;; amdgpu-corpus repo=pytorch/pytorch kind=compiled arch=gfx1100 opt=O3
	.text
	.amdgcn_target "amdgcn-amd-amdhsa--gfx1100"
	.amdhsa_code_object_version 6
	.section	.text._ZN2at6native12_GLOBAL__N_125multi_tensor_apply_kernelINS1_18TensorListMetadataILi2EEENS1_14UnaryOpFunctorIdLi2ELi1ELi1EEEJNS0_4ErfcIdEEEEEvT_T0_DpT1_,"axG",@progbits,_ZN2at6native12_GLOBAL__N_125multi_tensor_apply_kernelINS1_18TensorListMetadataILi2EEENS1_14UnaryOpFunctorIdLi2ELi1ELi1EEEJNS0_4ErfcIdEEEEEvT_T0_DpT1_,comdat
	.globl	_ZN2at6native12_GLOBAL__N_125multi_tensor_apply_kernelINS1_18TensorListMetadataILi2EEENS1_14UnaryOpFunctorIdLi2ELi1ELi1EEEJNS0_4ErfcIdEEEEEvT_T0_DpT1_ ; -- Begin function _ZN2at6native12_GLOBAL__N_125multi_tensor_apply_kernelINS1_18TensorListMetadataILi2EEENS1_14UnaryOpFunctorIdLi2ELi1ELi1EEEJNS0_4ErfcIdEEEEEvT_T0_DpT1_
	.p2align	8
	.type	_ZN2at6native12_GLOBAL__N_125multi_tensor_apply_kernelINS1_18TensorListMetadataILi2EEENS1_14UnaryOpFunctorIdLi2ELi1ELi1EEEJNS0_4ErfcIdEEEEEvT_T0_DpT1_,@function
_ZN2at6native12_GLOBAL__N_125multi_tensor_apply_kernelINS1_18TensorListMetadataILi2EEENS1_14UnaryOpFunctorIdLi2ELi1ELi1EEEJNS0_4ErfcIdEEEEEvT_T0_DpT1_: ; @_ZN2at6native12_GLOBAL__N_125multi_tensor_apply_kernelINS1_18TensorListMetadataILi2EEENS1_14UnaryOpFunctorIdLi2ELi1ELi1EEEJNS0_4ErfcIdEEEEEvT_T0_DpT1_
; %bb.0:
	v_mov_b32_e32 v1, s15
	s_add_u32 s2, s0, s15
	s_mul_hi_u32 s3, s15, 3
	s_mul_i32 s15, s15, 3
	s_addc_u32 s4, s1, 0
	global_load_u8 v1, v1, s[0:1] offset:1536
	s_add_u32 s2, s2, s15
	s_addc_u32 s3, s4, s3
	s_mov_b32 s7, 0
	s_load_b32 s2, s[2:3], 0x740
	s_mov_b32 s13, s7
	s_mov_b32 s17, s7
	s_waitcnt vmcnt(0)
	v_readfirstlane_b32 s5, v1
	s_delay_alu instid0(VALU_DEP_1)
	s_lshl_b32 s3, s5, 3
	s_clause 0x2
	s_load_b64 s[14:15], s[0:1], s3 offset:0x0
	s_load_b64 s[72:73], s[0:1], s3 offset:0x200
	;; [unrolled: 1-line block ×3, first 2 shown]
	s_waitcnt lgkmcnt(0)
	s_ashr_i32 s3, s2, 31
	s_delay_alu instid0(SALU_CYCLE_1) | instskip(NEXT) | instid1(SALU_CYCLE_1)
	s_lshl_b64 s[10:11], s[2:3], 19
	s_add_u32 s9, s14, s10
	s_addc_u32 s33, s15, s11
	s_and_b32 s6, s9, 31
	s_add_u32 s92, s72, s10
	s_addc_u32 s93, s73, s11
	s_and_b32 s12, s4, 3
	s_and_b32 s16, s92, 31
	s_or_b64 s[6:7], s[6:7], s[12:13]
	s_lshl_b64 s[2:3], s[2:3], 16
	s_or_b64 s[6:7], s[16:17], s[6:7]
	s_sub_u32 s12, s4, s2
	s_subb_u32 s13, s5, s3
	s_cmp_eq_u64 s[6:7], 0
	s_mov_b32 s2, -1
	s_cbranch_scc0 .LBB0_5
; %bb.1:
	v_dual_mov_b32 v10, 0 :: v_dual_lshlrev_b32 v9, 2, v0
	s_mov_b32 s94, exec_lo
	s_delay_alu instid0(VALU_DEP_1)
	v_cmpx_gt_i64_e64 s[12:13], v[9:10]
	s_cbranch_execz .LBB0_4
; %bb.2:
	s_load_b32 s2, s[0:1], 0xc5c
	v_lshlrev_b32_e32 v11, 5, v0
	s_mov_b32 s16, 0x652b82fe
	s_mov_b32 s18, 0xfefa39ef
	;; [unrolled: 1-line block ×18, first 2 shown]
	s_waitcnt lgkmcnt(0)
	s_and_b32 s2, s2, 0xffff
	s_mov_b32 s54, 0xa56e15f1
	v_add_lshl_u32 v9, v0, s2, 2
	s_mov_b32 s56, 0x71c907de
	s_mov_b32 s58, 0x2cd770fb
	;; [unrolled: 1-line block ×54, first 2 shown]
	s_lshl_b32 s96, s2, 2
	s_lshl_b32 s97, s2, 5
.LBB0_3:                                ; =>This Inner Loop Header: Depth=1
	v_add_co_u32 v1, s2, s9, v11
	s_delay_alu instid0(VALU_DEP_1)
	v_add_co_ci_u32_e64 v2, null, s33, 0, s2
	s_clause 0x1
	global_load_b128 v[5:8], v[1:2], off
	global_load_b128 v[1:4], v[1:2], off offset:16
	s_waitcnt vmcnt(1)
	v_add_f64 v[12:13], |v[5:6]|, 4.0
	s_waitcnt vmcnt(0)
	v_add_f64 v[16:17], |v[1:2]|, 4.0
	v_add_f64 v[14:15], |v[7:8]|, 4.0
	;; [unrolled: 1-line block ×3, first 2 shown]
	v_add_f64 v[60:61], |v[5:6]|, |v[5:6]|
	v_add_f64 v[64:65], |v[1:2]|, |v[1:2]|
	;; [unrolled: 1-line block ×4, first 2 shown]
	v_rcp_f64_e32 v[20:21], v[12:13]
	v_rcp_f64_e32 v[24:25], v[16:17]
	v_rcp_f64_e32 v[22:23], v[14:15]
	v_rcp_f64_e32 v[26:27], v[18:19]
	s_delay_alu instid0(VALU_DEP_4) | instskip(NEXT) | instid1(VALU_DEP_4)
	v_add_f64 v[68:69], v[60:61], 1.0
	v_add_f64 v[72:73], v[64:65], 1.0
	s_delay_alu instid0(VALU_DEP_4) | instskip(NEXT) | instid1(VALU_DEP_4)
	v_add_f64 v[70:71], v[62:63], 1.0
	v_add_f64 v[74:75], v[66:67], 1.0
	v_fma_f64 v[28:29], -v[12:13], v[20:21], 1.0
	s_delay_alu instid0(TRANS32_DEP_3) | instskip(NEXT) | instid1(TRANS32_DEP_2)
	v_fma_f64 v[32:33], -v[16:17], v[24:25], 1.0
	v_fma_f64 v[30:31], -v[14:15], v[22:23], 1.0
	s_delay_alu instid0(TRANS32_DEP_1) | instskip(SKIP_4) | instid1(VALU_DEP_4)
	v_fma_f64 v[34:35], -v[18:19], v[26:27], 1.0
	v_rcp_f64_e32 v[76:77], v[68:69]
	v_rcp_f64_e32 v[80:81], v[72:73]
	;; [unrolled: 1-line block ×4, first 2 shown]
	v_fma_f64 v[20:21], v[28:29], v[20:21], v[20:21]
	s_delay_alu instid0(VALU_DEP_4)
	v_fma_f64 v[24:25], v[32:33], v[24:25], v[24:25]
	v_add_f64 v[28:29], |v[5:6]|, -4.0
	v_fma_f64 v[22:23], v[30:31], v[22:23], v[22:23]
	v_fma_f64 v[26:27], v[34:35], v[26:27], v[26:27]
	v_add_f64 v[32:33], |v[1:2]|, -4.0
	v_add_f64 v[30:31], |v[7:8]|, -4.0
	;; [unrolled: 1-line block ×3, first 2 shown]
	v_fma_f64 v[84:85], -v[68:69], v[76:77], 1.0
	s_delay_alu instid0(TRANS32_DEP_3) | instskip(NEXT) | instid1(TRANS32_DEP_2)
	v_fma_f64 v[88:89], -v[72:73], v[80:81], 1.0
	v_fma_f64 v[86:87], -v[70:71], v[78:79], 1.0
	s_delay_alu instid0(TRANS32_DEP_1)
	v_fma_f64 v[90:91], -v[74:75], v[82:83], 1.0
	v_fma_f64 v[12:13], -v[12:13], v[20:21], 1.0
	;; [unrolled: 1-line block ×5, first 2 shown]
	v_fma_f64 v[76:77], v[84:85], v[76:77], v[76:77]
	v_fma_f64 v[80:81], v[88:89], v[80:81], v[80:81]
	;; [unrolled: 1-line block ×8, first 2 shown]
	v_fma_f64 v[68:69], -v[68:69], v[76:77], 1.0
	v_fma_f64 v[72:73], -v[72:73], v[80:81], 1.0
	;; [unrolled: 1-line block ×4, first 2 shown]
	v_mul_f64 v[20:21], v[28:29], v[12:13]
	v_mul_f64 v[24:25], v[32:33], v[16:17]
	;; [unrolled: 1-line block ×4, first 2 shown]
	v_fma_f64 v[68:69], v[68:69], v[76:77], v[76:77]
	v_fma_f64 v[72:73], v[72:73], v[80:81], v[80:81]
	;; [unrolled: 1-line block ×4, first 2 shown]
	v_add_f64 v[28:29], v[20:21], 1.0
	v_add_f64 v[32:33], v[24:25], 1.0
	;; [unrolled: 1-line block ×4, first 2 shown]
	s_delay_alu instid0(VALU_DEP_4) | instskip(NEXT) | instid1(VALU_DEP_4)
	v_fma_f64 v[28:29], v[28:29], -4.0, |v[5:6]|
	v_fma_f64 v[32:33], v[32:33], -4.0, |v[1:2]|
	s_delay_alu instid0(VALU_DEP_4) | instskip(NEXT) | instid1(VALU_DEP_4)
	v_fma_f64 v[30:31], v[30:31], -4.0, |v[7:8]|
	v_fma_f64 v[34:35], v[34:35], -4.0, |v[3:4]|
	s_delay_alu instid0(VALU_DEP_4) | instskip(NEXT) | instid1(VALU_DEP_4)
	v_fma_f64 v[28:29], -v[20:21], |v[5:6]|, v[28:29]
	v_fma_f64 v[32:33], -v[24:25], |v[1:2]|, v[32:33]
	s_delay_alu instid0(VALU_DEP_4) | instskip(NEXT) | instid1(VALU_DEP_4)
	v_fma_f64 v[30:31], -v[22:23], |v[7:8]|, v[30:31]
	v_fma_f64 v[34:35], -v[26:27], |v[3:4]|, v[34:35]
	s_delay_alu instid0(VALU_DEP_4) | instskip(NEXT) | instid1(VALU_DEP_4)
	v_fma_f64 v[12:13], v[12:13], v[28:29], v[20:21]
	v_fma_f64 v[16:17], v[16:17], v[32:33], v[24:25]
	v_mul_f64 v[28:29], v[5:6], -v[5:6]
	v_fma_f64 v[14:15], v[14:15], v[30:31], v[22:23]
	v_fma_f64 v[18:19], v[18:19], v[34:35], v[26:27]
	v_mul_f64 v[30:31], v[7:8], -v[7:8]
	v_mul_f64 v[32:33], v[1:2], -v[1:2]
	;; [unrolled: 1-line block ×3, first 2 shown]
	v_fma_f64 v[20:21], v[12:13], s[46:47], s[44:45]
	v_fma_f64 v[24:25], v[16:17], s[46:47], s[44:45]
	v_mul_f64 v[36:37], v[28:29], s[16:17]
	v_fma_f64 v[22:23], v[14:15], s[46:47], s[44:45]
	v_fma_f64 v[26:27], v[18:19], s[46:47], s[44:45]
	v_mul_f64 v[38:39], v[30:31], s[16:17]
	v_mul_f64 v[40:41], v[32:33], s[16:17]
	;; [unrolled: 1-line block ×3, first 2 shown]
	v_cmp_nlt_f64_e64 s4, 0x40900000, v[28:29]
	v_cmp_ngt_f64_e64 s5, 0xc090cc00, v[28:29]
	v_cmp_nlt_f64_e32 vcc_lo, 0x40900000, v[30:31]
	v_cmp_ngt_f64_e64 s6, 0xc090cc00, v[30:31]
	v_cmp_nlt_f64_e64 s2, 0x40900000, v[32:33]
	v_cmp_ngt_f64_e64 s7, 0xc090cc00, v[32:33]
	v_cmp_nlt_f64_e64 s3, 0x40900000, v[34:35]
	v_cmp_ngt_f64_e64 s8, 0xc090cc00, v[34:35]
	v_fma_f64 v[20:21], v[12:13], v[20:21], s[48:49]
	v_fma_f64 v[24:25], v[16:17], v[24:25], s[48:49]
	v_rndne_f64_e32 v[36:37], v[36:37]
	v_fma_f64 v[22:23], v[14:15], v[22:23], s[48:49]
	v_fma_f64 v[26:27], v[18:19], v[26:27], s[48:49]
	v_rndne_f64_e32 v[38:39], v[38:39]
	v_rndne_f64_e32 v[40:41], v[40:41]
	;; [unrolled: 1-line block ×3, first 2 shown]
	v_fma_f64 v[20:21], v[12:13], v[20:21], s[50:51]
	v_fma_f64 v[24:25], v[16:17], v[24:25], s[50:51]
	;; [unrolled: 1-line block ×8, first 2 shown]
	v_cvt_i32_f64_e32 v76, v[36:37]
	v_cvt_i32_f64_e32 v78, v[40:41]
	;; [unrolled: 1-line block ×4, first 2 shown]
	v_fma_f64 v[20:21], v[12:13], v[20:21], s[52:53]
	v_fma_f64 v[24:25], v[16:17], v[24:25], s[52:53]
	;; [unrolled: 1-line block ×82, first 2 shown]
	v_fma_f64 v[52:53], v[44:45], v[52:53], 1.0
	v_fma_f64 v[22:23], v[14:15], v[22:23], s[74:75]
	v_fma_f64 v[26:27], v[18:19], v[26:27], s[74:75]
	v_fma_f64 v[54:55], v[46:47], v[54:55], 1.0
	v_fma_f64 v[56:57], v[48:49], v[56:57], 1.0
	;; [unrolled: 1-line block ×3, first 2 shown]
	v_fma_f64 v[20:21], v[12:13], v[20:21], s[76:77]
	v_fma_f64 v[24:25], v[16:17], v[24:25], s[76:77]
	;; [unrolled: 1-line block ×4, first 2 shown]
	s_delay_alu instid0(VALU_DEP_4) | instskip(NEXT) | instid1(VALU_DEP_4)
	v_fma_f64 v[20:21], v[12:13], v[20:21], s[78:79]
	v_fma_f64 v[24:25], v[16:17], v[24:25], s[78:79]
	s_delay_alu instid0(VALU_DEP_4) | instskip(NEXT) | instid1(VALU_DEP_4)
	v_fma_f64 v[22:23], v[14:15], v[22:23], s[78:79]
	v_fma_f64 v[26:27], v[18:19], v[26:27], s[78:79]
	;; [unrolled: 3-line block ×11, first 2 shown]
	v_fma_f64 v[20:21], v[44:45], v[52:53], 1.0
	v_fma_f64 v[14:15], v[14:15], v[22:23], s[88:89]
	v_fma_f64 v[22:23], v[46:47], v[54:55], 1.0
	v_fma_f64 v[24:25], v[48:49], v[56:57], 1.0
	v_fma_f64 v[52:53], -v[5:6], v[5:6], -v[28:29]
	v_fma_f64 v[18:19], v[18:19], v[26:27], s[88:89]
	v_fma_f64 v[26:27], v[50:51], v[58:59], 1.0
	v_fma_f64 v[56:57], -v[1:2], v[1:2], -v[32:33]
	v_fma_f64 v[54:55], -v[7:8], v[7:8], -v[30:31]
	;; [unrolled: 1-line block ×3, first 2 shown]
	v_fma_f64 v[36:37], v[12:13], v[68:69], v[68:69]
	v_fma_f64 v[40:41], v[16:17], v[72:73], v[72:73]
	v_ldexp_f64 v[20:21], v[20:21], v76
	v_fma_f64 v[38:39], v[14:15], v[70:71], v[70:71]
	v_ldexp_f64 v[22:23], v[22:23], v77
	v_ldexp_f64 v[24:25], v[24:25], v78
	v_fma_f64 v[42:43], v[18:19], v[74:75], v[74:75]
	v_ldexp_f64 v[26:27], v[26:27], v79
	v_fma_f64 v[44:45], -v[36:37], v[60:61], 1.0
	v_add_f64 v[12:13], v[12:13], -v[36:37]
	v_fma_f64 v[48:49], -v[40:41], v[64:65], 1.0
	v_add_f64 v[16:17], v[16:17], -v[40:41]
	v_cndmask_b32_e64 v21, 0x7ff00000, v21, s4
	s_and_b32 s4, s5, s4
	v_cndmask_b32_e32 v23, 0x7ff00000, v23, vcc_lo
	v_cndmask_b32_e64 v20, 0, v20, s4
	s_and_b32 vcc_lo, s6, vcc_lo
	v_cndmask_b32_e64 v21, 0, v21, s5
	v_cndmask_b32_e64 v25, 0x7ff00000, v25, s2
	v_fma_f64 v[46:47], -v[38:39], v[62:63], 1.0
	v_add_f64 v[14:15], v[14:15], -v[38:39]
	v_fma_f64 v[50:51], -v[42:43], v[66:67], 1.0
	v_fma_f64 v[20:21], v[20:21], v[52:53], v[20:21]
	v_cndmask_b32_e64 v25, 0, v25, s7
	v_add_f64 v[18:19], v[18:19], -v[42:43]
	v_cndmask_b32_e64 v27, 0x7ff00000, v27, s3
	v_cndmask_b32_e64 v23, 0, v23, s6
	v_cmp_ngt_f64_e64 s4, |v[3:4]|, s[90:91]
	v_cmp_le_i64_e64 s5, s[12:13], v[9:10]
	v_cmp_lt_u64_e64 s6, 0xffff, v[9:10]
	v_cndmask_b32_e64 v27, 0, v27, s8
	s_delay_alu instid0(VALU_DEP_2) | instskip(SKIP_4) | instid1(VALU_DEP_4)
	s_or_b32 s5, s5, s6
	v_add_f64 v[12:13], v[44:45], v[12:13]
	v_add_f64 v[16:17], v[48:49], v[16:17]
	;; [unrolled: 1-line block ×4, first 2 shown]
	v_fma_f64 v[12:13], v[68:69], v[12:13], v[36:37]
	s_delay_alu instid0(VALU_DEP_4) | instskip(NEXT) | instid1(VALU_DEP_4)
	v_fma_f64 v[16:17], v[72:73], v[16:17], v[40:41]
	v_fma_f64 v[14:15], v[70:71], v[14:15], v[38:39]
	s_delay_alu instid0(VALU_DEP_4) | instskip(NEXT) | instid1(VALU_DEP_4)
	v_fma_f64 v[18:19], v[74:75], v[18:19], v[42:43]
	v_mul_f64 v[12:13], v[20:21], v[12:13]
	v_cndmask_b32_e32 v22, 0, v22, vcc_lo
	s_and_b32 vcc_lo, s7, s2
	v_cmp_ngt_f64_e64 s2, |v[7:8]|, s[90:91]
	v_cndmask_b32_e32 v24, 0, v24, vcc_lo
	s_and_b32 vcc_lo, s8, s3
	v_cmp_ngt_f64_e64 s3, |v[1:2]|, s[90:91]
	v_cndmask_b32_e32 v26, 0, v26, vcc_lo
	v_cmp_ngt_f64_e64 vcc_lo, |v[5:6]|, s[90:91]
	v_fma_f64 v[24:25], v[24:25], v[56:57], v[24:25]
	s_add_u32 s9, s9, s97
	s_addc_u32 s33, s33, 0
	v_dual_cndmask_b32 v13, 0, v13 :: v_dual_cndmask_b32 v12, 0, v12
	s_delay_alu instid0(VALU_DEP_2)
	v_mul_f64 v[16:17], v[24:25], v[16:17]
	v_cmp_gt_f64_e32 vcc_lo, 0, v[5:6]
	v_fma_f64 v[22:23], v[22:23], v[54:55], v[22:23]
	v_add_co_u32 v24, s7, s92, v11
	v_add_f64 v[20:21], -v[12:13], 2.0
	v_add_co_ci_u32_e64 v25, null, s93, 0, s7
	v_add_co_u32 v9, s7, v9, s96
	s_add_u32 s92, s92, s97
	v_add_co_ci_u32_e64 v10, s7, 0, v10, s7
	s_addc_u32 s93, s93, 0
	v_cndmask_b32_e64 v17, 0, v17, s3
	v_cndmask_b32_e64 v16, 0, v16, s3
	v_cmp_gt_f64_e64 s3, 0, v[1:2]
	v_mul_f64 v[14:15], v[22:23], v[14:15]
	v_cndmask_b32_e32 v1, v12, v20, vcc_lo
	v_fma_f64 v[26:27], v[26:27], v[58:59], v[26:27]
	v_cndmask_b32_e32 v2, v13, v21, vcc_lo
	s_delay_alu instid0(VALU_DEP_4) | instskip(SKIP_4) | instid1(VALU_DEP_4)
	v_cndmask_b32_e64 v15, 0, v15, s2
	v_cndmask_b32_e64 v14, 0, v14, s2
	v_cmp_gt_f64_e64 s2, 0, v[7:8]
	v_mul_f64 v[18:19], v[26:27], v[18:19]
	v_add_f64 v[7:8], -v[16:17], 2.0
	v_add_f64 v[5:6], -v[14:15], 2.0
	s_delay_alu instid0(VALU_DEP_3) | instskip(NEXT) | instid1(VALU_DEP_4)
	v_cndmask_b32_e64 v19, 0, v19, s4
	v_cndmask_b32_e64 v18, 0, v18, s4
	v_cmp_gt_f64_e64 s4, 0, v[3:4]
	s_delay_alu instid0(VALU_DEP_4)
	v_cndmask_b32_e64 v4, v15, v6, s2
	v_cndmask_b32_e64 v3, v14, v5, s2
	;; [unrolled: 1-line block ×3, first 2 shown]
	v_add_f64 v[22:23], -v[18:19], 2.0
	v_cndmask_b32_e64 v5, v16, v7, s3
	s_and_b32 s2, exec_lo, s5
	s_delay_alu instid0(SALU_CYCLE_1) | instskip(NEXT) | instid1(VALU_DEP_2)
	s_or_b32 s95, s2, s95
	v_cndmask_b32_e64 v8, v19, v23, s4
	s_delay_alu instid0(VALU_DEP_3)
	v_cndmask_b32_e64 v7, v18, v22, s4
	s_clause 0x1
	global_store_b128 v[24:25], v[1:4], off
	global_store_b128 v[24:25], v[5:8], off offset:16
	s_and_not1_b32 exec_lo, exec_lo, s95
	s_cbranch_execnz .LBB0_3
.LBB0_4:
	s_or_b32 exec_lo, exec_lo, s94
	s_mov_b32 s2, 0
.LBB0_5:
	s_delay_alu instid0(SALU_CYCLE_1)
	s_and_not1_b32 vcc_lo, exec_lo, s2
	s_cbranch_vccnz .LBB0_25
; %bb.6:
	v_cmp_lt_i64_e64 s2, s[12:13], 1
	s_delay_alu instid0(VALU_DEP_1)
	s_and_b32 vcc_lo, exec_lo, s2
	s_cbranch_vccnz .LBB0_25
; %bb.7:
	s_load_b32 s0, s[0:1], 0xc5c
	v_dual_mov_b32 v2, 0 :: v_dual_lshlrev_b32 v1, 3, v0
	v_cmp_gt_u64_e64 s1, 0x10000, s[12:13]
	s_mov_b32 s6, 0x652b82fe
	s_mov_b32 s8, 0xfefa39ef
	s_delay_alu instid0(VALU_DEP_2) | instskip(NEXT) | instid1(VALU_DEP_1)
	v_add_co_u32 v9, s2, s14, v1
	v_add_co_ci_u32_e64 v10, null, s15, 0, s2
	v_add_co_u32 v11, s2, s72, v1
	s_delay_alu instid0(VALU_DEP_1)
	v_add_co_ci_u32_e64 v12, null, s73, 0, s2
	s_mov_b32 s16, 0xfca7ab0c
	s_mov_b32 s18, 0x6a5dcb37
	;; [unrolled: 1-line block ×6, first 2 shown]
	s_waitcnt lgkmcnt(0)
	s_and_b32 s0, s0, 0xffff
	s_and_b32 s1, s1, exec_lo
	v_mad_u64_u32 v[3:4], null, s0, 24, v[1:2]
	s_cselect_b32 s5, s13, 0
	s_cselect_b32 s4, s12, 0x10000
	s_lshl_b32 s3, s0, 4
	s_mul_i32 s2, s0, 3
	v_add_co_u32 v1, s3, s3, v1
	s_delay_alu instid0(VALU_DEP_2) | instskip(NEXT) | instid1(VALU_DEP_3)
	v_add_co_u32 v13, vcc_lo, s14, v3
	v_add_co_ci_u32_e32 v14, vcc_lo, s15, v4, vcc_lo
	v_add_co_u32 v17, s2, s2, v0
	v_add_co_u32 v15, vcc_lo, s72, v3
	v_add_co_ci_u32_e64 v2, null, 0, 0, s3
	v_add_co_ci_u32_e64 v18, null, 0, 0, s2
	v_add_co_u32 v21, s2, v0, s0
	v_add_co_ci_u32_e32 v16, vcc_lo, s73, v4, vcc_lo
	v_add_co_u32 v19, vcc_lo, s14, v1
	v_add_co_ci_u32_e32 v20, vcc_lo, s15, v2, vcc_lo
	v_add_co_u32 v22, vcc_lo, s72, v1
	v_lshlrev_b32_e32 v1, 3, v21
	s_lshl_b32 s1, s0, 1
	v_add_co_ci_u32_e32 v23, vcc_lo, s73, v2, vcc_lo
	v_add_co_u32 v25, s1, s1, v0
	s_delay_alu instid0(VALU_DEP_1) | instskip(SKIP_1) | instid1(VALU_DEP_1)
	v_add_co_ci_u32_e64 v26, null, 0, 0, s1
	v_add_co_u32 v27, s1, s14, v1
	v_add_co_ci_u32_e64 v28, null, s15, 0, s1
	v_add_co_u32 v29, s1, s72, v1
	v_add_co_ci_u32_e64 v24, null, 0, 0, s2
	v_add_co_ci_u32_e64 v30, null, s73, 0, s1
	s_mov_b32 s14, 0x3b39803f
	s_mov_b32 s28, 0x11122322
	;; [unrolled: 1-line block ×64, first 2 shown]
	s_lshl_b32 s33, s0, 2
	s_lshl_b32 s86, s0, 5
	s_mov_b64 s[72:73], 0
	s_branch .LBB0_9
.LBB0_8:                                ;   in Loop: Header=BB0_9 Depth=1
	s_or_b32 exec_lo, exec_lo, s1
	v_add_co_u32 v9, vcc_lo, v9, s86
	v_add_co_ci_u32_e32 v10, vcc_lo, 0, v10, vcc_lo
	v_add_co_u32 v11, vcc_lo, v11, s86
	v_add_co_ci_u32_e32 v12, vcc_lo, 0, v12, vcc_lo
	;; [unrolled: 2-line block ×5, first 2 shown]
	s_add_u32 s72, s72, s33
	v_add_co_u32 v22, vcc_lo, v22, s86
	s_addc_u32 s73, s73, 0
	v_add_co_ci_u32_e32 v23, vcc_lo, 0, v23, vcc_lo
	v_cmp_ge_i64_e64 s0, s[72:73], s[12:13]
	v_cmp_lt_u64_e64 s1, 0xffff, s[72:73]
	v_add_co_u32 v27, vcc_lo, v27, s86
	v_add_co_ci_u32_e32 v28, vcc_lo, 0, v28, vcc_lo
	v_add_co_u32 v29, vcc_lo, v29, s86
	v_add_co_ci_u32_e32 v30, vcc_lo, 0, v30, vcc_lo
	s_or_b32 s0, s0, s1
	s_delay_alu instid0(SALU_CYCLE_1)
	s_and_b32 vcc_lo, exec_lo, s0
	s_cbranch_vccnz .LBB0_25
.LBB0_9:                                ; =>This Inner Loop Header: Depth=1
	s_waitcnt vmcnt(0)
	v_add_co_u32 v1, s0, v0, s72
	s_delay_alu instid0(VALU_DEP_1) | instskip(SKIP_2) | instid1(VALU_DEP_3)
	v_add_co_ci_u32_e64 v2, null, 0, s73, s0
	v_mov_b32_e32 v5, 0
	v_mov_b32_e32 v6, 0
	v_cmp_gt_u64_e64 s2, s[4:5], v[1:2]
	s_delay_alu instid0(VALU_DEP_2) | instskip(NEXT) | instid1(VALU_DEP_2)
	v_dual_mov_b32 v8, v6 :: v_dual_mov_b32 v7, v5
	s_and_saveexec_b32 s0, s2
	s_cbranch_execz .LBB0_11
; %bb.10:                               ;   in Loop: Header=BB0_9 Depth=1
	v_add_co_u32 v1, vcc_lo, v9, s10
	v_add_co_ci_u32_e32 v2, vcc_lo, s11, v10, vcc_lo
	global_load_b64 v[7:8], v[1:2], off
.LBB0_11:                               ;   in Loop: Header=BB0_9 Depth=1
	s_or_b32 exec_lo, exec_lo, s0
	v_add_co_u32 v1, vcc_lo, v21, s72
	v_add_co_ci_u32_e32 v2, vcc_lo, s73, v24, vcc_lo
	s_delay_alu instid0(VALU_DEP_1) | instskip(NEXT) | instid1(VALU_DEP_1)
	v_cmp_gt_u64_e64 s1, s[4:5], v[1:2]
	s_and_saveexec_b32 s0, s1
	s_cbranch_execz .LBB0_13
; %bb.12:                               ;   in Loop: Header=BB0_9 Depth=1
	v_add_co_u32 v1, vcc_lo, v27, s10
	v_add_co_ci_u32_e32 v2, vcc_lo, s11, v28, vcc_lo
	global_load_b64 v[5:6], v[1:2], off
.LBB0_13:                               ;   in Loop: Header=BB0_9 Depth=1
	s_or_b32 exec_lo, exec_lo, s0
	v_add_co_u32 v3, vcc_lo, v25, s72
	v_add_co_ci_u32_e32 v4, vcc_lo, s73, v26, vcc_lo
	v_mov_b32_e32 v1, 0
	v_mov_b32_e32 v2, 0
	s_delay_alu instid0(VALU_DEP_3) | instskip(NEXT) | instid1(VALU_DEP_2)
	v_cmp_gt_u64_e64 s0, s[4:5], v[3:4]
	v_dual_mov_b32 v4, v2 :: v_dual_mov_b32 v3, v1
	s_delay_alu instid0(VALU_DEP_2)
	s_and_saveexec_b32 s3, s0
	s_cbranch_execz .LBB0_15
; %bb.14:                               ;   in Loop: Header=BB0_9 Depth=1
	v_add_co_u32 v3, vcc_lo, v19, s10
	v_add_co_ci_u32_e32 v4, vcc_lo, s11, v20, vcc_lo
	global_load_b64 v[3:4], v[3:4], off
.LBB0_15:                               ;   in Loop: Header=BB0_9 Depth=1
	s_or_b32 exec_lo, exec_lo, s3
	v_add_co_u32 v31, vcc_lo, v17, s72
	v_add_co_ci_u32_e32 v32, vcc_lo, s73, v18, vcc_lo
	s_delay_alu instid0(VALU_DEP_1)
	v_cmp_gt_u64_e32 vcc_lo, s[4:5], v[31:32]
	s_and_saveexec_b32 s87, vcc_lo
	s_cbranch_execnz .LBB0_20
; %bb.16:                               ;   in Loop: Header=BB0_9 Depth=1
	s_or_b32 exec_lo, exec_lo, s87
	s_and_saveexec_b32 s87, s2
	s_cbranch_execnz .LBB0_21
.LBB0_17:                               ;   in Loop: Header=BB0_9 Depth=1
	s_or_b32 exec_lo, exec_lo, s87
	s_and_saveexec_b32 s3, s1
	s_cbranch_execnz .LBB0_22
.LBB0_18:                               ;   in Loop: Header=BB0_9 Depth=1
	s_or_b32 exec_lo, exec_lo, s3
	s_and_saveexec_b32 s2, s0
	s_cbranch_execnz .LBB0_23
.LBB0_19:                               ;   in Loop: Header=BB0_9 Depth=1
	s_or_b32 exec_lo, exec_lo, s2
	s_and_saveexec_b32 s1, vcc_lo
	s_cbranch_execz .LBB0_8
	s_branch .LBB0_24
.LBB0_20:                               ;   in Loop: Header=BB0_9 Depth=1
	v_add_co_u32 v1, s3, v13, s10
	s_delay_alu instid0(VALU_DEP_1)
	v_add_co_ci_u32_e64 v2, s3, s11, v14, s3
	global_load_b64 v[1:2], v[1:2], off
	s_or_b32 exec_lo, exec_lo, s87
	s_and_saveexec_b32 s87, s2
	s_cbranch_execz .LBB0_17
.LBB0_21:                               ;   in Loop: Header=BB0_9 Depth=1
	s_waitcnt vmcnt(0)
	v_add_f64 v[31:32], |v[7:8]|, 4.0
	v_add_f64 v[43:44], |v[7:8]|, |v[7:8]|
	s_delay_alu instid0(VALU_DEP_2) | instskip(NEXT) | instid1(VALU_DEP_1)
	v_rcp_f64_e32 v[33:34], v[31:32]
	v_add_f64 v[45:46], v[43:44], 1.0
	s_delay_alu instid0(VALU_DEP_1) | instskip(SKIP_2) | instid1(VALU_DEP_1)
	v_rcp_f64_e32 v[47:48], v[45:46]
	s_waitcnt_depctr 0xfff
	v_fma_f64 v[35:36], -v[31:32], v[33:34], 1.0
	v_fma_f64 v[33:34], v[35:36], v[33:34], v[33:34]
	v_add_f64 v[35:36], |v[7:8]|, -4.0
	v_fma_f64 v[49:50], -v[45:46], v[47:48], 1.0
	s_delay_alu instid0(VALU_DEP_3) | instskip(NEXT) | instid1(VALU_DEP_2)
	v_fma_f64 v[31:32], -v[31:32], v[33:34], 1.0
	v_fma_f64 v[47:48], v[49:50], v[47:48], v[47:48]
	s_delay_alu instid0(VALU_DEP_2) | instskip(NEXT) | instid1(VALU_DEP_2)
	v_fma_f64 v[31:32], v[31:32], v[33:34], v[33:34]
	v_fma_f64 v[45:46], -v[45:46], v[47:48], 1.0
	s_delay_alu instid0(VALU_DEP_2) | instskip(NEXT) | instid1(VALU_DEP_2)
	v_mul_f64 v[33:34], v[35:36], v[31:32]
	v_fma_f64 v[45:46], v[45:46], v[47:48], v[47:48]
	s_delay_alu instid0(VALU_DEP_2) | instskip(NEXT) | instid1(VALU_DEP_1)
	v_add_f64 v[35:36], v[33:34], 1.0
	v_fma_f64 v[35:36], v[35:36], -4.0, |v[7:8]|
	s_delay_alu instid0(VALU_DEP_1) | instskip(NEXT) | instid1(VALU_DEP_1)
	v_fma_f64 v[35:36], -v[33:34], |v[7:8]|, v[35:36]
	v_fma_f64 v[31:32], v[31:32], v[35:36], v[33:34]
	v_mul_f64 v[35:36], v[7:8], -v[7:8]
	s_delay_alu instid0(VALU_DEP_2) | instskip(NEXT) | instid1(VALU_DEP_2)
	v_fma_f64 v[33:34], v[31:32], s[40:41], s[38:39]
	v_mul_f64 v[37:38], v[35:36], s[6:7]
	v_cmp_nlt_f64_e64 s2, 0x40900000, v[35:36]
	v_cmp_ngt_f64_e64 s3, 0xc090cc00, v[35:36]
	s_delay_alu instid0(VALU_DEP_4) | instskip(NEXT) | instid1(VALU_DEP_4)
	v_fma_f64 v[33:34], v[31:32], v[33:34], s[42:43]
	v_rndne_f64_e32 v[37:38], v[37:38]
	s_delay_alu instid0(VALU_DEP_2) | instskip(NEXT) | instid1(VALU_DEP_2)
	v_fma_f64 v[33:34], v[31:32], v[33:34], s[44:45]
	v_fma_f64 v[39:40], v[37:38], s[8:9], v[35:36]
	v_cvt_i32_f64_e32 v47, v[37:38]
	s_delay_alu instid0(VALU_DEP_3) | instskip(NEXT) | instid1(VALU_DEP_3)
	v_fma_f64 v[33:34], v[31:32], v[33:34], s[46:47]
	v_fma_f64 v[39:40], v[37:38], s[14:15], v[39:40]
	s_delay_alu instid0(VALU_DEP_2) | instskip(NEXT) | instid1(VALU_DEP_2)
	v_fma_f64 v[33:34], v[31:32], v[33:34], s[48:49]
	v_fma_f64 v[41:42], v[39:40], s[18:19], s[16:17]
	s_delay_alu instid0(VALU_DEP_2) | instskip(NEXT) | instid1(VALU_DEP_2)
	;; [unrolled: 3-line block ×10, first 2 shown]
	v_fma_f64 v[33:34], v[31:32], v[33:34], s[66:67]
	v_fma_f64 v[41:42], v[39:40], v[41:42], 1.0
	s_delay_alu instid0(VALU_DEP_2) | instskip(NEXT) | instid1(VALU_DEP_1)
	v_fma_f64 v[33:34], v[31:32], v[33:34], s[68:69]
	v_fma_f64 v[33:34], v[31:32], v[33:34], s[70:71]
	s_delay_alu instid0(VALU_DEP_1) | instskip(NEXT) | instid1(VALU_DEP_1)
	v_fma_f64 v[33:34], v[31:32], v[33:34], s[74:75]
	v_fma_f64 v[33:34], v[31:32], v[33:34], s[76:77]
	s_delay_alu instid0(VALU_DEP_1) | instskip(NEXT) | instid1(VALU_DEP_1)
	v_fma_f64 v[33:34], v[31:32], v[33:34], s[78:79]
	v_fma_f64 v[33:34], v[31:32], v[33:34], s[80:81]
	s_delay_alu instid0(VALU_DEP_1) | instskip(SKIP_1) | instid1(VALU_DEP_2)
	v_fma_f64 v[31:32], v[31:32], v[33:34], s[82:83]
	v_fma_f64 v[33:34], v[39:40], v[41:42], 1.0
	v_fma_f64 v[37:38], v[31:32], v[45:46], v[45:46]
	s_delay_alu instid0(VALU_DEP_2) | instskip(NEXT) | instid1(VALU_DEP_2)
	v_ldexp_f64 v[33:34], v[33:34], v47
	v_fma_f64 v[39:40], -v[37:38], v[43:44], 1.0
	v_add_f64 v[31:32], v[31:32], -v[37:38]
	s_delay_alu instid0(VALU_DEP_3) | instskip(SKIP_2) | instid1(VALU_DEP_3)
	v_cndmask_b32_e64 v41, 0x7ff00000, v34, s2
	v_fma_f64 v[34:35], -v[7:8], v[7:8], -v[35:36]
	s_and_b32 s2, s3, s2
	v_add_f64 v[31:32], v[39:40], v[31:32]
	s_delay_alu instid0(VALU_DEP_3) | instskip(SKIP_2) | instid1(VALU_DEP_2)
	v_cndmask_b32_e64 v40, 0, v41, s3
	v_cndmask_b32_e64 v39, 0, v33, s2
	v_cmp_ngt_f64_e64 s2, |v[7:8]|, s[84:85]
	v_fma_f64 v[33:34], v[39:40], v[34:35], v[39:40]
	v_fma_f64 v[31:32], v[45:46], v[31:32], v[37:38]
	s_delay_alu instid0(VALU_DEP_1) | instskip(NEXT) | instid1(VALU_DEP_1)
	v_mul_f64 v[31:32], v[33:34], v[31:32]
	v_cndmask_b32_e64 v32, 0, v32, s2
	s_delay_alu instid0(VALU_DEP_2) | instskip(SKIP_1) | instid1(VALU_DEP_2)
	v_cndmask_b32_e64 v31, 0, v31, s2
	v_cmp_gt_f64_e64 s2, 0, v[7:8]
	v_add_f64 v[33:34], -v[31:32], 2.0
	s_delay_alu instid0(VALU_DEP_1) | instskip(NEXT) | instid1(VALU_DEP_2)
	v_cndmask_b32_e64 v8, v32, v34, s2
	v_cndmask_b32_e64 v7, v31, v33, s2
	v_add_co_u32 v31, s2, v11, s10
	s_delay_alu instid0(VALU_DEP_1)
	v_add_co_ci_u32_e64 v32, s2, s11, v12, s2
	global_store_b64 v[31:32], v[7:8], off
	s_or_b32 exec_lo, exec_lo, s87
	s_and_saveexec_b32 s3, s1
	s_cbranch_execz .LBB0_18
.LBB0_22:                               ;   in Loop: Header=BB0_9 Depth=1
	s_waitcnt vmcnt(0)
	v_add_f64 v[7:8], |v[5:6]|, 4.0
	v_add_f64 v[41:42], |v[5:6]|, |v[5:6]|
	s_delay_alu instid0(VALU_DEP_2) | instskip(NEXT) | instid1(VALU_DEP_1)
	v_rcp_f64_e32 v[31:32], v[7:8]
	v_add_f64 v[43:44], v[41:42], 1.0
	s_delay_alu instid0(VALU_DEP_1) | instskip(SKIP_2) | instid1(VALU_DEP_1)
	v_rcp_f64_e32 v[45:46], v[43:44]
	s_waitcnt_depctr 0xfff
	v_fma_f64 v[33:34], -v[7:8], v[31:32], 1.0
	v_fma_f64 v[31:32], v[33:34], v[31:32], v[31:32]
	v_add_f64 v[33:34], |v[5:6]|, -4.0
	v_fma_f64 v[47:48], -v[43:44], v[45:46], 1.0
	s_delay_alu instid0(VALU_DEP_3) | instskip(NEXT) | instid1(VALU_DEP_2)
	v_fma_f64 v[7:8], -v[7:8], v[31:32], 1.0
	v_fma_f64 v[45:46], v[47:48], v[45:46], v[45:46]
	s_delay_alu instid0(VALU_DEP_2) | instskip(NEXT) | instid1(VALU_DEP_2)
	v_fma_f64 v[7:8], v[7:8], v[31:32], v[31:32]
	v_fma_f64 v[43:44], -v[43:44], v[45:46], 1.0
	s_delay_alu instid0(VALU_DEP_2) | instskip(NEXT) | instid1(VALU_DEP_2)
	v_mul_f64 v[31:32], v[33:34], v[7:8]
	v_fma_f64 v[43:44], v[43:44], v[45:46], v[45:46]
	s_delay_alu instid0(VALU_DEP_2) | instskip(NEXT) | instid1(VALU_DEP_1)
	v_add_f64 v[33:34], v[31:32], 1.0
	v_fma_f64 v[33:34], v[33:34], -4.0, |v[5:6]|
	s_delay_alu instid0(VALU_DEP_1) | instskip(NEXT) | instid1(VALU_DEP_1)
	v_fma_f64 v[33:34], -v[31:32], |v[5:6]|, v[33:34]
	v_fma_f64 v[7:8], v[7:8], v[33:34], v[31:32]
	v_mul_f64 v[33:34], v[5:6], -v[5:6]
	s_delay_alu instid0(VALU_DEP_2) | instskip(NEXT) | instid1(VALU_DEP_2)
	v_fma_f64 v[31:32], v[7:8], s[40:41], s[38:39]
	v_mul_f64 v[35:36], v[33:34], s[6:7]
	v_cmp_nlt_f64_e64 s1, 0x40900000, v[33:34]
	v_cmp_ngt_f64_e64 s2, 0xc090cc00, v[33:34]
	s_delay_alu instid0(VALU_DEP_4) | instskip(NEXT) | instid1(VALU_DEP_4)
	v_fma_f64 v[31:32], v[7:8], v[31:32], s[42:43]
	v_rndne_f64_e32 v[35:36], v[35:36]
	s_delay_alu instid0(VALU_DEP_2) | instskip(NEXT) | instid1(VALU_DEP_2)
	v_fma_f64 v[31:32], v[7:8], v[31:32], s[44:45]
	v_fma_f64 v[37:38], v[35:36], s[8:9], v[33:34]
	v_cvt_i32_f64_e32 v45, v[35:36]
	s_delay_alu instid0(VALU_DEP_3) | instskip(NEXT) | instid1(VALU_DEP_3)
	v_fma_f64 v[31:32], v[7:8], v[31:32], s[46:47]
	v_fma_f64 v[37:38], v[35:36], s[14:15], v[37:38]
	s_delay_alu instid0(VALU_DEP_2) | instskip(NEXT) | instid1(VALU_DEP_2)
	v_fma_f64 v[31:32], v[7:8], v[31:32], s[48:49]
	v_fma_f64 v[39:40], v[37:38], s[18:19], s[16:17]
	s_delay_alu instid0(VALU_DEP_2) | instskip(NEXT) | instid1(VALU_DEP_2)
	;; [unrolled: 3-line block ×10, first 2 shown]
	v_fma_f64 v[31:32], v[7:8], v[31:32], s[66:67]
	v_fma_f64 v[39:40], v[37:38], v[39:40], 1.0
	s_delay_alu instid0(VALU_DEP_2) | instskip(NEXT) | instid1(VALU_DEP_1)
	v_fma_f64 v[31:32], v[7:8], v[31:32], s[68:69]
	v_fma_f64 v[31:32], v[7:8], v[31:32], s[70:71]
	s_delay_alu instid0(VALU_DEP_1) | instskip(NEXT) | instid1(VALU_DEP_1)
	v_fma_f64 v[31:32], v[7:8], v[31:32], s[74:75]
	v_fma_f64 v[31:32], v[7:8], v[31:32], s[76:77]
	s_delay_alu instid0(VALU_DEP_1) | instskip(NEXT) | instid1(VALU_DEP_1)
	v_fma_f64 v[31:32], v[7:8], v[31:32], s[78:79]
	v_fma_f64 v[31:32], v[7:8], v[31:32], s[80:81]
	s_delay_alu instid0(VALU_DEP_1) | instskip(SKIP_1) | instid1(VALU_DEP_2)
	v_fma_f64 v[7:8], v[7:8], v[31:32], s[82:83]
	v_fma_f64 v[31:32], v[37:38], v[39:40], 1.0
	v_fma_f64 v[35:36], v[7:8], v[43:44], v[43:44]
	s_delay_alu instid0(VALU_DEP_2) | instskip(NEXT) | instid1(VALU_DEP_2)
	v_ldexp_f64 v[31:32], v[31:32], v45
	v_fma_f64 v[37:38], -v[35:36], v[41:42], 1.0
	v_add_f64 v[7:8], v[7:8], -v[35:36]
	s_delay_alu instid0(VALU_DEP_3) | instskip(SKIP_2) | instid1(VALU_DEP_3)
	v_cndmask_b32_e64 v39, 0x7ff00000, v32, s1
	v_fma_f64 v[32:33], -v[5:6], v[5:6], -v[33:34]
	s_and_b32 s1, s2, s1
	v_add_f64 v[7:8], v[37:38], v[7:8]
	s_delay_alu instid0(VALU_DEP_3) | instskip(SKIP_2) | instid1(VALU_DEP_2)
	v_cndmask_b32_e64 v38, 0, v39, s2
	v_cndmask_b32_e64 v37, 0, v31, s1
	v_cmp_ngt_f64_e64 s1, |v[5:6]|, s[84:85]
	v_fma_f64 v[31:32], v[37:38], v[32:33], v[37:38]
	v_fma_f64 v[7:8], v[43:44], v[7:8], v[35:36]
	s_delay_alu instid0(VALU_DEP_1) | instskip(NEXT) | instid1(VALU_DEP_1)
	v_mul_f64 v[7:8], v[31:32], v[7:8]
	v_cndmask_b32_e64 v8, 0, v8, s1
	s_delay_alu instid0(VALU_DEP_2) | instskip(SKIP_1) | instid1(VALU_DEP_2)
	v_cndmask_b32_e64 v7, 0, v7, s1
	v_cmp_gt_f64_e64 s1, 0, v[5:6]
	v_add_f64 v[31:32], -v[7:8], 2.0
	s_delay_alu instid0(VALU_DEP_1) | instskip(NEXT) | instid1(VALU_DEP_2)
	v_cndmask_b32_e64 v6, v8, v32, s1
	v_cndmask_b32_e64 v5, v7, v31, s1
	v_add_co_u32 v7, s1, v29, s10
	s_delay_alu instid0(VALU_DEP_1)
	v_add_co_ci_u32_e64 v8, s1, s11, v30, s1
	global_store_b64 v[7:8], v[5:6], off
	s_or_b32 exec_lo, exec_lo, s3
	s_and_saveexec_b32 s2, s0
	s_cbranch_execz .LBB0_19
.LBB0_23:                               ;   in Loop: Header=BB0_9 Depth=1
	s_waitcnt vmcnt(0)
	v_add_f64 v[5:6], |v[3:4]|, 4.0
	v_add_f64 v[39:40], |v[3:4]|, |v[3:4]|
	s_delay_alu instid0(VALU_DEP_2) | instskip(NEXT) | instid1(VALU_DEP_1)
	v_rcp_f64_e32 v[7:8], v[5:6]
	v_add_f64 v[41:42], v[39:40], 1.0
	s_delay_alu instid0(VALU_DEP_1) | instskip(SKIP_2) | instid1(VALU_DEP_1)
	v_rcp_f64_e32 v[43:44], v[41:42]
	s_waitcnt_depctr 0xfff
	v_fma_f64 v[31:32], -v[5:6], v[7:8], 1.0
	v_fma_f64 v[7:8], v[31:32], v[7:8], v[7:8]
	v_add_f64 v[31:32], |v[3:4]|, -4.0
	v_fma_f64 v[45:46], -v[41:42], v[43:44], 1.0
	s_delay_alu instid0(VALU_DEP_3) | instskip(NEXT) | instid1(VALU_DEP_2)
	v_fma_f64 v[5:6], -v[5:6], v[7:8], 1.0
	v_fma_f64 v[43:44], v[45:46], v[43:44], v[43:44]
	s_delay_alu instid0(VALU_DEP_2) | instskip(NEXT) | instid1(VALU_DEP_2)
	v_fma_f64 v[5:6], v[5:6], v[7:8], v[7:8]
	v_fma_f64 v[41:42], -v[41:42], v[43:44], 1.0
	s_delay_alu instid0(VALU_DEP_2) | instskip(NEXT) | instid1(VALU_DEP_2)
	v_mul_f64 v[7:8], v[31:32], v[5:6]
	v_fma_f64 v[41:42], v[41:42], v[43:44], v[43:44]
	s_delay_alu instid0(VALU_DEP_2) | instskip(NEXT) | instid1(VALU_DEP_1)
	v_add_f64 v[31:32], v[7:8], 1.0
	v_fma_f64 v[31:32], v[31:32], -4.0, |v[3:4]|
	s_delay_alu instid0(VALU_DEP_1) | instskip(NEXT) | instid1(VALU_DEP_1)
	v_fma_f64 v[31:32], -v[7:8], |v[3:4]|, v[31:32]
	v_fma_f64 v[5:6], v[5:6], v[31:32], v[7:8]
	v_mul_f64 v[31:32], v[3:4], -v[3:4]
	s_delay_alu instid0(VALU_DEP_2) | instskip(NEXT) | instid1(VALU_DEP_2)
	v_fma_f64 v[7:8], v[5:6], s[40:41], s[38:39]
	v_mul_f64 v[33:34], v[31:32], s[6:7]
	v_cmp_nlt_f64_e64 s0, 0x40900000, v[31:32]
	v_cmp_ngt_f64_e64 s1, 0xc090cc00, v[31:32]
	s_delay_alu instid0(VALU_DEP_4) | instskip(NEXT) | instid1(VALU_DEP_4)
	v_fma_f64 v[7:8], v[5:6], v[7:8], s[42:43]
	v_rndne_f64_e32 v[33:34], v[33:34]
	s_delay_alu instid0(VALU_DEP_2) | instskip(NEXT) | instid1(VALU_DEP_2)
	v_fma_f64 v[7:8], v[5:6], v[7:8], s[44:45]
	v_fma_f64 v[35:36], v[33:34], s[8:9], v[31:32]
	v_cvt_i32_f64_e32 v43, v[33:34]
	v_fma_f64 v[31:32], -v[3:4], v[3:4], -v[31:32]
	s_delay_alu instid0(VALU_DEP_4) | instskip(NEXT) | instid1(VALU_DEP_4)
	v_fma_f64 v[7:8], v[5:6], v[7:8], s[46:47]
	v_fma_f64 v[35:36], v[33:34], s[14:15], v[35:36]
	s_delay_alu instid0(VALU_DEP_2) | instskip(NEXT) | instid1(VALU_DEP_2)
	v_fma_f64 v[7:8], v[5:6], v[7:8], s[48:49]
	v_fma_f64 v[37:38], v[35:36], s[18:19], s[16:17]
	s_delay_alu instid0(VALU_DEP_2) | instskip(NEXT) | instid1(VALU_DEP_2)
	;; [unrolled: 3-line block ×10, first 2 shown]
	v_fma_f64 v[7:8], v[5:6], v[7:8], s[66:67]
	v_fma_f64 v[37:38], v[35:36], v[37:38], 1.0
	s_delay_alu instid0(VALU_DEP_2) | instskip(NEXT) | instid1(VALU_DEP_1)
	v_fma_f64 v[7:8], v[5:6], v[7:8], s[68:69]
	v_fma_f64 v[7:8], v[5:6], v[7:8], s[70:71]
	s_delay_alu instid0(VALU_DEP_1) | instskip(NEXT) | instid1(VALU_DEP_1)
	v_fma_f64 v[7:8], v[5:6], v[7:8], s[74:75]
	v_fma_f64 v[7:8], v[5:6], v[7:8], s[76:77]
	s_delay_alu instid0(VALU_DEP_1) | instskip(NEXT) | instid1(VALU_DEP_1)
	v_fma_f64 v[7:8], v[5:6], v[7:8], s[78:79]
	v_fma_f64 v[7:8], v[5:6], v[7:8], s[80:81]
	s_delay_alu instid0(VALU_DEP_1) | instskip(SKIP_1) | instid1(VALU_DEP_2)
	v_fma_f64 v[5:6], v[5:6], v[7:8], s[82:83]
	v_fma_f64 v[7:8], v[35:36], v[37:38], 1.0
	v_fma_f64 v[33:34], v[5:6], v[41:42], v[41:42]
	s_delay_alu instid0(VALU_DEP_2) | instskip(NEXT) | instid1(VALU_DEP_2)
	v_ldexp_f64 v[7:8], v[7:8], v43
	v_fma_f64 v[35:36], -v[33:34], v[39:40], 1.0
	v_add_f64 v[5:6], v[5:6], -v[33:34]
	s_delay_alu instid0(VALU_DEP_3)
	v_cndmask_b32_e64 v8, 0x7ff00000, v8, s0
	s_and_b32 s0, s1, s0
	s_delay_alu instid0(VALU_DEP_4) | instid1(SALU_CYCLE_1)
	v_cndmask_b32_e64 v7, 0, v7, s0
	v_cmp_ngt_f64_e64 s0, |v[3:4]|, s[84:85]
	s_delay_alu instid0(VALU_DEP_3) | instskip(NEXT) | instid1(VALU_DEP_1)
	v_cndmask_b32_e64 v8, 0, v8, s1
	v_fma_f64 v[7:8], v[7:8], v[31:32], v[7:8]
	v_add_f64 v[5:6], v[35:36], v[5:6]
	s_delay_alu instid0(VALU_DEP_1) | instskip(NEXT) | instid1(VALU_DEP_1)
	v_fma_f64 v[5:6], v[41:42], v[5:6], v[33:34]
	v_mul_f64 v[5:6], v[7:8], v[5:6]
	s_delay_alu instid0(VALU_DEP_1) | instskip(NEXT) | instid1(VALU_DEP_2)
	v_cndmask_b32_e64 v6, 0, v6, s0
	v_cndmask_b32_e64 v5, 0, v5, s0
	v_cmp_gt_f64_e64 s0, 0, v[3:4]
	s_delay_alu instid0(VALU_DEP_2) | instskip(NEXT) | instid1(VALU_DEP_1)
	v_add_f64 v[7:8], -v[5:6], 2.0
	v_cndmask_b32_e64 v4, v6, v8, s0
	s_delay_alu instid0(VALU_DEP_2) | instskip(SKIP_1) | instid1(VALU_DEP_1)
	v_cndmask_b32_e64 v3, v5, v7, s0
	v_add_co_u32 v5, s0, v22, s10
	v_add_co_ci_u32_e64 v6, s0, s11, v23, s0
	global_store_b64 v[5:6], v[3:4], off
	s_or_b32 exec_lo, exec_lo, s2
	s_and_saveexec_b32 s1, vcc_lo
	s_cbranch_execz .LBB0_8
.LBB0_24:                               ;   in Loop: Header=BB0_9 Depth=1
	s_waitcnt vmcnt(0)
	v_add_f64 v[3:4], |v[1:2]|, 4.0
	v_add_f64 v[37:38], |v[1:2]|, |v[1:2]|
	s_delay_alu instid0(VALU_DEP_2) | instskip(NEXT) | instid1(VALU_DEP_1)
	v_rcp_f64_e32 v[5:6], v[3:4]
	v_add_f64 v[39:40], v[37:38], 1.0
	s_delay_alu instid0(VALU_DEP_1) | instskip(SKIP_2) | instid1(VALU_DEP_1)
	v_rcp_f64_e32 v[41:42], v[39:40]
	s_waitcnt_depctr 0xfff
	v_fma_f64 v[7:8], -v[3:4], v[5:6], 1.0
	v_fma_f64 v[5:6], v[7:8], v[5:6], v[5:6]
	v_add_f64 v[7:8], |v[1:2]|, -4.0
	v_fma_f64 v[43:44], -v[39:40], v[41:42], 1.0
	s_delay_alu instid0(VALU_DEP_3) | instskip(NEXT) | instid1(VALU_DEP_2)
	v_fma_f64 v[3:4], -v[3:4], v[5:6], 1.0
	v_fma_f64 v[41:42], v[43:44], v[41:42], v[41:42]
	s_delay_alu instid0(VALU_DEP_2) | instskip(NEXT) | instid1(VALU_DEP_2)
	v_fma_f64 v[3:4], v[3:4], v[5:6], v[5:6]
	v_fma_f64 v[39:40], -v[39:40], v[41:42], 1.0
	s_delay_alu instid0(VALU_DEP_2) | instskip(NEXT) | instid1(VALU_DEP_2)
	v_mul_f64 v[5:6], v[7:8], v[3:4]
	v_fma_f64 v[39:40], v[39:40], v[41:42], v[41:42]
	s_delay_alu instid0(VALU_DEP_2) | instskip(NEXT) | instid1(VALU_DEP_1)
	v_add_f64 v[7:8], v[5:6], 1.0
	v_fma_f64 v[7:8], v[7:8], -4.0, |v[1:2]|
	s_delay_alu instid0(VALU_DEP_1) | instskip(NEXT) | instid1(VALU_DEP_1)
	v_fma_f64 v[7:8], -v[5:6], |v[1:2]|, v[7:8]
	v_fma_f64 v[3:4], v[3:4], v[7:8], v[5:6]
	v_mul_f64 v[7:8], v[1:2], -v[1:2]
	s_delay_alu instid0(VALU_DEP_2) | instskip(NEXT) | instid1(VALU_DEP_2)
	v_fma_f64 v[5:6], v[3:4], s[40:41], s[38:39]
	v_mul_f64 v[31:32], v[7:8], s[6:7]
	v_cmp_nlt_f64_e32 vcc_lo, 0x40900000, v[7:8]
	v_cmp_ngt_f64_e64 s0, 0xc090cc00, v[7:8]
	s_delay_alu instid0(VALU_DEP_4) | instskip(NEXT) | instid1(VALU_DEP_4)
	v_fma_f64 v[5:6], v[3:4], v[5:6], s[42:43]
	v_rndne_f64_e32 v[31:32], v[31:32]
	s_delay_alu instid0(VALU_DEP_2) | instskip(NEXT) | instid1(VALU_DEP_2)
	v_fma_f64 v[5:6], v[3:4], v[5:6], s[44:45]
	v_fma_f64 v[33:34], v[31:32], s[8:9], v[7:8]
	v_cvt_i32_f64_e32 v41, v[31:32]
	s_delay_alu instid0(VALU_DEP_3) | instskip(NEXT) | instid1(VALU_DEP_3)
	v_fma_f64 v[5:6], v[3:4], v[5:6], s[46:47]
	v_fma_f64 v[33:34], v[31:32], s[14:15], v[33:34]
	s_delay_alu instid0(VALU_DEP_2) | instskip(NEXT) | instid1(VALU_DEP_2)
	v_fma_f64 v[5:6], v[3:4], v[5:6], s[48:49]
	v_fma_f64 v[35:36], v[33:34], s[18:19], s[16:17]
	s_delay_alu instid0(VALU_DEP_2) | instskip(NEXT) | instid1(VALU_DEP_2)
	;; [unrolled: 3-line block ×10, first 2 shown]
	v_fma_f64 v[5:6], v[3:4], v[5:6], s[66:67]
	v_fma_f64 v[35:36], v[33:34], v[35:36], 1.0
	s_delay_alu instid0(VALU_DEP_2) | instskip(NEXT) | instid1(VALU_DEP_1)
	v_fma_f64 v[5:6], v[3:4], v[5:6], s[68:69]
	v_fma_f64 v[5:6], v[3:4], v[5:6], s[70:71]
	s_delay_alu instid0(VALU_DEP_1) | instskip(NEXT) | instid1(VALU_DEP_1)
	v_fma_f64 v[5:6], v[3:4], v[5:6], s[74:75]
	v_fma_f64 v[5:6], v[3:4], v[5:6], s[76:77]
	s_delay_alu instid0(VALU_DEP_1) | instskip(NEXT) | instid1(VALU_DEP_1)
	v_fma_f64 v[5:6], v[3:4], v[5:6], s[78:79]
	v_fma_f64 v[5:6], v[3:4], v[5:6], s[80:81]
	s_delay_alu instid0(VALU_DEP_1) | instskip(SKIP_1) | instid1(VALU_DEP_2)
	v_fma_f64 v[3:4], v[3:4], v[5:6], s[82:83]
	v_fma_f64 v[5:6], v[33:34], v[35:36], 1.0
	v_fma_f64 v[31:32], v[3:4], v[39:40], v[39:40]
	s_delay_alu instid0(VALU_DEP_2) | instskip(NEXT) | instid1(VALU_DEP_2)
	v_ldexp_f64 v[5:6], v[5:6], v41
	v_fma_f64 v[33:34], -v[31:32], v[37:38], 1.0
	v_add_f64 v[3:4], v[3:4], -v[31:32]
	s_delay_alu instid0(VALU_DEP_3) | instskip(SKIP_2) | instid1(VALU_DEP_3)
	v_cndmask_b32_e32 v35, 0x7ff00000, v6, vcc_lo
	v_fma_f64 v[6:7], -v[1:2], v[1:2], -v[7:8]
	s_and_b32 vcc_lo, s0, vcc_lo
	v_add_f64 v[3:4], v[33:34], v[3:4]
	s_delay_alu instid0(VALU_DEP_3) | instskip(SKIP_2) | instid1(VALU_DEP_2)
	v_cndmask_b32_e64 v34, 0, v35, s0
	v_cndmask_b32_e32 v33, 0, v5, vcc_lo
	v_cmp_ngt_f64_e64 vcc_lo, |v[1:2]|, s[84:85]
	v_fma_f64 v[5:6], v[33:34], v[6:7], v[33:34]
	v_fma_f64 v[3:4], v[39:40], v[3:4], v[31:32]
	s_delay_alu instid0(VALU_DEP_1) | instskip(NEXT) | instid1(VALU_DEP_1)
	v_mul_f64 v[3:4], v[5:6], v[3:4]
	v_dual_cndmask_b32 v4, 0, v4 :: v_dual_cndmask_b32 v3, 0, v3
	v_cmp_gt_f64_e32 vcc_lo, 0, v[1:2]
	s_delay_alu instid0(VALU_DEP_2) | instskip(NEXT) | instid1(VALU_DEP_1)
	v_add_f64 v[5:6], -v[3:4], 2.0
	v_dual_cndmask_b32 v2, v4, v6 :: v_dual_cndmask_b32 v1, v3, v5
	v_add_co_u32 v3, vcc_lo, v15, s10
	v_add_co_ci_u32_e32 v4, vcc_lo, s11, v16, vcc_lo
	global_store_b64 v[3:4], v[1:2], off
	s_branch .LBB0_8
.LBB0_25:
	s_nop 0
	s_sendmsg sendmsg(MSG_DEALLOC_VGPRS)
	s_endpgm
	.section	.rodata,"a",@progbits
	.p2align	6, 0x0
	.amdhsa_kernel _ZN2at6native12_GLOBAL__N_125multi_tensor_apply_kernelINS1_18TensorListMetadataILi2EEENS1_14UnaryOpFunctorIdLi2ELi1ELi1EEEJNS0_4ErfcIdEEEEEvT_T0_DpT1_
		.amdhsa_group_segment_fixed_size 0
		.amdhsa_private_segment_fixed_size 0
		.amdhsa_kernarg_size 3408
		.amdhsa_user_sgpr_count 15
		.amdhsa_user_sgpr_dispatch_ptr 0
		.amdhsa_user_sgpr_queue_ptr 0
		.amdhsa_user_sgpr_kernarg_segment_ptr 1
		.amdhsa_user_sgpr_dispatch_id 0
		.amdhsa_user_sgpr_private_segment_size 0
		.amdhsa_wavefront_size32 1
		.amdhsa_uses_dynamic_stack 0
		.amdhsa_enable_private_segment 0
		.amdhsa_system_sgpr_workgroup_id_x 1
		.amdhsa_system_sgpr_workgroup_id_y 0
		.amdhsa_system_sgpr_workgroup_id_z 0
		.amdhsa_system_sgpr_workgroup_info 0
		.amdhsa_system_vgpr_workitem_id 0
		.amdhsa_next_free_vgpr 92
		.amdhsa_next_free_sgpr 98
		.amdhsa_reserve_vcc 1
		.amdhsa_float_round_mode_32 0
		.amdhsa_float_round_mode_16_64 0
		.amdhsa_float_denorm_mode_32 3
		.amdhsa_float_denorm_mode_16_64 3
		.amdhsa_dx10_clamp 1
		.amdhsa_ieee_mode 1
		.amdhsa_fp16_overflow 0
		.amdhsa_workgroup_processor_mode 1
		.amdhsa_memory_ordered 1
		.amdhsa_forward_progress 0
		.amdhsa_shared_vgpr_count 0
		.amdhsa_exception_fp_ieee_invalid_op 0
		.amdhsa_exception_fp_denorm_src 0
		.amdhsa_exception_fp_ieee_div_zero 0
		.amdhsa_exception_fp_ieee_overflow 0
		.amdhsa_exception_fp_ieee_underflow 0
		.amdhsa_exception_fp_ieee_inexact 0
		.amdhsa_exception_int_div_zero 0
	.end_amdhsa_kernel
	.section	.text._ZN2at6native12_GLOBAL__N_125multi_tensor_apply_kernelINS1_18TensorListMetadataILi2EEENS1_14UnaryOpFunctorIdLi2ELi1ELi1EEEJNS0_4ErfcIdEEEEEvT_T0_DpT1_,"axG",@progbits,_ZN2at6native12_GLOBAL__N_125multi_tensor_apply_kernelINS1_18TensorListMetadataILi2EEENS1_14UnaryOpFunctorIdLi2ELi1ELi1EEEJNS0_4ErfcIdEEEEEvT_T0_DpT1_,comdat
.Lfunc_end0:
	.size	_ZN2at6native12_GLOBAL__N_125multi_tensor_apply_kernelINS1_18TensorListMetadataILi2EEENS1_14UnaryOpFunctorIdLi2ELi1ELi1EEEJNS0_4ErfcIdEEEEEvT_T0_DpT1_, .Lfunc_end0-_ZN2at6native12_GLOBAL__N_125multi_tensor_apply_kernelINS1_18TensorListMetadataILi2EEENS1_14UnaryOpFunctorIdLi2ELi1ELi1EEEJNS0_4ErfcIdEEEEEvT_T0_DpT1_
                                        ; -- End function
	.section	.AMDGPU.csdata,"",@progbits
; Kernel info:
; codeLenInByte = 8088
; NumSgprs: 100
; NumVgprs: 92
; ScratchSize: 0
; MemoryBound: 0
; FloatMode: 240
; IeeeMode: 1
; LDSByteSize: 0 bytes/workgroup (compile time only)
; SGPRBlocks: 12
; VGPRBlocks: 11
; NumSGPRsForWavesPerEU: 100
; NumVGPRsForWavesPerEU: 92
; Occupancy: 16
; WaveLimiterHint : 0
; COMPUTE_PGM_RSRC2:SCRATCH_EN: 0
; COMPUTE_PGM_RSRC2:USER_SGPR: 15
; COMPUTE_PGM_RSRC2:TRAP_HANDLER: 0
; COMPUTE_PGM_RSRC2:TGID_X_EN: 1
; COMPUTE_PGM_RSRC2:TGID_Y_EN: 0
; COMPUTE_PGM_RSRC2:TGID_Z_EN: 0
; COMPUTE_PGM_RSRC2:TIDIG_COMP_CNT: 0
	.section	.text._ZN2at6native12_GLOBAL__N_125multi_tensor_apply_kernelINS1_18TensorListMetadataILi2EEENS1_14UnaryOpFunctorIfLi2ELi1ELi1EEEJNS0_4ErfcIfEEEEEvT_T0_DpT1_,"axG",@progbits,_ZN2at6native12_GLOBAL__N_125multi_tensor_apply_kernelINS1_18TensorListMetadataILi2EEENS1_14UnaryOpFunctorIfLi2ELi1ELi1EEEJNS0_4ErfcIfEEEEEvT_T0_DpT1_,comdat
	.globl	_ZN2at6native12_GLOBAL__N_125multi_tensor_apply_kernelINS1_18TensorListMetadataILi2EEENS1_14UnaryOpFunctorIfLi2ELi1ELi1EEEJNS0_4ErfcIfEEEEEvT_T0_DpT1_ ; -- Begin function _ZN2at6native12_GLOBAL__N_125multi_tensor_apply_kernelINS1_18TensorListMetadataILi2EEENS1_14UnaryOpFunctorIfLi2ELi1ELi1EEEJNS0_4ErfcIfEEEEEvT_T0_DpT1_
	.p2align	8
	.type	_ZN2at6native12_GLOBAL__N_125multi_tensor_apply_kernelINS1_18TensorListMetadataILi2EEENS1_14UnaryOpFunctorIfLi2ELi1ELi1EEEJNS0_4ErfcIfEEEEEvT_T0_DpT1_,@function
_ZN2at6native12_GLOBAL__N_125multi_tensor_apply_kernelINS1_18TensorListMetadataILi2EEENS1_14UnaryOpFunctorIfLi2ELi1ELi1EEEJNS0_4ErfcIfEEEEEvT_T0_DpT1_: ; @_ZN2at6native12_GLOBAL__N_125multi_tensor_apply_kernelINS1_18TensorListMetadataILi2EEENS1_14UnaryOpFunctorIfLi2ELi1ELi1EEEJNS0_4ErfcIfEEEEEvT_T0_DpT1_
; %bb.0:
	v_mov_b32_e32 v1, s15
	s_add_u32 s2, s0, s15
	s_mul_hi_u32 s3, s15, 3
	s_mul_i32 s15, s15, 3
	s_addc_u32 s4, s1, 0
	global_load_u8 v1, v1, s[0:1] offset:1536
	s_add_u32 s2, s2, s15
	s_addc_u32 s3, s4, s3
	s_mov_b32 s19, 0
	s_load_b32 s2, s[2:3], 0x740
	s_mov_b32 s21, s19
	s_mov_b32 s23, s19
	s_waitcnt vmcnt(0)
	v_readfirstlane_b32 s5, v1
	s_delay_alu instid0(VALU_DEP_1)
	s_lshl_b32 s3, s5, 3
	s_clause 0x2
	s_load_b64 s[10:11], s[0:1], s3 offset:0x0
	s_load_b64 s[12:13], s[0:1], s3 offset:0x200
	;; [unrolled: 1-line block ×3, first 2 shown]
	s_waitcnt lgkmcnt(0)
	s_ashr_i32 s3, s2, 31
	s_delay_alu instid0(SALU_CYCLE_1) | instskip(NEXT) | instid1(SALU_CYCLE_1)
	s_lshl_b64 s[6:7], s[2:3], 18
	s_add_u32 s5, s10, s6
	s_addc_u32 s14, s11, s7
	s_and_b32 s18, s5, 15
	s_add_u32 s15, s12, s6
	s_addc_u32 s16, s13, s7
	s_and_b32 s20, s8, 3
	s_and_b32 s22, s15, 15
	s_or_b64 s[18:19], s[18:19], s[20:21]
	s_lshl_b64 s[2:3], s[2:3], 16
	s_or_b64 s[18:19], s[22:23], s[18:19]
	s_sub_u32 s8, s8, s2
	s_subb_u32 s9, s9, s3
	s_cmp_eq_u64 s[18:19], 0
	s_mov_b32 s2, -1
	s_cbranch_scc0 .LBB1_5
; %bb.1:
	v_dual_mov_b32 v2, 0 :: v_dual_lshlrev_b32 v1, 2, v0
	s_mov_b32 s17, exec_lo
	s_delay_alu instid0(VALU_DEP_1)
	v_cmpx_gt_i64_e64 s[8:9], v[1:2]
	s_cbranch_execz .LBB1_4
; %bb.2:
	s_load_b32 s2, s[0:1], 0xc5c
	v_lshlrev_b32_e32 v3, 4, v0
	s_mov_b32 s18, 0
	s_mov_b32 s21, 0xb9d6f8c4
	s_waitcnt lgkmcnt(0)
	s_and_b32 s2, s2, 0xffff
	s_delay_alu instid0(SALU_CYCLE_1)
	v_add_lshl_u32 v1, v0, s2, 2
	s_lshl_b32 s19, s2, 2
	s_lshl_b32 s20, s2, 4
.LBB1_3:                                ; =>This Inner Loop Header: Depth=1
	v_add_co_u32 v4, s2, s5, v3
	s_delay_alu instid0(VALU_DEP_1)
	v_add_co_ci_u32_e64 v5, null, s14, 0, s2
	v_cmp_le_i64_e32 vcc_lo, s[8:9], v[1:2]
	v_cmp_lt_u64_e64 s2, 0xffff, v[1:2]
	v_add_co_u32 v8, s3, s15, v3
	global_load_b128 v[4:7], v[4:5], off
	v_add_co_ci_u32_e64 v9, null, s16, 0, s3
	s_or_b32 s22, vcc_lo, s2
	v_add_co_u32 v1, s3, v1, s19
	s_delay_alu instid0(VALU_DEP_1)
	v_add_co_ci_u32_e64 v2, s3, 0, v2, s3
	s_add_u32 s5, s5, s20
	s_addc_u32 s14, s14, 0
	s_add_u32 s15, s15, s20
	s_addc_u32 s16, s16, 0
	s_waitcnt vmcnt(0)
	v_mul_f32_e64 v10, v4, -v4
	v_add_f32_e64 v12, |v4|, 2.0
	v_add_f32_e64 v13, |v4|, |v4|
	v_mul_f32_e64 v14, v5, -v5
	v_add_f32_e64 v11, |v4|, -2.0
	v_mul_f32_e32 v27, 0x3fb8aa3b, v10
	v_rcp_f32_e32 v12, v12
	v_add_f32_e32 v28, 1.0, v13
	v_add_f32_e64 v16, |v5|, 2.0
	v_add_f32_e64 v17, |v5|, |v5|
	v_mul_f32_e32 v30, 0x3fb8aa3b, v14
	v_fma_f32 v38, 0x3fb8aa3b, v10, -v27
	v_rndne_f32_e32 v39, v27
	v_mul_f32_e64 v18, v6, -v6
	v_add_f32_e32 v31, 1.0, v17
	v_rcp_f32_e32 v16, v16
	v_fma_f32 v40, 0x3fb8aa3b, v14, -v30
	v_dual_fmac_f32 v38, 0x32a5705f, v10 :: v_dual_sub_f32 v27, v27, v39
	v_mul_f32_e32 v11, v11, v12
	v_add_f32_e64 v15, |v5|, -2.0
	s_delay_alu instid0(VALU_DEP_4)
	v_fmac_f32_e32 v40, 0x32a5705f, v14
	v_add_f32_e64 v20, |v6|, 2.0
	v_add_f32_e64 v21, |v6|, |v6|
	v_mul_f32_e32 v33, 0x3fb8aa3b, v18
	v_rndne_f32_e32 v41, v30
	v_dual_add_f32 v27, v27, v38 :: v_dual_add_f32 v38, 1.0, v11
	v_mul_f32_e64 v22, v7, -v7
	v_rcp_f32_e32 v20, v20
	v_add_f32_e32 v34, 1.0, v21
	v_fma_f32 v42, 0x3fb8aa3b, v18, -v33
	v_rndne_f32_e32 v43, v33
	v_dual_sub_f32 v30, v30, v41 :: v_dual_mul_f32 v15, v15, v16
	v_fma_f32 v38, v38, -2.0, |v4|
	v_add_f32_e64 v19, |v6|, -2.0
	v_add_f32_e64 v25, |v7|, |v7|
	v_mul_f32_e32 v36, 0x3fb8aa3b, v22
	v_dual_fmac_f32 v42, 0x32a5705f, v18 :: v_dual_sub_f32 v33, v33, v43
	v_add_f32_e32 v30, v30, v40
	v_fma_f32 v38, -v11, |v4|, v38
	v_add_f32_e32 v40, 1.0, v15
	v_add_f32_e64 v24, |v7|, 2.0
	v_add_f32_e32 v37, 1.0, v25
	v_fma_f32 v44, 0x3fb8aa3b, v22, -v36
	v_fmac_f32_e32 v11, v12, v38
	v_mul_f32_e32 v19, v19, v20
	v_fma_f32 v40, v40, -2.0, |v5|
	v_rcp_f32_e32 v24, v24
	v_fmac_f32_e32 v44, 0x32a5705f, v22
	v_add_f32_e32 v33, v33, v42
	v_add_f32_e64 v23, |v7|, -2.0
	v_fma_f32 v40, -v15, |v5|, v40
	v_add_f32_e32 v42, 1.0, v19
	v_rndne_f32_e32 v45, v36
	v_exp_f32_e32 v33, v33
	v_cvt_i32_f32_e32 v43, v43
	v_fmac_f32_e32 v15, v16, v40
	v_fma_f32 v42, v42, -2.0, |v6|
	v_dual_sub_f32 v36, v36, v45 :: v_dual_mul_f32 v23, v23, v24
	v_cmp_ngt_f32_e64 s2, 0xc2ce8ed0, v18
	v_fma_f32 v32, -v6, v6, -v18
	s_delay_alu instid0(VALU_DEP_4) | instskip(NEXT) | instid1(VALU_DEP_4)
	v_fma_f32 v42, -v19, |v6|, v42
	v_add_f32_e32 v36, v36, v44
	v_add_f32_e32 v44, 1.0, v23
	v_ldexp_f32 v16, v33, v43
	v_rcp_f32_e32 v28, v28
	v_fmac_f32_e32 v19, v20, v42
	v_exp_f32_e32 v27, v27
	v_cvt_i32_f32_e32 v39, v39
	v_cndmask_b32_e64 v16, 0, v16, s2
	v_cmp_nlt_f32_e64 s2, 0x42b17218, v18
	v_fmaak_f32 v18, s21, v19, 0xbaa2d753
	v_fma_f32 v44, v44, -2.0, |v7|
	v_cmp_ngt_f32_e64 s4, 0xc2ce8ed0, v10
	v_exp_f32_e32 v30, v30
	v_cvt_i32_f32_e32 v41, v41
	v_fmaak_f32 v18, v19, v18, 0x3aad2fb4
	v_fma_f32 v44, -v23, |v7|, v44
	v_ldexp_f32 v27, v27, v39
	v_cvt_i32_f32_e32 v45, v45
	v_cmp_ngt_f32_e32 vcc_lo, 0xc2ce8ed0, v14
	s_delay_alu instid0(VALU_DEP_4) | instskip(NEXT) | instid1(VALU_DEP_4)
	v_dual_fmaak_f32 v18, v19, v18, 0x3c0da267 :: v_dual_fmac_f32 v23, v24, v44
	v_cndmask_b32_e64 v24, 0, v27, s4
	v_fmaak_f32 v27, s21, v11, 0xbaa2d753
	v_exp_f32_e32 v36, v36
	s_delay_alu instid0(VALU_DEP_3)
	v_fmaak_f32 v18, v19, v18, 0xbc0415b1
	v_ldexp_f32 v12, v30, v41
	v_cmp_ngt_f32_e64 s3, 0xc2ce8ed0, v22
	v_fma_f32 v29, -v5, v5, -v14
	v_fma_f32 v35, -v7, v7, -v22
	v_fmaak_f32 v18, v19, v18, 0xbd5e0a18
	v_rcp_f32_e32 v34, v34
	v_cmp_nlt_f32_e64 s4, 0x42b17218, v10
	v_fma_f32 v26, -v4, v4, -v10
	v_ldexp_f32 v20, v36, v45
	v_fmaak_f32 v18, v19, v18, 0x3e27fe2a
	v_rcp_f32_e32 v31, v31
	v_cndmask_b32_e64 v10, 0x7f800000, v24, s4
	v_rcp_f32_e32 v37, v37
	v_cndmask_b32_e64 v20, 0, v20, s3
	v_fmaak_f32 v18, v19, v18, 0xbe2a03fd
	v_cmp_nlt_f32_e64 s3, 0x42b17218, v22
	v_cndmask_b32_e64 v16, 0x7f800000, v16, s2
	v_cmp_nlt_f32_e64 s2, 0x4120ddfc, |v6|
	v_cmp_nlt_f32_e64 s4, 0x4120ddfc, |v4|
	v_fmaak_f32 v18, v19, v18, 0xbdbdfb0b
	v_cndmask_b32_e32 v12, 0, v12, vcc_lo
	v_cmp_nlt_f32_e32 vcc_lo, 0x42b17218, v14
	v_fmaak_f32 v14, s21, v15, 0xbaa2d753
	v_fmaak_f32 v22, s21, v23, 0xbaa2d753
	v_cndmask_b32_e64 v20, 0x7f800000, v20, s3
	v_cmp_nlt_f32_e64 s3, 0x4120ddfc, |v7|
	s_delay_alu instid0(VALU_DEP_4) | instskip(NEXT) | instid1(VALU_DEP_3)
	v_fmaak_f32 v14, v15, v14, 0x3aad2fb4
	v_fmac_f32_e32 v20, v20, v35
	v_fmaak_f32 v22, v23, v22, 0x3aad2fb4
	s_delay_alu instid0(VALU_DEP_3) | instskip(NEXT) | instid1(VALU_DEP_2)
	v_fmaak_f32 v14, v15, v14, 0x3c0da267
	v_fmaak_f32 v22, v23, v22, 0x3c0da267
	s_delay_alu instid0(VALU_DEP_2) | instskip(NEXT) | instid1(VALU_DEP_2)
	v_fmaak_f32 v14, v15, v14, 0xbc0415b1
	v_fmaak_f32 v22, v23, v22, 0xbc0415b1
	s_delay_alu instid0(VALU_DEP_2) | instskip(NEXT) | instid1(VALU_DEP_2)
	v_fmaak_f32 v14, v15, v14, 0xbd5e0a18
	v_fmaak_f32 v22, v23, v22, 0xbd5e0a18
	s_delay_alu instid0(VALU_DEP_2) | instskip(NEXT) | instid1(VALU_DEP_2)
	v_fmaak_f32 v14, v15, v14, 0x3e27fe2a
	v_fmaak_f32 v22, v23, v22, 0x3e27fe2a
	s_delay_alu instid0(VALU_DEP_2) | instskip(NEXT) | instid1(VALU_DEP_2)
	v_fmaak_f32 v14, v15, v14, 0xbe2a03fd
	v_fmaak_f32 v22, v23, v22, 0xbe2a03fd
	s_delay_alu instid0(VALU_DEP_2) | instskip(NEXT) | instid1(VALU_DEP_2)
	v_fmaak_f32 v14, v15, v14, 0xbdbdfb0b
	v_fmaak_f32 v22, v23, v22, 0xbdbdfb0b
	s_delay_alu instid0(VALU_DEP_2) | instskip(SKIP_1) | instid1(VALU_DEP_3)
	v_fmaak_f32 v14, v15, v14, 0x3e8dd01c
	v_fmaak_f32 v15, v19, v18, 0x3e8dd01c
	;; [unrolled: 1-line block ×3, first 2 shown]
	s_delay_alu instid0(VALU_DEP_3) | instskip(NEXT) | instid1(VALU_DEP_3)
	v_fma_f32 v22, v14, v31, v31
	v_fma_f32 v23, v15, v34, v34
	v_fmaak_f32 v24, v11, v27, 0x3aad2fb4
	s_delay_alu instid0(VALU_DEP_3) | instskip(SKIP_1) | instid1(VALU_DEP_3)
	v_fma_f32 v17, -v22, v17, 1.0
	v_sub_f32_e32 v14, v14, v22
	v_fmaak_f32 v24, v11, v24, 0x3c0da267
	v_fma_f32 v21, -v23, v21, 1.0
	v_sub_f32_e32 v15, v15, v23
	s_delay_alu instid0(VALU_DEP_3) | instskip(NEXT) | instid1(VALU_DEP_1)
	v_fmaak_f32 v24, v11, v24, 0xbc0415b1
	v_fmaak_f32 v24, v11, v24, 0xbd5e0a18
	s_delay_alu instid0(VALU_DEP_1) | instskip(NEXT) | instid1(VALU_DEP_1)
	v_fmaak_f32 v24, v11, v24, 0x3e27fe2a
	v_fmaak_f32 v24, v11, v24, 0xbe2a03fd
	s_delay_alu instid0(VALU_DEP_1) | instskip(NEXT) | instid1(VALU_DEP_1)
	v_fmaak_f32 v24, v11, v24, 0xbdbdfb0b
	v_dual_fmac_f32 v10, v10, v26 :: v_dual_fmaak_f32 v11, v11, v24, 0x3e8dd01c
	v_fma_f32 v24, v18, v37, v37
	s_delay_alu instid0(VALU_DEP_2) | instskip(SKIP_1) | instid1(VALU_DEP_3)
	v_fma_f32 v19, v11, v28, v28
	v_cndmask_b32_e32 v12, 0x7f800000, v12, vcc_lo
	v_fma_f32 v25, -v24, v25, 1.0
	v_sub_f32_e32 v18, v18, v24
	v_cmp_nlt_f32_e64 vcc_lo, 0x4120ddfc, |v5|
	v_sub_f32_e32 v11, v11, v19
	v_fma_f32 v13, -v19, v13, 1.0
	s_delay_alu instid0(VALU_DEP_1) | instskip(SKIP_3) | instid1(VALU_DEP_3)
	v_dual_fmac_f32 v12, v12, v29 :: v_dual_add_f32 v11, v13, v11
	v_add_f32_e32 v13, v17, v14
	v_add_f32_e32 v14, v21, v15
	;; [unrolled: 1-line block ×3, first 2 shown]
	v_dual_fmac_f32 v19, v28, v11 :: v_dual_fmac_f32 v22, v31, v13
	s_delay_alu instid0(VALU_DEP_2) | instskip(NEXT) | instid1(VALU_DEP_2)
	v_dual_fmac_f32 v23, v34, v14 :: v_dual_fmac_f32 v24, v37, v15
	v_dual_mul_f32 v10, v10, v19 :: v_dual_mul_f32 v11, v12, v22
	s_delay_alu instid0(VALU_DEP_2) | instskip(NEXT) | instid1(VALU_DEP_2)
	v_mul_f32_e32 v13, v20, v24
	v_cndmask_b32_e64 v10, 0, v10, s4
	s_delay_alu instid0(VALU_DEP_3) | instskip(NEXT) | instid1(VALU_DEP_3)
	v_dual_cndmask_b32 v11, 0, v11 :: v_dual_fmac_f32 v16, v16, v32
	v_cndmask_b32_e64 v13, 0, v13, s3
	v_cmp_gt_f32_e32 vcc_lo, 0, v5
	s_delay_alu instid0(VALU_DEP_3) | instskip(NEXT) | instid1(VALU_DEP_3)
	v_dual_sub_f32 v14, 2.0, v10 :: v_dual_sub_f32 v15, 2.0, v11
	v_dual_mul_f32 v12, v16, v23 :: v_dual_sub_f32 v17, 2.0, v13
	v_cmp_gt_f32_e64 s3, 0, v7
	v_cmp_gt_f32_e64 s4, 0, v4
	s_delay_alu instid0(VALU_DEP_4) | instskip(NEXT) | instid1(VALU_DEP_4)
	v_cndmask_b32_e32 v5, v11, v15, vcc_lo
	v_cndmask_b32_e64 v12, 0, v12, s2
	v_cmp_gt_f32_e64 s2, 0, v6
	v_cndmask_b32_e64 v7, v13, v17, s3
	v_cndmask_b32_e64 v4, v10, v14, s4
	s_delay_alu instid0(VALU_DEP_4) | instskip(NEXT) | instid1(VALU_DEP_1)
	v_sub_f32_e32 v16, 2.0, v12
	v_cndmask_b32_e64 v6, v12, v16, s2
	s_and_b32 s2, exec_lo, s22
	s_delay_alu instid0(SALU_CYCLE_1)
	s_or_b32 s18, s2, s18
	global_store_b128 v[8:9], v[4:7], off
	s_and_not1_b32 exec_lo, exec_lo, s18
	s_cbranch_execnz .LBB1_3
.LBB1_4:
	s_or_b32 exec_lo, exec_lo, s17
	s_mov_b32 s2, 0
.LBB1_5:
	s_delay_alu instid0(SALU_CYCLE_1)
	s_and_not1_b32 vcc_lo, exec_lo, s2
	s_cbranch_vccnz .LBB1_25
; %bb.6:
	v_cmp_lt_i64_e64 s2, s[8:9], 1
	s_delay_alu instid0(VALU_DEP_1)
	s_and_b32 vcc_lo, exec_lo, s2
	s_cbranch_vccnz .LBB1_25
; %bb.7:
	s_load_b32 s0, s[0:1], 0xc5c
	v_dual_mov_b32 v10, 0 :: v_dual_lshlrev_b32 v9, 2, v0
	v_cmp_gt_u64_e64 s1, 0x10000, s[8:9]
	s_delay_alu instid0(VALU_DEP_2) | instskip(NEXT) | instid1(VALU_DEP_1)
	v_add_co_u32 v1, s2, s10, v9
	v_add_co_ci_u32_e64 v2, null, s11, 0, s2
	v_add_co_u32 v3, s2, s12, v9
	s_delay_alu instid0(VALU_DEP_1)
	v_add_co_ci_u32_e64 v4, null, s13, 0, s2
	s_waitcnt lgkmcnt(0)
	s_and_b32 s0, s0, 0xffff
	s_and_b32 s1, s1, exec_lo
	v_mad_u64_u32 v[7:8], null, s0, 12, v[9:10]
	s_cselect_b32 s5, s9, 0
	s_cselect_b32 s4, s8, 0x10000
	s_mul_i32 s2, s0, 3
	s_lshl_b32 s3, s0, 3
	s_lshl_b32 s1, s0, 1
	v_add_co_u32 v14, s3, s3, v9
	v_add_co_u32 v9, s2, s2, v0
	s_delay_alu instid0(VALU_DEP_1) | instskip(SKIP_3) | instid1(VALU_DEP_3)
	v_add_co_ci_u32_e64 v10, null, 0, 0, s2
	v_add_co_u32 v13, s2, v0, s0
	v_add_co_u32 v5, vcc_lo, s10, v7
	v_add_co_ci_u32_e32 v6, vcc_lo, s11, v8, vcc_lo
	v_lshlrev_b32_e32 v21, 2, v13
	v_add_co_u32 v7, vcc_lo, s12, v7
	v_add_co_ci_u32_e64 v15, null, 0, 0, s3
	v_add_co_ci_u32_e32 v8, vcc_lo, s13, v8, vcc_lo
	v_add_co_u32 v17, s1, s1, v0
	v_add_co_u32 v11, vcc_lo, s10, v14
	v_add_co_ci_u32_e64 v18, null, 0, 0, s1
	v_add_co_u32 v19, s1, s10, v21
	v_add_co_ci_u32_e32 v12, vcc_lo, s11, v15, vcc_lo
	v_add_co_u32 v14, vcc_lo, s12, v14
	v_add_co_ci_u32_e64 v20, null, s11, 0, s1
	v_add_co_u32 v21, s1, s12, v21
	v_add_co_ci_u32_e32 v15, vcc_lo, s13, v15, vcc_lo
	v_add_co_ci_u32_e64 v16, null, 0, 0, s2
	v_add_co_ci_u32_e64 v22, null, s13, 0, s1
	s_lshl_b32 s14, s0, 2
	s_lshl_b32 s12, s0, 4
	s_mov_b64 s[10:11], 0
	s_mov_b32 s13, 0xb9d6f8c4
	s_branch .LBB1_9
.LBB1_8:                                ;   in Loop: Header=BB1_9 Depth=1
	s_or_b32 exec_lo, exec_lo, s0
	v_add_co_u32 v1, vcc_lo, v1, s12
	v_add_co_ci_u32_e32 v2, vcc_lo, 0, v2, vcc_lo
	v_add_co_u32 v3, vcc_lo, v3, s12
	v_add_co_ci_u32_e32 v4, vcc_lo, 0, v4, vcc_lo
	;; [unrolled: 2-line block ×5, first 2 shown]
	s_add_u32 s10, s10, s14
	v_add_co_u32 v14, vcc_lo, v14, s12
	s_addc_u32 s11, s11, 0
	v_add_co_ci_u32_e32 v15, vcc_lo, 0, v15, vcc_lo
	v_cmp_ge_i64_e64 s0, s[10:11], s[8:9]
	v_cmp_lt_u64_e64 s1, 0xffff, s[10:11]
	v_add_co_u32 v19, vcc_lo, v19, s12
	v_add_co_ci_u32_e32 v20, vcc_lo, 0, v20, vcc_lo
	v_add_co_u32 v21, vcc_lo, v21, s12
	v_add_co_ci_u32_e32 v22, vcc_lo, 0, v22, vcc_lo
	s_or_b32 s0, s0, s1
	s_delay_alu instid0(SALU_CYCLE_1)
	s_and_b32 vcc_lo, exec_lo, s0
	s_cbranch_vccnz .LBB1_25
.LBB1_9:                                ; =>This Inner Loop Header: Depth=1
	s_waitcnt vmcnt(0)
	v_add_co_u32 v23, s0, v0, s10
	s_delay_alu instid0(VALU_DEP_1) | instskip(SKIP_1) | instid1(VALU_DEP_2)
	v_add_co_ci_u32_e64 v24, null, 0, s11, s0
	v_mov_b32_e32 v26, 0
	v_cmp_gt_u64_e64 s2, s[4:5], v[23:24]
	s_delay_alu instid0(VALU_DEP_1)
	s_and_saveexec_b32 s0, s2
	s_cbranch_execz .LBB1_11
; %bb.10:                               ;   in Loop: Header=BB1_9 Depth=1
	v_add_co_u32 v23, vcc_lo, v1, s6
	v_add_co_ci_u32_e32 v24, vcc_lo, s7, v2, vcc_lo
	global_load_b32 v26, v[23:24], off
.LBB1_11:                               ;   in Loop: Header=BB1_9 Depth=1
	s_or_b32 exec_lo, exec_lo, s0
	v_add_co_u32 v23, vcc_lo, v13, s10
	v_add_co_ci_u32_e32 v24, vcc_lo, s11, v16, vcc_lo
	v_mov_b32_e32 v25, 0
	s_delay_alu instid0(VALU_DEP_2) | instskip(NEXT) | instid1(VALU_DEP_1)
	v_cmp_gt_u64_e64 s1, s[4:5], v[23:24]
	s_and_saveexec_b32 s0, s1
	s_cbranch_execz .LBB1_13
; %bb.12:                               ;   in Loop: Header=BB1_9 Depth=1
	v_add_co_u32 v23, vcc_lo, v19, s6
	v_add_co_ci_u32_e32 v24, vcc_lo, s7, v20, vcc_lo
	global_load_b32 v25, v[23:24], off
.LBB1_13:                               ;   in Loop: Header=BB1_9 Depth=1
	s_or_b32 exec_lo, exec_lo, s0
	v_add_co_u32 v23, vcc_lo, v17, s10
	v_add_co_ci_u32_e32 v24, vcc_lo, s11, v18, vcc_lo
	s_delay_alu instid0(VALU_DEP_1) | instskip(SKIP_1) | instid1(VALU_DEP_2)
	v_cmp_gt_u64_e64 s0, s[4:5], v[23:24]
	v_dual_mov_b32 v23, 0 :: v_dual_mov_b32 v24, 0
	s_and_saveexec_b32 s3, s0
	s_cbranch_execz .LBB1_15
; %bb.14:                               ;   in Loop: Header=BB1_9 Depth=1
	v_add_co_u32 v27, vcc_lo, v11, s6
	v_add_co_ci_u32_e32 v28, vcc_lo, s7, v12, vcc_lo
	global_load_b32 v24, v[27:28], off
.LBB1_15:                               ;   in Loop: Header=BB1_9 Depth=1
	s_or_b32 exec_lo, exec_lo, s3
	v_add_co_u32 v27, vcc_lo, v9, s10
	v_add_co_ci_u32_e32 v28, vcc_lo, s11, v10, vcc_lo
	s_delay_alu instid0(VALU_DEP_1)
	v_cmp_gt_u64_e32 vcc_lo, s[4:5], v[27:28]
	s_and_saveexec_b32 s15, vcc_lo
	s_cbranch_execnz .LBB1_20
; %bb.16:                               ;   in Loop: Header=BB1_9 Depth=1
	s_or_b32 exec_lo, exec_lo, s15
	s_and_saveexec_b32 s3, s2
	s_cbranch_execnz .LBB1_21
.LBB1_17:                               ;   in Loop: Header=BB1_9 Depth=1
	s_or_b32 exec_lo, exec_lo, s3
	s_and_saveexec_b32 s2, s1
	s_cbranch_execnz .LBB1_22
.LBB1_18:                               ;   in Loop: Header=BB1_9 Depth=1
	s_or_b32 exec_lo, exec_lo, s2
	s_and_saveexec_b32 s1, s0
	s_cbranch_execnz .LBB1_23
.LBB1_19:                               ;   in Loop: Header=BB1_9 Depth=1
	s_or_b32 exec_lo, exec_lo, s1
	s_and_saveexec_b32 s0, vcc_lo
	s_cbranch_execz .LBB1_8
	s_branch .LBB1_24
.LBB1_20:                               ;   in Loop: Header=BB1_9 Depth=1
	v_add_co_u32 v27, s3, v5, s6
	s_delay_alu instid0(VALU_DEP_1)
	v_add_co_ci_u32_e64 v28, s3, s7, v6, s3
	global_load_b32 v23, v[27:28], off
	s_or_b32 exec_lo, exec_lo, s15
	s_and_saveexec_b32 s3, s2
	s_cbranch_execz .LBB1_17
.LBB1_21:                               ;   in Loop: Header=BB1_9 Depth=1
	s_waitcnt vmcnt(0)
	v_add_f32_e64 v27, |v26|, 2.0
	v_add_f32_e64 v28, |v26|, -2.0
	v_add_f32_e64 v33, |v26|, |v26|
	s_delay_alu instid0(VALU_DEP_3) | instskip(NEXT) | instid1(VALU_DEP_1)
	v_rcp_f32_e32 v27, v27
	v_add_f32_e32 v34, 1.0, v33
	s_waitcnt_depctr 0xfff
	v_mul_f32_e32 v28, v28, v27
	s_delay_alu instid0(VALU_DEP_1) | instskip(NEXT) | instid1(VALU_DEP_1)
	v_add_f32_e32 v29, 1.0, v28
	v_fma_f32 v29, v29, -2.0, |v26|
	s_delay_alu instid0(VALU_DEP_1) | instskip(NEXT) | instid1(VALU_DEP_1)
	v_fma_f32 v29, -v28, |v26|, v29
	v_fmac_f32_e32 v28, v27, v29
	v_mul_f32_e64 v29, v26, -v26
	s_delay_alu instid0(VALU_DEP_2) | instskip(NEXT) | instid1(VALU_DEP_2)
	v_fmaak_f32 v27, s13, v28, 0xbaa2d753
	v_mul_f32_e32 v30, 0x3fb8aa3b, v29
	v_cmp_ngt_f32_e64 s2, 0xc2ce8ed0, v29
	s_delay_alu instid0(VALU_DEP_2) | instskip(SKIP_1) | instid1(VALU_DEP_2)
	v_rndne_f32_e32 v31, v30
	v_fma_f32 v32, 0x3fb8aa3b, v29, -v30
	v_sub_f32_e32 v30, v30, v31
	s_delay_alu instid0(VALU_DEP_2) | instskip(SKIP_2) | instid1(VALU_DEP_2)
	v_fmac_f32_e32 v32, 0x32a5705f, v29
	v_fmaak_f32 v27, v28, v27, 0x3aad2fb4
	v_cvt_i32_f32_e32 v31, v31
	v_dual_add_f32 v30, v30, v32 :: v_dual_fmaak_f32 v27, v28, v27, 0x3c0da267
	v_rcp_f32_e32 v32, v34
	s_delay_alu instid0(VALU_DEP_1) | instskip(NEXT) | instid1(VALU_DEP_1)
	v_exp_f32_e32 v30, v30
	v_fmaak_f32 v27, v28, v27, 0xbc0415b1
	s_delay_alu instid0(VALU_DEP_1) | instskip(NEXT) | instid1(VALU_DEP_1)
	v_fmaak_f32 v27, v28, v27, 0xbd5e0a18
	v_fmaak_f32 v27, v28, v27, 0x3e27fe2a
	s_delay_alu instid0(VALU_DEP_1) | instskip(NEXT) | instid1(VALU_DEP_1)
	v_fmaak_f32 v27, v28, v27, 0xbe2a03fd
	v_fmaak_f32 v27, v28, v27, 0xbdbdfb0b
	s_delay_alu instid0(VALU_DEP_1) | instskip(NEXT) | instid1(TRANS32_DEP_1)
	v_fmaak_f32 v27, v28, v27, 0x3e8dd01c
	v_ldexp_f32 v28, v30, v31
	s_delay_alu instid0(TRANS32_DEP_2) | instid1(VALU_DEP_2)
	v_fma_f32 v30, v27, v32, v32
	s_delay_alu instid0(VALU_DEP_2) | instskip(SKIP_1) | instid1(VALU_DEP_3)
	v_cndmask_b32_e64 v28, 0, v28, s2
	v_cmp_nlt_f32_e64 s2, 0x42b17218, v29
	v_fma_f32 v31, -v30, v33, 1.0
	v_sub_f32_e32 v27, v27, v30
	v_fma_f32 v33, -v26, v26, -v29
	s_delay_alu instid0(VALU_DEP_4) | instskip(SKIP_1) | instid1(VALU_DEP_2)
	v_cndmask_b32_e64 v28, 0x7f800000, v28, s2
	v_cmp_nlt_f32_e64 s2, 0x4120ddfc, |v26|
	v_dual_add_f32 v27, v31, v27 :: v_dual_fmac_f32 v28, v28, v33
	s_delay_alu instid0(VALU_DEP_1) | instskip(NEXT) | instid1(VALU_DEP_1)
	v_fmac_f32_e32 v30, v32, v27
	v_mul_f32_e32 v27, v28, v30
	s_delay_alu instid0(VALU_DEP_1) | instskip(SKIP_1) | instid1(VALU_DEP_2)
	v_cndmask_b32_e64 v27, 0, v27, s2
	v_cmp_gt_f32_e64 s2, 0, v26
	v_sub_f32_e32 v28, 2.0, v27
	s_delay_alu instid0(VALU_DEP_1) | instskip(SKIP_1) | instid1(VALU_DEP_1)
	v_cndmask_b32_e64 v28, v27, v28, s2
	v_add_co_u32 v26, s2, v3, s6
	v_add_co_ci_u32_e64 v27, s2, s7, v4, s2
	global_store_b32 v[26:27], v28, off
	s_or_b32 exec_lo, exec_lo, s3
	s_and_saveexec_b32 s2, s1
	s_cbranch_execz .LBB1_18
.LBB1_22:                               ;   in Loop: Header=BB1_9 Depth=1
	s_waitcnt vmcnt(0)
	v_add_f32_e64 v26, |v25|, 2.0
	v_add_f32_e64 v27, |v25|, -2.0
	v_add_f32_e64 v32, |v25|, |v25|
	s_delay_alu instid0(VALU_DEP_3) | instskip(NEXT) | instid1(VALU_DEP_1)
	v_rcp_f32_e32 v26, v26
	v_add_f32_e32 v33, 1.0, v32
	s_waitcnt_depctr 0xfff
	v_mul_f32_e32 v27, v27, v26
	s_delay_alu instid0(VALU_DEP_1) | instskip(NEXT) | instid1(VALU_DEP_1)
	v_add_f32_e32 v28, 1.0, v27
	v_fma_f32 v28, v28, -2.0, |v25|
	s_delay_alu instid0(VALU_DEP_1) | instskip(NEXT) | instid1(VALU_DEP_1)
	v_fma_f32 v28, -v27, |v25|, v28
	v_fmac_f32_e32 v27, v26, v28
	v_mul_f32_e64 v28, v25, -v25
	s_delay_alu instid0(VALU_DEP_2) | instskip(NEXT) | instid1(VALU_DEP_2)
	v_fmaak_f32 v26, s13, v27, 0xbaa2d753
	v_mul_f32_e32 v29, 0x3fb8aa3b, v28
	v_cmp_ngt_f32_e64 s1, 0xc2ce8ed0, v28
	s_delay_alu instid0(VALU_DEP_2) | instskip(SKIP_1) | instid1(VALU_DEP_2)
	v_rndne_f32_e32 v30, v29
	v_fma_f32 v31, 0x3fb8aa3b, v28, -v29
	v_sub_f32_e32 v29, v29, v30
	s_delay_alu instid0(VALU_DEP_2) | instskip(SKIP_2) | instid1(VALU_DEP_2)
	v_fmac_f32_e32 v31, 0x32a5705f, v28
	v_fmaak_f32 v26, v27, v26, 0x3aad2fb4
	v_cvt_i32_f32_e32 v30, v30
	v_dual_add_f32 v29, v29, v31 :: v_dual_fmaak_f32 v26, v27, v26, 0x3c0da267
	v_rcp_f32_e32 v31, v33
	s_delay_alu instid0(VALU_DEP_1) | instskip(NEXT) | instid1(VALU_DEP_1)
	v_exp_f32_e32 v29, v29
	v_fmaak_f32 v26, v27, v26, 0xbc0415b1
	s_delay_alu instid0(VALU_DEP_1) | instskip(NEXT) | instid1(VALU_DEP_1)
	v_fmaak_f32 v26, v27, v26, 0xbd5e0a18
	v_fmaak_f32 v26, v27, v26, 0x3e27fe2a
	s_delay_alu instid0(VALU_DEP_1) | instskip(NEXT) | instid1(VALU_DEP_1)
	v_fmaak_f32 v26, v27, v26, 0xbe2a03fd
	v_fmaak_f32 v26, v27, v26, 0xbdbdfb0b
	s_delay_alu instid0(VALU_DEP_1) | instskip(NEXT) | instid1(TRANS32_DEP_1)
	v_fmaak_f32 v26, v27, v26, 0x3e8dd01c
	v_ldexp_f32 v27, v29, v30
	s_delay_alu instid0(TRANS32_DEP_2) | instid1(VALU_DEP_2)
	v_fma_f32 v29, v26, v31, v31
	s_delay_alu instid0(VALU_DEP_2) | instskip(SKIP_1) | instid1(VALU_DEP_3)
	v_cndmask_b32_e64 v27, 0, v27, s1
	v_cmp_nlt_f32_e64 s1, 0x42b17218, v28
	v_fma_f32 v30, -v29, v32, 1.0
	v_sub_f32_e32 v26, v26, v29
	v_fma_f32 v32, -v25, v25, -v28
	s_delay_alu instid0(VALU_DEP_4) | instskip(SKIP_1) | instid1(VALU_DEP_2)
	v_cndmask_b32_e64 v27, 0x7f800000, v27, s1
	v_cmp_nlt_f32_e64 s1, 0x4120ddfc, |v25|
	v_dual_add_f32 v26, v30, v26 :: v_dual_fmac_f32 v27, v27, v32
	s_delay_alu instid0(VALU_DEP_1) | instskip(NEXT) | instid1(VALU_DEP_1)
	v_fmac_f32_e32 v29, v31, v26
	v_mul_f32_e32 v26, v27, v29
	s_delay_alu instid0(VALU_DEP_1) | instskip(SKIP_1) | instid1(VALU_DEP_2)
	v_cndmask_b32_e64 v26, 0, v26, s1
	v_cmp_gt_f32_e64 s1, 0, v25
	v_sub_f32_e32 v27, 2.0, v26
	s_delay_alu instid0(VALU_DEP_1) | instskip(SKIP_1) | instid1(VALU_DEP_1)
	v_cndmask_b32_e64 v27, v26, v27, s1
	v_add_co_u32 v25, s1, v21, s6
	v_add_co_ci_u32_e64 v26, s1, s7, v22, s1
	global_store_b32 v[25:26], v27, off
	s_or_b32 exec_lo, exec_lo, s2
	s_and_saveexec_b32 s1, s0
	s_cbranch_execz .LBB1_19
.LBB1_23:                               ;   in Loop: Header=BB1_9 Depth=1
	s_waitcnt vmcnt(0)
	v_add_f32_e64 v25, |v24|, 2.0
	v_add_f32_e64 v26, |v24|, -2.0
	v_add_f32_e64 v31, |v24|, |v24|
	s_delay_alu instid0(VALU_DEP_3) | instskip(NEXT) | instid1(VALU_DEP_1)
	v_rcp_f32_e32 v25, v25
	v_add_f32_e32 v32, 1.0, v31
	s_waitcnt_depctr 0xfff
	v_mul_f32_e32 v26, v26, v25
	s_delay_alu instid0(VALU_DEP_1) | instskip(NEXT) | instid1(VALU_DEP_1)
	v_add_f32_e32 v27, 1.0, v26
	v_fma_f32 v27, v27, -2.0, |v24|
	s_delay_alu instid0(VALU_DEP_1) | instskip(NEXT) | instid1(VALU_DEP_1)
	v_fma_f32 v27, -v26, |v24|, v27
	v_fmac_f32_e32 v26, v25, v27
	v_mul_f32_e64 v27, v24, -v24
	s_delay_alu instid0(VALU_DEP_2) | instskip(NEXT) | instid1(VALU_DEP_2)
	v_fmaak_f32 v25, s13, v26, 0xbaa2d753
	v_mul_f32_e32 v28, 0x3fb8aa3b, v27
	v_cmp_ngt_f32_e64 s0, 0xc2ce8ed0, v27
	s_delay_alu instid0(VALU_DEP_2) | instskip(SKIP_1) | instid1(VALU_DEP_2)
	v_rndne_f32_e32 v29, v28
	v_fma_f32 v30, 0x3fb8aa3b, v27, -v28
	v_sub_f32_e32 v28, v28, v29
	s_delay_alu instid0(VALU_DEP_2) | instskip(SKIP_2) | instid1(VALU_DEP_2)
	v_fmac_f32_e32 v30, 0x32a5705f, v27
	v_fmaak_f32 v25, v26, v25, 0x3aad2fb4
	v_cvt_i32_f32_e32 v29, v29
	v_dual_add_f32 v28, v28, v30 :: v_dual_fmaak_f32 v25, v26, v25, 0x3c0da267
	v_rcp_f32_e32 v30, v32
	s_delay_alu instid0(VALU_DEP_1) | instskip(NEXT) | instid1(VALU_DEP_1)
	v_exp_f32_e32 v28, v28
	v_fmaak_f32 v25, v26, v25, 0xbc0415b1
	s_delay_alu instid0(VALU_DEP_1) | instskip(NEXT) | instid1(VALU_DEP_1)
	v_fmaak_f32 v25, v26, v25, 0xbd5e0a18
	v_fmaak_f32 v25, v26, v25, 0x3e27fe2a
	s_delay_alu instid0(VALU_DEP_1) | instskip(NEXT) | instid1(VALU_DEP_1)
	v_fmaak_f32 v25, v26, v25, 0xbe2a03fd
	v_fmaak_f32 v25, v26, v25, 0xbdbdfb0b
	s_delay_alu instid0(VALU_DEP_1) | instskip(NEXT) | instid1(TRANS32_DEP_1)
	v_fmaak_f32 v25, v26, v25, 0x3e8dd01c
	v_ldexp_f32 v26, v28, v29
	s_delay_alu instid0(TRANS32_DEP_2) | instid1(VALU_DEP_2)
	v_fma_f32 v28, v25, v30, v30
	s_delay_alu instid0(VALU_DEP_2) | instskip(SKIP_1) | instid1(VALU_DEP_3)
	v_cndmask_b32_e64 v26, 0, v26, s0
	v_cmp_nlt_f32_e64 s0, 0x42b17218, v27
	v_fma_f32 v29, -v28, v31, 1.0
	v_sub_f32_e32 v25, v25, v28
	v_fma_f32 v31, -v24, v24, -v27
	s_delay_alu instid0(VALU_DEP_4) | instskip(SKIP_1) | instid1(VALU_DEP_2)
	v_cndmask_b32_e64 v26, 0x7f800000, v26, s0
	v_cmp_nlt_f32_e64 s0, 0x4120ddfc, |v24|
	v_dual_add_f32 v25, v29, v25 :: v_dual_fmac_f32 v26, v26, v31
	s_delay_alu instid0(VALU_DEP_1) | instskip(NEXT) | instid1(VALU_DEP_1)
	v_fmac_f32_e32 v28, v30, v25
	v_mul_f32_e32 v25, v26, v28
	s_delay_alu instid0(VALU_DEP_1) | instskip(SKIP_1) | instid1(VALU_DEP_2)
	v_cndmask_b32_e64 v25, 0, v25, s0
	v_cmp_gt_f32_e64 s0, 0, v24
	v_sub_f32_e32 v26, 2.0, v25
	s_delay_alu instid0(VALU_DEP_1) | instskip(SKIP_1) | instid1(VALU_DEP_1)
	v_cndmask_b32_e64 v26, v25, v26, s0
	v_add_co_u32 v24, s0, v14, s6
	v_add_co_ci_u32_e64 v25, s0, s7, v15, s0
	global_store_b32 v[24:25], v26, off
	s_or_b32 exec_lo, exec_lo, s1
	s_and_saveexec_b32 s0, vcc_lo
	s_cbranch_execz .LBB1_8
.LBB1_24:                               ;   in Loop: Header=BB1_9 Depth=1
	s_waitcnt vmcnt(0)
	v_add_f32_e64 v24, |v23|, 2.0
	v_add_f32_e64 v25, |v23|, -2.0
	v_add_f32_e64 v30, |v23|, |v23|
	s_delay_alu instid0(VALU_DEP_3) | instskip(NEXT) | instid1(VALU_DEP_1)
	v_rcp_f32_e32 v24, v24
	v_add_f32_e32 v31, 1.0, v30
	s_waitcnt_depctr 0xfff
	v_mul_f32_e32 v25, v25, v24
	s_delay_alu instid0(VALU_DEP_1) | instskip(NEXT) | instid1(VALU_DEP_1)
	v_add_f32_e32 v26, 1.0, v25
	v_fma_f32 v26, v26, -2.0, |v23|
	s_delay_alu instid0(VALU_DEP_1) | instskip(NEXT) | instid1(VALU_DEP_1)
	v_fma_f32 v26, -v25, |v23|, v26
	v_fmac_f32_e32 v25, v24, v26
	v_mul_f32_e64 v26, v23, -v23
	s_delay_alu instid0(VALU_DEP_2) | instskip(NEXT) | instid1(VALU_DEP_2)
	v_fmaak_f32 v24, s13, v25, 0xbaa2d753
	v_mul_f32_e32 v27, 0x3fb8aa3b, v26
	v_cmp_ngt_f32_e32 vcc_lo, 0xc2ce8ed0, v26
	s_delay_alu instid0(VALU_DEP_2) | instskip(SKIP_1) | instid1(VALU_DEP_2)
	v_rndne_f32_e32 v28, v27
	v_fma_f32 v29, 0x3fb8aa3b, v26, -v27
	v_sub_f32_e32 v27, v27, v28
	s_delay_alu instid0(VALU_DEP_2) | instskip(SKIP_2) | instid1(VALU_DEP_2)
	v_fmac_f32_e32 v29, 0x32a5705f, v26
	v_fmaak_f32 v24, v25, v24, 0x3aad2fb4
	v_cvt_i32_f32_e32 v28, v28
	v_dual_add_f32 v27, v27, v29 :: v_dual_fmaak_f32 v24, v25, v24, 0x3c0da267
	v_rcp_f32_e32 v29, v31
	s_delay_alu instid0(VALU_DEP_1) | instskip(NEXT) | instid1(VALU_DEP_1)
	v_exp_f32_e32 v27, v27
	v_fmaak_f32 v24, v25, v24, 0xbc0415b1
	s_delay_alu instid0(VALU_DEP_1) | instskip(NEXT) | instid1(VALU_DEP_1)
	v_fmaak_f32 v24, v25, v24, 0xbd5e0a18
	v_fmaak_f32 v24, v25, v24, 0x3e27fe2a
	s_delay_alu instid0(VALU_DEP_1) | instskip(NEXT) | instid1(VALU_DEP_1)
	v_fmaak_f32 v24, v25, v24, 0xbe2a03fd
	v_fmaak_f32 v24, v25, v24, 0xbdbdfb0b
	s_delay_alu instid0(VALU_DEP_1) | instskip(NEXT) | instid1(TRANS32_DEP_1)
	v_fmaak_f32 v24, v25, v24, 0x3e8dd01c
	v_ldexp_f32 v25, v27, v28
	s_delay_alu instid0(TRANS32_DEP_2) | instid1(VALU_DEP_2)
	v_fma_f32 v27, v24, v29, v29
	s_delay_alu instid0(VALU_DEP_2) | instskip(SKIP_1) | instid1(VALU_DEP_3)
	v_cndmask_b32_e32 v25, 0, v25, vcc_lo
	v_cmp_nlt_f32_e32 vcc_lo, 0x42b17218, v26
	v_fma_f32 v28, -v27, v30, 1.0
	v_sub_f32_e32 v24, v24, v27
	v_fma_f32 v30, -v23, v23, -v26
	v_cndmask_b32_e32 v25, 0x7f800000, v25, vcc_lo
	v_cmp_nlt_f32_e64 vcc_lo, 0x4120ddfc, |v23|
	s_delay_alu instid0(VALU_DEP_2) | instskip(NEXT) | instid1(VALU_DEP_1)
	v_dual_add_f32 v24, v28, v24 :: v_dual_fmac_f32 v25, v25, v30
	v_fmac_f32_e32 v27, v29, v24
	s_delay_alu instid0(VALU_DEP_1) | instskip(NEXT) | instid1(VALU_DEP_1)
	v_mul_f32_e32 v24, v25, v27
	v_cndmask_b32_e32 v24, 0, v24, vcc_lo
	v_cmp_gt_f32_e32 vcc_lo, 0, v23
	s_delay_alu instid0(VALU_DEP_2) | instskip(NEXT) | instid1(VALU_DEP_1)
	v_sub_f32_e32 v25, 2.0, v24
	v_cndmask_b32_e32 v25, v24, v25, vcc_lo
	v_add_co_u32 v23, vcc_lo, v7, s6
	v_add_co_ci_u32_e32 v24, vcc_lo, s7, v8, vcc_lo
	global_store_b32 v[23:24], v25, off
	s_branch .LBB1_8
.LBB1_25:
	s_nop 0
	s_sendmsg sendmsg(MSG_DEALLOC_VGPRS)
	s_endpgm
	.section	.rodata,"a",@progbits
	.p2align	6, 0x0
	.amdhsa_kernel _ZN2at6native12_GLOBAL__N_125multi_tensor_apply_kernelINS1_18TensorListMetadataILi2EEENS1_14UnaryOpFunctorIfLi2ELi1ELi1EEEJNS0_4ErfcIfEEEEEvT_T0_DpT1_
		.amdhsa_group_segment_fixed_size 0
		.amdhsa_private_segment_fixed_size 0
		.amdhsa_kernarg_size 3408
		.amdhsa_user_sgpr_count 15
		.amdhsa_user_sgpr_dispatch_ptr 0
		.amdhsa_user_sgpr_queue_ptr 0
		.amdhsa_user_sgpr_kernarg_segment_ptr 1
		.amdhsa_user_sgpr_dispatch_id 0
		.amdhsa_user_sgpr_private_segment_size 0
		.amdhsa_wavefront_size32 1
		.amdhsa_uses_dynamic_stack 0
		.amdhsa_enable_private_segment 0
		.amdhsa_system_sgpr_workgroup_id_x 1
		.amdhsa_system_sgpr_workgroup_id_y 0
		.amdhsa_system_sgpr_workgroup_id_z 0
		.amdhsa_system_sgpr_workgroup_info 0
		.amdhsa_system_vgpr_workitem_id 0
		.amdhsa_next_free_vgpr 46
		.amdhsa_next_free_sgpr 24
		.amdhsa_reserve_vcc 1
		.amdhsa_float_round_mode_32 0
		.amdhsa_float_round_mode_16_64 0
		.amdhsa_float_denorm_mode_32 3
		.amdhsa_float_denorm_mode_16_64 3
		.amdhsa_dx10_clamp 1
		.amdhsa_ieee_mode 1
		.amdhsa_fp16_overflow 0
		.amdhsa_workgroup_processor_mode 1
		.amdhsa_memory_ordered 1
		.amdhsa_forward_progress 0
		.amdhsa_shared_vgpr_count 0
		.amdhsa_exception_fp_ieee_invalid_op 0
		.amdhsa_exception_fp_denorm_src 0
		.amdhsa_exception_fp_ieee_div_zero 0
		.amdhsa_exception_fp_ieee_overflow 0
		.amdhsa_exception_fp_ieee_underflow 0
		.amdhsa_exception_fp_ieee_inexact 0
		.amdhsa_exception_int_div_zero 0
	.end_amdhsa_kernel
	.section	.text._ZN2at6native12_GLOBAL__N_125multi_tensor_apply_kernelINS1_18TensorListMetadataILi2EEENS1_14UnaryOpFunctorIfLi2ELi1ELi1EEEJNS0_4ErfcIfEEEEEvT_T0_DpT1_,"axG",@progbits,_ZN2at6native12_GLOBAL__N_125multi_tensor_apply_kernelINS1_18TensorListMetadataILi2EEENS1_14UnaryOpFunctorIfLi2ELi1ELi1EEEJNS0_4ErfcIfEEEEEvT_T0_DpT1_,comdat
.Lfunc_end1:
	.size	_ZN2at6native12_GLOBAL__N_125multi_tensor_apply_kernelINS1_18TensorListMetadataILi2EEENS1_14UnaryOpFunctorIfLi2ELi1ELi1EEEJNS0_4ErfcIfEEEEEvT_T0_DpT1_, .Lfunc_end1-_ZN2at6native12_GLOBAL__N_125multi_tensor_apply_kernelINS1_18TensorListMetadataILi2EEENS1_14UnaryOpFunctorIfLi2ELi1ELi1EEEJNS0_4ErfcIfEEEEEvT_T0_DpT1_
                                        ; -- End function
	.section	.AMDGPU.csdata,"",@progbits
; Kernel info:
; codeLenInByte = 4280
; NumSgprs: 26
; NumVgprs: 46
; ScratchSize: 0
; MemoryBound: 0
; FloatMode: 240
; IeeeMode: 1
; LDSByteSize: 0 bytes/workgroup (compile time only)
; SGPRBlocks: 3
; VGPRBlocks: 5
; NumSGPRsForWavesPerEU: 26
; NumVGPRsForWavesPerEU: 46
; Occupancy: 16
; WaveLimiterHint : 0
; COMPUTE_PGM_RSRC2:SCRATCH_EN: 0
; COMPUTE_PGM_RSRC2:USER_SGPR: 15
; COMPUTE_PGM_RSRC2:TRAP_HANDLER: 0
; COMPUTE_PGM_RSRC2:TGID_X_EN: 1
; COMPUTE_PGM_RSRC2:TGID_Y_EN: 0
; COMPUTE_PGM_RSRC2:TGID_Z_EN: 0
; COMPUTE_PGM_RSRC2:TIDIG_COMP_CNT: 0
	.section	.text._ZN2at6native12_GLOBAL__N_125multi_tensor_apply_kernelINS1_18TensorListMetadataILi2EEENS1_14UnaryOpFunctorIN3c104HalfELi2ELi1ELi1EEEJNS0_4ErfcIfEEEEEvT_T0_DpT1_,"axG",@progbits,_ZN2at6native12_GLOBAL__N_125multi_tensor_apply_kernelINS1_18TensorListMetadataILi2EEENS1_14UnaryOpFunctorIN3c104HalfELi2ELi1ELi1EEEJNS0_4ErfcIfEEEEEvT_T0_DpT1_,comdat
	.globl	_ZN2at6native12_GLOBAL__N_125multi_tensor_apply_kernelINS1_18TensorListMetadataILi2EEENS1_14UnaryOpFunctorIN3c104HalfELi2ELi1ELi1EEEJNS0_4ErfcIfEEEEEvT_T0_DpT1_ ; -- Begin function _ZN2at6native12_GLOBAL__N_125multi_tensor_apply_kernelINS1_18TensorListMetadataILi2EEENS1_14UnaryOpFunctorIN3c104HalfELi2ELi1ELi1EEEJNS0_4ErfcIfEEEEEvT_T0_DpT1_
	.p2align	8
	.type	_ZN2at6native12_GLOBAL__N_125multi_tensor_apply_kernelINS1_18TensorListMetadataILi2EEENS1_14UnaryOpFunctorIN3c104HalfELi2ELi1ELi1EEEJNS0_4ErfcIfEEEEEvT_T0_DpT1_,@function
_ZN2at6native12_GLOBAL__N_125multi_tensor_apply_kernelINS1_18TensorListMetadataILi2EEENS1_14UnaryOpFunctorIN3c104HalfELi2ELi1ELi1EEEJNS0_4ErfcIfEEEEEvT_T0_DpT1_: ; @_ZN2at6native12_GLOBAL__N_125multi_tensor_apply_kernelINS1_18TensorListMetadataILi2EEENS1_14UnaryOpFunctorIN3c104HalfELi2ELi1ELi1EEEJNS0_4ErfcIfEEEEEvT_T0_DpT1_
; %bb.0:
	v_mov_b32_e32 v1, s15
	s_add_u32 s2, s0, s15
	s_mul_hi_u32 s3, s15, 3
	s_mul_i32 s15, s15, 3
	s_addc_u32 s4, s1, 0
	global_load_u8 v1, v1, s[0:1] offset:1536
	s_add_u32 s2, s2, s15
	s_addc_u32 s3, s4, s3
	s_mov_b32 s19, 0
	s_load_b32 s2, s[2:3], 0x740
	s_mov_b32 s21, s19
	s_mov_b32 s23, s19
	s_waitcnt vmcnt(0)
	v_readfirstlane_b32 s5, v1
	s_delay_alu instid0(VALU_DEP_1)
	s_lshl_b32 s3, s5, 3
	s_clause 0x2
	s_load_b64 s[10:11], s[0:1], s3 offset:0x0
	s_load_b64 s[12:13], s[0:1], s3 offset:0x200
	;; [unrolled: 1-line block ×3, first 2 shown]
	s_waitcnt lgkmcnt(0)
	s_ashr_i32 s3, s2, 31
	s_delay_alu instid0(SALU_CYCLE_1) | instskip(NEXT) | instid1(SALU_CYCLE_1)
	s_lshl_b64 s[6:7], s[2:3], 17
	s_add_u32 s5, s10, s6
	s_addc_u32 s14, s11, s7
	s_and_b32 s18, s5, 7
	s_add_u32 s15, s12, s6
	s_addc_u32 s16, s13, s7
	s_and_b32 s20, s8, 3
	s_and_b32 s22, s15, 7
	s_or_b64 s[18:19], s[18:19], s[20:21]
	s_lshl_b64 s[2:3], s[2:3], 16
	s_or_b64 s[18:19], s[22:23], s[18:19]
	s_sub_u32 s8, s8, s2
	s_subb_u32 s9, s9, s3
	s_cmp_eq_u64 s[18:19], 0
	s_mov_b32 s2, -1
	s_cbranch_scc0 .LBB2_5
; %bb.1:
	v_dual_mov_b32 v2, 0 :: v_dual_lshlrev_b32 v1, 2, v0
	s_mov_b32 s17, exec_lo
	s_delay_alu instid0(VALU_DEP_1)
	v_cmpx_gt_i64_e64 s[8:9], v[1:2]
	s_cbranch_execz .LBB2_4
; %bb.2:
	s_load_b32 s2, s[0:1], 0xc5c
	v_lshlrev_b32_e32 v3, 3, v0
	s_mov_b32 s18, 0
	s_mov_b32 s21, -2.0
	s_mov_b32 s22, 0xb9d6f8c4
	s_waitcnt lgkmcnt(0)
	s_and_b32 s2, s2, 0xffff
	s_delay_alu instid0(SALU_CYCLE_1)
	v_add_lshl_u32 v1, v0, s2, 2
	s_lshl_b32 s19, s2, 2
	s_lshl_b32 s20, s2, 3
.LBB2_3:                                ; =>This Inner Loop Header: Depth=1
	v_add_co_u32 v4, s2, s5, v3
	s_delay_alu instid0(VALU_DEP_1)
	v_add_co_ci_u32_e64 v5, null, s14, 0, s2
	v_cmp_le_i64_e32 vcc_lo, s[8:9], v[1:2]
	v_cmp_lt_u64_e64 s2, 0xffff, v[1:2]
	v_add_co_u32 v6, s3, s15, v3
	global_load_b64 v[4:5], v[4:5], off
	v_add_co_ci_u32_e64 v7, null, s16, 0, s3
	s_or_b32 s23, vcc_lo, s2
	v_add_co_u32 v1, s3, v1, s19
	s_delay_alu instid0(VALU_DEP_1)
	v_add_co_ci_u32_e64 v2, s3, 0, v2, s3
	s_add_u32 s5, s5, s20
	s_addc_u32 s14, s14, 0
	s_add_u32 s15, s15, s20
	s_addc_u32 s16, s16, 0
	s_waitcnt vmcnt(0)
	v_cvt_f32_f16_e32 v8, v4
	v_lshrrev_b32_e32 v9, 16, v4
	v_cvt_f32_f16_e32 v11, v5
	v_lshrrev_b32_e32 v10, 16, v5
	s_delay_alu instid0(VALU_DEP_4)
	v_mul_f32_e64 v12, -v8, v8
	v_add_f32_e64 v14, |v8|, 2.0
	v_add_f32_e64 v15, |v8|, |v8|
	v_cvt_f32_f16_e32 v16, v9
	v_mul_f32_e64 v17, -v11, v11
	v_add_f32_e64 v19, |v11|, 2.0
	s_delay_alu instid0(VALU_DEP_4)
	v_dual_mul_f32 v23, 0x3fb8aa3b, v12 :: v_dual_add_f32 v24, 1.0, v15
	v_rcp_f32_e32 v14, v14
	v_add_f32_e64 v13, |v8|, -2.0
	v_add_f32_e64 v20, |v11|, |v11|
	v_add_f32_e64 v27, |v16|, 2.0
	v_mul_f32_e32 v30, 0x3fb8aa3b, v17
	v_rcp_f32_e32 v19, v19
	v_fma_f32 v36, 0x3fb8aa3b, v12, -v23
	v_add_f32_e32 v31, 1.0, v20
	v_rndne_f32_e32 v37, v23
	v_add_f32_e64 v18, |v11|, -2.0
	v_cvt_f32_f16_e32 v21, v10
	v_rcp_f32_e32 v27, v27
	v_fma_f32 v41, 0x3fb8aa3b, v17, -v30
	v_rndne_f32_e32 v42, v30
	v_dual_fmac_f32 v36, 0x32a5705f, v12 :: v_dual_sub_f32 v23, v23, v37
	v_dual_mul_f32 v13, v13, v14 :: v_dual_mul_f32 v18, v18, v19
	v_mul_f32_e64 v25, -v16, v16
	v_add_f32_e64 v26, |v16|, -2.0
	v_mul_f32_e64 v32, -v21, v21
	v_add_f32_e64 v34, |v21|, 2.0
	v_dual_fmac_f32 v41, 0x32a5705f, v17 :: v_dual_sub_f32 v30, v30, v42
	v_dual_add_f32 v23, v23, v36 :: v_dual_add_f32 v36, 1.0, v13
	v_add_f32_e64 v28, |v16|, |v16|
	v_add_f32_e64 v33, |v21|, -2.0
	v_add_f32_e64 v35, |v21|, |v21|
	v_dual_mul_f32 v39, 0x3fb8aa3b, v25 :: v_dual_mul_f32 v44, 0x3fb8aa3b, v32
	v_rcp_f32_e32 v34, v34
	v_mul_f32_e32 v26, v26, v27
	v_dual_add_f32 v30, v30, v41 :: v_dual_add_f32 v41, 1.0, v18
	v_fma_mix_f32 v36, v36, s21, |v4| op_sel_hi:[0,0,1]
	v_dual_add_f32 v40, 1.0, v28 :: v_dual_add_f32 v45, 1.0, v35
	v_fma_f32 v46, 0x3fb8aa3b, v25, -v39
	v_rndne_f32_e32 v47, v39
	v_fma_f32 v48, 0x3fb8aa3b, v32, -v44
	s_delay_alu instid0(TRANS32_DEP_1)
	v_mul_f32_e32 v33, v33, v34
	v_rndne_f32_e32 v49, v44
	v_fma_mix_f32 v41, v41, s21, |v5| op_sel_hi:[0,0,1]
	v_fma_mix_f32 v36, -v13, |v4|, v36 op_sel_hi:[0,1,0]
	v_dual_fmac_f32 v46, 0x32a5705f, v25 :: v_dual_sub_f32 v39, v39, v47
	v_fmac_f32_e32 v48, 0x32a5705f, v32
	s_delay_alu instid0(VALU_DEP_3)
	v_dual_sub_f32 v44, v44, v49 :: v_dual_fmac_f32 v13, v14, v36
	v_fma_mix_f32 v41, -v18, |v5|, v41 op_sel_hi:[0,1,0]
	v_fma_mix_f32 v43, -v5, v5, -v32 op_sel:[1,1,0] op_sel_hi:[1,1,0]
	v_add_f32_e32 v39, v39, v46
	v_exp_f32_e32 v30, v30
	v_fmaak_f32 v36, s22, v13, 0xbaa2d753
	v_fmac_f32_e32 v18, v19, v41
	v_add_f32_e32 v44, v44, v48
	v_add_f32_e32 v48, 1.0, v33
	v_cvt_i32_f32_e32 v42, v42
	v_exp_f32_e32 v23, v23
	v_cvt_i32_f32_e32 v37, v37
	v_exp_f32_e32 v39, v39
	v_fma_mix_f32 v48, v48, s21, |v5| op_sel:[0,0,1] op_sel_hi:[0,0,1]
	v_ldexp_f32 v30, v30, v42
	v_cmp_ngt_f32_e32 vcc_lo, 0xc2ce8ed0, v17
	v_fma_mix_f32 v29, -v5, v5, -v17 op_sel_hi:[1,1,0]
	v_cvt_i32_f32_e32 v47, v47
	v_fma_mix_f32 v19, -v33, |v5|, v48 op_sel:[0,1,0] op_sel_hi:[0,1,0]
	v_add_f32_e32 v46, 1.0, v26
	v_ldexp_f32 v23, v23, v37
	v_cmp_ngt_f32_e64 s2, 0xc2ce8ed0, v12
	v_cvt_i32_f32_e32 v49, v49
	v_fmac_f32_e32 v33, v34, v19
	v_fma_mix_f32 v46, v46, s21, |v4| op_sel:[0,0,1] op_sel_hi:[0,0,1]
	v_fmaak_f32 v19, v13, v36, 0x3aad2fb4
	v_cndmask_b32_e64 v23, 0, v23, s2
	v_ldexp_f32 v37, v39, v47
	v_cmp_ngt_f32_e64 s2, 0xc2ce8ed0, v25
	v_fma_mix_f32 v14, -v26, |v4|, v46 op_sel:[0,1,0] op_sel_hi:[0,1,0]
	v_fmaak_f32 v19, v13, v19, 0x3c0da267
	v_cmp_nlt_f32_e64 s4, 0x42b17218, v12
	v_fma_mix_f32 v22, -v4, v4, -v12 op_sel_hi:[1,1,0]
	v_cmp_ngt_f32_e64 s3, 0xc2ce8ed0, v32
	v_fmac_f32_e32 v26, v27, v14
	v_cndmask_b32_e32 v14, 0, v30, vcc_lo
	v_cmp_nlt_f32_e32 vcc_lo, 0x42b17218, v17
	v_fmaak_f32 v17, s22, v18, 0xbaa2d753
	v_exp_f32_e32 v44, v44
	v_cndmask_b32_e64 v12, 0x7f800000, v23, s4
	v_cndmask_b32_e64 v23, 0, v37, s2
	v_cmp_nlt_f32_e64 s2, 0x42b17218, v25
	v_fma_mix_f32 v38, -v4, v4, -v25 op_sel:[1,1,0] op_sel_hi:[1,1,0]
	v_fmaak_f32 v17, v18, v17, 0x3aad2fb4
	v_rcp_f32_e32 v31, v31
	v_rcp_f32_e32 v24, v24
	;; [unrolled: 1-line block ×4, first 2 shown]
	v_fmaak_f32 v17, v18, v17, 0x3c0da267
	v_ldexp_f32 v27, v44, v49
	s_delay_alu instid0(VALU_DEP_1) | instskip(SKIP_4) | instid1(VALU_DEP_2)
	v_cndmask_b32_e64 v27, 0, v27, s3
	v_fmac_f32_e32 v12, v12, v22
	v_cndmask_b32_e64 v22, 0x7f800000, v23, s2
	v_fmaak_f32 v19, v13, v19, 0xbc0415b1
	v_cmp_nlt_f32_e64 s2, 0x4120ddfc, |v8|
	v_dual_fmac_f32 v22, v22, v38 :: v_dual_fmaak_f32 v19, v13, v19, 0xbd5e0a18
	s_delay_alu instid0(VALU_DEP_1) | instskip(NEXT) | instid1(VALU_DEP_1)
	v_fmaak_f32 v19, v13, v19, 0x3e27fe2a
	v_fmaak_f32 v19, v13, v19, 0xbe2a03fd
	s_delay_alu instid0(VALU_DEP_1) | instskip(NEXT) | instid1(VALU_DEP_1)
	v_fmaak_f32 v19, v13, v19, 0xbdbdfb0b
	v_fmaak_f32 v13, v13, v19, 0x3e8dd01c
	;; [unrolled: 1-line block ×3, first 2 shown]
	s_delay_alu instid0(VALU_DEP_1) | instskip(NEXT) | instid1(VALU_DEP_1)
	v_fmaak_f32 v23, v26, v30, 0x3aad2fb4
	v_fmaak_f32 v23, v26, v23, 0x3c0da267
	s_delay_alu instid0(VALU_DEP_1) | instskip(NEXT) | instid1(VALU_DEP_1)
	v_fmaak_f32 v23, v26, v23, 0xbc0415b1
	v_fmaak_f32 v23, v26, v23, 0xbd5e0a18
	;; [unrolled: 3-line block ×3, first 2 shown]
	s_delay_alu instid0(VALU_DEP_1) | instskip(SKIP_1) | instid1(VALU_DEP_2)
	v_fmaak_f32 v19, v26, v23, 0xbdbdfb0b
	v_fma_f32 v23, v13, v24, v24
	v_fmaak_f32 v19, v26, v19, 0x3e8dd01c
	s_delay_alu instid0(VALU_DEP_2) | instskip(SKIP_2) | instid1(VALU_DEP_2)
	v_fma_f32 v15, -v23, v15, 1.0
	v_dual_sub_f32 v13, v13, v23 :: v_dual_cndmask_b32 v14, 0x7f800000, v14
	v_cmp_nlt_f32_e32 vcc_lo, 0x42b17218, v32
	v_add_f32_e32 v13, v15, v13
	v_cndmask_b32_e32 v25, 0x7f800000, v27, vcc_lo
	v_cmp_nlt_f32_e64 vcc_lo, 0x4120ddfc, |v11|
	s_delay_alu instid0(VALU_DEP_3) | instskip(SKIP_1) | instid1(VALU_DEP_4)
	v_fmac_f32_e32 v23, v24, v13
	v_fmaak_f32 v17, v18, v17, 0xbc0415b1
	v_fmac_f32_e32 v25, v25, v43
	s_delay_alu instid0(VALU_DEP_2) | instskip(NEXT) | instid1(VALU_DEP_1)
	v_dual_mul_f32 v12, v12, v23 :: v_dual_fmaak_f32 v17, v18, v17, 0xbd5e0a18
	v_cndmask_b32_e64 v8, 0, v12, s2
	s_delay_alu instid0(VALU_DEP_2) | instskip(SKIP_1) | instid1(VALU_DEP_2)
	v_fmaak_f32 v17, v18, v17, 0x3e27fe2a
	v_cmp_nlt_f32_e64 s2, 0x4120ddfc, |v16|
	v_fmaak_f32 v17, v18, v17, 0xbe2a03fd
	s_delay_alu instid0(VALU_DEP_1) | instskip(NEXT) | instid1(VALU_DEP_1)
	v_fmaak_f32 v17, v18, v17, 0xbdbdfb0b
	v_fmaak_f32 v17, v18, v17, 0x3e8dd01c
	s_delay_alu instid0(VALU_DEP_1) | instskip(NEXT) | instid1(VALU_DEP_1)
	v_fma_f32 v26, v17, v31, v31
	v_dual_fmaak_f32 v32, s22, v33, 0xbaa2d753 :: v_dual_sub_f32 v17, v17, v26
	s_delay_alu instid0(VALU_DEP_1) | instskip(SKIP_1) | instid1(VALU_DEP_2)
	v_dual_fmac_f32 v14, v14, v29 :: v_dual_fmaak_f32 v27, v33, v32, 0x3aad2fb4
	v_fma_f32 v20, -v26, v20, 1.0
	v_fmaak_f32 v27, v33, v27, 0x3c0da267
	s_delay_alu instid0(VALU_DEP_2) | instskip(NEXT) | instid1(VALU_DEP_1)
	v_add_f32_e32 v17, v20, v17
	v_dual_fmaak_f32 v27, v33, v27, 0xbc0415b1 :: v_dual_fmac_f32 v26, v31, v17
	s_delay_alu instid0(VALU_DEP_1) | instskip(NEXT) | instid1(VALU_DEP_1)
	v_fmaak_f32 v27, v33, v27, 0xbd5e0a18
	v_fmaak_f32 v27, v33, v27, 0x3e27fe2a
	s_delay_alu instid0(VALU_DEP_1) | instskip(NEXT) | instid1(VALU_DEP_1)
	v_fmaak_f32 v27, v33, v27, 0xbe2a03fd
	v_fmaak_f32 v18, v33, v27, 0xbdbdfb0b
	v_fma_f32 v27, v19, v40, v40
	s_delay_alu instid0(VALU_DEP_2) | instskip(NEXT) | instid1(VALU_DEP_2)
	v_fmaak_f32 v18, v33, v18, 0x3e8dd01c
	v_fma_f32 v15, -v27, v28, 1.0
	v_sub_f32_e32 v19, v19, v27
	s_delay_alu instid0(VALU_DEP_3) | instskip(NEXT) | instid1(VALU_DEP_1)
	v_fma_f32 v29, v18, v45, v45
	v_dual_add_f32 v13, v15, v19 :: v_dual_sub_f32 v18, v18, v29
	v_fma_f32 v20, -v29, v35, 1.0
	s_delay_alu instid0(VALU_DEP_2) | instskip(SKIP_1) | instid1(VALU_DEP_3)
	v_fmac_f32_e32 v27, v40, v13
	v_dual_mul_f32 v13, v14, v26 :: v_dual_sub_f32 v14, 2.0, v8
	v_add_f32_e32 v15, v20, v18
	s_delay_alu instid0(VALU_DEP_2) | instskip(SKIP_1) | instid1(VALU_DEP_3)
	v_dual_mul_f32 v11, v22, v27 :: v_dual_cndmask_b32 v12, 0, v13
	v_cmp_nlt_f32_e64 vcc_lo, 0x4120ddfc, |v21|
	v_fmac_f32_e32 v29, v45, v15
	s_delay_alu instid0(VALU_DEP_3) | instskip(NEXT) | instid1(VALU_DEP_4)
	v_cndmask_b32_e64 v11, 0, v11, s2
	v_sub_f32_e32 v15, 2.0, v12
	v_cmp_gt_f16_e64 s2, 0, v4
	s_delay_alu instid0(VALU_DEP_4) | instskip(NEXT) | instid1(VALU_DEP_2)
	v_mul_f32_e32 v13, v25, v29
	v_cndmask_b32_e64 v4, v8, v14, s2
	s_delay_alu instid0(VALU_DEP_2) | instskip(SKIP_2) | instid1(VALU_DEP_4)
	v_dual_sub_f32 v8, 2.0, v11 :: v_dual_cndmask_b32 v13, 0, v13
	v_cmp_gt_f16_e32 vcc_lo, 0, v5
	v_cmp_gt_f16_e64 s2, 0, v9
	v_cvt_f16_f32_e32 v4, v4
	s_delay_alu instid0(VALU_DEP_4) | instskip(SKIP_4) | instid1(VALU_DEP_3)
	v_sub_f32_e32 v5, 2.0, v13
	v_cndmask_b32_e32 v9, v12, v15, vcc_lo
	v_cmp_gt_f16_e32 vcc_lo, 0, v10
	v_cndmask_b32_e64 v8, v11, v8, s2
	s_and_b32 s2, exec_lo, s23
	v_cvt_f16_f32_e32 v9, v9
	v_cndmask_b32_e32 v5, v13, v5, vcc_lo
	s_delay_alu instid0(VALU_DEP_3) | instskip(SKIP_1) | instid1(VALU_DEP_2)
	v_cvt_f16_f32_e32 v8, v8
	s_or_b32 s18, s2, s18
	v_cvt_f16_f32_e32 v5, v5
	s_delay_alu instid0(VALU_DEP_2) | instskip(NEXT) | instid1(VALU_DEP_2)
	v_pack_b32_f16 v4, v4, v8
	v_pack_b32_f16 v5, v9, v5
	global_store_b64 v[6:7], v[4:5], off
	s_and_not1_b32 exec_lo, exec_lo, s18
	s_cbranch_execnz .LBB2_3
.LBB2_4:
	s_or_b32 exec_lo, exec_lo, s17
	s_mov_b32 s2, 0
.LBB2_5:
	s_delay_alu instid0(SALU_CYCLE_1)
	s_and_not1_b32 vcc_lo, exec_lo, s2
	s_cbranch_vccnz .LBB2_25
; %bb.6:
	v_cmp_lt_i64_e64 s2, s[8:9], 1
	s_delay_alu instid0(VALU_DEP_1)
	s_and_b32 vcc_lo, exec_lo, s2
	s_cbranch_vccnz .LBB2_25
; %bb.7:
	s_load_b32 s0, s[0:1], 0xc5c
	v_dual_mov_b32 v10, 0 :: v_dual_lshlrev_b32 v9, 1, v0
	v_cmp_gt_u64_e64 s1, 0x10000, s[8:9]
	s_delay_alu instid0(VALU_DEP_2) | instskip(NEXT) | instid1(VALU_DEP_1)
	v_add_co_u32 v1, s2, s10, v9
	v_add_co_ci_u32_e64 v2, null, s11, 0, s2
	v_add_co_u32 v3, s2, s12, v9
	s_delay_alu instid0(VALU_DEP_1)
	v_add_co_ci_u32_e64 v4, null, s13, 0, s2
	s_waitcnt lgkmcnt(0)
	s_and_b32 s0, s0, 0xffff
	s_and_b32 s1, s1, exec_lo
	v_mad_u64_u32 v[7:8], null, s0, 6, v[9:10]
	s_cselect_b32 s5, s9, 0
	s_cselect_b32 s4, s8, 0x10000
	s_lshl_b32 s1, s0, 1
	s_mul_i32 s2, s0, 3
	s_lshl_b32 s14, s0, 2
	s_lshl_b32 s15, s0, 3
	v_add_co_u32 v13, s0, v0, s0
	v_add_co_u32 v5, vcc_lo, s10, v7
	v_add_co_u32 v14, s3, s14, v9
	v_add_co_ci_u32_e32 v6, vcc_lo, s11, v8, vcc_lo
	s_delay_alu instid0(VALU_DEP_4)
	v_lshlrev_b32_e32 v21, 1, v13
	v_add_co_u32 v7, vcc_lo, s12, v7
	v_add_co_ci_u32_e64 v15, null, 0, 0, s3
	v_add_co_ci_u32_e32 v8, vcc_lo, s13, v8, vcc_lo
	v_add_co_ci_u32_e64 v16, null, 0, 0, s0
	v_add_co_u32 v17, s0, s1, v0
	v_add_co_u32 v11, vcc_lo, s10, v14
	v_add_co_ci_u32_e64 v18, null, 0, 0, s0
	v_add_co_u32 v19, s0, s10, v21
	v_add_co_ci_u32_e32 v12, vcc_lo, s11, v15, vcc_lo
	v_add_co_u32 v9, s2, s2, v0
	v_add_co_u32 v14, vcc_lo, s12, v14
	v_add_co_ci_u32_e64 v20, null, s11, 0, s0
	v_add_co_u32 v21, s0, s12, v21
	v_add_co_ci_u32_e64 v10, null, 0, 0, s2
	v_add_co_ci_u32_e32 v15, vcc_lo, s13, v15, vcc_lo
	v_add_co_ci_u32_e64 v22, null, s13, 0, s0
	s_mov_b64 s[10:11], 0
	s_mov_b32 s12, -2.0
	s_mov_b32 s13, 0xb9d6f8c4
	s_branch .LBB2_9
.LBB2_8:                                ;   in Loop: Header=BB2_9 Depth=1
	s_or_b32 exec_lo, exec_lo, s0
	v_add_co_u32 v1, vcc_lo, v1, s15
	v_add_co_ci_u32_e32 v2, vcc_lo, 0, v2, vcc_lo
	v_add_co_u32 v3, vcc_lo, v3, s15
	v_add_co_ci_u32_e32 v4, vcc_lo, 0, v4, vcc_lo
	v_add_co_u32 v5, vcc_lo, v5, s15
	v_add_co_ci_u32_e32 v6, vcc_lo, 0, v6, vcc_lo
	v_add_co_u32 v7, vcc_lo, v7, s15
	v_add_co_ci_u32_e32 v8, vcc_lo, 0, v8, vcc_lo
	v_add_co_u32 v11, vcc_lo, v11, s15
	v_add_co_ci_u32_e32 v12, vcc_lo, 0, v12, vcc_lo
	s_add_u32 s10, s10, s14
	v_add_co_u32 v14, vcc_lo, v14, s15
	s_addc_u32 s11, s11, 0
	v_add_co_ci_u32_e32 v15, vcc_lo, 0, v15, vcc_lo
	v_cmp_ge_i64_e64 s0, s[10:11], s[8:9]
	v_cmp_lt_u64_e64 s1, 0xffff, s[10:11]
	v_add_co_u32 v19, vcc_lo, v19, s15
	v_add_co_ci_u32_e32 v20, vcc_lo, 0, v20, vcc_lo
	v_add_co_u32 v21, vcc_lo, v21, s15
	v_add_co_ci_u32_e32 v22, vcc_lo, 0, v22, vcc_lo
	s_or_b32 s0, s0, s1
	s_delay_alu instid0(SALU_CYCLE_1)
	s_and_b32 vcc_lo, exec_lo, s0
	s_cbranch_vccnz .LBB2_25
.LBB2_9:                                ; =>This Inner Loop Header: Depth=1
	s_waitcnt vmcnt(0)
	v_add_co_u32 v23, s0, v0, s10
	s_delay_alu instid0(VALU_DEP_1) | instskip(SKIP_1) | instid1(VALU_DEP_2)
	v_add_co_ci_u32_e64 v24, null, 0, s11, s0
	v_mov_b32_e32 v26, 0
	v_cmp_gt_u64_e64 s2, s[4:5], v[23:24]
	s_delay_alu instid0(VALU_DEP_1)
	s_and_saveexec_b32 s0, s2
	s_cbranch_execz .LBB2_11
; %bb.10:                               ;   in Loop: Header=BB2_9 Depth=1
	v_add_co_u32 v23, vcc_lo, v1, s6
	v_add_co_ci_u32_e32 v24, vcc_lo, s7, v2, vcc_lo
	global_load_u16 v26, v[23:24], off
.LBB2_11:                               ;   in Loop: Header=BB2_9 Depth=1
	s_or_b32 exec_lo, exec_lo, s0
	v_add_co_u32 v23, vcc_lo, v13, s10
	v_add_co_ci_u32_e32 v24, vcc_lo, s11, v16, vcc_lo
	v_mov_b32_e32 v25, 0
	s_delay_alu instid0(VALU_DEP_2) | instskip(NEXT) | instid1(VALU_DEP_1)
	v_cmp_gt_u64_e64 s1, s[4:5], v[23:24]
	s_and_saveexec_b32 s0, s1
	s_cbranch_execz .LBB2_13
; %bb.12:                               ;   in Loop: Header=BB2_9 Depth=1
	v_add_co_u32 v23, vcc_lo, v19, s6
	v_add_co_ci_u32_e32 v24, vcc_lo, s7, v20, vcc_lo
	global_load_u16 v25, v[23:24], off
.LBB2_13:                               ;   in Loop: Header=BB2_9 Depth=1
	s_or_b32 exec_lo, exec_lo, s0
	v_add_co_u32 v23, vcc_lo, v17, s10
	v_add_co_ci_u32_e32 v24, vcc_lo, s11, v18, vcc_lo
	s_delay_alu instid0(VALU_DEP_1) | instskip(SKIP_1) | instid1(VALU_DEP_2)
	v_cmp_gt_u64_e64 s0, s[4:5], v[23:24]
	v_dual_mov_b32 v23, 0 :: v_dual_mov_b32 v24, 0
	s_and_saveexec_b32 s3, s0
	s_cbranch_execz .LBB2_15
; %bb.14:                               ;   in Loop: Header=BB2_9 Depth=1
	v_add_co_u32 v27, vcc_lo, v11, s6
	v_add_co_ci_u32_e32 v28, vcc_lo, s7, v12, vcc_lo
	global_load_u16 v24, v[27:28], off
.LBB2_15:                               ;   in Loop: Header=BB2_9 Depth=1
	s_or_b32 exec_lo, exec_lo, s3
	v_add_co_u32 v27, vcc_lo, v9, s10
	v_add_co_ci_u32_e32 v28, vcc_lo, s11, v10, vcc_lo
	s_delay_alu instid0(VALU_DEP_1)
	v_cmp_gt_u64_e32 vcc_lo, s[4:5], v[27:28]
	s_and_saveexec_b32 s16, vcc_lo
	s_cbranch_execnz .LBB2_20
; %bb.16:                               ;   in Loop: Header=BB2_9 Depth=1
	s_or_b32 exec_lo, exec_lo, s16
	s_and_saveexec_b32 s3, s2
	s_cbranch_execnz .LBB2_21
.LBB2_17:                               ;   in Loop: Header=BB2_9 Depth=1
	s_or_b32 exec_lo, exec_lo, s3
	s_and_saveexec_b32 s2, s1
	s_cbranch_execnz .LBB2_22
.LBB2_18:                               ;   in Loop: Header=BB2_9 Depth=1
	s_or_b32 exec_lo, exec_lo, s2
	s_and_saveexec_b32 s1, s0
	s_cbranch_execnz .LBB2_23
.LBB2_19:                               ;   in Loop: Header=BB2_9 Depth=1
	s_or_b32 exec_lo, exec_lo, s1
	s_and_saveexec_b32 s0, vcc_lo
	s_cbranch_execz .LBB2_8
	s_branch .LBB2_24
.LBB2_20:                               ;   in Loop: Header=BB2_9 Depth=1
	v_add_co_u32 v27, s3, v5, s6
	s_delay_alu instid0(VALU_DEP_1)
	v_add_co_ci_u32_e64 v28, s3, s7, v6, s3
	global_load_u16 v23, v[27:28], off
	s_or_b32 exec_lo, exec_lo, s16
	s_and_saveexec_b32 s3, s2
	s_cbranch_execz .LBB2_17
.LBB2_21:                               ;   in Loop: Header=BB2_9 Depth=1
	s_waitcnt vmcnt(0)
	v_cvt_f32_f16_e32 v27, v26
	s_delay_alu instid0(VALU_DEP_1) | instskip(SKIP_2) | instid1(VALU_DEP_3)
	v_add_f32_e64 v28, |v27|, 2.0
	v_add_f32_e64 v29, |v27|, -2.0
	v_add_f32_e64 v34, |v27|, |v27|
	v_rcp_f32_e32 v28, v28
	s_delay_alu instid0(VALU_DEP_1) | instskip(SKIP_2) | instid1(VALU_DEP_1)
	v_add_f32_e32 v35, 1.0, v34
	s_waitcnt_depctr 0xfff
	v_mul_f32_e32 v29, v29, v28
	v_add_f32_e32 v30, 1.0, v29
	s_delay_alu instid0(VALU_DEP_1) | instskip(NEXT) | instid1(VALU_DEP_1)
	v_fma_mix_f32 v30, v30, s12, |v26| op_sel_hi:[0,0,1]
	v_fma_mix_f32 v30, -v29, |v26|, v30 op_sel_hi:[0,1,0]
	s_delay_alu instid0(VALU_DEP_1) | instskip(SKIP_1) | instid1(VALU_DEP_2)
	v_fmac_f32_e32 v29, v28, v30
	v_mul_f32_e64 v30, -v27, v27
	v_fmaak_f32 v28, s13, v29, 0xbaa2d753
	s_delay_alu instid0(VALU_DEP_2) | instskip(SKIP_1) | instid1(VALU_DEP_2)
	v_mul_f32_e32 v31, 0x3fb8aa3b, v30
	v_cmp_ngt_f32_e64 s2, 0xc2ce8ed0, v30
	v_rndne_f32_e32 v32, v31
	v_fma_f32 v33, 0x3fb8aa3b, v30, -v31
	s_delay_alu instid0(VALU_DEP_2) | instskip(NEXT) | instid1(VALU_DEP_2)
	v_sub_f32_e32 v31, v31, v32
	v_fmac_f32_e32 v33, 0x32a5705f, v30
	v_fmaak_f32 v28, v29, v28, 0x3aad2fb4
	v_cvt_i32_f32_e32 v32, v32
	s_delay_alu instid0(VALU_DEP_2) | instskip(SKIP_1) | instid1(VALU_DEP_1)
	v_dual_add_f32 v31, v31, v33 :: v_dual_fmaak_f32 v28, v29, v28, 0x3c0da267
	v_rcp_f32_e32 v33, v35
	v_exp_f32_e32 v31, v31
	s_delay_alu instid0(VALU_DEP_1) | instskip(NEXT) | instid1(VALU_DEP_1)
	v_fmaak_f32 v28, v29, v28, 0xbc0415b1
	v_fmaak_f32 v28, v29, v28, 0xbd5e0a18
	s_delay_alu instid0(VALU_DEP_1) | instskip(NEXT) | instid1(VALU_DEP_1)
	v_fmaak_f32 v28, v29, v28, 0x3e27fe2a
	v_fmaak_f32 v28, v29, v28, 0xbe2a03fd
	;; [unrolled: 3-line block ×3, first 2 shown]
	s_delay_alu instid0(TRANS32_DEP_1)
	v_ldexp_f32 v29, v31, v32
	s_delay_alu instid0(TRANS32_DEP_2) | instid1(VALU_DEP_2)
	v_fma_f32 v31, v28, v33, v33
	s_delay_alu instid0(VALU_DEP_2) | instskip(SKIP_1) | instid1(VALU_DEP_3)
	v_cndmask_b32_e64 v29, 0, v29, s2
	v_cmp_nlt_f32_e64 s2, 0x42b17218, v30
	v_fma_f32 v32, -v31, v34, 1.0
	v_sub_f32_e32 v28, v28, v31
	v_fma_mix_f32 v34, -v26, v26, -v30 op_sel_hi:[1,1,0]
	s_delay_alu instid0(VALU_DEP_4) | instskip(SKIP_1) | instid1(VALU_DEP_2)
	v_cndmask_b32_e64 v29, 0x7f800000, v29, s2
	v_cmp_nlt_f32_e64 s2, 0x4120ddfc, |v27|
	v_dual_add_f32 v28, v32, v28 :: v_dual_fmac_f32 v29, v29, v34
	s_delay_alu instid0(VALU_DEP_1) | instskip(NEXT) | instid1(VALU_DEP_1)
	v_fmac_f32_e32 v31, v33, v28
	v_mul_f32_e32 v28, v29, v31
	s_delay_alu instid0(VALU_DEP_1) | instskip(SKIP_1) | instid1(VALU_DEP_2)
	v_cndmask_b32_e64 v27, 0, v28, s2
	v_cmp_gt_f16_e64 s2, 0, v26
	v_sub_f32_e32 v28, 2.0, v27
	s_delay_alu instid0(VALU_DEP_1) | instskip(NEXT) | instid1(VALU_DEP_1)
	v_cndmask_b32_e64 v26, v27, v28, s2
	v_cvt_f16_f32_e32 v28, v26
	v_add_co_u32 v26, s2, v3, s6
	s_delay_alu instid0(VALU_DEP_1)
	v_add_co_ci_u32_e64 v27, s2, s7, v4, s2
	global_store_b16 v[26:27], v28, off
	s_or_b32 exec_lo, exec_lo, s3
	s_and_saveexec_b32 s2, s1
	s_cbranch_execz .LBB2_18
.LBB2_22:                               ;   in Loop: Header=BB2_9 Depth=1
	s_waitcnt vmcnt(0)
	v_cvt_f32_f16_e32 v26, v25
	s_delay_alu instid0(VALU_DEP_1) | instskip(SKIP_2) | instid1(VALU_DEP_3)
	v_add_f32_e64 v27, |v26|, 2.0
	v_add_f32_e64 v28, |v26|, -2.0
	v_add_f32_e64 v33, |v26|, |v26|
	v_rcp_f32_e32 v27, v27
	s_delay_alu instid0(VALU_DEP_1) | instskip(SKIP_2) | instid1(VALU_DEP_1)
	v_add_f32_e32 v34, 1.0, v33
	s_waitcnt_depctr 0xfff
	v_mul_f32_e32 v28, v28, v27
	v_add_f32_e32 v29, 1.0, v28
	s_delay_alu instid0(VALU_DEP_1) | instskip(NEXT) | instid1(VALU_DEP_1)
	v_fma_mix_f32 v29, v29, s12, |v25| op_sel_hi:[0,0,1]
	v_fma_mix_f32 v29, -v28, |v25|, v29 op_sel_hi:[0,1,0]
	s_delay_alu instid0(VALU_DEP_1) | instskip(SKIP_1) | instid1(VALU_DEP_2)
	v_fmac_f32_e32 v28, v27, v29
	v_mul_f32_e64 v29, -v26, v26
	v_fmaak_f32 v27, s13, v28, 0xbaa2d753
	s_delay_alu instid0(VALU_DEP_2) | instskip(SKIP_1) | instid1(VALU_DEP_2)
	v_mul_f32_e32 v30, 0x3fb8aa3b, v29
	v_cmp_ngt_f32_e64 s1, 0xc2ce8ed0, v29
	v_rndne_f32_e32 v31, v30
	v_fma_f32 v32, 0x3fb8aa3b, v29, -v30
	s_delay_alu instid0(VALU_DEP_2) | instskip(NEXT) | instid1(VALU_DEP_2)
	v_sub_f32_e32 v30, v30, v31
	v_fmac_f32_e32 v32, 0x32a5705f, v29
	v_fmaak_f32 v27, v28, v27, 0x3aad2fb4
	v_cvt_i32_f32_e32 v31, v31
	s_delay_alu instid0(VALU_DEP_2) | instskip(SKIP_1) | instid1(VALU_DEP_1)
	v_dual_add_f32 v30, v30, v32 :: v_dual_fmaak_f32 v27, v28, v27, 0x3c0da267
	v_rcp_f32_e32 v32, v34
	v_exp_f32_e32 v30, v30
	s_delay_alu instid0(VALU_DEP_1) | instskip(NEXT) | instid1(VALU_DEP_1)
	v_fmaak_f32 v27, v28, v27, 0xbc0415b1
	v_fmaak_f32 v27, v28, v27, 0xbd5e0a18
	s_delay_alu instid0(VALU_DEP_1) | instskip(NEXT) | instid1(VALU_DEP_1)
	v_fmaak_f32 v27, v28, v27, 0x3e27fe2a
	v_fmaak_f32 v27, v28, v27, 0xbe2a03fd
	;; [unrolled: 3-line block ×3, first 2 shown]
	s_delay_alu instid0(TRANS32_DEP_1)
	v_ldexp_f32 v28, v30, v31
	s_delay_alu instid0(TRANS32_DEP_2) | instid1(VALU_DEP_2)
	v_fma_f32 v30, v27, v32, v32
	s_delay_alu instid0(VALU_DEP_2) | instskip(SKIP_1) | instid1(VALU_DEP_3)
	v_cndmask_b32_e64 v28, 0, v28, s1
	v_cmp_nlt_f32_e64 s1, 0x42b17218, v29
	v_fma_f32 v31, -v30, v33, 1.0
	v_sub_f32_e32 v27, v27, v30
	v_fma_mix_f32 v33, -v25, v25, -v29 op_sel_hi:[1,1,0]
	s_delay_alu instid0(VALU_DEP_4) | instskip(SKIP_1) | instid1(VALU_DEP_2)
	v_cndmask_b32_e64 v28, 0x7f800000, v28, s1
	v_cmp_nlt_f32_e64 s1, 0x4120ddfc, |v26|
	v_dual_add_f32 v27, v31, v27 :: v_dual_fmac_f32 v28, v28, v33
	s_delay_alu instid0(VALU_DEP_1) | instskip(NEXT) | instid1(VALU_DEP_1)
	v_fmac_f32_e32 v30, v32, v27
	v_mul_f32_e32 v27, v28, v30
	s_delay_alu instid0(VALU_DEP_1) | instskip(SKIP_1) | instid1(VALU_DEP_2)
	v_cndmask_b32_e64 v26, 0, v27, s1
	v_cmp_gt_f16_e64 s1, 0, v25
	v_sub_f32_e32 v27, 2.0, v26
	s_delay_alu instid0(VALU_DEP_1) | instskip(NEXT) | instid1(VALU_DEP_1)
	v_cndmask_b32_e64 v25, v26, v27, s1
	v_cvt_f16_f32_e32 v27, v25
	v_add_co_u32 v25, s1, v21, s6
	s_delay_alu instid0(VALU_DEP_1)
	v_add_co_ci_u32_e64 v26, s1, s7, v22, s1
	global_store_b16 v[25:26], v27, off
	s_or_b32 exec_lo, exec_lo, s2
	s_and_saveexec_b32 s1, s0
	s_cbranch_execz .LBB2_19
.LBB2_23:                               ;   in Loop: Header=BB2_9 Depth=1
	s_waitcnt vmcnt(0)
	v_cvt_f32_f16_e32 v25, v24
	s_delay_alu instid0(VALU_DEP_1) | instskip(SKIP_2) | instid1(VALU_DEP_3)
	v_add_f32_e64 v26, |v25|, 2.0
	v_add_f32_e64 v27, |v25|, -2.0
	v_add_f32_e64 v32, |v25|, |v25|
	v_rcp_f32_e32 v26, v26
	s_delay_alu instid0(VALU_DEP_1) | instskip(SKIP_2) | instid1(VALU_DEP_1)
	v_add_f32_e32 v33, 1.0, v32
	s_waitcnt_depctr 0xfff
	v_mul_f32_e32 v27, v27, v26
	v_add_f32_e32 v28, 1.0, v27
	s_delay_alu instid0(VALU_DEP_1) | instskip(NEXT) | instid1(VALU_DEP_1)
	v_fma_mix_f32 v28, v28, s12, |v24| op_sel_hi:[0,0,1]
	v_fma_mix_f32 v28, -v27, |v24|, v28 op_sel_hi:[0,1,0]
	s_delay_alu instid0(VALU_DEP_1) | instskip(SKIP_1) | instid1(VALU_DEP_2)
	v_fmac_f32_e32 v27, v26, v28
	v_mul_f32_e64 v28, -v25, v25
	v_fmaak_f32 v26, s13, v27, 0xbaa2d753
	s_delay_alu instid0(VALU_DEP_2) | instskip(SKIP_1) | instid1(VALU_DEP_2)
	v_mul_f32_e32 v29, 0x3fb8aa3b, v28
	v_cmp_ngt_f32_e64 s0, 0xc2ce8ed0, v28
	v_rndne_f32_e32 v30, v29
	v_fma_f32 v31, 0x3fb8aa3b, v28, -v29
	s_delay_alu instid0(VALU_DEP_2) | instskip(NEXT) | instid1(VALU_DEP_2)
	v_sub_f32_e32 v29, v29, v30
	v_fmac_f32_e32 v31, 0x32a5705f, v28
	v_fmaak_f32 v26, v27, v26, 0x3aad2fb4
	v_cvt_i32_f32_e32 v30, v30
	s_delay_alu instid0(VALU_DEP_2) | instskip(SKIP_1) | instid1(VALU_DEP_1)
	v_dual_add_f32 v29, v29, v31 :: v_dual_fmaak_f32 v26, v27, v26, 0x3c0da267
	v_rcp_f32_e32 v31, v33
	v_exp_f32_e32 v29, v29
	s_delay_alu instid0(VALU_DEP_1) | instskip(NEXT) | instid1(VALU_DEP_1)
	v_fmaak_f32 v26, v27, v26, 0xbc0415b1
	v_fmaak_f32 v26, v27, v26, 0xbd5e0a18
	s_delay_alu instid0(VALU_DEP_1) | instskip(NEXT) | instid1(VALU_DEP_1)
	v_fmaak_f32 v26, v27, v26, 0x3e27fe2a
	v_fmaak_f32 v26, v27, v26, 0xbe2a03fd
	;; [unrolled: 3-line block ×3, first 2 shown]
	s_delay_alu instid0(TRANS32_DEP_1)
	v_ldexp_f32 v27, v29, v30
	s_delay_alu instid0(TRANS32_DEP_2) | instid1(VALU_DEP_2)
	v_fma_f32 v29, v26, v31, v31
	s_delay_alu instid0(VALU_DEP_2) | instskip(SKIP_1) | instid1(VALU_DEP_3)
	v_cndmask_b32_e64 v27, 0, v27, s0
	v_cmp_nlt_f32_e64 s0, 0x42b17218, v28
	v_fma_f32 v30, -v29, v32, 1.0
	v_sub_f32_e32 v26, v26, v29
	v_fma_mix_f32 v32, -v24, v24, -v28 op_sel_hi:[1,1,0]
	s_delay_alu instid0(VALU_DEP_4) | instskip(SKIP_1) | instid1(VALU_DEP_2)
	v_cndmask_b32_e64 v27, 0x7f800000, v27, s0
	v_cmp_nlt_f32_e64 s0, 0x4120ddfc, |v25|
	v_dual_add_f32 v26, v30, v26 :: v_dual_fmac_f32 v27, v27, v32
	s_delay_alu instid0(VALU_DEP_1) | instskip(NEXT) | instid1(VALU_DEP_1)
	v_fmac_f32_e32 v29, v31, v26
	v_mul_f32_e32 v26, v27, v29
	s_delay_alu instid0(VALU_DEP_1) | instskip(SKIP_1) | instid1(VALU_DEP_2)
	v_cndmask_b32_e64 v25, 0, v26, s0
	v_cmp_gt_f16_e64 s0, 0, v24
	v_sub_f32_e32 v26, 2.0, v25
	s_delay_alu instid0(VALU_DEP_1) | instskip(NEXT) | instid1(VALU_DEP_1)
	v_cndmask_b32_e64 v24, v25, v26, s0
	v_cvt_f16_f32_e32 v26, v24
	v_add_co_u32 v24, s0, v14, s6
	s_delay_alu instid0(VALU_DEP_1)
	v_add_co_ci_u32_e64 v25, s0, s7, v15, s0
	global_store_b16 v[24:25], v26, off
	s_or_b32 exec_lo, exec_lo, s1
	s_and_saveexec_b32 s0, vcc_lo
	s_cbranch_execz .LBB2_8
.LBB2_24:                               ;   in Loop: Header=BB2_9 Depth=1
	s_waitcnt vmcnt(0)
	v_cvt_f32_f16_e32 v24, v23
	s_delay_alu instid0(VALU_DEP_1) | instskip(SKIP_2) | instid1(VALU_DEP_3)
	v_add_f32_e64 v25, |v24|, 2.0
	v_add_f32_e64 v26, |v24|, -2.0
	v_add_f32_e64 v31, |v24|, |v24|
	v_rcp_f32_e32 v25, v25
	s_delay_alu instid0(VALU_DEP_1) | instskip(SKIP_2) | instid1(VALU_DEP_1)
	v_add_f32_e32 v32, 1.0, v31
	s_waitcnt_depctr 0xfff
	v_mul_f32_e32 v26, v26, v25
	v_add_f32_e32 v27, 1.0, v26
	s_delay_alu instid0(VALU_DEP_1) | instskip(NEXT) | instid1(VALU_DEP_1)
	v_fma_mix_f32 v27, v27, s12, |v23| op_sel_hi:[0,0,1]
	v_fma_mix_f32 v27, -v26, |v23|, v27 op_sel_hi:[0,1,0]
	s_delay_alu instid0(VALU_DEP_1) | instskip(SKIP_1) | instid1(VALU_DEP_2)
	v_fmac_f32_e32 v26, v25, v27
	v_mul_f32_e64 v27, -v24, v24
	v_fmaak_f32 v25, s13, v26, 0xbaa2d753
	s_delay_alu instid0(VALU_DEP_2) | instskip(SKIP_1) | instid1(VALU_DEP_2)
	v_mul_f32_e32 v28, 0x3fb8aa3b, v27
	v_cmp_ngt_f32_e32 vcc_lo, 0xc2ce8ed0, v27
	v_rndne_f32_e32 v29, v28
	v_fma_f32 v30, 0x3fb8aa3b, v27, -v28
	s_delay_alu instid0(VALU_DEP_2) | instskip(NEXT) | instid1(VALU_DEP_2)
	v_sub_f32_e32 v28, v28, v29
	v_fmac_f32_e32 v30, 0x32a5705f, v27
	v_fmaak_f32 v25, v26, v25, 0x3aad2fb4
	v_cvt_i32_f32_e32 v29, v29
	s_delay_alu instid0(VALU_DEP_2) | instskip(SKIP_1) | instid1(VALU_DEP_1)
	v_dual_add_f32 v28, v28, v30 :: v_dual_fmaak_f32 v25, v26, v25, 0x3c0da267
	v_rcp_f32_e32 v30, v32
	v_exp_f32_e32 v28, v28
	s_delay_alu instid0(VALU_DEP_1) | instskip(NEXT) | instid1(VALU_DEP_1)
	v_fmaak_f32 v25, v26, v25, 0xbc0415b1
	v_fmaak_f32 v25, v26, v25, 0xbd5e0a18
	s_delay_alu instid0(VALU_DEP_1) | instskip(NEXT) | instid1(VALU_DEP_1)
	v_fmaak_f32 v25, v26, v25, 0x3e27fe2a
	v_fmaak_f32 v25, v26, v25, 0xbe2a03fd
	s_delay_alu instid0(VALU_DEP_1) | instskip(NEXT) | instid1(VALU_DEP_1)
	v_fmaak_f32 v25, v26, v25, 0xbdbdfb0b
	v_fmaak_f32 v25, v26, v25, 0x3e8dd01c
	s_delay_alu instid0(TRANS32_DEP_1)
	v_ldexp_f32 v26, v28, v29
	s_delay_alu instid0(TRANS32_DEP_2) | instid1(VALU_DEP_2)
	v_fma_f32 v28, v25, v30, v30
	s_delay_alu instid0(VALU_DEP_2) | instskip(SKIP_1) | instid1(VALU_DEP_3)
	v_cndmask_b32_e32 v26, 0, v26, vcc_lo
	v_cmp_nlt_f32_e32 vcc_lo, 0x42b17218, v27
	v_fma_f32 v29, -v28, v31, 1.0
	v_sub_f32_e32 v25, v25, v28
	v_fma_mix_f32 v31, -v23, v23, -v27 op_sel_hi:[1,1,0]
	v_cndmask_b32_e32 v26, 0x7f800000, v26, vcc_lo
	v_cmp_nlt_f32_e64 vcc_lo, 0x4120ddfc, |v24|
	s_delay_alu instid0(VALU_DEP_2) | instskip(NEXT) | instid1(VALU_DEP_1)
	v_dual_add_f32 v25, v29, v25 :: v_dual_fmac_f32 v26, v26, v31
	v_fmac_f32_e32 v28, v30, v25
	s_delay_alu instid0(VALU_DEP_1) | instskip(NEXT) | instid1(VALU_DEP_1)
	v_mul_f32_e32 v25, v26, v28
	v_cndmask_b32_e32 v24, 0, v25, vcc_lo
	v_cmp_gt_f16_e32 vcc_lo, 0, v23
	s_delay_alu instid0(VALU_DEP_2) | instskip(NEXT) | instid1(VALU_DEP_1)
	v_sub_f32_e32 v25, 2.0, v24
	v_cndmask_b32_e32 v23, v24, v25, vcc_lo
	s_delay_alu instid0(VALU_DEP_1)
	v_cvt_f16_f32_e32 v25, v23
	v_add_co_u32 v23, vcc_lo, v7, s6
	v_add_co_ci_u32_e32 v24, vcc_lo, s7, v8, vcc_lo
	global_store_b16 v[23:24], v25, off
	s_branch .LBB2_8
.LBB2_25:
	s_nop 0
	s_sendmsg sendmsg(MSG_DEALLOC_VGPRS)
	s_endpgm
	.section	.rodata,"a",@progbits
	.p2align	6, 0x0
	.amdhsa_kernel _ZN2at6native12_GLOBAL__N_125multi_tensor_apply_kernelINS1_18TensorListMetadataILi2EEENS1_14UnaryOpFunctorIN3c104HalfELi2ELi1ELi1EEEJNS0_4ErfcIfEEEEEvT_T0_DpT1_
		.amdhsa_group_segment_fixed_size 0
		.amdhsa_private_segment_fixed_size 0
		.amdhsa_kernarg_size 3408
		.amdhsa_user_sgpr_count 15
		.amdhsa_user_sgpr_dispatch_ptr 0
		.amdhsa_user_sgpr_queue_ptr 0
		.amdhsa_user_sgpr_kernarg_segment_ptr 1
		.amdhsa_user_sgpr_dispatch_id 0
		.amdhsa_user_sgpr_private_segment_size 0
		.amdhsa_wavefront_size32 1
		.amdhsa_uses_dynamic_stack 0
		.amdhsa_enable_private_segment 0
		.amdhsa_system_sgpr_workgroup_id_x 1
		.amdhsa_system_sgpr_workgroup_id_y 0
		.amdhsa_system_sgpr_workgroup_id_z 0
		.amdhsa_system_sgpr_workgroup_info 0
		.amdhsa_system_vgpr_workitem_id 0
		.amdhsa_next_free_vgpr 50
		.amdhsa_next_free_sgpr 24
		.amdhsa_reserve_vcc 1
		.amdhsa_float_round_mode_32 0
		.amdhsa_float_round_mode_16_64 0
		.amdhsa_float_denorm_mode_32 3
		.amdhsa_float_denorm_mode_16_64 3
		.amdhsa_dx10_clamp 1
		.amdhsa_ieee_mode 1
		.amdhsa_fp16_overflow 0
		.amdhsa_workgroup_processor_mode 1
		.amdhsa_memory_ordered 1
		.amdhsa_forward_progress 0
		.amdhsa_shared_vgpr_count 0
		.amdhsa_exception_fp_ieee_invalid_op 0
		.amdhsa_exception_fp_denorm_src 0
		.amdhsa_exception_fp_ieee_div_zero 0
		.amdhsa_exception_fp_ieee_overflow 0
		.amdhsa_exception_fp_ieee_underflow 0
		.amdhsa_exception_fp_ieee_inexact 0
		.amdhsa_exception_int_div_zero 0
	.end_amdhsa_kernel
	.section	.text._ZN2at6native12_GLOBAL__N_125multi_tensor_apply_kernelINS1_18TensorListMetadataILi2EEENS1_14UnaryOpFunctorIN3c104HalfELi2ELi1ELi1EEEJNS0_4ErfcIfEEEEEvT_T0_DpT1_,"axG",@progbits,_ZN2at6native12_GLOBAL__N_125multi_tensor_apply_kernelINS1_18TensorListMetadataILi2EEENS1_14UnaryOpFunctorIN3c104HalfELi2ELi1ELi1EEEJNS0_4ErfcIfEEEEEvT_T0_DpT1_,comdat
.Lfunc_end2:
	.size	_ZN2at6native12_GLOBAL__N_125multi_tensor_apply_kernelINS1_18TensorListMetadataILi2EEENS1_14UnaryOpFunctorIN3c104HalfELi2ELi1ELi1EEEJNS0_4ErfcIfEEEEEvT_T0_DpT1_, .Lfunc_end2-_ZN2at6native12_GLOBAL__N_125multi_tensor_apply_kernelINS1_18TensorListMetadataILi2EEENS1_14UnaryOpFunctorIN3c104HalfELi2ELi1ELi1EEEJNS0_4ErfcIfEEEEEvT_T0_DpT1_
                                        ; -- End function
	.section	.AMDGPU.csdata,"",@progbits
; Kernel info:
; codeLenInByte = 4400
; NumSgprs: 26
; NumVgprs: 50
; ScratchSize: 0
; MemoryBound: 0
; FloatMode: 240
; IeeeMode: 1
; LDSByteSize: 0 bytes/workgroup (compile time only)
; SGPRBlocks: 3
; VGPRBlocks: 6
; NumSGPRsForWavesPerEU: 26
; NumVGPRsForWavesPerEU: 50
; Occupancy: 16
; WaveLimiterHint : 0
; COMPUTE_PGM_RSRC2:SCRATCH_EN: 0
; COMPUTE_PGM_RSRC2:USER_SGPR: 15
; COMPUTE_PGM_RSRC2:TRAP_HANDLER: 0
; COMPUTE_PGM_RSRC2:TGID_X_EN: 1
; COMPUTE_PGM_RSRC2:TGID_Y_EN: 0
; COMPUTE_PGM_RSRC2:TGID_Z_EN: 0
; COMPUTE_PGM_RSRC2:TIDIG_COMP_CNT: 0
	.section	.text._ZN2at6native12_GLOBAL__N_125multi_tensor_apply_kernelINS1_18TensorListMetadataILi2EEENS1_14UnaryOpFunctorIN3c108BFloat16ELi2ELi1ELi1EEEJNS0_4ErfcIfEEEEEvT_T0_DpT1_,"axG",@progbits,_ZN2at6native12_GLOBAL__N_125multi_tensor_apply_kernelINS1_18TensorListMetadataILi2EEENS1_14UnaryOpFunctorIN3c108BFloat16ELi2ELi1ELi1EEEJNS0_4ErfcIfEEEEEvT_T0_DpT1_,comdat
	.globl	_ZN2at6native12_GLOBAL__N_125multi_tensor_apply_kernelINS1_18TensorListMetadataILi2EEENS1_14UnaryOpFunctorIN3c108BFloat16ELi2ELi1ELi1EEEJNS0_4ErfcIfEEEEEvT_T0_DpT1_ ; -- Begin function _ZN2at6native12_GLOBAL__N_125multi_tensor_apply_kernelINS1_18TensorListMetadataILi2EEENS1_14UnaryOpFunctorIN3c108BFloat16ELi2ELi1ELi1EEEJNS0_4ErfcIfEEEEEvT_T0_DpT1_
	.p2align	8
	.type	_ZN2at6native12_GLOBAL__N_125multi_tensor_apply_kernelINS1_18TensorListMetadataILi2EEENS1_14UnaryOpFunctorIN3c108BFloat16ELi2ELi1ELi1EEEJNS0_4ErfcIfEEEEEvT_T0_DpT1_,@function
_ZN2at6native12_GLOBAL__N_125multi_tensor_apply_kernelINS1_18TensorListMetadataILi2EEENS1_14UnaryOpFunctorIN3c108BFloat16ELi2ELi1ELi1EEEJNS0_4ErfcIfEEEEEvT_T0_DpT1_: ; @_ZN2at6native12_GLOBAL__N_125multi_tensor_apply_kernelINS1_18TensorListMetadataILi2EEENS1_14UnaryOpFunctorIN3c108BFloat16ELi2ELi1ELi1EEEJNS0_4ErfcIfEEEEEvT_T0_DpT1_
; %bb.0:
	v_mov_b32_e32 v1, s15
	s_add_u32 s2, s0, s15
	s_mul_hi_u32 s3, s15, 3
	s_mul_i32 s15, s15, 3
	s_addc_u32 s4, s1, 0
	global_load_u8 v1, v1, s[0:1] offset:1536
	s_add_u32 s2, s2, s15
	s_addc_u32 s3, s4, s3
	s_mov_b32 s7, 0
	s_load_b32 s2, s[2:3], 0x740
	s_mov_b32 s17, s7
	s_mov_b32 s11, s7
	s_waitcnt vmcnt(0)
	v_readfirstlane_b32 s5, v1
	s_delay_alu instid0(VALU_DEP_1)
	s_lshl_b32 s3, s5, 3
	s_clause 0x2
	s_load_b64 s[12:13], s[0:1], s3 offset:0x0
	s_load_b64 s[14:15], s[0:1], s3 offset:0x200
	;; [unrolled: 1-line block ×3, first 2 shown]
	s_waitcnt lgkmcnt(0)
	s_ashr_i32 s3, s2, 31
	s_delay_alu instid0(SALU_CYCLE_1) | instskip(SKIP_4) | instid1(SALU_CYCLE_1)
	s_lshl_b64 s[8:9], s[2:3], 17
	s_lshl_b64 s[2:3], s[2:3], 16
	s_and_b32 s6, s12, 7
	s_and_b32 s10, s14, 7
	;; [unrolled: 1-line block ×3, first 2 shown]
	s_or_b64 s[6:7], s[6:7], s[16:17]
	s_delay_alu instid0(SALU_CYCLE_1)
	s_or_b64 s[6:7], s[10:11], s[6:7]
	s_sub_u32 s10, s4, s2
	s_subb_u32 s11, s5, s3
	s_cmp_eq_u64 s[6:7], 0
	s_mov_b32 s2, -1
	s_cbranch_scc0 .LBB3_5
; %bb.1:
	v_dual_mov_b32 v2, 0 :: v_dual_lshlrev_b32 v1, 2, v0
	s_mov_b32 s16, exec_lo
	s_delay_alu instid0(VALU_DEP_1)
	v_cmpx_gt_i64_e64 s[10:11], v[1:2]
	s_cbranch_execz .LBB3_4
; %bb.2:
	s_load_b32 s2, s[0:1], 0xc5c
	v_lshlrev_b32_e32 v1, 3, v0
	s_mov_b32 s17, 0
	s_mov_b32 s20, 0xb9d6f8c4
	s_delay_alu instid0(VALU_DEP_1) | instskip(NEXT) | instid1(VALU_DEP_1)
	v_add_co_u32 v3, s3, s8, v1
	v_add_co_ci_u32_e64 v4, null, s9, 0, s3
	s_waitcnt lgkmcnt(0)
	s_and_b32 s2, s2, 0xffff
	s_delay_alu instid0(SALU_CYCLE_1)
	v_add_lshl_u32 v1, v0, s2, 2
	s_lshl_b32 s18, s2, 3
	s_lshl_b32 s19, s2, 2
.LBB3_3:                                ; =>This Inner Loop Header: Depth=1
	v_add_co_u32 v5, vcc_lo, s12, v3
	v_add_co_ci_u32_e32 v6, vcc_lo, s13, v4, vcc_lo
	v_add_co_u32 v7, vcc_lo, s14, v3
	v_add_co_ci_u32_e32 v8, vcc_lo, s15, v4, vcc_lo
	global_load_b64 v[5:6], v[5:6], off
	v_cmp_le_i64_e32 vcc_lo, s[10:11], v[1:2]
	v_cmp_lt_u64_e64 s2, 0xffff, v[1:2]
	v_add_co_u32 v3, s3, v3, s18
	s_delay_alu instid0(VALU_DEP_1) | instskip(SKIP_1) | instid1(VALU_DEP_4)
	v_add_co_ci_u32_e64 v4, s3, 0, v4, s3
	v_add_co_u32 v1, s3, v1, s19
	s_or_b32 s2, vcc_lo, s2
	v_add_co_ci_u32_e64 v2, s3, 0, v2, s3
	s_and_b32 s2, exec_lo, s2
	s_delay_alu instid0(SALU_CYCLE_1) | instskip(SKIP_2) | instid1(VALU_DEP_1)
	s_or_b32 s17, s2, s17
	s_waitcnt vmcnt(0)
	v_lshlrev_b32_e32 v9, 16, v5
	v_mul_f32_e64 v11, -v9, v9
	s_delay_alu instid0(VALU_DEP_1)
	v_mul_f32_e32 v24, 0x3fb8aa3b, v11
	v_add_f32_e64 v14, |v9|, |v9|
	v_and_b32_e32 v10, 0xffff0000, v5
	v_alignbit_b32 v5, v6, v5, 16
	v_add_f32_e64 v13, |v9|, 2.0
	v_add_f32_e64 v12, |v9|, -2.0
	v_add_f32_e32 v25, 1.0, v14
	v_mul_f32_e64 v15, -v10, v10
	v_add_f32_e64 v18, |v10|, |v10|
	v_and_b32_e32 v5, 0xffff0000, v5
	v_add_f32_e64 v17, |v10|, 2.0
	v_rcp_f32_e32 v13, v13
	v_fma_f32 v36, 0x3fb8aa3b, v11, -v24
	v_add_f32_e32 v28, 1.0, v18
	v_add_f32_e64 v32, |v5|, |v5|
	v_mul_f32_e32 v27, 0x3fb8aa3b, v15
	v_mul_f32_e64 v29, -v5, v5
	v_add_f32_e64 v31, |v5|, 2.0
	v_rcp_f32_e32 v17, v17
	v_add_f32_e32 v42, 1.0, v32
	v_rndne_f32_e32 v39, v27
	v_and_b32_e32 v6, 0xffff0000, v6
	v_fma_f32 v38, 0x3fb8aa3b, v15, -v27
	v_rcp_f32_e32 v31, v31
	v_add_f32_e64 v30, |v5|, -2.0
	v_sub_f32_e32 v27, v27, v39
	v_mul_f32_e64 v19, -v6, v6
	v_add_f32_e64 v22, |v6|, |v6|
	v_add_f32_e64 v21, |v6|, 2.0
	v_rndne_f32_e32 v37, v24
	v_add_f32_e64 v16, |v10|, -2.0
	s_delay_alu instid0(VALU_DEP_4) | instskip(NEXT) | instid1(VALU_DEP_4)
	v_dual_mul_f32 v34, 0x3fb8aa3b, v19 :: v_dual_add_f32 v35, 1.0, v22
	v_rcp_f32_e32 v21, v21
	v_add_f32_e64 v20, |v6|, -2.0
	v_mul_f32_e32 v30, v30, v31
	s_delay_alu instid0(VALU_DEP_3)
	v_rndne_f32_e32 v44, v34
	v_mul_f32_e32 v41, 0x3fb8aa3b, v29
	v_fma_f32 v43, 0x3fb8aa3b, v19, -v34
	v_sub_f32_e32 v24, v24, v37
	v_cvt_i32_f32_e32 v39, v39
	v_sub_f32_e32 v34, v34, v44
	v_fma_f32 v45, 0x3fb8aa3b, v29, -v41
	v_fmac_f32_e32 v43, 0x32a5705f, v19
	v_rndne_f32_e32 v46, v41
	v_mul_f32_e32 v12, v12, v13
	s_delay_alu instid0(VALU_DEP_4) | instskip(NEXT) | instid1(VALU_DEP_3)
	v_dual_fmac_f32 v38, 0x32a5705f, v15 :: v_dual_fmac_f32 v45, 0x32a5705f, v29
	v_dual_fmac_f32 v36, 0x32a5705f, v11 :: v_dual_sub_f32 v41, v41, v46
	s_delay_alu instid0(VALU_DEP_2) | instskip(SKIP_1) | instid1(VALU_DEP_3)
	v_dual_mul_f32 v20, v20, v21 :: v_dual_add_f32 v27, v27, v38
	v_add_f32_e32 v34, v34, v43
	v_dual_add_f32 v24, v24, v36 :: v_dual_add_f32 v41, v41, v45
	v_dual_add_f32 v45, 1.0, v30 :: v_dual_mul_f32 v16, v16, v17
	s_delay_alu instid0(VALU_DEP_4) | instskip(SKIP_1) | instid1(VALU_DEP_3)
	v_add_f32_e32 v43, 1.0, v20
	v_exp_f32_e32 v27, v27
	v_exp_f32_e32 v24, v24
	;; [unrolled: 1-line block ×3, first 2 shown]
	v_add_f32_e32 v38, 1.0, v16
	v_fma_f32 v43, v43, -2.0, |v6|
	v_cvt_i32_f32_e32 v37, v37
	v_cvt_i32_f32_e32 v44, v44
	v_fma_f32 v45, v45, -2.0, |v5|
	v_fma_f32 v38, v38, -2.0, |v10|
	v_fma_f32 v43, -v20, |v6|, v43
	v_cmp_ngt_f32_e64 s4, 0xc2ce8ed0, v15
	v_fma_f32 v26, -v10, v10, -v15
	v_exp_f32_e32 v41, v41
	v_fma_f32 v38, -v16, |v10|, v38
	v_fmac_f32_e32 v20, v21, v43
	v_ldexp_f32 v24, v24, v37
	v_cmp_ngt_f32_e64 s5, 0xc2ce8ed0, v19
	v_cmp_ngt_f32_e64 s6, 0xc2ce8ed0, v11
	v_fmac_f32_e32 v16, v17, v38
	v_add_f32_e32 v36, 1.0, v12
	v_fma_f32 v33, -v6, v6, -v19
	v_cvt_i32_f32_e32 v46, v46
	v_cndmask_b32_e64 v21, 0, v24, s6
	v_cmp_nlt_f32_e64 s7, 0x42b17218, v11
	v_fma_f32 v36, v36, -2.0, |v9|
	v_fma_f32 v23, -v9, v9, -v11
	v_cmp_ngt_f32_e64 s6, 0xc2ce8ed0, v29
	v_fma_f32 v40, -v5, v5, -v29
	v_cndmask_b32_e64 v11, 0x7f800000, v21, s7
	v_fma_f32 v36, -v12, |v9|, v36
	v_rcp_f32_e32 v42, v42
	v_rcp_f32_e32 v25, v25
	v_rcp_f32_e32 v35, v35
	v_rcp_f32_e32 v28, v28
	v_fmac_f32_e32 v12, v13, v36
	v_ldexp_f32 v13, v27, v39
	v_ldexp_f32 v27, v34, v44
	;; [unrolled: 1-line block ×3, first 2 shown]
	v_fmac_f32_e32 v11, v11, v23
	s_delay_alu instid0(VALU_DEP_4) | instskip(SKIP_3) | instid1(VALU_DEP_3)
	v_cndmask_b32_e64 v13, 0, v13, s4
	v_cmp_nlt_f32_e64 s4, 0x42b17218, v15
	v_fmaak_f32 v15, s20, v16, 0xbaa2d753
	v_fma_f32 v17, -v30, |v5|, v45
	v_cndmask_b32_e64 v13, 0x7f800000, v13, s4
	v_cmp_nlt_f32_e64 s4, 0x42b17218, v29
	s_delay_alu instid0(VALU_DEP_3)
	v_fmac_f32_e32 v30, v31, v17
	v_cndmask_b32_e64 v17, 0, v27, s5
	v_cmp_nlt_f32_e64 s5, 0x42b17218, v19
	v_fmac_f32_e32 v13, v13, v26
	v_fmaak_f32 v19, s20, v20, 0xbaa2d753
	v_fmaak_f32 v27, s20, v30, 0xbaa2d753
	s_delay_alu instid0(VALU_DEP_4) | instskip(SKIP_1) | instid1(VALU_DEP_4)
	v_cndmask_b32_e64 v17, 0x7f800000, v17, s5
	v_cmp_nlt_f32_e64 s5, 0x4120ddfc, |v6|
	v_fmaak_f32 v19, v20, v19, 0x3aad2fb4
	s_delay_alu instid0(VALU_DEP_3) | instskip(NEXT) | instid1(VALU_DEP_1)
	v_dual_fmaak_f32 v24, s20, v12, 0xbaa2d753 :: v_dual_fmac_f32 v17, v17, v33
	v_fmaak_f32 v21, v12, v24, 0x3aad2fb4
	v_cndmask_b32_e64 v24, 0, v34, s6
	v_fmaak_f32 v15, v16, v15, 0x3aad2fb4
	v_cmp_nlt_f32_e64 s6, 0x4120ddfc, |v9|
	s_delay_alu instid0(VALU_DEP_4) | instskip(NEXT) | instid1(VALU_DEP_4)
	v_fmaak_f32 v21, v12, v21, 0x3c0da267
	v_cndmask_b32_e64 v23, 0x7f800000, v24, s4
	v_fmaak_f32 v24, v30, v27, 0x3aad2fb4
	v_fmaak_f32 v15, v16, v15, 0x3c0da267
	;; [unrolled: 1-line block ×3, first 2 shown]
	v_cmp_nlt_f32_e64 s4, 0x4120ddfc, |v10|
	s_delay_alu instid0(VALU_DEP_4) | instskip(SKIP_1) | instid1(VALU_DEP_2)
	v_fmaak_f32 v24, v30, v24, 0x3c0da267
	v_fmaak_f32 v21, v12, v21, 0xbc0415b1
	v_dual_fmaak_f32 v19, v20, v19, 0xbc0415b1 :: v_dual_fmaak_f32 v24, v30, v24, 0xbc0415b1
	s_delay_alu instid0(VALU_DEP_2) | instskip(NEXT) | instid1(VALU_DEP_2)
	v_fmaak_f32 v21, v12, v21, 0xbd5e0a18
	v_dual_fmaak_f32 v19, v20, v19, 0xbd5e0a18 :: v_dual_fmaak_f32 v24, v30, v24, 0xbd5e0a18
	s_delay_alu instid0(VALU_DEP_1) | instskip(NEXT) | instid1(VALU_DEP_1)
	v_dual_fmaak_f32 v21, v12, v21, 0x3e27fe2a :: v_dual_fmaak_f32 v24, v30, v24, 0x3e27fe2a
	v_dual_fmaak_f32 v21, v12, v21, 0xbe2a03fd :: v_dual_fmaak_f32 v24, v30, v24, 0xbe2a03fd
	s_delay_alu instid0(VALU_DEP_1) | instskip(NEXT) | instid1(VALU_DEP_1)
	v_fmaak_f32 v21, v12, v21, 0xbdbdfb0b
	v_dual_fmac_f32 v23, v23, v40 :: v_dual_fmaak_f32 v12, v12, v21, 0x3e8dd01c
	v_fmaak_f32 v19, v20, v19, 0x3e27fe2a
	s_delay_alu instid0(VALU_DEP_1) | instskip(NEXT) | instid1(VALU_DEP_1)
	v_fmaak_f32 v19, v20, v19, 0xbe2a03fd
	v_fmaak_f32 v19, v20, v19, 0xbdbdfb0b
	s_delay_alu instid0(VALU_DEP_1) | instskip(SKIP_1) | instid1(VALU_DEP_1)
	v_fmaak_f32 v19, v20, v19, 0x3e8dd01c
	v_fma_f32 v20, v12, v25, v25
	v_fma_f32 v14, -v20, v14, 1.0
	v_sub_f32_e32 v12, v12, v20
	s_delay_alu instid0(VALU_DEP_1) | instskip(NEXT) | instid1(VALU_DEP_1)
	v_dual_add_f32 v12, v14, v12 :: v_dual_fmaak_f32 v15, v16, v15, 0xbc0415b1
	v_dual_fmac_f32 v20, v25, v12 :: v_dual_fmaak_f32 v15, v16, v15, 0xbd5e0a18
	s_delay_alu instid0(VALU_DEP_1) | instskip(NEXT) | instid1(VALU_DEP_2)
	v_mul_f32_e32 v11, v11, v20
	v_fmaak_f32 v15, v16, v15, 0x3e27fe2a
	s_delay_alu instid0(VALU_DEP_2) | instskip(NEXT) | instid1(VALU_DEP_2)
	v_cndmask_b32_e64 v11, 0, v11, s6
	v_fmaak_f32 v15, v16, v15, 0xbe2a03fd
	v_cmp_gt_f32_e64 s6, 0, v9
	s_delay_alu instid0(VALU_DEP_2) | instskip(NEXT) | instid1(VALU_DEP_1)
	v_fmaak_f32 v15, v16, v15, 0xbdbdfb0b
	v_fmaak_f32 v15, v16, v15, 0x3e8dd01c
	;; [unrolled: 1-line block ×3, first 2 shown]
	v_fma_f32 v24, v19, v35, v35
	s_delay_alu instid0(VALU_DEP_2) | instskip(NEXT) | instid1(VALU_DEP_4)
	v_fmaak_f32 v16, v30, v16, 0x3e8dd01c
	v_fma_f32 v21, v15, v28, v28
	s_delay_alu instid0(VALU_DEP_3) | instskip(NEXT) | instid1(VALU_DEP_3)
	v_fma_f32 v22, -v24, v22, 1.0
	v_fma_f32 v26, v16, v42, v42
	s_delay_alu instid0(VALU_DEP_3) | instskip(SKIP_1) | instid1(VALU_DEP_3)
	v_fma_f32 v18, -v21, v18, 1.0
	v_sub_f32_e32 v15, v15, v21
	v_dual_sub_f32 v19, v19, v24 :: v_dual_sub_f32 v16, v16, v26
	s_delay_alu instid0(VALU_DEP_2) | instskip(SKIP_1) | instid1(VALU_DEP_2)
	v_add_f32_e32 v14, v18, v15
	v_fma_f32 v15, -v26, v32, 1.0
	v_dual_add_f32 v18, v22, v19 :: v_dual_fmac_f32 v21, v28, v14
	s_delay_alu instid0(VALU_DEP_2) | instskip(NEXT) | instid1(VALU_DEP_2)
	v_add_f32_e32 v12, v15, v16
	v_dual_fmac_f32 v24, v35, v18 :: v_dual_sub_f32 v15, 2.0, v11
	s_delay_alu instid0(VALU_DEP_2) | instskip(NEXT) | instid1(VALU_DEP_2)
	v_dual_mul_f32 v13, v13, v21 :: v_dual_fmac_f32 v26, v42, v12
	v_mul_f32_e32 v12, v17, v24
	s_delay_alu instid0(VALU_DEP_2) | instskip(NEXT) | instid1(VALU_DEP_3)
	v_cndmask_b32_e64 v13, 0, v13, s4
	v_mul_f32_e32 v14, v23, v26
	s_delay_alu instid0(VALU_DEP_3) | instskip(SKIP_3) | instid1(VALU_DEP_3)
	v_cndmask_b32_e64 v12, 0, v12, s5
	v_cmp_nlt_f32_e64 s4, 0x4120ddfc, |v5|
	v_cmp_gt_f32_e64 s5, 0, v10
	v_sub_f32_e32 v16, 2.0, v13
	v_cndmask_b32_e64 v10, 0, v14, s4
	v_sub_f32_e32 v14, 2.0, v12
	v_cmp_gt_f32_e64 s4, 0, v6
	v_cndmask_b32_e64 v6, v11, v15, s6
	v_cndmask_b32_e64 v11, v13, v16, s5
	v_sub_f32_e32 v9, 2.0, v10
	s_delay_alu instid0(VALU_DEP_4) | instskip(SKIP_3) | instid1(VALU_DEP_4)
	v_cndmask_b32_e64 v12, v12, v14, s4
	v_cmp_gt_f32_e64 s4, 0, v5
	v_bfe_u32 v5, v6, 16, 1
	v_cmp_o_f32_e64 s5, v11, v11
	v_bfe_u32 v13, v12, 16, 1
	s_delay_alu instid0(VALU_DEP_4)
	v_cndmask_b32_e64 v9, v10, v9, s4
	v_bfe_u32 v10, v11, 16, 1
	v_add3_u32 v5, v6, v5, 0x7fff
	v_cmp_o_f32_e64 s4, v6, v6
	v_add3_u32 v13, v12, v13, 0x7fff
	v_bfe_u32 v14, v9, 16, 1
	v_add3_u32 v10, v11, v10, 0x7fff
	v_lshrrev_b32_e32 v5, 16, v5
	s_delay_alu instid0(VALU_DEP_4) | instskip(NEXT) | instid1(VALU_DEP_4)
	v_and_b32_e32 v13, 0xffff0000, v13
	v_add3_u32 v14, v9, v14, 0x7fff
	s_delay_alu instid0(VALU_DEP_4) | instskip(NEXT) | instid1(VALU_DEP_4)
	v_and_b32_e32 v10, 0xffff0000, v10
	v_cndmask_b32_e64 v5, 0x7fc0, v5, s4
	v_cmp_o_f32_e64 s4, v12, v12
	s_delay_alu instid0(VALU_DEP_4) | instskip(NEXT) | instid1(VALU_DEP_4)
	v_lshrrev_b32_e32 v6, 16, v14
	v_cndmask_b32_e64 v10, 0x7fc00000, v10, s5
	s_delay_alu instid0(VALU_DEP_3) | instskip(SKIP_1) | instid1(VALU_DEP_3)
	v_cndmask_b32_e64 v11, 0x7fc00000, v13, s4
	v_cmp_o_f32_e64 s4, v9, v9
	v_or_b32_e32 v5, v5, v10
	s_delay_alu instid0(VALU_DEP_2) | instskip(NEXT) | instid1(VALU_DEP_2)
	v_cndmask_b32_e64 v6, 0x7fc0, v6, s4
	v_or3_b32 v5, v5, 0, 0
	s_delay_alu instid0(VALU_DEP_2)
	v_or3_b32 v6, 0, v6, v11
	global_store_b64 v[7:8], v[5:6], off
	s_and_not1_b32 exec_lo, exec_lo, s17
	s_cbranch_execnz .LBB3_3
.LBB3_4:
	s_or_b32 exec_lo, exec_lo, s16
	s_mov_b32 s2, 0
.LBB3_5:
	s_delay_alu instid0(SALU_CYCLE_1)
	s_and_not1_b32 vcc_lo, exec_lo, s2
	s_cbranch_vccnz .LBB3_25
; %bb.6:
	v_cmp_lt_i64_e64 s2, s[10:11], 1
	s_delay_alu instid0(VALU_DEP_1)
	s_and_b32 vcc_lo, exec_lo, s2
	s_cbranch_vccnz .LBB3_25
; %bb.7:
	s_load_b32 s0, s[0:1], 0xc5c
	v_dual_mov_b32 v10, 0 :: v_dual_lshlrev_b32 v9, 1, v0
	v_cmp_gt_u64_e64 s1, 0x10000, s[10:11]
	s_mov_b64 s[6:7], 0
	s_delay_alu instid0(VALU_DEP_2) | instskip(NEXT) | instid1(VALU_DEP_1)
	v_add_co_u32 v1, s2, s12, v9
	v_add_co_ci_u32_e64 v2, null, s13, 0, s2
	v_add_co_u32 v3, s2, s14, v9
	s_delay_alu instid0(VALU_DEP_1)
	v_add_co_ci_u32_e64 v4, null, s15, 0, s2
	s_waitcnt lgkmcnt(0)
	s_and_b32 s0, s0, 0xffff
	s_and_b32 s1, s1, exec_lo
	v_mad_u64_u32 v[7:8], null, s0, 6, v[9:10]
	s_cselect_b32 s5, s11, 0
	s_cselect_b32 s4, s10, 0x10000
	s_mul_i32 s2, s0, 3
	s_lshl_b32 s16, s0, 2
	s_lshl_b32 s1, s0, 1
	v_add_co_u32 v14, s3, s16, v9
	v_add_co_u32 v9, s2, s2, v0
	s_delay_alu instid0(VALU_DEP_1) | instskip(SKIP_3) | instid1(VALU_DEP_3)
	v_add_co_ci_u32_e64 v10, null, 0, 0, s2
	v_add_co_u32 v13, s2, v0, s0
	v_add_co_u32 v5, vcc_lo, s12, v7
	v_add_co_ci_u32_e32 v6, vcc_lo, s13, v8, vcc_lo
	v_lshlrev_b32_e32 v21, 1, v13
	v_add_co_u32 v7, vcc_lo, s14, v7
	v_add_co_ci_u32_e64 v15, null, 0, 0, s3
	v_add_co_ci_u32_e32 v8, vcc_lo, s15, v8, vcc_lo
	v_add_co_u32 v17, s1, s1, v0
	v_add_co_u32 v11, vcc_lo, s12, v14
	v_add_co_ci_u32_e64 v18, null, 0, 0, s1
	v_add_co_u32 v19, s1, s12, v21
	v_add_co_ci_u32_e32 v12, vcc_lo, s13, v15, vcc_lo
	v_add_co_u32 v14, vcc_lo, s14, v14
	v_add_co_ci_u32_e64 v20, null, s13, 0, s1
	v_add_co_u32 v21, s1, s14, v21
	v_add_co_ci_u32_e32 v15, vcc_lo, s15, v15, vcc_lo
	v_add_co_ci_u32_e64 v16, null, 0, 0, s2
	v_add_co_ci_u32_e64 v22, null, s15, 0, s1
	s_lshl_b32 s12, s0, 3
	s_mov_b32 s13, 0xb9d6f8c4
	s_branch .LBB3_9
.LBB3_8:                                ;   in Loop: Header=BB3_9 Depth=1
	s_or_b32 exec_lo, exec_lo, s0
	v_add_co_u32 v1, vcc_lo, v1, s12
	v_add_co_ci_u32_e32 v2, vcc_lo, 0, v2, vcc_lo
	v_add_co_u32 v3, vcc_lo, v3, s12
	v_add_co_ci_u32_e32 v4, vcc_lo, 0, v4, vcc_lo
	v_add_co_u32 v5, vcc_lo, v5, s12
	v_add_co_ci_u32_e32 v6, vcc_lo, 0, v6, vcc_lo
	v_add_co_u32 v7, vcc_lo, v7, s12
	v_add_co_ci_u32_e32 v8, vcc_lo, 0, v8, vcc_lo
	v_add_co_u32 v11, vcc_lo, v11, s12
	v_add_co_ci_u32_e32 v12, vcc_lo, 0, v12, vcc_lo
	s_add_u32 s6, s6, s16
	v_add_co_u32 v14, vcc_lo, v14, s12
	s_addc_u32 s7, s7, 0
	v_add_co_ci_u32_e32 v15, vcc_lo, 0, v15, vcc_lo
	v_cmp_ge_i64_e64 s0, s[6:7], s[10:11]
	v_cmp_lt_u64_e64 s1, 0xffff, s[6:7]
	v_add_co_u32 v19, vcc_lo, v19, s12
	v_add_co_ci_u32_e32 v20, vcc_lo, 0, v20, vcc_lo
	v_add_co_u32 v21, vcc_lo, v21, s12
	v_add_co_ci_u32_e32 v22, vcc_lo, 0, v22, vcc_lo
	s_or_b32 s0, s0, s1
	s_delay_alu instid0(SALU_CYCLE_1)
	s_and_b32 vcc_lo, exec_lo, s0
	s_cbranch_vccnz .LBB3_25
.LBB3_9:                                ; =>This Inner Loop Header: Depth=1
	s_waitcnt vmcnt(0)
	v_add_co_u32 v23, s0, v0, s6
	s_delay_alu instid0(VALU_DEP_1) | instskip(SKIP_1) | instid1(VALU_DEP_2)
	v_add_co_ci_u32_e64 v24, null, 0, s7, s0
	v_mov_b32_e32 v26, 0
	v_cmp_gt_u64_e64 s2, s[4:5], v[23:24]
	s_delay_alu instid0(VALU_DEP_1)
	s_and_saveexec_b32 s0, s2
	s_cbranch_execz .LBB3_11
; %bb.10:                               ;   in Loop: Header=BB3_9 Depth=1
	v_add_co_u32 v23, vcc_lo, v1, s8
	v_add_co_ci_u32_e32 v24, vcc_lo, s9, v2, vcc_lo
	global_load_u16 v26, v[23:24], off
.LBB3_11:                               ;   in Loop: Header=BB3_9 Depth=1
	s_or_b32 exec_lo, exec_lo, s0
	v_add_co_u32 v23, vcc_lo, v13, s6
	v_add_co_ci_u32_e32 v24, vcc_lo, s7, v16, vcc_lo
	v_mov_b32_e32 v25, 0
	s_delay_alu instid0(VALU_DEP_2) | instskip(NEXT) | instid1(VALU_DEP_1)
	v_cmp_gt_u64_e64 s1, s[4:5], v[23:24]
	s_and_saveexec_b32 s0, s1
	s_cbranch_execz .LBB3_13
; %bb.12:                               ;   in Loop: Header=BB3_9 Depth=1
	v_add_co_u32 v23, vcc_lo, v19, s8
	v_add_co_ci_u32_e32 v24, vcc_lo, s9, v20, vcc_lo
	global_load_u16 v25, v[23:24], off
.LBB3_13:                               ;   in Loop: Header=BB3_9 Depth=1
	s_or_b32 exec_lo, exec_lo, s0
	v_add_co_u32 v23, vcc_lo, v17, s6
	v_add_co_ci_u32_e32 v24, vcc_lo, s7, v18, vcc_lo
	s_delay_alu instid0(VALU_DEP_1) | instskip(SKIP_1) | instid1(VALU_DEP_2)
	v_cmp_gt_u64_e64 s0, s[4:5], v[23:24]
	v_dual_mov_b32 v23, 0 :: v_dual_mov_b32 v24, 0
	s_and_saveexec_b32 s3, s0
	s_cbranch_execz .LBB3_15
; %bb.14:                               ;   in Loop: Header=BB3_9 Depth=1
	v_add_co_u32 v27, vcc_lo, v11, s8
	v_add_co_ci_u32_e32 v28, vcc_lo, s9, v12, vcc_lo
	global_load_u16 v24, v[27:28], off
.LBB3_15:                               ;   in Loop: Header=BB3_9 Depth=1
	s_or_b32 exec_lo, exec_lo, s3
	v_add_co_u32 v27, vcc_lo, v9, s6
	v_add_co_ci_u32_e32 v28, vcc_lo, s7, v10, vcc_lo
	s_delay_alu instid0(VALU_DEP_1)
	v_cmp_gt_u64_e32 vcc_lo, s[4:5], v[27:28]
	s_and_saveexec_b32 s14, vcc_lo
	s_cbranch_execnz .LBB3_20
; %bb.16:                               ;   in Loop: Header=BB3_9 Depth=1
	s_or_b32 exec_lo, exec_lo, s14
	s_and_saveexec_b32 s3, s2
	s_cbranch_execnz .LBB3_21
.LBB3_17:                               ;   in Loop: Header=BB3_9 Depth=1
	s_or_b32 exec_lo, exec_lo, s3
	s_and_saveexec_b32 s2, s1
	s_cbranch_execnz .LBB3_22
.LBB3_18:                               ;   in Loop: Header=BB3_9 Depth=1
	s_or_b32 exec_lo, exec_lo, s2
	s_and_saveexec_b32 s1, s0
	s_cbranch_execnz .LBB3_23
.LBB3_19:                               ;   in Loop: Header=BB3_9 Depth=1
	s_or_b32 exec_lo, exec_lo, s1
	s_and_saveexec_b32 s0, vcc_lo
	s_cbranch_execz .LBB3_8
	s_branch .LBB3_24
.LBB3_20:                               ;   in Loop: Header=BB3_9 Depth=1
	v_add_co_u32 v27, s3, v5, s8
	s_delay_alu instid0(VALU_DEP_1)
	v_add_co_ci_u32_e64 v28, s3, s9, v6, s3
	global_load_u16 v23, v[27:28], off
	s_or_b32 exec_lo, exec_lo, s14
	s_and_saveexec_b32 s3, s2
	s_cbranch_execz .LBB3_17
.LBB3_21:                               ;   in Loop: Header=BB3_9 Depth=1
	s_waitcnt vmcnt(0)
	v_lshlrev_b32_e32 v26, 16, v26
	s_delay_alu instid0(VALU_DEP_1) | instskip(SKIP_1) | instid1(VALU_DEP_2)
	v_add_f32_e64 v27, |v26|, 2.0
	v_add_f32_e64 v28, |v26|, -2.0
	v_rcp_f32_e32 v27, v27
	s_waitcnt_depctr 0xfff
	v_mul_f32_e32 v28, v28, v27
	s_delay_alu instid0(VALU_DEP_1) | instskip(SKIP_1) | instid1(VALU_DEP_2)
	v_add_f32_e32 v29, 1.0, v28
	v_add_f32_e64 v33, |v26|, |v26|
	v_fma_f32 v29, v29, -2.0, |v26|
	s_delay_alu instid0(VALU_DEP_2) | instskip(NEXT) | instid1(VALU_DEP_2)
	v_add_f32_e32 v34, 1.0, v33
	v_fma_f32 v29, -v28, |v26|, v29
	s_delay_alu instid0(VALU_DEP_1) | instskip(SKIP_1) | instid1(VALU_DEP_1)
	v_fmac_f32_e32 v28, v27, v29
	v_mul_f32_e64 v29, -v26, v26
	v_mul_f32_e32 v30, 0x3fb8aa3b, v29
	v_cmp_ngt_f32_e64 s2, 0xc2ce8ed0, v29
	s_delay_alu instid0(VALU_DEP_2) | instskip(SKIP_2) | instid1(VALU_DEP_3)
	v_rndne_f32_e32 v31, v30
	v_fmaak_f32 v27, s13, v28, 0xbaa2d753
	v_fma_f32 v32, 0x3fb8aa3b, v29, -v30
	v_sub_f32_e32 v30, v30, v31
	s_delay_alu instid0(VALU_DEP_3) | instskip(NEXT) | instid1(VALU_DEP_3)
	v_fmaak_f32 v27, v28, v27, 0x3aad2fb4
	v_fmac_f32_e32 v32, 0x32a5705f, v29
	v_cvt_i32_f32_e32 v31, v31
	s_delay_alu instid0(VALU_DEP_2) | instskip(SKIP_1) | instid1(VALU_DEP_1)
	v_dual_fmaak_f32 v27, v28, v27, 0x3c0da267 :: v_dual_add_f32 v30, v30, v32
	v_rcp_f32_e32 v32, v34
	v_fmaak_f32 v27, v28, v27, 0xbc0415b1
	s_delay_alu instid0(VALU_DEP_2) | instskip(NEXT) | instid1(VALU_DEP_1)
	v_exp_f32_e32 v30, v30
	v_fmaak_f32 v27, v28, v27, 0xbd5e0a18
	s_delay_alu instid0(VALU_DEP_1) | instskip(NEXT) | instid1(VALU_DEP_1)
	v_fmaak_f32 v27, v28, v27, 0x3e27fe2a
	v_fmaak_f32 v27, v28, v27, 0xbe2a03fd
	s_delay_alu instid0(VALU_DEP_1) | instskip(NEXT) | instid1(VALU_DEP_1)
	v_fmaak_f32 v27, v28, v27, 0xbdbdfb0b
	v_fmaak_f32 v27, v28, v27, 0x3e8dd01c
	s_waitcnt_depctr 0xfff
	v_ldexp_f32 v28, v30, v31
	v_fma_f32 v30, v27, v32, v32
	s_delay_alu instid0(VALU_DEP_2) | instskip(SKIP_1) | instid1(VALU_DEP_3)
	v_cndmask_b32_e64 v28, 0, v28, s2
	v_cmp_nlt_f32_e64 s2, 0x42b17218, v29
	v_fma_f32 v31, -v30, v33, 1.0
	v_sub_f32_e32 v27, v27, v30
	v_fma_f32 v33, -v26, v26, -v29
	s_delay_alu instid0(VALU_DEP_4) | instskip(SKIP_1) | instid1(VALU_DEP_2)
	v_cndmask_b32_e64 v28, 0x7f800000, v28, s2
	v_cmp_nlt_f32_e64 s2, 0x4120ddfc, |v26|
	v_dual_add_f32 v27, v31, v27 :: v_dual_fmac_f32 v28, v28, v33
	s_delay_alu instid0(VALU_DEP_1) | instskip(NEXT) | instid1(VALU_DEP_1)
	v_fmac_f32_e32 v30, v32, v27
	v_mul_f32_e32 v27, v28, v30
	s_delay_alu instid0(VALU_DEP_1) | instskip(SKIP_1) | instid1(VALU_DEP_2)
	v_cndmask_b32_e64 v27, 0, v27, s2
	v_cmp_gt_f32_e64 s2, 0, v26
	v_sub_f32_e32 v28, 2.0, v27
	s_delay_alu instid0(VALU_DEP_1) | instskip(NEXT) | instid1(VALU_DEP_1)
	v_cndmask_b32_e64 v26, v27, v28, s2
	v_bfe_u32 v27, v26, 16, 1
	v_cmp_o_f32_e64 s2, v26, v26
	s_delay_alu instid0(VALU_DEP_2) | instskip(NEXT) | instid1(VALU_DEP_1)
	v_add3_u32 v27, v26, v27, 0x7fff
	v_lshrrev_b32_e32 v27, 16, v27
	s_delay_alu instid0(VALU_DEP_1) | instskip(SKIP_1) | instid1(VALU_DEP_1)
	v_cndmask_b32_e64 v28, 0x7fc0, v27, s2
	v_add_co_u32 v26, s2, v3, s8
	v_add_co_ci_u32_e64 v27, s2, s9, v4, s2
	global_store_b16 v[26:27], v28, off
	s_or_b32 exec_lo, exec_lo, s3
	s_and_saveexec_b32 s2, s1
	s_cbranch_execz .LBB3_18
.LBB3_22:                               ;   in Loop: Header=BB3_9 Depth=1
	s_waitcnt vmcnt(0)
	v_lshlrev_b32_e32 v25, 16, v25
	s_delay_alu instid0(VALU_DEP_1) | instskip(SKIP_1) | instid1(VALU_DEP_2)
	v_add_f32_e64 v26, |v25|, 2.0
	v_add_f32_e64 v27, |v25|, -2.0
	v_rcp_f32_e32 v26, v26
	s_waitcnt_depctr 0xfff
	v_mul_f32_e32 v27, v27, v26
	s_delay_alu instid0(VALU_DEP_1) | instskip(SKIP_1) | instid1(VALU_DEP_2)
	v_add_f32_e32 v28, 1.0, v27
	v_add_f32_e64 v32, |v25|, |v25|
	v_fma_f32 v28, v28, -2.0, |v25|
	s_delay_alu instid0(VALU_DEP_2) | instskip(NEXT) | instid1(VALU_DEP_2)
	v_add_f32_e32 v33, 1.0, v32
	v_fma_f32 v28, -v27, |v25|, v28
	s_delay_alu instid0(VALU_DEP_1) | instskip(SKIP_1) | instid1(VALU_DEP_1)
	v_fmac_f32_e32 v27, v26, v28
	v_mul_f32_e64 v28, -v25, v25
	v_mul_f32_e32 v29, 0x3fb8aa3b, v28
	v_cmp_ngt_f32_e64 s1, 0xc2ce8ed0, v28
	s_delay_alu instid0(VALU_DEP_2) | instskip(SKIP_2) | instid1(VALU_DEP_3)
	v_rndne_f32_e32 v30, v29
	v_fmaak_f32 v26, s13, v27, 0xbaa2d753
	v_fma_f32 v31, 0x3fb8aa3b, v28, -v29
	v_sub_f32_e32 v29, v29, v30
	s_delay_alu instid0(VALU_DEP_3) | instskip(NEXT) | instid1(VALU_DEP_3)
	v_fmaak_f32 v26, v27, v26, 0x3aad2fb4
	v_fmac_f32_e32 v31, 0x32a5705f, v28
	v_cvt_i32_f32_e32 v30, v30
	s_delay_alu instid0(VALU_DEP_2) | instskip(SKIP_1) | instid1(VALU_DEP_1)
	v_dual_fmaak_f32 v26, v27, v26, 0x3c0da267 :: v_dual_add_f32 v29, v29, v31
	v_rcp_f32_e32 v31, v33
	v_fmaak_f32 v26, v27, v26, 0xbc0415b1
	s_delay_alu instid0(VALU_DEP_2) | instskip(NEXT) | instid1(VALU_DEP_1)
	v_exp_f32_e32 v29, v29
	v_fmaak_f32 v26, v27, v26, 0xbd5e0a18
	s_delay_alu instid0(VALU_DEP_1) | instskip(NEXT) | instid1(VALU_DEP_1)
	v_fmaak_f32 v26, v27, v26, 0x3e27fe2a
	v_fmaak_f32 v26, v27, v26, 0xbe2a03fd
	s_delay_alu instid0(VALU_DEP_1) | instskip(NEXT) | instid1(VALU_DEP_1)
	v_fmaak_f32 v26, v27, v26, 0xbdbdfb0b
	v_fmaak_f32 v26, v27, v26, 0x3e8dd01c
	s_waitcnt_depctr 0xfff
	v_ldexp_f32 v27, v29, v30
	v_fma_f32 v29, v26, v31, v31
	s_delay_alu instid0(VALU_DEP_2) | instskip(SKIP_1) | instid1(VALU_DEP_3)
	v_cndmask_b32_e64 v27, 0, v27, s1
	v_cmp_nlt_f32_e64 s1, 0x42b17218, v28
	v_fma_f32 v30, -v29, v32, 1.0
	v_sub_f32_e32 v26, v26, v29
	v_fma_f32 v32, -v25, v25, -v28
	s_delay_alu instid0(VALU_DEP_4) | instskip(SKIP_1) | instid1(VALU_DEP_2)
	v_cndmask_b32_e64 v27, 0x7f800000, v27, s1
	v_cmp_nlt_f32_e64 s1, 0x4120ddfc, |v25|
	v_dual_add_f32 v26, v30, v26 :: v_dual_fmac_f32 v27, v27, v32
	s_delay_alu instid0(VALU_DEP_1) | instskip(NEXT) | instid1(VALU_DEP_1)
	v_fmac_f32_e32 v29, v31, v26
	v_mul_f32_e32 v26, v27, v29
	s_delay_alu instid0(VALU_DEP_1) | instskip(SKIP_1) | instid1(VALU_DEP_2)
	v_cndmask_b32_e64 v26, 0, v26, s1
	v_cmp_gt_f32_e64 s1, 0, v25
	v_sub_f32_e32 v27, 2.0, v26
	s_delay_alu instid0(VALU_DEP_1) | instskip(NEXT) | instid1(VALU_DEP_1)
	v_cndmask_b32_e64 v25, v26, v27, s1
	v_bfe_u32 v26, v25, 16, 1
	v_cmp_o_f32_e64 s1, v25, v25
	s_delay_alu instid0(VALU_DEP_2) | instskip(NEXT) | instid1(VALU_DEP_1)
	v_add3_u32 v26, v25, v26, 0x7fff
	v_lshrrev_b32_e32 v26, 16, v26
	s_delay_alu instid0(VALU_DEP_1) | instskip(SKIP_1) | instid1(VALU_DEP_1)
	v_cndmask_b32_e64 v27, 0x7fc0, v26, s1
	v_add_co_u32 v25, s1, v21, s8
	v_add_co_ci_u32_e64 v26, s1, s9, v22, s1
	global_store_b16 v[25:26], v27, off
	s_or_b32 exec_lo, exec_lo, s2
	s_and_saveexec_b32 s1, s0
	s_cbranch_execz .LBB3_19
.LBB3_23:                               ;   in Loop: Header=BB3_9 Depth=1
	s_waitcnt vmcnt(0)
	v_lshlrev_b32_e32 v24, 16, v24
	s_delay_alu instid0(VALU_DEP_1) | instskip(SKIP_1) | instid1(VALU_DEP_2)
	v_add_f32_e64 v25, |v24|, 2.0
	v_add_f32_e64 v26, |v24|, -2.0
	v_rcp_f32_e32 v25, v25
	s_waitcnt_depctr 0xfff
	v_mul_f32_e32 v26, v26, v25
	s_delay_alu instid0(VALU_DEP_1) | instskip(SKIP_1) | instid1(VALU_DEP_2)
	v_add_f32_e32 v27, 1.0, v26
	v_add_f32_e64 v31, |v24|, |v24|
	v_fma_f32 v27, v27, -2.0, |v24|
	s_delay_alu instid0(VALU_DEP_2) | instskip(NEXT) | instid1(VALU_DEP_2)
	v_add_f32_e32 v32, 1.0, v31
	v_fma_f32 v27, -v26, |v24|, v27
	s_delay_alu instid0(VALU_DEP_1) | instskip(SKIP_1) | instid1(VALU_DEP_1)
	v_fmac_f32_e32 v26, v25, v27
	v_mul_f32_e64 v27, -v24, v24
	v_mul_f32_e32 v28, 0x3fb8aa3b, v27
	v_cmp_ngt_f32_e64 s0, 0xc2ce8ed0, v27
	s_delay_alu instid0(VALU_DEP_2) | instskip(SKIP_2) | instid1(VALU_DEP_3)
	v_rndne_f32_e32 v29, v28
	v_fmaak_f32 v25, s13, v26, 0xbaa2d753
	v_fma_f32 v30, 0x3fb8aa3b, v27, -v28
	v_sub_f32_e32 v28, v28, v29
	s_delay_alu instid0(VALU_DEP_3) | instskip(NEXT) | instid1(VALU_DEP_3)
	v_fmaak_f32 v25, v26, v25, 0x3aad2fb4
	v_fmac_f32_e32 v30, 0x32a5705f, v27
	v_cvt_i32_f32_e32 v29, v29
	s_delay_alu instid0(VALU_DEP_2) | instskip(SKIP_1) | instid1(VALU_DEP_1)
	v_dual_fmaak_f32 v25, v26, v25, 0x3c0da267 :: v_dual_add_f32 v28, v28, v30
	v_rcp_f32_e32 v30, v32
	v_fmaak_f32 v25, v26, v25, 0xbc0415b1
	s_delay_alu instid0(VALU_DEP_2) | instskip(NEXT) | instid1(VALU_DEP_1)
	v_exp_f32_e32 v28, v28
	v_fmaak_f32 v25, v26, v25, 0xbd5e0a18
	s_delay_alu instid0(VALU_DEP_1) | instskip(NEXT) | instid1(VALU_DEP_1)
	v_fmaak_f32 v25, v26, v25, 0x3e27fe2a
	v_fmaak_f32 v25, v26, v25, 0xbe2a03fd
	s_delay_alu instid0(VALU_DEP_1) | instskip(NEXT) | instid1(VALU_DEP_1)
	v_fmaak_f32 v25, v26, v25, 0xbdbdfb0b
	v_fmaak_f32 v25, v26, v25, 0x3e8dd01c
	s_waitcnt_depctr 0xfff
	v_ldexp_f32 v26, v28, v29
	v_fma_f32 v28, v25, v30, v30
	s_delay_alu instid0(VALU_DEP_2) | instskip(SKIP_1) | instid1(VALU_DEP_3)
	v_cndmask_b32_e64 v26, 0, v26, s0
	v_cmp_nlt_f32_e64 s0, 0x42b17218, v27
	v_fma_f32 v29, -v28, v31, 1.0
	v_sub_f32_e32 v25, v25, v28
	v_fma_f32 v31, -v24, v24, -v27
	s_delay_alu instid0(VALU_DEP_4) | instskip(SKIP_1) | instid1(VALU_DEP_2)
	v_cndmask_b32_e64 v26, 0x7f800000, v26, s0
	v_cmp_nlt_f32_e64 s0, 0x4120ddfc, |v24|
	v_dual_add_f32 v25, v29, v25 :: v_dual_fmac_f32 v26, v26, v31
	s_delay_alu instid0(VALU_DEP_1) | instskip(NEXT) | instid1(VALU_DEP_1)
	v_fmac_f32_e32 v28, v30, v25
	v_mul_f32_e32 v25, v26, v28
	s_delay_alu instid0(VALU_DEP_1) | instskip(SKIP_1) | instid1(VALU_DEP_2)
	v_cndmask_b32_e64 v25, 0, v25, s0
	v_cmp_gt_f32_e64 s0, 0, v24
	v_sub_f32_e32 v26, 2.0, v25
	s_delay_alu instid0(VALU_DEP_1) | instskip(NEXT) | instid1(VALU_DEP_1)
	v_cndmask_b32_e64 v24, v25, v26, s0
	v_bfe_u32 v25, v24, 16, 1
	v_cmp_o_f32_e64 s0, v24, v24
	s_delay_alu instid0(VALU_DEP_2) | instskip(NEXT) | instid1(VALU_DEP_1)
	v_add3_u32 v25, v24, v25, 0x7fff
	v_lshrrev_b32_e32 v25, 16, v25
	s_delay_alu instid0(VALU_DEP_1) | instskip(SKIP_1) | instid1(VALU_DEP_1)
	v_cndmask_b32_e64 v26, 0x7fc0, v25, s0
	v_add_co_u32 v24, s0, v14, s8
	v_add_co_ci_u32_e64 v25, s0, s9, v15, s0
	global_store_b16 v[24:25], v26, off
	s_or_b32 exec_lo, exec_lo, s1
	s_and_saveexec_b32 s0, vcc_lo
	s_cbranch_execz .LBB3_8
.LBB3_24:                               ;   in Loop: Header=BB3_9 Depth=1
	s_waitcnt vmcnt(0)
	v_lshlrev_b32_e32 v23, 16, v23
	s_delay_alu instid0(VALU_DEP_1) | instskip(SKIP_1) | instid1(VALU_DEP_2)
	v_add_f32_e64 v24, |v23|, 2.0
	v_add_f32_e64 v25, |v23|, -2.0
	v_rcp_f32_e32 v24, v24
	s_waitcnt_depctr 0xfff
	v_mul_f32_e32 v25, v25, v24
	s_delay_alu instid0(VALU_DEP_1) | instskip(SKIP_1) | instid1(VALU_DEP_2)
	v_add_f32_e32 v26, 1.0, v25
	v_add_f32_e64 v30, |v23|, |v23|
	v_fma_f32 v26, v26, -2.0, |v23|
	s_delay_alu instid0(VALU_DEP_2) | instskip(NEXT) | instid1(VALU_DEP_2)
	v_add_f32_e32 v31, 1.0, v30
	v_fma_f32 v26, -v25, |v23|, v26
	s_delay_alu instid0(VALU_DEP_1) | instskip(SKIP_1) | instid1(VALU_DEP_1)
	v_fmac_f32_e32 v25, v24, v26
	v_mul_f32_e64 v26, -v23, v23
	v_mul_f32_e32 v27, 0x3fb8aa3b, v26
	v_cmp_ngt_f32_e32 vcc_lo, 0xc2ce8ed0, v26
	s_delay_alu instid0(VALU_DEP_2) | instskip(SKIP_2) | instid1(VALU_DEP_3)
	v_rndne_f32_e32 v28, v27
	v_fmaak_f32 v24, s13, v25, 0xbaa2d753
	v_fma_f32 v29, 0x3fb8aa3b, v26, -v27
	v_sub_f32_e32 v27, v27, v28
	s_delay_alu instid0(VALU_DEP_3) | instskip(NEXT) | instid1(VALU_DEP_3)
	v_fmaak_f32 v24, v25, v24, 0x3aad2fb4
	v_fmac_f32_e32 v29, 0x32a5705f, v26
	v_cvt_i32_f32_e32 v28, v28
	s_delay_alu instid0(VALU_DEP_2) | instskip(SKIP_1) | instid1(VALU_DEP_1)
	v_dual_fmaak_f32 v24, v25, v24, 0x3c0da267 :: v_dual_add_f32 v27, v27, v29
	v_rcp_f32_e32 v29, v31
	v_fmaak_f32 v24, v25, v24, 0xbc0415b1
	s_delay_alu instid0(VALU_DEP_2) | instskip(NEXT) | instid1(VALU_DEP_1)
	v_exp_f32_e32 v27, v27
	v_fmaak_f32 v24, v25, v24, 0xbd5e0a18
	s_delay_alu instid0(VALU_DEP_1) | instskip(NEXT) | instid1(VALU_DEP_1)
	v_fmaak_f32 v24, v25, v24, 0x3e27fe2a
	v_fmaak_f32 v24, v25, v24, 0xbe2a03fd
	s_delay_alu instid0(VALU_DEP_1) | instskip(NEXT) | instid1(VALU_DEP_1)
	v_fmaak_f32 v24, v25, v24, 0xbdbdfb0b
	v_fmaak_f32 v24, v25, v24, 0x3e8dd01c
	s_waitcnt_depctr 0xfff
	v_ldexp_f32 v25, v27, v28
	v_fma_f32 v27, v24, v29, v29
	s_delay_alu instid0(VALU_DEP_2) | instskip(SKIP_1) | instid1(VALU_DEP_3)
	v_cndmask_b32_e32 v25, 0, v25, vcc_lo
	v_cmp_nlt_f32_e32 vcc_lo, 0x42b17218, v26
	v_fma_f32 v28, -v27, v30, 1.0
	v_sub_f32_e32 v24, v24, v27
	v_fma_f32 v30, -v23, v23, -v26
	v_cndmask_b32_e32 v25, 0x7f800000, v25, vcc_lo
	v_cmp_nlt_f32_e64 vcc_lo, 0x4120ddfc, |v23|
	s_delay_alu instid0(VALU_DEP_2) | instskip(NEXT) | instid1(VALU_DEP_1)
	v_dual_add_f32 v24, v28, v24 :: v_dual_fmac_f32 v25, v25, v30
	v_fmac_f32_e32 v27, v29, v24
	s_delay_alu instid0(VALU_DEP_1) | instskip(NEXT) | instid1(VALU_DEP_1)
	v_mul_f32_e32 v24, v25, v27
	v_cndmask_b32_e32 v24, 0, v24, vcc_lo
	v_cmp_gt_f32_e32 vcc_lo, 0, v23
	s_delay_alu instid0(VALU_DEP_2) | instskip(NEXT) | instid1(VALU_DEP_1)
	v_sub_f32_e32 v25, 2.0, v24
	v_cndmask_b32_e32 v23, v24, v25, vcc_lo
	s_delay_alu instid0(VALU_DEP_1) | instskip(SKIP_1) | instid1(VALU_DEP_2)
	v_bfe_u32 v24, v23, 16, 1
	v_cmp_o_f32_e32 vcc_lo, v23, v23
	v_add3_u32 v24, v23, v24, 0x7fff
	s_delay_alu instid0(VALU_DEP_1) | instskip(NEXT) | instid1(VALU_DEP_1)
	v_lshrrev_b32_e32 v24, 16, v24
	v_cndmask_b32_e32 v25, 0x7fc0, v24, vcc_lo
	v_add_co_u32 v23, vcc_lo, v7, s8
	v_add_co_ci_u32_e32 v24, vcc_lo, s9, v8, vcc_lo
	global_store_b16 v[23:24], v25, off
	s_branch .LBB3_8
.LBB3_25:
	s_nop 0
	s_sendmsg sendmsg(MSG_DEALLOC_VGPRS)
	s_endpgm
	.section	.rodata,"a",@progbits
	.p2align	6, 0x0
	.amdhsa_kernel _ZN2at6native12_GLOBAL__N_125multi_tensor_apply_kernelINS1_18TensorListMetadataILi2EEENS1_14UnaryOpFunctorIN3c108BFloat16ELi2ELi1ELi1EEEJNS0_4ErfcIfEEEEEvT_T0_DpT1_
		.amdhsa_group_segment_fixed_size 0
		.amdhsa_private_segment_fixed_size 0
		.amdhsa_kernarg_size 3408
		.amdhsa_user_sgpr_count 15
		.amdhsa_user_sgpr_dispatch_ptr 0
		.amdhsa_user_sgpr_queue_ptr 0
		.amdhsa_user_sgpr_kernarg_segment_ptr 1
		.amdhsa_user_sgpr_dispatch_id 0
		.amdhsa_user_sgpr_private_segment_size 0
		.amdhsa_wavefront_size32 1
		.amdhsa_uses_dynamic_stack 0
		.amdhsa_enable_private_segment 0
		.amdhsa_system_sgpr_workgroup_id_x 1
		.amdhsa_system_sgpr_workgroup_id_y 0
		.amdhsa_system_sgpr_workgroup_id_z 0
		.amdhsa_system_sgpr_workgroup_info 0
		.amdhsa_system_vgpr_workitem_id 0
		.amdhsa_next_free_vgpr 47
		.amdhsa_next_free_sgpr 21
		.amdhsa_reserve_vcc 1
		.amdhsa_float_round_mode_32 0
		.amdhsa_float_round_mode_16_64 0
		.amdhsa_float_denorm_mode_32 3
		.amdhsa_float_denorm_mode_16_64 3
		.amdhsa_dx10_clamp 1
		.amdhsa_ieee_mode 1
		.amdhsa_fp16_overflow 0
		.amdhsa_workgroup_processor_mode 1
		.amdhsa_memory_ordered 1
		.amdhsa_forward_progress 0
		.amdhsa_shared_vgpr_count 0
		.amdhsa_exception_fp_ieee_invalid_op 0
		.amdhsa_exception_fp_denorm_src 0
		.amdhsa_exception_fp_ieee_div_zero 0
		.amdhsa_exception_fp_ieee_overflow 0
		.amdhsa_exception_fp_ieee_underflow 0
		.amdhsa_exception_fp_ieee_inexact 0
		.amdhsa_exception_int_div_zero 0
	.end_amdhsa_kernel
	.section	.text._ZN2at6native12_GLOBAL__N_125multi_tensor_apply_kernelINS1_18TensorListMetadataILi2EEENS1_14UnaryOpFunctorIN3c108BFloat16ELi2ELi1ELi1EEEJNS0_4ErfcIfEEEEEvT_T0_DpT1_,"axG",@progbits,_ZN2at6native12_GLOBAL__N_125multi_tensor_apply_kernelINS1_18TensorListMetadataILi2EEENS1_14UnaryOpFunctorIN3c108BFloat16ELi2ELi1ELi1EEEJNS0_4ErfcIfEEEEEvT_T0_DpT1_,comdat
.Lfunc_end3:
	.size	_ZN2at6native12_GLOBAL__N_125multi_tensor_apply_kernelINS1_18TensorListMetadataILi2EEENS1_14UnaryOpFunctorIN3c108BFloat16ELi2ELi1ELi1EEEJNS0_4ErfcIfEEEEEvT_T0_DpT1_, .Lfunc_end3-_ZN2at6native12_GLOBAL__N_125multi_tensor_apply_kernelINS1_18TensorListMetadataILi2EEENS1_14UnaryOpFunctorIN3c108BFloat16ELi2ELi1ELi1EEEJNS0_4ErfcIfEEEEEvT_T0_DpT1_
                                        ; -- End function
	.section	.AMDGPU.csdata,"",@progbits
; Kernel info:
; codeLenInByte = 4784
; NumSgprs: 23
; NumVgprs: 47
; ScratchSize: 0
; MemoryBound: 0
; FloatMode: 240
; IeeeMode: 1
; LDSByteSize: 0 bytes/workgroup (compile time only)
; SGPRBlocks: 2
; VGPRBlocks: 5
; NumSGPRsForWavesPerEU: 23
; NumVGPRsForWavesPerEU: 47
; Occupancy: 16
; WaveLimiterHint : 0
; COMPUTE_PGM_RSRC2:SCRATCH_EN: 0
; COMPUTE_PGM_RSRC2:USER_SGPR: 15
; COMPUTE_PGM_RSRC2:TRAP_HANDLER: 0
; COMPUTE_PGM_RSRC2:TGID_X_EN: 1
; COMPUTE_PGM_RSRC2:TGID_Y_EN: 0
; COMPUTE_PGM_RSRC2:TGID_Z_EN: 0
; COMPUTE_PGM_RSRC2:TIDIG_COMP_CNT: 0
	.section	.text._ZN2at6native12_GLOBAL__N_125multi_tensor_apply_kernelINS1_18TensorListMetadataILi1EEENS1_14UnaryOpFunctorIdLi1ELi1ELi0EEEJNS0_4ErfcIdEEEEEvT_T0_DpT1_,"axG",@progbits,_ZN2at6native12_GLOBAL__N_125multi_tensor_apply_kernelINS1_18TensorListMetadataILi1EEENS1_14UnaryOpFunctorIdLi1ELi1ELi0EEEJNS0_4ErfcIdEEEEEvT_T0_DpT1_,comdat
	.globl	_ZN2at6native12_GLOBAL__N_125multi_tensor_apply_kernelINS1_18TensorListMetadataILi1EEENS1_14UnaryOpFunctorIdLi1ELi1ELi0EEEJNS0_4ErfcIdEEEEEvT_T0_DpT1_ ; -- Begin function _ZN2at6native12_GLOBAL__N_125multi_tensor_apply_kernelINS1_18TensorListMetadataILi1EEENS1_14UnaryOpFunctorIdLi1ELi1ELi0EEEJNS0_4ErfcIdEEEEEvT_T0_DpT1_
	.p2align	8
	.type	_ZN2at6native12_GLOBAL__N_125multi_tensor_apply_kernelINS1_18TensorListMetadataILi1EEENS1_14UnaryOpFunctorIdLi1ELi1ELi0EEEJNS0_4ErfcIdEEEEEvT_T0_DpT1_,@function
_ZN2at6native12_GLOBAL__N_125multi_tensor_apply_kernelINS1_18TensorListMetadataILi1EEENS1_14UnaryOpFunctorIdLi1ELi1ELi0EEEJNS0_4ErfcIdEEEEEvT_T0_DpT1_: ; @_ZN2at6native12_GLOBAL__N_125multi_tensor_apply_kernelINS1_18TensorListMetadataILi1EEENS1_14UnaryOpFunctorIdLi1ELi1ELi0EEEJNS0_4ErfcIdEEEEEvT_T0_DpT1_
; %bb.0:
	v_mov_b32_e32 v1, s15
	s_add_u32 s2, s0, s15
	s_mul_hi_u32 s3, s15, 3
	s_mul_i32 s15, s15, 3
	s_addc_u32 s4, s1, 0
	global_load_u8 v1, v1, s[0:1] offset:1760
	s_add_u32 s2, s2, s15
	s_addc_u32 s3, s4, s3
	s_mov_b32 s13, 0
	s_load_b32 s2, s[2:3], 0x820
	s_waitcnt vmcnt(0)
	v_readfirstlane_b32 s5, v1
	s_delay_alu instid0(VALU_DEP_1)
	s_lshl_b32 s3, s5, 3
	s_clause 0x1
	s_load_b64 s[6:7], s[0:1], s3 offset:0x0
	s_load_b64 s[4:5], s[0:1], s3 offset:0x370
	s_waitcnt lgkmcnt(0)
	s_ashr_i32 s3, s2, 31
	s_delay_alu instid0(SALU_CYCLE_1)
	s_lshl_b64 s[10:11], s[2:3], 19
	s_lshl_b64 s[2:3], s[2:3], 16
	s_and_b32 s12, s6, 31
	s_sub_u32 s8, s4, s2
	s_subb_u32 s9, s5, s3
	s_and_b32 s2, s4, 3
	s_mov_b32 s3, s13
	s_delay_alu instid0(SALU_CYCLE_1) | instskip(NEXT) | instid1(SALU_CYCLE_1)
	s_or_b64 s[2:3], s[12:13], s[2:3]
	s_cmp_eq_u64 s[2:3], 0
	s_cbranch_scc1 .LBB4_21
; %bb.1:
	v_cmp_lt_i64_e64 s2, s[8:9], 1
	s_delay_alu instid0(VALU_DEP_1)
	s_and_b32 vcc_lo, exec_lo, s2
	s_cbranch_vccnz .LBB4_20
; %bb.2:
	s_load_b32 s2, s[0:1], 0xd3c
	v_cmp_gt_u64_e64 s3, 0x10000, s[8:9]
	v_lshlrev_b32_e32 v1, 3, v0
	s_mov_b32 s14, 0x652b82fe
	s_mov_b32 s16, 0xfefa39ef
	;; [unrolled: 1-line block ×17, first 2 shown]
	s_waitcnt lgkmcnt(0)
	s_and_b32 s2, s2, 0xffff
	s_and_b32 s3, s3, exec_lo
	v_add_co_u32 v13, s5, v0, s2
	s_cselect_b32 s13, s9, 0
	s_cselect_b32 s12, s8, 0x10000
	s_lshl_b32 s3, s2, 1
	s_lshl_b32 s33, s2, 2
	v_lshlrev_b32_e32 v3, 3, v13
	s_add_u32 s88, s6, s10
	v_add_co_u32 v16, s3, s3, v0
	s_mul_i32 s4, s2, 3
	s_addc_u32 s89, s7, s11
	v_add_co_ci_u32_e64 v17, null, 0, 0, s3
	v_add_co_u32 v1, s3, s88, v1
	v_add_co_u32 v14, s4, s4, v0
	v_add_co_ci_u32_e64 v2, null, s89, 0, s3
	v_add_co_u32 v3, s3, s88, v3
	v_add_co_ci_u32_e64 v15, null, 0, 0, s4
	v_add_co_ci_u32_e64 v18, null, 0, 0, s5
	;; [unrolled: 1-line block ×3, first 2 shown]
	s_mov_b32 s50, 0x2eba62d8
	s_mov_b32 s52, 0xa56e15f1
	;; [unrolled: 1-line block ×19, first 2 shown]
	s_lshl_b32 s90, s2, 5
	s_mov_b32 s15, 0x3ff71547
	s_mov_b32 s17, 0xbfe62e42
	;; [unrolled: 1-line block ×36, first 2 shown]
	s_mul_i32 s91, s2, 24
	s_lshl_b32 s92, s2, 4
	s_mov_b64 s[88:89], 0
	s_branch .LBB4_4
.LBB4_3:                                ;   in Loop: Header=BB4_4 Depth=1
	s_or_b32 exec_lo, exec_lo, s3
	s_add_u32 s88, s88, s33
	s_addc_u32 s89, s89, 0
	v_add_co_u32 v1, vcc_lo, v1, s90
	v_cmp_lt_i64_e64 s2, s[88:89], s[8:9]
	v_cmp_gt_u64_e64 s3, 0x10000, s[88:89]
	v_add_co_ci_u32_e32 v2, vcc_lo, 0, v2, vcc_lo
	v_add_co_u32 v3, vcc_lo, v3, s90
	v_add_co_ci_u32_e32 v4, vcc_lo, 0, v4, vcc_lo
	s_delay_alu instid0(VALU_DEP_4) | instskip(NEXT) | instid1(SALU_CYCLE_1)
	s_and_b32 s2, s2, s3
	s_and_b32 vcc_lo, exec_lo, s2
	s_cbranch_vccz .LBB4_20
.LBB4_4:                                ; =>This Inner Loop Header: Depth=1
	s_waitcnt vmcnt(0)
	v_add_co_u32 v5, s2, v0, s88
	s_delay_alu instid0(VALU_DEP_1) | instskip(SKIP_2) | instid1(VALU_DEP_3)
	v_add_co_ci_u32_e64 v6, null, 0, s89, s2
	v_mov_b32_e32 v9, 0
	v_mov_b32_e32 v10, 0
	v_cmp_gt_u64_e64 s4, s[12:13], v[5:6]
	s_delay_alu instid0(VALU_DEP_2) | instskip(NEXT) | instid1(VALU_DEP_2)
	v_dual_mov_b32 v12, v10 :: v_dual_mov_b32 v11, v9
	s_and_saveexec_b32 s2, s4
	s_cbranch_execz .LBB4_6
; %bb.5:                                ;   in Loop: Header=BB4_4 Depth=1
	global_load_b64 v[11:12], v[1:2], off
.LBB4_6:                                ;   in Loop: Header=BB4_4 Depth=1
	s_or_b32 exec_lo, exec_lo, s2
	v_add_co_u32 v5, vcc_lo, v13, s88
	v_add_co_ci_u32_e32 v6, vcc_lo, s89, v18, vcc_lo
	s_delay_alu instid0(VALU_DEP_1) | instskip(NEXT) | instid1(VALU_DEP_1)
	v_cmp_gt_u64_e64 s3, s[12:13], v[5:6]
	s_and_saveexec_b32 s2, s3
	s_cbranch_execz .LBB4_8
; %bb.7:                                ;   in Loop: Header=BB4_4 Depth=1
	global_load_b64 v[9:10], v[3:4], off
.LBB4_8:                                ;   in Loop: Header=BB4_4 Depth=1
	s_or_b32 exec_lo, exec_lo, s2
	v_add_co_u32 v7, vcc_lo, v16, s88
	v_add_co_ci_u32_e32 v8, vcc_lo, s89, v17, vcc_lo
	v_mov_b32_e32 v5, 0
	v_mov_b32_e32 v6, 0
	s_delay_alu instid0(VALU_DEP_3) | instskip(NEXT) | instid1(VALU_DEP_2)
	v_cmp_gt_u64_e64 s2, s[12:13], v[7:8]
	v_dual_mov_b32 v8, v6 :: v_dual_mov_b32 v7, v5
	s_delay_alu instid0(VALU_DEP_2)
	s_and_saveexec_b32 s5, s2
	s_cbranch_execz .LBB4_10
; %bb.9:                                ;   in Loop: Header=BB4_4 Depth=1
	v_add_co_u32 v7, vcc_lo, v1, s92
	v_add_co_ci_u32_e32 v8, vcc_lo, 0, v2, vcc_lo
	global_load_b64 v[7:8], v[7:8], off
.LBB4_10:                               ;   in Loop: Header=BB4_4 Depth=1
	s_or_b32 exec_lo, exec_lo, s5
	v_add_co_u32 v19, vcc_lo, v14, s88
	v_add_co_ci_u32_e32 v20, vcc_lo, s89, v15, vcc_lo
	s_delay_alu instid0(VALU_DEP_1)
	v_cmp_gt_u64_e32 vcc_lo, s[12:13], v[19:20]
	s_and_saveexec_b32 s93, vcc_lo
	s_cbranch_execnz .LBB4_15
; %bb.11:                               ;   in Loop: Header=BB4_4 Depth=1
	s_or_b32 exec_lo, exec_lo, s93
	s_and_saveexec_b32 s93, s4
	s_cbranch_execnz .LBB4_16
.LBB4_12:                               ;   in Loop: Header=BB4_4 Depth=1
	s_or_b32 exec_lo, exec_lo, s93
	s_and_saveexec_b32 s5, s3
	s_cbranch_execnz .LBB4_17
.LBB4_13:                               ;   in Loop: Header=BB4_4 Depth=1
	s_or_b32 exec_lo, exec_lo, s5
	s_and_saveexec_b32 s4, s2
	s_cbranch_execnz .LBB4_18
.LBB4_14:                               ;   in Loop: Header=BB4_4 Depth=1
	s_or_b32 exec_lo, exec_lo, s4
	s_and_saveexec_b32 s3, vcc_lo
	s_cbranch_execz .LBB4_3
	s_branch .LBB4_19
.LBB4_15:                               ;   in Loop: Header=BB4_4 Depth=1
	v_add_co_u32 v5, s5, v1, s91
	s_delay_alu instid0(VALU_DEP_1)
	v_add_co_ci_u32_e64 v6, s5, 0, v2, s5
	global_load_b64 v[5:6], v[5:6], off
	s_or_b32 exec_lo, exec_lo, s93
	s_and_saveexec_b32 s93, s4
	s_cbranch_execz .LBB4_12
.LBB4_16:                               ;   in Loop: Header=BB4_4 Depth=1
	s_waitcnt vmcnt(0)
	v_add_f64 v[19:20], |v[11:12]|, 4.0
	v_add_f64 v[31:32], |v[11:12]|, |v[11:12]|
	s_delay_alu instid0(VALU_DEP_2) | instskip(NEXT) | instid1(VALU_DEP_1)
	v_rcp_f64_e32 v[21:22], v[19:20]
	v_add_f64 v[33:34], v[31:32], 1.0
	s_delay_alu instid0(VALU_DEP_1) | instskip(SKIP_2) | instid1(VALU_DEP_1)
	v_rcp_f64_e32 v[35:36], v[33:34]
	s_waitcnt_depctr 0xfff
	v_fma_f64 v[23:24], -v[19:20], v[21:22], 1.0
	v_fma_f64 v[21:22], v[23:24], v[21:22], v[21:22]
	v_add_f64 v[23:24], |v[11:12]|, -4.0
	v_fma_f64 v[37:38], -v[33:34], v[35:36], 1.0
	s_delay_alu instid0(VALU_DEP_3) | instskip(NEXT) | instid1(VALU_DEP_2)
	v_fma_f64 v[19:20], -v[19:20], v[21:22], 1.0
	v_fma_f64 v[35:36], v[37:38], v[35:36], v[35:36]
	s_delay_alu instid0(VALU_DEP_2) | instskip(NEXT) | instid1(VALU_DEP_2)
	v_fma_f64 v[19:20], v[19:20], v[21:22], v[21:22]
	v_fma_f64 v[33:34], -v[33:34], v[35:36], 1.0
	s_delay_alu instid0(VALU_DEP_2) | instskip(NEXT) | instid1(VALU_DEP_2)
	v_mul_f64 v[21:22], v[23:24], v[19:20]
	v_fma_f64 v[33:34], v[33:34], v[35:36], v[35:36]
	s_delay_alu instid0(VALU_DEP_2) | instskip(NEXT) | instid1(VALU_DEP_1)
	v_add_f64 v[23:24], v[21:22], 1.0
	v_fma_f64 v[23:24], v[23:24], -4.0, |v[11:12]|
	s_delay_alu instid0(VALU_DEP_1) | instskip(NEXT) | instid1(VALU_DEP_1)
	v_fma_f64 v[23:24], -v[21:22], |v[11:12]|, v[23:24]
	v_fma_f64 v[19:20], v[19:20], v[23:24], v[21:22]
	v_mul_f64 v[23:24], v[11:12], -v[11:12]
	s_delay_alu instid0(VALU_DEP_2) | instskip(NEXT) | instid1(VALU_DEP_2)
	v_fma_f64 v[21:22], v[19:20], s[44:45], s[42:43]
	v_mul_f64 v[25:26], v[23:24], s[14:15]
	v_cmp_nlt_f64_e64 s4, 0x40900000, v[23:24]
	v_cmp_ngt_f64_e64 s5, 0xc090cc00, v[23:24]
	s_delay_alu instid0(VALU_DEP_4) | instskip(NEXT) | instid1(VALU_DEP_4)
	v_fma_f64 v[21:22], v[19:20], v[21:22], s[46:47]
	v_rndne_f64_e32 v[25:26], v[25:26]
	s_delay_alu instid0(VALU_DEP_2) | instskip(NEXT) | instid1(VALU_DEP_2)
	v_fma_f64 v[21:22], v[19:20], v[21:22], s[48:49]
	v_fma_f64 v[27:28], v[25:26], s[16:17], v[23:24]
	v_cvt_i32_f64_e32 v35, v[25:26]
	s_delay_alu instid0(VALU_DEP_3) | instskip(NEXT) | instid1(VALU_DEP_3)
	v_fma_f64 v[21:22], v[19:20], v[21:22], s[50:51]
	v_fma_f64 v[27:28], v[25:26], s[18:19], v[27:28]
	s_delay_alu instid0(VALU_DEP_2) | instskip(NEXT) | instid1(VALU_DEP_2)
	v_fma_f64 v[21:22], v[19:20], v[21:22], s[52:53]
	v_fma_f64 v[29:30], v[27:28], s[22:23], s[20:21]
	s_delay_alu instid0(VALU_DEP_2) | instskip(NEXT) | instid1(VALU_DEP_2)
	;; [unrolled: 3-line block ×10, first 2 shown]
	v_fma_f64 v[21:22], v[19:20], v[21:22], s[70:71]
	v_fma_f64 v[29:30], v[27:28], v[29:30], 1.0
	s_delay_alu instid0(VALU_DEP_2) | instskip(NEXT) | instid1(VALU_DEP_1)
	v_fma_f64 v[21:22], v[19:20], v[21:22], s[72:73]
	v_fma_f64 v[21:22], v[19:20], v[21:22], s[74:75]
	s_delay_alu instid0(VALU_DEP_1) | instskip(NEXT) | instid1(VALU_DEP_1)
	v_fma_f64 v[21:22], v[19:20], v[21:22], s[76:77]
	v_fma_f64 v[21:22], v[19:20], v[21:22], s[78:79]
	s_delay_alu instid0(VALU_DEP_1) | instskip(NEXT) | instid1(VALU_DEP_1)
	v_fma_f64 v[21:22], v[19:20], v[21:22], s[80:81]
	v_fma_f64 v[21:22], v[19:20], v[21:22], s[82:83]
	s_delay_alu instid0(VALU_DEP_1) | instskip(SKIP_1) | instid1(VALU_DEP_2)
	v_fma_f64 v[19:20], v[19:20], v[21:22], s[84:85]
	v_fma_f64 v[21:22], v[27:28], v[29:30], 1.0
	v_fma_f64 v[25:26], v[19:20], v[33:34], v[33:34]
	s_delay_alu instid0(VALU_DEP_2) | instskip(NEXT) | instid1(VALU_DEP_2)
	v_ldexp_f64 v[21:22], v[21:22], v35
	v_fma_f64 v[27:28], -v[25:26], v[31:32], 1.0
	v_add_f64 v[19:20], v[19:20], -v[25:26]
	s_delay_alu instid0(VALU_DEP_3) | instskip(SKIP_2) | instid1(VALU_DEP_3)
	v_cndmask_b32_e64 v29, 0x7ff00000, v22, s4
	v_fma_f64 v[22:23], -v[11:12], v[11:12], -v[23:24]
	s_and_b32 s4, s5, s4
	v_add_f64 v[19:20], v[27:28], v[19:20]
	s_delay_alu instid0(VALU_DEP_3) | instskip(SKIP_2) | instid1(VALU_DEP_2)
	v_cndmask_b32_e64 v28, 0, v29, s5
	v_cndmask_b32_e64 v27, 0, v21, s4
	v_cmp_ngt_f64_e64 s4, |v[11:12]|, s[86:87]
	v_fma_f64 v[21:22], v[27:28], v[22:23], v[27:28]
	v_fma_f64 v[19:20], v[33:34], v[19:20], v[25:26]
	s_delay_alu instid0(VALU_DEP_1) | instskip(NEXT) | instid1(VALU_DEP_1)
	v_mul_f64 v[19:20], v[21:22], v[19:20]
	v_cndmask_b32_e64 v20, 0, v20, s4
	s_delay_alu instid0(VALU_DEP_2) | instskip(SKIP_1) | instid1(VALU_DEP_2)
	v_cndmask_b32_e64 v19, 0, v19, s4
	v_cmp_gt_f64_e64 s4, 0, v[11:12]
	v_add_f64 v[21:22], -v[19:20], 2.0
	s_delay_alu instid0(VALU_DEP_1) | instskip(NEXT) | instid1(VALU_DEP_2)
	v_cndmask_b32_e64 v12, v20, v22, s4
	v_cndmask_b32_e64 v11, v19, v21, s4
	global_store_b64 v[1:2], v[11:12], off
	s_or_b32 exec_lo, exec_lo, s93
	s_and_saveexec_b32 s5, s3
	s_cbranch_execz .LBB4_13
.LBB4_17:                               ;   in Loop: Header=BB4_4 Depth=1
	s_waitcnt vmcnt(0)
	v_add_f64 v[11:12], |v[9:10]|, 4.0
	v_add_f64 v[29:30], |v[9:10]|, |v[9:10]|
	s_delay_alu instid0(VALU_DEP_2) | instskip(NEXT) | instid1(VALU_DEP_1)
	v_rcp_f64_e32 v[19:20], v[11:12]
	v_add_f64 v[31:32], v[29:30], 1.0
	s_delay_alu instid0(VALU_DEP_1) | instskip(SKIP_2) | instid1(VALU_DEP_1)
	v_rcp_f64_e32 v[33:34], v[31:32]
	s_waitcnt_depctr 0xfff
	v_fma_f64 v[21:22], -v[11:12], v[19:20], 1.0
	v_fma_f64 v[19:20], v[21:22], v[19:20], v[19:20]
	v_add_f64 v[21:22], |v[9:10]|, -4.0
	v_fma_f64 v[35:36], -v[31:32], v[33:34], 1.0
	s_delay_alu instid0(VALU_DEP_3) | instskip(NEXT) | instid1(VALU_DEP_2)
	v_fma_f64 v[11:12], -v[11:12], v[19:20], 1.0
	v_fma_f64 v[33:34], v[35:36], v[33:34], v[33:34]
	s_delay_alu instid0(VALU_DEP_2) | instskip(NEXT) | instid1(VALU_DEP_2)
	v_fma_f64 v[11:12], v[11:12], v[19:20], v[19:20]
	v_fma_f64 v[31:32], -v[31:32], v[33:34], 1.0
	s_delay_alu instid0(VALU_DEP_2) | instskip(NEXT) | instid1(VALU_DEP_2)
	v_mul_f64 v[19:20], v[21:22], v[11:12]
	v_fma_f64 v[31:32], v[31:32], v[33:34], v[33:34]
	s_delay_alu instid0(VALU_DEP_2) | instskip(NEXT) | instid1(VALU_DEP_1)
	v_add_f64 v[21:22], v[19:20], 1.0
	v_fma_f64 v[21:22], v[21:22], -4.0, |v[9:10]|
	s_delay_alu instid0(VALU_DEP_1) | instskip(NEXT) | instid1(VALU_DEP_1)
	v_fma_f64 v[21:22], -v[19:20], |v[9:10]|, v[21:22]
	v_fma_f64 v[11:12], v[11:12], v[21:22], v[19:20]
	v_mul_f64 v[21:22], v[9:10], -v[9:10]
	s_delay_alu instid0(VALU_DEP_2) | instskip(NEXT) | instid1(VALU_DEP_2)
	v_fma_f64 v[19:20], v[11:12], s[44:45], s[42:43]
	v_mul_f64 v[23:24], v[21:22], s[14:15]
	v_cmp_nlt_f64_e64 s3, 0x40900000, v[21:22]
	v_cmp_ngt_f64_e64 s4, 0xc090cc00, v[21:22]
	s_delay_alu instid0(VALU_DEP_4) | instskip(NEXT) | instid1(VALU_DEP_4)
	v_fma_f64 v[19:20], v[11:12], v[19:20], s[46:47]
	v_rndne_f64_e32 v[23:24], v[23:24]
	s_delay_alu instid0(VALU_DEP_2) | instskip(NEXT) | instid1(VALU_DEP_2)
	v_fma_f64 v[19:20], v[11:12], v[19:20], s[48:49]
	v_fma_f64 v[25:26], v[23:24], s[16:17], v[21:22]
	v_cvt_i32_f64_e32 v33, v[23:24]
	s_delay_alu instid0(VALU_DEP_3) | instskip(NEXT) | instid1(VALU_DEP_3)
	v_fma_f64 v[19:20], v[11:12], v[19:20], s[50:51]
	v_fma_f64 v[25:26], v[23:24], s[18:19], v[25:26]
	s_delay_alu instid0(VALU_DEP_2) | instskip(NEXT) | instid1(VALU_DEP_2)
	v_fma_f64 v[19:20], v[11:12], v[19:20], s[52:53]
	v_fma_f64 v[27:28], v[25:26], s[22:23], s[20:21]
	s_delay_alu instid0(VALU_DEP_2) | instskip(NEXT) | instid1(VALU_DEP_2)
	;; [unrolled: 3-line block ×10, first 2 shown]
	v_fma_f64 v[19:20], v[11:12], v[19:20], s[70:71]
	v_fma_f64 v[27:28], v[25:26], v[27:28], 1.0
	s_delay_alu instid0(VALU_DEP_2) | instskip(NEXT) | instid1(VALU_DEP_1)
	v_fma_f64 v[19:20], v[11:12], v[19:20], s[72:73]
	v_fma_f64 v[19:20], v[11:12], v[19:20], s[74:75]
	s_delay_alu instid0(VALU_DEP_1) | instskip(NEXT) | instid1(VALU_DEP_1)
	v_fma_f64 v[19:20], v[11:12], v[19:20], s[76:77]
	v_fma_f64 v[19:20], v[11:12], v[19:20], s[78:79]
	s_delay_alu instid0(VALU_DEP_1) | instskip(NEXT) | instid1(VALU_DEP_1)
	v_fma_f64 v[19:20], v[11:12], v[19:20], s[80:81]
	v_fma_f64 v[19:20], v[11:12], v[19:20], s[82:83]
	s_delay_alu instid0(VALU_DEP_1) | instskip(SKIP_1) | instid1(VALU_DEP_2)
	v_fma_f64 v[11:12], v[11:12], v[19:20], s[84:85]
	v_fma_f64 v[19:20], v[25:26], v[27:28], 1.0
	v_fma_f64 v[23:24], v[11:12], v[31:32], v[31:32]
	s_delay_alu instid0(VALU_DEP_2) | instskip(NEXT) | instid1(VALU_DEP_2)
	v_ldexp_f64 v[19:20], v[19:20], v33
	v_fma_f64 v[25:26], -v[23:24], v[29:30], 1.0
	v_add_f64 v[11:12], v[11:12], -v[23:24]
	s_delay_alu instid0(VALU_DEP_3) | instskip(SKIP_2) | instid1(VALU_DEP_3)
	v_cndmask_b32_e64 v27, 0x7ff00000, v20, s3
	v_fma_f64 v[20:21], -v[9:10], v[9:10], -v[21:22]
	s_and_b32 s3, s4, s3
	v_add_f64 v[11:12], v[25:26], v[11:12]
	s_delay_alu instid0(VALU_DEP_3) | instskip(SKIP_2) | instid1(VALU_DEP_2)
	v_cndmask_b32_e64 v26, 0, v27, s4
	v_cndmask_b32_e64 v25, 0, v19, s3
	v_cmp_ngt_f64_e64 s3, |v[9:10]|, s[86:87]
	v_fma_f64 v[19:20], v[25:26], v[20:21], v[25:26]
	v_fma_f64 v[11:12], v[31:32], v[11:12], v[23:24]
	s_delay_alu instid0(VALU_DEP_1) | instskip(NEXT) | instid1(VALU_DEP_1)
	v_mul_f64 v[11:12], v[19:20], v[11:12]
	v_cndmask_b32_e64 v12, 0, v12, s3
	s_delay_alu instid0(VALU_DEP_2) | instskip(SKIP_1) | instid1(VALU_DEP_2)
	v_cndmask_b32_e64 v11, 0, v11, s3
	v_cmp_gt_f64_e64 s3, 0, v[9:10]
	v_add_f64 v[19:20], -v[11:12], 2.0
	s_delay_alu instid0(VALU_DEP_1) | instskip(NEXT) | instid1(VALU_DEP_2)
	v_cndmask_b32_e64 v10, v12, v20, s3
	v_cndmask_b32_e64 v9, v11, v19, s3
	global_store_b64 v[3:4], v[9:10], off
	s_or_b32 exec_lo, exec_lo, s5
	s_and_saveexec_b32 s4, s2
	s_cbranch_execz .LBB4_14
.LBB4_18:                               ;   in Loop: Header=BB4_4 Depth=1
	s_waitcnt vmcnt(0)
	v_add_f64 v[9:10], |v[7:8]|, 4.0
	v_add_f64 v[27:28], |v[7:8]|, |v[7:8]|
	s_delay_alu instid0(VALU_DEP_2) | instskip(NEXT) | instid1(VALU_DEP_1)
	v_rcp_f64_e32 v[11:12], v[9:10]
	v_add_f64 v[29:30], v[27:28], 1.0
	s_delay_alu instid0(VALU_DEP_1) | instskip(SKIP_2) | instid1(VALU_DEP_1)
	v_rcp_f64_e32 v[31:32], v[29:30]
	s_waitcnt_depctr 0xfff
	v_fma_f64 v[19:20], -v[9:10], v[11:12], 1.0
	v_fma_f64 v[11:12], v[19:20], v[11:12], v[11:12]
	v_add_f64 v[19:20], |v[7:8]|, -4.0
	v_fma_f64 v[33:34], -v[29:30], v[31:32], 1.0
	s_delay_alu instid0(VALU_DEP_3) | instskip(NEXT) | instid1(VALU_DEP_2)
	v_fma_f64 v[9:10], -v[9:10], v[11:12], 1.0
	v_fma_f64 v[31:32], v[33:34], v[31:32], v[31:32]
	s_delay_alu instid0(VALU_DEP_2) | instskip(NEXT) | instid1(VALU_DEP_2)
	v_fma_f64 v[9:10], v[9:10], v[11:12], v[11:12]
	v_fma_f64 v[29:30], -v[29:30], v[31:32], 1.0
	s_delay_alu instid0(VALU_DEP_2) | instskip(NEXT) | instid1(VALU_DEP_2)
	v_mul_f64 v[11:12], v[19:20], v[9:10]
	v_fma_f64 v[29:30], v[29:30], v[31:32], v[31:32]
	s_delay_alu instid0(VALU_DEP_2) | instskip(NEXT) | instid1(VALU_DEP_1)
	v_add_f64 v[19:20], v[11:12], 1.0
	v_fma_f64 v[19:20], v[19:20], -4.0, |v[7:8]|
	s_delay_alu instid0(VALU_DEP_1) | instskip(NEXT) | instid1(VALU_DEP_1)
	v_fma_f64 v[19:20], -v[11:12], |v[7:8]|, v[19:20]
	v_fma_f64 v[9:10], v[9:10], v[19:20], v[11:12]
	v_mul_f64 v[19:20], v[7:8], -v[7:8]
	s_delay_alu instid0(VALU_DEP_2) | instskip(NEXT) | instid1(VALU_DEP_2)
	v_fma_f64 v[11:12], v[9:10], s[44:45], s[42:43]
	v_mul_f64 v[21:22], v[19:20], s[14:15]
	v_cmp_nlt_f64_e64 s2, 0x40900000, v[19:20]
	v_cmp_ngt_f64_e64 s3, 0xc090cc00, v[19:20]
	s_delay_alu instid0(VALU_DEP_4) | instskip(NEXT) | instid1(VALU_DEP_4)
	v_fma_f64 v[11:12], v[9:10], v[11:12], s[46:47]
	v_rndne_f64_e32 v[21:22], v[21:22]
	s_delay_alu instid0(VALU_DEP_2) | instskip(NEXT) | instid1(VALU_DEP_2)
	v_fma_f64 v[11:12], v[9:10], v[11:12], s[48:49]
	v_fma_f64 v[23:24], v[21:22], s[16:17], v[19:20]
	v_cvt_i32_f64_e32 v31, v[21:22]
	v_fma_f64 v[19:20], -v[7:8], v[7:8], -v[19:20]
	s_delay_alu instid0(VALU_DEP_4) | instskip(NEXT) | instid1(VALU_DEP_4)
	v_fma_f64 v[11:12], v[9:10], v[11:12], s[50:51]
	v_fma_f64 v[23:24], v[21:22], s[18:19], v[23:24]
	s_delay_alu instid0(VALU_DEP_2) | instskip(NEXT) | instid1(VALU_DEP_2)
	v_fma_f64 v[11:12], v[9:10], v[11:12], s[52:53]
	v_fma_f64 v[25:26], v[23:24], s[22:23], s[20:21]
	s_delay_alu instid0(VALU_DEP_2) | instskip(NEXT) | instid1(VALU_DEP_2)
	;; [unrolled: 3-line block ×10, first 2 shown]
	v_fma_f64 v[11:12], v[9:10], v[11:12], s[70:71]
	v_fma_f64 v[25:26], v[23:24], v[25:26], 1.0
	s_delay_alu instid0(VALU_DEP_2) | instskip(NEXT) | instid1(VALU_DEP_1)
	v_fma_f64 v[11:12], v[9:10], v[11:12], s[72:73]
	v_fma_f64 v[11:12], v[9:10], v[11:12], s[74:75]
	s_delay_alu instid0(VALU_DEP_1) | instskip(NEXT) | instid1(VALU_DEP_1)
	v_fma_f64 v[11:12], v[9:10], v[11:12], s[76:77]
	v_fma_f64 v[11:12], v[9:10], v[11:12], s[78:79]
	s_delay_alu instid0(VALU_DEP_1) | instskip(NEXT) | instid1(VALU_DEP_1)
	v_fma_f64 v[11:12], v[9:10], v[11:12], s[80:81]
	v_fma_f64 v[11:12], v[9:10], v[11:12], s[82:83]
	s_delay_alu instid0(VALU_DEP_1) | instskip(SKIP_1) | instid1(VALU_DEP_2)
	v_fma_f64 v[9:10], v[9:10], v[11:12], s[84:85]
	v_fma_f64 v[11:12], v[23:24], v[25:26], 1.0
	v_fma_f64 v[21:22], v[9:10], v[29:30], v[29:30]
	s_delay_alu instid0(VALU_DEP_2) | instskip(NEXT) | instid1(VALU_DEP_2)
	v_ldexp_f64 v[11:12], v[11:12], v31
	v_fma_f64 v[23:24], -v[21:22], v[27:28], 1.0
	v_add_f64 v[9:10], v[9:10], -v[21:22]
	s_delay_alu instid0(VALU_DEP_3)
	v_cndmask_b32_e64 v12, 0x7ff00000, v12, s2
	s_and_b32 s2, s3, s2
	s_delay_alu instid0(VALU_DEP_4) | instid1(SALU_CYCLE_1)
	v_cndmask_b32_e64 v11, 0, v11, s2
	v_cmp_ngt_f64_e64 s2, |v[7:8]|, s[86:87]
	s_delay_alu instid0(VALU_DEP_3) | instskip(NEXT) | instid1(VALU_DEP_1)
	v_cndmask_b32_e64 v12, 0, v12, s3
	v_fma_f64 v[11:12], v[11:12], v[19:20], v[11:12]
	v_add_f64 v[9:10], v[23:24], v[9:10]
	s_delay_alu instid0(VALU_DEP_1) | instskip(NEXT) | instid1(VALU_DEP_1)
	v_fma_f64 v[9:10], v[29:30], v[9:10], v[21:22]
	v_mul_f64 v[9:10], v[11:12], v[9:10]
	s_delay_alu instid0(VALU_DEP_1) | instskip(NEXT) | instid1(VALU_DEP_2)
	v_cndmask_b32_e64 v10, 0, v10, s2
	v_cndmask_b32_e64 v9, 0, v9, s2
	v_cmp_gt_f64_e64 s2, 0, v[7:8]
	s_delay_alu instid0(VALU_DEP_2) | instskip(NEXT) | instid1(VALU_DEP_1)
	v_add_f64 v[11:12], -v[9:10], 2.0
	v_cndmask_b32_e64 v8, v10, v12, s2
	s_delay_alu instid0(VALU_DEP_2) | instskip(SKIP_1) | instid1(VALU_DEP_1)
	v_cndmask_b32_e64 v7, v9, v11, s2
	v_add_co_u32 v9, s2, v1, s92
	v_add_co_ci_u32_e64 v10, s2, 0, v2, s2
	global_store_b64 v[9:10], v[7:8], off
	s_or_b32 exec_lo, exec_lo, s4
	s_and_saveexec_b32 s3, vcc_lo
	s_cbranch_execz .LBB4_3
.LBB4_19:                               ;   in Loop: Header=BB4_4 Depth=1
	s_waitcnt vmcnt(0)
	v_add_f64 v[7:8], |v[5:6]|, 4.0
	v_add_f64 v[25:26], |v[5:6]|, |v[5:6]|
	s_delay_alu instid0(VALU_DEP_2) | instskip(NEXT) | instid1(VALU_DEP_1)
	v_rcp_f64_e32 v[9:10], v[7:8]
	v_add_f64 v[27:28], v[25:26], 1.0
	s_delay_alu instid0(VALU_DEP_1) | instskip(SKIP_2) | instid1(VALU_DEP_1)
	v_rcp_f64_e32 v[29:30], v[27:28]
	s_waitcnt_depctr 0xfff
	v_fma_f64 v[11:12], -v[7:8], v[9:10], 1.0
	v_fma_f64 v[9:10], v[11:12], v[9:10], v[9:10]
	v_add_f64 v[11:12], |v[5:6]|, -4.0
	v_fma_f64 v[31:32], -v[27:28], v[29:30], 1.0
	s_delay_alu instid0(VALU_DEP_3) | instskip(NEXT) | instid1(VALU_DEP_2)
	v_fma_f64 v[7:8], -v[7:8], v[9:10], 1.0
	v_fma_f64 v[29:30], v[31:32], v[29:30], v[29:30]
	s_delay_alu instid0(VALU_DEP_2) | instskip(NEXT) | instid1(VALU_DEP_2)
	v_fma_f64 v[7:8], v[7:8], v[9:10], v[9:10]
	v_fma_f64 v[27:28], -v[27:28], v[29:30], 1.0
	s_delay_alu instid0(VALU_DEP_2) | instskip(NEXT) | instid1(VALU_DEP_2)
	v_mul_f64 v[9:10], v[11:12], v[7:8]
	v_fma_f64 v[27:28], v[27:28], v[29:30], v[29:30]
	s_delay_alu instid0(VALU_DEP_2) | instskip(NEXT) | instid1(VALU_DEP_1)
	v_add_f64 v[11:12], v[9:10], 1.0
	v_fma_f64 v[11:12], v[11:12], -4.0, |v[5:6]|
	s_delay_alu instid0(VALU_DEP_1) | instskip(NEXT) | instid1(VALU_DEP_1)
	v_fma_f64 v[11:12], -v[9:10], |v[5:6]|, v[11:12]
	v_fma_f64 v[7:8], v[7:8], v[11:12], v[9:10]
	v_mul_f64 v[11:12], v[5:6], -v[5:6]
	s_delay_alu instid0(VALU_DEP_2) | instskip(NEXT) | instid1(VALU_DEP_2)
	v_fma_f64 v[9:10], v[7:8], s[44:45], s[42:43]
	v_mul_f64 v[19:20], v[11:12], s[14:15]
	v_cmp_nlt_f64_e32 vcc_lo, 0x40900000, v[11:12]
	v_cmp_ngt_f64_e64 s2, 0xc090cc00, v[11:12]
	s_delay_alu instid0(VALU_DEP_4) | instskip(NEXT) | instid1(VALU_DEP_4)
	v_fma_f64 v[9:10], v[7:8], v[9:10], s[46:47]
	v_rndne_f64_e32 v[19:20], v[19:20]
	s_delay_alu instid0(VALU_DEP_2) | instskip(NEXT) | instid1(VALU_DEP_2)
	v_fma_f64 v[9:10], v[7:8], v[9:10], s[48:49]
	v_fma_f64 v[21:22], v[19:20], s[16:17], v[11:12]
	v_cvt_i32_f64_e32 v29, v[19:20]
	s_delay_alu instid0(VALU_DEP_3) | instskip(NEXT) | instid1(VALU_DEP_3)
	v_fma_f64 v[9:10], v[7:8], v[9:10], s[50:51]
	v_fma_f64 v[21:22], v[19:20], s[18:19], v[21:22]
	s_delay_alu instid0(VALU_DEP_2) | instskip(NEXT) | instid1(VALU_DEP_2)
	v_fma_f64 v[9:10], v[7:8], v[9:10], s[52:53]
	v_fma_f64 v[23:24], v[21:22], s[22:23], s[20:21]
	s_delay_alu instid0(VALU_DEP_2) | instskip(NEXT) | instid1(VALU_DEP_2)
	v_fma_f64 v[9:10], v[7:8], v[9:10], s[54:55]
	v_fma_f64 v[23:24], v[21:22], v[23:24], s[24:25]
	s_delay_alu instid0(VALU_DEP_2) | instskip(NEXT) | instid1(VALU_DEP_2)
	v_fma_f64 v[9:10], v[7:8], v[9:10], s[56:57]
	v_fma_f64 v[23:24], v[21:22], v[23:24], s[26:27]
	s_delay_alu instid0(VALU_DEP_2) | instskip(NEXT) | instid1(VALU_DEP_2)
	v_fma_f64 v[9:10], v[7:8], v[9:10], s[58:59]
	v_fma_f64 v[23:24], v[21:22], v[23:24], s[28:29]
	s_delay_alu instid0(VALU_DEP_2) | instskip(NEXT) | instid1(VALU_DEP_2)
	v_fma_f64 v[9:10], v[7:8], v[9:10], s[60:61]
	v_fma_f64 v[23:24], v[21:22], v[23:24], s[30:31]
	s_delay_alu instid0(VALU_DEP_2) | instskip(NEXT) | instid1(VALU_DEP_2)
	v_fma_f64 v[9:10], v[7:8], v[9:10], s[62:63]
	v_fma_f64 v[23:24], v[21:22], v[23:24], s[34:35]
	s_delay_alu instid0(VALU_DEP_2) | instskip(NEXT) | instid1(VALU_DEP_2)
	v_fma_f64 v[9:10], v[7:8], v[9:10], s[64:65]
	v_fma_f64 v[23:24], v[21:22], v[23:24], s[36:37]
	s_delay_alu instid0(VALU_DEP_2) | instskip(NEXT) | instid1(VALU_DEP_2)
	v_fma_f64 v[9:10], v[7:8], v[9:10], s[66:67]
	v_fma_f64 v[23:24], v[21:22], v[23:24], s[38:39]
	s_delay_alu instid0(VALU_DEP_2) | instskip(NEXT) | instid1(VALU_DEP_2)
	v_fma_f64 v[9:10], v[7:8], v[9:10], s[68:69]
	v_fma_f64 v[23:24], v[21:22], v[23:24], s[40:41]
	s_delay_alu instid0(VALU_DEP_2) | instskip(NEXT) | instid1(VALU_DEP_2)
	v_fma_f64 v[9:10], v[7:8], v[9:10], s[70:71]
	v_fma_f64 v[23:24], v[21:22], v[23:24], 1.0
	s_delay_alu instid0(VALU_DEP_2) | instskip(NEXT) | instid1(VALU_DEP_1)
	v_fma_f64 v[9:10], v[7:8], v[9:10], s[72:73]
	v_fma_f64 v[9:10], v[7:8], v[9:10], s[74:75]
	s_delay_alu instid0(VALU_DEP_1) | instskip(NEXT) | instid1(VALU_DEP_1)
	v_fma_f64 v[9:10], v[7:8], v[9:10], s[76:77]
	v_fma_f64 v[9:10], v[7:8], v[9:10], s[78:79]
	s_delay_alu instid0(VALU_DEP_1) | instskip(NEXT) | instid1(VALU_DEP_1)
	v_fma_f64 v[9:10], v[7:8], v[9:10], s[80:81]
	v_fma_f64 v[9:10], v[7:8], v[9:10], s[82:83]
	s_delay_alu instid0(VALU_DEP_1) | instskip(SKIP_1) | instid1(VALU_DEP_2)
	v_fma_f64 v[7:8], v[7:8], v[9:10], s[84:85]
	v_fma_f64 v[9:10], v[21:22], v[23:24], 1.0
	v_fma_f64 v[19:20], v[7:8], v[27:28], v[27:28]
	s_delay_alu instid0(VALU_DEP_2) | instskip(NEXT) | instid1(VALU_DEP_2)
	v_ldexp_f64 v[9:10], v[9:10], v29
	v_fma_f64 v[21:22], -v[19:20], v[25:26], 1.0
	v_add_f64 v[7:8], v[7:8], -v[19:20]
	s_delay_alu instid0(VALU_DEP_3) | instskip(SKIP_2) | instid1(VALU_DEP_3)
	v_cndmask_b32_e32 v23, 0x7ff00000, v10, vcc_lo
	v_fma_f64 v[10:11], -v[5:6], v[5:6], -v[11:12]
	s_and_b32 vcc_lo, s2, vcc_lo
	v_add_f64 v[7:8], v[21:22], v[7:8]
	s_delay_alu instid0(VALU_DEP_3) | instskip(SKIP_2) | instid1(VALU_DEP_2)
	v_cndmask_b32_e64 v22, 0, v23, s2
	v_cndmask_b32_e32 v21, 0, v9, vcc_lo
	v_cmp_ngt_f64_e64 vcc_lo, |v[5:6]|, s[86:87]
	v_fma_f64 v[9:10], v[21:22], v[10:11], v[21:22]
	v_fma_f64 v[7:8], v[27:28], v[7:8], v[19:20]
	s_delay_alu instid0(VALU_DEP_1) | instskip(NEXT) | instid1(VALU_DEP_1)
	v_mul_f64 v[7:8], v[9:10], v[7:8]
	v_dual_cndmask_b32 v8, 0, v8 :: v_dual_cndmask_b32 v7, 0, v7
	v_cmp_gt_f64_e32 vcc_lo, 0, v[5:6]
	s_delay_alu instid0(VALU_DEP_2) | instskip(NEXT) | instid1(VALU_DEP_1)
	v_add_f64 v[9:10], -v[7:8], 2.0
	v_dual_cndmask_b32 v6, v8, v10 :: v_dual_cndmask_b32 v5, v7, v9
	v_add_co_u32 v7, vcc_lo, v1, s91
	v_add_co_ci_u32_e32 v8, vcc_lo, 0, v2, vcc_lo
	global_store_b64 v[7:8], v[5:6], off
	s_branch .LBB4_3
.LBB4_20:
	s_cbranch_execz .LBB4_22
	s_branch .LBB4_25
.LBB4_21:
.LBB4_22:
	s_waitcnt vmcnt(0)
	v_dual_mov_b32 v9, 0 :: v_dual_lshlrev_b32 v8, 2, v0
	s_mov_b32 s33, 0
	s_mov_b32 s2, exec_lo
	s_delay_alu instid0(VALU_DEP_1)
	v_cmpx_gt_i64_e64 s[8:9], v[8:9]
	s_cbranch_execz .LBB4_25
; %bb.23:
	s_load_b32 s0, s[0:1], 0xd3c
	v_lshlrev_b32_e32 v1, 5, v0
	s_mov_b32 s12, 0x652b82fe
	s_mov_b32 s14, 0xfefa39ef
	;; [unrolled: 1-line block ×18, first 2 shown]
	s_waitcnt lgkmcnt(0)
	s_and_b32 s0, s0, 0xffff
	s_mov_b32 s50, 0x71c907de
	s_lshl_b32 s84, s0, 2
	s_add_u32 s1, s6, s10
	v_add_lshl_u32 v8, v0, s0, 2
	s_addc_u32 s2, s7, s11
	v_add_co_u32 v0, s1, s1, v1
	s_delay_alu instid0(VALU_DEP_1) | instskip(SKIP_1) | instid1(VALU_DEP_2)
	v_add_co_ci_u32_e64 v1, null, s2, 0, s1
	s_mov_b32 s10, 0x1852b7b0
	v_add_co_u32 v10, vcc_lo, v0, 16
	s_delay_alu instid0(VALU_DEP_2)
	v_add_co_ci_u32_e32 v11, vcc_lo, 0, v1, vcc_lo
	s_mov_b32 s52, 0x2cd770fb
	s_mov_b32 s54, 0x76d0a51a
	;; [unrolled: 1-line block ×52, first 2 shown]
	s_lshl_b32 s7, s0, 5
.LBB4_24:                               ; =>This Inner Loop Header: Depth=1
	s_clause 0x1
	global_load_b128 v[4:7], v[10:11], off offset:-16
	global_load_b128 v[0:3], v[10:11], off
	s_waitcnt vmcnt(1)
	v_add_f64 v[12:13], |v[4:5]|, 4.0
	v_add_f64 v[14:15], |v[6:7]|, 4.0
	s_waitcnt vmcnt(0)
	v_add_f64 v[16:17], |v[0:1]|, 4.0
	v_add_f64 v[18:19], |v[2:3]|, 4.0
	v_add_f64 v[60:61], |v[4:5]|, |v[4:5]|
	v_add_f64 v[62:63], |v[6:7]|, |v[6:7]|
	;; [unrolled: 1-line block ×4, first 2 shown]
	v_rcp_f64_e32 v[20:21], v[12:13]
	v_rcp_f64_e32 v[22:23], v[14:15]
	;; [unrolled: 1-line block ×4, first 2 shown]
	s_delay_alu instid0(VALU_DEP_4) | instskip(NEXT) | instid1(VALU_DEP_4)
	v_add_f64 v[68:69], v[60:61], 1.0
	v_add_f64 v[70:71], v[62:63], 1.0
	s_delay_alu instid0(VALU_DEP_4) | instskip(NEXT) | instid1(VALU_DEP_4)
	v_add_f64 v[72:73], v[64:65], 1.0
	v_add_f64 v[74:75], v[66:67], 1.0
	v_fma_f64 v[28:29], -v[12:13], v[20:21], 1.0
	s_delay_alu instid0(TRANS32_DEP_3) | instskip(NEXT) | instid1(TRANS32_DEP_2)
	v_fma_f64 v[30:31], -v[14:15], v[22:23], 1.0
	v_fma_f64 v[32:33], -v[16:17], v[24:25], 1.0
	s_delay_alu instid0(TRANS32_DEP_1) | instskip(SKIP_4) | instid1(VALU_DEP_4)
	v_fma_f64 v[34:35], -v[18:19], v[26:27], 1.0
	v_rcp_f64_e32 v[76:77], v[68:69]
	v_rcp_f64_e32 v[78:79], v[70:71]
	;; [unrolled: 1-line block ×4, first 2 shown]
	v_fma_f64 v[20:21], v[28:29], v[20:21], v[20:21]
	s_delay_alu instid0(VALU_DEP_4) | instskip(NEXT) | instid1(VALU_DEP_4)
	v_fma_f64 v[22:23], v[30:31], v[22:23], v[22:23]
	v_fma_f64 v[24:25], v[32:33], v[24:25], v[24:25]
	s_delay_alu instid0(VALU_DEP_4) | instskip(SKIP_2) | instid1(TRANS32_DEP_3)
	v_fma_f64 v[26:27], v[34:35], v[26:27], v[26:27]
	v_add_f64 v[28:29], |v[4:5]|, -4.0
	v_fma_f64 v[84:85], -v[68:69], v[76:77], 1.0
	v_fma_f64 v[86:87], -v[70:71], v[78:79], 1.0
	s_delay_alu instid0(TRANS32_DEP_2) | instskip(NEXT) | instid1(TRANS32_DEP_1)
	v_fma_f64 v[88:89], -v[72:73], v[80:81], 1.0
	v_fma_f64 v[90:91], -v[74:75], v[82:83], 1.0
	;; [unrolled: 1-line block ×6, first 2 shown]
	v_fma_f64 v[76:77], v[84:85], v[76:77], v[76:77]
	v_fma_f64 v[78:79], v[86:87], v[78:79], v[78:79]
	;; [unrolled: 1-line block ×5, first 2 shown]
	v_add_f64 v[20:21], |v[6:7]|, -4.0
	v_fma_f64 v[14:15], v[14:15], v[22:23], v[22:23]
	v_fma_f64 v[16:17], v[16:17], v[24:25], v[24:25]
	v_add_f64 v[24:25], |v[2:3]|, -4.0
	v_fma_f64 v[18:19], v[18:19], v[26:27], v[26:27]
	v_add_f64 v[22:23], |v[0:1]|, -4.0
	v_fma_f64 v[68:69], -v[68:69], v[76:77], 1.0
	v_fma_f64 v[70:71], -v[70:71], v[78:79], 1.0
	;; [unrolled: 1-line block ×4, first 2 shown]
	v_mul_f64 v[26:27], v[28:29], v[12:13]
	v_mul_f64 v[20:21], v[20:21], v[14:15]
	v_mul_f64 v[24:25], v[24:25], v[18:19]
	v_mul_f64 v[22:23], v[22:23], v[16:17]
	v_fma_f64 v[68:69], v[68:69], v[76:77], v[76:77]
	v_add_f64 v[28:29], v[26:27], 1.0
	v_add_f64 v[30:31], v[20:21], 1.0
	;; [unrolled: 1-line block ×4, first 2 shown]
	s_delay_alu instid0(VALU_DEP_4) | instskip(NEXT) | instid1(VALU_DEP_4)
	v_fma_f64 v[28:29], v[28:29], -4.0, |v[4:5]|
	v_fma_f64 v[30:31], v[30:31], -4.0, |v[6:7]|
	s_delay_alu instid0(VALU_DEP_4) | instskip(NEXT) | instid1(VALU_DEP_4)
	v_fma_f64 v[34:35], v[34:35], -4.0, |v[2:3]|
	v_fma_f64 v[32:33], v[32:33], -4.0, |v[0:1]|
	s_delay_alu instid0(VALU_DEP_4) | instskip(NEXT) | instid1(VALU_DEP_4)
	v_fma_f64 v[28:29], -v[26:27], |v[4:5]|, v[28:29]
	v_fma_f64 v[30:31], -v[20:21], |v[6:7]|, v[30:31]
	s_delay_alu instid0(VALU_DEP_4) | instskip(NEXT) | instid1(VALU_DEP_4)
	v_fma_f64 v[34:35], -v[24:25], |v[2:3]|, v[34:35]
	v_fma_f64 v[32:33], -v[22:23], |v[0:1]|, v[32:33]
	s_delay_alu instid0(VALU_DEP_4)
	v_fma_f64 v[12:13], v[12:13], v[28:29], v[26:27]
	v_mul_f64 v[28:29], v[4:5], -v[4:5]
	v_fma_f64 v[14:15], v[14:15], v[30:31], v[20:21]
	v_mul_f64 v[30:31], v[6:7], -v[6:7]
	v_fma_f64 v[18:19], v[18:19], v[34:35], v[24:25]
	v_fma_f64 v[16:17], v[16:17], v[32:33], v[22:23]
	v_mul_f64 v[34:35], v[2:3], -v[2:3]
	v_mul_f64 v[32:33], v[0:1], -v[0:1]
	v_fma_f64 v[20:21], v[12:13], s[40:41], s[38:39]
	v_mul_f64 v[36:37], v[28:29], s[12:13]
	v_fma_f64 v[22:23], v[14:15], s[40:41], s[38:39]
	v_mul_f64 v[38:39], v[30:31], s[12:13]
	v_cmp_nlt_f64_e32 vcc_lo, 0x40900000, v[28:29]
	v_fma_f64 v[26:27], v[18:19], s[40:41], s[38:39]
	v_fma_f64 v[24:25], v[16:17], s[40:41], s[38:39]
	v_mul_f64 v[42:43], v[34:35], s[12:13]
	v_mul_f64 v[40:41], v[32:33], s[12:13]
	v_cmp_ngt_f64_e64 s0, 0xc090cc00, v[28:29]
	v_cmp_nlt_f64_e64 s1, 0x40900000, v[30:31]
	v_cmp_ngt_f64_e64 s2, 0xc090cc00, v[30:31]
	v_cmp_nlt_f64_e64 s3, 0x40900000, v[32:33]
	;; [unrolled: 2-line block ×3, first 2 shown]
	v_cmp_ngt_f64_e64 s6, 0xc090cc00, v[34:35]
	v_fma_f64 v[20:21], v[12:13], v[20:21], s[42:43]
	v_rndne_f64_e32 v[36:37], v[36:37]
	v_fma_f64 v[22:23], v[14:15], v[22:23], s[42:43]
	v_rndne_f64_e32 v[38:39], v[38:39]
	v_fma_f64 v[26:27], v[18:19], v[26:27], s[42:43]
	v_fma_f64 v[24:25], v[16:17], v[24:25], s[42:43]
	v_rndne_f64_e32 v[42:43], v[42:43]
	v_rndne_f64_e32 v[40:41], v[40:41]
	v_fma_f64 v[20:21], v[12:13], v[20:21], s[44:45]
	v_fma_f64 v[44:45], v[36:37], s[14:15], v[28:29]
	;; [unrolled: 1-line block ×89, first 2 shown]
	v_fma_f64 v[52:53], v[44:45], v[52:53], 1.0
	v_fma_f64 v[22:23], v[14:15], v[22:23], s[66:67]
	v_fma_f64 v[54:55], v[46:47], v[54:55], 1.0
	v_fma_f64 v[26:27], v[18:19], v[26:27], s[66:67]
	v_fma_f64 v[24:25], v[16:17], v[24:25], s[66:67]
	v_fma_f64 v[58:59], v[50:51], v[58:59], 1.0
	v_fma_f64 v[56:57], v[48:49], v[56:57], 1.0
	v_fma_f64 v[20:21], v[12:13], v[20:21], s[68:69]
	v_fma_f64 v[22:23], v[14:15], v[22:23], s[68:69]
	;; [unrolled: 1-line block ×4, first 2 shown]
	s_delay_alu instid0(VALU_DEP_4) | instskip(NEXT) | instid1(VALU_DEP_4)
	v_fma_f64 v[20:21], v[12:13], v[20:21], s[70:71]
	v_fma_f64 v[22:23], v[14:15], v[22:23], s[70:71]
	s_delay_alu instid0(VALU_DEP_4) | instskip(NEXT) | instid1(VALU_DEP_4)
	v_fma_f64 v[26:27], v[18:19], v[26:27], s[70:71]
	v_fma_f64 v[24:25], v[16:17], v[24:25], s[70:71]
	;; [unrolled: 3-line block ×10, first 2 shown]
	s_delay_alu instid0(VALU_DEP_4)
	v_fma_f64 v[12:13], v[12:13], v[20:21], s[80:81]
	v_fma_f64 v[20:21], v[70:71], v[78:79], v[78:79]
	v_cvt_i32_f64_e32 v70, v[36:37]
	v_fma_f64 v[36:37], v[46:47], v[54:55], 1.0
	v_cvt_i32_f64_e32 v54, v[42:43]
	v_fma_f64 v[18:19], v[18:19], v[26:27], s[80:81]
	v_fma_f64 v[26:27], v[44:45], v[52:53], 1.0
	v_fma_f64 v[14:15], v[14:15], v[22:23], s[80:81]
	v_fma_f64 v[22:23], v[72:73], v[80:81], v[80:81]
	;; [unrolled: 1-line block ×3, first 2 shown]
	v_cvt_i32_f64_e32 v53, v[40:41]
	v_fma_f64 v[40:41], v[50:51], v[58:59], 1.0
	v_cvt_i32_f64_e32 v52, v[38:39]
	v_fma_f64 v[38:39], v[48:49], v[56:57], 1.0
	v_fma_f64 v[24:25], v[74:75], v[82:83], v[82:83]
	v_fma_f64 v[42:43], v[12:13], v[68:69], v[68:69]
	v_ldexp_f64 v[26:27], v[26:27], v70
	v_fma_f64 v[44:45], v[14:15], v[20:21], v[20:21]
	v_fma_f64 v[46:47], v[16:17], v[22:23], v[22:23]
	v_ldexp_f64 v[40:41], v[40:41], v54
	v_ldexp_f64 v[36:37], v[36:37], v52
	;; [unrolled: 1-line block ×3, first 2 shown]
	v_fma_f64 v[48:49], v[18:19], v[24:25], v[24:25]
	v_fma_f64 v[50:51], -v[42:43], v[60:61], 1.0
	v_add_f64 v[12:13], v[12:13], -v[42:43]
	v_cndmask_b32_e32 v58, 0x7ff00000, v27, vcc_lo
	v_fma_f64 v[27:28], -v[4:5], v[4:5], -v[28:29]
	v_fma_f64 v[52:53], -v[44:45], v[62:63], 1.0
	v_add_f64 v[14:15], v[14:15], -v[44:45]
	v_fma_f64 v[54:55], -v[46:47], v[64:65], 1.0
	v_add_f64 v[16:17], v[16:17], -v[46:47]
	s_and_b32 vcc_lo, s0, vcc_lo
	v_fma_f64 v[29:30], -v[6:7], v[6:7], -v[30:31]
	v_fma_f64 v[31:32], -v[0:1], v[0:1], -v[32:33]
	v_cndmask_b32_e64 v39, 0x7ff00000, v39, s3
	v_fma_f64 v[56:57], -v[48:49], v[66:67], 1.0
	v_add_f64 v[18:19], v[18:19], -v[48:49]
	v_cndmask_b32_e64 v37, 0x7ff00000, v37, s1
	v_fma_f64 v[33:34], -v[2:3], v[2:3], -v[34:35]
	v_cndmask_b32_e64 v39, 0, v39, s4
	v_cndmask_b32_e64 v41, 0x7ff00000, v41, s5
	s_delay_alu instid0(VALU_DEP_4) | instskip(NEXT) | instid1(VALU_DEP_2)
	v_cndmask_b32_e64 v37, 0, v37, s2
	v_cndmask_b32_e64 v41, 0, v41, s6
	v_add_f64 v[12:13], v[50:51], v[12:13]
	v_cndmask_b32_e64 v51, 0, v58, s0
	v_cndmask_b32_e32 v50, 0, v26, vcc_lo
	s_and_b32 vcc_lo, s2, s1
	v_cmp_ngt_f64_e64 s1, |v[0:1]|, s[82:83]
	v_cndmask_b32_e32 v36, 0, v36, vcc_lo
	s_and_b32 vcc_lo, s4, s3
	v_fma_f64 v[26:27], v[50:51], v[27:28], v[50:51]
	v_add_f64 v[14:15], v[52:53], v[14:15]
	v_cndmask_b32_e32 v38, 0, v38, vcc_lo
	v_add_f64 v[16:17], v[54:55], v[16:17]
	s_and_b32 vcc_lo, s6, s5
	v_cmp_ngt_f64_e64 s0, |v[6:7]|, s[82:83]
	v_cndmask_b32_e32 v40, 0, v40, vcc_lo
	v_cmp_ngt_f64_e64 vcc_lo, |v[4:5]|, s[82:83]
	v_cmp_ngt_f64_e64 s2, |v[2:3]|, s[82:83]
	v_add_f64 v[18:19], v[56:57], v[18:19]
	v_cmp_le_i64_e64 s3, s[8:9], v[8:9]
	v_cmp_lt_u64_e64 s4, 0xffff, v[8:9]
	v_fma_f64 v[12:13], v[68:69], v[12:13], v[42:43]
	v_fma_f64 v[14:15], v[20:21], v[14:15], v[44:45]
	v_fma_f64 v[20:21], v[38:39], v[31:32], v[38:39]
	v_fma_f64 v[16:17], v[22:23], v[16:17], v[46:47]
	v_fma_f64 v[22:23], v[40:41], v[33:34], v[40:41]
	v_fma_f64 v[18:19], v[24:25], v[18:19], v[48:49]
	v_mul_f64 v[12:13], v[26:27], v[12:13]
	s_delay_alu instid0(VALU_DEP_4) | instskip(NEXT) | instid1(VALU_DEP_3)
	v_mul_f64 v[16:17], v[20:21], v[16:17]
	v_mul_f64 v[18:19], v[22:23], v[18:19]
	s_delay_alu instid0(VALU_DEP_3) | instskip(SKIP_1) | instid1(VALU_DEP_2)
	v_dual_cndmask_b32 v13, 0, v13 :: v_dual_cndmask_b32 v12, 0, v12
	v_cmp_gt_f64_e32 vcc_lo, 0, v[4:5]
	v_add_f64 v[20:21], -v[12:13], 2.0
	v_cndmask_b32_e64 v17, 0, v17, s1
	v_cndmask_b32_e64 v16, 0, v16, s1
	v_cmp_gt_f64_e64 s1, 0, v[0:1]
	v_cndmask_b32_e64 v19, 0, v19, s2
	v_cndmask_b32_e64 v18, 0, v18, s2
	v_cmp_gt_f64_e64 s2, 0, v[2:3]
	s_delay_alu instid0(VALU_DEP_2)
	v_add_f64 v[22:23], -v[18:19], 2.0
	v_cndmask_b32_e32 v1, v13, v21, vcc_lo
	v_fma_f64 v[28:29], v[36:37], v[29:30], v[36:37]
	v_cndmask_b32_e32 v0, v12, v20, vcc_lo
	v_add_co_u32 v8, vcc_lo, v8, s84
	v_add_co_ci_u32_e32 v9, vcc_lo, 0, v9, vcc_lo
	s_delay_alu instid0(VALU_DEP_4) | instskip(NEXT) | instid1(VALU_DEP_1)
	v_mul_f64 v[14:15], v[28:29], v[14:15]
	v_cndmask_b32_e64 v15, 0, v15, s0
	s_delay_alu instid0(VALU_DEP_2) | instskip(SKIP_2) | instid1(VALU_DEP_3)
	v_cndmask_b32_e64 v14, 0, v14, s0
	v_cmp_gt_f64_e64 s0, 0, v[6:7]
	v_add_f64 v[6:7], -v[16:17], 2.0
	v_add_f64 v[4:5], -v[14:15], 2.0
	s_delay_alu instid0(VALU_DEP_1) | instskip(NEXT) | instid1(VALU_DEP_2)
	v_cndmask_b32_e64 v3, v15, v5, s0
	v_cndmask_b32_e64 v2, v14, v4, s0
	s_delay_alu instid0(VALU_DEP_4)
	v_cndmask_b32_e64 v5, v17, v7, s1
	v_cndmask_b32_e64 v4, v16, v6, s1
	v_cndmask_b32_e64 v7, v19, v23, s2
	v_cndmask_b32_e64 v6, v18, v22, s2
	s_clause 0x1
	global_store_b128 v[10:11], v[0:3], off offset:-16
	global_store_b128 v[10:11], v[4:7], off
	v_add_co_u32 v10, vcc_lo, v10, s7
	s_or_b32 s0, s3, s4
	v_add_co_ci_u32_e32 v11, vcc_lo, 0, v11, vcc_lo
	s_and_b32 s0, exec_lo, s0
	s_delay_alu instid0(SALU_CYCLE_1) | instskip(NEXT) | instid1(SALU_CYCLE_1)
	s_or_b32 s33, s0, s33
	s_and_not1_b32 exec_lo, exec_lo, s33
	s_cbranch_execnz .LBB4_24
.LBB4_25:
	s_nop 0
	s_sendmsg sendmsg(MSG_DEALLOC_VGPRS)
	s_endpgm
	.section	.rodata,"a",@progbits
	.p2align	6, 0x0
	.amdhsa_kernel _ZN2at6native12_GLOBAL__N_125multi_tensor_apply_kernelINS1_18TensorListMetadataILi1EEENS1_14UnaryOpFunctorIdLi1ELi1ELi0EEEJNS0_4ErfcIdEEEEEvT_T0_DpT1_
		.amdhsa_group_segment_fixed_size 0
		.amdhsa_private_segment_fixed_size 0
		.amdhsa_kernarg_size 3632
		.amdhsa_user_sgpr_count 15
		.amdhsa_user_sgpr_dispatch_ptr 0
		.amdhsa_user_sgpr_queue_ptr 0
		.amdhsa_user_sgpr_kernarg_segment_ptr 1
		.amdhsa_user_sgpr_dispatch_id 0
		.amdhsa_user_sgpr_private_segment_size 0
		.amdhsa_wavefront_size32 1
		.amdhsa_uses_dynamic_stack 0
		.amdhsa_enable_private_segment 0
		.amdhsa_system_sgpr_workgroup_id_x 1
		.amdhsa_system_sgpr_workgroup_id_y 0
		.amdhsa_system_sgpr_workgroup_id_z 0
		.amdhsa_system_sgpr_workgroup_info 0
		.amdhsa_system_vgpr_workitem_id 0
		.amdhsa_next_free_vgpr 92
		.amdhsa_next_free_sgpr 94
		.amdhsa_reserve_vcc 1
		.amdhsa_float_round_mode_32 0
		.amdhsa_float_round_mode_16_64 0
		.amdhsa_float_denorm_mode_32 3
		.amdhsa_float_denorm_mode_16_64 3
		.amdhsa_dx10_clamp 1
		.amdhsa_ieee_mode 1
		.amdhsa_fp16_overflow 0
		.amdhsa_workgroup_processor_mode 1
		.amdhsa_memory_ordered 1
		.amdhsa_forward_progress 0
		.amdhsa_shared_vgpr_count 0
		.amdhsa_exception_fp_ieee_invalid_op 0
		.amdhsa_exception_fp_denorm_src 0
		.amdhsa_exception_fp_ieee_div_zero 0
		.amdhsa_exception_fp_ieee_overflow 0
		.amdhsa_exception_fp_ieee_underflow 0
		.amdhsa_exception_fp_ieee_inexact 0
		.amdhsa_exception_int_div_zero 0
	.end_amdhsa_kernel
	.section	.text._ZN2at6native12_GLOBAL__N_125multi_tensor_apply_kernelINS1_18TensorListMetadataILi1EEENS1_14UnaryOpFunctorIdLi1ELi1ELi0EEEJNS0_4ErfcIdEEEEEvT_T0_DpT1_,"axG",@progbits,_ZN2at6native12_GLOBAL__N_125multi_tensor_apply_kernelINS1_18TensorListMetadataILi1EEENS1_14UnaryOpFunctorIdLi1ELi1ELi0EEEJNS0_4ErfcIdEEEEEvT_T0_DpT1_,comdat
.Lfunc_end4:
	.size	_ZN2at6native12_GLOBAL__N_125multi_tensor_apply_kernelINS1_18TensorListMetadataILi1EEENS1_14UnaryOpFunctorIdLi1ELi1ELi0EEEJNS0_4ErfcIdEEEEEvT_T0_DpT1_, .Lfunc_end4-_ZN2at6native12_GLOBAL__N_125multi_tensor_apply_kernelINS1_18TensorListMetadataILi1EEENS1_14UnaryOpFunctorIdLi1ELi1ELi0EEEJNS0_4ErfcIdEEEEEvT_T0_DpT1_
                                        ; -- End function
	.section	.AMDGPU.csdata,"",@progbits
; Kernel info:
; codeLenInByte = 7792
; NumSgprs: 96
; NumVgprs: 92
; ScratchSize: 0
; MemoryBound: 0
; FloatMode: 240
; IeeeMode: 1
; LDSByteSize: 0 bytes/workgroup (compile time only)
; SGPRBlocks: 11
; VGPRBlocks: 11
; NumSGPRsForWavesPerEU: 96
; NumVGPRsForWavesPerEU: 92
; Occupancy: 16
; WaveLimiterHint : 0
; COMPUTE_PGM_RSRC2:SCRATCH_EN: 0
; COMPUTE_PGM_RSRC2:USER_SGPR: 15
; COMPUTE_PGM_RSRC2:TRAP_HANDLER: 0
; COMPUTE_PGM_RSRC2:TGID_X_EN: 1
; COMPUTE_PGM_RSRC2:TGID_Y_EN: 0
; COMPUTE_PGM_RSRC2:TGID_Z_EN: 0
; COMPUTE_PGM_RSRC2:TIDIG_COMP_CNT: 0
	.section	.text._ZN2at6native12_GLOBAL__N_125multi_tensor_apply_kernelINS1_18TensorListMetadataILi1EEENS1_14UnaryOpFunctorIfLi1ELi1ELi0EEEJNS0_4ErfcIfEEEEEvT_T0_DpT1_,"axG",@progbits,_ZN2at6native12_GLOBAL__N_125multi_tensor_apply_kernelINS1_18TensorListMetadataILi1EEENS1_14UnaryOpFunctorIfLi1ELi1ELi0EEEJNS0_4ErfcIfEEEEEvT_T0_DpT1_,comdat
	.globl	_ZN2at6native12_GLOBAL__N_125multi_tensor_apply_kernelINS1_18TensorListMetadataILi1EEENS1_14UnaryOpFunctorIfLi1ELi1ELi0EEEJNS0_4ErfcIfEEEEEvT_T0_DpT1_ ; -- Begin function _ZN2at6native12_GLOBAL__N_125multi_tensor_apply_kernelINS1_18TensorListMetadataILi1EEENS1_14UnaryOpFunctorIfLi1ELi1ELi0EEEJNS0_4ErfcIfEEEEEvT_T0_DpT1_
	.p2align	8
	.type	_ZN2at6native12_GLOBAL__N_125multi_tensor_apply_kernelINS1_18TensorListMetadataILi1EEENS1_14UnaryOpFunctorIfLi1ELi1ELi0EEEJNS0_4ErfcIfEEEEEvT_T0_DpT1_,@function
_ZN2at6native12_GLOBAL__N_125multi_tensor_apply_kernelINS1_18TensorListMetadataILi1EEENS1_14UnaryOpFunctorIfLi1ELi1ELi0EEEJNS0_4ErfcIfEEEEEvT_T0_DpT1_: ; @_ZN2at6native12_GLOBAL__N_125multi_tensor_apply_kernelINS1_18TensorListMetadataILi1EEENS1_14UnaryOpFunctorIfLi1ELi1ELi0EEEJNS0_4ErfcIfEEEEEvT_T0_DpT1_
; %bb.0:
	v_mov_b32_e32 v1, s15
	s_add_u32 s2, s0, s15
	s_mul_hi_u32 s3, s15, 3
	s_mul_i32 s15, s15, 3
	s_addc_u32 s4, s1, 0
	global_load_u8 v1, v1, s[0:1] offset:1760
	s_add_u32 s2, s2, s15
	s_addc_u32 s3, s4, s3
	s_mov_b32 s13, 0
	s_load_b32 s2, s[2:3], 0x820
	s_waitcnt vmcnt(0)
	v_readfirstlane_b32 s5, v1
	s_delay_alu instid0(VALU_DEP_1)
	s_lshl_b32 s3, s5, 3
	s_clause 0x1
	s_load_b64 s[8:9], s[0:1], s3 offset:0x0
	s_load_b64 s[4:5], s[0:1], s3 offset:0x370
	s_waitcnt lgkmcnt(0)
	s_ashr_i32 s3, s2, 31
	s_delay_alu instid0(SALU_CYCLE_1)
	s_lshl_b64 s[10:11], s[2:3], 18
	s_lshl_b64 s[2:3], s[2:3], 16
	s_and_b32 s12, s8, 15
	s_sub_u32 s6, s4, s2
	s_subb_u32 s7, s5, s3
	s_and_b32 s2, s4, 3
	s_mov_b32 s3, s13
	s_delay_alu instid0(SALU_CYCLE_1) | instskip(NEXT) | instid1(SALU_CYCLE_1)
	s_or_b64 s[2:3], s[12:13], s[2:3]
	s_cmp_eq_u64 s[2:3], 0
	s_cbranch_scc1 .LBB5_21
; %bb.1:
	v_cmp_lt_i64_e64 s2, s[6:7], 1
	s_delay_alu instid0(VALU_DEP_1)
	s_and_b32 vcc_lo, exec_lo, s2
	s_cbranch_vccnz .LBB5_20
; %bb.2:
	s_load_b32 s2, s[0:1], 0xd3c
	v_cmp_gt_u64_e64 s3, 0x10000, s[6:7]
	v_lshlrev_b32_e32 v1, 2, v0
	s_mov_b32 s20, 0xb9d6f8c4
	s_waitcnt lgkmcnt(0)
	s_and_b32 s2, s2, 0xffff
	s_delay_alu instid0(VALU_DEP_2)
	s_and_b32 s3, s3, exec_lo
	v_add_co_u32 v5, s5, v0, s2
	s_cselect_b32 s13, s7, 0
	s_cselect_b32 s12, s6, 0x10000
	s_lshl_b32 s3, s2, 1
	s_lshl_b32 s16, s2, 2
	v_lshlrev_b32_e32 v3, 2, v5
	v_add_co_ci_u32_e64 v6, null, 0, 0, s5
	s_add_u32 s5, s8, s10
	v_add_co_u32 v9, s3, s3, v0
	s_mul_i32 s4, s2, 3
	s_addc_u32 s14, s9, s11
	v_add_co_ci_u32_e64 v10, null, 0, 0, s3
	v_add_co_u32 v1, s3, s5, v1
	v_add_co_u32 v7, s4, s4, v0
	v_add_co_ci_u32_e64 v2, null, s14, 0, s3
	v_add_co_u32 v3, s3, s5, v3
	v_add_co_ci_u32_e64 v8, null, 0, 0, s4
	v_add_co_ci_u32_e64 v4, null, s14, 0, s3
	s_mul_i32 s17, s2, 12
	s_lshl_b32 s18, s2, 4
	s_lshl_b32 s19, s2, 3
	s_mov_b64 s[14:15], 0
	s_branch .LBB5_4
.LBB5_3:                                ;   in Loop: Header=BB5_4 Depth=1
	s_or_b32 exec_lo, exec_lo, s2
	s_add_u32 s14, s14, s16
	s_addc_u32 s15, s15, 0
	v_add_co_u32 v1, vcc_lo, v1, s18
	v_cmp_lt_i64_e64 s2, s[14:15], s[6:7]
	v_cmp_gt_u64_e64 s3, 0x10000, s[14:15]
	v_add_co_ci_u32_e32 v2, vcc_lo, 0, v2, vcc_lo
	v_add_co_u32 v3, vcc_lo, v3, s18
	v_add_co_ci_u32_e32 v4, vcc_lo, 0, v4, vcc_lo
	s_delay_alu instid0(VALU_DEP_4) | instskip(NEXT) | instid1(SALU_CYCLE_1)
	s_and_b32 s2, s2, s3
	s_and_b32 vcc_lo, exec_lo, s2
	s_cbranch_vccz .LBB5_20
.LBB5_4:                                ; =>This Inner Loop Header: Depth=1
	s_waitcnt vmcnt(0)
	v_add_co_u32 v11, s2, v0, s14
	s_delay_alu instid0(VALU_DEP_1) | instskip(SKIP_1) | instid1(VALU_DEP_2)
	v_add_co_ci_u32_e64 v12, null, 0, s15, s2
	v_mov_b32_e32 v14, 0
	v_cmp_gt_u64_e64 s4, s[12:13], v[11:12]
	s_delay_alu instid0(VALU_DEP_1)
	s_and_saveexec_b32 s2, s4
	s_cbranch_execz .LBB5_6
; %bb.5:                                ;   in Loop: Header=BB5_4 Depth=1
	global_load_b32 v14, v[1:2], off
.LBB5_6:                                ;   in Loop: Header=BB5_4 Depth=1
	s_or_b32 exec_lo, exec_lo, s2
	v_add_co_u32 v11, vcc_lo, v5, s14
	v_add_co_ci_u32_e32 v12, vcc_lo, s15, v6, vcc_lo
	v_mov_b32_e32 v13, 0
	s_delay_alu instid0(VALU_DEP_2) | instskip(NEXT) | instid1(VALU_DEP_1)
	v_cmp_gt_u64_e64 s3, s[12:13], v[11:12]
	s_and_saveexec_b32 s2, s3
	s_cbranch_execz .LBB5_8
; %bb.7:                                ;   in Loop: Header=BB5_4 Depth=1
	global_load_b32 v13, v[3:4], off
.LBB5_8:                                ;   in Loop: Header=BB5_4 Depth=1
	s_or_b32 exec_lo, exec_lo, s2
	v_add_co_u32 v11, vcc_lo, v9, s14
	v_add_co_ci_u32_e32 v12, vcc_lo, s15, v10, vcc_lo
	s_delay_alu instid0(VALU_DEP_1) | instskip(SKIP_1) | instid1(VALU_DEP_2)
	v_cmp_gt_u64_e64 s2, s[12:13], v[11:12]
	v_dual_mov_b32 v11, 0 :: v_dual_mov_b32 v12, 0
	s_and_saveexec_b32 s5, s2
	s_cbranch_execz .LBB5_10
; %bb.9:                                ;   in Loop: Header=BB5_4 Depth=1
	v_add_co_u32 v15, vcc_lo, v1, s19
	v_add_co_ci_u32_e32 v16, vcc_lo, 0, v2, vcc_lo
	global_load_b32 v12, v[15:16], off
.LBB5_10:                               ;   in Loop: Header=BB5_4 Depth=1
	s_or_b32 exec_lo, exec_lo, s5
	v_add_co_u32 v15, vcc_lo, v7, s14
	v_add_co_ci_u32_e32 v16, vcc_lo, s15, v8, vcc_lo
	s_delay_alu instid0(VALU_DEP_1)
	v_cmp_gt_u64_e32 vcc_lo, s[12:13], v[15:16]
	s_and_saveexec_b32 s21, vcc_lo
	s_cbranch_execnz .LBB5_15
; %bb.11:                               ;   in Loop: Header=BB5_4 Depth=1
	s_or_b32 exec_lo, exec_lo, s21
	s_and_saveexec_b32 s5, s4
	s_cbranch_execnz .LBB5_16
.LBB5_12:                               ;   in Loop: Header=BB5_4 Depth=1
	s_or_b32 exec_lo, exec_lo, s5
	s_and_saveexec_b32 s4, s3
	s_cbranch_execnz .LBB5_17
.LBB5_13:                               ;   in Loop: Header=BB5_4 Depth=1
	s_or_b32 exec_lo, exec_lo, s4
	s_and_saveexec_b32 s3, s2
	s_cbranch_execnz .LBB5_18
.LBB5_14:                               ;   in Loop: Header=BB5_4 Depth=1
	s_or_b32 exec_lo, exec_lo, s3
	s_and_saveexec_b32 s2, vcc_lo
	s_cbranch_execz .LBB5_3
	s_branch .LBB5_19
.LBB5_15:                               ;   in Loop: Header=BB5_4 Depth=1
	v_add_co_u32 v15, s5, v1, s17
	s_delay_alu instid0(VALU_DEP_1)
	v_add_co_ci_u32_e64 v16, s5, 0, v2, s5
	global_load_b32 v11, v[15:16], off
	s_or_b32 exec_lo, exec_lo, s21
	s_and_saveexec_b32 s5, s4
	s_cbranch_execz .LBB5_12
.LBB5_16:                               ;   in Loop: Header=BB5_4 Depth=1
	s_waitcnt vmcnt(0)
	v_add_f32_e64 v15, |v14|, 2.0
	v_add_f32_e64 v16, |v14|, -2.0
	v_add_f32_e64 v21, |v14|, |v14|
	s_delay_alu instid0(VALU_DEP_3) | instskip(NEXT) | instid1(VALU_DEP_1)
	v_rcp_f32_e32 v15, v15
	v_add_f32_e32 v22, 1.0, v21
	s_waitcnt_depctr 0xfff
	v_mul_f32_e32 v16, v16, v15
	s_delay_alu instid0(VALU_DEP_1) | instskip(NEXT) | instid1(VALU_DEP_1)
	v_add_f32_e32 v17, 1.0, v16
	v_fma_f32 v17, v17, -2.0, |v14|
	s_delay_alu instid0(VALU_DEP_1) | instskip(NEXT) | instid1(VALU_DEP_1)
	v_fma_f32 v17, -v16, |v14|, v17
	v_fmac_f32_e32 v16, v15, v17
	v_mul_f32_e64 v17, v14, -v14
	s_delay_alu instid0(VALU_DEP_2) | instskip(NEXT) | instid1(VALU_DEP_2)
	v_fmaak_f32 v15, s20, v16, 0xbaa2d753
	v_mul_f32_e32 v18, 0x3fb8aa3b, v17
	v_cmp_ngt_f32_e64 s4, 0xc2ce8ed0, v17
	s_delay_alu instid0(VALU_DEP_2) | instskip(SKIP_1) | instid1(VALU_DEP_2)
	v_rndne_f32_e32 v19, v18
	v_fma_f32 v20, 0x3fb8aa3b, v17, -v18
	v_sub_f32_e32 v18, v18, v19
	s_delay_alu instid0(VALU_DEP_2) | instskip(SKIP_2) | instid1(VALU_DEP_2)
	v_fmac_f32_e32 v20, 0x32a5705f, v17
	v_fmaak_f32 v15, v16, v15, 0x3aad2fb4
	v_cvt_i32_f32_e32 v19, v19
	v_dual_add_f32 v18, v18, v20 :: v_dual_fmaak_f32 v15, v16, v15, 0x3c0da267
	v_rcp_f32_e32 v20, v22
	s_delay_alu instid0(VALU_DEP_1) | instskip(NEXT) | instid1(VALU_DEP_1)
	v_exp_f32_e32 v18, v18
	v_fmaak_f32 v15, v16, v15, 0xbc0415b1
	s_delay_alu instid0(VALU_DEP_1) | instskip(NEXT) | instid1(VALU_DEP_1)
	v_fmaak_f32 v15, v16, v15, 0xbd5e0a18
	v_fmaak_f32 v15, v16, v15, 0x3e27fe2a
	s_delay_alu instid0(VALU_DEP_1) | instskip(NEXT) | instid1(VALU_DEP_1)
	v_fmaak_f32 v15, v16, v15, 0xbe2a03fd
	v_fmaak_f32 v15, v16, v15, 0xbdbdfb0b
	s_delay_alu instid0(VALU_DEP_1) | instskip(NEXT) | instid1(TRANS32_DEP_1)
	v_fmaak_f32 v15, v16, v15, 0x3e8dd01c
	v_ldexp_f32 v16, v18, v19
	s_delay_alu instid0(TRANS32_DEP_2) | instid1(VALU_DEP_2)
	v_fma_f32 v18, v15, v20, v20
	s_delay_alu instid0(VALU_DEP_2) | instskip(SKIP_2) | instid1(VALU_DEP_4)
	v_cndmask_b32_e64 v16, 0, v16, s4
	v_cmp_nlt_f32_e64 s4, 0x42b17218, v17
	v_fma_f32 v17, -v14, v14, -v17
	v_fma_f32 v19, -v18, v21, 1.0
	v_sub_f32_e32 v15, v15, v18
	s_delay_alu instid0(VALU_DEP_4) | instskip(SKIP_1) | instid1(VALU_DEP_2)
	v_cndmask_b32_e64 v16, 0x7f800000, v16, s4
	v_cmp_nlt_f32_e64 s4, 0x4120ddfc, |v14|
	v_dual_add_f32 v15, v19, v15 :: v_dual_fmac_f32 v16, v16, v17
	s_delay_alu instid0(VALU_DEP_1) | instskip(NEXT) | instid1(VALU_DEP_1)
	v_fmac_f32_e32 v18, v20, v15
	v_mul_f32_e32 v15, v16, v18
	s_delay_alu instid0(VALU_DEP_1) | instskip(SKIP_1) | instid1(VALU_DEP_2)
	v_cndmask_b32_e64 v15, 0, v15, s4
	v_cmp_gt_f32_e64 s4, 0, v14
	v_sub_f32_e32 v16, 2.0, v15
	s_delay_alu instid0(VALU_DEP_1)
	v_cndmask_b32_e64 v14, v15, v16, s4
	global_store_b32 v[1:2], v14, off
	s_or_b32 exec_lo, exec_lo, s5
	s_and_saveexec_b32 s4, s3
	s_cbranch_execz .LBB5_13
.LBB5_17:                               ;   in Loop: Header=BB5_4 Depth=1
	s_waitcnt vmcnt(0)
	v_add_f32_e64 v14, |v13|, 2.0
	v_add_f32_e64 v15, |v13|, -2.0
	v_add_f32_e64 v20, |v13|, |v13|
	s_delay_alu instid0(VALU_DEP_3) | instskip(NEXT) | instid1(VALU_DEP_1)
	v_rcp_f32_e32 v14, v14
	v_add_f32_e32 v21, 1.0, v20
	s_waitcnt_depctr 0xfff
	v_mul_f32_e32 v15, v15, v14
	s_delay_alu instid0(VALU_DEP_1) | instskip(NEXT) | instid1(VALU_DEP_1)
	v_add_f32_e32 v16, 1.0, v15
	v_fma_f32 v16, v16, -2.0, |v13|
	s_delay_alu instid0(VALU_DEP_1) | instskip(NEXT) | instid1(VALU_DEP_1)
	v_fma_f32 v16, -v15, |v13|, v16
	v_fmac_f32_e32 v15, v14, v16
	v_mul_f32_e64 v16, v13, -v13
	s_delay_alu instid0(VALU_DEP_2) | instskip(NEXT) | instid1(VALU_DEP_2)
	v_fmaak_f32 v14, s20, v15, 0xbaa2d753
	v_mul_f32_e32 v17, 0x3fb8aa3b, v16
	v_cmp_ngt_f32_e64 s3, 0xc2ce8ed0, v16
	s_delay_alu instid0(VALU_DEP_2) | instskip(SKIP_1) | instid1(VALU_DEP_2)
	v_rndne_f32_e32 v18, v17
	v_fma_f32 v19, 0x3fb8aa3b, v16, -v17
	v_sub_f32_e32 v17, v17, v18
	s_delay_alu instid0(VALU_DEP_2) | instskip(SKIP_2) | instid1(VALU_DEP_2)
	v_fmac_f32_e32 v19, 0x32a5705f, v16
	v_fmaak_f32 v14, v15, v14, 0x3aad2fb4
	v_cvt_i32_f32_e32 v18, v18
	v_dual_add_f32 v17, v17, v19 :: v_dual_fmaak_f32 v14, v15, v14, 0x3c0da267
	v_rcp_f32_e32 v19, v21
	s_delay_alu instid0(VALU_DEP_1) | instskip(NEXT) | instid1(VALU_DEP_1)
	v_exp_f32_e32 v17, v17
	v_fmaak_f32 v14, v15, v14, 0xbc0415b1
	s_delay_alu instid0(VALU_DEP_1) | instskip(NEXT) | instid1(VALU_DEP_1)
	v_fmaak_f32 v14, v15, v14, 0xbd5e0a18
	v_fmaak_f32 v14, v15, v14, 0x3e27fe2a
	s_delay_alu instid0(VALU_DEP_1) | instskip(NEXT) | instid1(VALU_DEP_1)
	v_fmaak_f32 v14, v15, v14, 0xbe2a03fd
	v_fmaak_f32 v14, v15, v14, 0xbdbdfb0b
	s_delay_alu instid0(VALU_DEP_1) | instskip(NEXT) | instid1(TRANS32_DEP_1)
	v_fmaak_f32 v14, v15, v14, 0x3e8dd01c
	v_ldexp_f32 v15, v17, v18
	s_delay_alu instid0(TRANS32_DEP_2) | instid1(VALU_DEP_2)
	v_fma_f32 v17, v14, v19, v19
	s_delay_alu instid0(VALU_DEP_2) | instskip(SKIP_1) | instid1(VALU_DEP_3)
	v_cndmask_b32_e64 v15, 0, v15, s3
	v_cmp_nlt_f32_e64 s3, 0x42b17218, v16
	v_fma_f32 v18, -v17, v20, 1.0
	v_sub_f32_e32 v14, v14, v17
	v_fma_f32 v20, -v13, v13, -v16
	s_delay_alu instid0(VALU_DEP_4) | instskip(SKIP_1) | instid1(VALU_DEP_2)
	v_cndmask_b32_e64 v15, 0x7f800000, v15, s3
	v_cmp_nlt_f32_e64 s3, 0x4120ddfc, |v13|
	v_dual_add_f32 v14, v18, v14 :: v_dual_fmac_f32 v15, v15, v20
	s_delay_alu instid0(VALU_DEP_1) | instskip(NEXT) | instid1(VALU_DEP_1)
	v_fmac_f32_e32 v17, v19, v14
	v_mul_f32_e32 v14, v15, v17
	s_delay_alu instid0(VALU_DEP_1) | instskip(SKIP_1) | instid1(VALU_DEP_2)
	v_cndmask_b32_e64 v14, 0, v14, s3
	v_cmp_gt_f32_e64 s3, 0, v13
	v_sub_f32_e32 v15, 2.0, v14
	s_delay_alu instid0(VALU_DEP_1)
	v_cndmask_b32_e64 v13, v14, v15, s3
	global_store_b32 v[3:4], v13, off
	s_or_b32 exec_lo, exec_lo, s4
	s_and_saveexec_b32 s3, s2
	s_cbranch_execz .LBB5_14
.LBB5_18:                               ;   in Loop: Header=BB5_4 Depth=1
	s_waitcnt vmcnt(0)
	v_add_f32_e64 v13, |v12|, 2.0
	v_add_f32_e64 v14, |v12|, -2.0
	v_add_f32_e64 v19, |v12|, |v12|
	s_delay_alu instid0(VALU_DEP_3) | instskip(NEXT) | instid1(VALU_DEP_1)
	v_rcp_f32_e32 v13, v13
	v_add_f32_e32 v20, 1.0, v19
	s_waitcnt_depctr 0xfff
	v_mul_f32_e32 v14, v14, v13
	s_delay_alu instid0(VALU_DEP_1) | instskip(NEXT) | instid1(VALU_DEP_1)
	v_add_f32_e32 v15, 1.0, v14
	v_fma_f32 v15, v15, -2.0, |v12|
	s_delay_alu instid0(VALU_DEP_1) | instskip(NEXT) | instid1(VALU_DEP_1)
	v_fma_f32 v15, -v14, |v12|, v15
	v_fmac_f32_e32 v14, v13, v15
	v_mul_f32_e64 v15, v12, -v12
	s_delay_alu instid0(VALU_DEP_2) | instskip(NEXT) | instid1(VALU_DEP_2)
	v_fmaak_f32 v13, s20, v14, 0xbaa2d753
	v_mul_f32_e32 v16, 0x3fb8aa3b, v15
	v_cmp_ngt_f32_e64 s2, 0xc2ce8ed0, v15
	s_delay_alu instid0(VALU_DEP_2) | instskip(SKIP_1) | instid1(VALU_DEP_2)
	v_rndne_f32_e32 v17, v16
	v_fma_f32 v18, 0x3fb8aa3b, v15, -v16
	v_sub_f32_e32 v16, v16, v17
	s_delay_alu instid0(VALU_DEP_2) | instskip(SKIP_2) | instid1(VALU_DEP_2)
	v_fmac_f32_e32 v18, 0x32a5705f, v15
	v_fmaak_f32 v13, v14, v13, 0x3aad2fb4
	v_cvt_i32_f32_e32 v17, v17
	v_dual_add_f32 v16, v16, v18 :: v_dual_fmaak_f32 v13, v14, v13, 0x3c0da267
	v_rcp_f32_e32 v18, v20
	s_delay_alu instid0(VALU_DEP_1) | instskip(NEXT) | instid1(VALU_DEP_1)
	v_exp_f32_e32 v16, v16
	v_fmaak_f32 v13, v14, v13, 0xbc0415b1
	s_delay_alu instid0(VALU_DEP_1) | instskip(NEXT) | instid1(VALU_DEP_1)
	v_fmaak_f32 v13, v14, v13, 0xbd5e0a18
	v_fmaak_f32 v13, v14, v13, 0x3e27fe2a
	s_delay_alu instid0(VALU_DEP_1) | instskip(NEXT) | instid1(VALU_DEP_1)
	v_fmaak_f32 v13, v14, v13, 0xbe2a03fd
	v_fmaak_f32 v13, v14, v13, 0xbdbdfb0b
	s_delay_alu instid0(VALU_DEP_1) | instskip(NEXT) | instid1(TRANS32_DEP_1)
	v_fmaak_f32 v13, v14, v13, 0x3e8dd01c
	v_ldexp_f32 v14, v16, v17
	s_delay_alu instid0(TRANS32_DEP_2) | instid1(VALU_DEP_2)
	v_fma_f32 v16, v13, v18, v18
	s_delay_alu instid0(VALU_DEP_2) | instskip(SKIP_1) | instid1(VALU_DEP_3)
	v_cndmask_b32_e64 v14, 0, v14, s2
	v_cmp_nlt_f32_e64 s2, 0x42b17218, v15
	v_fma_f32 v17, -v16, v19, 1.0
	v_sub_f32_e32 v13, v13, v16
	v_fma_f32 v19, -v12, v12, -v15
	s_delay_alu instid0(VALU_DEP_4) | instskip(SKIP_1) | instid1(VALU_DEP_2)
	v_cndmask_b32_e64 v14, 0x7f800000, v14, s2
	v_cmp_nlt_f32_e64 s2, 0x4120ddfc, |v12|
	v_dual_add_f32 v13, v17, v13 :: v_dual_fmac_f32 v14, v14, v19
	s_delay_alu instid0(VALU_DEP_1) | instskip(NEXT) | instid1(VALU_DEP_1)
	v_fmac_f32_e32 v16, v18, v13
	v_mul_f32_e32 v13, v14, v16
	s_delay_alu instid0(VALU_DEP_1) | instskip(SKIP_1) | instid1(VALU_DEP_2)
	v_cndmask_b32_e64 v13, 0, v13, s2
	v_cmp_gt_f32_e64 s2, 0, v12
	v_sub_f32_e32 v14, 2.0, v13
	s_delay_alu instid0(VALU_DEP_1) | instskip(SKIP_1) | instid1(VALU_DEP_1)
	v_cndmask_b32_e64 v14, v13, v14, s2
	v_add_co_u32 v12, s2, v1, s19
	v_add_co_ci_u32_e64 v13, s2, 0, v2, s2
	global_store_b32 v[12:13], v14, off
	s_or_b32 exec_lo, exec_lo, s3
	s_and_saveexec_b32 s2, vcc_lo
	s_cbranch_execz .LBB5_3
.LBB5_19:                               ;   in Loop: Header=BB5_4 Depth=1
	s_waitcnt vmcnt(0)
	v_add_f32_e64 v12, |v11|, 2.0
	v_add_f32_e64 v13, |v11|, -2.0
	v_add_f32_e64 v18, |v11|, |v11|
	s_delay_alu instid0(VALU_DEP_3) | instskip(NEXT) | instid1(VALU_DEP_1)
	v_rcp_f32_e32 v12, v12
	v_add_f32_e32 v19, 1.0, v18
	s_waitcnt_depctr 0xfff
	v_mul_f32_e32 v13, v13, v12
	s_delay_alu instid0(VALU_DEP_1) | instskip(NEXT) | instid1(VALU_DEP_1)
	v_add_f32_e32 v14, 1.0, v13
	v_fma_f32 v14, v14, -2.0, |v11|
	s_delay_alu instid0(VALU_DEP_1) | instskip(NEXT) | instid1(VALU_DEP_1)
	v_fma_f32 v14, -v13, |v11|, v14
	v_fmac_f32_e32 v13, v12, v14
	v_mul_f32_e64 v14, v11, -v11
	s_delay_alu instid0(VALU_DEP_2) | instskip(NEXT) | instid1(VALU_DEP_2)
	v_fmaak_f32 v12, s20, v13, 0xbaa2d753
	v_mul_f32_e32 v15, 0x3fb8aa3b, v14
	v_cmp_ngt_f32_e32 vcc_lo, 0xc2ce8ed0, v14
	s_delay_alu instid0(VALU_DEP_2) | instskip(SKIP_1) | instid1(VALU_DEP_2)
	v_rndne_f32_e32 v16, v15
	v_fma_f32 v17, 0x3fb8aa3b, v14, -v15
	v_sub_f32_e32 v15, v15, v16
	s_delay_alu instid0(VALU_DEP_2) | instskip(SKIP_2) | instid1(VALU_DEP_2)
	v_fmac_f32_e32 v17, 0x32a5705f, v14
	v_fmaak_f32 v12, v13, v12, 0x3aad2fb4
	v_cvt_i32_f32_e32 v16, v16
	v_dual_add_f32 v15, v15, v17 :: v_dual_fmaak_f32 v12, v13, v12, 0x3c0da267
	v_rcp_f32_e32 v17, v19
	s_delay_alu instid0(VALU_DEP_1) | instskip(NEXT) | instid1(VALU_DEP_1)
	v_exp_f32_e32 v15, v15
	v_fmaak_f32 v12, v13, v12, 0xbc0415b1
	s_delay_alu instid0(VALU_DEP_1) | instskip(NEXT) | instid1(VALU_DEP_1)
	v_fmaak_f32 v12, v13, v12, 0xbd5e0a18
	v_fmaak_f32 v12, v13, v12, 0x3e27fe2a
	s_delay_alu instid0(VALU_DEP_1) | instskip(NEXT) | instid1(VALU_DEP_1)
	v_fmaak_f32 v12, v13, v12, 0xbe2a03fd
	v_fmaak_f32 v12, v13, v12, 0xbdbdfb0b
	s_delay_alu instid0(VALU_DEP_1) | instskip(NEXT) | instid1(TRANS32_DEP_1)
	v_fmaak_f32 v12, v13, v12, 0x3e8dd01c
	v_ldexp_f32 v13, v15, v16
	s_delay_alu instid0(TRANS32_DEP_2) | instid1(VALU_DEP_2)
	v_fma_f32 v15, v12, v17, v17
	s_delay_alu instid0(VALU_DEP_2) | instskip(SKIP_1) | instid1(VALU_DEP_3)
	v_cndmask_b32_e32 v13, 0, v13, vcc_lo
	v_cmp_nlt_f32_e32 vcc_lo, 0x42b17218, v14
	v_fma_f32 v16, -v15, v18, 1.0
	v_sub_f32_e32 v12, v12, v15
	v_fma_f32 v18, -v11, v11, -v14
	v_cndmask_b32_e32 v13, 0x7f800000, v13, vcc_lo
	v_cmp_nlt_f32_e64 vcc_lo, 0x4120ddfc, |v11|
	s_delay_alu instid0(VALU_DEP_2) | instskip(NEXT) | instid1(VALU_DEP_1)
	v_dual_add_f32 v12, v16, v12 :: v_dual_fmac_f32 v13, v13, v18
	v_fmac_f32_e32 v15, v17, v12
	s_delay_alu instid0(VALU_DEP_1) | instskip(NEXT) | instid1(VALU_DEP_1)
	v_mul_f32_e32 v12, v13, v15
	v_cndmask_b32_e32 v12, 0, v12, vcc_lo
	v_cmp_gt_f32_e32 vcc_lo, 0, v11
	s_delay_alu instid0(VALU_DEP_2) | instskip(NEXT) | instid1(VALU_DEP_1)
	v_sub_f32_e32 v13, 2.0, v12
	v_cndmask_b32_e32 v13, v12, v13, vcc_lo
	v_add_co_u32 v11, vcc_lo, v1, s17
	v_add_co_ci_u32_e32 v12, vcc_lo, 0, v2, vcc_lo
	global_store_b32 v[11:12], v13, off
	s_branch .LBB5_3
.LBB5_20:
	s_cbranch_execz .LBB5_22
	s_branch .LBB5_25
.LBB5_21:
.LBB5_22:
	v_dual_mov_b32 v2, 0 :: v_dual_lshlrev_b32 v1, 2, v0
	s_mov_b32 s2, 0
	s_mov_b32 s3, exec_lo
	s_delay_alu instid0(VALU_DEP_1)
	v_cmpx_gt_i64_e64 s[6:7], v[1:2]
	s_cbranch_execz .LBB5_25
; %bb.23:
	s_load_b32 s0, s[0:1], 0xd3c
	v_lshlrev_b32_e32 v1, 4, v0
	s_mov_b32 s5, 0xb9d6f8c4
	s_waitcnt lgkmcnt(0)
	s_and_b32 s0, s0, 0xffff
	s_delay_alu instid0(SALU_CYCLE_1) | instskip(SKIP_3) | instid1(VALU_DEP_1)
	s_lshl_b32 s3, s0, 2
	s_add_u32 s1, s8, s10
	s_addc_u32 s4, s9, s11
	v_add_co_u32 v3, s1, s1, v1
	v_add_co_ci_u32_e64 v4, null, s4, 0, s1
	v_add_lshl_u32 v1, v0, s0, 2
	s_delay_alu instid0(VALU_DEP_3) | instskip(NEXT) | instid1(VALU_DEP_3)
	v_add_co_u32 v3, vcc_lo, v3, 8
	v_add_co_ci_u32_e32 v4, vcc_lo, 0, v4, vcc_lo
	s_lshl_b32 s4, s0, 4
.LBB5_24:                               ; =>This Inner Loop Header: Depth=1
	global_load_b128 v[5:8], v[3:4], off offset:-8
	s_waitcnt vmcnt(0)
	v_mul_f32_e64 v0, v5, -v5
	v_add_f32_e64 v11, |v5|, |v5|
	v_mul_f32_e64 v12, v6, -v6
	v_mul_f32_e64 v20, v8, -v8
	v_add_f32_e64 v15, |v6|, |v6|
	s_delay_alu instid0(VALU_DEP_4) | instskip(SKIP_1) | instid1(VALU_DEP_3)
	v_dual_mul_f32 v25, 0x3fb8aa3b, v0 :: v_dual_add_f32 v26, 1.0, v11
	v_add_f32_e64 v23, |v8|, |v8|
	v_dual_mul_f32 v28, 0x3fb8aa3b, v12 :: v_dual_add_f32 v29, 1.0, v15
	v_mul_f32_e32 v34, 0x3fb8aa3b, v20
	s_delay_alu instid0(VALU_DEP_4) | instskip(NEXT) | instid1(VALU_DEP_4)
	v_rndne_f32_e32 v36, v25
	v_add_f32_e32 v35, 1.0, v23
	v_fma_f32 v37, 0x3fb8aa3b, v0, -v25
	v_rndne_f32_e32 v38, v28
	v_rndne_f32_e32 v42, v34
	v_sub_f32_e32 v25, v25, v36
	v_fma_f32 v39, 0x3fb8aa3b, v12, -v28
	v_fmac_f32_e32 v37, 0x32a5705f, v0
	v_fma_f32 v43, 0x3fb8aa3b, v20, -v34
	v_sub_f32_e32 v34, v34, v42
	v_sub_f32_e32 v28, v28, v38
	v_add_f32_e64 v10, |v5|, 2.0
	v_add_f32_e32 v25, v25, v37
	v_add_f32_e64 v22, |v8|, 2.0
	v_cvt_i32_f32_e32 v36, v36
	v_add_f32_e64 v9, |v5|, -2.0
	v_rcp_f32_e32 v10, v10
	v_exp_f32_e32 v25, v25
	v_rcp_f32_e32 v22, v22
	v_add_f32_e64 v21, |v8|, -2.0
	v_fmac_f32_e32 v43, 0x32a5705f, v20
	v_cmp_ngt_f32_e32 vcc_lo, 0xc2ce8ed0, v0
	v_fmac_f32_e32 v39, 0x32a5705f, v12
	v_add_f32_e64 v14, |v6|, 2.0
	v_add_f32_e64 v13, |v6|, -2.0
	s_delay_alu instid0(TRANS32_DEP_3) | instskip(NEXT) | instid1(VALU_DEP_4)
	v_dual_add_f32 v34, v34, v43 :: v_dual_mul_f32 v9, v9, v10
	v_add_f32_e32 v28, v28, v39
	v_ldexp_f32 v25, v25, v36
	v_rcp_f32_e32 v14, v14
	v_mul_f32_e64 v16, v7, -v7
	v_add_f32_e32 v37, 1.0, v9
	v_add_f32_e64 v18, |v7|, 2.0
	v_cndmask_b32_e32 v25, 0, v25, vcc_lo
	v_mul_f32_e32 v21, v21, v22
	v_add_f32_e64 v19, |v7|, |v7|
	v_fma_f32 v37, v37, -2.0, |v5|
	v_mul_f32_e32 v31, 0x3fb8aa3b, v16
	v_rcp_f32_e32 v18, v18
	v_add_f32_e32 v43, 1.0, v21
	v_exp_f32_e32 v28, v28
	v_fma_f32 v37, -v9, |v5|, v37
	v_add_f32_e64 v17, |v7|, -2.0
	v_add_f32_e32 v32, 1.0, v19
	v_fma_f32 v43, v43, -2.0, |v8|
	v_rndne_f32_e32 v40, v31
	v_fma_f32 v41, 0x3fb8aa3b, v16, -v31
	v_cvt_i32_f32_e32 v38, v38
	v_cmp_ngt_f32_e32 vcc_lo, 0xc2ce8ed0, v12
	v_fma_f32 v43, -v21, |v8|, v43
	v_exp_f32_e32 v34, v34
	v_cvt_i32_f32_e32 v42, v42
	v_fma_f32 v24, -v5, v5, -v0
	v_fma_f32 v27, -v6, v6, -v12
	v_fmac_f32_e32 v21, v22, v43
	v_fmac_f32_e32 v9, v10, v37
	v_mul_f32_e32 v13, v13, v14
	v_mul_f32_e32 v17, v17, v18
	v_ldexp_f32 v10, v28, v38
	v_fmac_f32_e32 v41, 0x32a5705f, v16
	v_fmaak_f32 v22, s5, v9, 0xbaa2d753
	v_add_f32_e32 v39, 1.0, v13
	v_fma_f32 v30, -v7, v7, -v16
	v_cndmask_b32_e32 v10, 0, v10, vcc_lo
	v_cmp_ngt_f32_e32 vcc_lo, 0xc2ce8ed0, v16
	v_fmaak_f32 v22, v9, v22, 0x3aad2fb4
	v_fma_f32 v39, v39, -2.0, |v6|
	v_fma_f32 v33, -v8, v8, -v20
	v_rcp_f32_e32 v26, v26
	v_rcp_f32_e32 v29, v29
	;; [unrolled: 1-line block ×3, first 2 shown]
	v_fma_f32 v39, -v13, |v6|, v39
	v_rcp_f32_e32 v32, v32
	v_cmp_nlt_f32_e64 s0, 0x4120ddfc, |v5|
	v_fmaak_f32 v22, v9, v22, 0x3c0da267
	v_cmp_gt_f32_e64 s1, 0, v5
	v_fmac_f32_e32 v13, v14, v39
	v_sub_f32_e32 v31, v31, v40
	v_cvt_i32_f32_e32 v40, v40
	s_delay_alu instid0(VALU_DEP_3) | instskip(NEXT) | instid1(VALU_DEP_3)
	v_fmaak_f32 v28, s5, v13, 0xbaa2d753
	v_add_f32_e32 v31, v31, v41
	v_add_f32_e32 v41, 1.0, v17
	s_delay_alu instid0(VALU_DEP_1) | instskip(NEXT) | instid1(VALU_DEP_1)
	v_fma_f32 v41, v41, -2.0, |v7|
	v_fma_f32 v41, -v17, |v7|, v41
	s_delay_alu instid0(VALU_DEP_1) | instskip(SKIP_2) | instid1(VALU_DEP_1)
	v_fmac_f32_e32 v17, v18, v41
	v_ldexp_f32 v18, v34, v42
	v_fmaak_f32 v34, s5, v21, 0xbaa2d753
	v_fmaak_f32 v34, v21, v34, 0x3aad2fb4
	v_exp_f32_e32 v31, v31
	s_delay_alu instid0(VALU_DEP_1)
	v_fmaak_f32 v34, v21, v34, 0x3c0da267
	v_fmaak_f32 v22, v9, v22, 0xbc0415b1
	;; [unrolled: 1-line block ×3, first 2 shown]
	s_waitcnt_depctr 0xfff
	v_ldexp_f32 v14, v31, v40
	v_fmaak_f32 v28, v13, v28, 0x3c0da267
	v_fmaak_f32 v22, v9, v22, 0xbd5e0a18
	;; [unrolled: 1-line block ×3, first 2 shown]
	s_delay_alu instid0(VALU_DEP_4) | instskip(NEXT) | instid1(VALU_DEP_4)
	v_cndmask_b32_e32 v14, 0, v14, vcc_lo
	v_fmaak_f32 v28, v13, v28, 0xbc0415b1
	v_cmp_ngt_f32_e32 vcc_lo, 0xc2ce8ed0, v20
	v_cndmask_b32_e32 v18, 0, v18, vcc_lo
	v_cmp_nlt_f32_e32 vcc_lo, 0x42b17218, v0
	v_cndmask_b32_e32 v0, 0x7f800000, v25, vcc_lo
	v_cmp_nlt_f32_e32 vcc_lo, 0x42b17218, v12
	s_delay_alu instid0(VALU_DEP_2) | instskip(SKIP_3) | instid1(VALU_DEP_3)
	v_dual_fmaak_f32 v31, s5, v17, 0xbaa2d753 :: v_dual_fmac_f32 v0, v0, v24
	v_cndmask_b32_e32 v10, 0x7f800000, v10, vcc_lo
	v_fmaak_f32 v25, v13, v28, 0xbd5e0a18
	v_cmp_nlt_f32_e32 vcc_lo, 0x42b17218, v16
	v_fmac_f32_e32 v10, v10, v27
	s_delay_alu instid0(VALU_DEP_3) | instskip(SKIP_2) | instid1(VALU_DEP_3)
	v_fmaak_f32 v12, v13, v25, 0x3e27fe2a
	v_cndmask_b32_e32 v14, 0x7f800000, v14, vcc_lo
	v_cmp_nlt_f32_e32 vcc_lo, 0x42b17218, v20
	v_fmaak_f32 v12, v13, v12, 0xbe2a03fd
	s_delay_alu instid0(VALU_DEP_3) | instskip(SKIP_2) | instid1(VALU_DEP_4)
	v_fmac_f32_e32 v14, v14, v30
	v_cndmask_b32_e32 v18, 0x7f800000, v18, vcc_lo
	v_cmp_le_i64_e32 vcc_lo, s[6:7], v[1:2]
	v_fmaak_f32 v12, v13, v12, 0xbdbdfb0b
	s_delay_alu instid0(VALU_DEP_3) | instskip(NEXT) | instid1(VALU_DEP_2)
	v_fmac_f32_e32 v18, v18, v33
	v_fmaak_f32 v12, v13, v12, 0x3e8dd01c
	v_fmaak_f32 v31, v17, v31, 0x3aad2fb4
	s_delay_alu instid0(VALU_DEP_1) | instskip(NEXT) | instid1(VALU_DEP_1)
	v_fmaak_f32 v31, v17, v31, 0x3c0da267
	v_fmaak_f32 v31, v17, v31, 0xbc0415b1
	s_delay_alu instid0(VALU_DEP_1) | instskip(SKIP_1) | instid1(VALU_DEP_2)
	v_fmaak_f32 v28, v17, v31, 0xbd5e0a18
	v_fmaak_f32 v31, v21, v34, 0xbd5e0a18
	;; [unrolled: 1-line block ×3, first 2 shown]
	s_delay_alu instid0(VALU_DEP_2) | instskip(NEXT) | instid1(VALU_DEP_2)
	v_fmaak_f32 v28, v21, v31, 0x3e27fe2a
	v_fmaak_f32 v16, v17, v25, 0xbe2a03fd
	s_delay_alu instid0(VALU_DEP_2) | instskip(NEXT) | instid1(VALU_DEP_2)
	v_fmaak_f32 v25, v21, v28, 0xbe2a03fd
	v_fmaak_f32 v16, v17, v16, 0xbdbdfb0b
	;; [unrolled: 3-line block ×3, first 2 shown]
	s_delay_alu instid0(VALU_DEP_2) | instskip(SKIP_1) | instid1(VALU_DEP_3)
	v_fmaak_f32 v16, v21, v20, 0x3e8dd01c
	v_fma_f32 v20, v12, v29, v29
	v_fma_f32 v21, v13, v32, v32
	s_delay_alu instid0(VALU_DEP_2) | instskip(SKIP_2) | instid1(VALU_DEP_4)
	v_fma_f32 v15, -v20, v15, 1.0
	v_sub_f32_e32 v12, v12, v20
	v_fmaak_f32 v22, v9, v22, 0x3e27fe2a
	v_fma_f32 v19, -v21, v19, 1.0
	v_sub_f32_e32 v13, v13, v21
	s_delay_alu instid0(VALU_DEP_3) | instskip(NEXT) | instid1(VALU_DEP_1)
	v_fmaak_f32 v22, v9, v22, 0xbe2a03fd
	v_fmaak_f32 v22, v9, v22, 0xbdbdfb0b
	s_delay_alu instid0(VALU_DEP_1) | instskip(SKIP_1) | instid1(VALU_DEP_2)
	v_fmaak_f32 v9, v9, v22, 0x3e8dd01c
	v_fma_f32 v22, v16, v35, v35
	v_fma_f32 v17, v9, v26, v26
	s_delay_alu instid0(VALU_DEP_2) | instskip(SKIP_1) | instid1(VALU_DEP_3)
	v_fma_f32 v23, -v22, v23, 1.0
	v_sub_f32_e32 v16, v16, v22
	v_fma_f32 v11, -v17, v11, 1.0
	v_sub_f32_e32 v9, v9, v17
	s_delay_alu instid0(VALU_DEP_1) | instskip(SKIP_3) | instid1(VALU_DEP_3)
	v_add_f32_e32 v9, v11, v9
	v_add_f32_e32 v11, v15, v12
	;; [unrolled: 1-line block ×4, first 2 shown]
	v_dual_fmac_f32 v17, v26, v9 :: v_dual_fmac_f32 v20, v29, v11
	s_delay_alu instid0(VALU_DEP_2) | instskip(NEXT) | instid1(VALU_DEP_2)
	v_dual_fmac_f32 v21, v32, v12 :: v_dual_fmac_f32 v22, v35, v13
	v_dual_mul_f32 v0, v0, v17 :: v_dual_mul_f32 v9, v10, v20
	s_delay_alu instid0(VALU_DEP_2) | instskip(NEXT) | instid1(VALU_DEP_3)
	v_mul_f32_e32 v10, v14, v21
	v_mul_f32_e32 v11, v18, v22
	s_delay_alu instid0(VALU_DEP_3) | instskip(SKIP_1) | instid1(VALU_DEP_2)
	v_cndmask_b32_e64 v0, 0, v0, s0
	v_cmp_nlt_f32_e64 s0, 0x4120ddfc, |v6|
	v_sub_f32_e32 v12, 2.0, v0
	s_delay_alu instid0(VALU_DEP_2) | instskip(SKIP_1) | instid1(VALU_DEP_3)
	v_cndmask_b32_e64 v9, 0, v9, s0
	v_cmp_nlt_f32_e64 s0, 0x4120ddfc, |v7|
	v_cndmask_b32_e64 v5, v0, v12, s1
	s_delay_alu instid0(VALU_DEP_3) | instskip(NEXT) | instid1(VALU_DEP_3)
	v_sub_f32_e32 v13, 2.0, v9
	v_cndmask_b32_e64 v10, 0, v10, s0
	v_cmp_nlt_f32_e64 s0, 0x4120ddfc, |v8|
	v_cmp_gt_f32_e64 s1, 0, v6
	s_delay_alu instid0(VALU_DEP_3) | instskip(NEXT) | instid1(VALU_DEP_3)
	v_sub_f32_e32 v14, 2.0, v10
	v_cndmask_b32_e64 v11, 0, v11, s0
	s_delay_alu instid0(VALU_DEP_3) | instskip(SKIP_2) | instid1(VALU_DEP_4)
	v_cndmask_b32_e64 v6, v9, v13, s1
	v_cmp_gt_f32_e64 s1, 0, v7
	v_cmp_lt_u64_e64 s0, 0xffff, v[1:2]
	v_sub_f32_e32 v15, 2.0, v11
	s_delay_alu instid0(VALU_DEP_3) | instskip(SKIP_1) | instid1(VALU_DEP_4)
	v_cndmask_b32_e64 v7, v10, v14, s1
	v_cmp_gt_f32_e64 s1, 0, v8
	s_or_b32 s0, vcc_lo, s0
	s_delay_alu instid0(SALU_CYCLE_1) | instskip(NEXT) | instid1(VALU_DEP_1)
	s_and_b32 s0, exec_lo, s0
	v_cndmask_b32_e64 v8, v11, v15, s1
	v_add_co_u32 v1, s1, v1, s3
	s_delay_alu instid0(VALU_DEP_1) | instskip(SKIP_4) | instid1(SALU_CYCLE_1)
	v_add_co_ci_u32_e64 v2, s1, 0, v2, s1
	global_store_b128 v[3:4], v[5:8], off offset:-8
	v_add_co_u32 v3, vcc_lo, v3, s4
	v_add_co_ci_u32_e32 v4, vcc_lo, 0, v4, vcc_lo
	s_or_b32 s2, s0, s2
	s_and_not1_b32 exec_lo, exec_lo, s2
	s_cbranch_execnz .LBB5_24
.LBB5_25:
	s_nop 0
	s_sendmsg sendmsg(MSG_DEALLOC_VGPRS)
	s_endpgm
	.section	.rodata,"a",@progbits
	.p2align	6, 0x0
	.amdhsa_kernel _ZN2at6native12_GLOBAL__N_125multi_tensor_apply_kernelINS1_18TensorListMetadataILi1EEENS1_14UnaryOpFunctorIfLi1ELi1ELi0EEEJNS0_4ErfcIfEEEEEvT_T0_DpT1_
		.amdhsa_group_segment_fixed_size 0
		.amdhsa_private_segment_fixed_size 0
		.amdhsa_kernarg_size 3632
		.amdhsa_user_sgpr_count 15
		.amdhsa_user_sgpr_dispatch_ptr 0
		.amdhsa_user_sgpr_queue_ptr 0
		.amdhsa_user_sgpr_kernarg_segment_ptr 1
		.amdhsa_user_sgpr_dispatch_id 0
		.amdhsa_user_sgpr_private_segment_size 0
		.amdhsa_wavefront_size32 1
		.amdhsa_uses_dynamic_stack 0
		.amdhsa_enable_private_segment 0
		.amdhsa_system_sgpr_workgroup_id_x 1
		.amdhsa_system_sgpr_workgroup_id_y 0
		.amdhsa_system_sgpr_workgroup_id_z 0
		.amdhsa_system_sgpr_workgroup_info 0
		.amdhsa_system_vgpr_workitem_id 0
		.amdhsa_next_free_vgpr 44
		.amdhsa_next_free_sgpr 22
		.amdhsa_reserve_vcc 1
		.amdhsa_float_round_mode_32 0
		.amdhsa_float_round_mode_16_64 0
		.amdhsa_float_denorm_mode_32 3
		.amdhsa_float_denorm_mode_16_64 3
		.amdhsa_dx10_clamp 1
		.amdhsa_ieee_mode 1
		.amdhsa_fp16_overflow 0
		.amdhsa_workgroup_processor_mode 1
		.amdhsa_memory_ordered 1
		.amdhsa_forward_progress 0
		.amdhsa_shared_vgpr_count 0
		.amdhsa_exception_fp_ieee_invalid_op 0
		.amdhsa_exception_fp_denorm_src 0
		.amdhsa_exception_fp_ieee_div_zero 0
		.amdhsa_exception_fp_ieee_overflow 0
		.amdhsa_exception_fp_ieee_underflow 0
		.amdhsa_exception_fp_ieee_inexact 0
		.amdhsa_exception_int_div_zero 0
	.end_amdhsa_kernel
	.section	.text._ZN2at6native12_GLOBAL__N_125multi_tensor_apply_kernelINS1_18TensorListMetadataILi1EEENS1_14UnaryOpFunctorIfLi1ELi1ELi0EEEJNS0_4ErfcIfEEEEEvT_T0_DpT1_,"axG",@progbits,_ZN2at6native12_GLOBAL__N_125multi_tensor_apply_kernelINS1_18TensorListMetadataILi1EEENS1_14UnaryOpFunctorIfLi1ELi1ELi0EEEJNS0_4ErfcIfEEEEEvT_T0_DpT1_,comdat
.Lfunc_end5:
	.size	_ZN2at6native12_GLOBAL__N_125multi_tensor_apply_kernelINS1_18TensorListMetadataILi1EEENS1_14UnaryOpFunctorIfLi1ELi1ELi0EEEJNS0_4ErfcIfEEEEEvT_T0_DpT1_, .Lfunc_end5-_ZN2at6native12_GLOBAL__N_125multi_tensor_apply_kernelINS1_18TensorListMetadataILi1EEENS1_14UnaryOpFunctorIfLi1ELi1ELi0EEEJNS0_4ErfcIfEEEEEvT_T0_DpT1_
                                        ; -- End function
	.section	.AMDGPU.csdata,"",@progbits
; Kernel info:
; codeLenInByte = 3992
; NumSgprs: 24
; NumVgprs: 44
; ScratchSize: 0
; MemoryBound: 0
; FloatMode: 240
; IeeeMode: 1
; LDSByteSize: 0 bytes/workgroup (compile time only)
; SGPRBlocks: 2
; VGPRBlocks: 5
; NumSGPRsForWavesPerEU: 24
; NumVGPRsForWavesPerEU: 44
; Occupancy: 16
; WaveLimiterHint : 0
; COMPUTE_PGM_RSRC2:SCRATCH_EN: 0
; COMPUTE_PGM_RSRC2:USER_SGPR: 15
; COMPUTE_PGM_RSRC2:TRAP_HANDLER: 0
; COMPUTE_PGM_RSRC2:TGID_X_EN: 1
; COMPUTE_PGM_RSRC2:TGID_Y_EN: 0
; COMPUTE_PGM_RSRC2:TGID_Z_EN: 0
; COMPUTE_PGM_RSRC2:TIDIG_COMP_CNT: 0
	.section	.text._ZN2at6native12_GLOBAL__N_125multi_tensor_apply_kernelINS1_18TensorListMetadataILi1EEENS1_14UnaryOpFunctorIN3c104HalfELi1ELi1ELi0EEEJNS0_4ErfcIfEEEEEvT_T0_DpT1_,"axG",@progbits,_ZN2at6native12_GLOBAL__N_125multi_tensor_apply_kernelINS1_18TensorListMetadataILi1EEENS1_14UnaryOpFunctorIN3c104HalfELi1ELi1ELi0EEEJNS0_4ErfcIfEEEEEvT_T0_DpT1_,comdat
	.globl	_ZN2at6native12_GLOBAL__N_125multi_tensor_apply_kernelINS1_18TensorListMetadataILi1EEENS1_14UnaryOpFunctorIN3c104HalfELi1ELi1ELi0EEEJNS0_4ErfcIfEEEEEvT_T0_DpT1_ ; -- Begin function _ZN2at6native12_GLOBAL__N_125multi_tensor_apply_kernelINS1_18TensorListMetadataILi1EEENS1_14UnaryOpFunctorIN3c104HalfELi1ELi1ELi0EEEJNS0_4ErfcIfEEEEEvT_T0_DpT1_
	.p2align	8
	.type	_ZN2at6native12_GLOBAL__N_125multi_tensor_apply_kernelINS1_18TensorListMetadataILi1EEENS1_14UnaryOpFunctorIN3c104HalfELi1ELi1ELi0EEEJNS0_4ErfcIfEEEEEvT_T0_DpT1_,@function
_ZN2at6native12_GLOBAL__N_125multi_tensor_apply_kernelINS1_18TensorListMetadataILi1EEENS1_14UnaryOpFunctorIN3c104HalfELi1ELi1ELi0EEEJNS0_4ErfcIfEEEEEvT_T0_DpT1_: ; @_ZN2at6native12_GLOBAL__N_125multi_tensor_apply_kernelINS1_18TensorListMetadataILi1EEENS1_14UnaryOpFunctorIN3c104HalfELi1ELi1ELi0EEEJNS0_4ErfcIfEEEEEvT_T0_DpT1_
; %bb.0:
	v_mov_b32_e32 v1, s15
	s_add_u32 s2, s0, s15
	s_mul_hi_u32 s3, s15, 3
	s_mul_i32 s15, s15, 3
	s_addc_u32 s4, s1, 0
	global_load_u8 v1, v1, s[0:1] offset:1760
	s_add_u32 s2, s2, s15
	s_addc_u32 s3, s4, s3
	s_mov_b32 s13, 0
	s_load_b32 s2, s[2:3], 0x820
	s_waitcnt vmcnt(0)
	v_readfirstlane_b32 s5, v1
	s_delay_alu instid0(VALU_DEP_1)
	s_lshl_b32 s3, s5, 3
	s_clause 0x1
	s_load_b64 s[8:9], s[0:1], s3 offset:0x0
	s_load_b64 s[4:5], s[0:1], s3 offset:0x370
	s_waitcnt lgkmcnt(0)
	s_ashr_i32 s3, s2, 31
	s_delay_alu instid0(SALU_CYCLE_1)
	s_lshl_b64 s[10:11], s[2:3], 17
	s_lshl_b64 s[2:3], s[2:3], 16
	s_and_b32 s12, s8, 7
	s_sub_u32 s6, s4, s2
	s_subb_u32 s7, s5, s3
	s_and_b32 s2, s4, 3
	s_mov_b32 s3, s13
	s_delay_alu instid0(SALU_CYCLE_1) | instskip(NEXT) | instid1(SALU_CYCLE_1)
	s_or_b64 s[2:3], s[12:13], s[2:3]
	s_cmp_eq_u64 s[2:3], 0
	s_cbranch_scc1 .LBB6_21
; %bb.1:
	v_cmp_lt_i64_e64 s2, s[6:7], 1
	s_delay_alu instid0(VALU_DEP_1)
	s_and_b32 vcc_lo, exec_lo, s2
	s_cbranch_vccnz .LBB6_20
; %bb.2:
	s_load_b32 s2, s[0:1], 0xd3c
	v_cmp_gt_u64_e64 s3, 0x10000, s[6:7]
	v_lshlrev_b32_e32 v1, 1, v0
	s_mov_b32 s19, -2.0
	s_mov_b32 s20, 0xb9d6f8c4
	s_waitcnt lgkmcnt(0)
	s_and_b32 s2, s2, 0xffff
	s_and_b32 s3, s3, exec_lo
	v_add_co_u32 v5, s5, v0, s2
	s_cselect_b32 s13, s7, 0
	s_cselect_b32 s12, s6, 0x10000
	s_lshl_b32 s3, s2, 1
	s_mul_i32 s4, s2, 3
	s_lshl_b32 s16, s2, 2
	v_add_co_ci_u32_e64 v6, null, 0, 0, s5
	s_add_u32 s5, s8, s10
	s_mul_i32 s17, s2, 6
	s_addc_u32 s14, s9, s11
	s_lshl_b32 s18, s2, 3
	v_add_co_u32 v7, s2, s4, v0
	v_lshlrev_b32_e32 v3, 1, v5
	v_add_co_ci_u32_e64 v8, null, 0, 0, s2
	v_add_co_u32 v9, s2, s3, v0
	s_delay_alu instid0(VALU_DEP_1) | instskip(SKIP_1) | instid1(VALU_DEP_1)
	v_add_co_ci_u32_e64 v10, null, 0, 0, s2
	v_add_co_u32 v1, s2, s5, v1
	v_add_co_ci_u32_e64 v2, null, s14, 0, s2
	v_add_co_u32 v3, s2, s5, v3
	s_delay_alu instid0(VALU_DEP_1)
	v_add_co_ci_u32_e64 v4, null, s14, 0, s2
	s_mov_b64 s[14:15], 0
	s_branch .LBB6_4
.LBB6_3:                                ;   in Loop: Header=BB6_4 Depth=1
	s_or_b32 exec_lo, exec_lo, s2
	s_add_u32 s14, s14, s16
	s_addc_u32 s15, s15, 0
	v_add_co_u32 v1, vcc_lo, v1, s18
	v_cmp_lt_i64_e64 s2, s[14:15], s[6:7]
	v_cmp_gt_u64_e64 s3, 0x10000, s[14:15]
	v_add_co_ci_u32_e32 v2, vcc_lo, 0, v2, vcc_lo
	v_add_co_u32 v3, vcc_lo, v3, s18
	v_add_co_ci_u32_e32 v4, vcc_lo, 0, v4, vcc_lo
	s_delay_alu instid0(VALU_DEP_4) | instskip(NEXT) | instid1(SALU_CYCLE_1)
	s_and_b32 s2, s2, s3
	s_and_b32 vcc_lo, exec_lo, s2
	s_cbranch_vccz .LBB6_20
.LBB6_4:                                ; =>This Inner Loop Header: Depth=1
	s_waitcnt vmcnt(0)
	v_add_co_u32 v11, s2, v0, s14
	s_delay_alu instid0(VALU_DEP_1) | instskip(SKIP_1) | instid1(VALU_DEP_2)
	v_add_co_ci_u32_e64 v12, null, 0, s15, s2
	v_mov_b32_e32 v14, 0
	v_cmp_gt_u64_e64 s4, s[12:13], v[11:12]
	s_delay_alu instid0(VALU_DEP_1)
	s_and_saveexec_b32 s2, s4
	s_cbranch_execz .LBB6_6
; %bb.5:                                ;   in Loop: Header=BB6_4 Depth=1
	global_load_u16 v14, v[1:2], off
.LBB6_6:                                ;   in Loop: Header=BB6_4 Depth=1
	s_or_b32 exec_lo, exec_lo, s2
	v_add_co_u32 v11, vcc_lo, v5, s14
	v_add_co_ci_u32_e32 v12, vcc_lo, s15, v6, vcc_lo
	v_mov_b32_e32 v13, 0
	s_delay_alu instid0(VALU_DEP_2) | instskip(NEXT) | instid1(VALU_DEP_1)
	v_cmp_gt_u64_e64 s3, s[12:13], v[11:12]
	s_and_saveexec_b32 s2, s3
	s_cbranch_execz .LBB6_8
; %bb.7:                                ;   in Loop: Header=BB6_4 Depth=1
	global_load_u16 v13, v[3:4], off
.LBB6_8:                                ;   in Loop: Header=BB6_4 Depth=1
	s_or_b32 exec_lo, exec_lo, s2
	v_add_co_u32 v11, vcc_lo, v9, s14
	v_add_co_ci_u32_e32 v12, vcc_lo, s15, v10, vcc_lo
	s_delay_alu instid0(VALU_DEP_1) | instskip(SKIP_1) | instid1(VALU_DEP_2)
	v_cmp_gt_u64_e64 s2, s[12:13], v[11:12]
	v_dual_mov_b32 v11, 0 :: v_dual_mov_b32 v12, 0
	s_and_saveexec_b32 s5, s2
	s_cbranch_execz .LBB6_10
; %bb.9:                                ;   in Loop: Header=BB6_4 Depth=1
	v_add_co_u32 v15, vcc_lo, v1, s16
	v_add_co_ci_u32_e32 v16, vcc_lo, 0, v2, vcc_lo
	global_load_u16 v12, v[15:16], off
.LBB6_10:                               ;   in Loop: Header=BB6_4 Depth=1
	s_or_b32 exec_lo, exec_lo, s5
	v_add_co_u32 v15, vcc_lo, v7, s14
	v_add_co_ci_u32_e32 v16, vcc_lo, s15, v8, vcc_lo
	s_delay_alu instid0(VALU_DEP_1)
	v_cmp_gt_u64_e32 vcc_lo, s[12:13], v[15:16]
	s_and_saveexec_b32 s21, vcc_lo
	s_cbranch_execnz .LBB6_15
; %bb.11:                               ;   in Loop: Header=BB6_4 Depth=1
	s_or_b32 exec_lo, exec_lo, s21
	s_and_saveexec_b32 s5, s4
	s_cbranch_execnz .LBB6_16
.LBB6_12:                               ;   in Loop: Header=BB6_4 Depth=1
	s_or_b32 exec_lo, exec_lo, s5
	s_and_saveexec_b32 s4, s3
	s_cbranch_execnz .LBB6_17
.LBB6_13:                               ;   in Loop: Header=BB6_4 Depth=1
	s_or_b32 exec_lo, exec_lo, s4
	s_and_saveexec_b32 s3, s2
	s_cbranch_execnz .LBB6_18
.LBB6_14:                               ;   in Loop: Header=BB6_4 Depth=1
	s_or_b32 exec_lo, exec_lo, s3
	s_and_saveexec_b32 s2, vcc_lo
	s_cbranch_execz .LBB6_3
	s_branch .LBB6_19
.LBB6_15:                               ;   in Loop: Header=BB6_4 Depth=1
	v_add_co_u32 v15, s5, v1, s17
	s_delay_alu instid0(VALU_DEP_1)
	v_add_co_ci_u32_e64 v16, s5, 0, v2, s5
	global_load_u16 v11, v[15:16], off
	s_or_b32 exec_lo, exec_lo, s21
	s_and_saveexec_b32 s5, s4
	s_cbranch_execz .LBB6_12
.LBB6_16:                               ;   in Loop: Header=BB6_4 Depth=1
	s_waitcnt vmcnt(0)
	v_cvt_f32_f16_e32 v15, v14
	s_delay_alu instid0(VALU_DEP_1) | instskip(SKIP_2) | instid1(VALU_DEP_3)
	v_add_f32_e64 v16, |v15|, 2.0
	v_add_f32_e64 v17, |v15|, -2.0
	v_add_f32_e64 v22, |v15|, |v15|
	v_rcp_f32_e32 v16, v16
	s_delay_alu instid0(VALU_DEP_1) | instskip(SKIP_2) | instid1(VALU_DEP_1)
	v_add_f32_e32 v23, 1.0, v22
	s_waitcnt_depctr 0xfff
	v_mul_f32_e32 v17, v17, v16
	v_add_f32_e32 v18, 1.0, v17
	s_delay_alu instid0(VALU_DEP_1) | instskip(NEXT) | instid1(VALU_DEP_1)
	v_fma_mix_f32 v18, v18, s19, |v14| op_sel_hi:[0,0,1]
	v_fma_mix_f32 v18, -v17, |v14|, v18 op_sel_hi:[0,1,0]
	s_delay_alu instid0(VALU_DEP_1) | instskip(SKIP_1) | instid1(VALU_DEP_2)
	v_fmac_f32_e32 v17, v16, v18
	v_mul_f32_e64 v18, -v15, v15
	v_fmaak_f32 v16, s20, v17, 0xbaa2d753
	s_delay_alu instid0(VALU_DEP_2) | instskip(SKIP_1) | instid1(VALU_DEP_2)
	v_mul_f32_e32 v19, 0x3fb8aa3b, v18
	v_cmp_ngt_f32_e64 s4, 0xc2ce8ed0, v18
	v_rndne_f32_e32 v20, v19
	v_fma_f32 v21, 0x3fb8aa3b, v18, -v19
	s_delay_alu instid0(VALU_DEP_2) | instskip(NEXT) | instid1(VALU_DEP_2)
	v_sub_f32_e32 v19, v19, v20
	v_fmac_f32_e32 v21, 0x32a5705f, v18
	v_fmaak_f32 v16, v17, v16, 0x3aad2fb4
	v_cvt_i32_f32_e32 v20, v20
	s_delay_alu instid0(VALU_DEP_2) | instskip(SKIP_1) | instid1(VALU_DEP_1)
	v_dual_add_f32 v19, v19, v21 :: v_dual_fmaak_f32 v16, v17, v16, 0x3c0da267
	v_rcp_f32_e32 v21, v23
	v_exp_f32_e32 v19, v19
	s_delay_alu instid0(VALU_DEP_1) | instskip(NEXT) | instid1(VALU_DEP_1)
	v_fmaak_f32 v16, v17, v16, 0xbc0415b1
	v_fmaak_f32 v16, v17, v16, 0xbd5e0a18
	s_delay_alu instid0(VALU_DEP_1) | instskip(NEXT) | instid1(VALU_DEP_1)
	v_fmaak_f32 v16, v17, v16, 0x3e27fe2a
	v_fmaak_f32 v16, v17, v16, 0xbe2a03fd
	;; [unrolled: 3-line block ×3, first 2 shown]
	s_delay_alu instid0(TRANS32_DEP_1)
	v_ldexp_f32 v17, v19, v20
	s_delay_alu instid0(TRANS32_DEP_2) | instid1(VALU_DEP_2)
	v_fma_f32 v19, v16, v21, v21
	s_delay_alu instid0(VALU_DEP_2) | instskip(SKIP_2) | instid1(VALU_DEP_4)
	v_cndmask_b32_e64 v17, 0, v17, s4
	v_cmp_nlt_f32_e64 s4, 0x42b17218, v18
	v_fma_mix_f32 v18, -v14, v14, -v18 op_sel_hi:[1,1,0]
	v_fma_f32 v20, -v19, v22, 1.0
	v_sub_f32_e32 v16, v16, v19
	s_delay_alu instid0(VALU_DEP_4) | instskip(SKIP_1) | instid1(VALU_DEP_2)
	v_cndmask_b32_e64 v17, 0x7f800000, v17, s4
	v_cmp_nlt_f32_e64 s4, 0x4120ddfc, |v15|
	v_dual_add_f32 v16, v20, v16 :: v_dual_fmac_f32 v17, v17, v18
	s_delay_alu instid0(VALU_DEP_1) | instskip(NEXT) | instid1(VALU_DEP_1)
	v_fmac_f32_e32 v19, v21, v16
	v_mul_f32_e32 v16, v17, v19
	s_delay_alu instid0(VALU_DEP_1) | instskip(SKIP_1) | instid1(VALU_DEP_2)
	v_cndmask_b32_e64 v15, 0, v16, s4
	v_cmp_gt_f16_e64 s4, 0, v14
	v_sub_f32_e32 v16, 2.0, v15
	s_delay_alu instid0(VALU_DEP_1) | instskip(NEXT) | instid1(VALU_DEP_1)
	v_cndmask_b32_e64 v14, v15, v16, s4
	v_cvt_f16_f32_e32 v14, v14
	global_store_b16 v[1:2], v14, off
	s_or_b32 exec_lo, exec_lo, s5
	s_and_saveexec_b32 s4, s3
	s_cbranch_execz .LBB6_13
.LBB6_17:                               ;   in Loop: Header=BB6_4 Depth=1
	s_waitcnt vmcnt(0)
	v_cvt_f32_f16_e32 v14, v13
	s_delay_alu instid0(VALU_DEP_1) | instskip(SKIP_2) | instid1(VALU_DEP_3)
	v_add_f32_e64 v15, |v14|, 2.0
	v_add_f32_e64 v16, |v14|, -2.0
	v_add_f32_e64 v21, |v14|, |v14|
	v_rcp_f32_e32 v15, v15
	s_delay_alu instid0(VALU_DEP_1) | instskip(SKIP_2) | instid1(VALU_DEP_1)
	v_add_f32_e32 v22, 1.0, v21
	s_waitcnt_depctr 0xfff
	v_mul_f32_e32 v16, v16, v15
	v_add_f32_e32 v17, 1.0, v16
	s_delay_alu instid0(VALU_DEP_1) | instskip(NEXT) | instid1(VALU_DEP_1)
	v_fma_mix_f32 v17, v17, s19, |v13| op_sel_hi:[0,0,1]
	v_fma_mix_f32 v17, -v16, |v13|, v17 op_sel_hi:[0,1,0]
	s_delay_alu instid0(VALU_DEP_1) | instskip(SKIP_1) | instid1(VALU_DEP_2)
	v_fmac_f32_e32 v16, v15, v17
	v_mul_f32_e64 v17, -v14, v14
	v_fmaak_f32 v15, s20, v16, 0xbaa2d753
	s_delay_alu instid0(VALU_DEP_2) | instskip(SKIP_1) | instid1(VALU_DEP_2)
	v_mul_f32_e32 v18, 0x3fb8aa3b, v17
	v_cmp_ngt_f32_e64 s3, 0xc2ce8ed0, v17
	v_rndne_f32_e32 v19, v18
	v_fma_f32 v20, 0x3fb8aa3b, v17, -v18
	s_delay_alu instid0(VALU_DEP_2) | instskip(NEXT) | instid1(VALU_DEP_2)
	v_sub_f32_e32 v18, v18, v19
	v_fmac_f32_e32 v20, 0x32a5705f, v17
	v_fmaak_f32 v15, v16, v15, 0x3aad2fb4
	v_cvt_i32_f32_e32 v19, v19
	s_delay_alu instid0(VALU_DEP_2) | instskip(SKIP_1) | instid1(VALU_DEP_1)
	v_dual_add_f32 v18, v18, v20 :: v_dual_fmaak_f32 v15, v16, v15, 0x3c0da267
	v_rcp_f32_e32 v20, v22
	v_exp_f32_e32 v18, v18
	s_delay_alu instid0(VALU_DEP_1) | instskip(NEXT) | instid1(VALU_DEP_1)
	v_fmaak_f32 v15, v16, v15, 0xbc0415b1
	v_fmaak_f32 v15, v16, v15, 0xbd5e0a18
	s_delay_alu instid0(VALU_DEP_1) | instskip(NEXT) | instid1(VALU_DEP_1)
	v_fmaak_f32 v15, v16, v15, 0x3e27fe2a
	v_fmaak_f32 v15, v16, v15, 0xbe2a03fd
	;; [unrolled: 3-line block ×3, first 2 shown]
	s_delay_alu instid0(TRANS32_DEP_1)
	v_ldexp_f32 v16, v18, v19
	s_delay_alu instid0(TRANS32_DEP_2) | instid1(VALU_DEP_2)
	v_fma_f32 v18, v15, v20, v20
	s_delay_alu instid0(VALU_DEP_2) | instskip(SKIP_1) | instid1(VALU_DEP_3)
	v_cndmask_b32_e64 v16, 0, v16, s3
	v_cmp_nlt_f32_e64 s3, 0x42b17218, v17
	v_fma_f32 v19, -v18, v21, 1.0
	v_sub_f32_e32 v15, v15, v18
	v_fma_mix_f32 v21, -v13, v13, -v17 op_sel_hi:[1,1,0]
	s_delay_alu instid0(VALU_DEP_4) | instskip(SKIP_1) | instid1(VALU_DEP_2)
	v_cndmask_b32_e64 v16, 0x7f800000, v16, s3
	v_cmp_nlt_f32_e64 s3, 0x4120ddfc, |v14|
	v_dual_add_f32 v15, v19, v15 :: v_dual_fmac_f32 v16, v16, v21
	s_delay_alu instid0(VALU_DEP_1) | instskip(NEXT) | instid1(VALU_DEP_1)
	v_fmac_f32_e32 v18, v20, v15
	v_mul_f32_e32 v15, v16, v18
	s_delay_alu instid0(VALU_DEP_1) | instskip(SKIP_1) | instid1(VALU_DEP_2)
	v_cndmask_b32_e64 v14, 0, v15, s3
	v_cmp_gt_f16_e64 s3, 0, v13
	v_sub_f32_e32 v15, 2.0, v14
	s_delay_alu instid0(VALU_DEP_1) | instskip(NEXT) | instid1(VALU_DEP_1)
	v_cndmask_b32_e64 v13, v14, v15, s3
	v_cvt_f16_f32_e32 v13, v13
	global_store_b16 v[3:4], v13, off
	s_or_b32 exec_lo, exec_lo, s4
	s_and_saveexec_b32 s3, s2
	s_cbranch_execz .LBB6_14
.LBB6_18:                               ;   in Loop: Header=BB6_4 Depth=1
	s_waitcnt vmcnt(0)
	v_cvt_f32_f16_e32 v13, v12
	s_delay_alu instid0(VALU_DEP_1) | instskip(SKIP_2) | instid1(VALU_DEP_3)
	v_add_f32_e64 v14, |v13|, 2.0
	v_add_f32_e64 v15, |v13|, -2.0
	v_add_f32_e64 v20, |v13|, |v13|
	v_rcp_f32_e32 v14, v14
	s_delay_alu instid0(VALU_DEP_1) | instskip(SKIP_2) | instid1(VALU_DEP_1)
	v_add_f32_e32 v21, 1.0, v20
	s_waitcnt_depctr 0xfff
	v_mul_f32_e32 v15, v15, v14
	v_add_f32_e32 v16, 1.0, v15
	s_delay_alu instid0(VALU_DEP_1) | instskip(NEXT) | instid1(VALU_DEP_1)
	v_fma_mix_f32 v16, v16, s19, |v12| op_sel_hi:[0,0,1]
	v_fma_mix_f32 v16, -v15, |v12|, v16 op_sel_hi:[0,1,0]
	s_delay_alu instid0(VALU_DEP_1) | instskip(SKIP_1) | instid1(VALU_DEP_2)
	v_fmac_f32_e32 v15, v14, v16
	v_mul_f32_e64 v16, -v13, v13
	v_fmaak_f32 v14, s20, v15, 0xbaa2d753
	s_delay_alu instid0(VALU_DEP_2) | instskip(SKIP_1) | instid1(VALU_DEP_2)
	v_mul_f32_e32 v17, 0x3fb8aa3b, v16
	v_cmp_ngt_f32_e64 s2, 0xc2ce8ed0, v16
	v_rndne_f32_e32 v18, v17
	v_fma_f32 v19, 0x3fb8aa3b, v16, -v17
	s_delay_alu instid0(VALU_DEP_2) | instskip(NEXT) | instid1(VALU_DEP_2)
	v_sub_f32_e32 v17, v17, v18
	v_fmac_f32_e32 v19, 0x32a5705f, v16
	v_fmaak_f32 v14, v15, v14, 0x3aad2fb4
	v_cvt_i32_f32_e32 v18, v18
	s_delay_alu instid0(VALU_DEP_2) | instskip(SKIP_1) | instid1(VALU_DEP_1)
	v_dual_add_f32 v17, v17, v19 :: v_dual_fmaak_f32 v14, v15, v14, 0x3c0da267
	v_rcp_f32_e32 v19, v21
	v_exp_f32_e32 v17, v17
	s_delay_alu instid0(VALU_DEP_1) | instskip(NEXT) | instid1(VALU_DEP_1)
	v_fmaak_f32 v14, v15, v14, 0xbc0415b1
	v_fmaak_f32 v14, v15, v14, 0xbd5e0a18
	s_delay_alu instid0(VALU_DEP_1) | instskip(NEXT) | instid1(VALU_DEP_1)
	v_fmaak_f32 v14, v15, v14, 0x3e27fe2a
	v_fmaak_f32 v14, v15, v14, 0xbe2a03fd
	;; [unrolled: 3-line block ×3, first 2 shown]
	s_delay_alu instid0(TRANS32_DEP_1)
	v_ldexp_f32 v15, v17, v18
	s_delay_alu instid0(TRANS32_DEP_2) | instid1(VALU_DEP_2)
	v_fma_f32 v17, v14, v19, v19
	s_delay_alu instid0(VALU_DEP_2) | instskip(SKIP_1) | instid1(VALU_DEP_3)
	v_cndmask_b32_e64 v15, 0, v15, s2
	v_cmp_nlt_f32_e64 s2, 0x42b17218, v16
	v_fma_f32 v18, -v17, v20, 1.0
	v_sub_f32_e32 v14, v14, v17
	v_fma_mix_f32 v20, -v12, v12, -v16 op_sel_hi:[1,1,0]
	s_delay_alu instid0(VALU_DEP_4) | instskip(SKIP_1) | instid1(VALU_DEP_2)
	v_cndmask_b32_e64 v15, 0x7f800000, v15, s2
	v_cmp_nlt_f32_e64 s2, 0x4120ddfc, |v13|
	v_dual_add_f32 v14, v18, v14 :: v_dual_fmac_f32 v15, v15, v20
	s_delay_alu instid0(VALU_DEP_1) | instskip(NEXT) | instid1(VALU_DEP_1)
	v_fmac_f32_e32 v17, v19, v14
	v_mul_f32_e32 v14, v15, v17
	s_delay_alu instid0(VALU_DEP_1) | instskip(SKIP_1) | instid1(VALU_DEP_2)
	v_cndmask_b32_e64 v13, 0, v14, s2
	v_cmp_gt_f16_e64 s2, 0, v12
	v_sub_f32_e32 v14, 2.0, v13
	s_delay_alu instid0(VALU_DEP_1) | instskip(NEXT) | instid1(VALU_DEP_1)
	v_cndmask_b32_e64 v12, v13, v14, s2
	v_cvt_f16_f32_e32 v14, v12
	v_add_co_u32 v12, s2, v1, s16
	s_delay_alu instid0(VALU_DEP_1)
	v_add_co_ci_u32_e64 v13, s2, 0, v2, s2
	global_store_b16 v[12:13], v14, off
	s_or_b32 exec_lo, exec_lo, s3
	s_and_saveexec_b32 s2, vcc_lo
	s_cbranch_execz .LBB6_3
.LBB6_19:                               ;   in Loop: Header=BB6_4 Depth=1
	s_waitcnt vmcnt(0)
	v_cvt_f32_f16_e32 v12, v11
	s_delay_alu instid0(VALU_DEP_1) | instskip(SKIP_2) | instid1(VALU_DEP_3)
	v_add_f32_e64 v13, |v12|, 2.0
	v_add_f32_e64 v14, |v12|, -2.0
	v_add_f32_e64 v19, |v12|, |v12|
	v_rcp_f32_e32 v13, v13
	s_delay_alu instid0(VALU_DEP_1) | instskip(SKIP_2) | instid1(VALU_DEP_1)
	v_add_f32_e32 v20, 1.0, v19
	s_waitcnt_depctr 0xfff
	v_mul_f32_e32 v14, v14, v13
	v_add_f32_e32 v15, 1.0, v14
	s_delay_alu instid0(VALU_DEP_1) | instskip(NEXT) | instid1(VALU_DEP_1)
	v_fma_mix_f32 v15, v15, s19, |v11| op_sel_hi:[0,0,1]
	v_fma_mix_f32 v15, -v14, |v11|, v15 op_sel_hi:[0,1,0]
	s_delay_alu instid0(VALU_DEP_1) | instskip(SKIP_1) | instid1(VALU_DEP_2)
	v_fmac_f32_e32 v14, v13, v15
	v_mul_f32_e64 v15, -v12, v12
	v_fmaak_f32 v13, s20, v14, 0xbaa2d753
	s_delay_alu instid0(VALU_DEP_2) | instskip(SKIP_1) | instid1(VALU_DEP_2)
	v_mul_f32_e32 v16, 0x3fb8aa3b, v15
	v_cmp_ngt_f32_e32 vcc_lo, 0xc2ce8ed0, v15
	v_rndne_f32_e32 v17, v16
	v_fma_f32 v18, 0x3fb8aa3b, v15, -v16
	s_delay_alu instid0(VALU_DEP_2) | instskip(NEXT) | instid1(VALU_DEP_2)
	v_sub_f32_e32 v16, v16, v17
	v_fmac_f32_e32 v18, 0x32a5705f, v15
	v_fmaak_f32 v13, v14, v13, 0x3aad2fb4
	v_cvt_i32_f32_e32 v17, v17
	s_delay_alu instid0(VALU_DEP_2) | instskip(SKIP_1) | instid1(VALU_DEP_1)
	v_dual_add_f32 v16, v16, v18 :: v_dual_fmaak_f32 v13, v14, v13, 0x3c0da267
	v_rcp_f32_e32 v18, v20
	v_exp_f32_e32 v16, v16
	s_delay_alu instid0(VALU_DEP_1) | instskip(NEXT) | instid1(VALU_DEP_1)
	v_fmaak_f32 v13, v14, v13, 0xbc0415b1
	v_fmaak_f32 v13, v14, v13, 0xbd5e0a18
	s_delay_alu instid0(VALU_DEP_1) | instskip(NEXT) | instid1(VALU_DEP_1)
	v_fmaak_f32 v13, v14, v13, 0x3e27fe2a
	v_fmaak_f32 v13, v14, v13, 0xbe2a03fd
	;; [unrolled: 3-line block ×3, first 2 shown]
	s_delay_alu instid0(TRANS32_DEP_1)
	v_ldexp_f32 v14, v16, v17
	s_delay_alu instid0(TRANS32_DEP_2) | instid1(VALU_DEP_2)
	v_fma_f32 v16, v13, v18, v18
	s_delay_alu instid0(VALU_DEP_2) | instskip(SKIP_1) | instid1(VALU_DEP_3)
	v_cndmask_b32_e32 v14, 0, v14, vcc_lo
	v_cmp_nlt_f32_e32 vcc_lo, 0x42b17218, v15
	v_fma_f32 v17, -v16, v19, 1.0
	v_sub_f32_e32 v13, v13, v16
	v_fma_mix_f32 v19, -v11, v11, -v15 op_sel_hi:[1,1,0]
	v_cndmask_b32_e32 v14, 0x7f800000, v14, vcc_lo
	v_cmp_nlt_f32_e64 vcc_lo, 0x4120ddfc, |v12|
	s_delay_alu instid0(VALU_DEP_2) | instskip(NEXT) | instid1(VALU_DEP_1)
	v_dual_add_f32 v13, v17, v13 :: v_dual_fmac_f32 v14, v14, v19
	v_fmac_f32_e32 v16, v18, v13
	s_delay_alu instid0(VALU_DEP_1) | instskip(NEXT) | instid1(VALU_DEP_1)
	v_mul_f32_e32 v13, v14, v16
	v_cndmask_b32_e32 v12, 0, v13, vcc_lo
	v_cmp_gt_f16_e32 vcc_lo, 0, v11
	s_delay_alu instid0(VALU_DEP_2) | instskip(NEXT) | instid1(VALU_DEP_1)
	v_sub_f32_e32 v13, 2.0, v12
	v_cndmask_b32_e32 v11, v12, v13, vcc_lo
	s_delay_alu instid0(VALU_DEP_1)
	v_cvt_f16_f32_e32 v13, v11
	v_add_co_u32 v11, vcc_lo, v1, s17
	v_add_co_ci_u32_e32 v12, vcc_lo, 0, v2, vcc_lo
	global_store_b16 v[11:12], v13, off
	s_branch .LBB6_3
.LBB6_20:
	s_cbranch_execz .LBB6_22
	s_branch .LBB6_25
.LBB6_21:
.LBB6_22:
	v_dual_mov_b32 v2, 0 :: v_dual_lshlrev_b32 v1, 2, v0
	s_mov_b32 s2, 0
	s_mov_b32 s3, exec_lo
	s_delay_alu instid0(VALU_DEP_1)
	v_cmpx_gt_i64_e64 s[6:7], v[1:2]
	s_cbranch_execz .LBB6_25
; %bb.23:
	s_load_b32 s0, s[0:1], 0xd3c
	v_lshlrev_b32_e32 v1, 3, v0
	s_mov_b32 s5, -2.0
	s_waitcnt lgkmcnt(0)
	s_and_b32 s0, s0, 0xffff
	s_delay_alu instid0(SALU_CYCLE_1) | instskip(SKIP_3) | instid1(VALU_DEP_1)
	s_lshl_b32 s3, s0, 2
	s_add_u32 s1, s8, s10
	s_addc_u32 s4, s9, s11
	v_add_co_u32 v3, s1, s1, v1
	v_add_co_ci_u32_e64 v4, null, s4, 0, s1
	v_add_lshl_u32 v1, v0, s0, 2
	s_delay_alu instid0(VALU_DEP_3) | instskip(NEXT) | instid1(VALU_DEP_3)
	v_add_co_u32 v3, vcc_lo, v3, 4
	v_add_co_ci_u32_e32 v4, vcc_lo, 0, v4, vcc_lo
	s_lshl_b32 s4, s0, 3
	s_mov_b32 s8, 0xb9d6f8c4
.LBB6_24:                               ; =>This Inner Loop Header: Depth=1
	global_load_b64 v[5:6], v[3:4], off offset:-4
	v_cmp_lt_u64_e64 s0, 0xffff, v[1:2]
	s_waitcnt vmcnt(0)
	v_cvt_f32_f16_e32 v0, v5
	v_cvt_f32_f16_e32 v9, v6
	v_lshrrev_b32_e32 v7, 16, v5
	v_lshrrev_b32_e32 v8, 16, v6
	s_delay_alu instid0(VALU_DEP_4)
	v_mul_f32_e64 v10, -v0, v0
	v_add_f32_e64 v12, |v0|, 2.0
	v_add_f32_e64 v13, |v0|, |v0|
	v_mul_f32_e64 v15, -v9, v9
	v_add_f32_e64 v17, |v9|, 2.0
	v_mul_f32_e32 v21, 0x3fb8aa3b, v10
	v_rcp_f32_e32 v12, v12
	v_add_f32_e32 v22, 1.0, v13
	v_add_f32_e64 v11, |v0|, -2.0
	v_cvt_f32_f16_e32 v14, v7
	v_add_f32_e64 v18, |v9|, |v9|
	v_mul_f32_e32 v28, 0x3fb8aa3b, v15
	v_rcp_f32_e32 v17, v17
	v_rndne_f32_e32 v34, v21
	v_fma_f32 v35, 0x3fb8aa3b, v10, -v21
	v_add_f32_e32 v29, 1.0, v18
	v_add_f32_e64 v16, |v9|, -2.0
	v_add_f32_e64 v25, |v14|, 2.0
	v_rndne_f32_e32 v39, v28
	v_fma_f32 v40, 0x3fb8aa3b, v15, -v28
	v_sub_f32_e32 v21, v21, v34
	v_fmac_f32_e32 v35, 0x32a5705f, v10
	v_dual_mul_f32 v11, v11, v12 :: v_dual_mul_f32 v16, v16, v17
	v_cvt_f32_f16_e32 v19, v8
	v_add_f32_e64 v24, |v14|, -2.0
	v_rcp_f32_e32 v25, v25
	v_sub_f32_e32 v28, v28, v39
	v_fmac_f32_e32 v40, 0x32a5705f, v15
	v_add_f32_e32 v21, v21, v35
	v_add_f32_e32 v35, 1.0, v11
	v_mul_f32_e64 v23, -v14, v14
	v_mul_f32_e64 v30, -v19, v19
	v_add_f32_e32 v28, v28, v40
	v_add_f32_e64 v32, |v19|, 2.0
	v_fma_mix_f32 v35, v35, s5, |v5| op_sel_hi:[0,0,1]
	v_add_f32_e64 v26, |v14|, |v14|
	v_add_f32_e64 v33, |v19|, |v19|
	v_dual_mul_f32 v37, 0x3fb8aa3b, v23 :: v_dual_mul_f32 v42, 0x3fb8aa3b, v30
	v_rcp_f32_e32 v32, v32
	v_fma_mix_f32 v35, -v11, |v5|, v35 op_sel_hi:[0,1,0]
	s_delay_alu instid0(VALU_DEP_3) | instskip(SKIP_1) | instid1(VALU_DEP_3)
	v_dual_add_f32 v43, 1.0, v33 :: v_dual_add_f32 v40, 1.0, v16
	v_add_f32_e64 v31, |v19|, -2.0
	v_dual_add_f32 v38, 1.0, v26 :: v_dual_fmac_f32 v11, v12, v35
	v_fma_f32 v44, 0x3fb8aa3b, v23, -v37
	v_rndne_f32_e32 v45, v37
	v_fma_f32 v46, 0x3fb8aa3b, v30, -v42
	v_rndne_f32_e32 v47, v42
	v_mul_f32_e32 v24, v24, v25
	v_exp_f32_e32 v21, v21
	v_fma_mix_f32 v40, v40, s5, |v6| op_sel_hi:[0,0,1]
	v_cvt_i32_f32_e32 v34, v34
	v_dual_fmac_f32 v44, 0x32a5705f, v23 :: v_dual_sub_f32 v37, v37, v45
	v_dual_fmac_f32 v46, 0x32a5705f, v30 :: v_dual_mul_f32 v31, v31, v32
	v_sub_f32_e32 v42, v42, v47
	v_fma_mix_f32 v40, -v16, |v6|, v40 op_sel_hi:[0,1,0]
	s_delay_alu instid0(VALU_DEP_4) | instskip(NEXT) | instid1(TRANS32_DEP_1)
	v_add_f32_e32 v37, v37, v44
	v_ldexp_f32 v21, v21, v34
	v_cmp_ngt_f32_e32 vcc_lo, 0xc2ce8ed0, v10
	v_add_f32_e32 v44, 1.0, v24
	v_fmaak_f32 v34, s8, v11, 0xbaa2d753
	v_fmac_f32_e32 v16, v17, v40
	v_add_f32_e32 v42, v42, v46
	v_add_f32_e32 v46, 1.0, v31
	v_exp_f32_e32 v28, v28
	v_cndmask_b32_e32 v21, 0, v21, vcc_lo
	v_fma_mix_f32 v44, v44, s5, |v5| op_sel:[0,0,1] op_sel_hi:[0,0,1]
	v_cvt_i32_f32_e32 v39, v39
	v_fma_mix_f32 v46, v46, s5, |v6| op_sel:[0,0,1] op_sel_hi:[0,0,1]
	v_cmp_ngt_f32_e32 vcc_lo, 0xc2ce8ed0, v15
	v_exp_f32_e32 v37, v37
	v_fma_mix_f32 v12, -v24, |v5|, v44 op_sel:[0,1,0] op_sel_hi:[0,1,0]
	v_fma_mix_f32 v20, -v5, v5, -v10 op_sel_hi:[1,1,0]
	v_fma_mix_f32 v17, -v31, |v6|, v46 op_sel:[0,1,0] op_sel_hi:[0,1,0]
	v_ldexp_f32 v28, v28, v39
	v_cvt_i32_f32_e32 v45, v45
	v_fma_mix_f32 v27, -v6, v6, -v15 op_sel_hi:[1,1,0]
	v_rcp_f32_e32 v29, v29
	v_fmac_f32_e32 v31, v32, v17
	v_dual_fmaak_f32 v17, v11, v34, 0x3aad2fb4 :: v_dual_fmac_f32 v24, v25, v12
	v_fmaak_f32 v25, s8, v16, 0xbaa2d753
	v_cndmask_b32_e32 v12, 0, v28, vcc_lo
	v_cmp_nlt_f32_e32 vcc_lo, 0x42b17218, v10
	s_delay_alu instid0(VALU_DEP_4)
	v_fmaak_f32 v17, v11, v17, 0x3c0da267
	v_fmaak_f32 v34, s8, v31, 0xbaa2d753
	;; [unrolled: 1-line block ×4, first 2 shown]
	v_cndmask_b32_e32 v10, 0x7f800000, v21, vcc_lo
	v_ldexp_f32 v35, v37, v45
	v_cmp_ngt_f32_e32 vcc_lo, 0xc2ce8ed0, v23
	v_fmaak_f32 v25, v16, v25, 0x3c0da267
	v_dual_fmaak_f32 v21, v24, v32, 0x3aad2fb4 :: v_dual_fmaak_f32 v32, v31, v34, 0x3aad2fb4
	v_rcp_f32_e32 v22, v22
	v_cndmask_b32_e32 v34, 0, v35, vcc_lo
	v_cmp_nlt_f32_e32 vcc_lo, 0x42b17218, v15
	s_delay_alu instid0(VALU_DEP_3) | instskip(SKIP_2) | instid1(VALU_DEP_2)
	v_dual_fmaak_f32 v21, v24, v21, 0x3c0da267 :: v_dual_fmaak_f32 v32, v31, v32, 0x3c0da267
	v_dual_fmaak_f32 v25, v16, v25, 0xbc0415b1 :: v_dual_fmac_f32 v10, v10, v20
	v_rcp_f32_e32 v38, v38
	v_fmaak_f32 v15, v24, v21, 0xbc0415b1
	v_exp_f32_e32 v42, v42
	s_delay_alu instid0(VALU_DEP_2)
	v_fmaak_f32 v21, v16, v25, 0xbd5e0a18
	v_fmaak_f32 v25, v31, v32, 0xbc0415b1
	v_fma_mix_f32 v36, -v5, v5, -v23 op_sel:[1,1,0] op_sel_hi:[1,1,0]
	v_fmaak_f32 v15, v24, v15, 0xbd5e0a18
	v_cvt_i32_f32_e32 v47, v47
	v_fmaak_f32 v21, v16, v21, 0x3e27fe2a
	v_fmaak_f32 v25, v31, v25, 0xbd5e0a18
	v_rcp_f32_e32 v43, v43
	v_fmaak_f32 v15, v24, v15, 0x3e27fe2a
	v_ldexp_f32 v28, v42, v47
	v_fmaak_f32 v20, v16, v21, 0xbe2a03fd
	v_fmaak_f32 v21, v31, v25, 0x3e27fe2a
	v_fma_mix_f32 v41, -v6, v6, -v30 op_sel:[1,1,0] op_sel_hi:[1,1,0]
	v_fmaak_f32 v15, v24, v15, 0xbe2a03fd
	s_delay_alu instid0(VALU_DEP_3) | instskip(NEXT) | instid1(VALU_DEP_2)
	v_fmaak_f32 v21, v31, v21, 0xbe2a03fd
	v_fmaak_f32 v15, v24, v15, 0xbdbdfb0b
	s_delay_alu instid0(VALU_DEP_1) | instskip(NEXT) | instid1(VALU_DEP_1)
	v_fmaak_f32 v15, v24, v15, 0x3e8dd01c
	v_fma_f32 v25, v15, v38, v38
	s_delay_alu instid0(VALU_DEP_1) | instskip(SKIP_1) | instid1(VALU_DEP_2)
	v_dual_sub_f32 v15, v15, v25 :: v_dual_cndmask_b32 v12, 0x7f800000, v12
	v_cmp_ngt_f32_e32 vcc_lo, 0xc2ce8ed0, v30
	v_dual_fmaak_f32 v17, v11, v17, 0xbc0415b1 :: v_dual_fmac_f32 v12, v12, v27
	v_cndmask_b32_e32 v28, 0, v28, vcc_lo
	v_cmp_nlt_f32_e32 vcc_lo, 0x42b17218, v23
	s_delay_alu instid0(VALU_DEP_3) | instskip(SKIP_2) | instid1(VALU_DEP_2)
	v_fmaak_f32 v17, v11, v17, 0xbd5e0a18
	v_cndmask_b32_e32 v23, 0x7f800000, v34, vcc_lo
	v_cmp_nlt_f32_e32 vcc_lo, 0x42b17218, v30
	v_fmac_f32_e32 v23, v23, v36
	v_fmaak_f32 v20, v16, v20, 0xbdbdfb0b
	s_delay_alu instid0(VALU_DEP_1) | instskip(NEXT) | instid1(VALU_DEP_1)
	v_fmaak_f32 v16, v16, v20, 0x3e8dd01c
	v_fma_f32 v24, v16, v29, v29
	s_delay_alu instid0(VALU_DEP_1) | instskip(NEXT) | instid1(VALU_DEP_1)
	v_dual_fmaak_f32 v17, v11, v17, 0x3e27fe2a :: v_dual_sub_f32 v16, v16, v24
	v_fmaak_f32 v17, v11, v17, 0xbe2a03fd
	v_fma_f32 v18, -v24, v18, 1.0
	s_delay_alu instid0(VALU_DEP_1) | instskip(NEXT) | instid1(VALU_DEP_1)
	v_dual_fmaak_f32 v17, v11, v17, 0xbdbdfb0b :: v_dual_add_f32 v16, v18, v16
	v_fmaak_f32 v11, v11, v17, 0x3e8dd01c
	v_fmaak_f32 v17, v31, v21, 0xbdbdfb0b
	v_cndmask_b32_e32 v21, 0x7f800000, v28, vcc_lo
	s_delay_alu instid0(VALU_DEP_4) | instskip(SKIP_4) | instid1(VALU_DEP_3)
	v_fmac_f32_e32 v24, v29, v16
	v_cmp_nlt_f32_e64 vcc_lo, 0x4120ddfc, |v0|
	v_fma_f32 v20, v11, v22, v22
	v_fmaak_f32 v17, v31, v17, 0x3e8dd01c
	v_fmac_f32_e32 v21, v21, v41
	v_fma_f32 v13, -v20, v13, 1.0
	v_sub_f32_e32 v11, v11, v20
	s_delay_alu instid0(VALU_DEP_4) | instskip(NEXT) | instid1(VALU_DEP_2)
	v_fma_f32 v27, v17, v43, v43
	v_add_f32_e32 v11, v13, v11
	v_fma_f32 v13, -v25, v26, 1.0
	s_delay_alu instid0(VALU_DEP_3) | instskip(SKIP_1) | instid1(VALU_DEP_4)
	v_fma_f32 v26, -v27, v33, 1.0
	v_sub_f32_e32 v17, v17, v27
	v_fmac_f32_e32 v20, v22, v11
	s_delay_alu instid0(VALU_DEP_4) | instskip(NEXT) | instid1(VALU_DEP_3)
	v_add_f32_e32 v11, v13, v15
	v_add_f32_e32 v13, v26, v17
	s_delay_alu instid0(VALU_DEP_3) | instskip(NEXT) | instid1(VALU_DEP_3)
	v_mul_f32_e32 v10, v10, v20
	v_fmac_f32_e32 v25, v38, v11
	v_mul_f32_e32 v11, v12, v24
	s_delay_alu instid0(VALU_DEP_3) | instskip(SKIP_1) | instid1(VALU_DEP_4)
	v_dual_fmac_f32 v27, v43, v13 :: v_dual_cndmask_b32 v0, 0, v10
	v_cmp_nlt_f32_e64 vcc_lo, 0x4120ddfc, |v9|
	v_mul_f32_e32 v10, v23, v25
	s_delay_alu instid0(VALU_DEP_3) | instskip(SKIP_3) | instid1(VALU_DEP_3)
	v_mul_f32_e32 v12, v21, v27
	v_cndmask_b32_e32 v9, 0, v11, vcc_lo
	v_cmp_nlt_f32_e64 vcc_lo, 0x4120ddfc, |v19|
	v_sub_f32_e32 v11, 2.0, v0
	v_dual_sub_f32 v13, 2.0, v9 :: v_dual_cndmask_b32 v12, 0, v12
	v_cmp_nlt_f32_e64 vcc_lo, 0x4120ddfc, |v14|
	v_cndmask_b32_e32 v10, 0, v10, vcc_lo
	v_cmp_gt_f16_e32 vcc_lo, 0, v5
	s_delay_alu instid0(VALU_DEP_4) | instskip(SKIP_1) | instid1(VALU_DEP_4)
	v_dual_sub_f32 v5, 2.0, v12 :: v_dual_cndmask_b32 v0, v0, v11
	v_cmp_gt_f16_e32 vcc_lo, 0, v6
	v_sub_f32_e32 v11, 2.0, v10
	s_delay_alu instid0(VALU_DEP_3) | instskip(SKIP_2) | instid1(VALU_DEP_2)
	v_cvt_f16_f32_e32 v0, v0
	v_cndmask_b32_e32 v6, v9, v13, vcc_lo
	v_cmp_gt_f16_e32 vcc_lo, 0, v8
	v_cvt_f16_f32_e32 v6, v6
	v_cndmask_b32_e32 v5, v12, v5, vcc_lo
	v_cmp_gt_f16_e32 vcc_lo, 0, v7
	s_delay_alu instid0(VALU_DEP_2) | instskip(SKIP_3) | instid1(VALU_DEP_4)
	v_cvt_f16_f32_e32 v5, v5
	v_cndmask_b32_e32 v7, v10, v11, vcc_lo
	v_cmp_le_i64_e32 vcc_lo, s[6:7], v[1:2]
	v_add_co_u32 v1, s1, v1, s3
	v_pack_b32_f16 v6, v6, v5
	s_delay_alu instid0(VALU_DEP_4) | instskip(SKIP_2) | instid1(VALU_DEP_2)
	v_cvt_f16_f32_e32 v7, v7
	v_add_co_ci_u32_e64 v2, s1, 0, v2, s1
	s_or_b32 s0, vcc_lo, s0
	v_pack_b32_f16 v5, v0, v7
	s_and_b32 s0, exec_lo, s0
	s_delay_alu instid0(SALU_CYCLE_1)
	s_or_b32 s2, s0, s2
	global_store_b64 v[3:4], v[5:6], off offset:-4
	v_add_co_u32 v3, vcc_lo, v3, s4
	v_add_co_ci_u32_e32 v4, vcc_lo, 0, v4, vcc_lo
	s_and_not1_b32 exec_lo, exec_lo, s2
	s_cbranch_execnz .LBB6_24
.LBB6_25:
	s_nop 0
	s_sendmsg sendmsg(MSG_DEALLOC_VGPRS)
	s_endpgm
	.section	.rodata,"a",@progbits
	.p2align	6, 0x0
	.amdhsa_kernel _ZN2at6native12_GLOBAL__N_125multi_tensor_apply_kernelINS1_18TensorListMetadataILi1EEENS1_14UnaryOpFunctorIN3c104HalfELi1ELi1ELi0EEEJNS0_4ErfcIfEEEEEvT_T0_DpT1_
		.amdhsa_group_segment_fixed_size 0
		.amdhsa_private_segment_fixed_size 0
		.amdhsa_kernarg_size 3632
		.amdhsa_user_sgpr_count 15
		.amdhsa_user_sgpr_dispatch_ptr 0
		.amdhsa_user_sgpr_queue_ptr 0
		.amdhsa_user_sgpr_kernarg_segment_ptr 1
		.amdhsa_user_sgpr_dispatch_id 0
		.amdhsa_user_sgpr_private_segment_size 0
		.amdhsa_wavefront_size32 1
		.amdhsa_uses_dynamic_stack 0
		.amdhsa_enable_private_segment 0
		.amdhsa_system_sgpr_workgroup_id_x 1
		.amdhsa_system_sgpr_workgroup_id_y 0
		.amdhsa_system_sgpr_workgroup_id_z 0
		.amdhsa_system_sgpr_workgroup_info 0
		.amdhsa_system_vgpr_workitem_id 0
		.amdhsa_next_free_vgpr 48
		.amdhsa_next_free_sgpr 22
		.amdhsa_reserve_vcc 1
		.amdhsa_float_round_mode_32 0
		.amdhsa_float_round_mode_16_64 0
		.amdhsa_float_denorm_mode_32 3
		.amdhsa_float_denorm_mode_16_64 3
		.amdhsa_dx10_clamp 1
		.amdhsa_ieee_mode 1
		.amdhsa_fp16_overflow 0
		.amdhsa_workgroup_processor_mode 1
		.amdhsa_memory_ordered 1
		.amdhsa_forward_progress 0
		.amdhsa_shared_vgpr_count 0
		.amdhsa_exception_fp_ieee_invalid_op 0
		.amdhsa_exception_fp_denorm_src 0
		.amdhsa_exception_fp_ieee_div_zero 0
		.amdhsa_exception_fp_ieee_overflow 0
		.amdhsa_exception_fp_ieee_underflow 0
		.amdhsa_exception_fp_ieee_inexact 0
		.amdhsa_exception_int_div_zero 0
	.end_amdhsa_kernel
	.section	.text._ZN2at6native12_GLOBAL__N_125multi_tensor_apply_kernelINS1_18TensorListMetadataILi1EEENS1_14UnaryOpFunctorIN3c104HalfELi1ELi1ELi0EEEJNS0_4ErfcIfEEEEEvT_T0_DpT1_,"axG",@progbits,_ZN2at6native12_GLOBAL__N_125multi_tensor_apply_kernelINS1_18TensorListMetadataILi1EEENS1_14UnaryOpFunctorIN3c104HalfELi1ELi1ELi0EEEJNS0_4ErfcIfEEEEEvT_T0_DpT1_,comdat
.Lfunc_end6:
	.size	_ZN2at6native12_GLOBAL__N_125multi_tensor_apply_kernelINS1_18TensorListMetadataILi1EEENS1_14UnaryOpFunctorIN3c104HalfELi1ELi1ELi0EEEJNS0_4ErfcIfEEEEEvT_T0_DpT1_, .Lfunc_end6-_ZN2at6native12_GLOBAL__N_125multi_tensor_apply_kernelINS1_18TensorListMetadataILi1EEENS1_14UnaryOpFunctorIN3c104HalfELi1ELi1ELi0EEEJNS0_4ErfcIfEEEEEvT_T0_DpT1_
                                        ; -- End function
	.section	.AMDGPU.csdata,"",@progbits
; Kernel info:
; codeLenInByte = 4016
; NumSgprs: 24
; NumVgprs: 48
; ScratchSize: 0
; MemoryBound: 0
; FloatMode: 240
; IeeeMode: 1
; LDSByteSize: 0 bytes/workgroup (compile time only)
; SGPRBlocks: 2
; VGPRBlocks: 5
; NumSGPRsForWavesPerEU: 24
; NumVGPRsForWavesPerEU: 48
; Occupancy: 16
; WaveLimiterHint : 0
; COMPUTE_PGM_RSRC2:SCRATCH_EN: 0
; COMPUTE_PGM_RSRC2:USER_SGPR: 15
; COMPUTE_PGM_RSRC2:TRAP_HANDLER: 0
; COMPUTE_PGM_RSRC2:TGID_X_EN: 1
; COMPUTE_PGM_RSRC2:TGID_Y_EN: 0
; COMPUTE_PGM_RSRC2:TGID_Z_EN: 0
; COMPUTE_PGM_RSRC2:TIDIG_COMP_CNT: 0
	.section	.text._ZN2at6native12_GLOBAL__N_125multi_tensor_apply_kernelINS1_18TensorListMetadataILi1EEENS1_14UnaryOpFunctorIN3c108BFloat16ELi1ELi1ELi0EEEJNS0_4ErfcIfEEEEEvT_T0_DpT1_,"axG",@progbits,_ZN2at6native12_GLOBAL__N_125multi_tensor_apply_kernelINS1_18TensorListMetadataILi1EEENS1_14UnaryOpFunctorIN3c108BFloat16ELi1ELi1ELi0EEEJNS0_4ErfcIfEEEEEvT_T0_DpT1_,comdat
	.globl	_ZN2at6native12_GLOBAL__N_125multi_tensor_apply_kernelINS1_18TensorListMetadataILi1EEENS1_14UnaryOpFunctorIN3c108BFloat16ELi1ELi1ELi0EEEJNS0_4ErfcIfEEEEEvT_T0_DpT1_ ; -- Begin function _ZN2at6native12_GLOBAL__N_125multi_tensor_apply_kernelINS1_18TensorListMetadataILi1EEENS1_14UnaryOpFunctorIN3c108BFloat16ELi1ELi1ELi0EEEJNS0_4ErfcIfEEEEEvT_T0_DpT1_
	.p2align	8
	.type	_ZN2at6native12_GLOBAL__N_125multi_tensor_apply_kernelINS1_18TensorListMetadataILi1EEENS1_14UnaryOpFunctorIN3c108BFloat16ELi1ELi1ELi0EEEJNS0_4ErfcIfEEEEEvT_T0_DpT1_,@function
_ZN2at6native12_GLOBAL__N_125multi_tensor_apply_kernelINS1_18TensorListMetadataILi1EEENS1_14UnaryOpFunctorIN3c108BFloat16ELi1ELi1ELi0EEEJNS0_4ErfcIfEEEEEvT_T0_DpT1_: ; @_ZN2at6native12_GLOBAL__N_125multi_tensor_apply_kernelINS1_18TensorListMetadataILi1EEENS1_14UnaryOpFunctorIN3c108BFloat16ELi1ELi1ELi0EEEJNS0_4ErfcIfEEEEEvT_T0_DpT1_
; %bb.0:
	v_mov_b32_e32 v1, s15
	s_add_u32 s2, s0, s15
	s_mul_hi_u32 s3, s15, 3
	s_mul_i32 s15, s15, 3
	s_addc_u32 s4, s1, 0
	global_load_u8 v1, v1, s[0:1] offset:1760
	s_add_u32 s2, s2, s15
	s_addc_u32 s3, s4, s3
	s_mov_b32 s13, 0
	s_load_b32 s2, s[2:3], 0x820
	s_waitcnt vmcnt(0)
	v_readfirstlane_b32 s5, v1
	s_delay_alu instid0(VALU_DEP_1)
	s_lshl_b32 s3, s5, 3
	s_clause 0x1
	s_load_b64 s[8:9], s[0:1], s3 offset:0x0
	s_load_b64 s[4:5], s[0:1], s3 offset:0x370
	s_waitcnt lgkmcnt(0)
	s_ashr_i32 s3, s2, 31
	s_delay_alu instid0(SALU_CYCLE_1)
	s_lshl_b64 s[10:11], s[2:3], 17
	s_lshl_b64 s[2:3], s[2:3], 16
	s_and_b32 s12, s8, 7
	s_sub_u32 s6, s4, s2
	s_subb_u32 s7, s5, s3
	s_and_b32 s2, s4, 3
	s_mov_b32 s3, s13
	s_delay_alu instid0(SALU_CYCLE_1) | instskip(NEXT) | instid1(SALU_CYCLE_1)
	s_or_b64 s[2:3], s[12:13], s[2:3]
	s_cmp_eq_u64 s[2:3], 0
	s_cbranch_scc1 .LBB7_21
; %bb.1:
	v_cmp_lt_i64_e64 s2, s[6:7], 1
	s_delay_alu instid0(VALU_DEP_1)
	s_and_b32 vcc_lo, exec_lo, s2
	s_cbranch_vccnz .LBB7_20
; %bb.2:
	s_load_b32 s2, s[0:1], 0xd3c
	v_cmp_gt_u64_e64 s3, 0x10000, s[6:7]
	v_lshlrev_b32_e32 v1, 1, v0
	s_mov_b32 s19, 0xb9d6f8c4
	s_waitcnt lgkmcnt(0)
	s_and_b32 s2, s2, 0xffff
	s_delay_alu instid0(VALU_DEP_2)
	s_and_b32 s3, s3, exec_lo
	v_add_co_u32 v5, s5, v0, s2
	s_cselect_b32 s13, s7, 0
	s_cselect_b32 s12, s6, 0x10000
	s_lshl_b32 s3, s2, 1
	s_lshl_b32 s16, s2, 2
	v_lshlrev_b32_e32 v3, 1, v5
	v_add_co_ci_u32_e64 v6, null, 0, 0, s5
	s_add_u32 s5, s8, s10
	v_add_co_u32 v9, s3, s3, v0
	s_mul_i32 s4, s2, 3
	s_addc_u32 s14, s9, s11
	v_add_co_ci_u32_e64 v10, null, 0, 0, s3
	v_add_co_u32 v1, s3, s5, v1
	v_add_co_u32 v7, s4, s4, v0
	v_add_co_ci_u32_e64 v2, null, s14, 0, s3
	v_add_co_u32 v3, s3, s5, v3
	v_add_co_ci_u32_e64 v8, null, 0, 0, s4
	v_add_co_ci_u32_e64 v4, null, s14, 0, s3
	s_lshl_b32 s17, s2, 3
	s_mul_i32 s18, s2, 6
	s_mov_b64 s[14:15], 0
	s_branch .LBB7_4
.LBB7_3:                                ;   in Loop: Header=BB7_4 Depth=1
	s_or_b32 exec_lo, exec_lo, s2
	s_add_u32 s14, s14, s16
	s_addc_u32 s15, s15, 0
	v_add_co_u32 v1, vcc_lo, v1, s17
	v_cmp_lt_i64_e64 s2, s[14:15], s[6:7]
	v_cmp_gt_u64_e64 s3, 0x10000, s[14:15]
	v_add_co_ci_u32_e32 v2, vcc_lo, 0, v2, vcc_lo
	v_add_co_u32 v3, vcc_lo, v3, s17
	v_add_co_ci_u32_e32 v4, vcc_lo, 0, v4, vcc_lo
	s_delay_alu instid0(VALU_DEP_4) | instskip(NEXT) | instid1(SALU_CYCLE_1)
	s_and_b32 s2, s2, s3
	s_and_b32 vcc_lo, exec_lo, s2
	s_cbranch_vccz .LBB7_20
.LBB7_4:                                ; =>This Inner Loop Header: Depth=1
	s_waitcnt vmcnt(0)
	v_add_co_u32 v11, s2, v0, s14
	s_delay_alu instid0(VALU_DEP_1) | instskip(SKIP_1) | instid1(VALU_DEP_2)
	v_add_co_ci_u32_e64 v12, null, 0, s15, s2
	v_mov_b32_e32 v14, 0
	v_cmp_gt_u64_e64 s4, s[12:13], v[11:12]
	s_delay_alu instid0(VALU_DEP_1)
	s_and_saveexec_b32 s2, s4
	s_cbranch_execz .LBB7_6
; %bb.5:                                ;   in Loop: Header=BB7_4 Depth=1
	global_load_u16 v14, v[1:2], off
.LBB7_6:                                ;   in Loop: Header=BB7_4 Depth=1
	s_or_b32 exec_lo, exec_lo, s2
	v_add_co_u32 v11, vcc_lo, v5, s14
	v_add_co_ci_u32_e32 v12, vcc_lo, s15, v6, vcc_lo
	v_mov_b32_e32 v13, 0
	s_delay_alu instid0(VALU_DEP_2) | instskip(NEXT) | instid1(VALU_DEP_1)
	v_cmp_gt_u64_e64 s3, s[12:13], v[11:12]
	s_and_saveexec_b32 s2, s3
	s_cbranch_execz .LBB7_8
; %bb.7:                                ;   in Loop: Header=BB7_4 Depth=1
	global_load_u16 v13, v[3:4], off
.LBB7_8:                                ;   in Loop: Header=BB7_4 Depth=1
	s_or_b32 exec_lo, exec_lo, s2
	v_add_co_u32 v11, vcc_lo, v9, s14
	v_add_co_ci_u32_e32 v12, vcc_lo, s15, v10, vcc_lo
	s_delay_alu instid0(VALU_DEP_1) | instskip(SKIP_1) | instid1(VALU_DEP_2)
	v_cmp_gt_u64_e64 s2, s[12:13], v[11:12]
	v_dual_mov_b32 v11, 0 :: v_dual_mov_b32 v12, 0
	s_and_saveexec_b32 s5, s2
	s_cbranch_execz .LBB7_10
; %bb.9:                                ;   in Loop: Header=BB7_4 Depth=1
	v_add_co_u32 v15, vcc_lo, v1, s16
	v_add_co_ci_u32_e32 v16, vcc_lo, 0, v2, vcc_lo
	global_load_u16 v12, v[15:16], off
.LBB7_10:                               ;   in Loop: Header=BB7_4 Depth=1
	s_or_b32 exec_lo, exec_lo, s5
	v_add_co_u32 v15, vcc_lo, v7, s14
	v_add_co_ci_u32_e32 v16, vcc_lo, s15, v8, vcc_lo
	s_delay_alu instid0(VALU_DEP_1)
	v_cmp_gt_u64_e32 vcc_lo, s[12:13], v[15:16]
	s_and_saveexec_b32 s20, vcc_lo
	s_cbranch_execnz .LBB7_15
; %bb.11:                               ;   in Loop: Header=BB7_4 Depth=1
	s_or_b32 exec_lo, exec_lo, s20
	s_and_saveexec_b32 s5, s4
	s_cbranch_execnz .LBB7_16
.LBB7_12:                               ;   in Loop: Header=BB7_4 Depth=1
	s_or_b32 exec_lo, exec_lo, s5
	s_and_saveexec_b32 s4, s3
	s_cbranch_execnz .LBB7_17
.LBB7_13:                               ;   in Loop: Header=BB7_4 Depth=1
	s_or_b32 exec_lo, exec_lo, s4
	s_and_saveexec_b32 s3, s2
	s_cbranch_execnz .LBB7_18
.LBB7_14:                               ;   in Loop: Header=BB7_4 Depth=1
	s_or_b32 exec_lo, exec_lo, s3
	s_and_saveexec_b32 s2, vcc_lo
	s_cbranch_execz .LBB7_3
	s_branch .LBB7_19
.LBB7_15:                               ;   in Loop: Header=BB7_4 Depth=1
	v_add_co_u32 v15, s5, v1, s18
	s_delay_alu instid0(VALU_DEP_1)
	v_add_co_ci_u32_e64 v16, s5, 0, v2, s5
	global_load_u16 v11, v[15:16], off
	s_or_b32 exec_lo, exec_lo, s20
	s_and_saveexec_b32 s5, s4
	s_cbranch_execz .LBB7_12
.LBB7_16:                               ;   in Loop: Header=BB7_4 Depth=1
	s_waitcnt vmcnt(0)
	v_lshlrev_b32_e32 v14, 16, v14
	s_delay_alu instid0(VALU_DEP_1) | instskip(SKIP_1) | instid1(VALU_DEP_2)
	v_add_f32_e64 v15, |v14|, 2.0
	v_add_f32_e64 v16, |v14|, -2.0
	v_rcp_f32_e32 v15, v15
	s_waitcnt_depctr 0xfff
	v_mul_f32_e32 v16, v16, v15
	s_delay_alu instid0(VALU_DEP_1) | instskip(SKIP_1) | instid1(VALU_DEP_2)
	v_add_f32_e32 v17, 1.0, v16
	v_add_f32_e64 v21, |v14|, |v14|
	v_fma_f32 v17, v17, -2.0, |v14|
	s_delay_alu instid0(VALU_DEP_2) | instskip(NEXT) | instid1(VALU_DEP_2)
	v_add_f32_e32 v22, 1.0, v21
	v_fma_f32 v17, -v16, |v14|, v17
	s_delay_alu instid0(VALU_DEP_1) | instskip(SKIP_1) | instid1(VALU_DEP_1)
	v_fmac_f32_e32 v16, v15, v17
	v_mul_f32_e64 v17, -v14, v14
	v_mul_f32_e32 v18, 0x3fb8aa3b, v17
	v_cmp_ngt_f32_e64 s4, 0xc2ce8ed0, v17
	s_delay_alu instid0(VALU_DEP_2) | instskip(SKIP_2) | instid1(VALU_DEP_3)
	v_rndne_f32_e32 v19, v18
	v_fmaak_f32 v15, s19, v16, 0xbaa2d753
	v_fma_f32 v20, 0x3fb8aa3b, v17, -v18
	v_sub_f32_e32 v18, v18, v19
	s_delay_alu instid0(VALU_DEP_3) | instskip(NEXT) | instid1(VALU_DEP_3)
	v_fmaak_f32 v15, v16, v15, 0x3aad2fb4
	v_fmac_f32_e32 v20, 0x32a5705f, v17
	v_cvt_i32_f32_e32 v19, v19
	s_delay_alu instid0(VALU_DEP_2) | instskip(SKIP_1) | instid1(VALU_DEP_1)
	v_dual_fmaak_f32 v15, v16, v15, 0x3c0da267 :: v_dual_add_f32 v18, v18, v20
	v_rcp_f32_e32 v20, v22
	v_fmaak_f32 v15, v16, v15, 0xbc0415b1
	s_delay_alu instid0(VALU_DEP_2) | instskip(NEXT) | instid1(VALU_DEP_1)
	v_exp_f32_e32 v18, v18
	v_fmaak_f32 v15, v16, v15, 0xbd5e0a18
	s_delay_alu instid0(VALU_DEP_1) | instskip(NEXT) | instid1(VALU_DEP_1)
	v_fmaak_f32 v15, v16, v15, 0x3e27fe2a
	v_fmaak_f32 v15, v16, v15, 0xbe2a03fd
	s_delay_alu instid0(VALU_DEP_1) | instskip(NEXT) | instid1(VALU_DEP_1)
	v_fmaak_f32 v15, v16, v15, 0xbdbdfb0b
	v_fmaak_f32 v15, v16, v15, 0x3e8dd01c
	s_waitcnt_depctr 0xfff
	v_ldexp_f32 v16, v18, v19
	v_fma_f32 v18, v15, v20, v20
	s_delay_alu instid0(VALU_DEP_2) | instskip(SKIP_2) | instid1(VALU_DEP_4)
	v_cndmask_b32_e64 v16, 0, v16, s4
	v_cmp_nlt_f32_e64 s4, 0x42b17218, v17
	v_fma_f32 v17, -v14, v14, -v17
	v_fma_f32 v19, -v18, v21, 1.0
	v_sub_f32_e32 v15, v15, v18
	s_delay_alu instid0(VALU_DEP_4) | instskip(SKIP_1) | instid1(VALU_DEP_2)
	v_cndmask_b32_e64 v16, 0x7f800000, v16, s4
	v_cmp_nlt_f32_e64 s4, 0x4120ddfc, |v14|
	v_dual_add_f32 v15, v19, v15 :: v_dual_fmac_f32 v16, v16, v17
	s_delay_alu instid0(VALU_DEP_1) | instskip(NEXT) | instid1(VALU_DEP_1)
	v_fmac_f32_e32 v18, v20, v15
	v_mul_f32_e32 v15, v16, v18
	s_delay_alu instid0(VALU_DEP_1) | instskip(SKIP_1) | instid1(VALU_DEP_2)
	v_cndmask_b32_e64 v15, 0, v15, s4
	v_cmp_gt_f32_e64 s4, 0, v14
	v_sub_f32_e32 v16, 2.0, v15
	s_delay_alu instid0(VALU_DEP_1) | instskip(NEXT) | instid1(VALU_DEP_1)
	v_cndmask_b32_e64 v14, v15, v16, s4
	v_bfe_u32 v15, v14, 16, 1
	v_cmp_o_f32_e64 s4, v14, v14
	s_delay_alu instid0(VALU_DEP_2) | instskip(NEXT) | instid1(VALU_DEP_1)
	v_add3_u32 v15, v14, v15, 0x7fff
	v_lshrrev_b32_e32 v15, 16, v15
	s_delay_alu instid0(VALU_DEP_1)
	v_cndmask_b32_e64 v14, 0x7fc0, v15, s4
	global_store_b16 v[1:2], v14, off
	s_or_b32 exec_lo, exec_lo, s5
	s_and_saveexec_b32 s4, s3
	s_cbranch_execz .LBB7_13
.LBB7_17:                               ;   in Loop: Header=BB7_4 Depth=1
	s_waitcnt vmcnt(0)
	v_lshlrev_b32_e32 v13, 16, v13
	s_delay_alu instid0(VALU_DEP_1) | instskip(SKIP_1) | instid1(VALU_DEP_2)
	v_add_f32_e64 v14, |v13|, 2.0
	v_add_f32_e64 v15, |v13|, -2.0
	v_rcp_f32_e32 v14, v14
	s_waitcnt_depctr 0xfff
	v_mul_f32_e32 v15, v15, v14
	s_delay_alu instid0(VALU_DEP_1) | instskip(SKIP_1) | instid1(VALU_DEP_2)
	v_add_f32_e32 v16, 1.0, v15
	v_add_f32_e64 v20, |v13|, |v13|
	v_fma_f32 v16, v16, -2.0, |v13|
	s_delay_alu instid0(VALU_DEP_2) | instskip(NEXT) | instid1(VALU_DEP_2)
	v_add_f32_e32 v21, 1.0, v20
	v_fma_f32 v16, -v15, |v13|, v16
	s_delay_alu instid0(VALU_DEP_1) | instskip(SKIP_1) | instid1(VALU_DEP_1)
	v_fmac_f32_e32 v15, v14, v16
	v_mul_f32_e64 v16, -v13, v13
	v_mul_f32_e32 v17, 0x3fb8aa3b, v16
	v_cmp_ngt_f32_e64 s3, 0xc2ce8ed0, v16
	s_delay_alu instid0(VALU_DEP_2) | instskip(SKIP_2) | instid1(VALU_DEP_3)
	v_rndne_f32_e32 v18, v17
	v_fmaak_f32 v14, s19, v15, 0xbaa2d753
	v_fma_f32 v19, 0x3fb8aa3b, v16, -v17
	v_sub_f32_e32 v17, v17, v18
	s_delay_alu instid0(VALU_DEP_3) | instskip(NEXT) | instid1(VALU_DEP_3)
	v_fmaak_f32 v14, v15, v14, 0x3aad2fb4
	v_fmac_f32_e32 v19, 0x32a5705f, v16
	v_cvt_i32_f32_e32 v18, v18
	s_delay_alu instid0(VALU_DEP_2) | instskip(SKIP_1) | instid1(VALU_DEP_1)
	v_dual_fmaak_f32 v14, v15, v14, 0x3c0da267 :: v_dual_add_f32 v17, v17, v19
	v_rcp_f32_e32 v19, v21
	v_fmaak_f32 v14, v15, v14, 0xbc0415b1
	s_delay_alu instid0(VALU_DEP_2) | instskip(NEXT) | instid1(VALU_DEP_1)
	v_exp_f32_e32 v17, v17
	v_fmaak_f32 v14, v15, v14, 0xbd5e0a18
	s_delay_alu instid0(VALU_DEP_1) | instskip(NEXT) | instid1(VALU_DEP_1)
	v_fmaak_f32 v14, v15, v14, 0x3e27fe2a
	v_fmaak_f32 v14, v15, v14, 0xbe2a03fd
	s_delay_alu instid0(VALU_DEP_1) | instskip(NEXT) | instid1(VALU_DEP_1)
	v_fmaak_f32 v14, v15, v14, 0xbdbdfb0b
	v_fmaak_f32 v14, v15, v14, 0x3e8dd01c
	s_waitcnt_depctr 0xfff
	v_ldexp_f32 v15, v17, v18
	v_fma_f32 v17, v14, v19, v19
	s_delay_alu instid0(VALU_DEP_2) | instskip(SKIP_1) | instid1(VALU_DEP_3)
	v_cndmask_b32_e64 v15, 0, v15, s3
	v_cmp_nlt_f32_e64 s3, 0x42b17218, v16
	v_fma_f32 v18, -v17, v20, 1.0
	v_sub_f32_e32 v14, v14, v17
	v_fma_f32 v20, -v13, v13, -v16
	s_delay_alu instid0(VALU_DEP_4) | instskip(SKIP_1) | instid1(VALU_DEP_2)
	v_cndmask_b32_e64 v15, 0x7f800000, v15, s3
	v_cmp_nlt_f32_e64 s3, 0x4120ddfc, |v13|
	v_dual_add_f32 v14, v18, v14 :: v_dual_fmac_f32 v15, v15, v20
	s_delay_alu instid0(VALU_DEP_1) | instskip(NEXT) | instid1(VALU_DEP_1)
	v_fmac_f32_e32 v17, v19, v14
	v_mul_f32_e32 v14, v15, v17
	s_delay_alu instid0(VALU_DEP_1) | instskip(SKIP_1) | instid1(VALU_DEP_2)
	v_cndmask_b32_e64 v14, 0, v14, s3
	v_cmp_gt_f32_e64 s3, 0, v13
	v_sub_f32_e32 v15, 2.0, v14
	s_delay_alu instid0(VALU_DEP_1) | instskip(NEXT) | instid1(VALU_DEP_1)
	v_cndmask_b32_e64 v13, v14, v15, s3
	v_bfe_u32 v14, v13, 16, 1
	v_cmp_o_f32_e64 s3, v13, v13
	s_delay_alu instid0(VALU_DEP_2) | instskip(NEXT) | instid1(VALU_DEP_1)
	v_add3_u32 v14, v13, v14, 0x7fff
	v_lshrrev_b32_e32 v14, 16, v14
	s_delay_alu instid0(VALU_DEP_1)
	v_cndmask_b32_e64 v13, 0x7fc0, v14, s3
	global_store_b16 v[3:4], v13, off
	s_or_b32 exec_lo, exec_lo, s4
	s_and_saveexec_b32 s3, s2
	s_cbranch_execz .LBB7_14
.LBB7_18:                               ;   in Loop: Header=BB7_4 Depth=1
	s_waitcnt vmcnt(0)
	v_lshlrev_b32_e32 v12, 16, v12
	s_delay_alu instid0(VALU_DEP_1) | instskip(SKIP_1) | instid1(VALU_DEP_2)
	v_add_f32_e64 v13, |v12|, 2.0
	v_add_f32_e64 v14, |v12|, -2.0
	v_rcp_f32_e32 v13, v13
	s_waitcnt_depctr 0xfff
	v_mul_f32_e32 v14, v14, v13
	s_delay_alu instid0(VALU_DEP_1) | instskip(SKIP_1) | instid1(VALU_DEP_2)
	v_add_f32_e32 v15, 1.0, v14
	v_add_f32_e64 v19, |v12|, |v12|
	v_fma_f32 v15, v15, -2.0, |v12|
	s_delay_alu instid0(VALU_DEP_2) | instskip(NEXT) | instid1(VALU_DEP_2)
	v_add_f32_e32 v20, 1.0, v19
	v_fma_f32 v15, -v14, |v12|, v15
	s_delay_alu instid0(VALU_DEP_1) | instskip(SKIP_1) | instid1(VALU_DEP_1)
	v_fmac_f32_e32 v14, v13, v15
	v_mul_f32_e64 v15, -v12, v12
	v_mul_f32_e32 v16, 0x3fb8aa3b, v15
	v_cmp_ngt_f32_e64 s2, 0xc2ce8ed0, v15
	s_delay_alu instid0(VALU_DEP_2) | instskip(SKIP_2) | instid1(VALU_DEP_3)
	v_rndne_f32_e32 v17, v16
	v_fmaak_f32 v13, s19, v14, 0xbaa2d753
	v_fma_f32 v18, 0x3fb8aa3b, v15, -v16
	v_sub_f32_e32 v16, v16, v17
	s_delay_alu instid0(VALU_DEP_3) | instskip(NEXT) | instid1(VALU_DEP_3)
	v_fmaak_f32 v13, v14, v13, 0x3aad2fb4
	v_fmac_f32_e32 v18, 0x32a5705f, v15
	v_cvt_i32_f32_e32 v17, v17
	s_delay_alu instid0(VALU_DEP_2) | instskip(SKIP_1) | instid1(VALU_DEP_1)
	v_dual_fmaak_f32 v13, v14, v13, 0x3c0da267 :: v_dual_add_f32 v16, v16, v18
	v_rcp_f32_e32 v18, v20
	v_fmaak_f32 v13, v14, v13, 0xbc0415b1
	s_delay_alu instid0(VALU_DEP_2) | instskip(NEXT) | instid1(VALU_DEP_1)
	v_exp_f32_e32 v16, v16
	v_fmaak_f32 v13, v14, v13, 0xbd5e0a18
	s_delay_alu instid0(VALU_DEP_1) | instskip(NEXT) | instid1(VALU_DEP_1)
	v_fmaak_f32 v13, v14, v13, 0x3e27fe2a
	v_fmaak_f32 v13, v14, v13, 0xbe2a03fd
	s_delay_alu instid0(VALU_DEP_1) | instskip(NEXT) | instid1(VALU_DEP_1)
	v_fmaak_f32 v13, v14, v13, 0xbdbdfb0b
	v_fmaak_f32 v13, v14, v13, 0x3e8dd01c
	s_waitcnt_depctr 0xfff
	v_ldexp_f32 v14, v16, v17
	v_fma_f32 v16, v13, v18, v18
	s_delay_alu instid0(VALU_DEP_2) | instskip(SKIP_1) | instid1(VALU_DEP_3)
	v_cndmask_b32_e64 v14, 0, v14, s2
	v_cmp_nlt_f32_e64 s2, 0x42b17218, v15
	v_fma_f32 v17, -v16, v19, 1.0
	v_sub_f32_e32 v13, v13, v16
	v_fma_f32 v19, -v12, v12, -v15
	s_delay_alu instid0(VALU_DEP_4) | instskip(SKIP_1) | instid1(VALU_DEP_2)
	v_cndmask_b32_e64 v14, 0x7f800000, v14, s2
	v_cmp_nlt_f32_e64 s2, 0x4120ddfc, |v12|
	v_dual_add_f32 v13, v17, v13 :: v_dual_fmac_f32 v14, v14, v19
	s_delay_alu instid0(VALU_DEP_1) | instskip(NEXT) | instid1(VALU_DEP_1)
	v_fmac_f32_e32 v16, v18, v13
	v_mul_f32_e32 v13, v14, v16
	s_delay_alu instid0(VALU_DEP_1) | instskip(SKIP_1) | instid1(VALU_DEP_2)
	v_cndmask_b32_e64 v13, 0, v13, s2
	v_cmp_gt_f32_e64 s2, 0, v12
	v_sub_f32_e32 v14, 2.0, v13
	s_delay_alu instid0(VALU_DEP_1) | instskip(NEXT) | instid1(VALU_DEP_1)
	v_cndmask_b32_e64 v12, v13, v14, s2
	v_bfe_u32 v13, v12, 16, 1
	v_cmp_o_f32_e64 s2, v12, v12
	s_delay_alu instid0(VALU_DEP_2) | instskip(NEXT) | instid1(VALU_DEP_1)
	v_add3_u32 v13, v12, v13, 0x7fff
	v_lshrrev_b32_e32 v13, 16, v13
	s_delay_alu instid0(VALU_DEP_1) | instskip(SKIP_1) | instid1(VALU_DEP_1)
	v_cndmask_b32_e64 v14, 0x7fc0, v13, s2
	v_add_co_u32 v12, s2, v1, s16
	v_add_co_ci_u32_e64 v13, s2, 0, v2, s2
	global_store_b16 v[12:13], v14, off
	s_or_b32 exec_lo, exec_lo, s3
	s_and_saveexec_b32 s2, vcc_lo
	s_cbranch_execz .LBB7_3
.LBB7_19:                               ;   in Loop: Header=BB7_4 Depth=1
	s_waitcnt vmcnt(0)
	v_lshlrev_b32_e32 v11, 16, v11
	s_delay_alu instid0(VALU_DEP_1) | instskip(SKIP_1) | instid1(VALU_DEP_2)
	v_add_f32_e64 v12, |v11|, 2.0
	v_add_f32_e64 v13, |v11|, -2.0
	v_rcp_f32_e32 v12, v12
	s_waitcnt_depctr 0xfff
	v_mul_f32_e32 v13, v13, v12
	s_delay_alu instid0(VALU_DEP_1) | instskip(SKIP_1) | instid1(VALU_DEP_2)
	v_add_f32_e32 v14, 1.0, v13
	v_add_f32_e64 v18, |v11|, |v11|
	v_fma_f32 v14, v14, -2.0, |v11|
	s_delay_alu instid0(VALU_DEP_2) | instskip(NEXT) | instid1(VALU_DEP_2)
	v_add_f32_e32 v19, 1.0, v18
	v_fma_f32 v14, -v13, |v11|, v14
	s_delay_alu instid0(VALU_DEP_1) | instskip(SKIP_1) | instid1(VALU_DEP_1)
	v_fmac_f32_e32 v13, v12, v14
	v_mul_f32_e64 v14, -v11, v11
	v_mul_f32_e32 v15, 0x3fb8aa3b, v14
	v_cmp_ngt_f32_e32 vcc_lo, 0xc2ce8ed0, v14
	s_delay_alu instid0(VALU_DEP_2) | instskip(SKIP_2) | instid1(VALU_DEP_3)
	v_rndne_f32_e32 v16, v15
	v_fmaak_f32 v12, s19, v13, 0xbaa2d753
	v_fma_f32 v17, 0x3fb8aa3b, v14, -v15
	v_sub_f32_e32 v15, v15, v16
	s_delay_alu instid0(VALU_DEP_3) | instskip(NEXT) | instid1(VALU_DEP_3)
	v_fmaak_f32 v12, v13, v12, 0x3aad2fb4
	v_fmac_f32_e32 v17, 0x32a5705f, v14
	v_cvt_i32_f32_e32 v16, v16
	s_delay_alu instid0(VALU_DEP_2) | instskip(SKIP_1) | instid1(VALU_DEP_1)
	v_dual_fmaak_f32 v12, v13, v12, 0x3c0da267 :: v_dual_add_f32 v15, v15, v17
	v_rcp_f32_e32 v17, v19
	v_fmaak_f32 v12, v13, v12, 0xbc0415b1
	s_delay_alu instid0(VALU_DEP_2) | instskip(NEXT) | instid1(VALU_DEP_1)
	v_exp_f32_e32 v15, v15
	v_fmaak_f32 v12, v13, v12, 0xbd5e0a18
	s_delay_alu instid0(VALU_DEP_1) | instskip(NEXT) | instid1(VALU_DEP_1)
	v_fmaak_f32 v12, v13, v12, 0x3e27fe2a
	v_fmaak_f32 v12, v13, v12, 0xbe2a03fd
	s_delay_alu instid0(VALU_DEP_1) | instskip(NEXT) | instid1(VALU_DEP_1)
	v_fmaak_f32 v12, v13, v12, 0xbdbdfb0b
	v_fmaak_f32 v12, v13, v12, 0x3e8dd01c
	s_waitcnt_depctr 0xfff
	v_ldexp_f32 v13, v15, v16
	v_fma_f32 v15, v12, v17, v17
	s_delay_alu instid0(VALU_DEP_2) | instskip(SKIP_1) | instid1(VALU_DEP_3)
	v_cndmask_b32_e32 v13, 0, v13, vcc_lo
	v_cmp_nlt_f32_e32 vcc_lo, 0x42b17218, v14
	v_fma_f32 v16, -v15, v18, 1.0
	v_sub_f32_e32 v12, v12, v15
	v_fma_f32 v18, -v11, v11, -v14
	v_cndmask_b32_e32 v13, 0x7f800000, v13, vcc_lo
	v_cmp_nlt_f32_e64 vcc_lo, 0x4120ddfc, |v11|
	s_delay_alu instid0(VALU_DEP_2) | instskip(NEXT) | instid1(VALU_DEP_1)
	v_dual_add_f32 v12, v16, v12 :: v_dual_fmac_f32 v13, v13, v18
	v_fmac_f32_e32 v15, v17, v12
	s_delay_alu instid0(VALU_DEP_1) | instskip(NEXT) | instid1(VALU_DEP_1)
	v_mul_f32_e32 v12, v13, v15
	v_cndmask_b32_e32 v12, 0, v12, vcc_lo
	v_cmp_gt_f32_e32 vcc_lo, 0, v11
	s_delay_alu instid0(VALU_DEP_2) | instskip(NEXT) | instid1(VALU_DEP_1)
	v_sub_f32_e32 v13, 2.0, v12
	v_cndmask_b32_e32 v11, v12, v13, vcc_lo
	s_delay_alu instid0(VALU_DEP_1) | instskip(SKIP_1) | instid1(VALU_DEP_2)
	v_bfe_u32 v12, v11, 16, 1
	v_cmp_o_f32_e32 vcc_lo, v11, v11
	v_add3_u32 v12, v11, v12, 0x7fff
	s_delay_alu instid0(VALU_DEP_1) | instskip(NEXT) | instid1(VALU_DEP_1)
	v_lshrrev_b32_e32 v12, 16, v12
	v_cndmask_b32_e32 v13, 0x7fc0, v12, vcc_lo
	v_add_co_u32 v11, vcc_lo, v1, s18
	v_add_co_ci_u32_e32 v12, vcc_lo, 0, v2, vcc_lo
	global_store_b16 v[11:12], v13, off
	s_branch .LBB7_3
.LBB7_20:
	s_cbranch_execz .LBB7_22
	s_branch .LBB7_25
.LBB7_21:
.LBB7_22:
	v_dual_mov_b32 v2, 0 :: v_dual_lshlrev_b32 v1, 2, v0
	s_mov_b32 s2, 0
	s_mov_b32 s3, exec_lo
	s_delay_alu instid0(VALU_DEP_1)
	v_cmpx_gt_i64_e64 s[6:7], v[1:2]
	s_cbranch_execz .LBB7_25
; %bb.23:
	s_load_b32 s0, s[0:1], 0xd3c
	v_lshlrev_b32_e32 v1, 3, v0
	s_mov_b32 s5, 0xb9d6f8c4
	s_waitcnt lgkmcnt(0)
	s_and_b32 s0, s0, 0xffff
	s_add_u32 s1, s8, s10
	s_addc_u32 s3, s9, s11
	v_add_co_u32 v3, s1, s1, v1
	s_delay_alu instid0(VALU_DEP_1)
	v_add_co_ci_u32_e64 v4, null, s3, 0, s1
	v_add_lshl_u32 v1, v0, s0, 2
	s_lshl_b32 s3, s0, 3
	s_lshl_b32 s4, s0, 2
.LBB7_24:                               ; =>This Inner Loop Header: Depth=1
	global_load_b64 v[5:6], v[3:4], off
	v_cmp_lt_u64_e64 s0, 0xffff, v[1:2]
	s_waitcnt vmcnt(0)
	v_lshlrev_b32_e32 v0, 16, v5
	s_delay_alu instid0(VALU_DEP_1) | instskip(NEXT) | instid1(VALU_DEP_1)
	v_mul_f32_e64 v8, -v0, v0
	v_mul_f32_e32 v21, 0x3fb8aa3b, v8
	v_add_f32_e64 v11, |v0|, |v0|
	v_and_b32_e32 v7, 0xffff0000, v5
	v_alignbit_b32 v5, v6, v5, 16
	v_add_f32_e64 v10, |v0|, 2.0
	v_fma_f32 v33, 0x3fb8aa3b, v8, -v21
	v_add_f32_e32 v22, 1.0, v11
	v_add_f32_e64 v15, |v7|, |v7|
	v_and_b32_e32 v6, 0xffff0000, v6
	v_mul_f32_e64 v12, -v7, v7
	v_rndne_f32_e32 v34, v21
	v_add_f32_e64 v14, |v7|, 2.0
	v_add_f32_e32 v25, 1.0, v15
	v_add_f32_e64 v19, |v6|, |v6|
	v_and_b32_e32 v5, 0xffff0000, v5
	v_mul_f32_e64 v16, -v6, v6
	v_add_f32_e64 v18, |v6|, 2.0
	v_rcp_f32_e32 v10, v10
	v_add_f32_e32 v32, 1.0, v19
	v_mul_f32_e64 v26, -v5, v5
	v_add_f32_e64 v29, |v5|, |v5|
	v_mul_f32_e32 v24, 0x3fb8aa3b, v12
	v_mul_f32_e32 v31, 0x3fb8aa3b, v16
	v_add_f32_e64 v28, |v5|, 2.0
	s_delay_alu instid0(VALU_DEP_4) | instskip(NEXT) | instid1(VALU_DEP_4)
	v_dual_mul_f32 v38, 0x3fb8aa3b, v26 :: v_dual_add_f32 v39, 1.0, v29
	v_fma_f32 v35, 0x3fb8aa3b, v12, -v24
	v_rndne_f32_e32 v36, v24
	v_sub_f32_e32 v21, v21, v34
	s_delay_alu instid0(VALU_DEP_4)
	v_fma_f32 v42, 0x3fb8aa3b, v26, -v38
	v_rcp_f32_e32 v14, v14
	v_fmac_f32_e32 v35, 0x32a5705f, v12
	v_sub_f32_e32 v24, v24, v36
	v_rcp_f32_e32 v18, v18
	v_dual_fmac_f32 v42, 0x32a5705f, v26 :: v_dual_fmac_f32 v33, 0x32a5705f, v8
	v_rcp_f32_e32 v28, v28
	s_delay_alu instid0(VALU_DEP_2)
	v_add_f32_e32 v24, v24, v35
	v_add_f32_e64 v9, |v0|, -2.0
	v_add_f32_e64 v13, |v7|, -2.0
	v_add_f32_e32 v21, v21, v33
	v_add_f32_e64 v17, |v6|, -2.0
	v_add_f32_e64 v27, |v5|, -2.0
	v_fma_f32 v40, 0x3fb8aa3b, v16, -v31
	v_rndne_f32_e32 v41, v31
	v_rndne_f32_e32 v43, v38
	v_exp_f32_e32 v21, v21
	v_cvt_i32_f32_e32 v34, v34
	v_dual_mul_f32 v9, v9, v10 :: v_dual_fmac_f32 v40, 0x32a5705f, v16
	s_delay_alu instid0(VALU_DEP_3) | instskip(SKIP_3) | instid1(VALU_DEP_4)
	v_dual_mul_f32 v13, v13, v14 :: v_dual_sub_f32 v38, v38, v43
	v_sub_f32_e32 v31, v31, v41
	v_mul_f32_e32 v27, v27, v28
	v_mul_f32_e32 v17, v17, v18
	v_dual_add_f32 v35, 1.0, v13 :: v_dual_add_f32 v38, v38, v42
	s_delay_alu instid0(TRANS32_DEP_1) | instskip(NEXT) | instid1(VALU_DEP_4)
	v_ldexp_f32 v21, v21, v34
	v_add_f32_e32 v42, 1.0, v27
	v_cmp_ngt_f32_e32 vcc_lo, 0xc2ce8ed0, v8
	v_dual_add_f32 v31, v31, v40 :: v_dual_add_f32 v40, 1.0, v17
	v_fma_f32 v35, v35, -2.0, |v7|
	s_delay_alu instid0(VALU_DEP_4)
	v_fma_f32 v42, v42, -2.0, |v5|
	v_exp_f32_e32 v24, v24
	v_cvt_i32_f32_e32 v36, v36
	v_fma_f32 v40, v40, -2.0, |v6|
	v_fma_f32 v35, -v13, |v7|, v35
	v_cvt_i32_f32_e32 v41, v41
	v_exp_f32_e32 v38, v38
	v_fma_f32 v20, -v0, v0, -v8
	v_fma_f32 v40, -v17, |v6|, v40
	v_cvt_i32_f32_e32 v43, v43
	v_fma_f32 v23, -v7, v7, -v12
	v_fma_f32 v30, -v6, v6, -v16
	v_rcp_f32_e32 v22, v22
	v_fmac_f32_e32 v17, v18, v40
	v_fmac_f32_e32 v13, v14, v35
	v_fma_f32 v14, -v27, |v5|, v42
	v_cndmask_b32_e32 v18, 0, v21, vcc_lo
	v_exp_f32_e32 v31, v31
	v_cmp_ngt_f32_e32 vcc_lo, 0xc2ce8ed0, v12
	v_rcp_f32_e32 v32, v32
	v_dual_fmac_f32 v27, v28, v14 :: v_dual_fmaak_f32 v14, s5, v17, 0xbaa2d753
	v_add_f32_e32 v33, 1.0, v9
	v_ldexp_f32 v28, v38, v43
	v_rcp_f32_e32 v39, v39
	v_rcp_f32_e32 v25, v25
	v_fmaak_f32 v14, v17, v14, 0x3aad2fb4
	v_fma_f32 v33, v33, -2.0, |v0|
	v_fma_f32 v37, -v5, v5, -v26
	s_delay_alu instid0(VALU_DEP_2) | instskip(NEXT) | instid1(VALU_DEP_1)
	v_fma_f32 v33, -v9, |v0|, v33
	v_fmac_f32_e32 v9, v10, v33
	v_ldexp_f32 v10, v24, v36
	v_ldexp_f32 v24, v31, v41
	s_delay_alu instid0(VALU_DEP_2) | instskip(SKIP_1) | instid1(VALU_DEP_3)
	v_cndmask_b32_e32 v10, 0, v10, vcc_lo
	v_cmp_ngt_f32_e32 vcc_lo, 0xc2ce8ed0, v16
	v_cndmask_b32_e32 v24, 0, v24, vcc_lo
	v_cmp_nlt_f32_e32 vcc_lo, 0x42b17218, v8
	v_cndmask_b32_e32 v8, 0x7f800000, v18, vcc_lo
	v_fmaak_f32 v14, v17, v14, 0x3c0da267
	v_fmaak_f32 v21, s5, v9, 0xbaa2d753
	v_cmp_nlt_f32_e32 vcc_lo, 0x42b17218, v12
	s_delay_alu instid0(VALU_DEP_4) | instskip(NEXT) | instid1(VALU_DEP_4)
	v_fmac_f32_e32 v8, v8, v20
	v_fmaak_f32 v14, v17, v14, 0xbc0415b1
	v_cndmask_b32_e32 v10, 0x7f800000, v10, vcc_lo
	v_fmaak_f32 v31, s5, v13, 0xbaa2d753
	v_cmp_ngt_f32_e32 vcc_lo, 0xc2ce8ed0, v26
	v_fmaak_f32 v21, v9, v21, 0x3aad2fb4
	v_fmaak_f32 v14, v17, v14, 0xbd5e0a18
	v_fmac_f32_e32 v10, v10, v23
	v_dual_fmaak_f32 v31, v13, v31, 0x3aad2fb4 :: v_dual_cndmask_b32 v28, 0, v28
	s_delay_alu instid0(VALU_DEP_4) | instskip(SKIP_2) | instid1(VALU_DEP_3)
	v_fmaak_f32 v21, v9, v21, 0x3c0da267
	v_cmp_nlt_f32_e32 vcc_lo, 0x42b17218, v16
	v_fmaak_f32 v14, v17, v14, 0x3e27fe2a
	v_fmaak_f32 v21, v9, v21, 0xbc0415b1
	v_cndmask_b32_e32 v16, 0x7f800000, v24, vcc_lo
	v_fmaak_f32 v31, v13, v31, 0x3c0da267
	v_cmp_nlt_f32_e32 vcc_lo, 0x42b17218, v26
	s_delay_alu instid0(VALU_DEP_3) | instskip(NEXT) | instid1(VALU_DEP_3)
	v_fmac_f32_e32 v16, v16, v30
	v_fmaak_f32 v18, v13, v31, 0xbc0415b1
	v_fmaak_f32 v21, v9, v21, 0xbd5e0a18
	;; [unrolled: 1-line block ×3, first 2 shown]
	s_delay_alu instid0(VALU_DEP_2) | instskip(NEXT) | instid1(VALU_DEP_2)
	v_fmaak_f32 v21, v9, v21, 0x3e27fe2a
	v_fmaak_f32 v14, v17, v14, 0xbdbdfb0b
	s_delay_alu instid0(VALU_DEP_2) | instskip(NEXT) | instid1(VALU_DEP_2)
	v_fmaak_f32 v21, v9, v21, 0xbe2a03fd
	v_fmaak_f32 v14, v17, v14, 0x3e8dd01c
	s_delay_alu instid0(VALU_DEP_2) | instskip(NEXT) | instid1(VALU_DEP_1)
	v_fmaak_f32 v21, v9, v21, 0xbdbdfb0b
	v_fmaak_f32 v9, v9, v21, 0x3e8dd01c
	s_delay_alu instid0(VALU_DEP_3) | instskip(SKIP_1) | instid1(VALU_DEP_3)
	v_fma_f32 v21, v14, v32, v32
	v_fmaak_f32 v33, s5, v27, 0xbaa2d753
	v_fma_f32 v17, v9, v22, v22
	s_delay_alu instid0(VALU_DEP_3) | instskip(SKIP_1) | instid1(VALU_DEP_3)
	v_sub_f32_e32 v14, v14, v21
	v_fma_f32 v19, -v21, v19, 1.0
	v_fma_f32 v11, -v17, v11, 1.0
	s_delay_alu instid0(VALU_DEP_2) | instskip(NEXT) | instid1(VALU_DEP_1)
	v_dual_sub_f32 v9, v9, v17 :: v_dual_add_f32 v14, v19, v14
	v_dual_add_f32 v9, v11, v9 :: v_dual_fmaak_f32 v12, v13, v18, 0xbd5e0a18
	s_delay_alu instid0(VALU_DEP_2) | instskip(NEXT) | instid1(VALU_DEP_2)
	v_fmac_f32_e32 v21, v32, v14
	v_dual_fmac_f32 v17, v22, v9 :: v_dual_fmaak_f32 v12, v13, v12, 0x3e27fe2a
	s_delay_alu instid0(VALU_DEP_1) | instskip(NEXT) | instid1(VALU_DEP_2)
	v_mul_f32_e32 v8, v8, v17
	v_fmaak_f32 v12, v13, v12, 0xbe2a03fd
	s_delay_alu instid0(VALU_DEP_1) | instskip(NEXT) | instid1(VALU_DEP_1)
	v_fmaak_f32 v12, v13, v12, 0xbdbdfb0b
	v_fmaak_f32 v12, v13, v12, 0x3e8dd01c
	s_delay_alu instid0(VALU_DEP_1) | instskip(NEXT) | instid1(VALU_DEP_1)
	v_fma_f32 v20, v12, v25, v25
	v_fma_f32 v15, -v20, v15, 1.0
	v_sub_f32_e32 v12, v12, v20
	s_delay_alu instid0(VALU_DEP_1) | instskip(NEXT) | instid1(VALU_DEP_1)
	v_add_f32_e32 v11, v15, v12
	v_dual_fmaak_f32 v33, v27, v33, 0x3aad2fb4 :: v_dual_fmac_f32 v20, v25, v11
	s_delay_alu instid0(VALU_DEP_1) | instskip(NEXT) | instid1(VALU_DEP_1)
	v_dual_fmaak_f32 v31, v27, v33, 0x3c0da267 :: v_dual_mul_f32 v10, v10, v20
	v_fmaak_f32 v18, v27, v31, 0xbc0415b1
	s_delay_alu instid0(VALU_DEP_1) | instskip(NEXT) | instid1(VALU_DEP_1)
	v_fmaak_f32 v18, v27, v18, 0xbd5e0a18
	v_fmaak_f32 v18, v27, v18, 0x3e27fe2a
	s_delay_alu instid0(VALU_DEP_1) | instskip(NEXT) | instid1(VALU_DEP_1)
	v_fmaak_f32 v18, v27, v18, 0xbe2a03fd
	v_fmaak_f32 v13, v27, v18, 0xbdbdfb0b
	v_cndmask_b32_e32 v18, 0x7f800000, v28, vcc_lo
	v_cmp_nlt_f32_e64 vcc_lo, 0x4120ddfc, |v0|
	s_delay_alu instid0(VALU_DEP_3) | instskip(SKIP_1) | instid1(VALU_DEP_2)
	v_dual_fmaak_f32 v13, v27, v13, 0x3e8dd01c :: v_dual_cndmask_b32 v8, 0, v8
	v_cmp_nlt_f32_e64 vcc_lo, 0x4120ddfc, |v7|
	v_fma_f32 v23, v13, v39, v39
	v_cndmask_b32_e32 v10, 0, v10, vcc_lo
	v_cmp_nlt_f32_e64 vcc_lo, 0x4120ddfc, |v6|
	s_delay_alu instid0(VALU_DEP_3) | instskip(SKIP_1) | instid1(VALU_DEP_1)
	v_fma_f32 v12, -v23, v29, 1.0
	v_sub_f32_e32 v13, v13, v23
	v_add_f32_e32 v9, v12, v13
	v_dual_sub_f32 v13, 2.0, v10 :: v_dual_sub_f32 v12, 2.0, v8
	s_delay_alu instid0(VALU_DEP_2) | instskip(SKIP_1) | instid1(VALU_DEP_1)
	v_fmac_f32_e32 v23, v39, v9
	v_mul_f32_e32 v9, v16, v21
	v_cndmask_b32_e32 v9, 0, v9, vcc_lo
	v_cmp_nlt_f32_e64 vcc_lo, 0x4120ddfc, |v5|
	v_fmac_f32_e32 v18, v18, v37
	s_delay_alu instid0(VALU_DEP_1) | instskip(NEXT) | instid1(VALU_DEP_1)
	v_mul_f32_e32 v11, v18, v23
	v_cndmask_b32_e32 v11, 0, v11, vcc_lo
	v_cmp_gt_f32_e32 vcc_lo, 0, v0
	v_cndmask_b32_e32 v0, v8, v12, vcc_lo
	v_cmp_gt_f32_e32 vcc_lo, 0, v7
	s_delay_alu instid0(VALU_DEP_4) | instskip(SKIP_3) | instid1(VALU_DEP_3)
	v_sub_f32_e32 v8, 2.0, v11
	v_sub_f32_e32 v14, 2.0, v9
	v_cndmask_b32_e32 v7, v10, v13, vcc_lo
	v_cmp_gt_f32_e32 vcc_lo, 0, v6
	v_cndmask_b32_e32 v6, v9, v14, vcc_lo
	v_cmp_gt_f32_e32 vcc_lo, 0, v5
	v_bfe_u32 v9, v0, 16, 1
	s_delay_alu instid0(VALU_DEP_3) | instskip(SKIP_2) | instid1(VALU_DEP_4)
	v_bfe_u32 v10, v6, 16, 1
	v_cndmask_b32_e32 v5, v11, v8, vcc_lo
	v_bfe_u32 v8, v7, 16, 1
	v_add3_u32 v9, v0, v9, 0x7fff
	v_cmp_o_f32_e32 vcc_lo, v7, v7
	v_add3_u32 v10, v6, v10, 0x7fff
	v_bfe_u32 v11, v5, 16, 1
	v_add3_u32 v8, v7, v8, 0x7fff
	v_lshrrev_b32_e32 v9, 16, v9
	s_delay_alu instid0(VALU_DEP_4) | instskip(NEXT) | instid1(VALU_DEP_4)
	v_and_b32_e32 v10, 0xffff0000, v10
	v_add3_u32 v11, v5, v11, 0x7fff
	s_delay_alu instid0(VALU_DEP_4) | instskip(NEXT) | instid1(VALU_DEP_2)
	v_and_b32_e32 v8, 0xffff0000, v8
	v_lshrrev_b32_e32 v11, 16, v11
	s_delay_alu instid0(VALU_DEP_2) | instskip(SKIP_3) | instid1(VALU_DEP_2)
	v_cndmask_b32_e32 v7, 0x7fc00000, v8, vcc_lo
	v_cmp_o_f32_e32 vcc_lo, v0, v0
	v_cndmask_b32_e32 v0, 0x7fc0, v9, vcc_lo
	v_cmp_o_f32_e32 vcc_lo, v6, v6
	v_or_b32_e32 v0, v0, v7
	v_cndmask_b32_e32 v6, 0x7fc00000, v10, vcc_lo
	v_cmp_o_f32_e32 vcc_lo, v5, v5
	v_cndmask_b32_e32 v5, 0x7fc0, v11, vcc_lo
	v_cmp_le_i64_e32 vcc_lo, s[6:7], v[1:2]
	v_add_co_u32 v1, s1, v1, s4
	s_delay_alu instid0(VALU_DEP_1) | instskip(NEXT) | instid1(VALU_DEP_4)
	v_add_co_ci_u32_e64 v2, s1, 0, v2, s1
	v_or3_b32 v6, 0, v5, v6
	v_or3_b32 v5, v0, 0, 0
	s_or_b32 s0, vcc_lo, s0
	s_delay_alu instid0(SALU_CYCLE_1) | instskip(SKIP_4) | instid1(SALU_CYCLE_1)
	s_and_b32 s0, exec_lo, s0
	global_store_b64 v[3:4], v[5:6], off
	v_add_co_u32 v3, vcc_lo, v3, s3
	v_add_co_ci_u32_e32 v4, vcc_lo, 0, v4, vcc_lo
	s_or_b32 s2, s0, s2
	s_and_not1_b32 exec_lo, exec_lo, s2
	s_cbranch_execnz .LBB7_24
.LBB7_25:
	s_nop 0
	s_sendmsg sendmsg(MSG_DEALLOC_VGPRS)
	s_endpgm
	.section	.rodata,"a",@progbits
	.p2align	6, 0x0
	.amdhsa_kernel _ZN2at6native12_GLOBAL__N_125multi_tensor_apply_kernelINS1_18TensorListMetadataILi1EEENS1_14UnaryOpFunctorIN3c108BFloat16ELi1ELi1ELi0EEEJNS0_4ErfcIfEEEEEvT_T0_DpT1_
		.amdhsa_group_segment_fixed_size 0
		.amdhsa_private_segment_fixed_size 0
		.amdhsa_kernarg_size 3632
		.amdhsa_user_sgpr_count 15
		.amdhsa_user_sgpr_dispatch_ptr 0
		.amdhsa_user_sgpr_queue_ptr 0
		.amdhsa_user_sgpr_kernarg_segment_ptr 1
		.amdhsa_user_sgpr_dispatch_id 0
		.amdhsa_user_sgpr_private_segment_size 0
		.amdhsa_wavefront_size32 1
		.amdhsa_uses_dynamic_stack 0
		.amdhsa_enable_private_segment 0
		.amdhsa_system_sgpr_workgroup_id_x 1
		.amdhsa_system_sgpr_workgroup_id_y 0
		.amdhsa_system_sgpr_workgroup_id_z 0
		.amdhsa_system_sgpr_workgroup_info 0
		.amdhsa_system_vgpr_workitem_id 0
		.amdhsa_next_free_vgpr 44
		.amdhsa_next_free_sgpr 21
		.amdhsa_reserve_vcc 1
		.amdhsa_float_round_mode_32 0
		.amdhsa_float_round_mode_16_64 0
		.amdhsa_float_denorm_mode_32 3
		.amdhsa_float_denorm_mode_16_64 3
		.amdhsa_dx10_clamp 1
		.amdhsa_ieee_mode 1
		.amdhsa_fp16_overflow 0
		.amdhsa_workgroup_processor_mode 1
		.amdhsa_memory_ordered 1
		.amdhsa_forward_progress 0
		.amdhsa_shared_vgpr_count 0
		.amdhsa_exception_fp_ieee_invalid_op 0
		.amdhsa_exception_fp_denorm_src 0
		.amdhsa_exception_fp_ieee_div_zero 0
		.amdhsa_exception_fp_ieee_overflow 0
		.amdhsa_exception_fp_ieee_underflow 0
		.amdhsa_exception_fp_ieee_inexact 0
		.amdhsa_exception_int_div_zero 0
	.end_amdhsa_kernel
	.section	.text._ZN2at6native12_GLOBAL__N_125multi_tensor_apply_kernelINS1_18TensorListMetadataILi1EEENS1_14UnaryOpFunctorIN3c108BFloat16ELi1ELi1ELi0EEEJNS0_4ErfcIfEEEEEvT_T0_DpT1_,"axG",@progbits,_ZN2at6native12_GLOBAL__N_125multi_tensor_apply_kernelINS1_18TensorListMetadataILi1EEENS1_14UnaryOpFunctorIN3c108BFloat16ELi1ELi1ELi0EEEJNS0_4ErfcIfEEEEEvT_T0_DpT1_,comdat
.Lfunc_end7:
	.size	_ZN2at6native12_GLOBAL__N_125multi_tensor_apply_kernelINS1_18TensorListMetadataILi1EEENS1_14UnaryOpFunctorIN3c108BFloat16ELi1ELi1ELi0EEEJNS0_4ErfcIfEEEEEvT_T0_DpT1_, .Lfunc_end7-_ZN2at6native12_GLOBAL__N_125multi_tensor_apply_kernelINS1_18TensorListMetadataILi1EEENS1_14UnaryOpFunctorIN3c108BFloat16ELi1ELi1ELi0EEEJNS0_4ErfcIfEEEEEvT_T0_DpT1_
                                        ; -- End function
	.section	.AMDGPU.csdata,"",@progbits
; Kernel info:
; codeLenInByte = 4356
; NumSgprs: 23
; NumVgprs: 44
; ScratchSize: 0
; MemoryBound: 0
; FloatMode: 240
; IeeeMode: 1
; LDSByteSize: 0 bytes/workgroup (compile time only)
; SGPRBlocks: 2
; VGPRBlocks: 5
; NumSGPRsForWavesPerEU: 23
; NumVGPRsForWavesPerEU: 44
; Occupancy: 16
; WaveLimiterHint : 0
; COMPUTE_PGM_RSRC2:SCRATCH_EN: 0
; COMPUTE_PGM_RSRC2:USER_SGPR: 15
; COMPUTE_PGM_RSRC2:TRAP_HANDLER: 0
; COMPUTE_PGM_RSRC2:TGID_X_EN: 1
; COMPUTE_PGM_RSRC2:TGID_Y_EN: 0
; COMPUTE_PGM_RSRC2:TGID_Z_EN: 0
; COMPUTE_PGM_RSRC2:TIDIG_COMP_CNT: 0
	.section	.text._ZN2at6native12_GLOBAL__N_125multi_tensor_apply_kernelINS1_18TensorListMetadataILi2EEENS1_14UnaryOpFunctorIdLi2ELi1ELi1EEEJNS0_6LgammaIdEEEEEvT_T0_DpT1_,"axG",@progbits,_ZN2at6native12_GLOBAL__N_125multi_tensor_apply_kernelINS1_18TensorListMetadataILi2EEENS1_14UnaryOpFunctorIdLi2ELi1ELi1EEEJNS0_6LgammaIdEEEEEvT_T0_DpT1_,comdat
	.globl	_ZN2at6native12_GLOBAL__N_125multi_tensor_apply_kernelINS1_18TensorListMetadataILi2EEENS1_14UnaryOpFunctorIdLi2ELi1ELi1EEEJNS0_6LgammaIdEEEEEvT_T0_DpT1_ ; -- Begin function _ZN2at6native12_GLOBAL__N_125multi_tensor_apply_kernelINS1_18TensorListMetadataILi2EEENS1_14UnaryOpFunctorIdLi2ELi1ELi1EEEJNS0_6LgammaIdEEEEEvT_T0_DpT1_
	.p2align	8
	.type	_ZN2at6native12_GLOBAL__N_125multi_tensor_apply_kernelINS1_18TensorListMetadataILi2EEENS1_14UnaryOpFunctorIdLi2ELi1ELi1EEEJNS0_6LgammaIdEEEEEvT_T0_DpT1_,@function
_ZN2at6native12_GLOBAL__N_125multi_tensor_apply_kernelINS1_18TensorListMetadataILi2EEENS1_14UnaryOpFunctorIdLi2ELi1ELi1EEEJNS0_6LgammaIdEEEEEvT_T0_DpT1_: ; @_ZN2at6native12_GLOBAL__N_125multi_tensor_apply_kernelINS1_18TensorListMetadataILi2EEENS1_14UnaryOpFunctorIdLi2ELi1ELi1EEEJNS0_6LgammaIdEEEEEvT_T0_DpT1_
; %bb.0:
	v_mov_b32_e32 v1, s15
	s_add_u32 s2, s0, s15
	s_mul_hi_u32 s3, s15, 3
	s_mul_i32 s15, s15, 3
	s_addc_u32 s4, s1, 0
	global_load_u8 v1, v1, s[0:1] offset:1536
	s_add_u32 s2, s2, s15
	s_addc_u32 s3, s4, s3
	s_mov_b32 s13, 0
	s_load_b32 s2, s[2:3], 0x740
	s_mov_b32 s15, s13
	s_mov_b32 s17, s13
	s_waitcnt vmcnt(0)
	v_readfirstlane_b32 s5, v1
	s_delay_alu instid0(VALU_DEP_1)
	s_lshl_b32 s3, s5, 3
	s_clause 0x2
	s_load_b64 s[4:5], s[0:1], s3 offset:0x0
	s_load_b64 s[6:7], s[0:1], s3 offset:0x200
	;; [unrolled: 1-line block ×3, first 2 shown]
	s_waitcnt lgkmcnt(0)
	s_ashr_i32 s3, s2, 31
	s_delay_alu instid0(SALU_CYCLE_1) | instskip(NEXT) | instid1(SALU_CYCLE_1)
	s_lshl_b64 s[8:9], s[2:3], 19
	s_add_u32 s33, s4, s8
	s_addc_u32 s104, s5, s9
	s_and_b32 s12, s33, 31
	s_add_u32 s70, s6, s8
	s_addc_u32 s71, s7, s9
	s_and_b32 s14, s10, 3
	s_and_b32 s16, s70, 31
	s_or_b64 s[12:13], s[12:13], s[14:15]
	s_lshl_b64 s[2:3], s[2:3], 16
	s_or_b64 s[12:13], s[16:17], s[12:13]
	s_sub_u32 s10, s10, s2
	s_subb_u32 s11, s11, s3
	s_cmp_eq_u64 s[12:13], 0
	s_mov_b32 s2, -1
	s_cbranch_scc0 .LBB8_141
; %bb.1:
	v_mov_b32_e32 v9, 0
	s_delay_alu instid0(VALU_DEP_1) | instskip(NEXT) | instid1(VALU_DEP_1)
	v_dual_mov_b32 v2, v9 :: v_dual_lshlrev_b32 v1, 2, v0
	v_cmp_gt_i64_e32 vcc_lo, s[10:11], v[1:2]
	s_mov_b32 s2, exec_lo
                                        ; implicit-def: $vgpr67 : SGPR spill to VGPR lane
	s_delay_alu instid0(SALU_CYCLE_1) | instskip(SKIP_1) | instid1(SALU_CYCLE_1)
	v_writelane_b32 v67, s2, 0
	s_and_b32 s2, s2, vcc_lo
	s_mov_b32 exec_lo, s2
	s_cbranch_execz .LBB8_140
; %bb.2:
	v_mov_b32_e32 v1, v9
	s_add_u32 s12, s0, 0xc50
	s_mov_b32 s68, 0x55555555
	s_mov_b32 s16, 0x6b47b09a
	;; [unrolled: 1-line block ×3, first 2 shown]
	v_dual_mov_b32 v12, v1 :: v_dual_mov_b32 v11, v0
	s_mov_b32 s20, 0xd7f4df2e
	s_mov_b32 s22, 0x16291751
	s_mov_b32 s24, 0x9b27acf1
	s_mov_b32 s26, 0x998ef7b6
	s_mov_b32 s28, 0xfefa39ef
	s_mov_b32 s30, 0x3b39803f
	s_mov_b32 s76, 0x7368f239
	s_mov_b32 s78, 0xdd17e945
	s_mov_b32 s60, 0xe37db0c8
	s_mov_b32 s84, 0xd119bd6f
	s_mov_b32 s86, 0x8b005dff
	s_mov_b32 s88, 0xd6537c88
	s_mov_b32 s90, 0x57d0cf61
	s_mov_b32 s92, 0xe45050af
	s_mov_b32 s94, 0xa42b18f5
	s_mov_b32 s96, 0xc2bd619c
	s_mov_b32 s44, 0x2ac7d848
	s_mov_b32 s46, 0x17aa6149
	s_mov_b32 s98, 0x5beab2d7
	s_mov_b32 s100, 0x625307d3
	s_mov_b32 s102, 0xfc6fb619
	s_mov_b32 s34, 0x6fdffd2b
	s_mov_b32 s36, 0xf99eb0bb
	s_mov_b32 s38, 0xd5f14825
	s_mov_b32 s40, 0xcdfe9424
	s_mov_b32 s42, 0x67754fff
	s_mov_b32 s48, 0xe625be09
	s_mov_b32 s50, 0x54442d18
	s_mov_b32 s52, 0xca1d4f33
	s_mov_b32 s54, 0x2e21c33
	s_mov_b32 s56, 0x7294bff9
	s_mov_b32 s58, 0x67b90b37
	s_mov_b32 s62, 0x7e3c325b
	s_mov_b32 s64, 0x81b5a67
	s_mov_b32 s66, 0xc9be45de
	s_addc_u32 s13, s1, 0
	s_mov_b32 s72, 0
	s_mov_b32 s69, 0x3fe55555
	;; [unrolled: 1-line block ×40, first 2 shown]
	s_mov_b32 vcc_hi, 0xbfb3c467
	s_branch .LBB8_5
.LBB8_3:                                ;   in Loop: Header=BB8_5 Depth=1
	s_or_b32 exec_lo, exec_lo, s73
.LBB8_4:                                ;   in Loop: Header=BB8_5 Depth=1
	s_delay_alu instid0(SALU_CYCLE_1) | instskip(SKIP_4) | instid1(VALU_DEP_4)
	s_or_b32 exec_lo, exec_lo, s3
	v_cmp_gt_f64_e64 s3, 0, v[7:8]
	v_cmp_class_f64_e64 s15, v[7:8], 0x264
	v_cmp_lt_u32_e32 vcc_lo, 0x432fffff, v20
	v_cmp_lt_u32_e64 s2, 0x432fffff, v16
	s_and_b32 s3, s3, vcc_lo
	v_cmp_gt_f64_e32 vcc_lo, 0, v[5:6]
	s_delay_alu instid0(VALU_DEP_4)
	s_or_b32 s3, s15, s3
	v_cmp_class_f64_e64 s15, v[1:2], 0x264
	v_cndmask_b32_e64 v10, v21, 0, s3
	v_cndmask_b32_e64 v15, v22, 0x7ff00000, s3
	v_cmp_class_f64_e64 s3, v[5:6], 0x264
	s_and_b32 s2, vcc_lo, s2
	v_cmp_u_f64_e32 vcc_lo, v[7:8], v[7:8]
	s_delay_alu instid0(VALU_DEP_2)
	s_or_b32 s2, s3, s2
	v_cmp_gt_f64_e64 s3, 0, v[1:2]
	v_cndmask_b32_e64 v16, v17, 0, s2
	v_cndmask_b32_e64 v17, v18, 0x7ff00000, s2
	v_cmp_u_f64_e64 s2, v[5:6], v[5:6]
	v_dual_cndmask_b32 v8, v15, v8 :: v_dual_cndmask_b32 v7, v10, v7
	v_cmp_lt_u32_e32 vcc_lo, 0x432fffff, v24
	s_and_b32 s3, s3, vcc_lo
	v_cmp_gt_f64_e32 vcc_lo, 0, v[3:4]
	s_or_b32 s3, s15, s3
	s_delay_alu instid0(VALU_DEP_4)
	v_cndmask_b32_e64 v6, v17, v6, s2
	v_cndmask_b32_e64 v10, v25, 0, s3
	v_cndmask_b32_e64 v15, v26, 0x7ff00000, s3
	v_cmp_class_f64_e64 s3, v[3:4], 0x264
	v_cndmask_b32_e64 v5, v16, v5, s2
	v_cmp_lt_u32_e64 s2, 0x432fffff, v28
	s_delay_alu instid0(VALU_DEP_1) | instskip(SKIP_1) | instid1(VALU_DEP_4)
	s_and_b32 s2, vcc_lo, s2
	v_cmp_u_f64_e32 vcc_lo, v[1:2], v[1:2]
	s_or_b32 s2, s3, s2
	s_delay_alu instid0(SALU_CYCLE_1)
	v_cndmask_b32_e64 v16, v29, 0, s2
	v_cndmask_b32_e64 v17, v30, 0x7ff00000, s2
	v_cmp_u_f64_e64 s2, v[3:4], v[3:4]
	v_dual_cndmask_b32 v2, v15, v2 :: v_dual_cndmask_b32 v1, v10, v1
	v_add_co_u32 v13, vcc_lo, s70, v13
	v_add_co_ci_u32_e32 v14, vcc_lo, s71, v14, vcc_lo
	s_delay_alu instid0(VALU_DEP_4)
	v_cndmask_b32_e64 v4, v17, v4, s2
	v_cndmask_b32_e64 v3, v16, v3, s2
	s_clause 0x1
	global_store_b128 v[13:14], v[5:8], off
	global_store_b128 v[13:14], v[1:4], off offset:16
	s_load_b32 s2, s[12:13], 0xc
	s_waitcnt lgkmcnt(0)
	s_and_b32 s2, s2, 0xffff
	s_delay_alu instid0(SALU_CYCLE_1) | instskip(SKIP_1) | instid1(VALU_DEP_1)
	v_add_co_u32 v11, vcc_lo, v11, s2
	v_add_co_ci_u32_e32 v12, vcc_lo, 0, v12, vcc_lo
	v_lshlrev_b64 v[1:2], 2, v[11:12]
	s_delay_alu instid0(VALU_DEP_1) | instskip(SKIP_1) | instid1(VALU_DEP_1)
	v_cmp_le_i64_e32 vcc_lo, s[10:11], v[1:2]
	v_cmp_lt_u64_e64 s2, 0xffff, v[1:2]
	s_or_b32 s2, vcc_lo, s2
	s_delay_alu instid0(SALU_CYCLE_1) | instskip(NEXT) | instid1(SALU_CYCLE_1)
	s_and_b32 s2, exec_lo, s2
	s_or_b32 s72, s2, s72
	s_delay_alu instid0(SALU_CYCLE_1)
	s_and_not1_b32 exec_lo, exec_lo, s72
	s_cbranch_execz .LBB8_140
.LBB8_5:                                ; =>This Inner Loop Header: Depth=1
	v_lshlrev_b64 v[13:14], 5, v[11:12]
                                        ; implicit-def: $vgpr17_vgpr18
	s_mov_b32 s2, exec_lo
	s_delay_alu instid0(VALU_DEP_1) | instskip(NEXT) | instid1(VALU_DEP_2)
	v_add_co_u32 v1, vcc_lo, s33, v13
	v_add_co_ci_u32_e32 v2, vcc_lo, s104, v14, vcc_lo
	s_clause 0x1
	global_load_b128 v[5:8], v[1:2], off
	global_load_b128 v[1:4], v[1:2], off offset:16
	s_waitcnt vmcnt(1)
	v_dual_mov_b32 v15, v5 :: v_dual_and_b32 v16, 0x7fffffff, v6
	s_delay_alu instid0(VALU_DEP_1)
	v_cmpx_lt_u32_e32 0x3f6fffff, v16
	s_xor_b32 s73, exec_lo, s2
	s_cbranch_execz .LBB8_31
; %bb.6:                                ;   in Loop: Header=BB8_5 Depth=1
                                        ; implicit-def: $vgpr17_vgpr18
	s_mov_b32 s2, exec_lo
	v_cmpx_lt_u32_e32 0x3fffffff, v16
	s_xor_b32 s74, exec_lo, s2
	s_cbranch_execz .LBB8_16
; %bb.7:                                ;   in Loop: Header=BB8_5 Depth=1
                                        ; implicit-def: $vgpr17_vgpr18
	s_mov_b32 s2, exec_lo
	;; [unrolled: 6-line block ×3, first 2 shown]
	v_cmpx_lt_u32_e32 0x438fffff, v16
	s_xor_b32 s75, exec_lo, s2
	s_cbranch_execz .LBB8_10
; %bb.9:                                ;   in Loop: Header=BB8_5 Depth=1
	v_frexp_mant_f64_e64 v[17:18], |v[5:6]|
	s_mov_b32 s15, s69
	v_cmp_neq_f64_e64 s2, 0, v[5:6]
	s_delay_alu instid0(VALU_DEP_2) | instskip(SKIP_1) | instid1(VALU_DEP_1)
	v_cmp_gt_f64_e32 vcc_lo, s[68:69], v[17:18]
	v_cndmask_b32_e64 v10, 0x3ff00000, 2.0, vcc_lo
	v_mul_f64 v[17:18], v[17:18], v[9:10]
	v_frexp_exp_i32_f64_e32 v10, v[5:6]
	s_delay_alu instid0(VALU_DEP_2) | instskip(NEXT) | instid1(VALU_DEP_2)
	v_add_f64 v[19:20], v[17:18], 1.0
	v_subrev_co_ci_u32_e32 v10, vcc_lo, 0, v10, vcc_lo
	v_cmp_class_f64_e64 vcc_lo, v[5:6], 0x204
	s_delay_alu instid0(VALU_DEP_3) | instskip(SKIP_2) | instid1(VALU_DEP_1)
	v_rcp_f64_e32 v[21:22], v[19:20]
	s_waitcnt_depctr 0xfff
	v_fma_f64 v[23:24], -v[19:20], v[21:22], 1.0
	v_fma_f64 v[21:22], v[23:24], v[21:22], v[21:22]
	s_delay_alu instid0(VALU_DEP_1) | instskip(NEXT) | instid1(VALU_DEP_1)
	v_fma_f64 v[23:24], -v[19:20], v[21:22], 1.0
	v_fma_f64 v[21:22], v[23:24], v[21:22], v[21:22]
	v_add_f64 v[23:24], v[19:20], -1.0
	s_delay_alu instid0(VALU_DEP_1) | instskip(SKIP_1) | instid1(VALU_DEP_1)
	v_add_f64 v[23:24], v[17:18], -v[23:24]
	v_add_f64 v[17:18], v[17:18], -1.0
	v_mul_f64 v[25:26], v[17:18], v[21:22]
	s_delay_alu instid0(VALU_DEP_1) | instskip(NEXT) | instid1(VALU_DEP_1)
	v_mul_f64 v[27:28], v[19:20], v[25:26]
	v_fma_f64 v[19:20], v[25:26], v[19:20], -v[27:28]
	s_delay_alu instid0(VALU_DEP_1) | instskip(NEXT) | instid1(VALU_DEP_1)
	v_fma_f64 v[19:20], v[25:26], v[23:24], v[19:20]
	v_add_f64 v[23:24], v[27:28], v[19:20]
	s_delay_alu instid0(VALU_DEP_1) | instskip(NEXT) | instid1(VALU_DEP_1)
	v_add_f64 v[27:28], v[23:24], -v[27:28]
	v_add_f64 v[19:20], v[27:28], -v[19:20]
	;; [unrolled: 1-line block ×3, first 2 shown]
	s_delay_alu instid0(VALU_DEP_1) | instskip(NEXT) | instid1(VALU_DEP_1)
	v_add_f64 v[17:18], v[17:18], -v[27:28]
	v_add_f64 v[17:18], v[17:18], -v[23:24]
	s_delay_alu instid0(VALU_DEP_1) | instskip(SKIP_1) | instid1(VALU_DEP_2)
	v_add_f64 v[17:18], v[19:20], v[17:18]
	v_cvt_f64_i32_e32 v[19:20], v10
	v_add_f64 v[17:18], v[27:28], v[17:18]
	s_delay_alu instid0(VALU_DEP_1) | instskip(NEXT) | instid1(VALU_DEP_3)
	v_mul_f64 v[17:18], v[21:22], v[17:18]
	v_mul_f64 v[21:22], v[19:20], s[28:29]
	s_delay_alu instid0(VALU_DEP_1) | instskip(NEXT) | instid1(VALU_DEP_1)
	v_fma_f64 v[23:24], v[19:20], s[28:29], -v[21:22]
	v_fma_f64 v[19:20], v[19:20], s[30:31], v[23:24]
	s_delay_alu instid0(VALU_DEP_4) | instskip(NEXT) | instid1(VALU_DEP_1)
	v_add_f64 v[23:24], v[25:26], v[17:18]
	v_add_f64 v[25:26], v[23:24], -v[25:26]
	s_delay_alu instid0(VALU_DEP_1) | instskip(SKIP_1) | instid1(VALU_DEP_2)
	v_add_f64 v[17:18], v[17:18], -v[25:26]
	v_mul_f64 v[25:26], v[23:24], v[23:24]
	v_ldexp_f64 v[17:18], v[17:18], 1
	s_delay_alu instid0(VALU_DEP_2) | instskip(NEXT) | instid1(VALU_DEP_1)
	v_fma_f64 v[27:28], v[25:26], s[18:19], s[16:17]
	v_fma_f64 v[27:28], v[25:26], v[27:28], s[20:21]
	s_delay_alu instid0(VALU_DEP_1) | instskip(NEXT) | instid1(VALU_DEP_1)
	v_fma_f64 v[27:28], v[25:26], v[27:28], s[22:23]
	v_fma_f64 v[27:28], v[25:26], v[27:28], s[24:25]
	s_delay_alu instid0(VALU_DEP_1) | instskip(NEXT) | instid1(VALU_DEP_1)
	v_fma_f64 v[27:28], v[25:26], v[27:28], s[26:27]
	v_fma_f64 v[27:28], v[25:26], v[27:28], s[14:15]
	v_mul_f64 v[25:26], v[23:24], v[25:26]
	v_ldexp_f64 v[23:24], v[23:24], 1
	s_delay_alu instid0(VALU_DEP_2) | instskip(NEXT) | instid1(VALU_DEP_1)
	v_mul_f64 v[25:26], v[25:26], v[27:28]
	v_add_f64 v[27:28], v[23:24], v[25:26]
	s_delay_alu instid0(VALU_DEP_1) | instskip(NEXT) | instid1(VALU_DEP_1)
	v_add_f64 v[23:24], v[27:28], -v[23:24]
	v_add_f64 v[23:24], v[25:26], -v[23:24]
	s_delay_alu instid0(VALU_DEP_1) | instskip(SKIP_1) | instid1(VALU_DEP_1)
	v_add_f64 v[17:18], v[17:18], v[23:24]
	v_add_f64 v[23:24], v[21:22], v[19:20]
	v_add_f64 v[21:22], v[23:24], -v[21:22]
	s_delay_alu instid0(VALU_DEP_1) | instskip(NEXT) | instid1(VALU_DEP_4)
	v_add_f64 v[19:20], v[19:20], -v[21:22]
	v_add_f64 v[21:22], v[27:28], v[17:18]
	s_delay_alu instid0(VALU_DEP_1) | instskip(SKIP_1) | instid1(VALU_DEP_2)
	v_add_f64 v[25:26], v[21:22], -v[27:28]
	v_add_f64 v[27:28], v[23:24], v[21:22]
	v_add_f64 v[17:18], v[17:18], -v[25:26]
	s_delay_alu instid0(VALU_DEP_2) | instskip(NEXT) | instid1(VALU_DEP_1)
	v_add_f64 v[29:30], v[27:28], -v[23:24]
	v_add_f64 v[21:22], v[21:22], -v[29:30]
	;; [unrolled: 1-line block ×3, first 2 shown]
	s_delay_alu instid0(VALU_DEP_1) | instskip(NEXT) | instid1(VALU_DEP_1)
	v_add_f64 v[23:24], v[23:24], -v[29:30]
	v_add_f64 v[21:22], v[21:22], v[23:24]
	v_add_f64 v[23:24], v[19:20], v[17:18]
	s_delay_alu instid0(VALU_DEP_1) | instskip(NEXT) | instid1(VALU_DEP_3)
	v_add_f64 v[25:26], v[23:24], -v[19:20]
	v_add_f64 v[21:22], v[23:24], v[21:22]
	s_delay_alu instid0(VALU_DEP_2) | instskip(SKIP_1) | instid1(VALU_DEP_1)
	v_add_f64 v[17:18], v[17:18], -v[25:26]
	v_add_f64 v[25:26], v[23:24], -v[25:26]
	;; [unrolled: 1-line block ×3, first 2 shown]
	s_delay_alu instid0(VALU_DEP_1) | instskip(SKIP_1) | instid1(VALU_DEP_1)
	v_add_f64 v[17:18], v[17:18], v[19:20]
	v_add_f64 v[19:20], v[27:28], v[21:22]
	v_add_f64 v[23:24], v[19:20], -v[27:28]
	s_delay_alu instid0(VALU_DEP_1) | instskip(NEXT) | instid1(VALU_DEP_1)
	v_add_f64 v[21:22], v[21:22], -v[23:24]
	v_add_f64 v[17:18], v[17:18], v[21:22]
	s_delay_alu instid0(VALU_DEP_1) | instskip(NEXT) | instid1(VALU_DEP_1)
	v_add_f64 v[17:18], v[19:20], v[17:18]
	v_dual_cndmask_b32 v15, v17, v5 :: v_dual_and_b32 v10, 0x7fffffff, v6
	s_delay_alu instid0(VALU_DEP_1) | instskip(NEXT) | instid1(VALU_DEP_2)
	v_cndmask_b32_e32 v10, v18, v10, vcc_lo
	v_cndmask_b32_e64 v17, 0, v15, s2
	s_delay_alu instid0(VALU_DEP_2) | instskip(NEXT) | instid1(VALU_DEP_1)
	v_cndmask_b32_e64 v18, 0xfff00000, v10, s2
	v_fma_f64 v[17:18], |v[5:6]|, v[17:18], -|v[5:6]|
.LBB8_10:                               ;   in Loop: Header=BB8_5 Depth=1
	s_and_not1_saveexec_b32 s2, s75
	s_cbranch_execz .LBB8_12
; %bb.11:                               ;   in Loop: Header=BB8_5 Depth=1
	v_dual_mov_b32 v17, v5 :: v_dual_and_b32 v18, 0x7fffffff, v6
	s_mov_b32 s15, s69
	s_mov_b32 s76, 0x4cdad5d1
	;; [unrolled: 1-line block ×4, first 2 shown]
	v_div_scale_f64 v[19:20], null, v[17:18], v[17:18], 1.0
	s_mov_b32 s79, 0xbf5ab89d
	s_delay_alu instid0(VALU_DEP_1) | instskip(SKIP_2) | instid1(VALU_DEP_1)
	v_rcp_f64_e32 v[21:22], v[19:20]
	s_waitcnt_depctr 0xfff
	v_fma_f64 v[23:24], -v[19:20], v[21:22], 1.0
	v_fma_f64 v[21:22], v[21:22], v[23:24], v[21:22]
	s_delay_alu instid0(VALU_DEP_1) | instskip(NEXT) | instid1(VALU_DEP_1)
	v_fma_f64 v[23:24], -v[19:20], v[21:22], 1.0
	v_fma_f64 v[21:22], v[21:22], v[23:24], v[21:22]
	v_div_scale_f64 v[23:24], vcc_lo, 1.0, v[17:18], 1.0
	s_delay_alu instid0(VALU_DEP_1) | instskip(NEXT) | instid1(VALU_DEP_1)
	v_mul_f64 v[25:26], v[23:24], v[21:22]
	v_fma_f64 v[19:20], -v[19:20], v[25:26], v[23:24]
	s_delay_alu instid0(VALU_DEP_1) | instskip(SKIP_1) | instid1(VALU_DEP_2)
	v_div_fmas_f64 v[19:20], v[19:20], v[21:22], v[25:26]
	v_frexp_mant_f64_e64 v[21:22], |v[5:6]|
	v_div_fixup_f64 v[19:20], v[19:20], |v[5:6]|, 1.0
	s_delay_alu instid0(VALU_DEP_2) | instskip(SKIP_1) | instid1(VALU_DEP_1)
	v_cmp_gt_f64_e32 vcc_lo, s[68:69], v[21:22]
	v_cndmask_b32_e64 v10, 0x3ff00000, 2.0, vcc_lo
	v_mul_f64 v[21:22], v[21:22], v[9:10]
	v_frexp_exp_i32_f64_e32 v10, v[5:6]
	s_delay_alu instid0(VALU_DEP_2) | instskip(NEXT) | instid1(VALU_DEP_2)
	v_add_f64 v[23:24], v[21:22], 1.0
	v_subrev_co_ci_u32_e32 v10, vcc_lo, 0, v10, vcc_lo
	v_cmp_class_f64_e64 vcc_lo, v[5:6], 0x204
	s_delay_alu instid0(VALU_DEP_3) | instskip(SKIP_2) | instid1(VALU_DEP_1)
	v_rcp_f64_e32 v[25:26], v[23:24]
	s_waitcnt_depctr 0xfff
	v_fma_f64 v[27:28], -v[23:24], v[25:26], 1.0
	v_fma_f64 v[25:26], v[27:28], v[25:26], v[25:26]
	s_delay_alu instid0(VALU_DEP_1) | instskip(NEXT) | instid1(VALU_DEP_1)
	v_fma_f64 v[27:28], -v[23:24], v[25:26], 1.0
	v_fma_f64 v[25:26], v[27:28], v[25:26], v[25:26]
	v_add_f64 v[27:28], v[23:24], -1.0
	s_delay_alu instid0(VALU_DEP_1) | instskip(SKIP_1) | instid1(VALU_DEP_1)
	v_add_f64 v[27:28], v[21:22], -v[27:28]
	v_add_f64 v[21:22], v[21:22], -1.0
	v_mul_f64 v[29:30], v[21:22], v[25:26]
	s_delay_alu instid0(VALU_DEP_1) | instskip(NEXT) | instid1(VALU_DEP_1)
	v_mul_f64 v[31:32], v[23:24], v[29:30]
	v_fma_f64 v[23:24], v[29:30], v[23:24], -v[31:32]
	s_delay_alu instid0(VALU_DEP_1) | instskip(NEXT) | instid1(VALU_DEP_1)
	v_fma_f64 v[23:24], v[29:30], v[27:28], v[23:24]
	v_add_f64 v[27:28], v[31:32], v[23:24]
	s_delay_alu instid0(VALU_DEP_1) | instskip(NEXT) | instid1(VALU_DEP_1)
	v_add_f64 v[31:32], v[27:28], -v[31:32]
	v_add_f64 v[23:24], v[31:32], -v[23:24]
	v_add_f64 v[31:32], v[21:22], -v[27:28]
	s_delay_alu instid0(VALU_DEP_1) | instskip(NEXT) | instid1(VALU_DEP_1)
	v_add_f64 v[21:22], v[21:22], -v[31:32]
	v_add_f64 v[21:22], v[21:22], -v[27:28]
	s_delay_alu instid0(VALU_DEP_1) | instskip(SKIP_1) | instid1(VALU_DEP_2)
	v_add_f64 v[21:22], v[23:24], v[21:22]
	v_cvt_f64_i32_e32 v[23:24], v10
	v_add_f64 v[21:22], v[31:32], v[21:22]
	s_delay_alu instid0(VALU_DEP_1) | instskip(NEXT) | instid1(VALU_DEP_3)
	v_mul_f64 v[21:22], v[25:26], v[21:22]
	v_mul_f64 v[25:26], v[23:24], s[28:29]
	s_delay_alu instid0(VALU_DEP_1) | instskip(NEXT) | instid1(VALU_DEP_1)
	v_fma_f64 v[27:28], v[23:24], s[28:29], -v[25:26]
	v_fma_f64 v[23:24], v[23:24], s[30:31], v[27:28]
	s_delay_alu instid0(VALU_DEP_4) | instskip(NEXT) | instid1(VALU_DEP_1)
	v_add_f64 v[27:28], v[29:30], v[21:22]
	v_add_f64 v[29:30], v[27:28], -v[29:30]
	s_delay_alu instid0(VALU_DEP_1) | instskip(SKIP_1) | instid1(VALU_DEP_2)
	v_add_f64 v[21:22], v[21:22], -v[29:30]
	v_mul_f64 v[29:30], v[27:28], v[27:28]
	v_ldexp_f64 v[21:22], v[21:22], 1
	s_delay_alu instid0(VALU_DEP_2) | instskip(NEXT) | instid1(VALU_DEP_1)
	v_fma_f64 v[31:32], v[29:30], s[18:19], s[16:17]
	v_fma_f64 v[31:32], v[29:30], v[31:32], s[20:21]
	s_delay_alu instid0(VALU_DEP_1) | instskip(NEXT) | instid1(VALU_DEP_1)
	v_fma_f64 v[31:32], v[29:30], v[31:32], s[22:23]
	v_fma_f64 v[31:32], v[29:30], v[31:32], s[24:25]
	s_delay_alu instid0(VALU_DEP_1) | instskip(NEXT) | instid1(VALU_DEP_1)
	v_fma_f64 v[31:32], v[29:30], v[31:32], s[26:27]
	v_fma_f64 v[31:32], v[29:30], v[31:32], s[14:15]
	v_mul_f64 v[29:30], v[27:28], v[29:30]
	v_ldexp_f64 v[27:28], v[27:28], 1
	s_delay_alu instid0(VALU_DEP_2) | instskip(NEXT) | instid1(VALU_DEP_1)
	v_mul_f64 v[29:30], v[29:30], v[31:32]
	v_add_f64 v[31:32], v[27:28], v[29:30]
	s_delay_alu instid0(VALU_DEP_1) | instskip(NEXT) | instid1(VALU_DEP_1)
	v_add_f64 v[27:28], v[31:32], -v[27:28]
	v_add_f64 v[27:28], v[29:30], -v[27:28]
	s_delay_alu instid0(VALU_DEP_1) | instskip(SKIP_1) | instid1(VALU_DEP_1)
	v_add_f64 v[21:22], v[21:22], v[27:28]
	v_add_f64 v[27:28], v[25:26], v[23:24]
	v_add_f64 v[25:26], v[27:28], -v[25:26]
	s_delay_alu instid0(VALU_DEP_1) | instskip(NEXT) | instid1(VALU_DEP_4)
	v_add_f64 v[23:24], v[23:24], -v[25:26]
	v_add_f64 v[25:26], v[31:32], v[21:22]
	s_delay_alu instid0(VALU_DEP_1) | instskip(SKIP_1) | instid1(VALU_DEP_2)
	v_add_f64 v[29:30], v[25:26], -v[31:32]
	v_add_f64 v[31:32], v[27:28], v[25:26]
	v_add_f64 v[21:22], v[21:22], -v[29:30]
	s_delay_alu instid0(VALU_DEP_2) | instskip(NEXT) | instid1(VALU_DEP_1)
	v_add_f64 v[33:34], v[31:32], -v[27:28]
	v_add_f64 v[25:26], v[25:26], -v[33:34]
	;; [unrolled: 1-line block ×3, first 2 shown]
	s_delay_alu instid0(VALU_DEP_1) | instskip(NEXT) | instid1(VALU_DEP_1)
	v_add_f64 v[27:28], v[27:28], -v[33:34]
	v_add_f64 v[25:26], v[25:26], v[27:28]
	v_add_f64 v[27:28], v[23:24], v[21:22]
	s_delay_alu instid0(VALU_DEP_1) | instskip(NEXT) | instid1(VALU_DEP_3)
	v_add_f64 v[29:30], v[27:28], -v[23:24]
	v_add_f64 v[25:26], v[27:28], v[25:26]
	s_delay_alu instid0(VALU_DEP_2) | instskip(SKIP_1) | instid1(VALU_DEP_1)
	v_add_f64 v[21:22], v[21:22], -v[29:30]
	v_add_f64 v[29:30], v[27:28], -v[29:30]
	;; [unrolled: 1-line block ×3, first 2 shown]
	s_delay_alu instid0(VALU_DEP_1) | instskip(SKIP_1) | instid1(VALU_DEP_1)
	v_add_f64 v[21:22], v[21:22], v[23:24]
	v_add_f64 v[23:24], v[31:32], v[25:26]
	v_add_f64 v[27:28], v[23:24], -v[31:32]
	s_delay_alu instid0(VALU_DEP_1) | instskip(NEXT) | instid1(VALU_DEP_1)
	v_add_f64 v[25:26], v[25:26], -v[27:28]
	v_add_f64 v[21:22], v[21:22], v[25:26]
	s_delay_alu instid0(VALU_DEP_1) | instskip(NEXT) | instid1(VALU_DEP_1)
	v_add_f64 v[21:22], v[23:24], v[21:22]
	v_dual_cndmask_b32 v18, v22, v18 :: v_dual_cndmask_b32 v17, v21, v17
	v_mul_f64 v[21:22], v[19:20], v[19:20]
	v_cmp_neq_f64_e32 vcc_lo, 0, v[5:6]
	s_delay_alu instid0(VALU_DEP_3) | instskip(NEXT) | instid1(VALU_DEP_3)
	v_add_f64 v[17:18], v[17:18], -1.0
	v_fma_f64 v[23:24], v[21:22], s[78:79], s[76:77]
	s_mov_b32 s76, 0x8c0fe741
	s_mov_b32 s77, 0xbf4380cb
	;; [unrolled: 1-line block ×3, first 2 shown]
	s_delay_alu instid0(VALU_DEP_2) | instskip(NEXT) | instid1(VALU_DEP_3)
	v_cndmask_b32_e32 v18, 0xfff00000, v18, vcc_lo
	v_cndmask_b32_e32 v17, 0, v17, vcc_lo
	s_mov_b32 s79, 0x3f00bfec
	s_delay_alu instid0(VALU_DEP_3)
	v_fma_f64 v[23:24], v[21:22], v[23:24], s[76:77]
	s_mov_b32 s76, 0x98cf38b6
	s_mov_b32 s77, 0x3f4a019f
	s_delay_alu instid0(VALU_DEP_1) | instid1(SALU_CYCLE_1)
	v_fma_f64 v[23:24], v[21:22], v[23:24], s[76:77]
	s_mov_b32 s76, 0x16b02e5c
	s_mov_b32 s77, 0xbf66c16c
	s_delay_alu instid0(VALU_DEP_1) | instid1(SALU_CYCLE_1)
	;; [unrolled: 4-line block ×4, first 2 shown]
	v_fma_f64 v[19:20], v[19:20], v[21:22], s[76:77]
	v_add_f64 v[21:22], |v[5:6]|, -0.5
	s_mov_b32 s76, 0x7368f239
	s_mov_b32 s77, 0x3f5e26b6
	s_delay_alu instid0(VALU_DEP_1)
	v_fma_f64 v[17:18], v[21:22], v[17:18], v[19:20]
.LBB8_12:                               ;   in Loop: Header=BB8_5 Depth=1
	s_or_b32 exec_lo, exec_lo, s2
.LBB8_13:                               ;   in Loop: Header=BB8_5 Depth=1
	s_and_not1_saveexec_b32 s75, s3
	s_cbranch_execz .LBB8_15
; %bb.14:                               ;   in Loop: Header=BB8_5 Depth=1
	v_cvt_i32_f64_e32 v10, v[15:16]
	s_mov_b32 s2, 0x7e939961
	s_mov_b32 s3, 0x3f9b481c
	;; [unrolled: 1-line block ×4, first 2 shown]
	s_mov_b32 vcc_lo, s60
	s_mov_b32 s15, s69
	s_delay_alu instid0(VALU_DEP_1) | instskip(NEXT) | instid1(VALU_DEP_1)
	v_cvt_f64_i32_e32 v[17:18], v10
	v_add_f64 v[17:18], |v[5:6]|, -v[17:18]
	s_delay_alu instid0(VALU_DEP_1) | instskip(NEXT) | instid1(VALU_DEP_1)
	v_fma_f64 v[19:20], v[17:18], s[78:79], s[76:77]
	v_fma_f64 v[19:20], v[17:18], v[19:20], s[2:3]
	s_mov_b32 s2, 0xca41a95b
	s_mov_b32 s3, 0x3f497dda
	s_delay_alu instid0(SALU_CYCLE_1)
	v_fma_f64 v[21:22], v[17:18], s[80:81], s[2:3]
	s_mov_b32 s2, 0x742ed475
	s_mov_b32 s3, 0x3f9317ea
	s_delay_alu instid0(VALU_DEP_1) | instid1(SALU_CYCLE_1)
	v_fma_f64 v[21:22], v[17:18], v[21:22], s[2:3]
	s_mov_b32 s2, 0xbee5f2f7
	s_mov_b32 s3, 0x3fc2bb9c
	s_delay_alu instid0(VALU_DEP_3) | instid1(SALU_CYCLE_1)
	v_fma_f64 v[19:20], v[17:18], v[19:20], s[2:3]
	s_mov_b32 s2, 0xccfbdf27
	s_mov_b32 s3, 0x3fc601ed
	s_delay_alu instid0(VALU_DEP_2) | instid1(SALU_CYCLE_1)
	v_fma_f64 v[21:22], v[17:18], v[21:22], s[2:3]
	s_mov_b32 s2, 0x4f139f59
	s_mov_b32 s3, 0x3fd4d98f
	s_delay_alu instid0(VALU_DEP_2) | instid1(SALU_CYCLE_1)
	;; [unrolled: 4-line block ×5, first 2 shown]
	v_fma_f64 v[21:22], v[17:18], v[21:22], s[2:3]
	s_delay_alu instid0(VALU_DEP_2) | instskip(NEXT) | instid1(VALU_DEP_2)
	v_fma_f64 v[19:20], v[17:18], v[19:20], vcc
	v_fma_f64 v[21:22], v[17:18], v[21:22], 1.0
	s_delay_alu instid0(VALU_DEP_2) | instskip(NEXT) | instid1(VALU_DEP_1)
	v_mul_f64 v[19:20], v[17:18], v[19:20]
	v_div_scale_f64 v[23:24], null, v[21:22], v[21:22], v[19:20]
	s_delay_alu instid0(VALU_DEP_1) | instskip(SKIP_2) | instid1(VALU_DEP_1)
	v_rcp_f64_e32 v[25:26], v[23:24]
	s_waitcnt_depctr 0xfff
	v_fma_f64 v[27:28], -v[23:24], v[25:26], 1.0
	v_fma_f64 v[25:26], v[25:26], v[27:28], v[25:26]
	s_delay_alu instid0(VALU_DEP_1) | instskip(NEXT) | instid1(VALU_DEP_1)
	v_fma_f64 v[27:28], -v[23:24], v[25:26], 1.0
	v_fma_f64 v[25:26], v[25:26], v[27:28], v[25:26]
	v_div_scale_f64 v[27:28], vcc_lo, v[19:20], v[21:22], v[19:20]
	s_delay_alu instid0(VALU_DEP_1) | instskip(NEXT) | instid1(VALU_DEP_1)
	v_mul_f64 v[29:30], v[27:28], v[25:26]
	v_fma_f64 v[23:24], -v[23:24], v[29:30], v[27:28]
	s_delay_alu instid0(VALU_DEP_1) | instskip(SKIP_1) | instid1(VALU_DEP_2)
	v_div_fmas_f64 v[23:24], v[23:24], v[25:26], v[29:30]
	v_cmp_lt_i32_e32 vcc_lo, 2, v10
	v_div_fixup_f64 v[19:20], v[23:24], v[21:22], v[19:20]
	v_add_f64 v[21:22], v[17:18], 2.0
	v_add_f64 v[23:24], 0x40080000, v[17:18]
	s_delay_alu instid0(VALU_DEP_2) | instskip(NEXT) | instid1(VALU_DEP_3)
	v_cndmask_b32_e32 v22, 0x3ff00000, v22, vcc_lo
	v_cndmask_b32_e32 v21, 0, v21, vcc_lo
	v_cmp_lt_i32_e32 vcc_lo, 3, v10
	s_delay_alu instid0(VALU_DEP_4) | instskip(SKIP_2) | instid1(VALU_DEP_2)
	v_cndmask_b32_e32 v24, 0x3ff00000, v24, vcc_lo
	v_cndmask_b32_e32 v23, 0, v23, vcc_lo
	v_cmp_lt_i32_e32 vcc_lo, 4, v10
	v_mul_f64 v[21:22], v[21:22], v[23:24]
	v_add_f64 v[23:24], v[17:18], 4.0
	s_delay_alu instid0(VALU_DEP_1) | instskip(NEXT) | instid1(VALU_DEP_2)
	v_cndmask_b32_e32 v24, 0x3ff00000, v24, vcc_lo
	v_cndmask_b32_e32 v23, 0, v23, vcc_lo
	v_cmp_lt_i32_e32 vcc_lo, 5, v10
	s_delay_alu instid0(VALU_DEP_2) | instskip(SKIP_1) | instid1(VALU_DEP_1)
	v_mul_f64 v[21:22], v[23:24], v[21:22]
	v_add_f64 v[23:24], 0x40140000, v[17:18]
	v_cndmask_b32_e32 v24, 0x3ff00000, v24, vcc_lo
	s_delay_alu instid0(VALU_DEP_2) | instskip(SKIP_1) | instid1(VALU_DEP_2)
	v_cndmask_b32_e32 v23, 0, v23, vcc_lo
	v_cmp_lt_i32_e32 vcc_lo, 6, v10
	v_mul_f64 v[21:22], v[23:24], v[21:22]
	v_add_f64 v[23:24], 0x40180000, v[17:18]
	v_fma_f64 v[17:18], v[17:18], 0.5, v[19:20]
	s_delay_alu instid0(VALU_DEP_2) | instskip(NEXT) | instid1(VALU_DEP_3)
	v_cndmask_b32_e32 v24, 0x3ff00000, v24, vcc_lo
	v_cndmask_b32_e32 v23, 0, v23, vcc_lo
	s_delay_alu instid0(VALU_DEP_1) | instskip(NEXT) | instid1(VALU_DEP_1)
	v_mul_f64 v[21:22], v[23:24], v[21:22]
	v_frexp_mant_f64_e32 v[23:24], v[21:22]
	v_cmp_nge_f64_e64 s2, 0, v[21:22]
	v_cmp_neq_f64_e64 s3, 0, v[21:22]
	s_delay_alu instid0(VALU_DEP_3) | instskip(SKIP_1) | instid1(VALU_DEP_1)
	v_cmp_gt_f64_e32 vcc_lo, s[68:69], v[23:24]
	v_cndmask_b32_e64 v10, 0x3ff00000, 2.0, vcc_lo
	v_mul_f64 v[23:24], v[23:24], v[9:10]
	v_frexp_exp_i32_f64_e32 v10, v[21:22]
	s_delay_alu instid0(VALU_DEP_2) | instskip(NEXT) | instid1(VALU_DEP_2)
	v_add_f64 v[25:26], v[23:24], 1.0
	v_subrev_co_ci_u32_e32 v10, vcc_lo, 0, v10, vcc_lo
	v_cmp_class_f64_e64 vcc_lo, v[21:22], 0x204
	s_delay_alu instid0(VALU_DEP_3) | instskip(SKIP_2) | instid1(VALU_DEP_1)
	v_rcp_f64_e32 v[27:28], v[25:26]
	s_waitcnt_depctr 0xfff
	v_fma_f64 v[29:30], -v[25:26], v[27:28], 1.0
	v_fma_f64 v[27:28], v[29:30], v[27:28], v[27:28]
	s_delay_alu instid0(VALU_DEP_1) | instskip(NEXT) | instid1(VALU_DEP_1)
	v_fma_f64 v[29:30], -v[25:26], v[27:28], 1.0
	v_fma_f64 v[27:28], v[29:30], v[27:28], v[27:28]
	v_add_f64 v[29:30], v[25:26], -1.0
	s_delay_alu instid0(VALU_DEP_1) | instskip(SKIP_1) | instid1(VALU_DEP_1)
	v_add_f64 v[29:30], v[23:24], -v[29:30]
	v_add_f64 v[23:24], v[23:24], -1.0
	v_mul_f64 v[31:32], v[23:24], v[27:28]
	s_delay_alu instid0(VALU_DEP_1) | instskip(NEXT) | instid1(VALU_DEP_1)
	v_mul_f64 v[33:34], v[25:26], v[31:32]
	v_fma_f64 v[25:26], v[31:32], v[25:26], -v[33:34]
	s_delay_alu instid0(VALU_DEP_1) | instskip(NEXT) | instid1(VALU_DEP_1)
	v_fma_f64 v[25:26], v[31:32], v[29:30], v[25:26]
	v_add_f64 v[29:30], v[33:34], v[25:26]
	s_delay_alu instid0(VALU_DEP_1) | instskip(NEXT) | instid1(VALU_DEP_1)
	v_add_f64 v[33:34], v[29:30], -v[33:34]
	v_add_f64 v[25:26], v[33:34], -v[25:26]
	;; [unrolled: 1-line block ×3, first 2 shown]
	s_delay_alu instid0(VALU_DEP_1) | instskip(NEXT) | instid1(VALU_DEP_1)
	v_add_f64 v[23:24], v[23:24], -v[33:34]
	v_add_f64 v[23:24], v[23:24], -v[29:30]
	s_delay_alu instid0(VALU_DEP_1) | instskip(SKIP_1) | instid1(VALU_DEP_2)
	v_add_f64 v[23:24], v[25:26], v[23:24]
	v_cvt_f64_i32_e32 v[25:26], v10
	v_add_f64 v[23:24], v[33:34], v[23:24]
	s_delay_alu instid0(VALU_DEP_1) | instskip(NEXT) | instid1(VALU_DEP_3)
	v_mul_f64 v[23:24], v[27:28], v[23:24]
	v_mul_f64 v[27:28], v[25:26], s[28:29]
	s_delay_alu instid0(VALU_DEP_1) | instskip(NEXT) | instid1(VALU_DEP_1)
	v_fma_f64 v[29:30], v[25:26], s[28:29], -v[27:28]
	v_fma_f64 v[25:26], v[25:26], s[30:31], v[29:30]
	s_delay_alu instid0(VALU_DEP_4) | instskip(NEXT) | instid1(VALU_DEP_1)
	v_add_f64 v[29:30], v[31:32], v[23:24]
	v_add_f64 v[31:32], v[29:30], -v[31:32]
	s_delay_alu instid0(VALU_DEP_1) | instskip(SKIP_1) | instid1(VALU_DEP_2)
	v_add_f64 v[23:24], v[23:24], -v[31:32]
	v_mul_f64 v[31:32], v[29:30], v[29:30]
	v_ldexp_f64 v[23:24], v[23:24], 1
	s_delay_alu instid0(VALU_DEP_2) | instskip(NEXT) | instid1(VALU_DEP_1)
	v_fma_f64 v[33:34], v[31:32], s[18:19], s[16:17]
	v_fma_f64 v[33:34], v[31:32], v[33:34], s[20:21]
	s_delay_alu instid0(VALU_DEP_1) | instskip(NEXT) | instid1(VALU_DEP_1)
	v_fma_f64 v[33:34], v[31:32], v[33:34], s[22:23]
	v_fma_f64 v[33:34], v[31:32], v[33:34], s[24:25]
	s_delay_alu instid0(VALU_DEP_1) | instskip(NEXT) | instid1(VALU_DEP_1)
	v_fma_f64 v[33:34], v[31:32], v[33:34], s[26:27]
	v_fma_f64 v[33:34], v[31:32], v[33:34], s[14:15]
	v_mul_f64 v[31:32], v[29:30], v[31:32]
	v_ldexp_f64 v[29:30], v[29:30], 1
	s_delay_alu instid0(VALU_DEP_2) | instskip(NEXT) | instid1(VALU_DEP_1)
	v_mul_f64 v[31:32], v[31:32], v[33:34]
	v_add_f64 v[33:34], v[29:30], v[31:32]
	s_delay_alu instid0(VALU_DEP_1) | instskip(NEXT) | instid1(VALU_DEP_1)
	v_add_f64 v[29:30], v[33:34], -v[29:30]
	v_add_f64 v[29:30], v[31:32], -v[29:30]
	s_delay_alu instid0(VALU_DEP_1) | instskip(SKIP_1) | instid1(VALU_DEP_1)
	v_add_f64 v[23:24], v[23:24], v[29:30]
	v_add_f64 v[29:30], v[27:28], v[25:26]
	v_add_f64 v[27:28], v[29:30], -v[27:28]
	s_delay_alu instid0(VALU_DEP_1) | instskip(NEXT) | instid1(VALU_DEP_4)
	v_add_f64 v[25:26], v[25:26], -v[27:28]
	v_add_f64 v[27:28], v[33:34], v[23:24]
	s_delay_alu instid0(VALU_DEP_1) | instskip(SKIP_1) | instid1(VALU_DEP_2)
	v_add_f64 v[31:32], v[27:28], -v[33:34]
	v_add_f64 v[33:34], v[29:30], v[27:28]
	v_add_f64 v[23:24], v[23:24], -v[31:32]
	s_delay_alu instid0(VALU_DEP_2) | instskip(NEXT) | instid1(VALU_DEP_1)
	v_add_f64 v[35:36], v[33:34], -v[29:30]
	v_add_f64 v[27:28], v[27:28], -v[35:36]
	;; [unrolled: 1-line block ×3, first 2 shown]
	s_delay_alu instid0(VALU_DEP_1) | instskip(NEXT) | instid1(VALU_DEP_1)
	v_add_f64 v[29:30], v[29:30], -v[35:36]
	v_add_f64 v[27:28], v[27:28], v[29:30]
	v_add_f64 v[29:30], v[25:26], v[23:24]
	s_delay_alu instid0(VALU_DEP_1) | instskip(NEXT) | instid1(VALU_DEP_3)
	v_add_f64 v[31:32], v[29:30], -v[25:26]
	v_add_f64 v[27:28], v[29:30], v[27:28]
	s_delay_alu instid0(VALU_DEP_2) | instskip(SKIP_1) | instid1(VALU_DEP_1)
	v_add_f64 v[23:24], v[23:24], -v[31:32]
	v_add_f64 v[31:32], v[29:30], -v[31:32]
	;; [unrolled: 1-line block ×3, first 2 shown]
	s_delay_alu instid0(VALU_DEP_1) | instskip(SKIP_1) | instid1(VALU_DEP_1)
	v_add_f64 v[23:24], v[23:24], v[25:26]
	v_add_f64 v[25:26], v[33:34], v[27:28]
	v_add_f64 v[29:30], v[25:26], -v[33:34]
	s_delay_alu instid0(VALU_DEP_1) | instskip(NEXT) | instid1(VALU_DEP_1)
	v_add_f64 v[27:28], v[27:28], -v[29:30]
	v_add_f64 v[23:24], v[23:24], v[27:28]
	s_delay_alu instid0(VALU_DEP_1) | instskip(NEXT) | instid1(VALU_DEP_1)
	v_add_f64 v[23:24], v[25:26], v[23:24]
	v_dual_cndmask_b32 v10, v23, v21 :: v_dual_cndmask_b32 v15, v24, v22
	v_cmp_ngt_f64_e32 vcc_lo, 0, v[21:22]
	s_delay_alu instid0(VALU_DEP_2) | instskip(NEXT) | instid1(VALU_DEP_3)
	v_cndmask_b32_e64 v19, 0, v10, s2
	v_cndmask_b32_e32 v15, 0x7ff80000, v15, vcc_lo
	s_delay_alu instid0(VALU_DEP_1) | instskip(NEXT) | instid1(VALU_DEP_1)
	v_cndmask_b32_e64 v20, 0xfff00000, v15, s3
	v_add_f64 v[17:18], v[17:18], v[19:20]
.LBB8_15:                               ;   in Loop: Header=BB8_5 Depth=1
	s_or_b32 exec_lo, exec_lo, s75
.LBB8_16:                               ;   in Loop: Header=BB8_5 Depth=1
	s_and_not1_saveexec_b32 s74, s74
	s_cbranch_execz .LBB8_30
; %bb.17:                               ;   in Loop: Header=BB8_5 Depth=1
	s_mov_b32 s15, exec_lo
                                        ; implicit-def: $sgpr2_sgpr3
                                        ; implicit-def: $vgpr10
                                        ; implicit-def: $vgpr19_vgpr20
	v_cmpx_lt_u32_e32 0x3feccccc, v16
	s_xor_b32 s15, exec_lo, s15
	s_cbranch_execz .LBB8_19
; %bb.18:                               ;   in Loop: Header=BB8_5 Depth=1
	s_mov_b32 s2, 0x6356be3f
	s_mov_b32 s3, 0xbff762d8
	v_add_f64 v[17:18], -|v[5:6]|, 2.0
	v_add_f64 v[19:20], |v[5:6]|, s[2:3]
	v_add_f64 v[21:22], |v[5:6]|, -1.0
	v_cmp_gt_u32_e32 vcc_lo, 0x3ffbb4c3, v16
	v_cmp_gt_u32_e64 s2, 0x3ff3b4c4, v16
	s_delay_alu instid0(VALU_DEP_4) | instskip(SKIP_1) | instid1(VALU_DEP_2)
	v_dual_cndmask_b32 v10, v18, v20 :: v_dual_cndmask_b32 v15, v17, v19
	v_cndmask_b32_e64 v17, 0, 1, vcc_lo
	v_cndmask_b32_e64 v20, v10, v22, s2
	s_delay_alu instid0(VALU_DEP_3) | instskip(NEXT) | instid1(VALU_DEP_3)
	v_cndmask_b32_e64 v19, v15, v21, s2
	v_cndmask_b32_e64 v10, v17, 2, s2
	s_mov_b64 s[2:3], 0
.LBB8_19:                               ;   in Loop: Header=BB8_5 Depth=1
	s_or_saveexec_b32 s75, s15
	v_dual_mov_b32 v18, s3 :: v_dual_mov_b32 v17, s2
	s_xor_b32 exec_lo, exec_lo, s75
	s_cbranch_execz .LBB8_21
; %bb.20:                               ;   in Loop: Header=BB8_5 Depth=1
	s_mov_b32 s2, 0x8d5af8fc
	s_mov_b32 s3, 0xbfdd8b61
	v_add_f64 v[17:18], -|v[5:6]|, 1.0
	v_add_f64 v[19:20], |v[5:6]|, s[2:3]
	v_cmp_gt_u32_e32 vcc_lo, 0x3fe76944, v16
	s_mov_b32 s15, s69
	v_cmp_gt_u32_e64 s3, 0x3fcda661, v16
	s_delay_alu instid0(VALU_DEP_3) | instskip(NEXT) | instid1(VALU_DEP_4)
	v_cndmask_b32_e32 v15, v17, v19, vcc_lo
	v_cndmask_b32_e32 v31, v18, v20, vcc_lo
	v_frexp_mant_f64_e64 v[17:18], |v[5:6]|
	s_delay_alu instid0(VALU_DEP_1) | instskip(NEXT) | instid1(VALU_DEP_1)
	v_cmp_gt_f64_e64 s2, s[68:69], v[17:18]
	v_cndmask_b32_e64 v10, 0x3ff00000, 2.0, s2
	s_delay_alu instid0(VALU_DEP_1) | instskip(SKIP_1) | instid1(VALU_DEP_2)
	v_mul_f64 v[17:18], v[17:18], v[9:10]
	v_frexp_exp_i32_f64_e32 v10, v[5:6]
	v_add_f64 v[19:20], v[17:18], 1.0
	s_delay_alu instid0(VALU_DEP_2) | instskip(SKIP_1) | instid1(VALU_DEP_3)
	v_subrev_co_ci_u32_e64 v10, s2, 0, v10, s2
	v_cmp_class_f64_e64 s2, v[5:6], 0x204
	v_rcp_f64_e32 v[21:22], v[19:20]
	s_waitcnt_depctr 0xfff
	v_fma_f64 v[23:24], -v[19:20], v[21:22], 1.0
	s_delay_alu instid0(VALU_DEP_1) | instskip(NEXT) | instid1(VALU_DEP_1)
	v_fma_f64 v[21:22], v[23:24], v[21:22], v[21:22]
	v_fma_f64 v[23:24], -v[19:20], v[21:22], 1.0
	s_delay_alu instid0(VALU_DEP_1) | instskip(SKIP_1) | instid1(VALU_DEP_1)
	v_fma_f64 v[21:22], v[23:24], v[21:22], v[21:22]
	v_add_f64 v[23:24], v[19:20], -1.0
	v_add_f64 v[23:24], v[17:18], -v[23:24]
	v_add_f64 v[17:18], v[17:18], -1.0
	s_delay_alu instid0(VALU_DEP_1) | instskip(NEXT) | instid1(VALU_DEP_1)
	v_mul_f64 v[25:26], v[17:18], v[21:22]
	v_mul_f64 v[27:28], v[19:20], v[25:26]
	s_delay_alu instid0(VALU_DEP_1) | instskip(NEXT) | instid1(VALU_DEP_1)
	v_fma_f64 v[19:20], v[25:26], v[19:20], -v[27:28]
	v_fma_f64 v[19:20], v[25:26], v[23:24], v[19:20]
	s_delay_alu instid0(VALU_DEP_1) | instskip(NEXT) | instid1(VALU_DEP_1)
	v_add_f64 v[23:24], v[27:28], v[19:20]
	v_add_f64 v[27:28], v[23:24], -v[27:28]
	s_delay_alu instid0(VALU_DEP_1) | instskip(SKIP_1) | instid1(VALU_DEP_1)
	v_add_f64 v[19:20], v[27:28], -v[19:20]
	v_add_f64 v[27:28], v[17:18], -v[23:24]
	;; [unrolled: 1-line block ×3, first 2 shown]
	s_delay_alu instid0(VALU_DEP_1) | instskip(NEXT) | instid1(VALU_DEP_1)
	v_add_f64 v[17:18], v[17:18], -v[23:24]
	v_add_f64 v[17:18], v[19:20], v[17:18]
	v_cvt_f64_i32_e32 v[19:20], v10
	v_and_b32_e32 v10, 0x7fffffff, v6
	s_delay_alu instid0(VALU_DEP_3) | instskip(NEXT) | instid1(VALU_DEP_1)
	v_add_f64 v[17:18], v[27:28], v[17:18]
	v_mul_f64 v[17:18], v[21:22], v[17:18]
	s_delay_alu instid0(VALU_DEP_4) | instskip(NEXT) | instid1(VALU_DEP_1)
	v_mul_f64 v[21:22], v[19:20], s[28:29]
	v_fma_f64 v[23:24], v[19:20], s[28:29], -v[21:22]
	s_delay_alu instid0(VALU_DEP_1) | instskip(NEXT) | instid1(VALU_DEP_4)
	v_fma_f64 v[19:20], v[19:20], s[30:31], v[23:24]
	v_add_f64 v[23:24], v[25:26], v[17:18]
	s_delay_alu instid0(VALU_DEP_1) | instskip(NEXT) | instid1(VALU_DEP_1)
	v_add_f64 v[25:26], v[23:24], -v[25:26]
	v_add_f64 v[17:18], v[17:18], -v[25:26]
	v_mul_f64 v[25:26], v[23:24], v[23:24]
	s_delay_alu instid0(VALU_DEP_2) | instskip(NEXT) | instid1(VALU_DEP_2)
	v_ldexp_f64 v[17:18], v[17:18], 1
	v_fma_f64 v[27:28], v[25:26], s[18:19], s[16:17]
	s_delay_alu instid0(VALU_DEP_1) | instskip(NEXT) | instid1(VALU_DEP_1)
	v_fma_f64 v[27:28], v[25:26], v[27:28], s[20:21]
	v_fma_f64 v[27:28], v[25:26], v[27:28], s[22:23]
	s_delay_alu instid0(VALU_DEP_1) | instskip(NEXT) | instid1(VALU_DEP_1)
	v_fma_f64 v[27:28], v[25:26], v[27:28], s[24:25]
	v_fma_f64 v[27:28], v[25:26], v[27:28], s[26:27]
	s_delay_alu instid0(VALU_DEP_1) | instskip(SKIP_2) | instid1(VALU_DEP_2)
	v_fma_f64 v[27:28], v[25:26], v[27:28], s[14:15]
	v_mul_f64 v[25:26], v[23:24], v[25:26]
	v_ldexp_f64 v[23:24], v[23:24], 1
	v_mul_f64 v[25:26], v[25:26], v[27:28]
	s_delay_alu instid0(VALU_DEP_1) | instskip(NEXT) | instid1(VALU_DEP_1)
	v_add_f64 v[27:28], v[23:24], v[25:26]
	v_add_f64 v[23:24], v[27:28], -v[23:24]
	s_delay_alu instid0(VALU_DEP_1) | instskip(NEXT) | instid1(VALU_DEP_1)
	v_add_f64 v[23:24], v[25:26], -v[23:24]
	v_add_f64 v[17:18], v[17:18], v[23:24]
	v_add_f64 v[23:24], v[21:22], v[19:20]
	s_delay_alu instid0(VALU_DEP_1) | instskip(NEXT) | instid1(VALU_DEP_1)
	v_add_f64 v[21:22], v[23:24], -v[21:22]
	v_add_f64 v[19:20], v[19:20], -v[21:22]
	s_delay_alu instid0(VALU_DEP_4) | instskip(NEXT) | instid1(VALU_DEP_1)
	v_add_f64 v[21:22], v[27:28], v[17:18]
	v_add_f64 v[25:26], v[21:22], -v[27:28]
	v_add_f64 v[27:28], v[23:24], v[21:22]
	s_delay_alu instid0(VALU_DEP_2) | instskip(NEXT) | instid1(VALU_DEP_2)
	v_add_f64 v[17:18], v[17:18], -v[25:26]
	v_add_f64 v[29:30], v[27:28], -v[23:24]
	s_delay_alu instid0(VALU_DEP_1) | instskip(SKIP_1) | instid1(VALU_DEP_1)
	v_add_f64 v[21:22], v[21:22], -v[29:30]
	v_add_f64 v[29:30], v[27:28], -v[29:30]
	;; [unrolled: 1-line block ×3, first 2 shown]
	s_delay_alu instid0(VALU_DEP_1) | instskip(SKIP_1) | instid1(VALU_DEP_1)
	v_add_f64 v[21:22], v[21:22], v[23:24]
	v_add_f64 v[23:24], v[19:20], v[17:18]
	v_add_f64 v[25:26], v[23:24], -v[19:20]
	s_delay_alu instid0(VALU_DEP_3) | instskip(NEXT) | instid1(VALU_DEP_2)
	v_add_f64 v[21:22], v[23:24], v[21:22]
	v_add_f64 v[17:18], v[17:18], -v[25:26]
	v_add_f64 v[25:26], v[23:24], -v[25:26]
	s_delay_alu instid0(VALU_DEP_1) | instskip(NEXT) | instid1(VALU_DEP_1)
	v_add_f64 v[19:20], v[19:20], -v[25:26]
	v_add_f64 v[17:18], v[17:18], v[19:20]
	v_add_f64 v[19:20], v[27:28], v[21:22]
	s_delay_alu instid0(VALU_DEP_1) | instskip(NEXT) | instid1(VALU_DEP_1)
	v_add_f64 v[23:24], v[19:20], -v[27:28]
	v_add_f64 v[21:22], v[21:22], -v[23:24]
	s_delay_alu instid0(VALU_DEP_1) | instskip(NEXT) | instid1(VALU_DEP_1)
	v_add_f64 v[17:18], v[17:18], v[21:22]
	v_add_f64 v[17:18], v[19:20], v[17:18]
	v_cndmask_b32_e64 v20, v31, v10, s3
	v_cndmask_b32_e64 v19, v15, v5, s3
	s_delay_alu instid0(VALU_DEP_3) | instskip(NEXT) | instid1(VALU_DEP_4)
	v_cndmask_b32_e64 v17, v17, v5, s2
	v_cndmask_b32_e64 v18, -v18, -v10, s2
	v_cmp_neq_f64_e64 s2, 0, v[5:6]
	v_cndmask_b32_e64 v10, 0, 1, vcc_lo
	s_delay_alu instid0(VALU_DEP_1) | instskip(NEXT) | instid1(VALU_DEP_3)
	v_cndmask_b32_e64 v10, v10, 2, s3
	v_cndmask_b32_e64 v18, 0x7ff00000, v18, s2
	;; [unrolled: 1-line block ×3, first 2 shown]
.LBB8_21:                               ;   in Loop: Header=BB8_5 Depth=1
	s_or_b32 exec_lo, exec_lo, s75
	s_delay_alu instid0(SALU_CYCLE_1)
	s_mov_b32 s2, exec_lo
                                        ; implicit-def: $vgpr23_vgpr24
	v_cmpx_lt_i32_e32 1, v10
	s_xor_b32 s2, exec_lo, s2
	s_cbranch_execz .LBB8_23
; %bb.22:                               ;   in Loop: Header=BB8_5 Depth=1
	s_mov_b32 s80, 0xf6010924
	s_mov_b32 s82, 0xbf2bab09
	;; [unrolled: 1-line block ×4, first 2 shown]
	v_fma_f64 v[23:24], v[19:20], s[90:91], s[88:89]
	v_fma_f64 v[21:22], v[19:20], s[82:83], s[80:81]
	s_mov_b32 s80, 0x44ea8450
	s_mov_b32 s81, 0x3fef4976
	s_mov_b32 vcc_lo, s60
                                        ; implicit-def: $vgpr10
	s_delay_alu instid0(VALU_DEP_2) | instskip(NEXT) | instid1(VALU_DEP_2)
	v_fma_f64 v[23:24], v[19:20], v[23:24], s[92:93]
	v_fma_f64 v[21:22], v[19:20], v[21:22], s[80:81]
	s_delay_alu instid0(VALU_DEP_2) | instskip(NEXT) | instid1(VALU_DEP_2)
	v_fma_f64 v[23:24], v[19:20], v[23:24], s[94:95]
	v_fma_f64 v[21:22], v[19:20], v[21:22], s[84:85]
	;; [unrolled: 3-line block ×3, first 2 shown]
	s_delay_alu instid0(VALU_DEP_2) | instskip(NEXT) | instid1(VALU_DEP_2)
	v_fma_f64 v[23:24], v[19:20], v[23:24], 1.0
	v_fma_f64 v[21:22], v[19:20], v[21:22], vcc
	s_delay_alu instid0(VALU_DEP_1) | instskip(NEXT) | instid1(VALU_DEP_1)
	v_mul_f64 v[21:22], v[19:20], v[21:22]
	v_div_scale_f64 v[25:26], null, v[23:24], v[23:24], v[21:22]
	s_delay_alu instid0(VALU_DEP_1) | instskip(SKIP_2) | instid1(VALU_DEP_1)
	v_rcp_f64_e32 v[27:28], v[25:26]
	s_waitcnt_depctr 0xfff
	v_fma_f64 v[29:30], -v[25:26], v[27:28], 1.0
	v_fma_f64 v[27:28], v[27:28], v[29:30], v[27:28]
	s_delay_alu instid0(VALU_DEP_1) | instskip(NEXT) | instid1(VALU_DEP_1)
	v_fma_f64 v[29:30], -v[25:26], v[27:28], 1.0
	v_fma_f64 v[27:28], v[27:28], v[29:30], v[27:28]
	v_div_scale_f64 v[29:30], vcc_lo, v[21:22], v[23:24], v[21:22]
	s_delay_alu instid0(VALU_DEP_1) | instskip(NEXT) | instid1(VALU_DEP_1)
	v_mul_f64 v[31:32], v[29:30], v[27:28]
	v_fma_f64 v[25:26], -v[25:26], v[31:32], v[29:30]
	s_delay_alu instid0(VALU_DEP_1) | instskip(NEXT) | instid1(VALU_DEP_1)
	v_div_fmas_f64 v[25:26], v[25:26], v[27:28], v[31:32]
	v_div_fixup_f64 v[21:22], v[25:26], v[23:24], v[21:22]
	s_delay_alu instid0(VALU_DEP_1)
	v_fma_f64 v[23:24], v[19:20], -0.5, v[21:22]
                                        ; implicit-def: $vgpr19_vgpr20
.LBB8_23:                               ;   in Loop: Header=BB8_5 Depth=1
	s_and_not1_saveexec_b32 s2, s2
	s_cbranch_execz .LBB8_29
; %bb.24:                               ;   in Loop: Header=BB8_5 Depth=1
	v_mul_f64 v[21:22], v[19:20], v[19:20]
	s_mov_b32 s3, exec_lo
                                        ; implicit-def: $vgpr23_vgpr24
	v_cmpx_ne_u32_e32 1, v10
	s_xor_b32 s3, exec_lo, s3
	s_cbranch_execz .LBB8_26
; %bb.25:                               ;   in Loop: Header=BB8_5 Depth=1
	s_mov_b32 s80, 0x987dfb07
	s_mov_b32 s82, 0x90a45837
	;; [unrolled: 1-line block ×4, first 2 shown]
	s_delay_alu instid0(VALU_DEP_2) | instid1(SALU_CYCLE_1)
	v_fma_f64 v[23:24], v[21:22], s[82:83], s[80:81]
	s_mov_b32 s80, 0xed10e54d
	s_mov_b32 s82, 0x428cfa52
	;; [unrolled: 1-line block ×4, first 2 shown]
	s_delay_alu instid0(SALU_CYCLE_1)
	v_fma_f64 v[25:26], v[21:22], s[82:83], s[80:81]
	s_mov_b32 s80, 0x89b99c00
	s_mov_b32 s81, 0x3f40b6c6
	s_delay_alu instid0(VALU_DEP_2) | instid1(SALU_CYCLE_1)
	v_fma_f64 v[23:24], v[21:22], v[23:24], s[80:81]
	s_mov_b32 s80, 0x116f3f5d
	s_mov_b32 s81, 0x3f538a94
	s_delay_alu instid0(VALU_DEP_2) | instid1(SALU_CYCLE_1)
	;; [unrolled: 4-line block ×7, first 2 shown]
	v_fma_f64 v[23:24], v[21:22], v[23:24], s[80:81]
	s_delay_alu instid0(VALU_DEP_2) | instskip(NEXT) | instid1(VALU_DEP_2)
	v_fma_f64 v[25:26], v[21:22], v[25:26], s[60:61]
	v_mul_f64 v[21:22], v[21:22], v[23:24]
	s_delay_alu instid0(VALU_DEP_1) | instskip(NEXT) | instid1(VALU_DEP_1)
	v_fma_f64 v[21:22], v[19:20], v[25:26], v[21:22]
	v_fma_f64 v[23:24], v[19:20], -0.5, v[21:22]
                                        ; implicit-def: $vgpr19_vgpr20
                                        ; implicit-def: $vgpr21_vgpr22
.LBB8_26:                               ;   in Loop: Header=BB8_5 Depth=1
	s_and_not1_saveexec_b32 s3, s3
	s_cbranch_execz .LBB8_28
; %bb.27:                               ;   in Loop: Header=BB8_5 Depth=1
	s_delay_alu instid0(VALU_DEP_2)
	v_mul_f64 v[23:24], v[19:20], v[21:22]
	s_mov_b32 s80, 0xef61a8e9
	s_mov_b32 s82, 0xecc38c38
	s_mov_b32 s81, 0x3f4cdf0c
	s_mov_b32 s83, 0xbf347f24
	s_delay_alu instid0(VALU_DEP_1) | instid1(SALU_CYCLE_1)
	v_fma_f64 v[25:26], v[23:24], s[82:83], s[80:81]
	s_mov_b32 s80, 0x9c73e0ec
	s_mov_b32 s82, 0xe8c2d3f4
	;; [unrolled: 1-line block ×4, first 2 shown]
	s_delay_alu instid0(SALU_CYCLE_1) | instskip(SKIP_4) | instid1(VALU_DEP_2)
	v_fma_f64 v[27:28], v[23:24], s[82:83], s[80:81]
	s_mov_b32 s80, 0xb3e914d7
	s_mov_b32 s81, 0xbf6e2eff
	;; [unrolled: 1-line block ×4, first 2 shown]
	v_fma_f64 v[25:26], v[23:24], v[25:26], s[80:81]
	s_mov_b32 s80, 0x2e15c915
	s_mov_b32 s81, 0x3f6282d3
	s_delay_alu instid0(VALU_DEP_2) | instid1(SALU_CYCLE_1)
	v_fma_f64 v[27:28], v[23:24], v[27:28], s[80:81]
	s_mov_b32 s80, 0xbf2d1af1
	s_mov_b32 s81, 0xbf56fe8e
	s_delay_alu instid0(SALU_CYCLE_1)
	v_fma_f64 v[29:30], v[23:24], s[82:83], s[80:81]
	s_mov_b32 s80, 0x970af9ec
	s_mov_b32 s81, 0x3f9266e7
	s_delay_alu instid0(VALU_DEP_3) | instid1(SALU_CYCLE_1)
	v_fma_f64 v[25:26], v[23:24], v[25:26], s[80:81]
	s_mov_b32 s80, 0xba91ec6a
	s_mov_b32 s81, 0xbf851f9f
	s_delay_alu instid0(VALU_DEP_3) | instid1(SALU_CYCLE_1)
	;; [unrolled: 4-line block ×6, first 2 shown]
	v_fma_f64 v[29:30], v[23:24], v[29:30], s[80:81]
	s_mov_b32 s80, 0xc8ee38a2
	s_mov_b32 s81, 0x3fdef72b
	s_delay_alu instid0(VALU_DEP_2) | instskip(NEXT) | instid1(VALU_DEP_2)
	v_fma_f64 v[19:20], v[19:20], v[27:28], v[25:26]
	v_fma_f64 v[25:26], v[23:24], v[29:30], s[80:81]
	s_mov_b32 s80, 0xa48a971f
	s_mov_b32 s81, 0xbc50c7ca
	s_delay_alu instid0(VALU_DEP_2) | instid1(SALU_CYCLE_1)
	v_fma_f64 v[19:20], v[23:24], -v[19:20], s[80:81]
	s_mov_b32 s80, 0xbcc38a42
	s_mov_b32 s81, 0xbfbf19b9
	s_delay_alu instid0(VALU_DEP_1) | instskip(NEXT) | instid1(VALU_DEP_1)
	v_fma_f64 v[19:20], v[21:22], v[25:26], -v[19:20]
	v_add_f64 v[23:24], v[19:20], s[80:81]
.LBB8_28:                               ;   in Loop: Header=BB8_5 Depth=1
	s_or_b32 exec_lo, exec_lo, s3
.LBB8_29:                               ;   in Loop: Header=BB8_5 Depth=1
	s_delay_alu instid0(SALU_CYCLE_1) | instskip(NEXT) | instid1(VALU_DEP_1)
	s_or_b32 exec_lo, exec_lo, s2
	v_add_f64 v[17:18], v[17:18], v[23:24]
.LBB8_30:                               ;   in Loop: Header=BB8_5 Depth=1
	s_or_b32 exec_lo, exec_lo, s74
.LBB8_31:                               ;   in Loop: Header=BB8_5 Depth=1
	s_and_not1_saveexec_b32 s3, s73
	s_cbranch_execz .LBB8_33
; %bb.32:                               ;   in Loop: Header=BB8_5 Depth=1
	v_frexp_mant_f64_e64 v[17:18], |v[5:6]|
	s_mov_b32 s15, s69
	v_cmp_neq_f64_e64 s2, 0, v[5:6]
	s_delay_alu instid0(VALU_DEP_2) | instskip(SKIP_1) | instid1(VALU_DEP_1)
	v_cmp_gt_f64_e32 vcc_lo, s[68:69], v[17:18]
	v_cndmask_b32_e64 v10, 0x3ff00000, 2.0, vcc_lo
	v_mul_f64 v[17:18], v[17:18], v[9:10]
	v_frexp_exp_i32_f64_e32 v10, v[5:6]
	s_delay_alu instid0(VALU_DEP_2) | instskip(NEXT) | instid1(VALU_DEP_2)
	v_add_f64 v[19:20], v[17:18], 1.0
	v_subrev_co_ci_u32_e32 v10, vcc_lo, 0, v10, vcc_lo
	v_cmp_class_f64_e64 vcc_lo, v[5:6], 0x204
	s_delay_alu instid0(VALU_DEP_3) | instskip(SKIP_2) | instid1(VALU_DEP_1)
	v_rcp_f64_e32 v[21:22], v[19:20]
	s_waitcnt_depctr 0xfff
	v_fma_f64 v[23:24], -v[19:20], v[21:22], 1.0
	v_fma_f64 v[21:22], v[23:24], v[21:22], v[21:22]
	s_delay_alu instid0(VALU_DEP_1) | instskip(NEXT) | instid1(VALU_DEP_1)
	v_fma_f64 v[23:24], -v[19:20], v[21:22], 1.0
	v_fma_f64 v[21:22], v[23:24], v[21:22], v[21:22]
	v_add_f64 v[23:24], v[19:20], -1.0
	s_delay_alu instid0(VALU_DEP_1) | instskip(SKIP_1) | instid1(VALU_DEP_1)
	v_add_f64 v[23:24], v[17:18], -v[23:24]
	v_add_f64 v[17:18], v[17:18], -1.0
	v_mul_f64 v[25:26], v[17:18], v[21:22]
	s_delay_alu instid0(VALU_DEP_1) | instskip(NEXT) | instid1(VALU_DEP_1)
	v_mul_f64 v[27:28], v[19:20], v[25:26]
	v_fma_f64 v[19:20], v[25:26], v[19:20], -v[27:28]
	s_delay_alu instid0(VALU_DEP_1) | instskip(NEXT) | instid1(VALU_DEP_1)
	v_fma_f64 v[19:20], v[25:26], v[23:24], v[19:20]
	v_add_f64 v[23:24], v[27:28], v[19:20]
	s_delay_alu instid0(VALU_DEP_1) | instskip(NEXT) | instid1(VALU_DEP_1)
	v_add_f64 v[27:28], v[23:24], -v[27:28]
	v_add_f64 v[19:20], v[27:28], -v[19:20]
	;; [unrolled: 1-line block ×3, first 2 shown]
	s_delay_alu instid0(VALU_DEP_1) | instskip(NEXT) | instid1(VALU_DEP_1)
	v_add_f64 v[17:18], v[17:18], -v[27:28]
	v_add_f64 v[17:18], v[17:18], -v[23:24]
	s_delay_alu instid0(VALU_DEP_1) | instskip(SKIP_1) | instid1(VALU_DEP_2)
	v_add_f64 v[17:18], v[19:20], v[17:18]
	v_cvt_f64_i32_e32 v[19:20], v10
	v_add_f64 v[17:18], v[27:28], v[17:18]
	s_delay_alu instid0(VALU_DEP_1) | instskip(NEXT) | instid1(VALU_DEP_3)
	v_mul_f64 v[17:18], v[21:22], v[17:18]
	v_mul_f64 v[21:22], v[19:20], s[28:29]
	s_delay_alu instid0(VALU_DEP_1) | instskip(NEXT) | instid1(VALU_DEP_1)
	v_fma_f64 v[23:24], v[19:20], s[28:29], -v[21:22]
	v_fma_f64 v[19:20], v[19:20], s[30:31], v[23:24]
	s_delay_alu instid0(VALU_DEP_4) | instskip(NEXT) | instid1(VALU_DEP_1)
	v_add_f64 v[23:24], v[25:26], v[17:18]
	v_add_f64 v[25:26], v[23:24], -v[25:26]
	s_delay_alu instid0(VALU_DEP_1) | instskip(SKIP_1) | instid1(VALU_DEP_2)
	v_add_f64 v[17:18], v[17:18], -v[25:26]
	v_mul_f64 v[25:26], v[23:24], v[23:24]
	v_ldexp_f64 v[17:18], v[17:18], 1
	s_delay_alu instid0(VALU_DEP_2) | instskip(NEXT) | instid1(VALU_DEP_1)
	v_fma_f64 v[27:28], v[25:26], s[18:19], s[16:17]
	v_fma_f64 v[27:28], v[25:26], v[27:28], s[20:21]
	s_delay_alu instid0(VALU_DEP_1) | instskip(NEXT) | instid1(VALU_DEP_1)
	v_fma_f64 v[27:28], v[25:26], v[27:28], s[22:23]
	v_fma_f64 v[27:28], v[25:26], v[27:28], s[24:25]
	s_delay_alu instid0(VALU_DEP_1) | instskip(NEXT) | instid1(VALU_DEP_1)
	v_fma_f64 v[27:28], v[25:26], v[27:28], s[26:27]
	v_fma_f64 v[27:28], v[25:26], v[27:28], s[14:15]
	v_mul_f64 v[25:26], v[23:24], v[25:26]
	v_ldexp_f64 v[23:24], v[23:24], 1
	s_delay_alu instid0(VALU_DEP_2) | instskip(NEXT) | instid1(VALU_DEP_1)
	v_mul_f64 v[25:26], v[25:26], v[27:28]
	v_add_f64 v[27:28], v[23:24], v[25:26]
	s_delay_alu instid0(VALU_DEP_1) | instskip(NEXT) | instid1(VALU_DEP_1)
	v_add_f64 v[23:24], v[27:28], -v[23:24]
	v_add_f64 v[23:24], v[25:26], -v[23:24]
	s_delay_alu instid0(VALU_DEP_1) | instskip(SKIP_1) | instid1(VALU_DEP_1)
	v_add_f64 v[17:18], v[17:18], v[23:24]
	v_add_f64 v[23:24], v[21:22], v[19:20]
	v_add_f64 v[21:22], v[23:24], -v[21:22]
	s_delay_alu instid0(VALU_DEP_1) | instskip(NEXT) | instid1(VALU_DEP_4)
	v_add_f64 v[19:20], v[19:20], -v[21:22]
	v_add_f64 v[21:22], v[27:28], v[17:18]
	s_delay_alu instid0(VALU_DEP_1) | instskip(SKIP_1) | instid1(VALU_DEP_2)
	v_add_f64 v[25:26], v[21:22], -v[27:28]
	v_add_f64 v[27:28], v[23:24], v[21:22]
	v_add_f64 v[17:18], v[17:18], -v[25:26]
	s_delay_alu instid0(VALU_DEP_2) | instskip(NEXT) | instid1(VALU_DEP_1)
	v_add_f64 v[29:30], v[27:28], -v[23:24]
	v_add_f64 v[21:22], v[21:22], -v[29:30]
	;; [unrolled: 1-line block ×3, first 2 shown]
	s_delay_alu instid0(VALU_DEP_1) | instskip(NEXT) | instid1(VALU_DEP_1)
	v_add_f64 v[23:24], v[23:24], -v[29:30]
	v_add_f64 v[21:22], v[21:22], v[23:24]
	v_add_f64 v[23:24], v[19:20], v[17:18]
	s_delay_alu instid0(VALU_DEP_1) | instskip(NEXT) | instid1(VALU_DEP_3)
	v_add_f64 v[25:26], v[23:24], -v[19:20]
	v_add_f64 v[21:22], v[23:24], v[21:22]
	s_delay_alu instid0(VALU_DEP_2) | instskip(SKIP_1) | instid1(VALU_DEP_1)
	v_add_f64 v[17:18], v[17:18], -v[25:26]
	v_add_f64 v[25:26], v[23:24], -v[25:26]
	;; [unrolled: 1-line block ×3, first 2 shown]
	s_delay_alu instid0(VALU_DEP_1) | instskip(SKIP_1) | instid1(VALU_DEP_1)
	v_add_f64 v[17:18], v[17:18], v[19:20]
	v_add_f64 v[19:20], v[27:28], v[21:22]
	v_add_f64 v[23:24], v[19:20], -v[27:28]
	s_delay_alu instid0(VALU_DEP_1) | instskip(NEXT) | instid1(VALU_DEP_1)
	v_add_f64 v[21:22], v[21:22], -v[23:24]
	v_add_f64 v[17:18], v[17:18], v[21:22]
	v_fma_f64 v[21:22], |v[5:6]|, s[46:47], s[44:45]
	s_delay_alu instid0(VALU_DEP_2) | instskip(NEXT) | instid1(VALU_DEP_2)
	v_add_f64 v[17:18], v[19:20], v[17:18]
	v_fma_f64 v[21:22], |v[5:6]|, v[21:22], s[98:99]
	s_delay_alu instid0(VALU_DEP_2) | instskip(NEXT) | instid1(VALU_DEP_2)
	v_dual_cndmask_b32 v15, v17, v5 :: v_dual_and_b32 v10, 0x7fffffff, v6
	v_fma_f64 v[21:22], |v[5:6]|, v[21:22], s[100:101]
	s_delay_alu instid0(VALU_DEP_2) | instskip(NEXT) | instid1(VALU_DEP_3)
	v_cndmask_b32_e64 v10, -v18, -v10, vcc_lo
	v_cndmask_b32_e64 v17, 0, v15, s2
	s_delay_alu instid0(VALU_DEP_2) | instskip(NEXT) | instid1(VALU_DEP_4)
	v_cndmask_b32_e64 v18, 0x7ff00000, v10, s2
	v_fma_f64 v[19:20], |v[5:6]|, v[21:22], s[102:103]
	s_delay_alu instid0(VALU_DEP_1)
	v_fma_f64 v[17:18], |v[5:6]|, v[19:20], v[17:18]
.LBB8_33:                               ;   in Loop: Header=BB8_5 Depth=1
	s_or_b32 exec_lo, exec_lo, s3
	s_delay_alu instid0(SALU_CYCLE_1)
	s_mov_b32 s2, exec_lo
	v_cmpx_le_f64_e32 0, v[5:6]
	s_xor_b32 s3, exec_lo, s2
; %bb.34:                               ;   in Loop: Header=BB8_5 Depth=1
	v_cmp_eq_f64_e32 vcc_lo, 1.0, v[5:6]
	v_cmp_eq_f64_e64 s2, 2.0, v[5:6]
	s_delay_alu instid0(VALU_DEP_1)
	s_or_b32 s2, vcc_lo, s2
	s_delay_alu instid0(VALU_DEP_4) | instid1(SALU_CYCLE_1)
	v_cndmask_b32_e64 v18, v18, 0, s2
	v_cndmask_b32_e64 v17, v17, 0, s2
; %bb.35:                               ;   in Loop: Header=BB8_5 Depth=1
	s_and_not1_saveexec_b32 s3, s3
	s_cbranch_execz .LBB8_39
; %bb.36:                               ;   in Loop: Header=BB8_5 Depth=1
	v_add_nc_u32_e32 v10, 0xc32fffff, v16
	s_mov_b32 s73, exec_lo
	s_delay_alu instid0(VALU_DEP_1)
	v_cmpx_gt_u32_e32 0x65fffff, v10
	s_cbranch_execz .LBB8_38
; %bb.37:                               ;   in Loop: Header=BB8_5 Depth=1
	v_mul_f64 v[19:20], |v[5:6]|, 0.5
	v_cmp_gt_f64_e64 s2, |v[5:6]|, 1.0
	s_mov_b32 s15, s69
	s_delay_alu instid0(VALU_DEP_2) | instskip(SKIP_1) | instid1(VALU_DEP_2)
	v_fract_f64_e32 v[21:22], v[19:20]
	v_cmp_neq_f64_e64 vcc_lo, 0x7ff00000, |v[19:20]|
	v_add_f64 v[19:20], v[21:22], v[21:22]
	s_delay_alu instid0(VALU_DEP_1) | instskip(NEXT) | instid1(VALU_DEP_2)
	v_dual_cndmask_b32 v15, 0, v20 :: v_dual_and_b32 v10, 0x7fffffff, v6
	v_cndmask_b32_e32 v19, 0, v19, vcc_lo
	s_delay_alu instid0(VALU_DEP_2) | instskip(NEXT) | instid1(VALU_DEP_2)
	v_cndmask_b32_e64 v20, v10, v15, s2
	v_cndmask_b32_e64 v19, v5, v19, s2
	s_delay_alu instid0(VALU_DEP_1) | instskip(NEXT) | instid1(VALU_DEP_1)
	v_add_f64 v[21:22], v[19:20], v[19:20]
	v_rndne_f64_e32 v[21:22], v[21:22]
	s_delay_alu instid0(VALU_DEP_1) | instskip(SKIP_1) | instid1(VALU_DEP_2)
	v_fma_f64 v[19:20], v[21:22], -0.5, v[19:20]
	v_cvt_i32_f64_e32 v10, v[21:22]
	v_mul_f64 v[23:24], v[19:20], v[19:20]
	s_delay_alu instid0(VALU_DEP_2) | instskip(SKIP_1) | instid1(VALU_DEP_2)
	v_and_b32_e32 v15, 1, v10
	v_lshlrev_b32_e32 v10, 30, v10
	v_cmp_eq_u32_e32 vcc_lo, 0, v15
	s_delay_alu instid0(VALU_DEP_2) | instskip(NEXT) | instid1(VALU_DEP_1)
	v_xor_b32_e32 v10, v10, v6
	v_and_b32_e32 v10, 0x80000000, v10
	v_fma_f64 v[25:26], v[23:24], s[36:37], s[34:35]
	v_mul_f64 v[27:28], v[19:20], v[23:24]
	s_delay_alu instid0(VALU_DEP_2) | instskip(NEXT) | instid1(VALU_DEP_1)
	v_fma_f64 v[25:26], v[23:24], v[25:26], s[38:39]
	v_fma_f64 v[25:26], v[23:24], v[25:26], s[40:41]
	s_delay_alu instid0(VALU_DEP_1) | instskip(NEXT) | instid1(VALU_DEP_1)
	v_fma_f64 v[25:26], v[23:24], v[25:26], s[42:43]
	v_fma_f64 v[25:26], v[23:24], v[25:26], s[48:49]
	s_delay_alu instid0(VALU_DEP_1) | instskip(NEXT) | instid1(VALU_DEP_1)
	v_mul_f64 v[25:26], v[27:28], v[25:26]
	v_fma_f64 v[19:20], v[19:20], s[50:51], v[25:26]
	v_fma_f64 v[25:26], v[23:24], s[54:55], s[52:53]
	s_delay_alu instid0(VALU_DEP_1) | instskip(NEXT) | instid1(VALU_DEP_1)
	v_fma_f64 v[25:26], v[23:24], v[25:26], s[56:57]
	v_fma_f64 v[25:26], v[23:24], v[25:26], s[58:59]
	s_delay_alu instid0(VALU_DEP_1) | instskip(NEXT) | instid1(VALU_DEP_1)
	;; [unrolled: 3-line block ×3, first 2 shown]
	v_fma_f64 v[25:26], v[23:24], v[25:26], s[66:67]
	v_fma_f64 v[23:24], v[23:24], v[25:26], 1.0
	s_delay_alu instid0(VALU_DEP_1) | instskip(NEXT) | instid1(VALU_DEP_2)
	v_cndmask_b32_e32 v15, v23, v19, vcc_lo
	v_cndmask_b32_e32 v19, v24, v20, vcc_lo
	v_cmp_class_f64_e64 vcc_lo, v[5:6], 0x1f8
	s_delay_alu instid0(VALU_DEP_2) | instskip(NEXT) | instid1(VALU_DEP_4)
	v_xor_b32_e32 v10, v19, v10
	v_cndmask_b32_e32 v19, 0, v15, vcc_lo
	s_delay_alu instid0(VALU_DEP_2) | instskip(NEXT) | instid1(VALU_DEP_1)
	v_cndmask_b32_e32 v20, 0x7ff80000, v10, vcc_lo
	v_mul_f64 v[19:20], v[5:6], v[19:20]
	s_delay_alu instid0(VALU_DEP_1) | instskip(NEXT) | instid1(VALU_DEP_1)
	v_dual_mov_b32 v21, v19 :: v_dual_and_b32 v22, 0x7fffffff, v20
	v_div_scale_f64 v[23:24], null, v[21:22], v[21:22], s[50:51]
	v_div_scale_f64 v[21:22], vcc_lo, s[50:51], v[21:22], s[50:51]
	s_delay_alu instid0(VALU_DEP_2) | instskip(SKIP_2) | instid1(VALU_DEP_1)
	v_rcp_f64_e32 v[25:26], v[23:24]
	s_waitcnt_depctr 0xfff
	v_fma_f64 v[27:28], -v[23:24], v[25:26], 1.0
	v_fma_f64 v[25:26], v[25:26], v[27:28], v[25:26]
	s_delay_alu instid0(VALU_DEP_1) | instskip(NEXT) | instid1(VALU_DEP_1)
	v_fma_f64 v[27:28], -v[23:24], v[25:26], 1.0
	v_fma_f64 v[25:26], v[25:26], v[27:28], v[25:26]
	s_delay_alu instid0(VALU_DEP_1) | instskip(NEXT) | instid1(VALU_DEP_1)
	v_mul_f64 v[27:28], v[21:22], v[25:26]
	v_fma_f64 v[21:22], -v[23:24], v[27:28], v[21:22]
	s_delay_alu instid0(VALU_DEP_1) | instskip(NEXT) | instid1(VALU_DEP_1)
	v_div_fmas_f64 v[21:22], v[21:22], v[25:26], v[27:28]
	v_div_fixup_f64 v[19:20], v[21:22], |v[19:20]|, s[50:51]
	s_delay_alu instid0(VALU_DEP_1) | instskip(SKIP_1) | instid1(VALU_DEP_2)
	v_frexp_mant_f64_e32 v[21:22], v[19:20]
	v_cmp_neq_f64_e64 s2, 0, v[19:20]
	v_cmp_gt_f64_e32 vcc_lo, s[68:69], v[21:22]
	v_cndmask_b32_e64 v10, 0x3ff00000, 2.0, vcc_lo
	s_delay_alu instid0(VALU_DEP_1) | instskip(SKIP_1) | instid1(VALU_DEP_2)
	v_mul_f64 v[21:22], v[21:22], v[9:10]
	v_frexp_exp_i32_f64_e32 v10, v[19:20]
	v_add_f64 v[23:24], v[21:22], 1.0
	s_delay_alu instid0(VALU_DEP_2) | instskip(SKIP_1) | instid1(VALU_DEP_3)
	v_subrev_co_ci_u32_e32 v10, vcc_lo, 0, v10, vcc_lo
	v_cmp_class_f64_e64 vcc_lo, v[19:20], 0x204
	v_rcp_f64_e32 v[25:26], v[23:24]
	s_waitcnt_depctr 0xfff
	v_fma_f64 v[27:28], -v[23:24], v[25:26], 1.0
	s_delay_alu instid0(VALU_DEP_1) | instskip(NEXT) | instid1(VALU_DEP_1)
	v_fma_f64 v[25:26], v[27:28], v[25:26], v[25:26]
	v_fma_f64 v[27:28], -v[23:24], v[25:26], 1.0
	s_delay_alu instid0(VALU_DEP_1) | instskip(SKIP_1) | instid1(VALU_DEP_1)
	v_fma_f64 v[25:26], v[27:28], v[25:26], v[25:26]
	v_add_f64 v[27:28], v[23:24], -1.0
	v_add_f64 v[27:28], v[21:22], -v[27:28]
	v_add_f64 v[21:22], v[21:22], -1.0
	s_delay_alu instid0(VALU_DEP_1) | instskip(NEXT) | instid1(VALU_DEP_1)
	v_mul_f64 v[29:30], v[21:22], v[25:26]
	v_mul_f64 v[31:32], v[23:24], v[29:30]
	s_delay_alu instid0(VALU_DEP_1) | instskip(NEXT) | instid1(VALU_DEP_1)
	v_fma_f64 v[23:24], v[29:30], v[23:24], -v[31:32]
	v_fma_f64 v[23:24], v[29:30], v[27:28], v[23:24]
	s_delay_alu instid0(VALU_DEP_1) | instskip(NEXT) | instid1(VALU_DEP_1)
	v_add_f64 v[27:28], v[31:32], v[23:24]
	v_add_f64 v[31:32], v[27:28], -v[31:32]
	s_delay_alu instid0(VALU_DEP_1) | instskip(SKIP_1) | instid1(VALU_DEP_1)
	v_add_f64 v[23:24], v[31:32], -v[23:24]
	v_add_f64 v[31:32], v[21:22], -v[27:28]
	;; [unrolled: 1-line block ×3, first 2 shown]
	s_delay_alu instid0(VALU_DEP_1) | instskip(NEXT) | instid1(VALU_DEP_1)
	v_add_f64 v[21:22], v[21:22], -v[27:28]
	v_add_f64 v[21:22], v[23:24], v[21:22]
	v_cvt_f64_i32_e32 v[23:24], v10
	s_delay_alu instid0(VALU_DEP_2) | instskip(NEXT) | instid1(VALU_DEP_1)
	v_add_f64 v[21:22], v[31:32], v[21:22]
	v_mul_f64 v[21:22], v[25:26], v[21:22]
	s_delay_alu instid0(VALU_DEP_3) | instskip(NEXT) | instid1(VALU_DEP_1)
	v_mul_f64 v[25:26], v[23:24], s[28:29]
	v_fma_f64 v[27:28], v[23:24], s[28:29], -v[25:26]
	s_delay_alu instid0(VALU_DEP_1) | instskip(NEXT) | instid1(VALU_DEP_4)
	v_fma_f64 v[23:24], v[23:24], s[30:31], v[27:28]
	v_add_f64 v[27:28], v[29:30], v[21:22]
	s_delay_alu instid0(VALU_DEP_1) | instskip(NEXT) | instid1(VALU_DEP_1)
	v_add_f64 v[29:30], v[27:28], -v[29:30]
	v_add_f64 v[21:22], v[21:22], -v[29:30]
	v_mul_f64 v[29:30], v[27:28], v[27:28]
	s_delay_alu instid0(VALU_DEP_2) | instskip(NEXT) | instid1(VALU_DEP_2)
	v_ldexp_f64 v[21:22], v[21:22], 1
	v_fma_f64 v[31:32], v[29:30], s[18:19], s[16:17]
	s_delay_alu instid0(VALU_DEP_1) | instskip(NEXT) | instid1(VALU_DEP_1)
	v_fma_f64 v[31:32], v[29:30], v[31:32], s[20:21]
	v_fma_f64 v[31:32], v[29:30], v[31:32], s[22:23]
	s_delay_alu instid0(VALU_DEP_1) | instskip(NEXT) | instid1(VALU_DEP_1)
	v_fma_f64 v[31:32], v[29:30], v[31:32], s[24:25]
	v_fma_f64 v[31:32], v[29:30], v[31:32], s[26:27]
	s_delay_alu instid0(VALU_DEP_1) | instskip(SKIP_2) | instid1(VALU_DEP_2)
	v_fma_f64 v[31:32], v[29:30], v[31:32], s[14:15]
	v_mul_f64 v[29:30], v[27:28], v[29:30]
	v_ldexp_f64 v[27:28], v[27:28], 1
	v_mul_f64 v[29:30], v[29:30], v[31:32]
	s_delay_alu instid0(VALU_DEP_1) | instskip(NEXT) | instid1(VALU_DEP_1)
	v_add_f64 v[31:32], v[27:28], v[29:30]
	v_add_f64 v[27:28], v[31:32], -v[27:28]
	s_delay_alu instid0(VALU_DEP_1) | instskip(NEXT) | instid1(VALU_DEP_1)
	v_add_f64 v[27:28], v[29:30], -v[27:28]
	v_add_f64 v[21:22], v[21:22], v[27:28]
	v_add_f64 v[27:28], v[25:26], v[23:24]
	s_delay_alu instid0(VALU_DEP_1) | instskip(NEXT) | instid1(VALU_DEP_1)
	v_add_f64 v[25:26], v[27:28], -v[25:26]
	v_add_f64 v[23:24], v[23:24], -v[25:26]
	s_delay_alu instid0(VALU_DEP_4) | instskip(NEXT) | instid1(VALU_DEP_1)
	v_add_f64 v[25:26], v[31:32], v[21:22]
	v_add_f64 v[29:30], v[25:26], -v[31:32]
	v_add_f64 v[31:32], v[27:28], v[25:26]
	s_delay_alu instid0(VALU_DEP_2) | instskip(NEXT) | instid1(VALU_DEP_2)
	v_add_f64 v[21:22], v[21:22], -v[29:30]
	v_add_f64 v[33:34], v[31:32], -v[27:28]
	s_delay_alu instid0(VALU_DEP_1) | instskip(SKIP_1) | instid1(VALU_DEP_1)
	v_add_f64 v[25:26], v[25:26], -v[33:34]
	v_add_f64 v[33:34], v[31:32], -v[33:34]
	;; [unrolled: 1-line block ×3, first 2 shown]
	s_delay_alu instid0(VALU_DEP_1) | instskip(SKIP_1) | instid1(VALU_DEP_1)
	v_add_f64 v[25:26], v[25:26], v[27:28]
	v_add_f64 v[27:28], v[23:24], v[21:22]
	v_add_f64 v[29:30], v[27:28], -v[23:24]
	s_delay_alu instid0(VALU_DEP_3) | instskip(NEXT) | instid1(VALU_DEP_2)
	v_add_f64 v[25:26], v[27:28], v[25:26]
	v_add_f64 v[21:22], v[21:22], -v[29:30]
	v_add_f64 v[29:30], v[27:28], -v[29:30]
	s_delay_alu instid0(VALU_DEP_1) | instskip(NEXT) | instid1(VALU_DEP_1)
	v_add_f64 v[23:24], v[23:24], -v[29:30]
	v_add_f64 v[21:22], v[21:22], v[23:24]
	v_add_f64 v[23:24], v[31:32], v[25:26]
	s_delay_alu instid0(VALU_DEP_1) | instskip(NEXT) | instid1(VALU_DEP_1)
	v_add_f64 v[27:28], v[23:24], -v[31:32]
	v_add_f64 v[25:26], v[25:26], -v[27:28]
	s_delay_alu instid0(VALU_DEP_1) | instskip(NEXT) | instid1(VALU_DEP_1)
	v_add_f64 v[21:22], v[21:22], v[25:26]
	v_add_f64 v[21:22], v[23:24], v[21:22]
	s_delay_alu instid0(VALU_DEP_1) | instskip(SKIP_1) | instid1(VALU_DEP_2)
	v_dual_cndmask_b32 v10, v21, v19 :: v_dual_cndmask_b32 v15, v22, v20
	v_fract_f64_e32 v[19:20], v[5:6]
	v_cndmask_b32_e64 v21, 0, v10, s2
	s_delay_alu instid0(VALU_DEP_3) | instskip(SKIP_1) | instid1(VALU_DEP_2)
	v_cndmask_b32_e64 v22, 0xfff00000, v15, s2
	v_cmp_class_f64_e64 s2, v[5:6], 0x204
	v_add_f64 v[17:18], v[21:22], -v[17:18]
	v_cmp_eq_f64_e32 vcc_lo, 0, v[19:20]
	s_delay_alu instid0(VALU_DEP_3)
	s_or_b32 s2, s2, vcc_lo
	s_delay_alu instid0(VALU_DEP_2) | instid1(SALU_CYCLE_1)
	v_cndmask_b32_e64 v18, v18, 0x7ff00000, s2
	s_delay_alu instid0(VALU_DEP_3)
	v_cndmask_b32_e64 v17, v17, 0, s2
.LBB8_38:                               ;   in Loop: Header=BB8_5 Depth=1
	s_or_b32 exec_lo, exec_lo, s73
.LBB8_39:                               ;   in Loop: Header=BB8_5 Depth=1
	s_delay_alu instid0(SALU_CYCLE_1) | instskip(SKIP_2) | instid1(VALU_DEP_1)
	s_or_b32 exec_lo, exec_lo, s3
	v_dual_mov_b32 v19, v7 :: v_dual_and_b32 v20, 0x7fffffff, v8
                                        ; implicit-def: $vgpr21_vgpr22
	s_mov_b32 s2, exec_lo
	v_cmpx_lt_u32_e32 0x3f6fffff, v20
	s_xor_b32 s73, exec_lo, s2
	s_cbranch_execz .LBB8_65
; %bb.40:                               ;   in Loop: Header=BB8_5 Depth=1
                                        ; implicit-def: $vgpr21_vgpr22
	s_mov_b32 s2, exec_lo
	v_cmpx_lt_u32_e32 0x3fffffff, v20
	s_xor_b32 s74, exec_lo, s2
	s_cbranch_execz .LBB8_50
; %bb.41:                               ;   in Loop: Header=BB8_5 Depth=1
	;; [unrolled: 6-line block ×4, first 2 shown]
	v_frexp_mant_f64_e64 v[21:22], |v[7:8]|
	s_mov_b32 s15, s69
	v_cmp_neq_f64_e64 s2, 0, v[7:8]
	s_delay_alu instid0(VALU_DEP_2) | instskip(SKIP_1) | instid1(VALU_DEP_1)
	v_cmp_gt_f64_e32 vcc_lo, s[68:69], v[21:22]
	v_cndmask_b32_e64 v10, 0x3ff00000, 2.0, vcc_lo
	v_mul_f64 v[21:22], v[21:22], v[9:10]
	v_frexp_exp_i32_f64_e32 v10, v[7:8]
	s_delay_alu instid0(VALU_DEP_2) | instskip(NEXT) | instid1(VALU_DEP_2)
	v_add_f64 v[23:24], v[21:22], 1.0
	v_subrev_co_ci_u32_e32 v10, vcc_lo, 0, v10, vcc_lo
	v_cmp_class_f64_e64 vcc_lo, v[7:8], 0x204
	s_delay_alu instid0(VALU_DEP_3) | instskip(SKIP_2) | instid1(VALU_DEP_1)
	v_rcp_f64_e32 v[25:26], v[23:24]
	s_waitcnt_depctr 0xfff
	v_fma_f64 v[27:28], -v[23:24], v[25:26], 1.0
	v_fma_f64 v[25:26], v[27:28], v[25:26], v[25:26]
	s_delay_alu instid0(VALU_DEP_1) | instskip(NEXT) | instid1(VALU_DEP_1)
	v_fma_f64 v[27:28], -v[23:24], v[25:26], 1.0
	v_fma_f64 v[25:26], v[27:28], v[25:26], v[25:26]
	v_add_f64 v[27:28], v[23:24], -1.0
	s_delay_alu instid0(VALU_DEP_1) | instskip(SKIP_1) | instid1(VALU_DEP_1)
	v_add_f64 v[27:28], v[21:22], -v[27:28]
	v_add_f64 v[21:22], v[21:22], -1.0
	v_mul_f64 v[29:30], v[21:22], v[25:26]
	s_delay_alu instid0(VALU_DEP_1) | instskip(NEXT) | instid1(VALU_DEP_1)
	v_mul_f64 v[31:32], v[23:24], v[29:30]
	v_fma_f64 v[23:24], v[29:30], v[23:24], -v[31:32]
	s_delay_alu instid0(VALU_DEP_1) | instskip(NEXT) | instid1(VALU_DEP_1)
	v_fma_f64 v[23:24], v[29:30], v[27:28], v[23:24]
	v_add_f64 v[27:28], v[31:32], v[23:24]
	s_delay_alu instid0(VALU_DEP_1) | instskip(NEXT) | instid1(VALU_DEP_1)
	v_add_f64 v[31:32], v[27:28], -v[31:32]
	v_add_f64 v[23:24], v[31:32], -v[23:24]
	;; [unrolled: 1-line block ×3, first 2 shown]
	s_delay_alu instid0(VALU_DEP_1) | instskip(NEXT) | instid1(VALU_DEP_1)
	v_add_f64 v[21:22], v[21:22], -v[31:32]
	v_add_f64 v[21:22], v[21:22], -v[27:28]
	s_delay_alu instid0(VALU_DEP_1) | instskip(SKIP_1) | instid1(VALU_DEP_2)
	v_add_f64 v[21:22], v[23:24], v[21:22]
	v_cvt_f64_i32_e32 v[23:24], v10
	v_add_f64 v[21:22], v[31:32], v[21:22]
	s_delay_alu instid0(VALU_DEP_1) | instskip(NEXT) | instid1(VALU_DEP_3)
	v_mul_f64 v[21:22], v[25:26], v[21:22]
	v_mul_f64 v[25:26], v[23:24], s[28:29]
	s_delay_alu instid0(VALU_DEP_1) | instskip(NEXT) | instid1(VALU_DEP_1)
	v_fma_f64 v[27:28], v[23:24], s[28:29], -v[25:26]
	v_fma_f64 v[23:24], v[23:24], s[30:31], v[27:28]
	s_delay_alu instid0(VALU_DEP_4) | instskip(NEXT) | instid1(VALU_DEP_1)
	v_add_f64 v[27:28], v[29:30], v[21:22]
	v_add_f64 v[29:30], v[27:28], -v[29:30]
	s_delay_alu instid0(VALU_DEP_1) | instskip(SKIP_1) | instid1(VALU_DEP_2)
	v_add_f64 v[21:22], v[21:22], -v[29:30]
	v_mul_f64 v[29:30], v[27:28], v[27:28]
	v_ldexp_f64 v[21:22], v[21:22], 1
	s_delay_alu instid0(VALU_DEP_2) | instskip(NEXT) | instid1(VALU_DEP_1)
	v_fma_f64 v[31:32], v[29:30], s[18:19], s[16:17]
	v_fma_f64 v[31:32], v[29:30], v[31:32], s[20:21]
	s_delay_alu instid0(VALU_DEP_1) | instskip(NEXT) | instid1(VALU_DEP_1)
	v_fma_f64 v[31:32], v[29:30], v[31:32], s[22:23]
	v_fma_f64 v[31:32], v[29:30], v[31:32], s[24:25]
	s_delay_alu instid0(VALU_DEP_1) | instskip(NEXT) | instid1(VALU_DEP_1)
	v_fma_f64 v[31:32], v[29:30], v[31:32], s[26:27]
	v_fma_f64 v[31:32], v[29:30], v[31:32], s[14:15]
	v_mul_f64 v[29:30], v[27:28], v[29:30]
	v_ldexp_f64 v[27:28], v[27:28], 1
	s_delay_alu instid0(VALU_DEP_2) | instskip(NEXT) | instid1(VALU_DEP_1)
	v_mul_f64 v[29:30], v[29:30], v[31:32]
	v_add_f64 v[31:32], v[27:28], v[29:30]
	s_delay_alu instid0(VALU_DEP_1) | instskip(NEXT) | instid1(VALU_DEP_1)
	v_add_f64 v[27:28], v[31:32], -v[27:28]
	v_add_f64 v[27:28], v[29:30], -v[27:28]
	s_delay_alu instid0(VALU_DEP_1) | instskip(SKIP_1) | instid1(VALU_DEP_1)
	v_add_f64 v[21:22], v[21:22], v[27:28]
	v_add_f64 v[27:28], v[25:26], v[23:24]
	v_add_f64 v[25:26], v[27:28], -v[25:26]
	s_delay_alu instid0(VALU_DEP_1) | instskip(NEXT) | instid1(VALU_DEP_4)
	v_add_f64 v[23:24], v[23:24], -v[25:26]
	v_add_f64 v[25:26], v[31:32], v[21:22]
	s_delay_alu instid0(VALU_DEP_1) | instskip(SKIP_1) | instid1(VALU_DEP_2)
	v_add_f64 v[29:30], v[25:26], -v[31:32]
	v_add_f64 v[31:32], v[27:28], v[25:26]
	v_add_f64 v[21:22], v[21:22], -v[29:30]
	s_delay_alu instid0(VALU_DEP_2) | instskip(NEXT) | instid1(VALU_DEP_1)
	v_add_f64 v[33:34], v[31:32], -v[27:28]
	v_add_f64 v[25:26], v[25:26], -v[33:34]
	;; [unrolled: 1-line block ×3, first 2 shown]
	s_delay_alu instid0(VALU_DEP_1) | instskip(NEXT) | instid1(VALU_DEP_1)
	v_add_f64 v[27:28], v[27:28], -v[33:34]
	v_add_f64 v[25:26], v[25:26], v[27:28]
	v_add_f64 v[27:28], v[23:24], v[21:22]
	s_delay_alu instid0(VALU_DEP_1) | instskip(NEXT) | instid1(VALU_DEP_3)
	v_add_f64 v[29:30], v[27:28], -v[23:24]
	v_add_f64 v[25:26], v[27:28], v[25:26]
	s_delay_alu instid0(VALU_DEP_2) | instskip(SKIP_1) | instid1(VALU_DEP_1)
	v_add_f64 v[21:22], v[21:22], -v[29:30]
	v_add_f64 v[29:30], v[27:28], -v[29:30]
	;; [unrolled: 1-line block ×3, first 2 shown]
	s_delay_alu instid0(VALU_DEP_1) | instskip(SKIP_1) | instid1(VALU_DEP_1)
	v_add_f64 v[21:22], v[21:22], v[23:24]
	v_add_f64 v[23:24], v[31:32], v[25:26]
	v_add_f64 v[27:28], v[23:24], -v[31:32]
	s_delay_alu instid0(VALU_DEP_1) | instskip(NEXT) | instid1(VALU_DEP_1)
	v_add_f64 v[25:26], v[25:26], -v[27:28]
	v_add_f64 v[21:22], v[21:22], v[25:26]
	s_delay_alu instid0(VALU_DEP_1) | instskip(NEXT) | instid1(VALU_DEP_1)
	v_add_f64 v[21:22], v[23:24], v[21:22]
	v_dual_cndmask_b32 v15, v21, v7 :: v_dual_and_b32 v10, 0x7fffffff, v8
	s_delay_alu instid0(VALU_DEP_1) | instskip(NEXT) | instid1(VALU_DEP_2)
	v_cndmask_b32_e32 v10, v22, v10, vcc_lo
	v_cndmask_b32_e64 v21, 0, v15, s2
	s_delay_alu instid0(VALU_DEP_2) | instskip(NEXT) | instid1(VALU_DEP_1)
	v_cndmask_b32_e64 v22, 0xfff00000, v10, s2
	v_fma_f64 v[21:22], |v[7:8]|, v[21:22], -|v[7:8]|
.LBB8_44:                               ;   in Loop: Header=BB8_5 Depth=1
	s_and_not1_saveexec_b32 s2, s75
	s_cbranch_execz .LBB8_46
; %bb.45:                               ;   in Loop: Header=BB8_5 Depth=1
	v_dual_mov_b32 v21, v7 :: v_dual_and_b32 v22, 0x7fffffff, v8
	s_mov_b32 s15, s69
	s_mov_b32 s76, 0x4cdad5d1
	;; [unrolled: 1-line block ×4, first 2 shown]
	v_div_scale_f64 v[23:24], null, v[21:22], v[21:22], 1.0
	s_mov_b32 s79, 0xbf5ab89d
	s_delay_alu instid0(VALU_DEP_1) | instskip(SKIP_2) | instid1(VALU_DEP_1)
	v_rcp_f64_e32 v[25:26], v[23:24]
	s_waitcnt_depctr 0xfff
	v_fma_f64 v[27:28], -v[23:24], v[25:26], 1.0
	v_fma_f64 v[25:26], v[25:26], v[27:28], v[25:26]
	s_delay_alu instid0(VALU_DEP_1) | instskip(NEXT) | instid1(VALU_DEP_1)
	v_fma_f64 v[27:28], -v[23:24], v[25:26], 1.0
	v_fma_f64 v[25:26], v[25:26], v[27:28], v[25:26]
	v_div_scale_f64 v[27:28], vcc_lo, 1.0, v[21:22], 1.0
	s_delay_alu instid0(VALU_DEP_1) | instskip(NEXT) | instid1(VALU_DEP_1)
	v_mul_f64 v[29:30], v[27:28], v[25:26]
	v_fma_f64 v[23:24], -v[23:24], v[29:30], v[27:28]
	s_delay_alu instid0(VALU_DEP_1) | instskip(SKIP_1) | instid1(VALU_DEP_2)
	v_div_fmas_f64 v[23:24], v[23:24], v[25:26], v[29:30]
	v_frexp_mant_f64_e64 v[25:26], |v[7:8]|
	v_div_fixup_f64 v[23:24], v[23:24], |v[7:8]|, 1.0
	s_delay_alu instid0(VALU_DEP_2) | instskip(SKIP_1) | instid1(VALU_DEP_1)
	v_cmp_gt_f64_e32 vcc_lo, s[68:69], v[25:26]
	v_cndmask_b32_e64 v10, 0x3ff00000, 2.0, vcc_lo
	v_mul_f64 v[25:26], v[25:26], v[9:10]
	v_frexp_exp_i32_f64_e32 v10, v[7:8]
	s_delay_alu instid0(VALU_DEP_2) | instskip(NEXT) | instid1(VALU_DEP_2)
	v_add_f64 v[27:28], v[25:26], 1.0
	v_subrev_co_ci_u32_e32 v10, vcc_lo, 0, v10, vcc_lo
	v_cmp_class_f64_e64 vcc_lo, v[7:8], 0x204
	s_delay_alu instid0(VALU_DEP_3) | instskip(SKIP_2) | instid1(VALU_DEP_1)
	v_rcp_f64_e32 v[29:30], v[27:28]
	s_waitcnt_depctr 0xfff
	v_fma_f64 v[31:32], -v[27:28], v[29:30], 1.0
	v_fma_f64 v[29:30], v[31:32], v[29:30], v[29:30]
	s_delay_alu instid0(VALU_DEP_1) | instskip(NEXT) | instid1(VALU_DEP_1)
	v_fma_f64 v[31:32], -v[27:28], v[29:30], 1.0
	v_fma_f64 v[29:30], v[31:32], v[29:30], v[29:30]
	v_add_f64 v[31:32], v[27:28], -1.0
	s_delay_alu instid0(VALU_DEP_1) | instskip(SKIP_1) | instid1(VALU_DEP_1)
	v_add_f64 v[31:32], v[25:26], -v[31:32]
	v_add_f64 v[25:26], v[25:26], -1.0
	v_mul_f64 v[33:34], v[25:26], v[29:30]
	s_delay_alu instid0(VALU_DEP_1) | instskip(NEXT) | instid1(VALU_DEP_1)
	v_mul_f64 v[35:36], v[27:28], v[33:34]
	v_fma_f64 v[27:28], v[33:34], v[27:28], -v[35:36]
	s_delay_alu instid0(VALU_DEP_1) | instskip(NEXT) | instid1(VALU_DEP_1)
	v_fma_f64 v[27:28], v[33:34], v[31:32], v[27:28]
	v_add_f64 v[31:32], v[35:36], v[27:28]
	s_delay_alu instid0(VALU_DEP_1) | instskip(NEXT) | instid1(VALU_DEP_1)
	v_add_f64 v[35:36], v[31:32], -v[35:36]
	v_add_f64 v[27:28], v[35:36], -v[27:28]
	;; [unrolled: 1-line block ×3, first 2 shown]
	s_delay_alu instid0(VALU_DEP_1) | instskip(NEXT) | instid1(VALU_DEP_1)
	v_add_f64 v[25:26], v[25:26], -v[35:36]
	v_add_f64 v[25:26], v[25:26], -v[31:32]
	s_delay_alu instid0(VALU_DEP_1) | instskip(SKIP_1) | instid1(VALU_DEP_2)
	v_add_f64 v[25:26], v[27:28], v[25:26]
	v_cvt_f64_i32_e32 v[27:28], v10
	v_add_f64 v[25:26], v[35:36], v[25:26]
	s_delay_alu instid0(VALU_DEP_1) | instskip(NEXT) | instid1(VALU_DEP_3)
	v_mul_f64 v[25:26], v[29:30], v[25:26]
	v_mul_f64 v[29:30], v[27:28], s[28:29]
	s_delay_alu instid0(VALU_DEP_1) | instskip(NEXT) | instid1(VALU_DEP_1)
	v_fma_f64 v[31:32], v[27:28], s[28:29], -v[29:30]
	v_fma_f64 v[27:28], v[27:28], s[30:31], v[31:32]
	s_delay_alu instid0(VALU_DEP_4) | instskip(NEXT) | instid1(VALU_DEP_1)
	v_add_f64 v[31:32], v[33:34], v[25:26]
	v_add_f64 v[33:34], v[31:32], -v[33:34]
	s_delay_alu instid0(VALU_DEP_1) | instskip(SKIP_1) | instid1(VALU_DEP_2)
	v_add_f64 v[25:26], v[25:26], -v[33:34]
	v_mul_f64 v[33:34], v[31:32], v[31:32]
	v_ldexp_f64 v[25:26], v[25:26], 1
	s_delay_alu instid0(VALU_DEP_2) | instskip(NEXT) | instid1(VALU_DEP_1)
	v_fma_f64 v[35:36], v[33:34], s[18:19], s[16:17]
	v_fma_f64 v[35:36], v[33:34], v[35:36], s[20:21]
	s_delay_alu instid0(VALU_DEP_1) | instskip(NEXT) | instid1(VALU_DEP_1)
	v_fma_f64 v[35:36], v[33:34], v[35:36], s[22:23]
	v_fma_f64 v[35:36], v[33:34], v[35:36], s[24:25]
	s_delay_alu instid0(VALU_DEP_1) | instskip(NEXT) | instid1(VALU_DEP_1)
	v_fma_f64 v[35:36], v[33:34], v[35:36], s[26:27]
	v_fma_f64 v[35:36], v[33:34], v[35:36], s[14:15]
	v_mul_f64 v[33:34], v[31:32], v[33:34]
	v_ldexp_f64 v[31:32], v[31:32], 1
	s_delay_alu instid0(VALU_DEP_2) | instskip(NEXT) | instid1(VALU_DEP_1)
	v_mul_f64 v[33:34], v[33:34], v[35:36]
	v_add_f64 v[35:36], v[31:32], v[33:34]
	s_delay_alu instid0(VALU_DEP_1) | instskip(NEXT) | instid1(VALU_DEP_1)
	v_add_f64 v[31:32], v[35:36], -v[31:32]
	v_add_f64 v[31:32], v[33:34], -v[31:32]
	s_delay_alu instid0(VALU_DEP_1) | instskip(SKIP_1) | instid1(VALU_DEP_1)
	v_add_f64 v[25:26], v[25:26], v[31:32]
	v_add_f64 v[31:32], v[29:30], v[27:28]
	v_add_f64 v[29:30], v[31:32], -v[29:30]
	s_delay_alu instid0(VALU_DEP_1) | instskip(NEXT) | instid1(VALU_DEP_4)
	v_add_f64 v[27:28], v[27:28], -v[29:30]
	v_add_f64 v[29:30], v[35:36], v[25:26]
	s_delay_alu instid0(VALU_DEP_1) | instskip(SKIP_1) | instid1(VALU_DEP_2)
	v_add_f64 v[33:34], v[29:30], -v[35:36]
	v_add_f64 v[35:36], v[31:32], v[29:30]
	v_add_f64 v[25:26], v[25:26], -v[33:34]
	s_delay_alu instid0(VALU_DEP_2) | instskip(NEXT) | instid1(VALU_DEP_1)
	v_add_f64 v[37:38], v[35:36], -v[31:32]
	v_add_f64 v[29:30], v[29:30], -v[37:38]
	;; [unrolled: 1-line block ×3, first 2 shown]
	s_delay_alu instid0(VALU_DEP_1) | instskip(NEXT) | instid1(VALU_DEP_1)
	v_add_f64 v[31:32], v[31:32], -v[37:38]
	v_add_f64 v[29:30], v[29:30], v[31:32]
	v_add_f64 v[31:32], v[27:28], v[25:26]
	s_delay_alu instid0(VALU_DEP_1) | instskip(NEXT) | instid1(VALU_DEP_3)
	v_add_f64 v[33:34], v[31:32], -v[27:28]
	v_add_f64 v[29:30], v[31:32], v[29:30]
	s_delay_alu instid0(VALU_DEP_2) | instskip(SKIP_1) | instid1(VALU_DEP_1)
	v_add_f64 v[25:26], v[25:26], -v[33:34]
	v_add_f64 v[33:34], v[31:32], -v[33:34]
	;; [unrolled: 1-line block ×3, first 2 shown]
	s_delay_alu instid0(VALU_DEP_1) | instskip(SKIP_1) | instid1(VALU_DEP_1)
	v_add_f64 v[25:26], v[25:26], v[27:28]
	v_add_f64 v[27:28], v[35:36], v[29:30]
	v_add_f64 v[31:32], v[27:28], -v[35:36]
	s_delay_alu instid0(VALU_DEP_1) | instskip(NEXT) | instid1(VALU_DEP_1)
	v_add_f64 v[29:30], v[29:30], -v[31:32]
	v_add_f64 v[25:26], v[25:26], v[29:30]
	s_delay_alu instid0(VALU_DEP_1) | instskip(NEXT) | instid1(VALU_DEP_1)
	v_add_f64 v[25:26], v[27:28], v[25:26]
	v_dual_cndmask_b32 v22, v26, v22 :: v_dual_cndmask_b32 v21, v25, v21
	v_mul_f64 v[25:26], v[23:24], v[23:24]
	v_cmp_neq_f64_e32 vcc_lo, 0, v[7:8]
	s_delay_alu instid0(VALU_DEP_3) | instskip(NEXT) | instid1(VALU_DEP_3)
	v_add_f64 v[21:22], v[21:22], -1.0
	v_fma_f64 v[27:28], v[25:26], s[78:79], s[76:77]
	s_mov_b32 s76, 0x8c0fe741
	s_mov_b32 s77, 0xbf4380cb
	;; [unrolled: 1-line block ×3, first 2 shown]
	s_delay_alu instid0(VALU_DEP_2) | instskip(NEXT) | instid1(VALU_DEP_3)
	v_cndmask_b32_e32 v22, 0xfff00000, v22, vcc_lo
	v_cndmask_b32_e32 v21, 0, v21, vcc_lo
	s_mov_b32 s79, 0x3f00bfec
	s_delay_alu instid0(VALU_DEP_3)
	v_fma_f64 v[27:28], v[25:26], v[27:28], s[76:77]
	s_mov_b32 s76, 0x98cf38b6
	s_mov_b32 s77, 0x3f4a019f
	s_delay_alu instid0(VALU_DEP_1) | instid1(SALU_CYCLE_1)
	v_fma_f64 v[27:28], v[25:26], v[27:28], s[76:77]
	s_mov_b32 s76, 0x16b02e5c
	s_mov_b32 s77, 0xbf66c16c
	s_delay_alu instid0(VALU_DEP_1) | instid1(SALU_CYCLE_1)
	;; [unrolled: 4-line block ×4, first 2 shown]
	v_fma_f64 v[23:24], v[23:24], v[25:26], s[76:77]
	v_add_f64 v[25:26], |v[7:8]|, -0.5
	s_mov_b32 s76, 0x7368f239
	s_mov_b32 s77, 0x3f5e26b6
	s_delay_alu instid0(VALU_DEP_1)
	v_fma_f64 v[21:22], v[25:26], v[21:22], v[23:24]
.LBB8_46:                               ;   in Loop: Header=BB8_5 Depth=1
	s_or_b32 exec_lo, exec_lo, s2
.LBB8_47:                               ;   in Loop: Header=BB8_5 Depth=1
	s_and_not1_saveexec_b32 s75, s3
	s_cbranch_execz .LBB8_49
; %bb.48:                               ;   in Loop: Header=BB8_5 Depth=1
	v_cvt_i32_f64_e32 v10, v[19:20]
	s_mov_b32 s2, 0x7e939961
	s_mov_b32 s3, 0x3f9b481c
	;; [unrolled: 1-line block ×4, first 2 shown]
	s_mov_b32 vcc_lo, s60
	s_mov_b32 s15, s69
	s_delay_alu instid0(VALU_DEP_1) | instskip(NEXT) | instid1(VALU_DEP_1)
	v_cvt_f64_i32_e32 v[21:22], v10
	v_add_f64 v[21:22], |v[7:8]|, -v[21:22]
	s_delay_alu instid0(VALU_DEP_1) | instskip(NEXT) | instid1(VALU_DEP_1)
	v_fma_f64 v[23:24], v[21:22], s[78:79], s[76:77]
	v_fma_f64 v[23:24], v[21:22], v[23:24], s[2:3]
	s_mov_b32 s2, 0xca41a95b
	s_mov_b32 s3, 0x3f497dda
	s_delay_alu instid0(SALU_CYCLE_1)
	v_fma_f64 v[25:26], v[21:22], s[80:81], s[2:3]
	s_mov_b32 s2, 0x742ed475
	s_mov_b32 s3, 0x3f9317ea
	s_delay_alu instid0(VALU_DEP_1) | instid1(SALU_CYCLE_1)
	v_fma_f64 v[25:26], v[21:22], v[25:26], s[2:3]
	s_mov_b32 s2, 0xbee5f2f7
	s_mov_b32 s3, 0x3fc2bb9c
	s_delay_alu instid0(VALU_DEP_3) | instid1(SALU_CYCLE_1)
	v_fma_f64 v[23:24], v[21:22], v[23:24], s[2:3]
	s_mov_b32 s2, 0xccfbdf27
	s_mov_b32 s3, 0x3fc601ed
	s_delay_alu instid0(VALU_DEP_2) | instid1(SALU_CYCLE_1)
	v_fma_f64 v[25:26], v[21:22], v[25:26], s[2:3]
	s_mov_b32 s2, 0x4f139f59
	s_mov_b32 s3, 0x3fd4d98f
	s_delay_alu instid0(VALU_DEP_2) | instid1(SALU_CYCLE_1)
	;; [unrolled: 4-line block ×5, first 2 shown]
	v_fma_f64 v[25:26], v[21:22], v[25:26], s[2:3]
	s_delay_alu instid0(VALU_DEP_2) | instskip(NEXT) | instid1(VALU_DEP_2)
	v_fma_f64 v[23:24], v[21:22], v[23:24], vcc
	v_fma_f64 v[25:26], v[21:22], v[25:26], 1.0
	s_delay_alu instid0(VALU_DEP_2) | instskip(NEXT) | instid1(VALU_DEP_1)
	v_mul_f64 v[23:24], v[21:22], v[23:24]
	v_div_scale_f64 v[27:28], null, v[25:26], v[25:26], v[23:24]
	s_delay_alu instid0(VALU_DEP_1) | instskip(SKIP_2) | instid1(VALU_DEP_1)
	v_rcp_f64_e32 v[29:30], v[27:28]
	s_waitcnt_depctr 0xfff
	v_fma_f64 v[31:32], -v[27:28], v[29:30], 1.0
	v_fma_f64 v[29:30], v[29:30], v[31:32], v[29:30]
	s_delay_alu instid0(VALU_DEP_1) | instskip(NEXT) | instid1(VALU_DEP_1)
	v_fma_f64 v[31:32], -v[27:28], v[29:30], 1.0
	v_fma_f64 v[29:30], v[29:30], v[31:32], v[29:30]
	v_div_scale_f64 v[31:32], vcc_lo, v[23:24], v[25:26], v[23:24]
	s_delay_alu instid0(VALU_DEP_1) | instskip(NEXT) | instid1(VALU_DEP_1)
	v_mul_f64 v[33:34], v[31:32], v[29:30]
	v_fma_f64 v[27:28], -v[27:28], v[33:34], v[31:32]
	s_delay_alu instid0(VALU_DEP_1) | instskip(SKIP_1) | instid1(VALU_DEP_2)
	v_div_fmas_f64 v[27:28], v[27:28], v[29:30], v[33:34]
	v_cmp_lt_i32_e32 vcc_lo, 2, v10
	v_div_fixup_f64 v[23:24], v[27:28], v[25:26], v[23:24]
	v_add_f64 v[25:26], v[21:22], 2.0
	v_add_f64 v[27:28], 0x40080000, v[21:22]
	s_delay_alu instid0(VALU_DEP_2) | instskip(NEXT) | instid1(VALU_DEP_3)
	v_cndmask_b32_e32 v26, 0x3ff00000, v26, vcc_lo
	v_cndmask_b32_e32 v25, 0, v25, vcc_lo
	v_cmp_lt_i32_e32 vcc_lo, 3, v10
	s_delay_alu instid0(VALU_DEP_4) | instskip(SKIP_2) | instid1(VALU_DEP_2)
	v_cndmask_b32_e32 v28, 0x3ff00000, v28, vcc_lo
	v_cndmask_b32_e32 v27, 0, v27, vcc_lo
	v_cmp_lt_i32_e32 vcc_lo, 4, v10
	v_mul_f64 v[25:26], v[25:26], v[27:28]
	v_add_f64 v[27:28], v[21:22], 4.0
	s_delay_alu instid0(VALU_DEP_1) | instskip(NEXT) | instid1(VALU_DEP_2)
	v_cndmask_b32_e32 v28, 0x3ff00000, v28, vcc_lo
	v_cndmask_b32_e32 v27, 0, v27, vcc_lo
	v_cmp_lt_i32_e32 vcc_lo, 5, v10
	s_delay_alu instid0(VALU_DEP_2) | instskip(SKIP_1) | instid1(VALU_DEP_1)
	v_mul_f64 v[25:26], v[27:28], v[25:26]
	v_add_f64 v[27:28], 0x40140000, v[21:22]
	v_cndmask_b32_e32 v28, 0x3ff00000, v28, vcc_lo
	s_delay_alu instid0(VALU_DEP_2) | instskip(SKIP_1) | instid1(VALU_DEP_2)
	v_cndmask_b32_e32 v27, 0, v27, vcc_lo
	v_cmp_lt_i32_e32 vcc_lo, 6, v10
	v_mul_f64 v[25:26], v[27:28], v[25:26]
	v_add_f64 v[27:28], 0x40180000, v[21:22]
	v_fma_f64 v[21:22], v[21:22], 0.5, v[23:24]
	s_delay_alu instid0(VALU_DEP_2) | instskip(NEXT) | instid1(VALU_DEP_3)
	v_cndmask_b32_e32 v28, 0x3ff00000, v28, vcc_lo
	v_cndmask_b32_e32 v27, 0, v27, vcc_lo
	s_delay_alu instid0(VALU_DEP_1) | instskip(NEXT) | instid1(VALU_DEP_1)
	v_mul_f64 v[25:26], v[27:28], v[25:26]
	v_frexp_mant_f64_e32 v[27:28], v[25:26]
	v_cmp_nge_f64_e64 s2, 0, v[25:26]
	v_cmp_neq_f64_e64 s3, 0, v[25:26]
	s_delay_alu instid0(VALU_DEP_3) | instskip(SKIP_1) | instid1(VALU_DEP_1)
	v_cmp_gt_f64_e32 vcc_lo, s[68:69], v[27:28]
	v_cndmask_b32_e64 v10, 0x3ff00000, 2.0, vcc_lo
	v_mul_f64 v[27:28], v[27:28], v[9:10]
	v_frexp_exp_i32_f64_e32 v10, v[25:26]
	s_delay_alu instid0(VALU_DEP_2) | instskip(NEXT) | instid1(VALU_DEP_2)
	v_add_f64 v[29:30], v[27:28], 1.0
	v_subrev_co_ci_u32_e32 v10, vcc_lo, 0, v10, vcc_lo
	v_cmp_class_f64_e64 vcc_lo, v[25:26], 0x204
	s_delay_alu instid0(VALU_DEP_3) | instskip(SKIP_2) | instid1(VALU_DEP_1)
	v_rcp_f64_e32 v[31:32], v[29:30]
	s_waitcnt_depctr 0xfff
	v_fma_f64 v[33:34], -v[29:30], v[31:32], 1.0
	v_fma_f64 v[31:32], v[33:34], v[31:32], v[31:32]
	s_delay_alu instid0(VALU_DEP_1) | instskip(NEXT) | instid1(VALU_DEP_1)
	v_fma_f64 v[33:34], -v[29:30], v[31:32], 1.0
	v_fma_f64 v[31:32], v[33:34], v[31:32], v[31:32]
	v_add_f64 v[33:34], v[29:30], -1.0
	s_delay_alu instid0(VALU_DEP_1) | instskip(SKIP_1) | instid1(VALU_DEP_1)
	v_add_f64 v[33:34], v[27:28], -v[33:34]
	v_add_f64 v[27:28], v[27:28], -1.0
	v_mul_f64 v[35:36], v[27:28], v[31:32]
	s_delay_alu instid0(VALU_DEP_1) | instskip(NEXT) | instid1(VALU_DEP_1)
	v_mul_f64 v[37:38], v[29:30], v[35:36]
	v_fma_f64 v[29:30], v[35:36], v[29:30], -v[37:38]
	s_delay_alu instid0(VALU_DEP_1) | instskip(NEXT) | instid1(VALU_DEP_1)
	v_fma_f64 v[29:30], v[35:36], v[33:34], v[29:30]
	v_add_f64 v[33:34], v[37:38], v[29:30]
	s_delay_alu instid0(VALU_DEP_1) | instskip(NEXT) | instid1(VALU_DEP_1)
	v_add_f64 v[37:38], v[33:34], -v[37:38]
	v_add_f64 v[29:30], v[37:38], -v[29:30]
	;; [unrolled: 1-line block ×3, first 2 shown]
	s_delay_alu instid0(VALU_DEP_1) | instskip(NEXT) | instid1(VALU_DEP_1)
	v_add_f64 v[27:28], v[27:28], -v[37:38]
	v_add_f64 v[27:28], v[27:28], -v[33:34]
	s_delay_alu instid0(VALU_DEP_1) | instskip(SKIP_1) | instid1(VALU_DEP_2)
	v_add_f64 v[27:28], v[29:30], v[27:28]
	v_cvt_f64_i32_e32 v[29:30], v10
	v_add_f64 v[27:28], v[37:38], v[27:28]
	s_delay_alu instid0(VALU_DEP_1) | instskip(NEXT) | instid1(VALU_DEP_3)
	v_mul_f64 v[27:28], v[31:32], v[27:28]
	v_mul_f64 v[31:32], v[29:30], s[28:29]
	s_delay_alu instid0(VALU_DEP_1) | instskip(NEXT) | instid1(VALU_DEP_1)
	v_fma_f64 v[33:34], v[29:30], s[28:29], -v[31:32]
	v_fma_f64 v[29:30], v[29:30], s[30:31], v[33:34]
	s_delay_alu instid0(VALU_DEP_4) | instskip(NEXT) | instid1(VALU_DEP_1)
	v_add_f64 v[33:34], v[35:36], v[27:28]
	v_add_f64 v[35:36], v[33:34], -v[35:36]
	s_delay_alu instid0(VALU_DEP_1) | instskip(SKIP_1) | instid1(VALU_DEP_2)
	v_add_f64 v[27:28], v[27:28], -v[35:36]
	v_mul_f64 v[35:36], v[33:34], v[33:34]
	v_ldexp_f64 v[27:28], v[27:28], 1
	s_delay_alu instid0(VALU_DEP_2) | instskip(NEXT) | instid1(VALU_DEP_1)
	v_fma_f64 v[37:38], v[35:36], s[18:19], s[16:17]
	v_fma_f64 v[37:38], v[35:36], v[37:38], s[20:21]
	s_delay_alu instid0(VALU_DEP_1) | instskip(NEXT) | instid1(VALU_DEP_1)
	v_fma_f64 v[37:38], v[35:36], v[37:38], s[22:23]
	v_fma_f64 v[37:38], v[35:36], v[37:38], s[24:25]
	s_delay_alu instid0(VALU_DEP_1) | instskip(NEXT) | instid1(VALU_DEP_1)
	v_fma_f64 v[37:38], v[35:36], v[37:38], s[26:27]
	v_fma_f64 v[37:38], v[35:36], v[37:38], s[14:15]
	v_mul_f64 v[35:36], v[33:34], v[35:36]
	v_ldexp_f64 v[33:34], v[33:34], 1
	s_delay_alu instid0(VALU_DEP_2) | instskip(NEXT) | instid1(VALU_DEP_1)
	v_mul_f64 v[35:36], v[35:36], v[37:38]
	v_add_f64 v[37:38], v[33:34], v[35:36]
	s_delay_alu instid0(VALU_DEP_1) | instskip(NEXT) | instid1(VALU_DEP_1)
	v_add_f64 v[33:34], v[37:38], -v[33:34]
	v_add_f64 v[33:34], v[35:36], -v[33:34]
	s_delay_alu instid0(VALU_DEP_1) | instskip(SKIP_1) | instid1(VALU_DEP_1)
	v_add_f64 v[27:28], v[27:28], v[33:34]
	v_add_f64 v[33:34], v[31:32], v[29:30]
	v_add_f64 v[31:32], v[33:34], -v[31:32]
	s_delay_alu instid0(VALU_DEP_1) | instskip(NEXT) | instid1(VALU_DEP_4)
	v_add_f64 v[29:30], v[29:30], -v[31:32]
	v_add_f64 v[31:32], v[37:38], v[27:28]
	s_delay_alu instid0(VALU_DEP_1) | instskip(SKIP_1) | instid1(VALU_DEP_2)
	v_add_f64 v[35:36], v[31:32], -v[37:38]
	v_add_f64 v[37:38], v[33:34], v[31:32]
	v_add_f64 v[27:28], v[27:28], -v[35:36]
	s_delay_alu instid0(VALU_DEP_2) | instskip(NEXT) | instid1(VALU_DEP_1)
	v_add_f64 v[39:40], v[37:38], -v[33:34]
	v_add_f64 v[31:32], v[31:32], -v[39:40]
	;; [unrolled: 1-line block ×3, first 2 shown]
	s_delay_alu instid0(VALU_DEP_1) | instskip(NEXT) | instid1(VALU_DEP_1)
	v_add_f64 v[33:34], v[33:34], -v[39:40]
	v_add_f64 v[31:32], v[31:32], v[33:34]
	v_add_f64 v[33:34], v[29:30], v[27:28]
	s_delay_alu instid0(VALU_DEP_1) | instskip(NEXT) | instid1(VALU_DEP_3)
	v_add_f64 v[35:36], v[33:34], -v[29:30]
	v_add_f64 v[31:32], v[33:34], v[31:32]
	s_delay_alu instid0(VALU_DEP_2) | instskip(SKIP_1) | instid1(VALU_DEP_1)
	v_add_f64 v[27:28], v[27:28], -v[35:36]
	v_add_f64 v[35:36], v[33:34], -v[35:36]
	;; [unrolled: 1-line block ×3, first 2 shown]
	s_delay_alu instid0(VALU_DEP_1) | instskip(SKIP_1) | instid1(VALU_DEP_1)
	v_add_f64 v[27:28], v[27:28], v[29:30]
	v_add_f64 v[29:30], v[37:38], v[31:32]
	v_add_f64 v[33:34], v[29:30], -v[37:38]
	s_delay_alu instid0(VALU_DEP_1) | instskip(NEXT) | instid1(VALU_DEP_1)
	v_add_f64 v[31:32], v[31:32], -v[33:34]
	v_add_f64 v[27:28], v[27:28], v[31:32]
	s_delay_alu instid0(VALU_DEP_1) | instskip(NEXT) | instid1(VALU_DEP_1)
	v_add_f64 v[27:28], v[29:30], v[27:28]
	v_dual_cndmask_b32 v10, v27, v25 :: v_dual_cndmask_b32 v15, v28, v26
	v_cmp_ngt_f64_e32 vcc_lo, 0, v[25:26]
	s_delay_alu instid0(VALU_DEP_2) | instskip(NEXT) | instid1(VALU_DEP_3)
	v_cndmask_b32_e64 v23, 0, v10, s2
	v_cndmask_b32_e32 v15, 0x7ff80000, v15, vcc_lo
	s_delay_alu instid0(VALU_DEP_1) | instskip(NEXT) | instid1(VALU_DEP_1)
	v_cndmask_b32_e64 v24, 0xfff00000, v15, s3
	v_add_f64 v[21:22], v[21:22], v[23:24]
.LBB8_49:                               ;   in Loop: Header=BB8_5 Depth=1
	s_or_b32 exec_lo, exec_lo, s75
.LBB8_50:                               ;   in Loop: Header=BB8_5 Depth=1
	s_and_not1_saveexec_b32 s74, s74
	s_cbranch_execz .LBB8_64
; %bb.51:                               ;   in Loop: Header=BB8_5 Depth=1
	s_mov_b32 s15, exec_lo
                                        ; implicit-def: $sgpr2_sgpr3
                                        ; implicit-def: $vgpr10
                                        ; implicit-def: $vgpr23_vgpr24
	v_cmpx_lt_u32_e32 0x3feccccc, v20
	s_xor_b32 s15, exec_lo, s15
	s_cbranch_execz .LBB8_53
; %bb.52:                               ;   in Loop: Header=BB8_5 Depth=1
	s_mov_b32 s2, 0x6356be3f
	s_mov_b32 s3, 0xbff762d8
	v_add_f64 v[21:22], -|v[7:8]|, 2.0
	v_add_f64 v[23:24], |v[7:8]|, s[2:3]
	v_add_f64 v[25:26], |v[7:8]|, -1.0
	v_cmp_gt_u32_e32 vcc_lo, 0x3ffbb4c3, v20
	v_cmp_gt_u32_e64 s2, 0x3ff3b4c4, v20
	v_cndmask_b32_e64 v19, 0, 1, vcc_lo
	v_dual_cndmask_b32 v10, v22, v24 :: v_dual_cndmask_b32 v15, v21, v23
	s_delay_alu instid0(VALU_DEP_1) | instskip(NEXT) | instid1(VALU_DEP_2)
	v_cndmask_b32_e64 v24, v10, v26, s2
	v_cndmask_b32_e64 v23, v15, v25, s2
	s_delay_alu instid0(VALU_DEP_4)
	v_cndmask_b32_e64 v10, v19, 2, s2
	s_mov_b64 s[2:3], 0
.LBB8_53:                               ;   in Loop: Header=BB8_5 Depth=1
	s_or_saveexec_b32 s75, s15
	v_dual_mov_b32 v22, s3 :: v_dual_mov_b32 v21, s2
	s_xor_b32 exec_lo, exec_lo, s75
	s_cbranch_execz .LBB8_55
; %bb.54:                               ;   in Loop: Header=BB8_5 Depth=1
	s_mov_b32 s2, 0x8d5af8fc
	s_mov_b32 s3, 0xbfdd8b61
	v_add_f64 v[21:22], -|v[7:8]|, 1.0
	v_add_f64 v[23:24], |v[7:8]|, s[2:3]
	v_cmp_gt_u32_e32 vcc_lo, 0x3fe76944, v20
	s_mov_b32 s15, s69
	v_cmp_gt_u32_e64 s3, 0x3fcda661, v20
	s_delay_alu instid0(VALU_DEP_3) | instskip(NEXT) | instid1(VALU_DEP_4)
	v_cndmask_b32_e32 v15, v21, v23, vcc_lo
	v_cndmask_b32_e32 v19, v22, v24, vcc_lo
	v_frexp_mant_f64_e64 v[21:22], |v[7:8]|
	s_delay_alu instid0(VALU_DEP_1) | instskip(NEXT) | instid1(VALU_DEP_1)
	v_cmp_gt_f64_e64 s2, s[68:69], v[21:22]
	v_cndmask_b32_e64 v10, 0x3ff00000, 2.0, s2
	s_delay_alu instid0(VALU_DEP_1) | instskip(SKIP_1) | instid1(VALU_DEP_2)
	v_mul_f64 v[21:22], v[21:22], v[9:10]
	v_frexp_exp_i32_f64_e32 v10, v[7:8]
	v_add_f64 v[23:24], v[21:22], 1.0
	s_delay_alu instid0(VALU_DEP_2) | instskip(SKIP_1) | instid1(VALU_DEP_3)
	v_subrev_co_ci_u32_e64 v10, s2, 0, v10, s2
	v_cmp_class_f64_e64 s2, v[7:8], 0x204
	v_rcp_f64_e32 v[25:26], v[23:24]
	s_waitcnt_depctr 0xfff
	v_fma_f64 v[27:28], -v[23:24], v[25:26], 1.0
	s_delay_alu instid0(VALU_DEP_1) | instskip(NEXT) | instid1(VALU_DEP_1)
	v_fma_f64 v[25:26], v[27:28], v[25:26], v[25:26]
	v_fma_f64 v[27:28], -v[23:24], v[25:26], 1.0
	s_delay_alu instid0(VALU_DEP_1) | instskip(SKIP_1) | instid1(VALU_DEP_1)
	v_fma_f64 v[25:26], v[27:28], v[25:26], v[25:26]
	v_add_f64 v[27:28], v[23:24], -1.0
	v_add_f64 v[27:28], v[21:22], -v[27:28]
	v_add_f64 v[21:22], v[21:22], -1.0
	s_delay_alu instid0(VALU_DEP_1) | instskip(NEXT) | instid1(VALU_DEP_1)
	v_mul_f64 v[29:30], v[21:22], v[25:26]
	v_mul_f64 v[31:32], v[23:24], v[29:30]
	s_delay_alu instid0(VALU_DEP_1) | instskip(NEXT) | instid1(VALU_DEP_1)
	v_fma_f64 v[23:24], v[29:30], v[23:24], -v[31:32]
	v_fma_f64 v[23:24], v[29:30], v[27:28], v[23:24]
	s_delay_alu instid0(VALU_DEP_1) | instskip(NEXT) | instid1(VALU_DEP_1)
	v_add_f64 v[27:28], v[31:32], v[23:24]
	v_add_f64 v[31:32], v[27:28], -v[31:32]
	s_delay_alu instid0(VALU_DEP_1) | instskip(SKIP_1) | instid1(VALU_DEP_1)
	v_add_f64 v[23:24], v[31:32], -v[23:24]
	v_add_f64 v[31:32], v[21:22], -v[27:28]
	;; [unrolled: 1-line block ×3, first 2 shown]
	s_delay_alu instid0(VALU_DEP_1) | instskip(NEXT) | instid1(VALU_DEP_1)
	v_add_f64 v[21:22], v[21:22], -v[27:28]
	v_add_f64 v[21:22], v[23:24], v[21:22]
	v_cvt_f64_i32_e32 v[23:24], v10
	v_and_b32_e32 v10, 0x7fffffff, v8
	s_delay_alu instid0(VALU_DEP_3) | instskip(NEXT) | instid1(VALU_DEP_1)
	v_add_f64 v[21:22], v[31:32], v[21:22]
	v_mul_f64 v[21:22], v[25:26], v[21:22]
	s_delay_alu instid0(VALU_DEP_4) | instskip(NEXT) | instid1(VALU_DEP_1)
	v_mul_f64 v[25:26], v[23:24], s[28:29]
	v_fma_f64 v[27:28], v[23:24], s[28:29], -v[25:26]
	s_delay_alu instid0(VALU_DEP_1) | instskip(NEXT) | instid1(VALU_DEP_4)
	v_fma_f64 v[23:24], v[23:24], s[30:31], v[27:28]
	v_add_f64 v[27:28], v[29:30], v[21:22]
	s_delay_alu instid0(VALU_DEP_1) | instskip(NEXT) | instid1(VALU_DEP_1)
	v_add_f64 v[29:30], v[27:28], -v[29:30]
	v_add_f64 v[21:22], v[21:22], -v[29:30]
	v_mul_f64 v[29:30], v[27:28], v[27:28]
	s_delay_alu instid0(VALU_DEP_2) | instskip(NEXT) | instid1(VALU_DEP_2)
	v_ldexp_f64 v[21:22], v[21:22], 1
	v_fma_f64 v[31:32], v[29:30], s[18:19], s[16:17]
	s_delay_alu instid0(VALU_DEP_1) | instskip(NEXT) | instid1(VALU_DEP_1)
	v_fma_f64 v[31:32], v[29:30], v[31:32], s[20:21]
	v_fma_f64 v[31:32], v[29:30], v[31:32], s[22:23]
	s_delay_alu instid0(VALU_DEP_1) | instskip(NEXT) | instid1(VALU_DEP_1)
	v_fma_f64 v[31:32], v[29:30], v[31:32], s[24:25]
	v_fma_f64 v[31:32], v[29:30], v[31:32], s[26:27]
	s_delay_alu instid0(VALU_DEP_1) | instskip(SKIP_2) | instid1(VALU_DEP_2)
	v_fma_f64 v[31:32], v[29:30], v[31:32], s[14:15]
	v_mul_f64 v[29:30], v[27:28], v[29:30]
	v_ldexp_f64 v[27:28], v[27:28], 1
	v_mul_f64 v[29:30], v[29:30], v[31:32]
	s_delay_alu instid0(VALU_DEP_1) | instskip(NEXT) | instid1(VALU_DEP_1)
	v_add_f64 v[31:32], v[27:28], v[29:30]
	v_add_f64 v[27:28], v[31:32], -v[27:28]
	s_delay_alu instid0(VALU_DEP_1) | instskip(NEXT) | instid1(VALU_DEP_1)
	v_add_f64 v[27:28], v[29:30], -v[27:28]
	v_add_f64 v[21:22], v[21:22], v[27:28]
	v_add_f64 v[27:28], v[25:26], v[23:24]
	s_delay_alu instid0(VALU_DEP_1) | instskip(NEXT) | instid1(VALU_DEP_1)
	v_add_f64 v[25:26], v[27:28], -v[25:26]
	v_add_f64 v[23:24], v[23:24], -v[25:26]
	s_delay_alu instid0(VALU_DEP_4) | instskip(NEXT) | instid1(VALU_DEP_1)
	v_add_f64 v[25:26], v[31:32], v[21:22]
	v_add_f64 v[29:30], v[25:26], -v[31:32]
	v_add_f64 v[31:32], v[27:28], v[25:26]
	s_delay_alu instid0(VALU_DEP_2) | instskip(NEXT) | instid1(VALU_DEP_2)
	v_add_f64 v[21:22], v[21:22], -v[29:30]
	v_add_f64 v[33:34], v[31:32], -v[27:28]
	s_delay_alu instid0(VALU_DEP_1) | instskip(SKIP_1) | instid1(VALU_DEP_1)
	v_add_f64 v[25:26], v[25:26], -v[33:34]
	v_add_f64 v[33:34], v[31:32], -v[33:34]
	;; [unrolled: 1-line block ×3, first 2 shown]
	s_delay_alu instid0(VALU_DEP_1) | instskip(SKIP_1) | instid1(VALU_DEP_1)
	v_add_f64 v[25:26], v[25:26], v[27:28]
	v_add_f64 v[27:28], v[23:24], v[21:22]
	v_add_f64 v[29:30], v[27:28], -v[23:24]
	s_delay_alu instid0(VALU_DEP_3) | instskip(NEXT) | instid1(VALU_DEP_2)
	v_add_f64 v[25:26], v[27:28], v[25:26]
	v_add_f64 v[21:22], v[21:22], -v[29:30]
	v_add_f64 v[29:30], v[27:28], -v[29:30]
	s_delay_alu instid0(VALU_DEP_1) | instskip(NEXT) | instid1(VALU_DEP_1)
	v_add_f64 v[23:24], v[23:24], -v[29:30]
	v_add_f64 v[21:22], v[21:22], v[23:24]
	v_add_f64 v[23:24], v[31:32], v[25:26]
	s_delay_alu instid0(VALU_DEP_1) | instskip(NEXT) | instid1(VALU_DEP_1)
	v_add_f64 v[27:28], v[23:24], -v[31:32]
	v_add_f64 v[25:26], v[25:26], -v[27:28]
	s_delay_alu instid0(VALU_DEP_1) | instskip(NEXT) | instid1(VALU_DEP_1)
	v_add_f64 v[21:22], v[21:22], v[25:26]
	v_add_f64 v[21:22], v[23:24], v[21:22]
	v_cndmask_b32_e64 v24, v19, v10, s3
	v_cndmask_b32_e64 v23, v15, v7, s3
	s_delay_alu instid0(VALU_DEP_3) | instskip(NEXT) | instid1(VALU_DEP_4)
	v_cndmask_b32_e64 v21, v21, v7, s2
	v_cndmask_b32_e64 v22, -v22, -v10, s2
	v_cmp_neq_f64_e64 s2, 0, v[7:8]
	v_cndmask_b32_e64 v10, 0, 1, vcc_lo
	s_delay_alu instid0(VALU_DEP_1) | instskip(NEXT) | instid1(VALU_DEP_3)
	v_cndmask_b32_e64 v10, v10, 2, s3
	v_cndmask_b32_e64 v22, 0x7ff00000, v22, s2
	;; [unrolled: 1-line block ×3, first 2 shown]
.LBB8_55:                               ;   in Loop: Header=BB8_5 Depth=1
	s_or_b32 exec_lo, exec_lo, s75
	s_delay_alu instid0(SALU_CYCLE_1)
	s_mov_b32 s2, exec_lo
                                        ; implicit-def: $vgpr27_vgpr28
	v_cmpx_lt_i32_e32 1, v10
	s_xor_b32 s2, exec_lo, s2
	s_cbranch_execz .LBB8_57
; %bb.56:                               ;   in Loop: Header=BB8_5 Depth=1
	s_mov_b32 s80, 0xf6010924
	s_mov_b32 s82, 0xbf2bab09
	;; [unrolled: 1-line block ×4, first 2 shown]
	v_fma_f64 v[27:28], v[23:24], s[90:91], s[88:89]
	v_fma_f64 v[25:26], v[23:24], s[82:83], s[80:81]
	s_mov_b32 s80, 0x44ea8450
	s_mov_b32 s81, 0x3fef4976
	s_mov_b32 vcc_lo, s60
                                        ; implicit-def: $vgpr10
	s_delay_alu instid0(VALU_DEP_2) | instskip(NEXT) | instid1(VALU_DEP_2)
	v_fma_f64 v[27:28], v[23:24], v[27:28], s[92:93]
	v_fma_f64 v[25:26], v[23:24], v[25:26], s[80:81]
	s_delay_alu instid0(VALU_DEP_2) | instskip(NEXT) | instid1(VALU_DEP_2)
	v_fma_f64 v[27:28], v[23:24], v[27:28], s[94:95]
	v_fma_f64 v[25:26], v[23:24], v[25:26], s[84:85]
	;; [unrolled: 3-line block ×3, first 2 shown]
	s_delay_alu instid0(VALU_DEP_2) | instskip(NEXT) | instid1(VALU_DEP_2)
	v_fma_f64 v[27:28], v[23:24], v[27:28], 1.0
	v_fma_f64 v[25:26], v[23:24], v[25:26], vcc
	s_delay_alu instid0(VALU_DEP_1) | instskip(NEXT) | instid1(VALU_DEP_1)
	v_mul_f64 v[25:26], v[23:24], v[25:26]
	v_div_scale_f64 v[29:30], null, v[27:28], v[27:28], v[25:26]
	s_delay_alu instid0(VALU_DEP_1) | instskip(SKIP_2) | instid1(VALU_DEP_1)
	v_rcp_f64_e32 v[31:32], v[29:30]
	s_waitcnt_depctr 0xfff
	v_fma_f64 v[33:34], -v[29:30], v[31:32], 1.0
	v_fma_f64 v[31:32], v[31:32], v[33:34], v[31:32]
	s_delay_alu instid0(VALU_DEP_1) | instskip(NEXT) | instid1(VALU_DEP_1)
	v_fma_f64 v[33:34], -v[29:30], v[31:32], 1.0
	v_fma_f64 v[31:32], v[31:32], v[33:34], v[31:32]
	v_div_scale_f64 v[33:34], vcc_lo, v[25:26], v[27:28], v[25:26]
	s_delay_alu instid0(VALU_DEP_1) | instskip(NEXT) | instid1(VALU_DEP_1)
	v_mul_f64 v[35:36], v[33:34], v[31:32]
	v_fma_f64 v[29:30], -v[29:30], v[35:36], v[33:34]
	s_delay_alu instid0(VALU_DEP_1) | instskip(NEXT) | instid1(VALU_DEP_1)
	v_div_fmas_f64 v[29:30], v[29:30], v[31:32], v[35:36]
	v_div_fixup_f64 v[25:26], v[29:30], v[27:28], v[25:26]
	s_delay_alu instid0(VALU_DEP_1)
	v_fma_f64 v[27:28], v[23:24], -0.5, v[25:26]
                                        ; implicit-def: $vgpr23_vgpr24
.LBB8_57:                               ;   in Loop: Header=BB8_5 Depth=1
	s_and_not1_saveexec_b32 s2, s2
	s_cbranch_execz .LBB8_63
; %bb.58:                               ;   in Loop: Header=BB8_5 Depth=1
	v_mul_f64 v[25:26], v[23:24], v[23:24]
	s_mov_b32 s3, exec_lo
                                        ; implicit-def: $vgpr27_vgpr28
	v_cmpx_ne_u32_e32 1, v10
	s_xor_b32 s3, exec_lo, s3
	s_cbranch_execz .LBB8_60
; %bb.59:                               ;   in Loop: Header=BB8_5 Depth=1
	s_mov_b32 s80, 0x987dfb07
	s_mov_b32 s82, 0x90a45837
	;; [unrolled: 1-line block ×4, first 2 shown]
	s_delay_alu instid0(VALU_DEP_2) | instid1(SALU_CYCLE_1)
	v_fma_f64 v[27:28], v[25:26], s[82:83], s[80:81]
	s_mov_b32 s80, 0xed10e54d
	s_mov_b32 s82, 0x428cfa52
	;; [unrolled: 1-line block ×4, first 2 shown]
	s_delay_alu instid0(SALU_CYCLE_1)
	v_fma_f64 v[29:30], v[25:26], s[82:83], s[80:81]
	s_mov_b32 s80, 0x89b99c00
	s_mov_b32 s81, 0x3f40b6c6
	s_delay_alu instid0(VALU_DEP_2) | instid1(SALU_CYCLE_1)
	v_fma_f64 v[27:28], v[25:26], v[27:28], s[80:81]
	s_mov_b32 s80, 0x116f3f5d
	s_mov_b32 s81, 0x3f538a94
	s_delay_alu instid0(VALU_DEP_2) | instid1(SALU_CYCLE_1)
	;; [unrolled: 4-line block ×7, first 2 shown]
	v_fma_f64 v[27:28], v[25:26], v[27:28], s[80:81]
	s_delay_alu instid0(VALU_DEP_2) | instskip(NEXT) | instid1(VALU_DEP_2)
	v_fma_f64 v[29:30], v[25:26], v[29:30], s[60:61]
	v_mul_f64 v[25:26], v[25:26], v[27:28]
	s_delay_alu instid0(VALU_DEP_1) | instskip(NEXT) | instid1(VALU_DEP_1)
	v_fma_f64 v[25:26], v[23:24], v[29:30], v[25:26]
	v_fma_f64 v[27:28], v[23:24], -0.5, v[25:26]
                                        ; implicit-def: $vgpr23_vgpr24
                                        ; implicit-def: $vgpr25_vgpr26
.LBB8_60:                               ;   in Loop: Header=BB8_5 Depth=1
	s_and_not1_saveexec_b32 s3, s3
	s_cbranch_execz .LBB8_62
; %bb.61:                               ;   in Loop: Header=BB8_5 Depth=1
	s_delay_alu instid0(VALU_DEP_2)
	v_mul_f64 v[27:28], v[23:24], v[25:26]
	s_mov_b32 s80, 0xef61a8e9
	s_mov_b32 s82, 0xecc38c38
	;; [unrolled: 1-line block ×4, first 2 shown]
	s_delay_alu instid0(VALU_DEP_1) | instid1(SALU_CYCLE_1)
	v_fma_f64 v[29:30], v[27:28], s[82:83], s[80:81]
	s_mov_b32 s80, 0x9c73e0ec
	s_mov_b32 s82, 0xe8c2d3f4
	;; [unrolled: 1-line block ×4, first 2 shown]
	s_delay_alu instid0(SALU_CYCLE_1) | instskip(SKIP_4) | instid1(VALU_DEP_2)
	v_fma_f64 v[31:32], v[27:28], s[82:83], s[80:81]
	s_mov_b32 s80, 0xb3e914d7
	s_mov_b32 s81, 0xbf6e2eff
	;; [unrolled: 1-line block ×4, first 2 shown]
	v_fma_f64 v[29:30], v[27:28], v[29:30], s[80:81]
	s_mov_b32 s80, 0x2e15c915
	s_mov_b32 s81, 0x3f6282d3
	s_delay_alu instid0(VALU_DEP_2) | instid1(SALU_CYCLE_1)
	v_fma_f64 v[31:32], v[27:28], v[31:32], s[80:81]
	s_mov_b32 s80, 0xbf2d1af1
	s_mov_b32 s81, 0xbf56fe8e
	s_delay_alu instid0(SALU_CYCLE_1)
	v_fma_f64 v[33:34], v[27:28], s[82:83], s[80:81]
	s_mov_b32 s80, 0x970af9ec
	s_mov_b32 s81, 0x3f9266e7
	s_delay_alu instid0(VALU_DEP_3) | instid1(SALU_CYCLE_1)
	v_fma_f64 v[29:30], v[27:28], v[29:30], s[80:81]
	s_mov_b32 s80, 0xba91ec6a
	s_mov_b32 s81, 0xbf851f9f
	s_delay_alu instid0(VALU_DEP_3) | instid1(SALU_CYCLE_1)
	;; [unrolled: 4-line block ×6, first 2 shown]
	v_fma_f64 v[33:34], v[27:28], v[33:34], s[80:81]
	s_mov_b32 s80, 0xc8ee38a2
	s_mov_b32 s81, 0x3fdef72b
	s_delay_alu instid0(VALU_DEP_2) | instskip(NEXT) | instid1(VALU_DEP_2)
	v_fma_f64 v[23:24], v[23:24], v[31:32], v[29:30]
	v_fma_f64 v[29:30], v[27:28], v[33:34], s[80:81]
	s_mov_b32 s80, 0xa48a971f
	s_mov_b32 s81, 0xbc50c7ca
	s_delay_alu instid0(VALU_DEP_2) | instid1(SALU_CYCLE_1)
	v_fma_f64 v[23:24], v[27:28], -v[23:24], s[80:81]
	s_mov_b32 s80, 0xbcc38a42
	s_mov_b32 s81, 0xbfbf19b9
	s_delay_alu instid0(VALU_DEP_1) | instskip(NEXT) | instid1(VALU_DEP_1)
	v_fma_f64 v[23:24], v[25:26], v[29:30], -v[23:24]
	v_add_f64 v[27:28], v[23:24], s[80:81]
.LBB8_62:                               ;   in Loop: Header=BB8_5 Depth=1
	s_or_b32 exec_lo, exec_lo, s3
.LBB8_63:                               ;   in Loop: Header=BB8_5 Depth=1
	s_delay_alu instid0(SALU_CYCLE_1) | instskip(NEXT) | instid1(VALU_DEP_1)
	s_or_b32 exec_lo, exec_lo, s2
	v_add_f64 v[21:22], v[21:22], v[27:28]
.LBB8_64:                               ;   in Loop: Header=BB8_5 Depth=1
	s_or_b32 exec_lo, exec_lo, s74
.LBB8_65:                               ;   in Loop: Header=BB8_5 Depth=1
	s_and_not1_saveexec_b32 s3, s73
	s_cbranch_execz .LBB8_67
; %bb.66:                               ;   in Loop: Header=BB8_5 Depth=1
	v_frexp_mant_f64_e64 v[21:22], |v[7:8]|
	s_mov_b32 s15, s69
	v_cmp_neq_f64_e64 s2, 0, v[7:8]
	s_delay_alu instid0(VALU_DEP_2) | instskip(SKIP_1) | instid1(VALU_DEP_1)
	v_cmp_gt_f64_e32 vcc_lo, s[68:69], v[21:22]
	v_cndmask_b32_e64 v10, 0x3ff00000, 2.0, vcc_lo
	v_mul_f64 v[21:22], v[21:22], v[9:10]
	v_frexp_exp_i32_f64_e32 v10, v[7:8]
	s_delay_alu instid0(VALU_DEP_2) | instskip(NEXT) | instid1(VALU_DEP_2)
	v_add_f64 v[23:24], v[21:22], 1.0
	v_subrev_co_ci_u32_e32 v10, vcc_lo, 0, v10, vcc_lo
	v_cmp_class_f64_e64 vcc_lo, v[7:8], 0x204
	s_delay_alu instid0(VALU_DEP_3) | instskip(SKIP_2) | instid1(VALU_DEP_1)
	v_rcp_f64_e32 v[25:26], v[23:24]
	s_waitcnt_depctr 0xfff
	v_fma_f64 v[27:28], -v[23:24], v[25:26], 1.0
	v_fma_f64 v[25:26], v[27:28], v[25:26], v[25:26]
	s_delay_alu instid0(VALU_DEP_1) | instskip(NEXT) | instid1(VALU_DEP_1)
	v_fma_f64 v[27:28], -v[23:24], v[25:26], 1.0
	v_fma_f64 v[25:26], v[27:28], v[25:26], v[25:26]
	v_add_f64 v[27:28], v[23:24], -1.0
	s_delay_alu instid0(VALU_DEP_1) | instskip(SKIP_1) | instid1(VALU_DEP_1)
	v_add_f64 v[27:28], v[21:22], -v[27:28]
	v_add_f64 v[21:22], v[21:22], -1.0
	v_mul_f64 v[29:30], v[21:22], v[25:26]
	s_delay_alu instid0(VALU_DEP_1) | instskip(NEXT) | instid1(VALU_DEP_1)
	v_mul_f64 v[31:32], v[23:24], v[29:30]
	v_fma_f64 v[23:24], v[29:30], v[23:24], -v[31:32]
	s_delay_alu instid0(VALU_DEP_1) | instskip(NEXT) | instid1(VALU_DEP_1)
	v_fma_f64 v[23:24], v[29:30], v[27:28], v[23:24]
	v_add_f64 v[27:28], v[31:32], v[23:24]
	s_delay_alu instid0(VALU_DEP_1) | instskip(NEXT) | instid1(VALU_DEP_1)
	v_add_f64 v[31:32], v[27:28], -v[31:32]
	v_add_f64 v[23:24], v[31:32], -v[23:24]
	;; [unrolled: 1-line block ×3, first 2 shown]
	s_delay_alu instid0(VALU_DEP_1) | instskip(NEXT) | instid1(VALU_DEP_1)
	v_add_f64 v[21:22], v[21:22], -v[31:32]
	v_add_f64 v[21:22], v[21:22], -v[27:28]
	s_delay_alu instid0(VALU_DEP_1) | instskip(SKIP_1) | instid1(VALU_DEP_2)
	v_add_f64 v[21:22], v[23:24], v[21:22]
	v_cvt_f64_i32_e32 v[23:24], v10
	v_add_f64 v[21:22], v[31:32], v[21:22]
	s_delay_alu instid0(VALU_DEP_1) | instskip(NEXT) | instid1(VALU_DEP_3)
	v_mul_f64 v[21:22], v[25:26], v[21:22]
	v_mul_f64 v[25:26], v[23:24], s[28:29]
	s_delay_alu instid0(VALU_DEP_1) | instskip(NEXT) | instid1(VALU_DEP_1)
	v_fma_f64 v[27:28], v[23:24], s[28:29], -v[25:26]
	v_fma_f64 v[23:24], v[23:24], s[30:31], v[27:28]
	s_delay_alu instid0(VALU_DEP_4) | instskip(NEXT) | instid1(VALU_DEP_1)
	v_add_f64 v[27:28], v[29:30], v[21:22]
	v_add_f64 v[29:30], v[27:28], -v[29:30]
	s_delay_alu instid0(VALU_DEP_1) | instskip(SKIP_1) | instid1(VALU_DEP_2)
	v_add_f64 v[21:22], v[21:22], -v[29:30]
	v_mul_f64 v[29:30], v[27:28], v[27:28]
	v_ldexp_f64 v[21:22], v[21:22], 1
	s_delay_alu instid0(VALU_DEP_2) | instskip(NEXT) | instid1(VALU_DEP_1)
	v_fma_f64 v[31:32], v[29:30], s[18:19], s[16:17]
	v_fma_f64 v[31:32], v[29:30], v[31:32], s[20:21]
	s_delay_alu instid0(VALU_DEP_1) | instskip(NEXT) | instid1(VALU_DEP_1)
	v_fma_f64 v[31:32], v[29:30], v[31:32], s[22:23]
	v_fma_f64 v[31:32], v[29:30], v[31:32], s[24:25]
	s_delay_alu instid0(VALU_DEP_1) | instskip(NEXT) | instid1(VALU_DEP_1)
	v_fma_f64 v[31:32], v[29:30], v[31:32], s[26:27]
	v_fma_f64 v[31:32], v[29:30], v[31:32], s[14:15]
	v_mul_f64 v[29:30], v[27:28], v[29:30]
	v_ldexp_f64 v[27:28], v[27:28], 1
	s_delay_alu instid0(VALU_DEP_2) | instskip(NEXT) | instid1(VALU_DEP_1)
	v_mul_f64 v[29:30], v[29:30], v[31:32]
	v_add_f64 v[31:32], v[27:28], v[29:30]
	s_delay_alu instid0(VALU_DEP_1) | instskip(NEXT) | instid1(VALU_DEP_1)
	v_add_f64 v[27:28], v[31:32], -v[27:28]
	v_add_f64 v[27:28], v[29:30], -v[27:28]
	s_delay_alu instid0(VALU_DEP_1) | instskip(SKIP_1) | instid1(VALU_DEP_1)
	v_add_f64 v[21:22], v[21:22], v[27:28]
	v_add_f64 v[27:28], v[25:26], v[23:24]
	v_add_f64 v[25:26], v[27:28], -v[25:26]
	s_delay_alu instid0(VALU_DEP_1) | instskip(NEXT) | instid1(VALU_DEP_4)
	v_add_f64 v[23:24], v[23:24], -v[25:26]
	v_add_f64 v[25:26], v[31:32], v[21:22]
	s_delay_alu instid0(VALU_DEP_1) | instskip(SKIP_1) | instid1(VALU_DEP_2)
	v_add_f64 v[29:30], v[25:26], -v[31:32]
	v_add_f64 v[31:32], v[27:28], v[25:26]
	v_add_f64 v[21:22], v[21:22], -v[29:30]
	s_delay_alu instid0(VALU_DEP_2) | instskip(NEXT) | instid1(VALU_DEP_1)
	v_add_f64 v[33:34], v[31:32], -v[27:28]
	v_add_f64 v[25:26], v[25:26], -v[33:34]
	;; [unrolled: 1-line block ×3, first 2 shown]
	s_delay_alu instid0(VALU_DEP_1) | instskip(NEXT) | instid1(VALU_DEP_1)
	v_add_f64 v[27:28], v[27:28], -v[33:34]
	v_add_f64 v[25:26], v[25:26], v[27:28]
	v_add_f64 v[27:28], v[23:24], v[21:22]
	s_delay_alu instid0(VALU_DEP_1) | instskip(NEXT) | instid1(VALU_DEP_3)
	v_add_f64 v[29:30], v[27:28], -v[23:24]
	v_add_f64 v[25:26], v[27:28], v[25:26]
	s_delay_alu instid0(VALU_DEP_2) | instskip(SKIP_1) | instid1(VALU_DEP_1)
	v_add_f64 v[21:22], v[21:22], -v[29:30]
	v_add_f64 v[29:30], v[27:28], -v[29:30]
	;; [unrolled: 1-line block ×3, first 2 shown]
	s_delay_alu instid0(VALU_DEP_1) | instskip(SKIP_1) | instid1(VALU_DEP_1)
	v_add_f64 v[21:22], v[21:22], v[23:24]
	v_add_f64 v[23:24], v[31:32], v[25:26]
	v_add_f64 v[27:28], v[23:24], -v[31:32]
	s_delay_alu instid0(VALU_DEP_1) | instskip(NEXT) | instid1(VALU_DEP_1)
	v_add_f64 v[25:26], v[25:26], -v[27:28]
	v_add_f64 v[21:22], v[21:22], v[25:26]
	v_fma_f64 v[25:26], |v[7:8]|, s[46:47], s[44:45]
	s_delay_alu instid0(VALU_DEP_2) | instskip(NEXT) | instid1(VALU_DEP_2)
	v_add_f64 v[21:22], v[23:24], v[21:22]
	v_fma_f64 v[25:26], |v[7:8]|, v[25:26], s[98:99]
	s_delay_alu instid0(VALU_DEP_2) | instskip(NEXT) | instid1(VALU_DEP_2)
	v_dual_cndmask_b32 v15, v21, v7 :: v_dual_and_b32 v10, 0x7fffffff, v8
	v_fma_f64 v[25:26], |v[7:8]|, v[25:26], s[100:101]
	s_delay_alu instid0(VALU_DEP_2) | instskip(NEXT) | instid1(VALU_DEP_3)
	v_cndmask_b32_e64 v10, -v22, -v10, vcc_lo
	v_cndmask_b32_e64 v21, 0, v15, s2
	s_delay_alu instid0(VALU_DEP_2) | instskip(NEXT) | instid1(VALU_DEP_4)
	v_cndmask_b32_e64 v22, 0x7ff00000, v10, s2
	v_fma_f64 v[23:24], |v[7:8]|, v[25:26], s[102:103]
	s_delay_alu instid0(VALU_DEP_1)
	v_fma_f64 v[21:22], |v[7:8]|, v[23:24], v[21:22]
.LBB8_67:                               ;   in Loop: Header=BB8_5 Depth=1
	s_or_b32 exec_lo, exec_lo, s3
	s_delay_alu instid0(SALU_CYCLE_1)
	s_mov_b32 s2, exec_lo
	v_cmpx_le_f64_e32 0, v[7:8]
	s_xor_b32 s3, exec_lo, s2
; %bb.68:                               ;   in Loop: Header=BB8_5 Depth=1
	v_cmp_eq_f64_e32 vcc_lo, 1.0, v[7:8]
	v_cmp_eq_f64_e64 s2, 2.0, v[7:8]
	s_delay_alu instid0(VALU_DEP_1)
	s_or_b32 s2, vcc_lo, s2
	s_delay_alu instid0(VALU_DEP_4) | instid1(SALU_CYCLE_1)
	v_cndmask_b32_e64 v22, v22, 0, s2
	v_cndmask_b32_e64 v21, v21, 0, s2
; %bb.69:                               ;   in Loop: Header=BB8_5 Depth=1
	s_and_not1_saveexec_b32 s3, s3
	s_cbranch_execz .LBB8_73
; %bb.70:                               ;   in Loop: Header=BB8_5 Depth=1
	v_add_nc_u32_e32 v10, 0xc32fffff, v20
	s_mov_b32 s73, exec_lo
	s_delay_alu instid0(VALU_DEP_1)
	v_cmpx_gt_u32_e32 0x65fffff, v10
	s_cbranch_execz .LBB8_72
; %bb.71:                               ;   in Loop: Header=BB8_5 Depth=1
	v_mul_f64 v[23:24], |v[7:8]|, 0.5
	v_cmp_gt_f64_e64 s2, |v[7:8]|, 1.0
	s_mov_b32 s15, s69
	s_delay_alu instid0(VALU_DEP_2) | instskip(SKIP_1) | instid1(VALU_DEP_2)
	v_fract_f64_e32 v[25:26], v[23:24]
	v_cmp_neq_f64_e64 vcc_lo, 0x7ff00000, |v[23:24]|
	v_add_f64 v[23:24], v[25:26], v[25:26]
	s_delay_alu instid0(VALU_DEP_1) | instskip(NEXT) | instid1(VALU_DEP_2)
	v_dual_cndmask_b32 v19, 0, v23 :: v_dual_and_b32 v10, 0x7fffffff, v8
	v_cndmask_b32_e32 v15, 0, v24, vcc_lo
	s_delay_alu instid0(VALU_DEP_2) | instskip(NEXT) | instid1(VALU_DEP_2)
	v_cndmask_b32_e64 v23, v7, v19, s2
	v_cndmask_b32_e64 v24, v10, v15, s2
	s_delay_alu instid0(VALU_DEP_1) | instskip(NEXT) | instid1(VALU_DEP_1)
	v_add_f64 v[25:26], v[23:24], v[23:24]
	v_rndne_f64_e32 v[25:26], v[25:26]
	s_delay_alu instid0(VALU_DEP_1) | instskip(SKIP_1) | instid1(VALU_DEP_2)
	v_fma_f64 v[23:24], v[25:26], -0.5, v[23:24]
	v_cvt_i32_f64_e32 v10, v[25:26]
	v_mul_f64 v[27:28], v[23:24], v[23:24]
	s_delay_alu instid0(VALU_DEP_2) | instskip(SKIP_1) | instid1(VALU_DEP_2)
	v_and_b32_e32 v15, 1, v10
	v_lshlrev_b32_e32 v10, 30, v10
	v_cmp_eq_u32_e32 vcc_lo, 0, v15
	s_delay_alu instid0(VALU_DEP_2) | instskip(NEXT) | instid1(VALU_DEP_1)
	v_xor_b32_e32 v10, v10, v8
	v_and_b32_e32 v10, 0x80000000, v10
	v_fma_f64 v[29:30], v[27:28], s[36:37], s[34:35]
	v_mul_f64 v[31:32], v[23:24], v[27:28]
	s_delay_alu instid0(VALU_DEP_2) | instskip(NEXT) | instid1(VALU_DEP_1)
	v_fma_f64 v[29:30], v[27:28], v[29:30], s[38:39]
	v_fma_f64 v[29:30], v[27:28], v[29:30], s[40:41]
	s_delay_alu instid0(VALU_DEP_1) | instskip(NEXT) | instid1(VALU_DEP_1)
	v_fma_f64 v[29:30], v[27:28], v[29:30], s[42:43]
	v_fma_f64 v[29:30], v[27:28], v[29:30], s[48:49]
	s_delay_alu instid0(VALU_DEP_1) | instskip(NEXT) | instid1(VALU_DEP_1)
	v_mul_f64 v[29:30], v[31:32], v[29:30]
	v_fma_f64 v[23:24], v[23:24], s[50:51], v[29:30]
	v_fma_f64 v[29:30], v[27:28], s[54:55], s[52:53]
	s_delay_alu instid0(VALU_DEP_1) | instskip(NEXT) | instid1(VALU_DEP_1)
	v_fma_f64 v[29:30], v[27:28], v[29:30], s[56:57]
	v_fma_f64 v[29:30], v[27:28], v[29:30], s[58:59]
	s_delay_alu instid0(VALU_DEP_1) | instskip(NEXT) | instid1(VALU_DEP_1)
	;; [unrolled: 3-line block ×3, first 2 shown]
	v_fma_f64 v[29:30], v[27:28], v[29:30], s[66:67]
	v_fma_f64 v[27:28], v[27:28], v[29:30], 1.0
	s_delay_alu instid0(VALU_DEP_1) | instskip(NEXT) | instid1(VALU_DEP_2)
	v_cndmask_b32_e32 v15, v27, v23, vcc_lo
	v_cndmask_b32_e32 v19, v28, v24, vcc_lo
	v_cmp_class_f64_e64 vcc_lo, v[7:8], 0x1f8
	s_delay_alu instid0(VALU_DEP_2) | instskip(NEXT) | instid1(VALU_DEP_4)
	v_xor_b32_e32 v10, v19, v10
	v_cndmask_b32_e32 v23, 0, v15, vcc_lo
	s_delay_alu instid0(VALU_DEP_2) | instskip(NEXT) | instid1(VALU_DEP_1)
	v_cndmask_b32_e32 v24, 0x7ff80000, v10, vcc_lo
	v_mul_f64 v[23:24], v[7:8], v[23:24]
	s_delay_alu instid0(VALU_DEP_1) | instskip(NEXT) | instid1(VALU_DEP_1)
	v_dual_mov_b32 v25, v23 :: v_dual_and_b32 v26, 0x7fffffff, v24
	v_div_scale_f64 v[27:28], null, v[25:26], v[25:26], s[50:51]
	v_div_scale_f64 v[25:26], vcc_lo, s[50:51], v[25:26], s[50:51]
	s_delay_alu instid0(VALU_DEP_2) | instskip(SKIP_2) | instid1(VALU_DEP_1)
	v_rcp_f64_e32 v[29:30], v[27:28]
	s_waitcnt_depctr 0xfff
	v_fma_f64 v[31:32], -v[27:28], v[29:30], 1.0
	v_fma_f64 v[29:30], v[29:30], v[31:32], v[29:30]
	s_delay_alu instid0(VALU_DEP_1) | instskip(NEXT) | instid1(VALU_DEP_1)
	v_fma_f64 v[31:32], -v[27:28], v[29:30], 1.0
	v_fma_f64 v[29:30], v[29:30], v[31:32], v[29:30]
	s_delay_alu instid0(VALU_DEP_1) | instskip(NEXT) | instid1(VALU_DEP_1)
	v_mul_f64 v[31:32], v[25:26], v[29:30]
	v_fma_f64 v[25:26], -v[27:28], v[31:32], v[25:26]
	s_delay_alu instid0(VALU_DEP_1) | instskip(NEXT) | instid1(VALU_DEP_1)
	v_div_fmas_f64 v[25:26], v[25:26], v[29:30], v[31:32]
	v_div_fixup_f64 v[23:24], v[25:26], |v[23:24]|, s[50:51]
	s_delay_alu instid0(VALU_DEP_1) | instskip(SKIP_1) | instid1(VALU_DEP_2)
	v_frexp_mant_f64_e32 v[25:26], v[23:24]
	v_cmp_neq_f64_e64 s2, 0, v[23:24]
	v_cmp_gt_f64_e32 vcc_lo, s[68:69], v[25:26]
	v_cndmask_b32_e64 v10, 0x3ff00000, 2.0, vcc_lo
	s_delay_alu instid0(VALU_DEP_1) | instskip(SKIP_1) | instid1(VALU_DEP_2)
	v_mul_f64 v[25:26], v[25:26], v[9:10]
	v_frexp_exp_i32_f64_e32 v10, v[23:24]
	v_add_f64 v[27:28], v[25:26], 1.0
	s_delay_alu instid0(VALU_DEP_2) | instskip(SKIP_1) | instid1(VALU_DEP_3)
	v_subrev_co_ci_u32_e32 v10, vcc_lo, 0, v10, vcc_lo
	v_cmp_class_f64_e64 vcc_lo, v[23:24], 0x204
	v_rcp_f64_e32 v[29:30], v[27:28]
	s_waitcnt_depctr 0xfff
	v_fma_f64 v[31:32], -v[27:28], v[29:30], 1.0
	s_delay_alu instid0(VALU_DEP_1) | instskip(NEXT) | instid1(VALU_DEP_1)
	v_fma_f64 v[29:30], v[31:32], v[29:30], v[29:30]
	v_fma_f64 v[31:32], -v[27:28], v[29:30], 1.0
	s_delay_alu instid0(VALU_DEP_1) | instskip(SKIP_1) | instid1(VALU_DEP_1)
	v_fma_f64 v[29:30], v[31:32], v[29:30], v[29:30]
	v_add_f64 v[31:32], v[27:28], -1.0
	v_add_f64 v[31:32], v[25:26], -v[31:32]
	v_add_f64 v[25:26], v[25:26], -1.0
	s_delay_alu instid0(VALU_DEP_1) | instskip(NEXT) | instid1(VALU_DEP_1)
	v_mul_f64 v[33:34], v[25:26], v[29:30]
	v_mul_f64 v[35:36], v[27:28], v[33:34]
	s_delay_alu instid0(VALU_DEP_1) | instskip(NEXT) | instid1(VALU_DEP_1)
	v_fma_f64 v[27:28], v[33:34], v[27:28], -v[35:36]
	v_fma_f64 v[27:28], v[33:34], v[31:32], v[27:28]
	s_delay_alu instid0(VALU_DEP_1) | instskip(NEXT) | instid1(VALU_DEP_1)
	v_add_f64 v[31:32], v[35:36], v[27:28]
	v_add_f64 v[35:36], v[31:32], -v[35:36]
	s_delay_alu instid0(VALU_DEP_1) | instskip(SKIP_1) | instid1(VALU_DEP_1)
	v_add_f64 v[27:28], v[35:36], -v[27:28]
	v_add_f64 v[35:36], v[25:26], -v[31:32]
	;; [unrolled: 1-line block ×3, first 2 shown]
	s_delay_alu instid0(VALU_DEP_1) | instskip(NEXT) | instid1(VALU_DEP_1)
	v_add_f64 v[25:26], v[25:26], -v[31:32]
	v_add_f64 v[25:26], v[27:28], v[25:26]
	v_cvt_f64_i32_e32 v[27:28], v10
	s_delay_alu instid0(VALU_DEP_2) | instskip(NEXT) | instid1(VALU_DEP_1)
	v_add_f64 v[25:26], v[35:36], v[25:26]
	v_mul_f64 v[25:26], v[29:30], v[25:26]
	s_delay_alu instid0(VALU_DEP_3) | instskip(NEXT) | instid1(VALU_DEP_1)
	v_mul_f64 v[29:30], v[27:28], s[28:29]
	v_fma_f64 v[31:32], v[27:28], s[28:29], -v[29:30]
	s_delay_alu instid0(VALU_DEP_1) | instskip(NEXT) | instid1(VALU_DEP_4)
	v_fma_f64 v[27:28], v[27:28], s[30:31], v[31:32]
	v_add_f64 v[31:32], v[33:34], v[25:26]
	s_delay_alu instid0(VALU_DEP_1) | instskip(NEXT) | instid1(VALU_DEP_1)
	v_add_f64 v[33:34], v[31:32], -v[33:34]
	v_add_f64 v[25:26], v[25:26], -v[33:34]
	v_mul_f64 v[33:34], v[31:32], v[31:32]
	s_delay_alu instid0(VALU_DEP_2) | instskip(NEXT) | instid1(VALU_DEP_2)
	v_ldexp_f64 v[25:26], v[25:26], 1
	v_fma_f64 v[35:36], v[33:34], s[18:19], s[16:17]
	s_delay_alu instid0(VALU_DEP_1) | instskip(NEXT) | instid1(VALU_DEP_1)
	v_fma_f64 v[35:36], v[33:34], v[35:36], s[20:21]
	v_fma_f64 v[35:36], v[33:34], v[35:36], s[22:23]
	s_delay_alu instid0(VALU_DEP_1) | instskip(NEXT) | instid1(VALU_DEP_1)
	v_fma_f64 v[35:36], v[33:34], v[35:36], s[24:25]
	v_fma_f64 v[35:36], v[33:34], v[35:36], s[26:27]
	s_delay_alu instid0(VALU_DEP_1) | instskip(SKIP_2) | instid1(VALU_DEP_2)
	v_fma_f64 v[35:36], v[33:34], v[35:36], s[14:15]
	v_mul_f64 v[33:34], v[31:32], v[33:34]
	v_ldexp_f64 v[31:32], v[31:32], 1
	v_mul_f64 v[33:34], v[33:34], v[35:36]
	s_delay_alu instid0(VALU_DEP_1) | instskip(NEXT) | instid1(VALU_DEP_1)
	v_add_f64 v[35:36], v[31:32], v[33:34]
	v_add_f64 v[31:32], v[35:36], -v[31:32]
	s_delay_alu instid0(VALU_DEP_1) | instskip(NEXT) | instid1(VALU_DEP_1)
	v_add_f64 v[31:32], v[33:34], -v[31:32]
	v_add_f64 v[25:26], v[25:26], v[31:32]
	v_add_f64 v[31:32], v[29:30], v[27:28]
	s_delay_alu instid0(VALU_DEP_1) | instskip(NEXT) | instid1(VALU_DEP_1)
	v_add_f64 v[29:30], v[31:32], -v[29:30]
	v_add_f64 v[27:28], v[27:28], -v[29:30]
	s_delay_alu instid0(VALU_DEP_4) | instskip(NEXT) | instid1(VALU_DEP_1)
	v_add_f64 v[29:30], v[35:36], v[25:26]
	v_add_f64 v[33:34], v[29:30], -v[35:36]
	v_add_f64 v[35:36], v[31:32], v[29:30]
	s_delay_alu instid0(VALU_DEP_2) | instskip(NEXT) | instid1(VALU_DEP_2)
	v_add_f64 v[25:26], v[25:26], -v[33:34]
	v_add_f64 v[37:38], v[35:36], -v[31:32]
	s_delay_alu instid0(VALU_DEP_1) | instskip(SKIP_1) | instid1(VALU_DEP_1)
	v_add_f64 v[29:30], v[29:30], -v[37:38]
	v_add_f64 v[37:38], v[35:36], -v[37:38]
	;; [unrolled: 1-line block ×3, first 2 shown]
	s_delay_alu instid0(VALU_DEP_1) | instskip(SKIP_1) | instid1(VALU_DEP_1)
	v_add_f64 v[29:30], v[29:30], v[31:32]
	v_add_f64 v[31:32], v[27:28], v[25:26]
	v_add_f64 v[33:34], v[31:32], -v[27:28]
	s_delay_alu instid0(VALU_DEP_3) | instskip(NEXT) | instid1(VALU_DEP_2)
	v_add_f64 v[29:30], v[31:32], v[29:30]
	v_add_f64 v[25:26], v[25:26], -v[33:34]
	v_add_f64 v[33:34], v[31:32], -v[33:34]
	s_delay_alu instid0(VALU_DEP_1) | instskip(NEXT) | instid1(VALU_DEP_1)
	v_add_f64 v[27:28], v[27:28], -v[33:34]
	v_add_f64 v[25:26], v[25:26], v[27:28]
	v_add_f64 v[27:28], v[35:36], v[29:30]
	s_delay_alu instid0(VALU_DEP_1) | instskip(NEXT) | instid1(VALU_DEP_1)
	v_add_f64 v[31:32], v[27:28], -v[35:36]
	v_add_f64 v[29:30], v[29:30], -v[31:32]
	s_delay_alu instid0(VALU_DEP_1) | instskip(NEXT) | instid1(VALU_DEP_1)
	v_add_f64 v[25:26], v[25:26], v[29:30]
	v_add_f64 v[25:26], v[27:28], v[25:26]
	s_delay_alu instid0(VALU_DEP_1) | instskip(SKIP_1) | instid1(VALU_DEP_2)
	v_dual_cndmask_b32 v10, v25, v23 :: v_dual_cndmask_b32 v15, v26, v24
	v_fract_f64_e32 v[23:24], v[7:8]
	v_cndmask_b32_e64 v25, 0, v10, s2
	s_delay_alu instid0(VALU_DEP_3) | instskip(SKIP_1) | instid1(VALU_DEP_2)
	v_cndmask_b32_e64 v26, 0xfff00000, v15, s2
	v_cmp_class_f64_e64 s2, v[7:8], 0x204
	v_add_f64 v[21:22], v[25:26], -v[21:22]
	v_cmp_eq_f64_e32 vcc_lo, 0, v[23:24]
	s_delay_alu instid0(VALU_DEP_3)
	s_or_b32 s2, s2, vcc_lo
	s_delay_alu instid0(VALU_DEP_2) | instid1(SALU_CYCLE_1)
	v_cndmask_b32_e64 v22, v22, 0x7ff00000, s2
	s_delay_alu instid0(VALU_DEP_3)
	v_cndmask_b32_e64 v21, v21, 0, s2
.LBB8_72:                               ;   in Loop: Header=BB8_5 Depth=1
	s_or_b32 exec_lo, exec_lo, s73
.LBB8_73:                               ;   in Loop: Header=BB8_5 Depth=1
	s_delay_alu instid0(SALU_CYCLE_1) | instskip(SKIP_3) | instid1(VALU_DEP_1)
	s_or_b32 exec_lo, exec_lo, s3
	s_waitcnt vmcnt(0)
	v_dual_mov_b32 v23, v1 :: v_dual_and_b32 v24, 0x7fffffff, v2
                                        ; implicit-def: $vgpr25_vgpr26
	s_mov_b32 s2, exec_lo
	v_cmpx_lt_u32_e32 0x3f6fffff, v24
	s_xor_b32 s73, exec_lo, s2
	s_cbranch_execz .LBB8_99
; %bb.74:                               ;   in Loop: Header=BB8_5 Depth=1
                                        ; implicit-def: $vgpr25_vgpr26
	s_mov_b32 s2, exec_lo
	v_cmpx_lt_u32_e32 0x3fffffff, v24
	s_xor_b32 s74, exec_lo, s2
	s_cbranch_execz .LBB8_84
; %bb.75:                               ;   in Loop: Header=BB8_5 Depth=1
	;; [unrolled: 6-line block ×4, first 2 shown]
	v_frexp_mant_f64_e64 v[25:26], |v[1:2]|
	s_mov_b32 s15, s69
	v_cmp_neq_f64_e64 s2, 0, v[1:2]
	s_delay_alu instid0(VALU_DEP_2) | instskip(SKIP_1) | instid1(VALU_DEP_1)
	v_cmp_gt_f64_e32 vcc_lo, s[68:69], v[25:26]
	v_cndmask_b32_e64 v10, 0x3ff00000, 2.0, vcc_lo
	v_mul_f64 v[25:26], v[25:26], v[9:10]
	v_frexp_exp_i32_f64_e32 v10, v[1:2]
	s_delay_alu instid0(VALU_DEP_2) | instskip(NEXT) | instid1(VALU_DEP_2)
	v_add_f64 v[27:28], v[25:26], 1.0
	v_subrev_co_ci_u32_e32 v10, vcc_lo, 0, v10, vcc_lo
	v_cmp_class_f64_e64 vcc_lo, v[1:2], 0x204
	s_delay_alu instid0(VALU_DEP_3) | instskip(SKIP_2) | instid1(VALU_DEP_1)
	v_rcp_f64_e32 v[29:30], v[27:28]
	s_waitcnt_depctr 0xfff
	v_fma_f64 v[31:32], -v[27:28], v[29:30], 1.0
	v_fma_f64 v[29:30], v[31:32], v[29:30], v[29:30]
	s_delay_alu instid0(VALU_DEP_1) | instskip(NEXT) | instid1(VALU_DEP_1)
	v_fma_f64 v[31:32], -v[27:28], v[29:30], 1.0
	v_fma_f64 v[29:30], v[31:32], v[29:30], v[29:30]
	v_add_f64 v[31:32], v[27:28], -1.0
	s_delay_alu instid0(VALU_DEP_1) | instskip(SKIP_1) | instid1(VALU_DEP_1)
	v_add_f64 v[31:32], v[25:26], -v[31:32]
	v_add_f64 v[25:26], v[25:26], -1.0
	v_mul_f64 v[33:34], v[25:26], v[29:30]
	s_delay_alu instid0(VALU_DEP_1) | instskip(NEXT) | instid1(VALU_DEP_1)
	v_mul_f64 v[35:36], v[27:28], v[33:34]
	v_fma_f64 v[27:28], v[33:34], v[27:28], -v[35:36]
	s_delay_alu instid0(VALU_DEP_1) | instskip(NEXT) | instid1(VALU_DEP_1)
	v_fma_f64 v[27:28], v[33:34], v[31:32], v[27:28]
	v_add_f64 v[31:32], v[35:36], v[27:28]
	s_delay_alu instid0(VALU_DEP_1) | instskip(NEXT) | instid1(VALU_DEP_1)
	v_add_f64 v[35:36], v[31:32], -v[35:36]
	v_add_f64 v[27:28], v[35:36], -v[27:28]
	v_add_f64 v[35:36], v[25:26], -v[31:32]
	s_delay_alu instid0(VALU_DEP_1) | instskip(NEXT) | instid1(VALU_DEP_1)
	v_add_f64 v[25:26], v[25:26], -v[35:36]
	v_add_f64 v[25:26], v[25:26], -v[31:32]
	s_delay_alu instid0(VALU_DEP_1) | instskip(SKIP_1) | instid1(VALU_DEP_2)
	v_add_f64 v[25:26], v[27:28], v[25:26]
	v_cvt_f64_i32_e32 v[27:28], v10
	v_add_f64 v[25:26], v[35:36], v[25:26]
	s_delay_alu instid0(VALU_DEP_1) | instskip(NEXT) | instid1(VALU_DEP_3)
	v_mul_f64 v[25:26], v[29:30], v[25:26]
	v_mul_f64 v[29:30], v[27:28], s[28:29]
	s_delay_alu instid0(VALU_DEP_1) | instskip(NEXT) | instid1(VALU_DEP_1)
	v_fma_f64 v[31:32], v[27:28], s[28:29], -v[29:30]
	v_fma_f64 v[27:28], v[27:28], s[30:31], v[31:32]
	s_delay_alu instid0(VALU_DEP_4) | instskip(NEXT) | instid1(VALU_DEP_1)
	v_add_f64 v[31:32], v[33:34], v[25:26]
	v_add_f64 v[33:34], v[31:32], -v[33:34]
	s_delay_alu instid0(VALU_DEP_1) | instskip(SKIP_1) | instid1(VALU_DEP_2)
	v_add_f64 v[25:26], v[25:26], -v[33:34]
	v_mul_f64 v[33:34], v[31:32], v[31:32]
	v_ldexp_f64 v[25:26], v[25:26], 1
	s_delay_alu instid0(VALU_DEP_2) | instskip(NEXT) | instid1(VALU_DEP_1)
	v_fma_f64 v[35:36], v[33:34], s[18:19], s[16:17]
	v_fma_f64 v[35:36], v[33:34], v[35:36], s[20:21]
	s_delay_alu instid0(VALU_DEP_1) | instskip(NEXT) | instid1(VALU_DEP_1)
	v_fma_f64 v[35:36], v[33:34], v[35:36], s[22:23]
	v_fma_f64 v[35:36], v[33:34], v[35:36], s[24:25]
	s_delay_alu instid0(VALU_DEP_1) | instskip(NEXT) | instid1(VALU_DEP_1)
	v_fma_f64 v[35:36], v[33:34], v[35:36], s[26:27]
	v_fma_f64 v[35:36], v[33:34], v[35:36], s[14:15]
	v_mul_f64 v[33:34], v[31:32], v[33:34]
	v_ldexp_f64 v[31:32], v[31:32], 1
	s_delay_alu instid0(VALU_DEP_2) | instskip(NEXT) | instid1(VALU_DEP_1)
	v_mul_f64 v[33:34], v[33:34], v[35:36]
	v_add_f64 v[35:36], v[31:32], v[33:34]
	s_delay_alu instid0(VALU_DEP_1) | instskip(NEXT) | instid1(VALU_DEP_1)
	v_add_f64 v[31:32], v[35:36], -v[31:32]
	v_add_f64 v[31:32], v[33:34], -v[31:32]
	s_delay_alu instid0(VALU_DEP_1) | instskip(SKIP_1) | instid1(VALU_DEP_1)
	v_add_f64 v[25:26], v[25:26], v[31:32]
	v_add_f64 v[31:32], v[29:30], v[27:28]
	v_add_f64 v[29:30], v[31:32], -v[29:30]
	s_delay_alu instid0(VALU_DEP_1) | instskip(NEXT) | instid1(VALU_DEP_4)
	v_add_f64 v[27:28], v[27:28], -v[29:30]
	v_add_f64 v[29:30], v[35:36], v[25:26]
	s_delay_alu instid0(VALU_DEP_1) | instskip(SKIP_1) | instid1(VALU_DEP_2)
	v_add_f64 v[33:34], v[29:30], -v[35:36]
	v_add_f64 v[35:36], v[31:32], v[29:30]
	v_add_f64 v[25:26], v[25:26], -v[33:34]
	s_delay_alu instid0(VALU_DEP_2) | instskip(NEXT) | instid1(VALU_DEP_1)
	v_add_f64 v[37:38], v[35:36], -v[31:32]
	v_add_f64 v[29:30], v[29:30], -v[37:38]
	;; [unrolled: 1-line block ×3, first 2 shown]
	s_delay_alu instid0(VALU_DEP_1) | instskip(NEXT) | instid1(VALU_DEP_1)
	v_add_f64 v[31:32], v[31:32], -v[37:38]
	v_add_f64 v[29:30], v[29:30], v[31:32]
	v_add_f64 v[31:32], v[27:28], v[25:26]
	s_delay_alu instid0(VALU_DEP_1) | instskip(NEXT) | instid1(VALU_DEP_3)
	v_add_f64 v[33:34], v[31:32], -v[27:28]
	v_add_f64 v[29:30], v[31:32], v[29:30]
	s_delay_alu instid0(VALU_DEP_2) | instskip(SKIP_1) | instid1(VALU_DEP_1)
	v_add_f64 v[25:26], v[25:26], -v[33:34]
	v_add_f64 v[33:34], v[31:32], -v[33:34]
	;; [unrolled: 1-line block ×3, first 2 shown]
	s_delay_alu instid0(VALU_DEP_1) | instskip(SKIP_1) | instid1(VALU_DEP_1)
	v_add_f64 v[25:26], v[25:26], v[27:28]
	v_add_f64 v[27:28], v[35:36], v[29:30]
	v_add_f64 v[31:32], v[27:28], -v[35:36]
	s_delay_alu instid0(VALU_DEP_1) | instskip(NEXT) | instid1(VALU_DEP_1)
	v_add_f64 v[29:30], v[29:30], -v[31:32]
	v_add_f64 v[25:26], v[25:26], v[29:30]
	s_delay_alu instid0(VALU_DEP_1) | instskip(NEXT) | instid1(VALU_DEP_1)
	v_add_f64 v[25:26], v[27:28], v[25:26]
	v_dual_cndmask_b32 v15, v25, v1 :: v_dual_and_b32 v10, 0x7fffffff, v2
	s_delay_alu instid0(VALU_DEP_1) | instskip(NEXT) | instid1(VALU_DEP_2)
	v_cndmask_b32_e32 v10, v26, v10, vcc_lo
	v_cndmask_b32_e64 v25, 0, v15, s2
	s_delay_alu instid0(VALU_DEP_2) | instskip(NEXT) | instid1(VALU_DEP_1)
	v_cndmask_b32_e64 v26, 0xfff00000, v10, s2
	v_fma_f64 v[25:26], |v[1:2]|, v[25:26], -|v[1:2]|
.LBB8_78:                               ;   in Loop: Header=BB8_5 Depth=1
	s_and_not1_saveexec_b32 s2, s75
	s_cbranch_execz .LBB8_80
; %bb.79:                               ;   in Loop: Header=BB8_5 Depth=1
	v_dual_mov_b32 v25, v1 :: v_dual_and_b32 v26, 0x7fffffff, v2
	s_mov_b32 s15, s69
	s_mov_b32 s76, 0x4cdad5d1
	;; [unrolled: 1-line block ×4, first 2 shown]
	v_div_scale_f64 v[27:28], null, v[25:26], v[25:26], 1.0
	s_mov_b32 s79, 0xbf5ab89d
	s_delay_alu instid0(VALU_DEP_1) | instskip(SKIP_2) | instid1(VALU_DEP_1)
	v_rcp_f64_e32 v[29:30], v[27:28]
	s_waitcnt_depctr 0xfff
	v_fma_f64 v[31:32], -v[27:28], v[29:30], 1.0
	v_fma_f64 v[29:30], v[29:30], v[31:32], v[29:30]
	s_delay_alu instid0(VALU_DEP_1) | instskip(NEXT) | instid1(VALU_DEP_1)
	v_fma_f64 v[31:32], -v[27:28], v[29:30], 1.0
	v_fma_f64 v[29:30], v[29:30], v[31:32], v[29:30]
	v_div_scale_f64 v[31:32], vcc_lo, 1.0, v[25:26], 1.0
	s_delay_alu instid0(VALU_DEP_1) | instskip(NEXT) | instid1(VALU_DEP_1)
	v_mul_f64 v[33:34], v[31:32], v[29:30]
	v_fma_f64 v[27:28], -v[27:28], v[33:34], v[31:32]
	s_delay_alu instid0(VALU_DEP_1) | instskip(SKIP_1) | instid1(VALU_DEP_2)
	v_div_fmas_f64 v[27:28], v[27:28], v[29:30], v[33:34]
	v_frexp_mant_f64_e64 v[29:30], |v[1:2]|
	v_div_fixup_f64 v[27:28], v[27:28], |v[1:2]|, 1.0
	s_delay_alu instid0(VALU_DEP_2) | instskip(SKIP_1) | instid1(VALU_DEP_1)
	v_cmp_gt_f64_e32 vcc_lo, s[68:69], v[29:30]
	v_cndmask_b32_e64 v10, 0x3ff00000, 2.0, vcc_lo
	v_mul_f64 v[29:30], v[29:30], v[9:10]
	v_frexp_exp_i32_f64_e32 v10, v[1:2]
	s_delay_alu instid0(VALU_DEP_2) | instskip(NEXT) | instid1(VALU_DEP_2)
	v_add_f64 v[31:32], v[29:30], 1.0
	v_subrev_co_ci_u32_e32 v10, vcc_lo, 0, v10, vcc_lo
	v_cmp_class_f64_e64 vcc_lo, v[1:2], 0x204
	s_delay_alu instid0(VALU_DEP_3) | instskip(SKIP_2) | instid1(VALU_DEP_1)
	v_rcp_f64_e32 v[33:34], v[31:32]
	s_waitcnt_depctr 0xfff
	v_fma_f64 v[35:36], -v[31:32], v[33:34], 1.0
	v_fma_f64 v[33:34], v[35:36], v[33:34], v[33:34]
	s_delay_alu instid0(VALU_DEP_1) | instskip(NEXT) | instid1(VALU_DEP_1)
	v_fma_f64 v[35:36], -v[31:32], v[33:34], 1.0
	v_fma_f64 v[33:34], v[35:36], v[33:34], v[33:34]
	v_add_f64 v[35:36], v[31:32], -1.0
	s_delay_alu instid0(VALU_DEP_1) | instskip(SKIP_1) | instid1(VALU_DEP_1)
	v_add_f64 v[35:36], v[29:30], -v[35:36]
	v_add_f64 v[29:30], v[29:30], -1.0
	v_mul_f64 v[37:38], v[29:30], v[33:34]
	s_delay_alu instid0(VALU_DEP_1) | instskip(NEXT) | instid1(VALU_DEP_1)
	v_mul_f64 v[39:40], v[31:32], v[37:38]
	v_fma_f64 v[31:32], v[37:38], v[31:32], -v[39:40]
	s_delay_alu instid0(VALU_DEP_1) | instskip(NEXT) | instid1(VALU_DEP_1)
	v_fma_f64 v[31:32], v[37:38], v[35:36], v[31:32]
	v_add_f64 v[35:36], v[39:40], v[31:32]
	s_delay_alu instid0(VALU_DEP_1) | instskip(NEXT) | instid1(VALU_DEP_1)
	v_add_f64 v[39:40], v[35:36], -v[39:40]
	v_add_f64 v[31:32], v[39:40], -v[31:32]
	;; [unrolled: 1-line block ×3, first 2 shown]
	s_delay_alu instid0(VALU_DEP_1) | instskip(NEXT) | instid1(VALU_DEP_1)
	v_add_f64 v[29:30], v[29:30], -v[39:40]
	v_add_f64 v[29:30], v[29:30], -v[35:36]
	s_delay_alu instid0(VALU_DEP_1) | instskip(SKIP_1) | instid1(VALU_DEP_2)
	v_add_f64 v[29:30], v[31:32], v[29:30]
	v_cvt_f64_i32_e32 v[31:32], v10
	v_add_f64 v[29:30], v[39:40], v[29:30]
	s_delay_alu instid0(VALU_DEP_1) | instskip(NEXT) | instid1(VALU_DEP_3)
	v_mul_f64 v[29:30], v[33:34], v[29:30]
	v_mul_f64 v[33:34], v[31:32], s[28:29]
	s_delay_alu instid0(VALU_DEP_1) | instskip(NEXT) | instid1(VALU_DEP_1)
	v_fma_f64 v[35:36], v[31:32], s[28:29], -v[33:34]
	v_fma_f64 v[31:32], v[31:32], s[30:31], v[35:36]
	s_delay_alu instid0(VALU_DEP_4) | instskip(NEXT) | instid1(VALU_DEP_1)
	v_add_f64 v[35:36], v[37:38], v[29:30]
	v_add_f64 v[37:38], v[35:36], -v[37:38]
	s_delay_alu instid0(VALU_DEP_1) | instskip(SKIP_1) | instid1(VALU_DEP_2)
	v_add_f64 v[29:30], v[29:30], -v[37:38]
	v_mul_f64 v[37:38], v[35:36], v[35:36]
	v_ldexp_f64 v[29:30], v[29:30], 1
	s_delay_alu instid0(VALU_DEP_2) | instskip(NEXT) | instid1(VALU_DEP_1)
	v_fma_f64 v[39:40], v[37:38], s[18:19], s[16:17]
	v_fma_f64 v[39:40], v[37:38], v[39:40], s[20:21]
	s_delay_alu instid0(VALU_DEP_1) | instskip(NEXT) | instid1(VALU_DEP_1)
	v_fma_f64 v[39:40], v[37:38], v[39:40], s[22:23]
	v_fma_f64 v[39:40], v[37:38], v[39:40], s[24:25]
	s_delay_alu instid0(VALU_DEP_1) | instskip(NEXT) | instid1(VALU_DEP_1)
	v_fma_f64 v[39:40], v[37:38], v[39:40], s[26:27]
	v_fma_f64 v[39:40], v[37:38], v[39:40], s[14:15]
	v_mul_f64 v[37:38], v[35:36], v[37:38]
	v_ldexp_f64 v[35:36], v[35:36], 1
	s_delay_alu instid0(VALU_DEP_2) | instskip(NEXT) | instid1(VALU_DEP_1)
	v_mul_f64 v[37:38], v[37:38], v[39:40]
	v_add_f64 v[39:40], v[35:36], v[37:38]
	s_delay_alu instid0(VALU_DEP_1) | instskip(NEXT) | instid1(VALU_DEP_1)
	v_add_f64 v[35:36], v[39:40], -v[35:36]
	v_add_f64 v[35:36], v[37:38], -v[35:36]
	s_delay_alu instid0(VALU_DEP_1) | instskip(SKIP_1) | instid1(VALU_DEP_1)
	v_add_f64 v[29:30], v[29:30], v[35:36]
	v_add_f64 v[35:36], v[33:34], v[31:32]
	v_add_f64 v[33:34], v[35:36], -v[33:34]
	s_delay_alu instid0(VALU_DEP_1) | instskip(NEXT) | instid1(VALU_DEP_4)
	v_add_f64 v[31:32], v[31:32], -v[33:34]
	v_add_f64 v[33:34], v[39:40], v[29:30]
	s_delay_alu instid0(VALU_DEP_1) | instskip(SKIP_1) | instid1(VALU_DEP_2)
	v_add_f64 v[37:38], v[33:34], -v[39:40]
	v_add_f64 v[39:40], v[35:36], v[33:34]
	v_add_f64 v[29:30], v[29:30], -v[37:38]
	s_delay_alu instid0(VALU_DEP_2) | instskip(NEXT) | instid1(VALU_DEP_1)
	v_add_f64 v[41:42], v[39:40], -v[35:36]
	v_add_f64 v[33:34], v[33:34], -v[41:42]
	;; [unrolled: 1-line block ×3, first 2 shown]
	s_delay_alu instid0(VALU_DEP_1) | instskip(NEXT) | instid1(VALU_DEP_1)
	v_add_f64 v[35:36], v[35:36], -v[41:42]
	v_add_f64 v[33:34], v[33:34], v[35:36]
	v_add_f64 v[35:36], v[31:32], v[29:30]
	s_delay_alu instid0(VALU_DEP_1) | instskip(NEXT) | instid1(VALU_DEP_3)
	v_add_f64 v[37:38], v[35:36], -v[31:32]
	v_add_f64 v[33:34], v[35:36], v[33:34]
	s_delay_alu instid0(VALU_DEP_2) | instskip(SKIP_1) | instid1(VALU_DEP_1)
	v_add_f64 v[29:30], v[29:30], -v[37:38]
	v_add_f64 v[37:38], v[35:36], -v[37:38]
	;; [unrolled: 1-line block ×3, first 2 shown]
	s_delay_alu instid0(VALU_DEP_1) | instskip(SKIP_1) | instid1(VALU_DEP_1)
	v_add_f64 v[29:30], v[29:30], v[31:32]
	v_add_f64 v[31:32], v[39:40], v[33:34]
	v_add_f64 v[35:36], v[31:32], -v[39:40]
	s_delay_alu instid0(VALU_DEP_1) | instskip(NEXT) | instid1(VALU_DEP_1)
	v_add_f64 v[33:34], v[33:34], -v[35:36]
	v_add_f64 v[29:30], v[29:30], v[33:34]
	s_delay_alu instid0(VALU_DEP_1) | instskip(NEXT) | instid1(VALU_DEP_1)
	v_add_f64 v[29:30], v[31:32], v[29:30]
	v_dual_cndmask_b32 v26, v30, v26 :: v_dual_cndmask_b32 v25, v29, v25
	v_mul_f64 v[29:30], v[27:28], v[27:28]
	v_cmp_neq_f64_e32 vcc_lo, 0, v[1:2]
	s_delay_alu instid0(VALU_DEP_3) | instskip(NEXT) | instid1(VALU_DEP_3)
	v_add_f64 v[25:26], v[25:26], -1.0
	v_fma_f64 v[31:32], v[29:30], s[78:79], s[76:77]
	s_mov_b32 s76, 0x8c0fe741
	s_mov_b32 s77, 0xbf4380cb
	;; [unrolled: 1-line block ×3, first 2 shown]
	s_delay_alu instid0(VALU_DEP_2) | instskip(NEXT) | instid1(VALU_DEP_3)
	v_cndmask_b32_e32 v26, 0xfff00000, v26, vcc_lo
	v_cndmask_b32_e32 v25, 0, v25, vcc_lo
	s_mov_b32 s79, 0x3f00bfec
	s_delay_alu instid0(VALU_DEP_3)
	v_fma_f64 v[31:32], v[29:30], v[31:32], s[76:77]
	s_mov_b32 s76, 0x98cf38b6
	s_mov_b32 s77, 0x3f4a019f
	s_delay_alu instid0(VALU_DEP_1) | instid1(SALU_CYCLE_1)
	v_fma_f64 v[31:32], v[29:30], v[31:32], s[76:77]
	s_mov_b32 s76, 0x16b02e5c
	s_mov_b32 s77, 0xbf66c16c
	s_delay_alu instid0(VALU_DEP_1) | instid1(SALU_CYCLE_1)
	;; [unrolled: 4-line block ×4, first 2 shown]
	v_fma_f64 v[27:28], v[27:28], v[29:30], s[76:77]
	v_add_f64 v[29:30], |v[1:2]|, -0.5
	s_mov_b32 s76, 0x7368f239
	s_mov_b32 s77, 0x3f5e26b6
	s_delay_alu instid0(VALU_DEP_1)
	v_fma_f64 v[25:26], v[29:30], v[25:26], v[27:28]
.LBB8_80:                               ;   in Loop: Header=BB8_5 Depth=1
	s_or_b32 exec_lo, exec_lo, s2
.LBB8_81:                               ;   in Loop: Header=BB8_5 Depth=1
	s_and_not1_saveexec_b32 s75, s3
	s_cbranch_execz .LBB8_83
; %bb.82:                               ;   in Loop: Header=BB8_5 Depth=1
	v_cvt_i32_f64_e32 v10, v[23:24]
	s_mov_b32 s2, 0x7e939961
	s_mov_b32 s3, 0x3f9b481c
	;; [unrolled: 1-line block ×4, first 2 shown]
	s_mov_b32 vcc_lo, s60
	s_mov_b32 s15, s69
	s_delay_alu instid0(VALU_DEP_1) | instskip(NEXT) | instid1(VALU_DEP_1)
	v_cvt_f64_i32_e32 v[25:26], v10
	v_add_f64 v[25:26], |v[1:2]|, -v[25:26]
	s_delay_alu instid0(VALU_DEP_1) | instskip(NEXT) | instid1(VALU_DEP_1)
	v_fma_f64 v[27:28], v[25:26], s[78:79], s[76:77]
	v_fma_f64 v[27:28], v[25:26], v[27:28], s[2:3]
	s_mov_b32 s2, 0xca41a95b
	s_mov_b32 s3, 0x3f497dda
	s_delay_alu instid0(SALU_CYCLE_1)
	v_fma_f64 v[29:30], v[25:26], s[80:81], s[2:3]
	s_mov_b32 s2, 0x742ed475
	s_mov_b32 s3, 0x3f9317ea
	s_delay_alu instid0(VALU_DEP_1) | instid1(SALU_CYCLE_1)
	v_fma_f64 v[29:30], v[25:26], v[29:30], s[2:3]
	s_mov_b32 s2, 0xbee5f2f7
	s_mov_b32 s3, 0x3fc2bb9c
	s_delay_alu instid0(VALU_DEP_3) | instid1(SALU_CYCLE_1)
	v_fma_f64 v[27:28], v[25:26], v[27:28], s[2:3]
	s_mov_b32 s2, 0xccfbdf27
	s_mov_b32 s3, 0x3fc601ed
	s_delay_alu instid0(VALU_DEP_2) | instid1(SALU_CYCLE_1)
	v_fma_f64 v[29:30], v[25:26], v[29:30], s[2:3]
	s_mov_b32 s2, 0x4f139f59
	s_mov_b32 s3, 0x3fd4d98f
	s_delay_alu instid0(VALU_DEP_2) | instid1(SALU_CYCLE_1)
	;; [unrolled: 4-line block ×5, first 2 shown]
	v_fma_f64 v[29:30], v[25:26], v[29:30], s[2:3]
	s_delay_alu instid0(VALU_DEP_2) | instskip(NEXT) | instid1(VALU_DEP_2)
	v_fma_f64 v[27:28], v[25:26], v[27:28], vcc
	v_fma_f64 v[29:30], v[25:26], v[29:30], 1.0
	s_delay_alu instid0(VALU_DEP_2) | instskip(NEXT) | instid1(VALU_DEP_1)
	v_mul_f64 v[27:28], v[25:26], v[27:28]
	v_div_scale_f64 v[31:32], null, v[29:30], v[29:30], v[27:28]
	s_delay_alu instid0(VALU_DEP_1) | instskip(SKIP_2) | instid1(VALU_DEP_1)
	v_rcp_f64_e32 v[33:34], v[31:32]
	s_waitcnt_depctr 0xfff
	v_fma_f64 v[35:36], -v[31:32], v[33:34], 1.0
	v_fma_f64 v[33:34], v[33:34], v[35:36], v[33:34]
	s_delay_alu instid0(VALU_DEP_1) | instskip(NEXT) | instid1(VALU_DEP_1)
	v_fma_f64 v[35:36], -v[31:32], v[33:34], 1.0
	v_fma_f64 v[33:34], v[33:34], v[35:36], v[33:34]
	v_div_scale_f64 v[35:36], vcc_lo, v[27:28], v[29:30], v[27:28]
	s_delay_alu instid0(VALU_DEP_1) | instskip(NEXT) | instid1(VALU_DEP_1)
	v_mul_f64 v[37:38], v[35:36], v[33:34]
	v_fma_f64 v[31:32], -v[31:32], v[37:38], v[35:36]
	s_delay_alu instid0(VALU_DEP_1) | instskip(SKIP_1) | instid1(VALU_DEP_2)
	v_div_fmas_f64 v[31:32], v[31:32], v[33:34], v[37:38]
	v_cmp_lt_i32_e32 vcc_lo, 2, v10
	v_div_fixup_f64 v[27:28], v[31:32], v[29:30], v[27:28]
	v_add_f64 v[29:30], v[25:26], 2.0
	v_add_f64 v[31:32], 0x40080000, v[25:26]
	s_delay_alu instid0(VALU_DEP_2) | instskip(NEXT) | instid1(VALU_DEP_3)
	v_cndmask_b32_e32 v30, 0x3ff00000, v30, vcc_lo
	v_cndmask_b32_e32 v29, 0, v29, vcc_lo
	v_cmp_lt_i32_e32 vcc_lo, 3, v10
	s_delay_alu instid0(VALU_DEP_4) | instskip(SKIP_2) | instid1(VALU_DEP_2)
	v_cndmask_b32_e32 v32, 0x3ff00000, v32, vcc_lo
	v_cndmask_b32_e32 v31, 0, v31, vcc_lo
	v_cmp_lt_i32_e32 vcc_lo, 4, v10
	v_mul_f64 v[29:30], v[29:30], v[31:32]
	v_add_f64 v[31:32], v[25:26], 4.0
	s_delay_alu instid0(VALU_DEP_1) | instskip(NEXT) | instid1(VALU_DEP_2)
	v_cndmask_b32_e32 v32, 0x3ff00000, v32, vcc_lo
	v_cndmask_b32_e32 v31, 0, v31, vcc_lo
	v_cmp_lt_i32_e32 vcc_lo, 5, v10
	s_delay_alu instid0(VALU_DEP_2) | instskip(SKIP_1) | instid1(VALU_DEP_1)
	v_mul_f64 v[29:30], v[31:32], v[29:30]
	v_add_f64 v[31:32], 0x40140000, v[25:26]
	v_cndmask_b32_e32 v32, 0x3ff00000, v32, vcc_lo
	s_delay_alu instid0(VALU_DEP_2) | instskip(SKIP_1) | instid1(VALU_DEP_2)
	v_cndmask_b32_e32 v31, 0, v31, vcc_lo
	v_cmp_lt_i32_e32 vcc_lo, 6, v10
	v_mul_f64 v[29:30], v[31:32], v[29:30]
	v_add_f64 v[31:32], 0x40180000, v[25:26]
	v_fma_f64 v[25:26], v[25:26], 0.5, v[27:28]
	s_delay_alu instid0(VALU_DEP_2) | instskip(NEXT) | instid1(VALU_DEP_3)
	v_cndmask_b32_e32 v32, 0x3ff00000, v32, vcc_lo
	v_cndmask_b32_e32 v31, 0, v31, vcc_lo
	s_delay_alu instid0(VALU_DEP_1) | instskip(NEXT) | instid1(VALU_DEP_1)
	v_mul_f64 v[29:30], v[31:32], v[29:30]
	v_frexp_mant_f64_e32 v[31:32], v[29:30]
	v_cmp_nge_f64_e64 s2, 0, v[29:30]
	v_cmp_neq_f64_e64 s3, 0, v[29:30]
	s_delay_alu instid0(VALU_DEP_3) | instskip(SKIP_1) | instid1(VALU_DEP_1)
	v_cmp_gt_f64_e32 vcc_lo, s[68:69], v[31:32]
	v_cndmask_b32_e64 v10, 0x3ff00000, 2.0, vcc_lo
	v_mul_f64 v[31:32], v[31:32], v[9:10]
	v_frexp_exp_i32_f64_e32 v10, v[29:30]
	s_delay_alu instid0(VALU_DEP_2) | instskip(NEXT) | instid1(VALU_DEP_2)
	v_add_f64 v[33:34], v[31:32], 1.0
	v_subrev_co_ci_u32_e32 v10, vcc_lo, 0, v10, vcc_lo
	v_cmp_class_f64_e64 vcc_lo, v[29:30], 0x204
	s_delay_alu instid0(VALU_DEP_3) | instskip(SKIP_2) | instid1(VALU_DEP_1)
	v_rcp_f64_e32 v[35:36], v[33:34]
	s_waitcnt_depctr 0xfff
	v_fma_f64 v[37:38], -v[33:34], v[35:36], 1.0
	v_fma_f64 v[35:36], v[37:38], v[35:36], v[35:36]
	s_delay_alu instid0(VALU_DEP_1) | instskip(NEXT) | instid1(VALU_DEP_1)
	v_fma_f64 v[37:38], -v[33:34], v[35:36], 1.0
	v_fma_f64 v[35:36], v[37:38], v[35:36], v[35:36]
	v_add_f64 v[37:38], v[33:34], -1.0
	s_delay_alu instid0(VALU_DEP_1) | instskip(SKIP_1) | instid1(VALU_DEP_1)
	v_add_f64 v[37:38], v[31:32], -v[37:38]
	v_add_f64 v[31:32], v[31:32], -1.0
	v_mul_f64 v[39:40], v[31:32], v[35:36]
	s_delay_alu instid0(VALU_DEP_1) | instskip(NEXT) | instid1(VALU_DEP_1)
	v_mul_f64 v[41:42], v[33:34], v[39:40]
	v_fma_f64 v[33:34], v[39:40], v[33:34], -v[41:42]
	s_delay_alu instid0(VALU_DEP_1) | instskip(NEXT) | instid1(VALU_DEP_1)
	v_fma_f64 v[33:34], v[39:40], v[37:38], v[33:34]
	v_add_f64 v[37:38], v[41:42], v[33:34]
	s_delay_alu instid0(VALU_DEP_1) | instskip(NEXT) | instid1(VALU_DEP_1)
	v_add_f64 v[41:42], v[37:38], -v[41:42]
	v_add_f64 v[33:34], v[41:42], -v[33:34]
	;; [unrolled: 1-line block ×3, first 2 shown]
	s_delay_alu instid0(VALU_DEP_1) | instskip(NEXT) | instid1(VALU_DEP_1)
	v_add_f64 v[31:32], v[31:32], -v[41:42]
	v_add_f64 v[31:32], v[31:32], -v[37:38]
	s_delay_alu instid0(VALU_DEP_1) | instskip(SKIP_1) | instid1(VALU_DEP_2)
	v_add_f64 v[31:32], v[33:34], v[31:32]
	v_cvt_f64_i32_e32 v[33:34], v10
	v_add_f64 v[31:32], v[41:42], v[31:32]
	s_delay_alu instid0(VALU_DEP_1) | instskip(NEXT) | instid1(VALU_DEP_3)
	v_mul_f64 v[31:32], v[35:36], v[31:32]
	v_mul_f64 v[35:36], v[33:34], s[28:29]
	s_delay_alu instid0(VALU_DEP_1) | instskip(NEXT) | instid1(VALU_DEP_1)
	v_fma_f64 v[37:38], v[33:34], s[28:29], -v[35:36]
	v_fma_f64 v[33:34], v[33:34], s[30:31], v[37:38]
	s_delay_alu instid0(VALU_DEP_4) | instskip(NEXT) | instid1(VALU_DEP_1)
	v_add_f64 v[37:38], v[39:40], v[31:32]
	v_add_f64 v[39:40], v[37:38], -v[39:40]
	s_delay_alu instid0(VALU_DEP_1) | instskip(SKIP_1) | instid1(VALU_DEP_2)
	v_add_f64 v[31:32], v[31:32], -v[39:40]
	v_mul_f64 v[39:40], v[37:38], v[37:38]
	v_ldexp_f64 v[31:32], v[31:32], 1
	s_delay_alu instid0(VALU_DEP_2) | instskip(NEXT) | instid1(VALU_DEP_1)
	v_fma_f64 v[41:42], v[39:40], s[18:19], s[16:17]
	v_fma_f64 v[41:42], v[39:40], v[41:42], s[20:21]
	s_delay_alu instid0(VALU_DEP_1) | instskip(NEXT) | instid1(VALU_DEP_1)
	v_fma_f64 v[41:42], v[39:40], v[41:42], s[22:23]
	v_fma_f64 v[41:42], v[39:40], v[41:42], s[24:25]
	s_delay_alu instid0(VALU_DEP_1) | instskip(NEXT) | instid1(VALU_DEP_1)
	v_fma_f64 v[41:42], v[39:40], v[41:42], s[26:27]
	v_fma_f64 v[41:42], v[39:40], v[41:42], s[14:15]
	v_mul_f64 v[39:40], v[37:38], v[39:40]
	v_ldexp_f64 v[37:38], v[37:38], 1
	s_delay_alu instid0(VALU_DEP_2) | instskip(NEXT) | instid1(VALU_DEP_1)
	v_mul_f64 v[39:40], v[39:40], v[41:42]
	v_add_f64 v[41:42], v[37:38], v[39:40]
	s_delay_alu instid0(VALU_DEP_1) | instskip(NEXT) | instid1(VALU_DEP_1)
	v_add_f64 v[37:38], v[41:42], -v[37:38]
	v_add_f64 v[37:38], v[39:40], -v[37:38]
	s_delay_alu instid0(VALU_DEP_1) | instskip(SKIP_1) | instid1(VALU_DEP_1)
	v_add_f64 v[31:32], v[31:32], v[37:38]
	v_add_f64 v[37:38], v[35:36], v[33:34]
	v_add_f64 v[35:36], v[37:38], -v[35:36]
	s_delay_alu instid0(VALU_DEP_1) | instskip(NEXT) | instid1(VALU_DEP_4)
	v_add_f64 v[33:34], v[33:34], -v[35:36]
	v_add_f64 v[35:36], v[41:42], v[31:32]
	s_delay_alu instid0(VALU_DEP_1) | instskip(SKIP_1) | instid1(VALU_DEP_2)
	v_add_f64 v[39:40], v[35:36], -v[41:42]
	v_add_f64 v[41:42], v[37:38], v[35:36]
	v_add_f64 v[31:32], v[31:32], -v[39:40]
	s_delay_alu instid0(VALU_DEP_2) | instskip(NEXT) | instid1(VALU_DEP_1)
	v_add_f64 v[43:44], v[41:42], -v[37:38]
	v_add_f64 v[35:36], v[35:36], -v[43:44]
	;; [unrolled: 1-line block ×3, first 2 shown]
	s_delay_alu instid0(VALU_DEP_1) | instskip(NEXT) | instid1(VALU_DEP_1)
	v_add_f64 v[37:38], v[37:38], -v[43:44]
	v_add_f64 v[35:36], v[35:36], v[37:38]
	v_add_f64 v[37:38], v[33:34], v[31:32]
	s_delay_alu instid0(VALU_DEP_1) | instskip(NEXT) | instid1(VALU_DEP_3)
	v_add_f64 v[39:40], v[37:38], -v[33:34]
	v_add_f64 v[35:36], v[37:38], v[35:36]
	s_delay_alu instid0(VALU_DEP_2) | instskip(SKIP_1) | instid1(VALU_DEP_1)
	v_add_f64 v[31:32], v[31:32], -v[39:40]
	v_add_f64 v[39:40], v[37:38], -v[39:40]
	;; [unrolled: 1-line block ×3, first 2 shown]
	s_delay_alu instid0(VALU_DEP_1) | instskip(SKIP_1) | instid1(VALU_DEP_1)
	v_add_f64 v[31:32], v[31:32], v[33:34]
	v_add_f64 v[33:34], v[41:42], v[35:36]
	v_add_f64 v[37:38], v[33:34], -v[41:42]
	s_delay_alu instid0(VALU_DEP_1) | instskip(NEXT) | instid1(VALU_DEP_1)
	v_add_f64 v[35:36], v[35:36], -v[37:38]
	v_add_f64 v[31:32], v[31:32], v[35:36]
	s_delay_alu instid0(VALU_DEP_1) | instskip(NEXT) | instid1(VALU_DEP_1)
	v_add_f64 v[31:32], v[33:34], v[31:32]
	v_dual_cndmask_b32 v10, v31, v29 :: v_dual_cndmask_b32 v15, v32, v30
	v_cmp_ngt_f64_e32 vcc_lo, 0, v[29:30]
	s_delay_alu instid0(VALU_DEP_2) | instskip(NEXT) | instid1(VALU_DEP_3)
	v_cndmask_b32_e64 v27, 0, v10, s2
	v_cndmask_b32_e32 v15, 0x7ff80000, v15, vcc_lo
	s_delay_alu instid0(VALU_DEP_1) | instskip(NEXT) | instid1(VALU_DEP_1)
	v_cndmask_b32_e64 v28, 0xfff00000, v15, s3
	v_add_f64 v[25:26], v[25:26], v[27:28]
.LBB8_83:                               ;   in Loop: Header=BB8_5 Depth=1
	s_or_b32 exec_lo, exec_lo, s75
.LBB8_84:                               ;   in Loop: Header=BB8_5 Depth=1
	s_and_not1_saveexec_b32 s74, s74
	s_cbranch_execz .LBB8_98
; %bb.85:                               ;   in Loop: Header=BB8_5 Depth=1
	s_mov_b32 s15, exec_lo
                                        ; implicit-def: $sgpr2_sgpr3
                                        ; implicit-def: $vgpr10
                                        ; implicit-def: $vgpr27_vgpr28
	v_cmpx_lt_u32_e32 0x3feccccc, v24
	s_xor_b32 s15, exec_lo, s15
	s_cbranch_execz .LBB8_87
; %bb.86:                               ;   in Loop: Header=BB8_5 Depth=1
	s_mov_b32 s2, 0x6356be3f
	s_mov_b32 s3, 0xbff762d8
	v_add_f64 v[25:26], -|v[1:2]|, 2.0
	v_add_f64 v[27:28], |v[1:2]|, s[2:3]
	v_add_f64 v[29:30], |v[1:2]|, -1.0
	v_cmp_gt_u32_e32 vcc_lo, 0x3ffbb4c3, v24
	v_cmp_gt_u32_e64 s2, 0x3ff3b4c4, v24
	v_cndmask_b32_e64 v19, 0, 1, vcc_lo
	v_dual_cndmask_b32 v10, v26, v28 :: v_dual_cndmask_b32 v15, v25, v27
	s_delay_alu instid0(VALU_DEP_1) | instskip(NEXT) | instid1(VALU_DEP_2)
	v_cndmask_b32_e64 v28, v10, v30, s2
	v_cndmask_b32_e64 v27, v15, v29, s2
	s_delay_alu instid0(VALU_DEP_4)
	v_cndmask_b32_e64 v10, v19, 2, s2
	s_mov_b64 s[2:3], 0
.LBB8_87:                               ;   in Loop: Header=BB8_5 Depth=1
	s_or_saveexec_b32 s75, s15
	v_dual_mov_b32 v26, s3 :: v_dual_mov_b32 v25, s2
	s_xor_b32 exec_lo, exec_lo, s75
	s_cbranch_execz .LBB8_89
; %bb.88:                               ;   in Loop: Header=BB8_5 Depth=1
	s_mov_b32 s2, 0x8d5af8fc
	s_mov_b32 s3, 0xbfdd8b61
	v_add_f64 v[25:26], -|v[1:2]|, 1.0
	v_add_f64 v[27:28], |v[1:2]|, s[2:3]
	v_cmp_gt_u32_e32 vcc_lo, 0x3fe76944, v24
	s_mov_b32 s15, s69
	v_cmp_gt_u32_e64 s3, 0x3fcda661, v24
	s_delay_alu instid0(VALU_DEP_3) | instskip(NEXT) | instid1(VALU_DEP_4)
	v_cndmask_b32_e32 v15, v25, v27, vcc_lo
	v_cndmask_b32_e32 v19, v26, v28, vcc_lo
	v_frexp_mant_f64_e64 v[25:26], |v[1:2]|
	s_delay_alu instid0(VALU_DEP_1) | instskip(NEXT) | instid1(VALU_DEP_1)
	v_cmp_gt_f64_e64 s2, s[68:69], v[25:26]
	v_cndmask_b32_e64 v10, 0x3ff00000, 2.0, s2
	s_delay_alu instid0(VALU_DEP_1) | instskip(SKIP_1) | instid1(VALU_DEP_2)
	v_mul_f64 v[25:26], v[25:26], v[9:10]
	v_frexp_exp_i32_f64_e32 v10, v[1:2]
	v_add_f64 v[27:28], v[25:26], 1.0
	s_delay_alu instid0(VALU_DEP_2) | instskip(SKIP_1) | instid1(VALU_DEP_3)
	v_subrev_co_ci_u32_e64 v10, s2, 0, v10, s2
	v_cmp_class_f64_e64 s2, v[1:2], 0x204
	v_rcp_f64_e32 v[29:30], v[27:28]
	s_waitcnt_depctr 0xfff
	v_fma_f64 v[31:32], -v[27:28], v[29:30], 1.0
	s_delay_alu instid0(VALU_DEP_1) | instskip(NEXT) | instid1(VALU_DEP_1)
	v_fma_f64 v[29:30], v[31:32], v[29:30], v[29:30]
	v_fma_f64 v[31:32], -v[27:28], v[29:30], 1.0
	s_delay_alu instid0(VALU_DEP_1) | instskip(SKIP_1) | instid1(VALU_DEP_1)
	v_fma_f64 v[29:30], v[31:32], v[29:30], v[29:30]
	v_add_f64 v[31:32], v[27:28], -1.0
	v_add_f64 v[31:32], v[25:26], -v[31:32]
	v_add_f64 v[25:26], v[25:26], -1.0
	s_delay_alu instid0(VALU_DEP_1) | instskip(NEXT) | instid1(VALU_DEP_1)
	v_mul_f64 v[33:34], v[25:26], v[29:30]
	v_mul_f64 v[35:36], v[27:28], v[33:34]
	s_delay_alu instid0(VALU_DEP_1) | instskip(NEXT) | instid1(VALU_DEP_1)
	v_fma_f64 v[27:28], v[33:34], v[27:28], -v[35:36]
	v_fma_f64 v[27:28], v[33:34], v[31:32], v[27:28]
	s_delay_alu instid0(VALU_DEP_1) | instskip(NEXT) | instid1(VALU_DEP_1)
	v_add_f64 v[31:32], v[35:36], v[27:28]
	v_add_f64 v[35:36], v[31:32], -v[35:36]
	s_delay_alu instid0(VALU_DEP_1) | instskip(SKIP_1) | instid1(VALU_DEP_1)
	v_add_f64 v[27:28], v[35:36], -v[27:28]
	v_add_f64 v[35:36], v[25:26], -v[31:32]
	;; [unrolled: 1-line block ×3, first 2 shown]
	s_delay_alu instid0(VALU_DEP_1) | instskip(NEXT) | instid1(VALU_DEP_1)
	v_add_f64 v[25:26], v[25:26], -v[31:32]
	v_add_f64 v[25:26], v[27:28], v[25:26]
	v_cvt_f64_i32_e32 v[27:28], v10
	v_and_b32_e32 v10, 0x7fffffff, v2
	s_delay_alu instid0(VALU_DEP_3) | instskip(NEXT) | instid1(VALU_DEP_1)
	v_add_f64 v[25:26], v[35:36], v[25:26]
	v_mul_f64 v[25:26], v[29:30], v[25:26]
	s_delay_alu instid0(VALU_DEP_4) | instskip(NEXT) | instid1(VALU_DEP_1)
	v_mul_f64 v[29:30], v[27:28], s[28:29]
	v_fma_f64 v[31:32], v[27:28], s[28:29], -v[29:30]
	s_delay_alu instid0(VALU_DEP_1) | instskip(NEXT) | instid1(VALU_DEP_4)
	v_fma_f64 v[27:28], v[27:28], s[30:31], v[31:32]
	v_add_f64 v[31:32], v[33:34], v[25:26]
	s_delay_alu instid0(VALU_DEP_1) | instskip(NEXT) | instid1(VALU_DEP_1)
	v_add_f64 v[33:34], v[31:32], -v[33:34]
	v_add_f64 v[25:26], v[25:26], -v[33:34]
	v_mul_f64 v[33:34], v[31:32], v[31:32]
	s_delay_alu instid0(VALU_DEP_2) | instskip(NEXT) | instid1(VALU_DEP_2)
	v_ldexp_f64 v[25:26], v[25:26], 1
	v_fma_f64 v[35:36], v[33:34], s[18:19], s[16:17]
	s_delay_alu instid0(VALU_DEP_1) | instskip(NEXT) | instid1(VALU_DEP_1)
	v_fma_f64 v[35:36], v[33:34], v[35:36], s[20:21]
	v_fma_f64 v[35:36], v[33:34], v[35:36], s[22:23]
	s_delay_alu instid0(VALU_DEP_1) | instskip(NEXT) | instid1(VALU_DEP_1)
	v_fma_f64 v[35:36], v[33:34], v[35:36], s[24:25]
	v_fma_f64 v[35:36], v[33:34], v[35:36], s[26:27]
	s_delay_alu instid0(VALU_DEP_1) | instskip(SKIP_2) | instid1(VALU_DEP_2)
	v_fma_f64 v[35:36], v[33:34], v[35:36], s[14:15]
	v_mul_f64 v[33:34], v[31:32], v[33:34]
	v_ldexp_f64 v[31:32], v[31:32], 1
	v_mul_f64 v[33:34], v[33:34], v[35:36]
	s_delay_alu instid0(VALU_DEP_1) | instskip(NEXT) | instid1(VALU_DEP_1)
	v_add_f64 v[35:36], v[31:32], v[33:34]
	v_add_f64 v[31:32], v[35:36], -v[31:32]
	s_delay_alu instid0(VALU_DEP_1) | instskip(NEXT) | instid1(VALU_DEP_1)
	v_add_f64 v[31:32], v[33:34], -v[31:32]
	v_add_f64 v[25:26], v[25:26], v[31:32]
	v_add_f64 v[31:32], v[29:30], v[27:28]
	s_delay_alu instid0(VALU_DEP_1) | instskip(NEXT) | instid1(VALU_DEP_1)
	v_add_f64 v[29:30], v[31:32], -v[29:30]
	v_add_f64 v[27:28], v[27:28], -v[29:30]
	s_delay_alu instid0(VALU_DEP_4) | instskip(NEXT) | instid1(VALU_DEP_1)
	v_add_f64 v[29:30], v[35:36], v[25:26]
	v_add_f64 v[33:34], v[29:30], -v[35:36]
	v_add_f64 v[35:36], v[31:32], v[29:30]
	s_delay_alu instid0(VALU_DEP_2) | instskip(NEXT) | instid1(VALU_DEP_2)
	v_add_f64 v[25:26], v[25:26], -v[33:34]
	v_add_f64 v[37:38], v[35:36], -v[31:32]
	s_delay_alu instid0(VALU_DEP_1) | instskip(SKIP_1) | instid1(VALU_DEP_1)
	v_add_f64 v[29:30], v[29:30], -v[37:38]
	v_add_f64 v[37:38], v[35:36], -v[37:38]
	;; [unrolled: 1-line block ×3, first 2 shown]
	s_delay_alu instid0(VALU_DEP_1) | instskip(SKIP_1) | instid1(VALU_DEP_1)
	v_add_f64 v[29:30], v[29:30], v[31:32]
	v_add_f64 v[31:32], v[27:28], v[25:26]
	v_add_f64 v[33:34], v[31:32], -v[27:28]
	s_delay_alu instid0(VALU_DEP_3) | instskip(NEXT) | instid1(VALU_DEP_2)
	v_add_f64 v[29:30], v[31:32], v[29:30]
	v_add_f64 v[25:26], v[25:26], -v[33:34]
	v_add_f64 v[33:34], v[31:32], -v[33:34]
	s_delay_alu instid0(VALU_DEP_1) | instskip(NEXT) | instid1(VALU_DEP_1)
	v_add_f64 v[27:28], v[27:28], -v[33:34]
	v_add_f64 v[25:26], v[25:26], v[27:28]
	v_add_f64 v[27:28], v[35:36], v[29:30]
	s_delay_alu instid0(VALU_DEP_1) | instskip(NEXT) | instid1(VALU_DEP_1)
	v_add_f64 v[31:32], v[27:28], -v[35:36]
	v_add_f64 v[29:30], v[29:30], -v[31:32]
	s_delay_alu instid0(VALU_DEP_1) | instskip(NEXT) | instid1(VALU_DEP_1)
	v_add_f64 v[25:26], v[25:26], v[29:30]
	v_add_f64 v[25:26], v[27:28], v[25:26]
	v_cndmask_b32_e64 v28, v19, v10, s3
	v_cndmask_b32_e64 v27, v15, v1, s3
	s_delay_alu instid0(VALU_DEP_3) | instskip(NEXT) | instid1(VALU_DEP_4)
	v_cndmask_b32_e64 v23, v25, v1, s2
	v_cndmask_b32_e64 v25, -v26, -v10, s2
	v_cmp_neq_f64_e64 s2, 0, v[1:2]
	v_cndmask_b32_e64 v10, 0, 1, vcc_lo
	s_delay_alu instid0(VALU_DEP_1) | instskip(NEXT) | instid1(VALU_DEP_3)
	v_cndmask_b32_e64 v10, v10, 2, s3
	v_cndmask_b32_e64 v26, 0x7ff00000, v25, s2
	;; [unrolled: 1-line block ×3, first 2 shown]
.LBB8_89:                               ;   in Loop: Header=BB8_5 Depth=1
	s_or_b32 exec_lo, exec_lo, s75
	s_delay_alu instid0(SALU_CYCLE_1)
	s_mov_b32 s2, exec_lo
                                        ; implicit-def: $vgpr31_vgpr32
	v_cmpx_lt_i32_e32 1, v10
	s_xor_b32 s2, exec_lo, s2
	s_cbranch_execz .LBB8_91
; %bb.90:                               ;   in Loop: Header=BB8_5 Depth=1
	s_mov_b32 s80, 0xf6010924
	s_mov_b32 s82, 0xbf2bab09
	s_mov_b32 s81, 0x3fcd4eae
	s_mov_b32 s83, 0x3f8b678b
	v_fma_f64 v[31:32], v[27:28], s[90:91], s[88:89]
	v_fma_f64 v[29:30], v[27:28], s[82:83], s[80:81]
	s_mov_b32 s80, 0x44ea8450
	s_mov_b32 s81, 0x3fef4976
	s_mov_b32 vcc_lo, s60
                                        ; implicit-def: $vgpr10
	s_delay_alu instid0(VALU_DEP_2) | instskip(NEXT) | instid1(VALU_DEP_2)
	v_fma_f64 v[31:32], v[27:28], v[31:32], s[92:93]
	v_fma_f64 v[29:30], v[27:28], v[29:30], s[80:81]
	s_delay_alu instid0(VALU_DEP_2) | instskip(NEXT) | instid1(VALU_DEP_2)
	v_fma_f64 v[31:32], v[27:28], v[31:32], s[94:95]
	v_fma_f64 v[29:30], v[27:28], v[29:30], s[84:85]
	;; [unrolled: 3-line block ×3, first 2 shown]
	s_delay_alu instid0(VALU_DEP_2) | instskip(NEXT) | instid1(VALU_DEP_2)
	v_fma_f64 v[31:32], v[27:28], v[31:32], 1.0
	v_fma_f64 v[29:30], v[27:28], v[29:30], vcc
	s_delay_alu instid0(VALU_DEP_1) | instskip(NEXT) | instid1(VALU_DEP_1)
	v_mul_f64 v[29:30], v[27:28], v[29:30]
	v_div_scale_f64 v[33:34], null, v[31:32], v[31:32], v[29:30]
	s_delay_alu instid0(VALU_DEP_1) | instskip(SKIP_2) | instid1(VALU_DEP_1)
	v_rcp_f64_e32 v[35:36], v[33:34]
	s_waitcnt_depctr 0xfff
	v_fma_f64 v[37:38], -v[33:34], v[35:36], 1.0
	v_fma_f64 v[35:36], v[35:36], v[37:38], v[35:36]
	s_delay_alu instid0(VALU_DEP_1) | instskip(NEXT) | instid1(VALU_DEP_1)
	v_fma_f64 v[37:38], -v[33:34], v[35:36], 1.0
	v_fma_f64 v[35:36], v[35:36], v[37:38], v[35:36]
	v_div_scale_f64 v[37:38], vcc_lo, v[29:30], v[31:32], v[29:30]
	s_delay_alu instid0(VALU_DEP_1) | instskip(NEXT) | instid1(VALU_DEP_1)
	v_mul_f64 v[39:40], v[37:38], v[35:36]
	v_fma_f64 v[33:34], -v[33:34], v[39:40], v[37:38]
	s_delay_alu instid0(VALU_DEP_1) | instskip(NEXT) | instid1(VALU_DEP_1)
	v_div_fmas_f64 v[33:34], v[33:34], v[35:36], v[39:40]
	v_div_fixup_f64 v[29:30], v[33:34], v[31:32], v[29:30]
	s_delay_alu instid0(VALU_DEP_1)
	v_fma_f64 v[31:32], v[27:28], -0.5, v[29:30]
                                        ; implicit-def: $vgpr27_vgpr28
.LBB8_91:                               ;   in Loop: Header=BB8_5 Depth=1
	s_and_not1_saveexec_b32 s2, s2
	s_cbranch_execz .LBB8_97
; %bb.92:                               ;   in Loop: Header=BB8_5 Depth=1
	v_mul_f64 v[29:30], v[27:28], v[27:28]
	s_mov_b32 s3, exec_lo
                                        ; implicit-def: $vgpr31_vgpr32
	v_cmpx_ne_u32_e32 1, v10
	s_xor_b32 s3, exec_lo, s3
	s_cbranch_execz .LBB8_94
; %bb.93:                               ;   in Loop: Header=BB8_5 Depth=1
	s_mov_b32 s80, 0x987dfb07
	s_mov_b32 s82, 0x90a45837
	;; [unrolled: 1-line block ×4, first 2 shown]
	s_delay_alu instid0(VALU_DEP_2) | instid1(SALU_CYCLE_1)
	v_fma_f64 v[31:32], v[29:30], s[82:83], s[80:81]
	s_mov_b32 s80, 0xed10e54d
	s_mov_b32 s82, 0x428cfa52
	;; [unrolled: 1-line block ×4, first 2 shown]
	s_delay_alu instid0(SALU_CYCLE_1)
	v_fma_f64 v[33:34], v[29:30], s[82:83], s[80:81]
	s_mov_b32 s80, 0x89b99c00
	s_mov_b32 s81, 0x3f40b6c6
	s_delay_alu instid0(VALU_DEP_2) | instid1(SALU_CYCLE_1)
	v_fma_f64 v[31:32], v[29:30], v[31:32], s[80:81]
	s_mov_b32 s80, 0x116f3f5d
	s_mov_b32 s81, 0x3f538a94
	s_delay_alu instid0(VALU_DEP_2) | instid1(SALU_CYCLE_1)
	v_fma_f64 v[33:34], v[29:30], v[33:34], s[80:81]
	s_mov_b32 s80, 0xccb7926b
	s_mov_b32 s81, 0x3f67add8
	s_delay_alu instid0(VALU_DEP_2) | instid1(SALU_CYCLE_1)
	v_fma_f64 v[31:32], v[29:30], v[31:32], s[80:81]
	s_mov_b32 s80, 0xb68fefe8
	s_mov_b32 s81, 0x3f7e404f
	s_delay_alu instid0(VALU_DEP_2) | instid1(SALU_CYCLE_1)
	v_fma_f64 v[33:34], v[29:30], v[33:34], s[80:81]
	s_mov_b32 s80, 0xac92547b
	s_mov_b32 s81, 0x3f951322
	s_delay_alu instid0(VALU_DEP_2) | instid1(SALU_CYCLE_1)
	v_fma_f64 v[31:32], v[29:30], v[31:32], s[80:81]
	s_mov_b32 s80, 0x1a5562a7
	s_mov_b32 s81, 0x3fb13e00
	s_delay_alu instid0(VALU_DEP_2) | instid1(SALU_CYCLE_1)
	v_fma_f64 v[33:34], v[29:30], v[33:34], s[80:81]
	s_mov_b32 s80, 0xc4a60fad
	s_mov_b32 s81, 0x3fd4a34c
	s_delay_alu instid0(VALU_DEP_2) | instid1(SALU_CYCLE_1)
	v_fma_f64 v[31:32], v[29:30], v[31:32], s[80:81]
	s_delay_alu instid0(VALU_DEP_2) | instskip(NEXT) | instid1(VALU_DEP_2)
	v_fma_f64 v[33:34], v[29:30], v[33:34], s[60:61]
	v_mul_f64 v[29:30], v[29:30], v[31:32]
	s_delay_alu instid0(VALU_DEP_1) | instskip(NEXT) | instid1(VALU_DEP_1)
	v_fma_f64 v[29:30], v[27:28], v[33:34], v[29:30]
	v_fma_f64 v[31:32], v[27:28], -0.5, v[29:30]
                                        ; implicit-def: $vgpr27_vgpr28
                                        ; implicit-def: $vgpr29_vgpr30
.LBB8_94:                               ;   in Loop: Header=BB8_5 Depth=1
	s_and_not1_saveexec_b32 s3, s3
	s_cbranch_execz .LBB8_96
; %bb.95:                               ;   in Loop: Header=BB8_5 Depth=1
	s_delay_alu instid0(VALU_DEP_2)
	v_mul_f64 v[31:32], v[27:28], v[29:30]
	s_mov_b32 s80, 0xef61a8e9
	s_mov_b32 s82, 0xecc38c38
	;; [unrolled: 1-line block ×4, first 2 shown]
	s_delay_alu instid0(VALU_DEP_1) | instid1(SALU_CYCLE_1)
	v_fma_f64 v[33:34], v[31:32], s[82:83], s[80:81]
	s_mov_b32 s80, 0x9c73e0ec
	s_mov_b32 s82, 0xe8c2d3f4
	;; [unrolled: 1-line block ×4, first 2 shown]
	s_delay_alu instid0(SALU_CYCLE_1) | instskip(SKIP_4) | instid1(VALU_DEP_2)
	v_fma_f64 v[35:36], v[31:32], s[82:83], s[80:81]
	s_mov_b32 s80, 0xb3e914d7
	s_mov_b32 s81, 0xbf6e2eff
	;; [unrolled: 1-line block ×4, first 2 shown]
	v_fma_f64 v[33:34], v[31:32], v[33:34], s[80:81]
	s_mov_b32 s80, 0x2e15c915
	s_mov_b32 s81, 0x3f6282d3
	s_delay_alu instid0(VALU_DEP_2) | instid1(SALU_CYCLE_1)
	v_fma_f64 v[35:36], v[31:32], v[35:36], s[80:81]
	s_mov_b32 s80, 0xbf2d1af1
	s_mov_b32 s81, 0xbf56fe8e
	s_delay_alu instid0(SALU_CYCLE_1)
	v_fma_f64 v[37:38], v[31:32], s[82:83], s[80:81]
	s_mov_b32 s80, 0x970af9ec
	s_mov_b32 s81, 0x3f9266e7
	s_delay_alu instid0(VALU_DEP_3) | instid1(SALU_CYCLE_1)
	v_fma_f64 v[33:34], v[31:32], v[33:34], s[80:81]
	s_mov_b32 s80, 0xba91ec6a
	s_mov_b32 s81, 0xbf851f9f
	s_delay_alu instid0(VALU_DEP_3) | instid1(SALU_CYCLE_1)
	;; [unrolled: 4-line block ×6, first 2 shown]
	v_fma_f64 v[37:38], v[31:32], v[37:38], s[80:81]
	s_mov_b32 s80, 0xc8ee38a2
	s_mov_b32 s81, 0x3fdef72b
	s_delay_alu instid0(VALU_DEP_2) | instskip(NEXT) | instid1(VALU_DEP_2)
	v_fma_f64 v[27:28], v[27:28], v[35:36], v[33:34]
	v_fma_f64 v[33:34], v[31:32], v[37:38], s[80:81]
	s_mov_b32 s80, 0xa48a971f
	s_mov_b32 s81, 0xbc50c7ca
	s_delay_alu instid0(VALU_DEP_2) | instid1(SALU_CYCLE_1)
	v_fma_f64 v[27:28], v[31:32], -v[27:28], s[80:81]
	s_mov_b32 s80, 0xbcc38a42
	s_mov_b32 s81, 0xbfbf19b9
	s_delay_alu instid0(VALU_DEP_1) | instskip(NEXT) | instid1(VALU_DEP_1)
	v_fma_f64 v[27:28], v[29:30], v[33:34], -v[27:28]
	v_add_f64 v[31:32], v[27:28], s[80:81]
.LBB8_96:                               ;   in Loop: Header=BB8_5 Depth=1
	s_or_b32 exec_lo, exec_lo, s3
.LBB8_97:                               ;   in Loop: Header=BB8_5 Depth=1
	s_delay_alu instid0(SALU_CYCLE_1) | instskip(NEXT) | instid1(VALU_DEP_1)
	s_or_b32 exec_lo, exec_lo, s2
	v_add_f64 v[25:26], v[25:26], v[31:32]
.LBB8_98:                               ;   in Loop: Header=BB8_5 Depth=1
	s_or_b32 exec_lo, exec_lo, s74
.LBB8_99:                               ;   in Loop: Header=BB8_5 Depth=1
	s_and_not1_saveexec_b32 s3, s73
	s_cbranch_execz .LBB8_101
; %bb.100:                              ;   in Loop: Header=BB8_5 Depth=1
	v_frexp_mant_f64_e64 v[25:26], |v[1:2]|
	s_mov_b32 s15, s69
	v_cmp_neq_f64_e64 s2, 0, v[1:2]
	s_delay_alu instid0(VALU_DEP_2) | instskip(SKIP_1) | instid1(VALU_DEP_1)
	v_cmp_gt_f64_e32 vcc_lo, s[68:69], v[25:26]
	v_cndmask_b32_e64 v10, 0x3ff00000, 2.0, vcc_lo
	v_mul_f64 v[25:26], v[25:26], v[9:10]
	v_frexp_exp_i32_f64_e32 v10, v[1:2]
	s_delay_alu instid0(VALU_DEP_2) | instskip(NEXT) | instid1(VALU_DEP_2)
	v_add_f64 v[27:28], v[25:26], 1.0
	v_subrev_co_ci_u32_e32 v10, vcc_lo, 0, v10, vcc_lo
	v_cmp_class_f64_e64 vcc_lo, v[1:2], 0x204
	s_delay_alu instid0(VALU_DEP_3) | instskip(SKIP_2) | instid1(VALU_DEP_1)
	v_rcp_f64_e32 v[29:30], v[27:28]
	s_waitcnt_depctr 0xfff
	v_fma_f64 v[31:32], -v[27:28], v[29:30], 1.0
	v_fma_f64 v[29:30], v[31:32], v[29:30], v[29:30]
	s_delay_alu instid0(VALU_DEP_1) | instskip(NEXT) | instid1(VALU_DEP_1)
	v_fma_f64 v[31:32], -v[27:28], v[29:30], 1.0
	v_fma_f64 v[29:30], v[31:32], v[29:30], v[29:30]
	v_add_f64 v[31:32], v[27:28], -1.0
	s_delay_alu instid0(VALU_DEP_1) | instskip(SKIP_1) | instid1(VALU_DEP_1)
	v_add_f64 v[31:32], v[25:26], -v[31:32]
	v_add_f64 v[25:26], v[25:26], -1.0
	v_mul_f64 v[33:34], v[25:26], v[29:30]
	s_delay_alu instid0(VALU_DEP_1) | instskip(NEXT) | instid1(VALU_DEP_1)
	v_mul_f64 v[35:36], v[27:28], v[33:34]
	v_fma_f64 v[27:28], v[33:34], v[27:28], -v[35:36]
	s_delay_alu instid0(VALU_DEP_1) | instskip(NEXT) | instid1(VALU_DEP_1)
	v_fma_f64 v[27:28], v[33:34], v[31:32], v[27:28]
	v_add_f64 v[31:32], v[35:36], v[27:28]
	s_delay_alu instid0(VALU_DEP_1) | instskip(NEXT) | instid1(VALU_DEP_1)
	v_add_f64 v[35:36], v[31:32], -v[35:36]
	v_add_f64 v[27:28], v[35:36], -v[27:28]
	;; [unrolled: 1-line block ×3, first 2 shown]
	s_delay_alu instid0(VALU_DEP_1) | instskip(NEXT) | instid1(VALU_DEP_1)
	v_add_f64 v[25:26], v[25:26], -v[35:36]
	v_add_f64 v[25:26], v[25:26], -v[31:32]
	s_delay_alu instid0(VALU_DEP_1) | instskip(SKIP_1) | instid1(VALU_DEP_2)
	v_add_f64 v[25:26], v[27:28], v[25:26]
	v_cvt_f64_i32_e32 v[27:28], v10
	v_add_f64 v[25:26], v[35:36], v[25:26]
	s_delay_alu instid0(VALU_DEP_1) | instskip(NEXT) | instid1(VALU_DEP_3)
	v_mul_f64 v[25:26], v[29:30], v[25:26]
	v_mul_f64 v[29:30], v[27:28], s[28:29]
	s_delay_alu instid0(VALU_DEP_1) | instskip(NEXT) | instid1(VALU_DEP_1)
	v_fma_f64 v[31:32], v[27:28], s[28:29], -v[29:30]
	v_fma_f64 v[27:28], v[27:28], s[30:31], v[31:32]
	s_delay_alu instid0(VALU_DEP_4) | instskip(NEXT) | instid1(VALU_DEP_1)
	v_add_f64 v[31:32], v[33:34], v[25:26]
	v_add_f64 v[33:34], v[31:32], -v[33:34]
	s_delay_alu instid0(VALU_DEP_1) | instskip(SKIP_1) | instid1(VALU_DEP_2)
	v_add_f64 v[25:26], v[25:26], -v[33:34]
	v_mul_f64 v[33:34], v[31:32], v[31:32]
	v_ldexp_f64 v[25:26], v[25:26], 1
	s_delay_alu instid0(VALU_DEP_2) | instskip(NEXT) | instid1(VALU_DEP_1)
	v_fma_f64 v[35:36], v[33:34], s[18:19], s[16:17]
	v_fma_f64 v[35:36], v[33:34], v[35:36], s[20:21]
	s_delay_alu instid0(VALU_DEP_1) | instskip(NEXT) | instid1(VALU_DEP_1)
	v_fma_f64 v[35:36], v[33:34], v[35:36], s[22:23]
	v_fma_f64 v[35:36], v[33:34], v[35:36], s[24:25]
	s_delay_alu instid0(VALU_DEP_1) | instskip(NEXT) | instid1(VALU_DEP_1)
	v_fma_f64 v[35:36], v[33:34], v[35:36], s[26:27]
	v_fma_f64 v[35:36], v[33:34], v[35:36], s[14:15]
	v_mul_f64 v[33:34], v[31:32], v[33:34]
	v_ldexp_f64 v[31:32], v[31:32], 1
	s_delay_alu instid0(VALU_DEP_2) | instskip(NEXT) | instid1(VALU_DEP_1)
	v_mul_f64 v[33:34], v[33:34], v[35:36]
	v_add_f64 v[35:36], v[31:32], v[33:34]
	s_delay_alu instid0(VALU_DEP_1) | instskip(NEXT) | instid1(VALU_DEP_1)
	v_add_f64 v[31:32], v[35:36], -v[31:32]
	v_add_f64 v[31:32], v[33:34], -v[31:32]
	s_delay_alu instid0(VALU_DEP_1) | instskip(SKIP_1) | instid1(VALU_DEP_1)
	v_add_f64 v[25:26], v[25:26], v[31:32]
	v_add_f64 v[31:32], v[29:30], v[27:28]
	v_add_f64 v[29:30], v[31:32], -v[29:30]
	s_delay_alu instid0(VALU_DEP_1) | instskip(NEXT) | instid1(VALU_DEP_4)
	v_add_f64 v[27:28], v[27:28], -v[29:30]
	v_add_f64 v[29:30], v[35:36], v[25:26]
	s_delay_alu instid0(VALU_DEP_1) | instskip(SKIP_1) | instid1(VALU_DEP_2)
	v_add_f64 v[33:34], v[29:30], -v[35:36]
	v_add_f64 v[35:36], v[31:32], v[29:30]
	v_add_f64 v[25:26], v[25:26], -v[33:34]
	s_delay_alu instid0(VALU_DEP_2) | instskip(NEXT) | instid1(VALU_DEP_1)
	v_add_f64 v[37:38], v[35:36], -v[31:32]
	v_add_f64 v[29:30], v[29:30], -v[37:38]
	;; [unrolled: 1-line block ×3, first 2 shown]
	s_delay_alu instid0(VALU_DEP_1) | instskip(NEXT) | instid1(VALU_DEP_1)
	v_add_f64 v[31:32], v[31:32], -v[37:38]
	v_add_f64 v[29:30], v[29:30], v[31:32]
	v_add_f64 v[31:32], v[27:28], v[25:26]
	s_delay_alu instid0(VALU_DEP_1) | instskip(NEXT) | instid1(VALU_DEP_3)
	v_add_f64 v[33:34], v[31:32], -v[27:28]
	v_add_f64 v[29:30], v[31:32], v[29:30]
	s_delay_alu instid0(VALU_DEP_2) | instskip(SKIP_1) | instid1(VALU_DEP_1)
	v_add_f64 v[25:26], v[25:26], -v[33:34]
	v_add_f64 v[33:34], v[31:32], -v[33:34]
	;; [unrolled: 1-line block ×3, first 2 shown]
	s_delay_alu instid0(VALU_DEP_1) | instskip(SKIP_1) | instid1(VALU_DEP_1)
	v_add_f64 v[25:26], v[25:26], v[27:28]
	v_add_f64 v[27:28], v[35:36], v[29:30]
	v_add_f64 v[31:32], v[27:28], -v[35:36]
	s_delay_alu instid0(VALU_DEP_1) | instskip(NEXT) | instid1(VALU_DEP_1)
	v_add_f64 v[29:30], v[29:30], -v[31:32]
	v_add_f64 v[25:26], v[25:26], v[29:30]
	v_fma_f64 v[29:30], |v[1:2]|, s[46:47], s[44:45]
	s_delay_alu instid0(VALU_DEP_2) | instskip(NEXT) | instid1(VALU_DEP_2)
	v_add_f64 v[25:26], v[27:28], v[25:26]
	v_fma_f64 v[29:30], |v[1:2]|, v[29:30], s[98:99]
	s_delay_alu instid0(VALU_DEP_2) | instskip(NEXT) | instid1(VALU_DEP_2)
	v_dual_cndmask_b32 v15, v25, v1 :: v_dual_and_b32 v10, 0x7fffffff, v2
	v_fma_f64 v[29:30], |v[1:2]|, v[29:30], s[100:101]
	s_delay_alu instid0(VALU_DEP_2) | instskip(NEXT) | instid1(VALU_DEP_3)
	v_cndmask_b32_e64 v10, -v26, -v10, vcc_lo
	v_cndmask_b32_e64 v25, 0, v15, s2
	s_delay_alu instid0(VALU_DEP_2) | instskip(NEXT) | instid1(VALU_DEP_4)
	v_cndmask_b32_e64 v26, 0x7ff00000, v10, s2
	v_fma_f64 v[27:28], |v[1:2]|, v[29:30], s[102:103]
	s_delay_alu instid0(VALU_DEP_1)
	v_fma_f64 v[25:26], |v[1:2]|, v[27:28], v[25:26]
.LBB8_101:                              ;   in Loop: Header=BB8_5 Depth=1
	s_or_b32 exec_lo, exec_lo, s3
	s_delay_alu instid0(SALU_CYCLE_1)
	s_mov_b32 s2, exec_lo
	v_cmpx_le_f64_e32 0, v[1:2]
	s_xor_b32 s3, exec_lo, s2
; %bb.102:                              ;   in Loop: Header=BB8_5 Depth=1
	v_cmp_eq_f64_e32 vcc_lo, 1.0, v[1:2]
	v_cmp_eq_f64_e64 s2, 2.0, v[1:2]
	s_delay_alu instid0(VALU_DEP_1)
	s_or_b32 s2, vcc_lo, s2
	s_delay_alu instid0(VALU_DEP_4) | instid1(SALU_CYCLE_1)
	v_cndmask_b32_e64 v26, v26, 0, s2
	v_cndmask_b32_e64 v25, v25, 0, s2
; %bb.103:                              ;   in Loop: Header=BB8_5 Depth=1
	s_and_not1_saveexec_b32 s3, s3
	s_cbranch_execz .LBB8_107
; %bb.104:                              ;   in Loop: Header=BB8_5 Depth=1
	v_add_nc_u32_e32 v10, 0xc32fffff, v24
	s_mov_b32 s73, exec_lo
	s_delay_alu instid0(VALU_DEP_1)
	v_cmpx_gt_u32_e32 0x65fffff, v10
	s_cbranch_execz .LBB8_106
; %bb.105:                              ;   in Loop: Header=BB8_5 Depth=1
	v_mul_f64 v[27:28], |v[1:2]|, 0.5
	v_cmp_gt_f64_e64 s2, |v[1:2]|, 1.0
	s_mov_b32 s15, s69
	s_delay_alu instid0(VALU_DEP_2) | instskip(SKIP_1) | instid1(VALU_DEP_2)
	v_fract_f64_e32 v[29:30], v[27:28]
	v_cmp_neq_f64_e64 vcc_lo, 0x7ff00000, |v[27:28]|
	v_add_f64 v[27:28], v[29:30], v[29:30]
	s_delay_alu instid0(VALU_DEP_1) | instskip(NEXT) | instid1(VALU_DEP_2)
	v_dual_cndmask_b32 v15, 0, v28 :: v_dual_and_b32 v10, 0x7fffffff, v2
	v_cndmask_b32_e32 v19, 0, v27, vcc_lo
	s_delay_alu instid0(VALU_DEP_2) | instskip(NEXT) | instid1(VALU_DEP_2)
	v_cndmask_b32_e64 v28, v10, v15, s2
	v_cndmask_b32_e64 v27, v1, v19, s2
	s_delay_alu instid0(VALU_DEP_1) | instskip(NEXT) | instid1(VALU_DEP_1)
	v_add_f64 v[29:30], v[27:28], v[27:28]
	v_rndne_f64_e32 v[29:30], v[29:30]
	s_delay_alu instid0(VALU_DEP_1) | instskip(SKIP_1) | instid1(VALU_DEP_2)
	v_fma_f64 v[27:28], v[29:30], -0.5, v[27:28]
	v_cvt_i32_f64_e32 v10, v[29:30]
	v_mul_f64 v[31:32], v[27:28], v[27:28]
	s_delay_alu instid0(VALU_DEP_2) | instskip(SKIP_1) | instid1(VALU_DEP_2)
	v_and_b32_e32 v15, 1, v10
	v_lshlrev_b32_e32 v10, 30, v10
	v_cmp_eq_u32_e32 vcc_lo, 0, v15
	s_delay_alu instid0(VALU_DEP_2) | instskip(NEXT) | instid1(VALU_DEP_1)
	v_xor_b32_e32 v10, v10, v2
	v_and_b32_e32 v10, 0x80000000, v10
	v_fma_f64 v[33:34], v[31:32], s[36:37], s[34:35]
	v_mul_f64 v[35:36], v[27:28], v[31:32]
	s_delay_alu instid0(VALU_DEP_2) | instskip(NEXT) | instid1(VALU_DEP_1)
	v_fma_f64 v[33:34], v[31:32], v[33:34], s[38:39]
	v_fma_f64 v[33:34], v[31:32], v[33:34], s[40:41]
	s_delay_alu instid0(VALU_DEP_1) | instskip(NEXT) | instid1(VALU_DEP_1)
	v_fma_f64 v[33:34], v[31:32], v[33:34], s[42:43]
	v_fma_f64 v[33:34], v[31:32], v[33:34], s[48:49]
	s_delay_alu instid0(VALU_DEP_1) | instskip(NEXT) | instid1(VALU_DEP_1)
	v_mul_f64 v[33:34], v[35:36], v[33:34]
	v_fma_f64 v[27:28], v[27:28], s[50:51], v[33:34]
	v_fma_f64 v[33:34], v[31:32], s[54:55], s[52:53]
	s_delay_alu instid0(VALU_DEP_1) | instskip(NEXT) | instid1(VALU_DEP_1)
	v_fma_f64 v[33:34], v[31:32], v[33:34], s[56:57]
	v_fma_f64 v[33:34], v[31:32], v[33:34], s[58:59]
	s_delay_alu instid0(VALU_DEP_1) | instskip(NEXT) | instid1(VALU_DEP_1)
	;; [unrolled: 3-line block ×3, first 2 shown]
	v_fma_f64 v[33:34], v[31:32], v[33:34], s[66:67]
	v_fma_f64 v[31:32], v[31:32], v[33:34], 1.0
	s_delay_alu instid0(VALU_DEP_1) | instskip(NEXT) | instid1(VALU_DEP_2)
	v_cndmask_b32_e32 v15, v31, v27, vcc_lo
	v_cndmask_b32_e32 v19, v32, v28, vcc_lo
	v_cmp_class_f64_e64 vcc_lo, v[1:2], 0x1f8
	s_delay_alu instid0(VALU_DEP_2) | instskip(NEXT) | instid1(VALU_DEP_4)
	v_xor_b32_e32 v10, v19, v10
	v_cndmask_b32_e32 v27, 0, v15, vcc_lo
	s_delay_alu instid0(VALU_DEP_2) | instskip(NEXT) | instid1(VALU_DEP_1)
	v_cndmask_b32_e32 v28, 0x7ff80000, v10, vcc_lo
	v_mul_f64 v[27:28], v[1:2], v[27:28]
	s_delay_alu instid0(VALU_DEP_1) | instskip(NEXT) | instid1(VALU_DEP_1)
	v_dual_mov_b32 v29, v27 :: v_dual_and_b32 v30, 0x7fffffff, v28
	v_div_scale_f64 v[31:32], null, v[29:30], v[29:30], s[50:51]
	v_div_scale_f64 v[29:30], vcc_lo, s[50:51], v[29:30], s[50:51]
	s_delay_alu instid0(VALU_DEP_2) | instskip(SKIP_2) | instid1(VALU_DEP_1)
	v_rcp_f64_e32 v[33:34], v[31:32]
	s_waitcnt_depctr 0xfff
	v_fma_f64 v[35:36], -v[31:32], v[33:34], 1.0
	v_fma_f64 v[33:34], v[33:34], v[35:36], v[33:34]
	s_delay_alu instid0(VALU_DEP_1) | instskip(NEXT) | instid1(VALU_DEP_1)
	v_fma_f64 v[35:36], -v[31:32], v[33:34], 1.0
	v_fma_f64 v[33:34], v[33:34], v[35:36], v[33:34]
	s_delay_alu instid0(VALU_DEP_1) | instskip(NEXT) | instid1(VALU_DEP_1)
	v_mul_f64 v[35:36], v[29:30], v[33:34]
	v_fma_f64 v[29:30], -v[31:32], v[35:36], v[29:30]
	s_delay_alu instid0(VALU_DEP_1) | instskip(NEXT) | instid1(VALU_DEP_1)
	v_div_fmas_f64 v[29:30], v[29:30], v[33:34], v[35:36]
	v_div_fixup_f64 v[27:28], v[29:30], |v[27:28]|, s[50:51]
	s_delay_alu instid0(VALU_DEP_1) | instskip(SKIP_1) | instid1(VALU_DEP_2)
	v_frexp_mant_f64_e32 v[29:30], v[27:28]
	v_cmp_neq_f64_e64 s2, 0, v[27:28]
	v_cmp_gt_f64_e32 vcc_lo, s[68:69], v[29:30]
	v_cndmask_b32_e64 v10, 0x3ff00000, 2.0, vcc_lo
	s_delay_alu instid0(VALU_DEP_1) | instskip(SKIP_1) | instid1(VALU_DEP_2)
	v_mul_f64 v[29:30], v[29:30], v[9:10]
	v_frexp_exp_i32_f64_e32 v10, v[27:28]
	v_add_f64 v[31:32], v[29:30], 1.0
	s_delay_alu instid0(VALU_DEP_2) | instskip(SKIP_1) | instid1(VALU_DEP_3)
	v_subrev_co_ci_u32_e32 v10, vcc_lo, 0, v10, vcc_lo
	v_cmp_class_f64_e64 vcc_lo, v[27:28], 0x204
	v_rcp_f64_e32 v[33:34], v[31:32]
	s_waitcnt_depctr 0xfff
	v_fma_f64 v[35:36], -v[31:32], v[33:34], 1.0
	s_delay_alu instid0(VALU_DEP_1) | instskip(NEXT) | instid1(VALU_DEP_1)
	v_fma_f64 v[33:34], v[35:36], v[33:34], v[33:34]
	v_fma_f64 v[35:36], -v[31:32], v[33:34], 1.0
	s_delay_alu instid0(VALU_DEP_1) | instskip(SKIP_1) | instid1(VALU_DEP_1)
	v_fma_f64 v[33:34], v[35:36], v[33:34], v[33:34]
	v_add_f64 v[35:36], v[31:32], -1.0
	v_add_f64 v[35:36], v[29:30], -v[35:36]
	v_add_f64 v[29:30], v[29:30], -1.0
	s_delay_alu instid0(VALU_DEP_1) | instskip(NEXT) | instid1(VALU_DEP_1)
	v_mul_f64 v[37:38], v[29:30], v[33:34]
	v_mul_f64 v[39:40], v[31:32], v[37:38]
	s_delay_alu instid0(VALU_DEP_1) | instskip(NEXT) | instid1(VALU_DEP_1)
	v_fma_f64 v[31:32], v[37:38], v[31:32], -v[39:40]
	v_fma_f64 v[31:32], v[37:38], v[35:36], v[31:32]
	s_delay_alu instid0(VALU_DEP_1) | instskip(NEXT) | instid1(VALU_DEP_1)
	v_add_f64 v[35:36], v[39:40], v[31:32]
	v_add_f64 v[39:40], v[35:36], -v[39:40]
	s_delay_alu instid0(VALU_DEP_1) | instskip(SKIP_1) | instid1(VALU_DEP_1)
	v_add_f64 v[31:32], v[39:40], -v[31:32]
	v_add_f64 v[39:40], v[29:30], -v[35:36]
	v_add_f64 v[29:30], v[29:30], -v[39:40]
	s_delay_alu instid0(VALU_DEP_1) | instskip(NEXT) | instid1(VALU_DEP_1)
	v_add_f64 v[29:30], v[29:30], -v[35:36]
	v_add_f64 v[29:30], v[31:32], v[29:30]
	v_cvt_f64_i32_e32 v[31:32], v10
	s_delay_alu instid0(VALU_DEP_2) | instskip(NEXT) | instid1(VALU_DEP_1)
	v_add_f64 v[29:30], v[39:40], v[29:30]
	v_mul_f64 v[29:30], v[33:34], v[29:30]
	s_delay_alu instid0(VALU_DEP_3) | instskip(NEXT) | instid1(VALU_DEP_1)
	v_mul_f64 v[33:34], v[31:32], s[28:29]
	v_fma_f64 v[35:36], v[31:32], s[28:29], -v[33:34]
	s_delay_alu instid0(VALU_DEP_1) | instskip(NEXT) | instid1(VALU_DEP_4)
	v_fma_f64 v[31:32], v[31:32], s[30:31], v[35:36]
	v_add_f64 v[35:36], v[37:38], v[29:30]
	s_delay_alu instid0(VALU_DEP_1) | instskip(NEXT) | instid1(VALU_DEP_1)
	v_add_f64 v[37:38], v[35:36], -v[37:38]
	v_add_f64 v[29:30], v[29:30], -v[37:38]
	v_mul_f64 v[37:38], v[35:36], v[35:36]
	s_delay_alu instid0(VALU_DEP_2) | instskip(NEXT) | instid1(VALU_DEP_2)
	v_ldexp_f64 v[29:30], v[29:30], 1
	v_fma_f64 v[39:40], v[37:38], s[18:19], s[16:17]
	s_delay_alu instid0(VALU_DEP_1) | instskip(NEXT) | instid1(VALU_DEP_1)
	v_fma_f64 v[39:40], v[37:38], v[39:40], s[20:21]
	v_fma_f64 v[39:40], v[37:38], v[39:40], s[22:23]
	s_delay_alu instid0(VALU_DEP_1) | instskip(NEXT) | instid1(VALU_DEP_1)
	v_fma_f64 v[39:40], v[37:38], v[39:40], s[24:25]
	v_fma_f64 v[39:40], v[37:38], v[39:40], s[26:27]
	s_delay_alu instid0(VALU_DEP_1) | instskip(SKIP_2) | instid1(VALU_DEP_2)
	v_fma_f64 v[39:40], v[37:38], v[39:40], s[14:15]
	v_mul_f64 v[37:38], v[35:36], v[37:38]
	v_ldexp_f64 v[35:36], v[35:36], 1
	v_mul_f64 v[37:38], v[37:38], v[39:40]
	s_delay_alu instid0(VALU_DEP_1) | instskip(NEXT) | instid1(VALU_DEP_1)
	v_add_f64 v[39:40], v[35:36], v[37:38]
	v_add_f64 v[35:36], v[39:40], -v[35:36]
	s_delay_alu instid0(VALU_DEP_1) | instskip(NEXT) | instid1(VALU_DEP_1)
	v_add_f64 v[35:36], v[37:38], -v[35:36]
	v_add_f64 v[29:30], v[29:30], v[35:36]
	v_add_f64 v[35:36], v[33:34], v[31:32]
	s_delay_alu instid0(VALU_DEP_1) | instskip(NEXT) | instid1(VALU_DEP_1)
	v_add_f64 v[33:34], v[35:36], -v[33:34]
	v_add_f64 v[31:32], v[31:32], -v[33:34]
	s_delay_alu instid0(VALU_DEP_4) | instskip(NEXT) | instid1(VALU_DEP_1)
	v_add_f64 v[33:34], v[39:40], v[29:30]
	v_add_f64 v[37:38], v[33:34], -v[39:40]
	v_add_f64 v[39:40], v[35:36], v[33:34]
	s_delay_alu instid0(VALU_DEP_2) | instskip(NEXT) | instid1(VALU_DEP_2)
	v_add_f64 v[29:30], v[29:30], -v[37:38]
	v_add_f64 v[41:42], v[39:40], -v[35:36]
	s_delay_alu instid0(VALU_DEP_1) | instskip(SKIP_1) | instid1(VALU_DEP_1)
	v_add_f64 v[33:34], v[33:34], -v[41:42]
	v_add_f64 v[41:42], v[39:40], -v[41:42]
	;; [unrolled: 1-line block ×3, first 2 shown]
	s_delay_alu instid0(VALU_DEP_1) | instskip(SKIP_1) | instid1(VALU_DEP_1)
	v_add_f64 v[33:34], v[33:34], v[35:36]
	v_add_f64 v[35:36], v[31:32], v[29:30]
	v_add_f64 v[37:38], v[35:36], -v[31:32]
	s_delay_alu instid0(VALU_DEP_3) | instskip(NEXT) | instid1(VALU_DEP_2)
	v_add_f64 v[33:34], v[35:36], v[33:34]
	v_add_f64 v[29:30], v[29:30], -v[37:38]
	v_add_f64 v[37:38], v[35:36], -v[37:38]
	s_delay_alu instid0(VALU_DEP_1) | instskip(NEXT) | instid1(VALU_DEP_1)
	v_add_f64 v[31:32], v[31:32], -v[37:38]
	v_add_f64 v[29:30], v[29:30], v[31:32]
	v_add_f64 v[31:32], v[39:40], v[33:34]
	s_delay_alu instid0(VALU_DEP_1) | instskip(NEXT) | instid1(VALU_DEP_1)
	v_add_f64 v[35:36], v[31:32], -v[39:40]
	v_add_f64 v[33:34], v[33:34], -v[35:36]
	s_delay_alu instid0(VALU_DEP_1) | instskip(NEXT) | instid1(VALU_DEP_1)
	v_add_f64 v[29:30], v[29:30], v[33:34]
	v_add_f64 v[29:30], v[31:32], v[29:30]
	s_delay_alu instid0(VALU_DEP_1) | instskip(SKIP_1) | instid1(VALU_DEP_2)
	v_dual_cndmask_b32 v10, v29, v27 :: v_dual_cndmask_b32 v15, v30, v28
	v_fract_f64_e32 v[27:28], v[1:2]
	v_cndmask_b32_e64 v29, 0, v10, s2
	s_delay_alu instid0(VALU_DEP_3) | instskip(SKIP_1) | instid1(VALU_DEP_2)
	v_cndmask_b32_e64 v30, 0xfff00000, v15, s2
	v_cmp_class_f64_e64 s2, v[1:2], 0x204
	v_add_f64 v[25:26], v[29:30], -v[25:26]
	v_cmp_eq_f64_e32 vcc_lo, 0, v[27:28]
	s_delay_alu instid0(VALU_DEP_3)
	s_or_b32 s2, s2, vcc_lo
	s_delay_alu instid0(VALU_DEP_2) | instid1(SALU_CYCLE_1)
	v_cndmask_b32_e64 v26, v26, 0x7ff00000, s2
	s_delay_alu instid0(VALU_DEP_3)
	v_cndmask_b32_e64 v25, v25, 0, s2
.LBB8_106:                              ;   in Loop: Header=BB8_5 Depth=1
	s_or_b32 exec_lo, exec_lo, s73
.LBB8_107:                              ;   in Loop: Header=BB8_5 Depth=1
	s_delay_alu instid0(SALU_CYCLE_1) | instskip(SKIP_2) | instid1(VALU_DEP_1)
	s_or_b32 exec_lo, exec_lo, s3
	v_dual_mov_b32 v27, v3 :: v_dual_and_b32 v28, 0x7fffffff, v4
                                        ; implicit-def: $vgpr29_vgpr30
	s_mov_b32 s2, exec_lo
	v_cmpx_lt_u32_e32 0x3f6fffff, v28
	s_xor_b32 s73, exec_lo, s2
	s_cbranch_execz .LBB8_133
; %bb.108:                              ;   in Loop: Header=BB8_5 Depth=1
                                        ; implicit-def: $vgpr29_vgpr30
	s_mov_b32 s2, exec_lo
	v_cmpx_lt_u32_e32 0x3fffffff, v28
	s_xor_b32 s74, exec_lo, s2
	s_cbranch_execz .LBB8_118
; %bb.109:                              ;   in Loop: Header=BB8_5 Depth=1
	;; [unrolled: 6-line block ×4, first 2 shown]
	v_frexp_mant_f64_e64 v[29:30], |v[3:4]|
	s_mov_b32 s15, s69
	v_cmp_neq_f64_e64 s2, 0, v[3:4]
	s_delay_alu instid0(VALU_DEP_2) | instskip(SKIP_1) | instid1(VALU_DEP_1)
	v_cmp_gt_f64_e32 vcc_lo, s[68:69], v[29:30]
	v_cndmask_b32_e64 v10, 0x3ff00000, 2.0, vcc_lo
	v_mul_f64 v[29:30], v[29:30], v[9:10]
	v_frexp_exp_i32_f64_e32 v10, v[3:4]
	s_delay_alu instid0(VALU_DEP_2) | instskip(NEXT) | instid1(VALU_DEP_2)
	v_add_f64 v[31:32], v[29:30], 1.0
	v_subrev_co_ci_u32_e32 v10, vcc_lo, 0, v10, vcc_lo
	v_cmp_class_f64_e64 vcc_lo, v[3:4], 0x204
	s_delay_alu instid0(VALU_DEP_3) | instskip(SKIP_2) | instid1(VALU_DEP_1)
	v_rcp_f64_e32 v[33:34], v[31:32]
	s_waitcnt_depctr 0xfff
	v_fma_f64 v[35:36], -v[31:32], v[33:34], 1.0
	v_fma_f64 v[33:34], v[35:36], v[33:34], v[33:34]
	s_delay_alu instid0(VALU_DEP_1) | instskip(NEXT) | instid1(VALU_DEP_1)
	v_fma_f64 v[35:36], -v[31:32], v[33:34], 1.0
	v_fma_f64 v[33:34], v[35:36], v[33:34], v[33:34]
	v_add_f64 v[35:36], v[31:32], -1.0
	s_delay_alu instid0(VALU_DEP_1) | instskip(SKIP_1) | instid1(VALU_DEP_1)
	v_add_f64 v[35:36], v[29:30], -v[35:36]
	v_add_f64 v[29:30], v[29:30], -1.0
	v_mul_f64 v[37:38], v[29:30], v[33:34]
	s_delay_alu instid0(VALU_DEP_1) | instskip(NEXT) | instid1(VALU_DEP_1)
	v_mul_f64 v[39:40], v[31:32], v[37:38]
	v_fma_f64 v[31:32], v[37:38], v[31:32], -v[39:40]
	s_delay_alu instid0(VALU_DEP_1) | instskip(NEXT) | instid1(VALU_DEP_1)
	v_fma_f64 v[31:32], v[37:38], v[35:36], v[31:32]
	v_add_f64 v[35:36], v[39:40], v[31:32]
	s_delay_alu instid0(VALU_DEP_1) | instskip(NEXT) | instid1(VALU_DEP_1)
	v_add_f64 v[39:40], v[35:36], -v[39:40]
	v_add_f64 v[31:32], v[39:40], -v[31:32]
	;; [unrolled: 1-line block ×3, first 2 shown]
	s_delay_alu instid0(VALU_DEP_1) | instskip(NEXT) | instid1(VALU_DEP_1)
	v_add_f64 v[29:30], v[29:30], -v[39:40]
	v_add_f64 v[29:30], v[29:30], -v[35:36]
	s_delay_alu instid0(VALU_DEP_1) | instskip(SKIP_1) | instid1(VALU_DEP_2)
	v_add_f64 v[29:30], v[31:32], v[29:30]
	v_cvt_f64_i32_e32 v[31:32], v10
	v_add_f64 v[29:30], v[39:40], v[29:30]
	s_delay_alu instid0(VALU_DEP_1) | instskip(NEXT) | instid1(VALU_DEP_3)
	v_mul_f64 v[29:30], v[33:34], v[29:30]
	v_mul_f64 v[33:34], v[31:32], s[28:29]
	s_delay_alu instid0(VALU_DEP_1) | instskip(NEXT) | instid1(VALU_DEP_1)
	v_fma_f64 v[35:36], v[31:32], s[28:29], -v[33:34]
	v_fma_f64 v[31:32], v[31:32], s[30:31], v[35:36]
	s_delay_alu instid0(VALU_DEP_4) | instskip(NEXT) | instid1(VALU_DEP_1)
	v_add_f64 v[35:36], v[37:38], v[29:30]
	v_add_f64 v[37:38], v[35:36], -v[37:38]
	s_delay_alu instid0(VALU_DEP_1) | instskip(SKIP_1) | instid1(VALU_DEP_2)
	v_add_f64 v[29:30], v[29:30], -v[37:38]
	v_mul_f64 v[37:38], v[35:36], v[35:36]
	v_ldexp_f64 v[29:30], v[29:30], 1
	s_delay_alu instid0(VALU_DEP_2) | instskip(NEXT) | instid1(VALU_DEP_1)
	v_fma_f64 v[39:40], v[37:38], s[18:19], s[16:17]
	v_fma_f64 v[39:40], v[37:38], v[39:40], s[20:21]
	s_delay_alu instid0(VALU_DEP_1) | instskip(NEXT) | instid1(VALU_DEP_1)
	v_fma_f64 v[39:40], v[37:38], v[39:40], s[22:23]
	v_fma_f64 v[39:40], v[37:38], v[39:40], s[24:25]
	s_delay_alu instid0(VALU_DEP_1) | instskip(NEXT) | instid1(VALU_DEP_1)
	v_fma_f64 v[39:40], v[37:38], v[39:40], s[26:27]
	v_fma_f64 v[39:40], v[37:38], v[39:40], s[14:15]
	v_mul_f64 v[37:38], v[35:36], v[37:38]
	v_ldexp_f64 v[35:36], v[35:36], 1
	s_delay_alu instid0(VALU_DEP_2) | instskip(NEXT) | instid1(VALU_DEP_1)
	v_mul_f64 v[37:38], v[37:38], v[39:40]
	v_add_f64 v[39:40], v[35:36], v[37:38]
	s_delay_alu instid0(VALU_DEP_1) | instskip(NEXT) | instid1(VALU_DEP_1)
	v_add_f64 v[35:36], v[39:40], -v[35:36]
	v_add_f64 v[35:36], v[37:38], -v[35:36]
	s_delay_alu instid0(VALU_DEP_1) | instskip(SKIP_1) | instid1(VALU_DEP_1)
	v_add_f64 v[29:30], v[29:30], v[35:36]
	v_add_f64 v[35:36], v[33:34], v[31:32]
	v_add_f64 v[33:34], v[35:36], -v[33:34]
	s_delay_alu instid0(VALU_DEP_1) | instskip(NEXT) | instid1(VALU_DEP_4)
	v_add_f64 v[31:32], v[31:32], -v[33:34]
	v_add_f64 v[33:34], v[39:40], v[29:30]
	s_delay_alu instid0(VALU_DEP_1) | instskip(SKIP_1) | instid1(VALU_DEP_2)
	v_add_f64 v[37:38], v[33:34], -v[39:40]
	v_add_f64 v[39:40], v[35:36], v[33:34]
	v_add_f64 v[29:30], v[29:30], -v[37:38]
	s_delay_alu instid0(VALU_DEP_2) | instskip(NEXT) | instid1(VALU_DEP_1)
	v_add_f64 v[41:42], v[39:40], -v[35:36]
	v_add_f64 v[33:34], v[33:34], -v[41:42]
	;; [unrolled: 1-line block ×3, first 2 shown]
	s_delay_alu instid0(VALU_DEP_1) | instskip(NEXT) | instid1(VALU_DEP_1)
	v_add_f64 v[35:36], v[35:36], -v[41:42]
	v_add_f64 v[33:34], v[33:34], v[35:36]
	v_add_f64 v[35:36], v[31:32], v[29:30]
	s_delay_alu instid0(VALU_DEP_1) | instskip(NEXT) | instid1(VALU_DEP_3)
	v_add_f64 v[37:38], v[35:36], -v[31:32]
	v_add_f64 v[33:34], v[35:36], v[33:34]
	s_delay_alu instid0(VALU_DEP_2) | instskip(SKIP_1) | instid1(VALU_DEP_1)
	v_add_f64 v[29:30], v[29:30], -v[37:38]
	v_add_f64 v[37:38], v[35:36], -v[37:38]
	;; [unrolled: 1-line block ×3, first 2 shown]
	s_delay_alu instid0(VALU_DEP_1) | instskip(SKIP_1) | instid1(VALU_DEP_1)
	v_add_f64 v[29:30], v[29:30], v[31:32]
	v_add_f64 v[31:32], v[39:40], v[33:34]
	v_add_f64 v[35:36], v[31:32], -v[39:40]
	s_delay_alu instid0(VALU_DEP_1) | instskip(NEXT) | instid1(VALU_DEP_1)
	v_add_f64 v[33:34], v[33:34], -v[35:36]
	v_add_f64 v[29:30], v[29:30], v[33:34]
	s_delay_alu instid0(VALU_DEP_1) | instskip(NEXT) | instid1(VALU_DEP_1)
	v_add_f64 v[29:30], v[31:32], v[29:30]
	v_dual_cndmask_b32 v15, v29, v3 :: v_dual_and_b32 v10, 0x7fffffff, v4
	s_delay_alu instid0(VALU_DEP_1) | instskip(NEXT) | instid1(VALU_DEP_2)
	v_cndmask_b32_e32 v10, v30, v10, vcc_lo
	v_cndmask_b32_e64 v29, 0, v15, s2
	s_delay_alu instid0(VALU_DEP_2) | instskip(NEXT) | instid1(VALU_DEP_1)
	v_cndmask_b32_e64 v30, 0xfff00000, v10, s2
	v_fma_f64 v[29:30], |v[3:4]|, v[29:30], -|v[3:4]|
.LBB8_112:                              ;   in Loop: Header=BB8_5 Depth=1
	s_and_not1_saveexec_b32 s2, s75
	s_cbranch_execz .LBB8_114
; %bb.113:                              ;   in Loop: Header=BB8_5 Depth=1
	v_dual_mov_b32 v29, v3 :: v_dual_and_b32 v30, 0x7fffffff, v4
	s_mov_b32 s15, s69
	s_mov_b32 s76, 0x4cdad5d1
	;; [unrolled: 1-line block ×4, first 2 shown]
	v_div_scale_f64 v[31:32], null, v[29:30], v[29:30], 1.0
	s_mov_b32 s79, 0xbf5ab89d
	s_delay_alu instid0(VALU_DEP_1) | instskip(SKIP_2) | instid1(VALU_DEP_1)
	v_rcp_f64_e32 v[33:34], v[31:32]
	s_waitcnt_depctr 0xfff
	v_fma_f64 v[35:36], -v[31:32], v[33:34], 1.0
	v_fma_f64 v[33:34], v[33:34], v[35:36], v[33:34]
	s_delay_alu instid0(VALU_DEP_1) | instskip(NEXT) | instid1(VALU_DEP_1)
	v_fma_f64 v[35:36], -v[31:32], v[33:34], 1.0
	v_fma_f64 v[33:34], v[33:34], v[35:36], v[33:34]
	v_div_scale_f64 v[35:36], vcc_lo, 1.0, v[29:30], 1.0
	s_delay_alu instid0(VALU_DEP_1) | instskip(NEXT) | instid1(VALU_DEP_1)
	v_mul_f64 v[37:38], v[35:36], v[33:34]
	v_fma_f64 v[31:32], -v[31:32], v[37:38], v[35:36]
	s_delay_alu instid0(VALU_DEP_1) | instskip(SKIP_1) | instid1(VALU_DEP_2)
	v_div_fmas_f64 v[31:32], v[31:32], v[33:34], v[37:38]
	v_frexp_mant_f64_e64 v[33:34], |v[3:4]|
	v_div_fixup_f64 v[31:32], v[31:32], |v[3:4]|, 1.0
	s_delay_alu instid0(VALU_DEP_2) | instskip(SKIP_1) | instid1(VALU_DEP_1)
	v_cmp_gt_f64_e32 vcc_lo, s[68:69], v[33:34]
	v_cndmask_b32_e64 v10, 0x3ff00000, 2.0, vcc_lo
	v_mul_f64 v[33:34], v[33:34], v[9:10]
	v_frexp_exp_i32_f64_e32 v10, v[3:4]
	s_delay_alu instid0(VALU_DEP_2) | instskip(NEXT) | instid1(VALU_DEP_2)
	v_add_f64 v[35:36], v[33:34], 1.0
	v_subrev_co_ci_u32_e32 v10, vcc_lo, 0, v10, vcc_lo
	v_cmp_class_f64_e64 vcc_lo, v[3:4], 0x204
	s_delay_alu instid0(VALU_DEP_3) | instskip(SKIP_2) | instid1(VALU_DEP_1)
	v_rcp_f64_e32 v[37:38], v[35:36]
	s_waitcnt_depctr 0xfff
	v_fma_f64 v[39:40], -v[35:36], v[37:38], 1.0
	v_fma_f64 v[37:38], v[39:40], v[37:38], v[37:38]
	s_delay_alu instid0(VALU_DEP_1) | instskip(NEXT) | instid1(VALU_DEP_1)
	v_fma_f64 v[39:40], -v[35:36], v[37:38], 1.0
	v_fma_f64 v[37:38], v[39:40], v[37:38], v[37:38]
	v_add_f64 v[39:40], v[35:36], -1.0
	s_delay_alu instid0(VALU_DEP_1) | instskip(SKIP_1) | instid1(VALU_DEP_1)
	v_add_f64 v[39:40], v[33:34], -v[39:40]
	v_add_f64 v[33:34], v[33:34], -1.0
	v_mul_f64 v[41:42], v[33:34], v[37:38]
	s_delay_alu instid0(VALU_DEP_1) | instskip(NEXT) | instid1(VALU_DEP_1)
	v_mul_f64 v[43:44], v[35:36], v[41:42]
	v_fma_f64 v[35:36], v[41:42], v[35:36], -v[43:44]
	s_delay_alu instid0(VALU_DEP_1) | instskip(NEXT) | instid1(VALU_DEP_1)
	v_fma_f64 v[35:36], v[41:42], v[39:40], v[35:36]
	v_add_f64 v[39:40], v[43:44], v[35:36]
	s_delay_alu instid0(VALU_DEP_1) | instskip(NEXT) | instid1(VALU_DEP_1)
	v_add_f64 v[43:44], v[39:40], -v[43:44]
	v_add_f64 v[35:36], v[43:44], -v[35:36]
	;; [unrolled: 1-line block ×3, first 2 shown]
	s_delay_alu instid0(VALU_DEP_1) | instskip(NEXT) | instid1(VALU_DEP_1)
	v_add_f64 v[33:34], v[33:34], -v[43:44]
	v_add_f64 v[33:34], v[33:34], -v[39:40]
	s_delay_alu instid0(VALU_DEP_1) | instskip(SKIP_1) | instid1(VALU_DEP_2)
	v_add_f64 v[33:34], v[35:36], v[33:34]
	v_cvt_f64_i32_e32 v[35:36], v10
	v_add_f64 v[33:34], v[43:44], v[33:34]
	s_delay_alu instid0(VALU_DEP_1) | instskip(NEXT) | instid1(VALU_DEP_3)
	v_mul_f64 v[33:34], v[37:38], v[33:34]
	v_mul_f64 v[37:38], v[35:36], s[28:29]
	s_delay_alu instid0(VALU_DEP_1) | instskip(NEXT) | instid1(VALU_DEP_1)
	v_fma_f64 v[39:40], v[35:36], s[28:29], -v[37:38]
	v_fma_f64 v[35:36], v[35:36], s[30:31], v[39:40]
	s_delay_alu instid0(VALU_DEP_4) | instskip(NEXT) | instid1(VALU_DEP_1)
	v_add_f64 v[39:40], v[41:42], v[33:34]
	v_add_f64 v[41:42], v[39:40], -v[41:42]
	s_delay_alu instid0(VALU_DEP_1) | instskip(SKIP_1) | instid1(VALU_DEP_2)
	v_add_f64 v[33:34], v[33:34], -v[41:42]
	v_mul_f64 v[41:42], v[39:40], v[39:40]
	v_ldexp_f64 v[33:34], v[33:34], 1
	s_delay_alu instid0(VALU_DEP_2) | instskip(NEXT) | instid1(VALU_DEP_1)
	v_fma_f64 v[43:44], v[41:42], s[18:19], s[16:17]
	v_fma_f64 v[43:44], v[41:42], v[43:44], s[20:21]
	s_delay_alu instid0(VALU_DEP_1) | instskip(NEXT) | instid1(VALU_DEP_1)
	v_fma_f64 v[43:44], v[41:42], v[43:44], s[22:23]
	v_fma_f64 v[43:44], v[41:42], v[43:44], s[24:25]
	s_delay_alu instid0(VALU_DEP_1) | instskip(NEXT) | instid1(VALU_DEP_1)
	v_fma_f64 v[43:44], v[41:42], v[43:44], s[26:27]
	v_fma_f64 v[43:44], v[41:42], v[43:44], s[14:15]
	v_mul_f64 v[41:42], v[39:40], v[41:42]
	v_ldexp_f64 v[39:40], v[39:40], 1
	s_delay_alu instid0(VALU_DEP_2) | instskip(NEXT) | instid1(VALU_DEP_1)
	v_mul_f64 v[41:42], v[41:42], v[43:44]
	v_add_f64 v[43:44], v[39:40], v[41:42]
	s_delay_alu instid0(VALU_DEP_1) | instskip(NEXT) | instid1(VALU_DEP_1)
	v_add_f64 v[39:40], v[43:44], -v[39:40]
	v_add_f64 v[39:40], v[41:42], -v[39:40]
	s_delay_alu instid0(VALU_DEP_1) | instskip(SKIP_1) | instid1(VALU_DEP_1)
	v_add_f64 v[33:34], v[33:34], v[39:40]
	v_add_f64 v[39:40], v[37:38], v[35:36]
	v_add_f64 v[37:38], v[39:40], -v[37:38]
	s_delay_alu instid0(VALU_DEP_1) | instskip(NEXT) | instid1(VALU_DEP_4)
	v_add_f64 v[35:36], v[35:36], -v[37:38]
	v_add_f64 v[37:38], v[43:44], v[33:34]
	s_delay_alu instid0(VALU_DEP_1) | instskip(SKIP_1) | instid1(VALU_DEP_2)
	v_add_f64 v[41:42], v[37:38], -v[43:44]
	v_add_f64 v[43:44], v[39:40], v[37:38]
	v_add_f64 v[33:34], v[33:34], -v[41:42]
	s_delay_alu instid0(VALU_DEP_2) | instskip(NEXT) | instid1(VALU_DEP_1)
	v_add_f64 v[45:46], v[43:44], -v[39:40]
	v_add_f64 v[37:38], v[37:38], -v[45:46]
	;; [unrolled: 1-line block ×3, first 2 shown]
	s_delay_alu instid0(VALU_DEP_1) | instskip(NEXT) | instid1(VALU_DEP_1)
	v_add_f64 v[39:40], v[39:40], -v[45:46]
	v_add_f64 v[37:38], v[37:38], v[39:40]
	v_add_f64 v[39:40], v[35:36], v[33:34]
	s_delay_alu instid0(VALU_DEP_1) | instskip(NEXT) | instid1(VALU_DEP_3)
	v_add_f64 v[41:42], v[39:40], -v[35:36]
	v_add_f64 v[37:38], v[39:40], v[37:38]
	s_delay_alu instid0(VALU_DEP_2) | instskip(SKIP_1) | instid1(VALU_DEP_1)
	v_add_f64 v[33:34], v[33:34], -v[41:42]
	v_add_f64 v[41:42], v[39:40], -v[41:42]
	;; [unrolled: 1-line block ×3, first 2 shown]
	s_delay_alu instid0(VALU_DEP_1) | instskip(SKIP_1) | instid1(VALU_DEP_1)
	v_add_f64 v[33:34], v[33:34], v[35:36]
	v_add_f64 v[35:36], v[43:44], v[37:38]
	v_add_f64 v[39:40], v[35:36], -v[43:44]
	s_delay_alu instid0(VALU_DEP_1) | instskip(NEXT) | instid1(VALU_DEP_1)
	v_add_f64 v[37:38], v[37:38], -v[39:40]
	v_add_f64 v[33:34], v[33:34], v[37:38]
	s_delay_alu instid0(VALU_DEP_1) | instskip(NEXT) | instid1(VALU_DEP_1)
	v_add_f64 v[33:34], v[35:36], v[33:34]
	v_dual_cndmask_b32 v30, v34, v30 :: v_dual_cndmask_b32 v29, v33, v29
	v_mul_f64 v[33:34], v[31:32], v[31:32]
	v_cmp_neq_f64_e32 vcc_lo, 0, v[3:4]
	s_delay_alu instid0(VALU_DEP_3) | instskip(NEXT) | instid1(VALU_DEP_3)
	v_add_f64 v[29:30], v[29:30], -1.0
	v_fma_f64 v[35:36], v[33:34], s[78:79], s[76:77]
	s_mov_b32 s76, 0x8c0fe741
	s_mov_b32 s77, 0xbf4380cb
	;; [unrolled: 1-line block ×3, first 2 shown]
	s_delay_alu instid0(VALU_DEP_2) | instskip(NEXT) | instid1(VALU_DEP_3)
	v_cndmask_b32_e32 v30, 0xfff00000, v30, vcc_lo
	v_cndmask_b32_e32 v29, 0, v29, vcc_lo
	s_mov_b32 s79, 0x3f00bfec
	s_delay_alu instid0(VALU_DEP_3)
	v_fma_f64 v[35:36], v[33:34], v[35:36], s[76:77]
	s_mov_b32 s76, 0x98cf38b6
	s_mov_b32 s77, 0x3f4a019f
	s_delay_alu instid0(VALU_DEP_1) | instid1(SALU_CYCLE_1)
	v_fma_f64 v[35:36], v[33:34], v[35:36], s[76:77]
	s_mov_b32 s76, 0x16b02e5c
	s_mov_b32 s77, 0xbf66c16c
	s_delay_alu instid0(VALU_DEP_1) | instid1(SALU_CYCLE_1)
	;; [unrolled: 4-line block ×4, first 2 shown]
	v_fma_f64 v[31:32], v[31:32], v[33:34], s[76:77]
	v_add_f64 v[33:34], |v[3:4]|, -0.5
	s_mov_b32 s76, 0x7368f239
	s_mov_b32 s77, 0x3f5e26b6
	s_delay_alu instid0(VALU_DEP_1)
	v_fma_f64 v[29:30], v[33:34], v[29:30], v[31:32]
.LBB8_114:                              ;   in Loop: Header=BB8_5 Depth=1
	s_or_b32 exec_lo, exec_lo, s2
.LBB8_115:                              ;   in Loop: Header=BB8_5 Depth=1
	s_and_not1_saveexec_b32 s75, s3
	s_cbranch_execz .LBB8_117
; %bb.116:                              ;   in Loop: Header=BB8_5 Depth=1
	v_cvt_i32_f64_e32 v10, v[27:28]
	s_mov_b32 s2, 0x7e939961
	s_mov_b32 s3, 0x3f9b481c
	;; [unrolled: 1-line block ×4, first 2 shown]
	s_mov_b32 vcc_lo, s60
	s_mov_b32 s15, s69
	s_delay_alu instid0(VALU_DEP_1) | instskip(NEXT) | instid1(VALU_DEP_1)
	v_cvt_f64_i32_e32 v[29:30], v10
	v_add_f64 v[29:30], |v[3:4]|, -v[29:30]
	s_delay_alu instid0(VALU_DEP_1) | instskip(NEXT) | instid1(VALU_DEP_1)
	v_fma_f64 v[31:32], v[29:30], s[78:79], s[76:77]
	v_fma_f64 v[31:32], v[29:30], v[31:32], s[2:3]
	s_mov_b32 s2, 0xca41a95b
	s_mov_b32 s3, 0x3f497dda
	s_delay_alu instid0(SALU_CYCLE_1)
	v_fma_f64 v[33:34], v[29:30], s[80:81], s[2:3]
	s_mov_b32 s2, 0x742ed475
	s_mov_b32 s3, 0x3f9317ea
	s_delay_alu instid0(VALU_DEP_1) | instid1(SALU_CYCLE_1)
	v_fma_f64 v[33:34], v[29:30], v[33:34], s[2:3]
	s_mov_b32 s2, 0xbee5f2f7
	s_mov_b32 s3, 0x3fc2bb9c
	s_delay_alu instid0(VALU_DEP_3) | instid1(SALU_CYCLE_1)
	v_fma_f64 v[31:32], v[29:30], v[31:32], s[2:3]
	s_mov_b32 s2, 0xccfbdf27
	s_mov_b32 s3, 0x3fc601ed
	s_delay_alu instid0(VALU_DEP_2) | instid1(SALU_CYCLE_1)
	v_fma_f64 v[33:34], v[29:30], v[33:34], s[2:3]
	s_mov_b32 s2, 0x4f139f59
	s_mov_b32 s3, 0x3fd4d98f
	s_delay_alu instid0(VALU_DEP_2) | instid1(SALU_CYCLE_1)
	;; [unrolled: 4-line block ×5, first 2 shown]
	v_fma_f64 v[33:34], v[29:30], v[33:34], s[2:3]
	s_delay_alu instid0(VALU_DEP_2) | instskip(NEXT) | instid1(VALU_DEP_2)
	v_fma_f64 v[31:32], v[29:30], v[31:32], vcc
	v_fma_f64 v[33:34], v[29:30], v[33:34], 1.0
	s_delay_alu instid0(VALU_DEP_2) | instskip(NEXT) | instid1(VALU_DEP_1)
	v_mul_f64 v[31:32], v[29:30], v[31:32]
	v_div_scale_f64 v[35:36], null, v[33:34], v[33:34], v[31:32]
	s_delay_alu instid0(VALU_DEP_1) | instskip(SKIP_2) | instid1(VALU_DEP_1)
	v_rcp_f64_e32 v[37:38], v[35:36]
	s_waitcnt_depctr 0xfff
	v_fma_f64 v[39:40], -v[35:36], v[37:38], 1.0
	v_fma_f64 v[37:38], v[37:38], v[39:40], v[37:38]
	s_delay_alu instid0(VALU_DEP_1) | instskip(NEXT) | instid1(VALU_DEP_1)
	v_fma_f64 v[39:40], -v[35:36], v[37:38], 1.0
	v_fma_f64 v[37:38], v[37:38], v[39:40], v[37:38]
	v_div_scale_f64 v[39:40], vcc_lo, v[31:32], v[33:34], v[31:32]
	s_delay_alu instid0(VALU_DEP_1) | instskip(NEXT) | instid1(VALU_DEP_1)
	v_mul_f64 v[41:42], v[39:40], v[37:38]
	v_fma_f64 v[35:36], -v[35:36], v[41:42], v[39:40]
	s_delay_alu instid0(VALU_DEP_1) | instskip(SKIP_1) | instid1(VALU_DEP_2)
	v_div_fmas_f64 v[35:36], v[35:36], v[37:38], v[41:42]
	v_cmp_lt_i32_e32 vcc_lo, 2, v10
	v_div_fixup_f64 v[31:32], v[35:36], v[33:34], v[31:32]
	v_add_f64 v[33:34], v[29:30], 2.0
	v_add_f64 v[35:36], 0x40080000, v[29:30]
	s_delay_alu instid0(VALU_DEP_2) | instskip(NEXT) | instid1(VALU_DEP_3)
	v_cndmask_b32_e32 v34, 0x3ff00000, v34, vcc_lo
	v_cndmask_b32_e32 v33, 0, v33, vcc_lo
	v_cmp_lt_i32_e32 vcc_lo, 3, v10
	s_delay_alu instid0(VALU_DEP_4) | instskip(SKIP_2) | instid1(VALU_DEP_2)
	v_cndmask_b32_e32 v36, 0x3ff00000, v36, vcc_lo
	v_cndmask_b32_e32 v35, 0, v35, vcc_lo
	v_cmp_lt_i32_e32 vcc_lo, 4, v10
	v_mul_f64 v[33:34], v[33:34], v[35:36]
	v_add_f64 v[35:36], v[29:30], 4.0
	s_delay_alu instid0(VALU_DEP_1) | instskip(NEXT) | instid1(VALU_DEP_2)
	v_cndmask_b32_e32 v36, 0x3ff00000, v36, vcc_lo
	v_cndmask_b32_e32 v35, 0, v35, vcc_lo
	v_cmp_lt_i32_e32 vcc_lo, 5, v10
	s_delay_alu instid0(VALU_DEP_2) | instskip(SKIP_1) | instid1(VALU_DEP_1)
	v_mul_f64 v[33:34], v[35:36], v[33:34]
	v_add_f64 v[35:36], 0x40140000, v[29:30]
	v_cndmask_b32_e32 v36, 0x3ff00000, v36, vcc_lo
	s_delay_alu instid0(VALU_DEP_2) | instskip(SKIP_1) | instid1(VALU_DEP_2)
	v_cndmask_b32_e32 v35, 0, v35, vcc_lo
	v_cmp_lt_i32_e32 vcc_lo, 6, v10
	v_mul_f64 v[33:34], v[35:36], v[33:34]
	v_add_f64 v[35:36], 0x40180000, v[29:30]
	v_fma_f64 v[29:30], v[29:30], 0.5, v[31:32]
	s_delay_alu instid0(VALU_DEP_2) | instskip(NEXT) | instid1(VALU_DEP_3)
	v_cndmask_b32_e32 v36, 0x3ff00000, v36, vcc_lo
	v_cndmask_b32_e32 v35, 0, v35, vcc_lo
	s_delay_alu instid0(VALU_DEP_1) | instskip(NEXT) | instid1(VALU_DEP_1)
	v_mul_f64 v[33:34], v[35:36], v[33:34]
	v_frexp_mant_f64_e32 v[35:36], v[33:34]
	v_cmp_nge_f64_e64 s2, 0, v[33:34]
	v_cmp_neq_f64_e64 s3, 0, v[33:34]
	s_delay_alu instid0(VALU_DEP_3) | instskip(SKIP_1) | instid1(VALU_DEP_1)
	v_cmp_gt_f64_e32 vcc_lo, s[68:69], v[35:36]
	v_cndmask_b32_e64 v10, 0x3ff00000, 2.0, vcc_lo
	v_mul_f64 v[35:36], v[35:36], v[9:10]
	v_frexp_exp_i32_f64_e32 v10, v[33:34]
	s_delay_alu instid0(VALU_DEP_2) | instskip(NEXT) | instid1(VALU_DEP_2)
	v_add_f64 v[37:38], v[35:36], 1.0
	v_subrev_co_ci_u32_e32 v10, vcc_lo, 0, v10, vcc_lo
	v_cmp_class_f64_e64 vcc_lo, v[33:34], 0x204
	s_delay_alu instid0(VALU_DEP_3) | instskip(SKIP_2) | instid1(VALU_DEP_1)
	v_rcp_f64_e32 v[39:40], v[37:38]
	s_waitcnt_depctr 0xfff
	v_fma_f64 v[41:42], -v[37:38], v[39:40], 1.0
	v_fma_f64 v[39:40], v[41:42], v[39:40], v[39:40]
	s_delay_alu instid0(VALU_DEP_1) | instskip(NEXT) | instid1(VALU_DEP_1)
	v_fma_f64 v[41:42], -v[37:38], v[39:40], 1.0
	v_fma_f64 v[39:40], v[41:42], v[39:40], v[39:40]
	v_add_f64 v[41:42], v[37:38], -1.0
	s_delay_alu instid0(VALU_DEP_1) | instskip(SKIP_1) | instid1(VALU_DEP_1)
	v_add_f64 v[41:42], v[35:36], -v[41:42]
	v_add_f64 v[35:36], v[35:36], -1.0
	v_mul_f64 v[43:44], v[35:36], v[39:40]
	s_delay_alu instid0(VALU_DEP_1) | instskip(NEXT) | instid1(VALU_DEP_1)
	v_mul_f64 v[45:46], v[37:38], v[43:44]
	v_fma_f64 v[37:38], v[43:44], v[37:38], -v[45:46]
	s_delay_alu instid0(VALU_DEP_1) | instskip(NEXT) | instid1(VALU_DEP_1)
	v_fma_f64 v[37:38], v[43:44], v[41:42], v[37:38]
	v_add_f64 v[41:42], v[45:46], v[37:38]
	s_delay_alu instid0(VALU_DEP_1) | instskip(NEXT) | instid1(VALU_DEP_1)
	v_add_f64 v[45:46], v[41:42], -v[45:46]
	v_add_f64 v[37:38], v[45:46], -v[37:38]
	;; [unrolled: 1-line block ×3, first 2 shown]
	s_delay_alu instid0(VALU_DEP_1) | instskip(NEXT) | instid1(VALU_DEP_1)
	v_add_f64 v[35:36], v[35:36], -v[45:46]
	v_add_f64 v[35:36], v[35:36], -v[41:42]
	s_delay_alu instid0(VALU_DEP_1) | instskip(SKIP_1) | instid1(VALU_DEP_2)
	v_add_f64 v[35:36], v[37:38], v[35:36]
	v_cvt_f64_i32_e32 v[37:38], v10
	v_add_f64 v[35:36], v[45:46], v[35:36]
	s_delay_alu instid0(VALU_DEP_1) | instskip(NEXT) | instid1(VALU_DEP_3)
	v_mul_f64 v[35:36], v[39:40], v[35:36]
	v_mul_f64 v[39:40], v[37:38], s[28:29]
	s_delay_alu instid0(VALU_DEP_1) | instskip(NEXT) | instid1(VALU_DEP_1)
	v_fma_f64 v[41:42], v[37:38], s[28:29], -v[39:40]
	v_fma_f64 v[37:38], v[37:38], s[30:31], v[41:42]
	s_delay_alu instid0(VALU_DEP_4) | instskip(NEXT) | instid1(VALU_DEP_1)
	v_add_f64 v[41:42], v[43:44], v[35:36]
	v_add_f64 v[43:44], v[41:42], -v[43:44]
	s_delay_alu instid0(VALU_DEP_1) | instskip(SKIP_1) | instid1(VALU_DEP_2)
	v_add_f64 v[35:36], v[35:36], -v[43:44]
	v_mul_f64 v[43:44], v[41:42], v[41:42]
	v_ldexp_f64 v[35:36], v[35:36], 1
	s_delay_alu instid0(VALU_DEP_2) | instskip(NEXT) | instid1(VALU_DEP_1)
	v_fma_f64 v[45:46], v[43:44], s[18:19], s[16:17]
	v_fma_f64 v[45:46], v[43:44], v[45:46], s[20:21]
	s_delay_alu instid0(VALU_DEP_1) | instskip(NEXT) | instid1(VALU_DEP_1)
	v_fma_f64 v[45:46], v[43:44], v[45:46], s[22:23]
	v_fma_f64 v[45:46], v[43:44], v[45:46], s[24:25]
	s_delay_alu instid0(VALU_DEP_1) | instskip(NEXT) | instid1(VALU_DEP_1)
	v_fma_f64 v[45:46], v[43:44], v[45:46], s[26:27]
	v_fma_f64 v[45:46], v[43:44], v[45:46], s[14:15]
	v_mul_f64 v[43:44], v[41:42], v[43:44]
	v_ldexp_f64 v[41:42], v[41:42], 1
	s_delay_alu instid0(VALU_DEP_2) | instskip(NEXT) | instid1(VALU_DEP_1)
	v_mul_f64 v[43:44], v[43:44], v[45:46]
	v_add_f64 v[45:46], v[41:42], v[43:44]
	s_delay_alu instid0(VALU_DEP_1) | instskip(NEXT) | instid1(VALU_DEP_1)
	v_add_f64 v[41:42], v[45:46], -v[41:42]
	v_add_f64 v[41:42], v[43:44], -v[41:42]
	s_delay_alu instid0(VALU_DEP_1) | instskip(SKIP_1) | instid1(VALU_DEP_1)
	v_add_f64 v[35:36], v[35:36], v[41:42]
	v_add_f64 v[41:42], v[39:40], v[37:38]
	v_add_f64 v[39:40], v[41:42], -v[39:40]
	s_delay_alu instid0(VALU_DEP_1) | instskip(NEXT) | instid1(VALU_DEP_4)
	v_add_f64 v[37:38], v[37:38], -v[39:40]
	v_add_f64 v[39:40], v[45:46], v[35:36]
	s_delay_alu instid0(VALU_DEP_1) | instskip(SKIP_1) | instid1(VALU_DEP_2)
	v_add_f64 v[43:44], v[39:40], -v[45:46]
	v_add_f64 v[45:46], v[41:42], v[39:40]
	v_add_f64 v[35:36], v[35:36], -v[43:44]
	s_delay_alu instid0(VALU_DEP_2) | instskip(NEXT) | instid1(VALU_DEP_1)
	v_add_f64 v[47:48], v[45:46], -v[41:42]
	v_add_f64 v[39:40], v[39:40], -v[47:48]
	;; [unrolled: 1-line block ×3, first 2 shown]
	s_delay_alu instid0(VALU_DEP_1) | instskip(NEXT) | instid1(VALU_DEP_1)
	v_add_f64 v[41:42], v[41:42], -v[47:48]
	v_add_f64 v[39:40], v[39:40], v[41:42]
	v_add_f64 v[41:42], v[37:38], v[35:36]
	s_delay_alu instid0(VALU_DEP_1) | instskip(NEXT) | instid1(VALU_DEP_3)
	v_add_f64 v[43:44], v[41:42], -v[37:38]
	v_add_f64 v[39:40], v[41:42], v[39:40]
	s_delay_alu instid0(VALU_DEP_2) | instskip(SKIP_1) | instid1(VALU_DEP_1)
	v_add_f64 v[35:36], v[35:36], -v[43:44]
	v_add_f64 v[43:44], v[41:42], -v[43:44]
	;; [unrolled: 1-line block ×3, first 2 shown]
	s_delay_alu instid0(VALU_DEP_1) | instskip(SKIP_1) | instid1(VALU_DEP_1)
	v_add_f64 v[35:36], v[35:36], v[37:38]
	v_add_f64 v[37:38], v[45:46], v[39:40]
	v_add_f64 v[41:42], v[37:38], -v[45:46]
	s_delay_alu instid0(VALU_DEP_1) | instskip(NEXT) | instid1(VALU_DEP_1)
	v_add_f64 v[39:40], v[39:40], -v[41:42]
	v_add_f64 v[35:36], v[35:36], v[39:40]
	s_delay_alu instid0(VALU_DEP_1) | instskip(NEXT) | instid1(VALU_DEP_1)
	v_add_f64 v[35:36], v[37:38], v[35:36]
	v_dual_cndmask_b32 v10, v35, v33 :: v_dual_cndmask_b32 v15, v36, v34
	v_cmp_ngt_f64_e32 vcc_lo, 0, v[33:34]
	s_delay_alu instid0(VALU_DEP_2) | instskip(NEXT) | instid1(VALU_DEP_3)
	v_cndmask_b32_e64 v31, 0, v10, s2
	v_cndmask_b32_e32 v15, 0x7ff80000, v15, vcc_lo
	s_delay_alu instid0(VALU_DEP_1) | instskip(NEXT) | instid1(VALU_DEP_1)
	v_cndmask_b32_e64 v32, 0xfff00000, v15, s3
	v_add_f64 v[29:30], v[29:30], v[31:32]
.LBB8_117:                              ;   in Loop: Header=BB8_5 Depth=1
	s_or_b32 exec_lo, exec_lo, s75
.LBB8_118:                              ;   in Loop: Header=BB8_5 Depth=1
	s_and_not1_saveexec_b32 s74, s74
	s_cbranch_execz .LBB8_132
; %bb.119:                              ;   in Loop: Header=BB8_5 Depth=1
	s_mov_b32 s15, exec_lo
                                        ; implicit-def: $sgpr2_sgpr3
                                        ; implicit-def: $vgpr10
                                        ; implicit-def: $vgpr31_vgpr32
	v_cmpx_lt_u32_e32 0x3feccccc, v28
	s_xor_b32 s15, exec_lo, s15
	s_cbranch_execz .LBB8_121
; %bb.120:                              ;   in Loop: Header=BB8_5 Depth=1
	s_mov_b32 s2, 0x6356be3f
	s_mov_b32 s3, 0xbff762d8
	v_add_f64 v[29:30], -|v[3:4]|, 2.0
	v_add_f64 v[31:32], |v[3:4]|, s[2:3]
	v_add_f64 v[33:34], |v[3:4]|, -1.0
	v_cmp_gt_u32_e32 vcc_lo, 0x3ffbb4c3, v28
	v_cmp_gt_u32_e64 s2, 0x3ff3b4c4, v28
	v_cndmask_b32_e64 v19, 0, 1, vcc_lo
	v_dual_cndmask_b32 v10, v30, v32 :: v_dual_cndmask_b32 v15, v29, v31
	s_delay_alu instid0(VALU_DEP_1) | instskip(NEXT) | instid1(VALU_DEP_2)
	v_cndmask_b32_e64 v32, v10, v34, s2
	v_cndmask_b32_e64 v31, v15, v33, s2
	s_delay_alu instid0(VALU_DEP_4)
	v_cndmask_b32_e64 v10, v19, 2, s2
	s_mov_b64 s[2:3], 0
.LBB8_121:                              ;   in Loop: Header=BB8_5 Depth=1
	s_or_saveexec_b32 s75, s15
	v_dual_mov_b32 v30, s3 :: v_dual_mov_b32 v29, s2
	s_xor_b32 exec_lo, exec_lo, s75
	s_cbranch_execz .LBB8_123
; %bb.122:                              ;   in Loop: Header=BB8_5 Depth=1
	s_mov_b32 s2, 0x8d5af8fc
	s_mov_b32 s3, 0xbfdd8b61
	v_add_f64 v[29:30], -|v[3:4]|, 1.0
	v_add_f64 v[31:32], |v[3:4]|, s[2:3]
	v_cmp_gt_u32_e32 vcc_lo, 0x3fe76944, v28
	s_mov_b32 s15, s69
	v_cmp_gt_u32_e64 s3, 0x3fcda661, v28
	s_delay_alu instid0(VALU_DEP_3) | instskip(NEXT) | instid1(VALU_DEP_4)
	v_cndmask_b32_e32 v15, v29, v31, vcc_lo
	v_cndmask_b32_e32 v19, v30, v32, vcc_lo
	v_frexp_mant_f64_e64 v[29:30], |v[3:4]|
	s_delay_alu instid0(VALU_DEP_1) | instskip(NEXT) | instid1(VALU_DEP_1)
	v_cmp_gt_f64_e64 s2, s[68:69], v[29:30]
	v_cndmask_b32_e64 v10, 0x3ff00000, 2.0, s2
	s_delay_alu instid0(VALU_DEP_1) | instskip(SKIP_1) | instid1(VALU_DEP_2)
	v_mul_f64 v[29:30], v[29:30], v[9:10]
	v_frexp_exp_i32_f64_e32 v10, v[3:4]
	v_add_f64 v[31:32], v[29:30], 1.0
	s_delay_alu instid0(VALU_DEP_2) | instskip(SKIP_1) | instid1(VALU_DEP_3)
	v_subrev_co_ci_u32_e64 v10, s2, 0, v10, s2
	v_cmp_class_f64_e64 s2, v[3:4], 0x204
	v_rcp_f64_e32 v[33:34], v[31:32]
	s_waitcnt_depctr 0xfff
	v_fma_f64 v[35:36], -v[31:32], v[33:34], 1.0
	s_delay_alu instid0(VALU_DEP_1) | instskip(NEXT) | instid1(VALU_DEP_1)
	v_fma_f64 v[33:34], v[35:36], v[33:34], v[33:34]
	v_fma_f64 v[35:36], -v[31:32], v[33:34], 1.0
	s_delay_alu instid0(VALU_DEP_1) | instskip(SKIP_1) | instid1(VALU_DEP_1)
	v_fma_f64 v[33:34], v[35:36], v[33:34], v[33:34]
	v_add_f64 v[35:36], v[31:32], -1.0
	v_add_f64 v[35:36], v[29:30], -v[35:36]
	v_add_f64 v[29:30], v[29:30], -1.0
	s_delay_alu instid0(VALU_DEP_1) | instskip(NEXT) | instid1(VALU_DEP_1)
	v_mul_f64 v[37:38], v[29:30], v[33:34]
	v_mul_f64 v[39:40], v[31:32], v[37:38]
	s_delay_alu instid0(VALU_DEP_1) | instskip(NEXT) | instid1(VALU_DEP_1)
	v_fma_f64 v[31:32], v[37:38], v[31:32], -v[39:40]
	v_fma_f64 v[31:32], v[37:38], v[35:36], v[31:32]
	s_delay_alu instid0(VALU_DEP_1) | instskip(NEXT) | instid1(VALU_DEP_1)
	v_add_f64 v[35:36], v[39:40], v[31:32]
	v_add_f64 v[39:40], v[35:36], -v[39:40]
	s_delay_alu instid0(VALU_DEP_1) | instskip(SKIP_1) | instid1(VALU_DEP_1)
	v_add_f64 v[31:32], v[39:40], -v[31:32]
	v_add_f64 v[39:40], v[29:30], -v[35:36]
	;; [unrolled: 1-line block ×3, first 2 shown]
	s_delay_alu instid0(VALU_DEP_1) | instskip(NEXT) | instid1(VALU_DEP_1)
	v_add_f64 v[29:30], v[29:30], -v[35:36]
	v_add_f64 v[29:30], v[31:32], v[29:30]
	v_cvt_f64_i32_e32 v[31:32], v10
	v_and_b32_e32 v10, 0x7fffffff, v4
	s_delay_alu instid0(VALU_DEP_3) | instskip(NEXT) | instid1(VALU_DEP_1)
	v_add_f64 v[29:30], v[39:40], v[29:30]
	v_mul_f64 v[29:30], v[33:34], v[29:30]
	s_delay_alu instid0(VALU_DEP_4) | instskip(NEXT) | instid1(VALU_DEP_1)
	v_mul_f64 v[33:34], v[31:32], s[28:29]
	v_fma_f64 v[35:36], v[31:32], s[28:29], -v[33:34]
	s_delay_alu instid0(VALU_DEP_1) | instskip(NEXT) | instid1(VALU_DEP_4)
	v_fma_f64 v[31:32], v[31:32], s[30:31], v[35:36]
	v_add_f64 v[35:36], v[37:38], v[29:30]
	s_delay_alu instid0(VALU_DEP_1) | instskip(NEXT) | instid1(VALU_DEP_1)
	v_add_f64 v[37:38], v[35:36], -v[37:38]
	v_add_f64 v[29:30], v[29:30], -v[37:38]
	v_mul_f64 v[37:38], v[35:36], v[35:36]
	s_delay_alu instid0(VALU_DEP_2) | instskip(NEXT) | instid1(VALU_DEP_2)
	v_ldexp_f64 v[29:30], v[29:30], 1
	v_fma_f64 v[39:40], v[37:38], s[18:19], s[16:17]
	s_delay_alu instid0(VALU_DEP_1) | instskip(NEXT) | instid1(VALU_DEP_1)
	v_fma_f64 v[39:40], v[37:38], v[39:40], s[20:21]
	v_fma_f64 v[39:40], v[37:38], v[39:40], s[22:23]
	s_delay_alu instid0(VALU_DEP_1) | instskip(NEXT) | instid1(VALU_DEP_1)
	v_fma_f64 v[39:40], v[37:38], v[39:40], s[24:25]
	v_fma_f64 v[39:40], v[37:38], v[39:40], s[26:27]
	s_delay_alu instid0(VALU_DEP_1) | instskip(SKIP_2) | instid1(VALU_DEP_2)
	v_fma_f64 v[39:40], v[37:38], v[39:40], s[14:15]
	v_mul_f64 v[37:38], v[35:36], v[37:38]
	v_ldexp_f64 v[35:36], v[35:36], 1
	v_mul_f64 v[37:38], v[37:38], v[39:40]
	s_delay_alu instid0(VALU_DEP_1) | instskip(NEXT) | instid1(VALU_DEP_1)
	v_add_f64 v[39:40], v[35:36], v[37:38]
	v_add_f64 v[35:36], v[39:40], -v[35:36]
	s_delay_alu instid0(VALU_DEP_1) | instskip(NEXT) | instid1(VALU_DEP_1)
	v_add_f64 v[35:36], v[37:38], -v[35:36]
	v_add_f64 v[29:30], v[29:30], v[35:36]
	v_add_f64 v[35:36], v[33:34], v[31:32]
	s_delay_alu instid0(VALU_DEP_1) | instskip(NEXT) | instid1(VALU_DEP_1)
	v_add_f64 v[33:34], v[35:36], -v[33:34]
	v_add_f64 v[31:32], v[31:32], -v[33:34]
	s_delay_alu instid0(VALU_DEP_4) | instskip(NEXT) | instid1(VALU_DEP_1)
	v_add_f64 v[33:34], v[39:40], v[29:30]
	v_add_f64 v[37:38], v[33:34], -v[39:40]
	v_add_f64 v[39:40], v[35:36], v[33:34]
	s_delay_alu instid0(VALU_DEP_2) | instskip(NEXT) | instid1(VALU_DEP_2)
	v_add_f64 v[29:30], v[29:30], -v[37:38]
	v_add_f64 v[41:42], v[39:40], -v[35:36]
	s_delay_alu instid0(VALU_DEP_1) | instskip(SKIP_1) | instid1(VALU_DEP_1)
	v_add_f64 v[33:34], v[33:34], -v[41:42]
	v_add_f64 v[41:42], v[39:40], -v[41:42]
	;; [unrolled: 1-line block ×3, first 2 shown]
	s_delay_alu instid0(VALU_DEP_1) | instskip(SKIP_1) | instid1(VALU_DEP_1)
	v_add_f64 v[33:34], v[33:34], v[35:36]
	v_add_f64 v[35:36], v[31:32], v[29:30]
	v_add_f64 v[37:38], v[35:36], -v[31:32]
	s_delay_alu instid0(VALU_DEP_3) | instskip(NEXT) | instid1(VALU_DEP_2)
	v_add_f64 v[33:34], v[35:36], v[33:34]
	v_add_f64 v[29:30], v[29:30], -v[37:38]
	v_add_f64 v[37:38], v[35:36], -v[37:38]
	s_delay_alu instid0(VALU_DEP_1) | instskip(NEXT) | instid1(VALU_DEP_1)
	v_add_f64 v[31:32], v[31:32], -v[37:38]
	v_add_f64 v[29:30], v[29:30], v[31:32]
	v_add_f64 v[31:32], v[39:40], v[33:34]
	s_delay_alu instid0(VALU_DEP_1) | instskip(NEXT) | instid1(VALU_DEP_1)
	v_add_f64 v[35:36], v[31:32], -v[39:40]
	v_add_f64 v[33:34], v[33:34], -v[35:36]
	s_delay_alu instid0(VALU_DEP_1) | instskip(NEXT) | instid1(VALU_DEP_1)
	v_add_f64 v[29:30], v[29:30], v[33:34]
	v_add_f64 v[29:30], v[31:32], v[29:30]
	v_cndmask_b32_e64 v32, v19, v10, s3
	v_cndmask_b32_e64 v31, v15, v3, s3
	s_delay_alu instid0(VALU_DEP_3) | instskip(NEXT) | instid1(VALU_DEP_4)
	v_cndmask_b32_e64 v23, v29, v3, s2
	v_cndmask_b32_e64 v27, -v30, -v10, s2
	v_cmp_neq_f64_e64 s2, 0, v[3:4]
	v_cndmask_b32_e64 v10, 0, 1, vcc_lo
	s_delay_alu instid0(VALU_DEP_1) | instskip(NEXT) | instid1(VALU_DEP_3)
	v_cndmask_b32_e64 v10, v10, 2, s3
	v_cndmask_b32_e64 v30, 0x7ff00000, v27, s2
	;; [unrolled: 1-line block ×3, first 2 shown]
.LBB8_123:                              ;   in Loop: Header=BB8_5 Depth=1
	s_or_b32 exec_lo, exec_lo, s75
	s_delay_alu instid0(SALU_CYCLE_1)
	s_mov_b32 s2, exec_lo
                                        ; implicit-def: $vgpr35_vgpr36
	v_cmpx_lt_i32_e32 1, v10
	s_xor_b32 s2, exec_lo, s2
	s_cbranch_execz .LBB8_125
; %bb.124:                              ;   in Loop: Header=BB8_5 Depth=1
	s_mov_b32 s80, 0xf6010924
	s_mov_b32 s82, 0xbf2bab09
	;; [unrolled: 1-line block ×4, first 2 shown]
	v_fma_f64 v[35:36], v[31:32], s[90:91], s[88:89]
	v_fma_f64 v[33:34], v[31:32], s[82:83], s[80:81]
	s_mov_b32 s80, 0x44ea8450
	s_mov_b32 s81, 0x3fef4976
	s_mov_b32 vcc_lo, s60
                                        ; implicit-def: $vgpr10
	s_delay_alu instid0(VALU_DEP_2) | instskip(NEXT) | instid1(VALU_DEP_2)
	v_fma_f64 v[35:36], v[31:32], v[35:36], s[92:93]
	v_fma_f64 v[33:34], v[31:32], v[33:34], s[80:81]
	s_delay_alu instid0(VALU_DEP_2) | instskip(NEXT) | instid1(VALU_DEP_2)
	v_fma_f64 v[35:36], v[31:32], v[35:36], s[94:95]
	v_fma_f64 v[33:34], v[31:32], v[33:34], s[84:85]
	;; [unrolled: 3-line block ×3, first 2 shown]
	s_delay_alu instid0(VALU_DEP_2) | instskip(NEXT) | instid1(VALU_DEP_2)
	v_fma_f64 v[35:36], v[31:32], v[35:36], 1.0
	v_fma_f64 v[33:34], v[31:32], v[33:34], vcc
	s_delay_alu instid0(VALU_DEP_1) | instskip(NEXT) | instid1(VALU_DEP_1)
	v_mul_f64 v[33:34], v[31:32], v[33:34]
	v_div_scale_f64 v[37:38], null, v[35:36], v[35:36], v[33:34]
	s_delay_alu instid0(VALU_DEP_1) | instskip(SKIP_2) | instid1(VALU_DEP_1)
	v_rcp_f64_e32 v[39:40], v[37:38]
	s_waitcnt_depctr 0xfff
	v_fma_f64 v[41:42], -v[37:38], v[39:40], 1.0
	v_fma_f64 v[39:40], v[39:40], v[41:42], v[39:40]
	s_delay_alu instid0(VALU_DEP_1) | instskip(NEXT) | instid1(VALU_DEP_1)
	v_fma_f64 v[41:42], -v[37:38], v[39:40], 1.0
	v_fma_f64 v[39:40], v[39:40], v[41:42], v[39:40]
	v_div_scale_f64 v[41:42], vcc_lo, v[33:34], v[35:36], v[33:34]
	s_delay_alu instid0(VALU_DEP_1) | instskip(NEXT) | instid1(VALU_DEP_1)
	v_mul_f64 v[43:44], v[41:42], v[39:40]
	v_fma_f64 v[37:38], -v[37:38], v[43:44], v[41:42]
	s_delay_alu instid0(VALU_DEP_1) | instskip(NEXT) | instid1(VALU_DEP_1)
	v_div_fmas_f64 v[37:38], v[37:38], v[39:40], v[43:44]
	v_div_fixup_f64 v[33:34], v[37:38], v[35:36], v[33:34]
	s_delay_alu instid0(VALU_DEP_1)
	v_fma_f64 v[35:36], v[31:32], -0.5, v[33:34]
                                        ; implicit-def: $vgpr31_vgpr32
.LBB8_125:                              ;   in Loop: Header=BB8_5 Depth=1
	s_and_not1_saveexec_b32 s2, s2
	s_cbranch_execz .LBB8_131
; %bb.126:                              ;   in Loop: Header=BB8_5 Depth=1
	v_mul_f64 v[33:34], v[31:32], v[31:32]
	s_mov_b32 s3, exec_lo
                                        ; implicit-def: $vgpr35_vgpr36
	v_cmpx_ne_u32_e32 1, v10
	s_xor_b32 s3, exec_lo, s3
	s_cbranch_execz .LBB8_128
; %bb.127:                              ;   in Loop: Header=BB8_5 Depth=1
	s_mov_b32 s80, 0x987dfb07
	s_mov_b32 s82, 0x90a45837
	;; [unrolled: 1-line block ×4, first 2 shown]
	s_delay_alu instid0(VALU_DEP_2) | instid1(SALU_CYCLE_1)
	v_fma_f64 v[35:36], v[33:34], s[82:83], s[80:81]
	s_mov_b32 s80, 0xed10e54d
	s_mov_b32 s82, 0x428cfa52
	s_mov_b32 s81, 0x3f2cf2ec
	s_mov_b32 s83, 0x3efa7074
	s_delay_alu instid0(SALU_CYCLE_1)
	v_fma_f64 v[37:38], v[33:34], s[82:83], s[80:81]
	s_mov_b32 s80, 0x89b99c00
	s_mov_b32 s81, 0x3f40b6c6
	s_delay_alu instid0(VALU_DEP_2) | instid1(SALU_CYCLE_1)
	v_fma_f64 v[35:36], v[33:34], v[35:36], s[80:81]
	s_mov_b32 s80, 0x116f3f5d
	s_mov_b32 s81, 0x3f538a94
	s_delay_alu instid0(VALU_DEP_2) | instid1(SALU_CYCLE_1)
	;; [unrolled: 4-line block ×7, first 2 shown]
	v_fma_f64 v[35:36], v[33:34], v[35:36], s[80:81]
	s_delay_alu instid0(VALU_DEP_2) | instskip(NEXT) | instid1(VALU_DEP_2)
	v_fma_f64 v[37:38], v[33:34], v[37:38], s[60:61]
	v_mul_f64 v[33:34], v[33:34], v[35:36]
	s_delay_alu instid0(VALU_DEP_1) | instskip(NEXT) | instid1(VALU_DEP_1)
	v_fma_f64 v[33:34], v[31:32], v[37:38], v[33:34]
	v_fma_f64 v[35:36], v[31:32], -0.5, v[33:34]
                                        ; implicit-def: $vgpr31_vgpr32
                                        ; implicit-def: $vgpr33_vgpr34
.LBB8_128:                              ;   in Loop: Header=BB8_5 Depth=1
	s_and_not1_saveexec_b32 s3, s3
	s_cbranch_execz .LBB8_130
; %bb.129:                              ;   in Loop: Header=BB8_5 Depth=1
	s_delay_alu instid0(VALU_DEP_2)
	v_mul_f64 v[35:36], v[31:32], v[33:34]
	s_mov_b32 s80, 0xef61a8e9
	s_mov_b32 s82, 0xecc38c38
	;; [unrolled: 1-line block ×4, first 2 shown]
	s_delay_alu instid0(VALU_DEP_1) | instid1(SALU_CYCLE_1)
	v_fma_f64 v[37:38], v[35:36], s[82:83], s[80:81]
	s_mov_b32 s80, 0x9c73e0ec
	s_mov_b32 s82, 0xe8c2d3f4
	;; [unrolled: 1-line block ×4, first 2 shown]
	s_delay_alu instid0(SALU_CYCLE_1) | instskip(SKIP_4) | instid1(VALU_DEP_2)
	v_fma_f64 v[39:40], v[35:36], s[82:83], s[80:81]
	s_mov_b32 s80, 0xb3e914d7
	s_mov_b32 s81, 0xbf6e2eff
	;; [unrolled: 1-line block ×4, first 2 shown]
	v_fma_f64 v[37:38], v[35:36], v[37:38], s[80:81]
	s_mov_b32 s80, 0x2e15c915
	s_mov_b32 s81, 0x3f6282d3
	s_delay_alu instid0(VALU_DEP_2) | instid1(SALU_CYCLE_1)
	v_fma_f64 v[39:40], v[35:36], v[39:40], s[80:81]
	s_mov_b32 s80, 0xbf2d1af1
	s_mov_b32 s81, 0xbf56fe8e
	s_delay_alu instid0(SALU_CYCLE_1)
	v_fma_f64 v[41:42], v[35:36], s[82:83], s[80:81]
	s_mov_b32 s80, 0x970af9ec
	s_mov_b32 s81, 0x3f9266e7
	s_delay_alu instid0(VALU_DEP_3) | instid1(SALU_CYCLE_1)
	v_fma_f64 v[37:38], v[35:36], v[37:38], s[80:81]
	s_mov_b32 s80, 0xba91ec6a
	s_mov_b32 s81, 0xbf851f9f
	s_delay_alu instid0(VALU_DEP_3) | instid1(SALU_CYCLE_1)
	v_fma_f64 v[39:40], v[35:36], v[39:40], s[80:81]
	s_mov_b32 s80, 0xe370e344
	s_mov_b32 s81, 0x3f78fce0
	s_delay_alu instid0(VALU_DEP_3) | instid1(SALU_CYCLE_1)
	v_fma_f64 v[41:42], v[35:36], v[41:42], s[80:81]
	s_mov_b32 s80, 0x8dc6c509
	s_mov_b32 s81, 0xbfc2e427
	s_delay_alu instid0(VALU_DEP_3) | instid1(SALU_CYCLE_1)
	v_fma_f64 v[37:38], v[35:36], v[37:38], s[80:81]
	s_mov_b32 s80, 0x94d5419b
	s_mov_b32 s81, 0x3fb08b42
	s_delay_alu instid0(VALU_DEP_3) | instid1(SALU_CYCLE_1)
	v_fma_f64 v[39:40], v[35:36], v[39:40], s[80:81]
	s_mov_b32 s80, 0xdf35b713
	s_mov_b32 s81, 0xbfa0c9a8
	s_delay_alu instid0(VALU_DEP_3) | instid1(SALU_CYCLE_1)
	v_fma_f64 v[41:42], v[35:36], v[41:42], s[80:81]
	s_mov_b32 s80, 0xc8ee38a2
	s_mov_b32 s81, 0x3fdef72b
	s_delay_alu instid0(VALU_DEP_2) | instskip(NEXT) | instid1(VALU_DEP_2)
	v_fma_f64 v[31:32], v[31:32], v[39:40], v[37:38]
	v_fma_f64 v[37:38], v[35:36], v[41:42], s[80:81]
	s_mov_b32 s80, 0xa48a971f
	s_mov_b32 s81, 0xbc50c7ca
	s_delay_alu instid0(VALU_DEP_2) | instid1(SALU_CYCLE_1)
	v_fma_f64 v[31:32], v[35:36], -v[31:32], s[80:81]
	s_mov_b32 s80, 0xbcc38a42
	s_mov_b32 s81, 0xbfbf19b9
	s_delay_alu instid0(VALU_DEP_1) | instskip(NEXT) | instid1(VALU_DEP_1)
	v_fma_f64 v[31:32], v[33:34], v[37:38], -v[31:32]
	v_add_f64 v[35:36], v[31:32], s[80:81]
.LBB8_130:                              ;   in Loop: Header=BB8_5 Depth=1
	s_or_b32 exec_lo, exec_lo, s3
.LBB8_131:                              ;   in Loop: Header=BB8_5 Depth=1
	s_delay_alu instid0(SALU_CYCLE_1) | instskip(NEXT) | instid1(VALU_DEP_1)
	s_or_b32 exec_lo, exec_lo, s2
	v_add_f64 v[29:30], v[29:30], v[35:36]
.LBB8_132:                              ;   in Loop: Header=BB8_5 Depth=1
	s_or_b32 exec_lo, exec_lo, s74
.LBB8_133:                              ;   in Loop: Header=BB8_5 Depth=1
	s_and_not1_saveexec_b32 s3, s73
	s_cbranch_execz .LBB8_135
; %bb.134:                              ;   in Loop: Header=BB8_5 Depth=1
	v_frexp_mant_f64_e64 v[29:30], |v[3:4]|
	s_mov_b32 s15, s69
	v_cmp_neq_f64_e64 s2, 0, v[3:4]
	s_delay_alu instid0(VALU_DEP_2) | instskip(SKIP_1) | instid1(VALU_DEP_1)
	v_cmp_gt_f64_e32 vcc_lo, s[68:69], v[29:30]
	v_cndmask_b32_e64 v10, 0x3ff00000, 2.0, vcc_lo
	v_mul_f64 v[29:30], v[29:30], v[9:10]
	v_frexp_exp_i32_f64_e32 v10, v[3:4]
	s_delay_alu instid0(VALU_DEP_2) | instskip(NEXT) | instid1(VALU_DEP_2)
	v_add_f64 v[31:32], v[29:30], 1.0
	v_subrev_co_ci_u32_e32 v10, vcc_lo, 0, v10, vcc_lo
	v_cmp_class_f64_e64 vcc_lo, v[3:4], 0x204
	s_delay_alu instid0(VALU_DEP_3) | instskip(SKIP_2) | instid1(VALU_DEP_1)
	v_rcp_f64_e32 v[33:34], v[31:32]
	s_waitcnt_depctr 0xfff
	v_fma_f64 v[35:36], -v[31:32], v[33:34], 1.0
	v_fma_f64 v[33:34], v[35:36], v[33:34], v[33:34]
	s_delay_alu instid0(VALU_DEP_1) | instskip(NEXT) | instid1(VALU_DEP_1)
	v_fma_f64 v[35:36], -v[31:32], v[33:34], 1.0
	v_fma_f64 v[33:34], v[35:36], v[33:34], v[33:34]
	v_add_f64 v[35:36], v[31:32], -1.0
	s_delay_alu instid0(VALU_DEP_1) | instskip(SKIP_1) | instid1(VALU_DEP_1)
	v_add_f64 v[35:36], v[29:30], -v[35:36]
	v_add_f64 v[29:30], v[29:30], -1.0
	v_mul_f64 v[37:38], v[29:30], v[33:34]
	s_delay_alu instid0(VALU_DEP_1) | instskip(NEXT) | instid1(VALU_DEP_1)
	v_mul_f64 v[39:40], v[31:32], v[37:38]
	v_fma_f64 v[31:32], v[37:38], v[31:32], -v[39:40]
	s_delay_alu instid0(VALU_DEP_1) | instskip(NEXT) | instid1(VALU_DEP_1)
	v_fma_f64 v[31:32], v[37:38], v[35:36], v[31:32]
	v_add_f64 v[35:36], v[39:40], v[31:32]
	s_delay_alu instid0(VALU_DEP_1) | instskip(NEXT) | instid1(VALU_DEP_1)
	v_add_f64 v[39:40], v[35:36], -v[39:40]
	v_add_f64 v[31:32], v[39:40], -v[31:32]
	;; [unrolled: 1-line block ×3, first 2 shown]
	s_delay_alu instid0(VALU_DEP_1) | instskip(NEXT) | instid1(VALU_DEP_1)
	v_add_f64 v[29:30], v[29:30], -v[39:40]
	v_add_f64 v[29:30], v[29:30], -v[35:36]
	s_delay_alu instid0(VALU_DEP_1) | instskip(SKIP_1) | instid1(VALU_DEP_2)
	v_add_f64 v[29:30], v[31:32], v[29:30]
	v_cvt_f64_i32_e32 v[31:32], v10
	v_add_f64 v[29:30], v[39:40], v[29:30]
	s_delay_alu instid0(VALU_DEP_1) | instskip(NEXT) | instid1(VALU_DEP_3)
	v_mul_f64 v[29:30], v[33:34], v[29:30]
	v_mul_f64 v[33:34], v[31:32], s[28:29]
	s_delay_alu instid0(VALU_DEP_1) | instskip(NEXT) | instid1(VALU_DEP_1)
	v_fma_f64 v[35:36], v[31:32], s[28:29], -v[33:34]
	v_fma_f64 v[31:32], v[31:32], s[30:31], v[35:36]
	s_delay_alu instid0(VALU_DEP_4) | instskip(NEXT) | instid1(VALU_DEP_1)
	v_add_f64 v[35:36], v[37:38], v[29:30]
	v_add_f64 v[37:38], v[35:36], -v[37:38]
	s_delay_alu instid0(VALU_DEP_1) | instskip(SKIP_1) | instid1(VALU_DEP_2)
	v_add_f64 v[29:30], v[29:30], -v[37:38]
	v_mul_f64 v[37:38], v[35:36], v[35:36]
	v_ldexp_f64 v[29:30], v[29:30], 1
	s_delay_alu instid0(VALU_DEP_2) | instskip(NEXT) | instid1(VALU_DEP_1)
	v_fma_f64 v[39:40], v[37:38], s[18:19], s[16:17]
	v_fma_f64 v[39:40], v[37:38], v[39:40], s[20:21]
	s_delay_alu instid0(VALU_DEP_1) | instskip(NEXT) | instid1(VALU_DEP_1)
	v_fma_f64 v[39:40], v[37:38], v[39:40], s[22:23]
	v_fma_f64 v[39:40], v[37:38], v[39:40], s[24:25]
	s_delay_alu instid0(VALU_DEP_1) | instskip(NEXT) | instid1(VALU_DEP_1)
	v_fma_f64 v[39:40], v[37:38], v[39:40], s[26:27]
	v_fma_f64 v[39:40], v[37:38], v[39:40], s[14:15]
	v_mul_f64 v[37:38], v[35:36], v[37:38]
	v_ldexp_f64 v[35:36], v[35:36], 1
	s_delay_alu instid0(VALU_DEP_2) | instskip(NEXT) | instid1(VALU_DEP_1)
	v_mul_f64 v[37:38], v[37:38], v[39:40]
	v_add_f64 v[39:40], v[35:36], v[37:38]
	s_delay_alu instid0(VALU_DEP_1) | instskip(NEXT) | instid1(VALU_DEP_1)
	v_add_f64 v[35:36], v[39:40], -v[35:36]
	v_add_f64 v[35:36], v[37:38], -v[35:36]
	s_delay_alu instid0(VALU_DEP_1) | instskip(SKIP_1) | instid1(VALU_DEP_1)
	v_add_f64 v[29:30], v[29:30], v[35:36]
	v_add_f64 v[35:36], v[33:34], v[31:32]
	v_add_f64 v[33:34], v[35:36], -v[33:34]
	s_delay_alu instid0(VALU_DEP_1) | instskip(NEXT) | instid1(VALU_DEP_4)
	v_add_f64 v[31:32], v[31:32], -v[33:34]
	v_add_f64 v[33:34], v[39:40], v[29:30]
	s_delay_alu instid0(VALU_DEP_1) | instskip(SKIP_1) | instid1(VALU_DEP_2)
	v_add_f64 v[37:38], v[33:34], -v[39:40]
	v_add_f64 v[39:40], v[35:36], v[33:34]
	v_add_f64 v[29:30], v[29:30], -v[37:38]
	s_delay_alu instid0(VALU_DEP_2) | instskip(NEXT) | instid1(VALU_DEP_1)
	v_add_f64 v[41:42], v[39:40], -v[35:36]
	v_add_f64 v[33:34], v[33:34], -v[41:42]
	;; [unrolled: 1-line block ×3, first 2 shown]
	s_delay_alu instid0(VALU_DEP_1) | instskip(NEXT) | instid1(VALU_DEP_1)
	v_add_f64 v[35:36], v[35:36], -v[41:42]
	v_add_f64 v[33:34], v[33:34], v[35:36]
	v_add_f64 v[35:36], v[31:32], v[29:30]
	s_delay_alu instid0(VALU_DEP_1) | instskip(NEXT) | instid1(VALU_DEP_3)
	v_add_f64 v[37:38], v[35:36], -v[31:32]
	v_add_f64 v[33:34], v[35:36], v[33:34]
	s_delay_alu instid0(VALU_DEP_2) | instskip(SKIP_1) | instid1(VALU_DEP_1)
	v_add_f64 v[29:30], v[29:30], -v[37:38]
	v_add_f64 v[37:38], v[35:36], -v[37:38]
	;; [unrolled: 1-line block ×3, first 2 shown]
	s_delay_alu instid0(VALU_DEP_1) | instskip(SKIP_1) | instid1(VALU_DEP_1)
	v_add_f64 v[29:30], v[29:30], v[31:32]
	v_add_f64 v[31:32], v[39:40], v[33:34]
	v_add_f64 v[35:36], v[31:32], -v[39:40]
	s_delay_alu instid0(VALU_DEP_1) | instskip(NEXT) | instid1(VALU_DEP_1)
	v_add_f64 v[33:34], v[33:34], -v[35:36]
	v_add_f64 v[29:30], v[29:30], v[33:34]
	v_fma_f64 v[33:34], |v[3:4]|, s[46:47], s[44:45]
	s_delay_alu instid0(VALU_DEP_2) | instskip(NEXT) | instid1(VALU_DEP_2)
	v_add_f64 v[29:30], v[31:32], v[29:30]
	v_fma_f64 v[33:34], |v[3:4]|, v[33:34], s[98:99]
	s_delay_alu instid0(VALU_DEP_2) | instskip(NEXT) | instid1(VALU_DEP_2)
	v_dual_cndmask_b32 v15, v29, v3 :: v_dual_and_b32 v10, 0x7fffffff, v4
	v_fma_f64 v[33:34], |v[3:4]|, v[33:34], s[100:101]
	s_delay_alu instid0(VALU_DEP_2) | instskip(NEXT) | instid1(VALU_DEP_3)
	v_cndmask_b32_e64 v10, -v30, -v10, vcc_lo
	v_cndmask_b32_e64 v29, 0, v15, s2
	s_delay_alu instid0(VALU_DEP_2) | instskip(NEXT) | instid1(VALU_DEP_4)
	v_cndmask_b32_e64 v30, 0x7ff00000, v10, s2
	v_fma_f64 v[31:32], |v[3:4]|, v[33:34], s[102:103]
	s_delay_alu instid0(VALU_DEP_1)
	v_fma_f64 v[29:30], |v[3:4]|, v[31:32], v[29:30]
.LBB8_135:                              ;   in Loop: Header=BB8_5 Depth=1
	s_or_b32 exec_lo, exec_lo, s3
	s_delay_alu instid0(SALU_CYCLE_1)
	s_mov_b32 s2, exec_lo
	v_cmpx_le_f64_e32 0, v[3:4]
	s_xor_b32 s3, exec_lo, s2
; %bb.136:                              ;   in Loop: Header=BB8_5 Depth=1
	v_cmp_eq_f64_e32 vcc_lo, 1.0, v[3:4]
	v_cmp_eq_f64_e64 s2, 2.0, v[3:4]
	s_delay_alu instid0(VALU_DEP_1)
	s_or_b32 s2, vcc_lo, s2
	s_delay_alu instid0(VALU_DEP_4) | instid1(SALU_CYCLE_1)
	v_cndmask_b32_e64 v30, v30, 0, s2
	v_cndmask_b32_e64 v29, v29, 0, s2
; %bb.137:                              ;   in Loop: Header=BB8_5 Depth=1
	s_and_not1_saveexec_b32 s3, s3
	s_cbranch_execz .LBB8_4
; %bb.138:                              ;   in Loop: Header=BB8_5 Depth=1
	v_add_nc_u32_e32 v10, 0xc32fffff, v28
	s_mov_b32 s73, exec_lo
	s_delay_alu instid0(VALU_DEP_1)
	v_cmpx_gt_u32_e32 0x65fffff, v10
	s_cbranch_execz .LBB8_3
; %bb.139:                              ;   in Loop: Header=BB8_5 Depth=1
	v_mul_f64 v[31:32], |v[3:4]|, 0.5
	v_cmp_gt_f64_e64 s2, |v[3:4]|, 1.0
	s_mov_b32 s15, s69
	s_delay_alu instid0(VALU_DEP_2) | instskip(SKIP_1) | instid1(VALU_DEP_2)
	v_fract_f64_e32 v[33:34], v[31:32]
	v_cmp_neq_f64_e64 vcc_lo, 0x7ff00000, |v[31:32]|
	v_add_f64 v[31:32], v[33:34], v[33:34]
	s_delay_alu instid0(VALU_DEP_1) | instskip(NEXT) | instid1(VALU_DEP_2)
	v_dual_cndmask_b32 v19, 0, v31 :: v_dual_and_b32 v10, 0x7fffffff, v4
	v_cndmask_b32_e32 v15, 0, v32, vcc_lo
	s_delay_alu instid0(VALU_DEP_2) | instskip(NEXT) | instid1(VALU_DEP_2)
	v_cndmask_b32_e64 v31, v3, v19, s2
	v_cndmask_b32_e64 v32, v10, v15, s2
	s_delay_alu instid0(VALU_DEP_1) | instskip(NEXT) | instid1(VALU_DEP_1)
	v_add_f64 v[33:34], v[31:32], v[31:32]
	v_rndne_f64_e32 v[33:34], v[33:34]
	s_delay_alu instid0(VALU_DEP_1) | instskip(SKIP_1) | instid1(VALU_DEP_2)
	v_fma_f64 v[31:32], v[33:34], -0.5, v[31:32]
	v_cvt_i32_f64_e32 v10, v[33:34]
	v_mul_f64 v[35:36], v[31:32], v[31:32]
	s_delay_alu instid0(VALU_DEP_2) | instskip(SKIP_1) | instid1(VALU_DEP_2)
	v_and_b32_e32 v15, 1, v10
	v_lshlrev_b32_e32 v10, 30, v10
	v_cmp_eq_u32_e32 vcc_lo, 0, v15
	s_delay_alu instid0(VALU_DEP_2) | instskip(NEXT) | instid1(VALU_DEP_1)
	v_xor_b32_e32 v10, v10, v4
	v_and_b32_e32 v10, 0x80000000, v10
	v_fma_f64 v[37:38], v[35:36], s[36:37], s[34:35]
	v_mul_f64 v[39:40], v[31:32], v[35:36]
	s_delay_alu instid0(VALU_DEP_2) | instskip(NEXT) | instid1(VALU_DEP_1)
	v_fma_f64 v[37:38], v[35:36], v[37:38], s[38:39]
	v_fma_f64 v[37:38], v[35:36], v[37:38], s[40:41]
	s_delay_alu instid0(VALU_DEP_1) | instskip(NEXT) | instid1(VALU_DEP_1)
	v_fma_f64 v[37:38], v[35:36], v[37:38], s[42:43]
	v_fma_f64 v[37:38], v[35:36], v[37:38], s[48:49]
	s_delay_alu instid0(VALU_DEP_1) | instskip(NEXT) | instid1(VALU_DEP_1)
	v_mul_f64 v[37:38], v[39:40], v[37:38]
	v_fma_f64 v[31:32], v[31:32], s[50:51], v[37:38]
	v_fma_f64 v[37:38], v[35:36], s[54:55], s[52:53]
	s_delay_alu instid0(VALU_DEP_1) | instskip(NEXT) | instid1(VALU_DEP_1)
	v_fma_f64 v[37:38], v[35:36], v[37:38], s[56:57]
	v_fma_f64 v[37:38], v[35:36], v[37:38], s[58:59]
	s_delay_alu instid0(VALU_DEP_1) | instskip(NEXT) | instid1(VALU_DEP_1)
	;; [unrolled: 3-line block ×3, first 2 shown]
	v_fma_f64 v[37:38], v[35:36], v[37:38], s[66:67]
	v_fma_f64 v[35:36], v[35:36], v[37:38], 1.0
	s_delay_alu instid0(VALU_DEP_1) | instskip(NEXT) | instid1(VALU_DEP_2)
	v_cndmask_b32_e32 v15, v35, v31, vcc_lo
	v_cndmask_b32_e32 v19, v36, v32, vcc_lo
	v_cmp_class_f64_e64 vcc_lo, v[3:4], 0x1f8
	s_delay_alu instid0(VALU_DEP_2) | instskip(NEXT) | instid1(VALU_DEP_4)
	v_xor_b32_e32 v10, v19, v10
	v_cndmask_b32_e32 v31, 0, v15, vcc_lo
	s_delay_alu instid0(VALU_DEP_2) | instskip(NEXT) | instid1(VALU_DEP_1)
	v_cndmask_b32_e32 v32, 0x7ff80000, v10, vcc_lo
	v_mul_f64 v[31:32], v[3:4], v[31:32]
	s_delay_alu instid0(VALU_DEP_1) | instskip(NEXT) | instid1(VALU_DEP_1)
	v_dual_mov_b32 v33, v31 :: v_dual_and_b32 v34, 0x7fffffff, v32
	v_div_scale_f64 v[35:36], null, v[33:34], v[33:34], s[50:51]
	v_div_scale_f64 v[33:34], vcc_lo, s[50:51], v[33:34], s[50:51]
	s_delay_alu instid0(VALU_DEP_2) | instskip(SKIP_2) | instid1(VALU_DEP_1)
	v_rcp_f64_e32 v[37:38], v[35:36]
	s_waitcnt_depctr 0xfff
	v_fma_f64 v[39:40], -v[35:36], v[37:38], 1.0
	v_fma_f64 v[37:38], v[37:38], v[39:40], v[37:38]
	s_delay_alu instid0(VALU_DEP_1) | instskip(NEXT) | instid1(VALU_DEP_1)
	v_fma_f64 v[39:40], -v[35:36], v[37:38], 1.0
	v_fma_f64 v[37:38], v[37:38], v[39:40], v[37:38]
	s_delay_alu instid0(VALU_DEP_1) | instskip(NEXT) | instid1(VALU_DEP_1)
	v_mul_f64 v[39:40], v[33:34], v[37:38]
	v_fma_f64 v[33:34], -v[35:36], v[39:40], v[33:34]
	s_delay_alu instid0(VALU_DEP_1) | instskip(NEXT) | instid1(VALU_DEP_1)
	v_div_fmas_f64 v[33:34], v[33:34], v[37:38], v[39:40]
	v_div_fixup_f64 v[31:32], v[33:34], |v[31:32]|, s[50:51]
	s_delay_alu instid0(VALU_DEP_1) | instskip(SKIP_1) | instid1(VALU_DEP_2)
	v_frexp_mant_f64_e32 v[33:34], v[31:32]
	v_cmp_neq_f64_e64 s2, 0, v[31:32]
	v_cmp_gt_f64_e32 vcc_lo, s[68:69], v[33:34]
	v_cndmask_b32_e64 v10, 0x3ff00000, 2.0, vcc_lo
	s_delay_alu instid0(VALU_DEP_1) | instskip(SKIP_1) | instid1(VALU_DEP_2)
	v_mul_f64 v[33:34], v[33:34], v[9:10]
	v_frexp_exp_i32_f64_e32 v10, v[31:32]
	v_add_f64 v[35:36], v[33:34], 1.0
	s_delay_alu instid0(VALU_DEP_2) | instskip(SKIP_1) | instid1(VALU_DEP_3)
	v_subrev_co_ci_u32_e32 v10, vcc_lo, 0, v10, vcc_lo
	v_cmp_class_f64_e64 vcc_lo, v[31:32], 0x204
	v_rcp_f64_e32 v[37:38], v[35:36]
	s_waitcnt_depctr 0xfff
	v_fma_f64 v[39:40], -v[35:36], v[37:38], 1.0
	s_delay_alu instid0(VALU_DEP_1) | instskip(NEXT) | instid1(VALU_DEP_1)
	v_fma_f64 v[37:38], v[39:40], v[37:38], v[37:38]
	v_fma_f64 v[39:40], -v[35:36], v[37:38], 1.0
	s_delay_alu instid0(VALU_DEP_1) | instskip(SKIP_1) | instid1(VALU_DEP_1)
	v_fma_f64 v[37:38], v[39:40], v[37:38], v[37:38]
	v_add_f64 v[39:40], v[35:36], -1.0
	v_add_f64 v[39:40], v[33:34], -v[39:40]
	v_add_f64 v[33:34], v[33:34], -1.0
	s_delay_alu instid0(VALU_DEP_1) | instskip(NEXT) | instid1(VALU_DEP_1)
	v_mul_f64 v[41:42], v[33:34], v[37:38]
	v_mul_f64 v[43:44], v[35:36], v[41:42]
	s_delay_alu instid0(VALU_DEP_1) | instskip(NEXT) | instid1(VALU_DEP_1)
	v_fma_f64 v[35:36], v[41:42], v[35:36], -v[43:44]
	v_fma_f64 v[35:36], v[41:42], v[39:40], v[35:36]
	s_delay_alu instid0(VALU_DEP_1) | instskip(NEXT) | instid1(VALU_DEP_1)
	v_add_f64 v[39:40], v[43:44], v[35:36]
	v_add_f64 v[43:44], v[39:40], -v[43:44]
	s_delay_alu instid0(VALU_DEP_1) | instskip(SKIP_1) | instid1(VALU_DEP_1)
	v_add_f64 v[35:36], v[43:44], -v[35:36]
	v_add_f64 v[43:44], v[33:34], -v[39:40]
	;; [unrolled: 1-line block ×3, first 2 shown]
	s_delay_alu instid0(VALU_DEP_1) | instskip(NEXT) | instid1(VALU_DEP_1)
	v_add_f64 v[33:34], v[33:34], -v[39:40]
	v_add_f64 v[33:34], v[35:36], v[33:34]
	v_cvt_f64_i32_e32 v[35:36], v10
	s_delay_alu instid0(VALU_DEP_2) | instskip(NEXT) | instid1(VALU_DEP_1)
	v_add_f64 v[33:34], v[43:44], v[33:34]
	v_mul_f64 v[33:34], v[37:38], v[33:34]
	s_delay_alu instid0(VALU_DEP_3) | instskip(NEXT) | instid1(VALU_DEP_1)
	v_mul_f64 v[37:38], v[35:36], s[28:29]
	v_fma_f64 v[39:40], v[35:36], s[28:29], -v[37:38]
	s_delay_alu instid0(VALU_DEP_1) | instskip(NEXT) | instid1(VALU_DEP_4)
	v_fma_f64 v[35:36], v[35:36], s[30:31], v[39:40]
	v_add_f64 v[39:40], v[41:42], v[33:34]
	s_delay_alu instid0(VALU_DEP_1) | instskip(NEXT) | instid1(VALU_DEP_1)
	v_add_f64 v[41:42], v[39:40], -v[41:42]
	v_add_f64 v[33:34], v[33:34], -v[41:42]
	v_mul_f64 v[41:42], v[39:40], v[39:40]
	s_delay_alu instid0(VALU_DEP_2) | instskip(NEXT) | instid1(VALU_DEP_2)
	v_ldexp_f64 v[33:34], v[33:34], 1
	v_fma_f64 v[43:44], v[41:42], s[18:19], s[16:17]
	s_delay_alu instid0(VALU_DEP_1) | instskip(NEXT) | instid1(VALU_DEP_1)
	v_fma_f64 v[43:44], v[41:42], v[43:44], s[20:21]
	v_fma_f64 v[43:44], v[41:42], v[43:44], s[22:23]
	s_delay_alu instid0(VALU_DEP_1) | instskip(NEXT) | instid1(VALU_DEP_1)
	v_fma_f64 v[43:44], v[41:42], v[43:44], s[24:25]
	v_fma_f64 v[43:44], v[41:42], v[43:44], s[26:27]
	s_delay_alu instid0(VALU_DEP_1) | instskip(SKIP_2) | instid1(VALU_DEP_2)
	v_fma_f64 v[43:44], v[41:42], v[43:44], s[14:15]
	v_mul_f64 v[41:42], v[39:40], v[41:42]
	v_ldexp_f64 v[39:40], v[39:40], 1
	v_mul_f64 v[41:42], v[41:42], v[43:44]
	s_delay_alu instid0(VALU_DEP_1) | instskip(NEXT) | instid1(VALU_DEP_1)
	v_add_f64 v[43:44], v[39:40], v[41:42]
	v_add_f64 v[39:40], v[43:44], -v[39:40]
	s_delay_alu instid0(VALU_DEP_1) | instskip(NEXT) | instid1(VALU_DEP_1)
	v_add_f64 v[39:40], v[41:42], -v[39:40]
	v_add_f64 v[33:34], v[33:34], v[39:40]
	v_add_f64 v[39:40], v[37:38], v[35:36]
	s_delay_alu instid0(VALU_DEP_1) | instskip(NEXT) | instid1(VALU_DEP_1)
	v_add_f64 v[37:38], v[39:40], -v[37:38]
	v_add_f64 v[35:36], v[35:36], -v[37:38]
	s_delay_alu instid0(VALU_DEP_4) | instskip(NEXT) | instid1(VALU_DEP_1)
	v_add_f64 v[37:38], v[43:44], v[33:34]
	v_add_f64 v[41:42], v[37:38], -v[43:44]
	v_add_f64 v[43:44], v[39:40], v[37:38]
	s_delay_alu instid0(VALU_DEP_2) | instskip(NEXT) | instid1(VALU_DEP_2)
	v_add_f64 v[33:34], v[33:34], -v[41:42]
	v_add_f64 v[45:46], v[43:44], -v[39:40]
	s_delay_alu instid0(VALU_DEP_1) | instskip(SKIP_1) | instid1(VALU_DEP_1)
	v_add_f64 v[37:38], v[37:38], -v[45:46]
	v_add_f64 v[45:46], v[43:44], -v[45:46]
	;; [unrolled: 1-line block ×3, first 2 shown]
	s_delay_alu instid0(VALU_DEP_1) | instskip(SKIP_1) | instid1(VALU_DEP_1)
	v_add_f64 v[37:38], v[37:38], v[39:40]
	v_add_f64 v[39:40], v[35:36], v[33:34]
	v_add_f64 v[41:42], v[39:40], -v[35:36]
	s_delay_alu instid0(VALU_DEP_3) | instskip(NEXT) | instid1(VALU_DEP_2)
	v_add_f64 v[37:38], v[39:40], v[37:38]
	v_add_f64 v[33:34], v[33:34], -v[41:42]
	v_add_f64 v[41:42], v[39:40], -v[41:42]
	s_delay_alu instid0(VALU_DEP_1) | instskip(NEXT) | instid1(VALU_DEP_1)
	v_add_f64 v[35:36], v[35:36], -v[41:42]
	v_add_f64 v[33:34], v[33:34], v[35:36]
	v_add_f64 v[35:36], v[43:44], v[37:38]
	s_delay_alu instid0(VALU_DEP_1) | instskip(NEXT) | instid1(VALU_DEP_1)
	v_add_f64 v[39:40], v[35:36], -v[43:44]
	v_add_f64 v[37:38], v[37:38], -v[39:40]
	s_delay_alu instid0(VALU_DEP_1) | instskip(NEXT) | instid1(VALU_DEP_1)
	v_add_f64 v[33:34], v[33:34], v[37:38]
	v_add_f64 v[33:34], v[35:36], v[33:34]
	s_delay_alu instid0(VALU_DEP_1) | instskip(SKIP_1) | instid1(VALU_DEP_2)
	v_dual_cndmask_b32 v10, v33, v31 :: v_dual_cndmask_b32 v15, v34, v32
	v_fract_f64_e32 v[31:32], v[3:4]
	v_cndmask_b32_e64 v33, 0, v10, s2
	s_delay_alu instid0(VALU_DEP_3) | instskip(SKIP_1) | instid1(VALU_DEP_2)
	v_cndmask_b32_e64 v34, 0xfff00000, v15, s2
	v_cmp_class_f64_e64 s2, v[3:4], 0x204
	v_add_f64 v[29:30], v[33:34], -v[29:30]
	v_cmp_eq_f64_e32 vcc_lo, 0, v[31:32]
	s_delay_alu instid0(VALU_DEP_3)
	s_or_b32 s2, s2, vcc_lo
	s_delay_alu instid0(VALU_DEP_2) | instid1(SALU_CYCLE_1)
	v_cndmask_b32_e64 v30, v30, 0x7ff00000, s2
	s_delay_alu instid0(VALU_DEP_3)
	v_cndmask_b32_e64 v29, v29, 0, s2
	s_branch .LBB8_3
.LBB8_140:
	s_delay_alu instid0(VALU_DEP_1) | instskip(NEXT) | instid1(VALU_DEP_1)
	v_readlane_b32 s2, v67, 0
	s_or_b32 exec_lo, exec_lo, s2
	s_mov_b32 s2, 0
.LBB8_141:
	s_delay_alu instid0(SALU_CYCLE_1)
	s_and_not1_b32 vcc_lo, exec_lo, s2
	s_cbranch_vccnz .LBB8_297
; %bb.142:
	v_cmp_lt_i64_e64 s2, s[10:11], 1
	s_delay_alu instid0(VALU_DEP_1)
	s_and_b32 vcc_lo, exec_lo, s2
	s_cbranch_vccnz .LBB8_297
; %bb.143:
	s_load_b32 s0, s[0:1], 0xc5c
	v_dual_mov_b32 v1, 0 :: v_dual_lshlrev_b32 v2, 3, v0
	v_cmp_gt_u64_e64 s1, 0x10000, s[10:11]
	s_mov_b32 s70, 0x55555555
	s_mov_b32 s16, 0x6b47b09a
	s_delay_alu instid0(VALU_DEP_2)
	v_mov_b32_e32 v3, v1
	v_add_co_u32 v31, s2, s4, v2
	v_add_co_u32 v32, s3, s6, v2
	v_add_co_ci_u32_e64 v44, null, s5, 0, s2
	v_add_co_ci_u32_e64 v45, null, s7, 0, s3
	s_mov_b32 s18, 0xbf559e2b
	s_mov_b32 s20, 0xd7f4df2e
	;; [unrolled: 1-line block ×5, first 2 shown]
	s_waitcnt lgkmcnt(0)
	s_and_b32 s14, s0, 0xffff
	s_and_b32 s0, s1, exec_lo
	v_mad_u64_u32 v[4:5], null, s14, 24, v[2:3]
	s_cselect_b32 s13, s11, 0
	s_cselect_b32 s12, s10, 0x10000
	s_lshl_b32 s0, s14, 4
	s_lshl_b32 s1, s14, 1
	v_add_co_u32 v2, s0, s0, v2
	s_delay_alu instid0(VALU_DEP_1) | instskip(NEXT) | instid1(VALU_DEP_3)
	v_add_co_ci_u32_e64 v3, null, 0, 0, s0
	v_add_co_u32 v33, vcc_lo, s4, v4
	v_add_co_u32 v34, s0, s6, v4
	v_add_co_ci_u32_e32 v35, vcc_lo, s5, v5, vcc_lo
	v_add_co_ci_u32_e64 v36, vcc_lo, s7, v5, s0
	v_add_co_u32 v37, vcc_lo, s4, v2
	v_add_co_u32 v38, s0, s6, v2
	v_add_co_ci_u32_e32 v39, vcc_lo, s5, v3, vcc_lo
	v_add_co_ci_u32_e64 v40, vcc_lo, s7, v3, s0
	v_add_co_u32 v41, s0, v0, s14
	s_mul_i32 s15, s14, 3
	v_add_co_ci_u32_e64 v48, null, 0, 0, s0
	s_delay_alu instid0(VALU_DEP_2) | instskip(SKIP_2) | instid1(VALU_DEP_3)
	v_lshlrev_b32_e32 v2, 3, v41
	v_add_co_u32 v46, s2, s15, v0
	v_add_co_u32 v49, s0, s1, v0
	;; [unrolled: 1-line block ×4, first 2 shown]
	v_add_co_ci_u32_e64 v47, null, 0, 0, s2
	v_add_co_ci_u32_e64 v50, null, 0, 0, s0
	v_add_co_ci_u32_e64 v51, null, s5, 0, s4
	v_add_co_ci_u32_e64 v52, null, s7, 0, s6
	s_mov_b32 s28, 0xfefa39ef
	s_mov_b32 s30, 0x3b39803f
	;; [unrolled: 1-line block ×33, first 2 shown]
	s_lshl_b32 s33, s14, 2
	s_lshl_b32 s104, s14, 5
	s_mov_b32 s71, 0x3fe55555
	s_mov_b32 s17, 0x3fc38538
	;; [unrolled: 1-line block ×40, first 2 shown]
	s_mov_b64 s[68:69], 0
	s_mov_b32 s14, 0x55555780
	s_mov_b32 s7, 0xbfb3c467
	s_branch .LBB8_145
.LBB8_144:                              ;   in Loop: Header=BB8_145 Depth=1
	s_or_b32 exec_lo, exec_lo, s2
	v_add_co_u32 v31, vcc_lo, v31, s104
	v_add_co_ci_u32_e32 v44, vcc_lo, 0, v44, vcc_lo
	v_add_co_u32 v32, vcc_lo, v32, s104
	v_add_co_ci_u32_e32 v45, vcc_lo, 0, v45, vcc_lo
	v_add_co_u32 v33, vcc_lo, v33, s104
	v_add_co_ci_u32_e32 v35, vcc_lo, 0, v35, vcc_lo
	v_add_co_u32 v34, vcc_lo, v34, s104
	v_add_co_ci_u32_e32 v36, vcc_lo, 0, v36, vcc_lo
	v_add_co_u32 v37, vcc_lo, v37, s104
	v_add_co_ci_u32_e32 v39, vcc_lo, 0, v39, vcc_lo
	s_add_u32 s68, s68, s33
	v_add_co_u32 v38, vcc_lo, v38, s104
	s_addc_u32 s69, s69, 0
	v_add_co_ci_u32_e32 v40, vcc_lo, 0, v40, vcc_lo
	v_cmp_ge_i64_e64 s0, s[68:69], s[10:11]
	v_cmp_lt_u64_e64 s1, 0xffff, s[68:69]
	v_add_co_u32 v42, vcc_lo, v42, s104
	v_add_co_ci_u32_e32 v51, vcc_lo, 0, v51, vcc_lo
	v_add_co_u32 v43, vcc_lo, v43, s104
	v_add_co_ci_u32_e32 v52, vcc_lo, 0, v52, vcc_lo
	s_or_b32 s0, s0, s1
	s_delay_alu instid0(SALU_CYCLE_1)
	s_and_b32 vcc_lo, exec_lo, s0
	s_cbranch_vccnz .LBB8_297
.LBB8_145:                              ; =>This Inner Loop Header: Depth=1
	v_add_co_u32 v2, s0, v0, s68
	s_delay_alu instid0(VALU_DEP_1) | instskip(SKIP_2) | instid1(VALU_DEP_3)
	v_add_co_ci_u32_e64 v3, null, 0, s69, s0
	v_mov_b32_e32 v5, 0
	v_mov_b32_e32 v6, 0
	v_cmp_gt_u64_e64 s3, s[12:13], v[2:3]
	s_delay_alu instid0(VALU_DEP_2) | instskip(NEXT) | instid1(VALU_DEP_2)
	v_dual_mov_b32 v10, v6 :: v_dual_mov_b32 v9, v5
	s_and_saveexec_b32 s0, s3
	s_cbranch_execz .LBB8_147
; %bb.146:                              ;   in Loop: Header=BB8_145 Depth=1
	v_add_co_u32 v2, vcc_lo, v31, s8
	v_add_co_ci_u32_e32 v3, vcc_lo, s9, v44, vcc_lo
	global_load_b64 v[9:10], v[2:3], off
.LBB8_147:                              ;   in Loop: Header=BB8_145 Depth=1
	s_or_b32 exec_lo, exec_lo, s0
	v_add_co_u32 v2, vcc_lo, v41, s68
	v_add_co_ci_u32_e32 v3, vcc_lo, s69, v48, vcc_lo
	s_delay_alu instid0(VALU_DEP_1) | instskip(NEXT) | instid1(VALU_DEP_1)
	v_cmp_gt_u64_e64 s2, s[12:13], v[2:3]
	s_and_saveexec_b32 s0, s2
	s_cbranch_execz .LBB8_149
; %bb.148:                              ;   in Loop: Header=BB8_145 Depth=1
	v_add_co_u32 v2, vcc_lo, v42, s8
	v_add_co_ci_u32_e32 v3, vcc_lo, s9, v51, vcc_lo
	global_load_b64 v[5:6], v[2:3], off
.LBB8_149:                              ;   in Loop: Header=BB8_145 Depth=1
	s_or_b32 exec_lo, exec_lo, s0
	v_add_co_u32 v7, vcc_lo, v49, s68
	v_add_co_ci_u32_e32 v8, vcc_lo, s69, v50, vcc_lo
	v_mov_b32_e32 v3, 0
	v_mov_b32_e32 v4, 0
	s_delay_alu instid0(VALU_DEP_3) | instskip(NEXT) | instid1(VALU_DEP_2)
	v_cmp_gt_u64_e64 s1, s[12:13], v[7:8]
	v_dual_mov_b32 v8, v4 :: v_dual_mov_b32 v7, v3
	s_delay_alu instid0(VALU_DEP_2)
	s_and_saveexec_b32 s0, s1
	s_cbranch_execz .LBB8_151
; %bb.150:                              ;   in Loop: Header=BB8_145 Depth=1
	v_add_co_u32 v7, vcc_lo, v37, s8
	v_add_co_ci_u32_e32 v8, vcc_lo, s9, v39, vcc_lo
	global_load_b64 v[7:8], v[7:8], off
.LBB8_151:                              ;   in Loop: Header=BB8_145 Depth=1
	s_or_b32 exec_lo, exec_lo, s0
	v_add_co_u32 v11, vcc_lo, v46, s68
	v_add_co_ci_u32_e32 v12, vcc_lo, s69, v47, vcc_lo
	s_delay_alu instid0(VALU_DEP_1) | instskip(NEXT) | instid1(VALU_DEP_1)
	v_cmp_gt_u64_e64 s0, s[12:13], v[11:12]
	s_and_saveexec_b32 s4, s0
	s_cbranch_execz .LBB8_153
; %bb.152:                              ;   in Loop: Header=BB8_145 Depth=1
	v_add_co_u32 v2, vcc_lo, v33, s8
	v_add_co_ci_u32_e32 v3, vcc_lo, s9, v35, vcc_lo
	global_load_b64 v[3:4], v[2:3], off
.LBB8_153:                              ;   in Loop: Header=BB8_145 Depth=1
	s_or_b32 exec_lo, exec_lo, s4
	s_waitcnt vmcnt(0)
	v_dual_mov_b32 v11, v9 :: v_dual_and_b32 v12, 0x7fffffff, v10
                                        ; implicit-def: $vgpr13_vgpr14
	s_mov_b32 s4, exec_lo
	s_delay_alu instid0(VALU_DEP_1)
	v_cmpx_lt_u32_e32 0x3f6fffff, v12
	s_xor_b32 vcc_hi, exec_lo, s4
	s_cbranch_execz .LBB8_179
; %bb.154:                              ;   in Loop: Header=BB8_145 Depth=1
                                        ; implicit-def: $vgpr13_vgpr14
	s_mov_b32 s4, exec_lo
	v_cmpx_lt_u32_e32 0x3fffffff, v12
	s_xor_b32 s72, exec_lo, s4
	s_cbranch_execz .LBB8_164
; %bb.155:                              ;   in Loop: Header=BB8_145 Depth=1
                                        ; implicit-def: $vgpr13_vgpr14
	s_mov_b32 s4, exec_lo
	v_cmpx_lt_u32_e32 0x401fffff, v12
	s_xor_b32 s5, exec_lo, s4
	;; [unrolled: 6-line block ×3, first 2 shown]
	s_cbranch_execz .LBB8_158
; %bb.157:                              ;   in Loop: Header=BB8_145 Depth=1
	v_frexp_mant_f64_e64 v[13:14], |v[9:10]|
	s_mov_b32 s15, s71
	v_cmp_neq_f64_e64 s4, 0, v[9:10]
	s_delay_alu instid0(VALU_DEP_2) | instskip(SKIP_1) | instid1(VALU_DEP_1)
	v_cmp_gt_f64_e32 vcc_lo, s[70:71], v[13:14]
	v_cndmask_b32_e64 v2, 0x3ff00000, 2.0, vcc_lo
	v_mul_f64 v[13:14], v[13:14], v[1:2]
	v_frexp_exp_i32_f64_e32 v2, v[9:10]
	s_delay_alu instid0(VALU_DEP_2) | instskip(NEXT) | instid1(VALU_DEP_2)
	v_add_f64 v[15:16], v[13:14], 1.0
	v_subrev_co_ci_u32_e32 v2, vcc_lo, 0, v2, vcc_lo
	v_cmp_class_f64_e64 vcc_lo, v[9:10], 0x204
	s_delay_alu instid0(VALU_DEP_3) | instskip(SKIP_2) | instid1(VALU_DEP_1)
	v_rcp_f64_e32 v[17:18], v[15:16]
	s_waitcnt_depctr 0xfff
	v_fma_f64 v[19:20], -v[15:16], v[17:18], 1.0
	v_fma_f64 v[17:18], v[19:20], v[17:18], v[17:18]
	s_delay_alu instid0(VALU_DEP_1) | instskip(NEXT) | instid1(VALU_DEP_1)
	v_fma_f64 v[19:20], -v[15:16], v[17:18], 1.0
	v_fma_f64 v[17:18], v[19:20], v[17:18], v[17:18]
	v_add_f64 v[19:20], v[15:16], -1.0
	s_delay_alu instid0(VALU_DEP_1) | instskip(SKIP_1) | instid1(VALU_DEP_1)
	v_add_f64 v[19:20], v[13:14], -v[19:20]
	v_add_f64 v[13:14], v[13:14], -1.0
	v_mul_f64 v[21:22], v[13:14], v[17:18]
	s_delay_alu instid0(VALU_DEP_1) | instskip(NEXT) | instid1(VALU_DEP_1)
	v_mul_f64 v[23:24], v[15:16], v[21:22]
	v_fma_f64 v[15:16], v[21:22], v[15:16], -v[23:24]
	s_delay_alu instid0(VALU_DEP_1) | instskip(NEXT) | instid1(VALU_DEP_1)
	v_fma_f64 v[15:16], v[21:22], v[19:20], v[15:16]
	v_add_f64 v[19:20], v[23:24], v[15:16]
	s_delay_alu instid0(VALU_DEP_1) | instskip(NEXT) | instid1(VALU_DEP_1)
	v_add_f64 v[23:24], v[19:20], -v[23:24]
	v_add_f64 v[15:16], v[23:24], -v[15:16]
	;; [unrolled: 1-line block ×3, first 2 shown]
	s_delay_alu instid0(VALU_DEP_1) | instskip(NEXT) | instid1(VALU_DEP_1)
	v_add_f64 v[13:14], v[13:14], -v[23:24]
	v_add_f64 v[13:14], v[13:14], -v[19:20]
	s_delay_alu instid0(VALU_DEP_1) | instskip(SKIP_1) | instid1(VALU_DEP_2)
	v_add_f64 v[13:14], v[15:16], v[13:14]
	v_cvt_f64_i32_e32 v[15:16], v2
	v_add_f64 v[13:14], v[23:24], v[13:14]
	s_delay_alu instid0(VALU_DEP_1) | instskip(NEXT) | instid1(VALU_DEP_3)
	v_mul_f64 v[13:14], v[17:18], v[13:14]
	v_mul_f64 v[17:18], v[15:16], s[28:29]
	s_delay_alu instid0(VALU_DEP_1) | instskip(NEXT) | instid1(VALU_DEP_1)
	v_fma_f64 v[19:20], v[15:16], s[28:29], -v[17:18]
	v_fma_f64 v[15:16], v[15:16], s[30:31], v[19:20]
	s_delay_alu instid0(VALU_DEP_4) | instskip(NEXT) | instid1(VALU_DEP_1)
	v_add_f64 v[19:20], v[21:22], v[13:14]
	v_add_f64 v[21:22], v[19:20], -v[21:22]
	s_delay_alu instid0(VALU_DEP_1) | instskip(SKIP_1) | instid1(VALU_DEP_2)
	v_add_f64 v[13:14], v[13:14], -v[21:22]
	v_mul_f64 v[21:22], v[19:20], v[19:20]
	v_ldexp_f64 v[13:14], v[13:14], 1
	s_delay_alu instid0(VALU_DEP_2) | instskip(NEXT) | instid1(VALU_DEP_1)
	v_fma_f64 v[23:24], v[21:22], s[18:19], s[16:17]
	v_fma_f64 v[23:24], v[21:22], v[23:24], s[20:21]
	s_delay_alu instid0(VALU_DEP_1) | instskip(NEXT) | instid1(VALU_DEP_1)
	v_fma_f64 v[23:24], v[21:22], v[23:24], s[22:23]
	v_fma_f64 v[23:24], v[21:22], v[23:24], s[24:25]
	s_delay_alu instid0(VALU_DEP_1) | instskip(NEXT) | instid1(VALU_DEP_1)
	v_fma_f64 v[23:24], v[21:22], v[23:24], s[26:27]
	v_fma_f64 v[23:24], v[21:22], v[23:24], s[14:15]
	v_mul_f64 v[21:22], v[19:20], v[21:22]
	v_ldexp_f64 v[19:20], v[19:20], 1
	s_delay_alu instid0(VALU_DEP_2) | instskip(NEXT) | instid1(VALU_DEP_1)
	v_mul_f64 v[21:22], v[21:22], v[23:24]
	v_add_f64 v[23:24], v[19:20], v[21:22]
	s_delay_alu instid0(VALU_DEP_1) | instskip(NEXT) | instid1(VALU_DEP_1)
	v_add_f64 v[19:20], v[23:24], -v[19:20]
	v_add_f64 v[19:20], v[21:22], -v[19:20]
	s_delay_alu instid0(VALU_DEP_1) | instskip(SKIP_1) | instid1(VALU_DEP_1)
	v_add_f64 v[13:14], v[13:14], v[19:20]
	v_add_f64 v[19:20], v[17:18], v[15:16]
	v_add_f64 v[17:18], v[19:20], -v[17:18]
	s_delay_alu instid0(VALU_DEP_1) | instskip(NEXT) | instid1(VALU_DEP_4)
	v_add_f64 v[15:16], v[15:16], -v[17:18]
	v_add_f64 v[17:18], v[23:24], v[13:14]
	s_delay_alu instid0(VALU_DEP_1) | instskip(SKIP_1) | instid1(VALU_DEP_2)
	v_add_f64 v[21:22], v[17:18], -v[23:24]
	v_add_f64 v[23:24], v[19:20], v[17:18]
	v_add_f64 v[13:14], v[13:14], -v[21:22]
	s_delay_alu instid0(VALU_DEP_2) | instskip(NEXT) | instid1(VALU_DEP_1)
	v_add_f64 v[25:26], v[23:24], -v[19:20]
	v_add_f64 v[17:18], v[17:18], -v[25:26]
	;; [unrolled: 1-line block ×3, first 2 shown]
	s_delay_alu instid0(VALU_DEP_1) | instskip(NEXT) | instid1(VALU_DEP_1)
	v_add_f64 v[19:20], v[19:20], -v[25:26]
	v_add_f64 v[17:18], v[17:18], v[19:20]
	v_add_f64 v[19:20], v[15:16], v[13:14]
	s_delay_alu instid0(VALU_DEP_1) | instskip(NEXT) | instid1(VALU_DEP_3)
	v_add_f64 v[21:22], v[19:20], -v[15:16]
	v_add_f64 v[17:18], v[19:20], v[17:18]
	s_delay_alu instid0(VALU_DEP_2) | instskip(SKIP_1) | instid1(VALU_DEP_1)
	v_add_f64 v[13:14], v[13:14], -v[21:22]
	v_add_f64 v[21:22], v[19:20], -v[21:22]
	;; [unrolled: 1-line block ×3, first 2 shown]
	s_delay_alu instid0(VALU_DEP_1) | instskip(SKIP_1) | instid1(VALU_DEP_1)
	v_add_f64 v[13:14], v[13:14], v[15:16]
	v_add_f64 v[15:16], v[23:24], v[17:18]
	v_add_f64 v[19:20], v[15:16], -v[23:24]
	s_delay_alu instid0(VALU_DEP_1) | instskip(NEXT) | instid1(VALU_DEP_1)
	v_add_f64 v[17:18], v[17:18], -v[19:20]
	v_add_f64 v[13:14], v[13:14], v[17:18]
	s_delay_alu instid0(VALU_DEP_1) | instskip(NEXT) | instid1(VALU_DEP_1)
	v_add_f64 v[13:14], v[15:16], v[13:14]
	v_dual_cndmask_b32 v2, v14, v12 :: v_dual_cndmask_b32 v11, v13, v9
	s_delay_alu instid0(VALU_DEP_1) | instskip(NEXT) | instid1(VALU_DEP_2)
	v_cndmask_b32_e64 v14, 0xfff00000, v2, s4
	v_cndmask_b32_e64 v13, 0, v11, s4
	s_delay_alu instid0(VALU_DEP_1)
	v_fma_f64 v[13:14], |v[9:10]|, v[13:14], -|v[9:10]|
.LBB8_158:                              ;   in Loop: Header=BB8_145 Depth=1
	s_and_not1_saveexec_b32 s4, s6
	s_cbranch_execz .LBB8_160
; %bb.159:                              ;   in Loop: Header=BB8_145 Depth=1
	v_mov_b32_e32 v11, v9
	s_mov_b32 s15, s71
	s_mov_b32 s74, 0x4cdad5d1
	;; [unrolled: 1-line block ×4, first 2 shown]
	v_div_scale_f64 v[13:14], null, v[11:12], v[11:12], 1.0
	s_mov_b32 s77, 0xbf5ab89d
	s_delay_alu instid0(VALU_DEP_1) | instskip(SKIP_2) | instid1(VALU_DEP_1)
	v_rcp_f64_e32 v[15:16], v[13:14]
	s_waitcnt_depctr 0xfff
	v_fma_f64 v[17:18], -v[13:14], v[15:16], 1.0
	v_fma_f64 v[15:16], v[15:16], v[17:18], v[15:16]
	s_delay_alu instid0(VALU_DEP_1) | instskip(NEXT) | instid1(VALU_DEP_1)
	v_fma_f64 v[17:18], -v[13:14], v[15:16], 1.0
	v_fma_f64 v[15:16], v[15:16], v[17:18], v[15:16]
	v_div_scale_f64 v[17:18], vcc_lo, 1.0, v[11:12], 1.0
	s_delay_alu instid0(VALU_DEP_1) | instskip(NEXT) | instid1(VALU_DEP_1)
	v_mul_f64 v[19:20], v[17:18], v[15:16]
	v_fma_f64 v[13:14], -v[13:14], v[19:20], v[17:18]
	s_delay_alu instid0(VALU_DEP_1) | instskip(SKIP_1) | instid1(VALU_DEP_2)
	v_div_fmas_f64 v[13:14], v[13:14], v[15:16], v[19:20]
	v_frexp_mant_f64_e64 v[15:16], |v[9:10]|
	v_div_fixup_f64 v[13:14], v[13:14], |v[9:10]|, 1.0
	s_delay_alu instid0(VALU_DEP_2) | instskip(SKIP_1) | instid1(VALU_DEP_1)
	v_cmp_gt_f64_e32 vcc_lo, s[70:71], v[15:16]
	v_cndmask_b32_e64 v2, 0x3ff00000, 2.0, vcc_lo
	v_mul_f64 v[15:16], v[15:16], v[1:2]
	v_frexp_exp_i32_f64_e32 v2, v[9:10]
	s_delay_alu instid0(VALU_DEP_2) | instskip(NEXT) | instid1(VALU_DEP_2)
	v_add_f64 v[17:18], v[15:16], 1.0
	v_subrev_co_ci_u32_e32 v2, vcc_lo, 0, v2, vcc_lo
	v_cmp_class_f64_e64 vcc_lo, v[9:10], 0x204
	s_delay_alu instid0(VALU_DEP_3) | instskip(SKIP_2) | instid1(VALU_DEP_1)
	v_rcp_f64_e32 v[19:20], v[17:18]
	s_waitcnt_depctr 0xfff
	v_fma_f64 v[21:22], -v[17:18], v[19:20], 1.0
	v_fma_f64 v[19:20], v[21:22], v[19:20], v[19:20]
	s_delay_alu instid0(VALU_DEP_1) | instskip(NEXT) | instid1(VALU_DEP_1)
	v_fma_f64 v[21:22], -v[17:18], v[19:20], 1.0
	v_fma_f64 v[19:20], v[21:22], v[19:20], v[19:20]
	v_add_f64 v[21:22], v[17:18], -1.0
	s_delay_alu instid0(VALU_DEP_1) | instskip(SKIP_1) | instid1(VALU_DEP_1)
	v_add_f64 v[21:22], v[15:16], -v[21:22]
	v_add_f64 v[15:16], v[15:16], -1.0
	v_mul_f64 v[23:24], v[15:16], v[19:20]
	s_delay_alu instid0(VALU_DEP_1) | instskip(NEXT) | instid1(VALU_DEP_1)
	v_mul_f64 v[25:26], v[17:18], v[23:24]
	v_fma_f64 v[17:18], v[23:24], v[17:18], -v[25:26]
	s_delay_alu instid0(VALU_DEP_1) | instskip(NEXT) | instid1(VALU_DEP_1)
	v_fma_f64 v[17:18], v[23:24], v[21:22], v[17:18]
	v_add_f64 v[21:22], v[25:26], v[17:18]
	s_delay_alu instid0(VALU_DEP_1) | instskip(NEXT) | instid1(VALU_DEP_1)
	v_add_f64 v[25:26], v[21:22], -v[25:26]
	v_add_f64 v[17:18], v[25:26], -v[17:18]
	;; [unrolled: 1-line block ×3, first 2 shown]
	s_delay_alu instid0(VALU_DEP_1) | instskip(NEXT) | instid1(VALU_DEP_1)
	v_add_f64 v[15:16], v[15:16], -v[25:26]
	v_add_f64 v[15:16], v[15:16], -v[21:22]
	s_delay_alu instid0(VALU_DEP_1) | instskip(SKIP_1) | instid1(VALU_DEP_2)
	v_add_f64 v[15:16], v[17:18], v[15:16]
	v_cvt_f64_i32_e32 v[17:18], v2
	v_add_f64 v[15:16], v[25:26], v[15:16]
	s_delay_alu instid0(VALU_DEP_1) | instskip(NEXT) | instid1(VALU_DEP_3)
	v_mul_f64 v[15:16], v[19:20], v[15:16]
	v_mul_f64 v[19:20], v[17:18], s[28:29]
	s_delay_alu instid0(VALU_DEP_1) | instskip(NEXT) | instid1(VALU_DEP_1)
	v_fma_f64 v[21:22], v[17:18], s[28:29], -v[19:20]
	v_fma_f64 v[17:18], v[17:18], s[30:31], v[21:22]
	s_delay_alu instid0(VALU_DEP_4) | instskip(NEXT) | instid1(VALU_DEP_1)
	v_add_f64 v[21:22], v[23:24], v[15:16]
	v_add_f64 v[23:24], v[21:22], -v[23:24]
	s_delay_alu instid0(VALU_DEP_1) | instskip(SKIP_1) | instid1(VALU_DEP_2)
	v_add_f64 v[15:16], v[15:16], -v[23:24]
	v_mul_f64 v[23:24], v[21:22], v[21:22]
	v_ldexp_f64 v[15:16], v[15:16], 1
	s_delay_alu instid0(VALU_DEP_2) | instskip(NEXT) | instid1(VALU_DEP_1)
	v_fma_f64 v[25:26], v[23:24], s[18:19], s[16:17]
	v_fma_f64 v[25:26], v[23:24], v[25:26], s[20:21]
	s_delay_alu instid0(VALU_DEP_1) | instskip(NEXT) | instid1(VALU_DEP_1)
	v_fma_f64 v[25:26], v[23:24], v[25:26], s[22:23]
	v_fma_f64 v[25:26], v[23:24], v[25:26], s[24:25]
	s_delay_alu instid0(VALU_DEP_1) | instskip(NEXT) | instid1(VALU_DEP_1)
	v_fma_f64 v[25:26], v[23:24], v[25:26], s[26:27]
	v_fma_f64 v[25:26], v[23:24], v[25:26], s[14:15]
	v_mul_f64 v[23:24], v[21:22], v[23:24]
	v_ldexp_f64 v[21:22], v[21:22], 1
	s_delay_alu instid0(VALU_DEP_2) | instskip(NEXT) | instid1(VALU_DEP_1)
	v_mul_f64 v[23:24], v[23:24], v[25:26]
	v_add_f64 v[25:26], v[21:22], v[23:24]
	s_delay_alu instid0(VALU_DEP_1) | instskip(NEXT) | instid1(VALU_DEP_1)
	v_add_f64 v[21:22], v[25:26], -v[21:22]
	v_add_f64 v[21:22], v[23:24], -v[21:22]
	s_delay_alu instid0(VALU_DEP_1) | instskip(SKIP_1) | instid1(VALU_DEP_1)
	v_add_f64 v[15:16], v[15:16], v[21:22]
	v_add_f64 v[21:22], v[19:20], v[17:18]
	v_add_f64 v[19:20], v[21:22], -v[19:20]
	s_delay_alu instid0(VALU_DEP_1) | instskip(NEXT) | instid1(VALU_DEP_4)
	v_add_f64 v[17:18], v[17:18], -v[19:20]
	v_add_f64 v[19:20], v[25:26], v[15:16]
	s_delay_alu instid0(VALU_DEP_1) | instskip(SKIP_1) | instid1(VALU_DEP_2)
	v_add_f64 v[23:24], v[19:20], -v[25:26]
	v_add_f64 v[25:26], v[21:22], v[19:20]
	v_add_f64 v[15:16], v[15:16], -v[23:24]
	s_delay_alu instid0(VALU_DEP_2) | instskip(NEXT) | instid1(VALU_DEP_1)
	v_add_f64 v[27:28], v[25:26], -v[21:22]
	v_add_f64 v[19:20], v[19:20], -v[27:28]
	;; [unrolled: 1-line block ×3, first 2 shown]
	s_delay_alu instid0(VALU_DEP_1) | instskip(NEXT) | instid1(VALU_DEP_1)
	v_add_f64 v[21:22], v[21:22], -v[27:28]
	v_add_f64 v[19:20], v[19:20], v[21:22]
	v_add_f64 v[21:22], v[17:18], v[15:16]
	s_delay_alu instid0(VALU_DEP_1) | instskip(NEXT) | instid1(VALU_DEP_3)
	v_add_f64 v[23:24], v[21:22], -v[17:18]
	v_add_f64 v[19:20], v[21:22], v[19:20]
	s_delay_alu instid0(VALU_DEP_2) | instskip(SKIP_1) | instid1(VALU_DEP_1)
	v_add_f64 v[15:16], v[15:16], -v[23:24]
	v_add_f64 v[23:24], v[21:22], -v[23:24]
	;; [unrolled: 1-line block ×3, first 2 shown]
	s_delay_alu instid0(VALU_DEP_1) | instskip(SKIP_1) | instid1(VALU_DEP_1)
	v_add_f64 v[15:16], v[15:16], v[17:18]
	v_add_f64 v[17:18], v[25:26], v[19:20]
	v_add_f64 v[21:22], v[17:18], -v[25:26]
	s_delay_alu instid0(VALU_DEP_1) | instskip(NEXT) | instid1(VALU_DEP_1)
	v_add_f64 v[19:20], v[19:20], -v[21:22]
	v_add_f64 v[15:16], v[15:16], v[19:20]
	s_delay_alu instid0(VALU_DEP_1) | instskip(SKIP_1) | instid1(VALU_DEP_2)
	v_add_f64 v[15:16], v[17:18], v[15:16]
	v_mul_f64 v[17:18], v[13:14], v[13:14]
	v_cndmask_b32_e32 v16, v16, v12, vcc_lo
	s_delay_alu instid0(VALU_DEP_2) | instskip(SKIP_2) | instid1(VALU_DEP_4)
	v_fma_f64 v[19:20], v[17:18], s[76:77], s[74:75]
	s_mov_b32 s74, 0x8c0fe741
	s_mov_b32 s75, 0xbf4380cb
	v_cndmask_b32_e32 v15, v15, v11, vcc_lo
	v_cmp_neq_f64_e32 vcc_lo, 0, v[9:10]
	s_mov_b32 s76, 0xdd17e945
	s_mov_b32 s77, 0x3f00bfec
	s_delay_alu instid0(VALU_DEP_2) | instskip(NEXT) | instid1(VALU_DEP_4)
	v_add_f64 v[15:16], v[15:16], -1.0
	v_fma_f64 v[19:20], v[17:18], v[19:20], s[74:75]
	s_mov_b32 s74, 0x98cf38b6
	s_mov_b32 s75, 0x3f4a019f
	s_delay_alu instid0(VALU_DEP_2) | instskip(NEXT) | instid1(VALU_DEP_3)
	v_cndmask_b32_e32 v16, 0xfff00000, v16, vcc_lo
	v_cndmask_b32_e32 v15, 0, v15, vcc_lo
	s_delay_alu instid0(VALU_DEP_3)
	v_fma_f64 v[19:20], v[17:18], v[19:20], s[74:75]
	s_mov_b32 s74, 0x16b02e5c
	s_mov_b32 s75, 0xbf66c16c
	s_delay_alu instid0(VALU_DEP_1) | instid1(SALU_CYCLE_1)
	v_fma_f64 v[19:20], v[17:18], v[19:20], s[74:75]
	s_mov_b32 s74, 0x5555553b
	s_mov_b32 s75, 0x3fb55555
	s_delay_alu instid0(VALU_DEP_1) | instid1(SALU_CYCLE_1)
	;; [unrolled: 4-line block ×3, first 2 shown]
	v_fma_f64 v[13:14], v[13:14], v[17:18], s[74:75]
	v_add_f64 v[17:18], |v[9:10]|, -0.5
	s_mov_b32 s74, 0x7368f239
	s_mov_b32 s75, 0x3f5e26b6
	s_delay_alu instid0(VALU_DEP_1)
	v_fma_f64 v[13:14], v[17:18], v[15:16], v[13:14]
.LBB8_160:                              ;   in Loop: Header=BB8_145 Depth=1
	s_or_b32 exec_lo, exec_lo, s4
.LBB8_161:                              ;   in Loop: Header=BB8_145 Depth=1
	s_and_not1_saveexec_b32 s73, s5
	s_cbranch_execz .LBB8_163
; %bb.162:                              ;   in Loop: Header=BB8_145 Depth=1
	v_cvt_i32_f64_e32 v2, v[11:12]
	s_mov_b32 s4, 0xca41a95b
	s_mov_b32 s78, 0xa5b38140
	;; [unrolled: 1-line block ×6, first 2 shown]
	s_delay_alu instid0(VALU_DEP_1) | instskip(NEXT) | instid1(VALU_DEP_1)
	v_cvt_f64_i32_e32 v[13:14], v2
	v_add_f64 v[13:14], |v[9:10]|, -v[13:14]
	s_delay_alu instid0(VALU_DEP_1)
	v_fma_f64 v[15:16], v[13:14], s[76:77], s[74:75]
	v_fma_f64 v[17:18], v[13:14], s[78:79], s[4:5]
	s_mov_b32 s4, 0x7e939961
	s_mov_b32 s5, 0x3f9b481c
	s_delay_alu instid0(VALU_DEP_2) | instid1(SALU_CYCLE_1)
	v_fma_f64 v[15:16], v[13:14], v[15:16], s[4:5]
	s_mov_b32 s4, 0x742ed475
	s_mov_b32 s5, 0x3f9317ea
	s_delay_alu instid0(VALU_DEP_2) | instid1(SALU_CYCLE_1)
	;; [unrolled: 4-line block ×8, first 2 shown]
	v_fma_f64 v[17:18], v[13:14], v[17:18], s[4:5]
	s_delay_alu instid0(VALU_DEP_2) | instskip(NEXT) | instid1(VALU_DEP_2)
	v_fma_f64 v[15:16], v[13:14], v[15:16], s[6:7]
	v_fma_f64 v[17:18], v[13:14], v[17:18], 1.0
	s_delay_alu instid0(VALU_DEP_2) | instskip(NEXT) | instid1(VALU_DEP_1)
	v_mul_f64 v[15:16], v[13:14], v[15:16]
	v_div_scale_f64 v[19:20], null, v[17:18], v[17:18], v[15:16]
	s_delay_alu instid0(VALU_DEP_1) | instskip(SKIP_2) | instid1(VALU_DEP_1)
	v_rcp_f64_e32 v[21:22], v[19:20]
	s_waitcnt_depctr 0xfff
	v_fma_f64 v[23:24], -v[19:20], v[21:22], 1.0
	v_fma_f64 v[21:22], v[21:22], v[23:24], v[21:22]
	s_delay_alu instid0(VALU_DEP_1) | instskip(NEXT) | instid1(VALU_DEP_1)
	v_fma_f64 v[23:24], -v[19:20], v[21:22], 1.0
	v_fma_f64 v[21:22], v[21:22], v[23:24], v[21:22]
	v_div_scale_f64 v[23:24], vcc_lo, v[15:16], v[17:18], v[15:16]
	s_delay_alu instid0(VALU_DEP_1) | instskip(NEXT) | instid1(VALU_DEP_1)
	v_mul_f64 v[25:26], v[23:24], v[21:22]
	v_fma_f64 v[19:20], -v[19:20], v[25:26], v[23:24]
	s_delay_alu instid0(VALU_DEP_1) | instskip(SKIP_1) | instid1(VALU_DEP_2)
	v_div_fmas_f64 v[19:20], v[19:20], v[21:22], v[25:26]
	v_cmp_lt_i32_e32 vcc_lo, 2, v2
	v_div_fixup_f64 v[15:16], v[19:20], v[17:18], v[15:16]
	v_add_f64 v[17:18], v[13:14], 2.0
	v_add_f64 v[19:20], 0x40080000, v[13:14]
	s_delay_alu instid0(VALU_DEP_2) | instskip(NEXT) | instid1(VALU_DEP_3)
	v_cndmask_b32_e32 v18, 0x3ff00000, v18, vcc_lo
	v_cndmask_b32_e32 v17, 0, v17, vcc_lo
	v_cmp_lt_i32_e32 vcc_lo, 3, v2
	s_delay_alu instid0(VALU_DEP_4) | instskip(SKIP_2) | instid1(VALU_DEP_2)
	v_cndmask_b32_e32 v20, 0x3ff00000, v20, vcc_lo
	v_cndmask_b32_e32 v19, 0, v19, vcc_lo
	v_cmp_lt_i32_e32 vcc_lo, 4, v2
	v_mul_f64 v[17:18], v[17:18], v[19:20]
	v_add_f64 v[19:20], v[13:14], 4.0
	s_delay_alu instid0(VALU_DEP_1) | instskip(NEXT) | instid1(VALU_DEP_2)
	v_cndmask_b32_e32 v20, 0x3ff00000, v20, vcc_lo
	v_cndmask_b32_e32 v19, 0, v19, vcc_lo
	v_cmp_lt_i32_e32 vcc_lo, 5, v2
	s_delay_alu instid0(VALU_DEP_2) | instskip(SKIP_1) | instid1(VALU_DEP_1)
	v_mul_f64 v[17:18], v[19:20], v[17:18]
	v_add_f64 v[19:20], 0x40140000, v[13:14]
	v_cndmask_b32_e32 v20, 0x3ff00000, v20, vcc_lo
	s_delay_alu instid0(VALU_DEP_2) | instskip(SKIP_1) | instid1(VALU_DEP_2)
	v_cndmask_b32_e32 v19, 0, v19, vcc_lo
	v_cmp_lt_i32_e32 vcc_lo, 6, v2
	v_mul_f64 v[17:18], v[19:20], v[17:18]
	v_add_f64 v[19:20], 0x40180000, v[13:14]
	v_fma_f64 v[13:14], v[13:14], 0.5, v[15:16]
	s_delay_alu instid0(VALU_DEP_2) | instskip(NEXT) | instid1(VALU_DEP_3)
	v_cndmask_b32_e32 v20, 0x3ff00000, v20, vcc_lo
	v_cndmask_b32_e32 v19, 0, v19, vcc_lo
	s_delay_alu instid0(VALU_DEP_1) | instskip(NEXT) | instid1(VALU_DEP_1)
	v_mul_f64 v[17:18], v[19:20], v[17:18]
	v_frexp_mant_f64_e32 v[19:20], v[17:18]
	v_cmp_ngt_f64_e64 s4, 0, v[17:18]
	v_cmp_nge_f64_e64 s5, 0, v[17:18]
	v_cmp_neq_f64_e64 s6, 0, v[17:18]
	s_delay_alu instid0(VALU_DEP_4) | instskip(SKIP_1) | instid1(VALU_DEP_1)
	v_cmp_gt_f64_e32 vcc_lo, s[70:71], v[19:20]
	v_cndmask_b32_e64 v2, 0x3ff00000, 2.0, vcc_lo
	v_mul_f64 v[19:20], v[19:20], v[1:2]
	v_frexp_exp_i32_f64_e32 v2, v[17:18]
	s_delay_alu instid0(VALU_DEP_2) | instskip(NEXT) | instid1(VALU_DEP_2)
	v_add_f64 v[21:22], v[19:20], 1.0
	v_subrev_co_ci_u32_e32 v2, vcc_lo, 0, v2, vcc_lo
	v_cmp_class_f64_e64 vcc_lo, v[17:18], 0x204
	s_delay_alu instid0(VALU_DEP_3) | instskip(SKIP_2) | instid1(VALU_DEP_1)
	v_rcp_f64_e32 v[23:24], v[21:22]
	s_waitcnt_depctr 0xfff
	v_fma_f64 v[25:26], -v[21:22], v[23:24], 1.0
	v_fma_f64 v[23:24], v[25:26], v[23:24], v[23:24]
	s_delay_alu instid0(VALU_DEP_1) | instskip(NEXT) | instid1(VALU_DEP_1)
	v_fma_f64 v[25:26], -v[21:22], v[23:24], 1.0
	v_fma_f64 v[23:24], v[25:26], v[23:24], v[23:24]
	v_add_f64 v[25:26], v[21:22], -1.0
	s_delay_alu instid0(VALU_DEP_1) | instskip(SKIP_1) | instid1(VALU_DEP_1)
	v_add_f64 v[25:26], v[19:20], -v[25:26]
	v_add_f64 v[19:20], v[19:20], -1.0
	v_mul_f64 v[27:28], v[19:20], v[23:24]
	s_delay_alu instid0(VALU_DEP_1) | instskip(NEXT) | instid1(VALU_DEP_1)
	v_mul_f64 v[29:30], v[21:22], v[27:28]
	v_fma_f64 v[21:22], v[27:28], v[21:22], -v[29:30]
	s_delay_alu instid0(VALU_DEP_1) | instskip(NEXT) | instid1(VALU_DEP_1)
	v_fma_f64 v[21:22], v[27:28], v[25:26], v[21:22]
	v_add_f64 v[25:26], v[29:30], v[21:22]
	s_delay_alu instid0(VALU_DEP_1) | instskip(NEXT) | instid1(VALU_DEP_1)
	v_add_f64 v[29:30], v[25:26], -v[29:30]
	v_add_f64 v[21:22], v[29:30], -v[21:22]
	;; [unrolled: 1-line block ×3, first 2 shown]
	s_delay_alu instid0(VALU_DEP_1) | instskip(NEXT) | instid1(VALU_DEP_1)
	v_add_f64 v[19:20], v[19:20], -v[29:30]
	v_add_f64 v[19:20], v[19:20], -v[25:26]
	s_delay_alu instid0(VALU_DEP_1) | instskip(SKIP_1) | instid1(VALU_DEP_2)
	v_add_f64 v[19:20], v[21:22], v[19:20]
	v_cvt_f64_i32_e32 v[21:22], v2
	v_add_f64 v[19:20], v[29:30], v[19:20]
	s_delay_alu instid0(VALU_DEP_1) | instskip(NEXT) | instid1(VALU_DEP_3)
	v_mul_f64 v[19:20], v[23:24], v[19:20]
	v_mul_f64 v[23:24], v[21:22], s[28:29]
	s_delay_alu instid0(VALU_DEP_1) | instskip(NEXT) | instid1(VALU_DEP_1)
	v_fma_f64 v[25:26], v[21:22], s[28:29], -v[23:24]
	v_fma_f64 v[21:22], v[21:22], s[30:31], v[25:26]
	s_delay_alu instid0(VALU_DEP_4) | instskip(NEXT) | instid1(VALU_DEP_1)
	v_add_f64 v[25:26], v[27:28], v[19:20]
	v_add_f64 v[27:28], v[25:26], -v[27:28]
	s_delay_alu instid0(VALU_DEP_1) | instskip(SKIP_1) | instid1(VALU_DEP_2)
	v_add_f64 v[19:20], v[19:20], -v[27:28]
	v_mul_f64 v[27:28], v[25:26], v[25:26]
	v_ldexp_f64 v[19:20], v[19:20], 1
	s_delay_alu instid0(VALU_DEP_2) | instskip(NEXT) | instid1(VALU_DEP_1)
	v_fma_f64 v[29:30], v[27:28], s[18:19], s[16:17]
	v_fma_f64 v[29:30], v[27:28], v[29:30], s[20:21]
	s_delay_alu instid0(VALU_DEP_1) | instskip(NEXT) | instid1(VALU_DEP_1)
	v_fma_f64 v[29:30], v[27:28], v[29:30], s[22:23]
	v_fma_f64 v[29:30], v[27:28], v[29:30], s[24:25]
	s_delay_alu instid0(VALU_DEP_1) | instskip(NEXT) | instid1(VALU_DEP_1)
	v_fma_f64 v[29:30], v[27:28], v[29:30], s[26:27]
	v_fma_f64 v[29:30], v[27:28], v[29:30], s[14:15]
	v_mul_f64 v[27:28], v[25:26], v[27:28]
	v_ldexp_f64 v[25:26], v[25:26], 1
	s_delay_alu instid0(VALU_DEP_2) | instskip(NEXT) | instid1(VALU_DEP_1)
	v_mul_f64 v[27:28], v[27:28], v[29:30]
	v_add_f64 v[29:30], v[25:26], v[27:28]
	s_delay_alu instid0(VALU_DEP_1) | instskip(NEXT) | instid1(VALU_DEP_1)
	v_add_f64 v[25:26], v[29:30], -v[25:26]
	v_add_f64 v[25:26], v[27:28], -v[25:26]
	s_delay_alu instid0(VALU_DEP_1) | instskip(SKIP_1) | instid1(VALU_DEP_1)
	v_add_f64 v[19:20], v[19:20], v[25:26]
	v_add_f64 v[25:26], v[23:24], v[21:22]
	v_add_f64 v[23:24], v[25:26], -v[23:24]
	s_delay_alu instid0(VALU_DEP_1) | instskip(NEXT) | instid1(VALU_DEP_4)
	v_add_f64 v[21:22], v[21:22], -v[23:24]
	v_add_f64 v[23:24], v[29:30], v[19:20]
	s_delay_alu instid0(VALU_DEP_1) | instskip(SKIP_1) | instid1(VALU_DEP_2)
	v_add_f64 v[27:28], v[23:24], -v[29:30]
	v_add_f64 v[29:30], v[25:26], v[23:24]
	v_add_f64 v[19:20], v[19:20], -v[27:28]
	s_delay_alu instid0(VALU_DEP_2) | instskip(NEXT) | instid1(VALU_DEP_1)
	v_add_f64 v[53:54], v[29:30], -v[25:26]
	v_add_f64 v[23:24], v[23:24], -v[53:54]
	;; [unrolled: 1-line block ×3, first 2 shown]
	s_delay_alu instid0(VALU_DEP_1) | instskip(NEXT) | instid1(VALU_DEP_1)
	v_add_f64 v[25:26], v[25:26], -v[53:54]
	v_add_f64 v[23:24], v[23:24], v[25:26]
	v_add_f64 v[25:26], v[21:22], v[19:20]
	s_delay_alu instid0(VALU_DEP_1) | instskip(NEXT) | instid1(VALU_DEP_3)
	v_add_f64 v[27:28], v[25:26], -v[21:22]
	v_add_f64 v[23:24], v[25:26], v[23:24]
	s_delay_alu instid0(VALU_DEP_2) | instskip(SKIP_1) | instid1(VALU_DEP_1)
	v_add_f64 v[19:20], v[19:20], -v[27:28]
	v_add_f64 v[27:28], v[25:26], -v[27:28]
	;; [unrolled: 1-line block ×3, first 2 shown]
	s_delay_alu instid0(VALU_DEP_1) | instskip(SKIP_1) | instid1(VALU_DEP_1)
	v_add_f64 v[19:20], v[19:20], v[21:22]
	v_add_f64 v[21:22], v[29:30], v[23:24]
	v_add_f64 v[25:26], v[21:22], -v[29:30]
	s_delay_alu instid0(VALU_DEP_1) | instskip(NEXT) | instid1(VALU_DEP_1)
	v_add_f64 v[23:24], v[23:24], -v[25:26]
	v_add_f64 v[19:20], v[19:20], v[23:24]
	s_delay_alu instid0(VALU_DEP_1) | instskip(NEXT) | instid1(VALU_DEP_1)
	v_add_f64 v[15:16], v[21:22], v[19:20]
	v_dual_cndmask_b32 v2, v16, v18 :: v_dual_cndmask_b32 v11, v15, v17
	s_delay_alu instid0(VALU_DEP_1) | instskip(NEXT) | instid1(VALU_DEP_2)
	v_cndmask_b32_e64 v2, 0x7ff80000, v2, s4
	v_cndmask_b32_e64 v15, 0, v11, s5
	s_delay_alu instid0(VALU_DEP_2) | instskip(NEXT) | instid1(VALU_DEP_1)
	v_cndmask_b32_e64 v16, 0xfff00000, v2, s6
	v_add_f64 v[13:14], v[13:14], v[15:16]
.LBB8_163:                              ;   in Loop: Header=BB8_145 Depth=1
	s_or_b32 exec_lo, exec_lo, s73
.LBB8_164:                              ;   in Loop: Header=BB8_145 Depth=1
	s_and_not1_saveexec_b32 s72, s72
	s_cbranch_execz .LBB8_178
; %bb.165:                              ;   in Loop: Header=BB8_145 Depth=1
	s_mov_b32 s6, exec_lo
                                        ; implicit-def: $sgpr4_sgpr5
                                        ; implicit-def: $vgpr2
                                        ; implicit-def: $vgpr15_vgpr16
	v_cmpx_lt_u32_e32 0x3feccccc, v12
	s_xor_b32 s6, exec_lo, s6
	s_cbranch_execz .LBB8_167
; %bb.166:                              ;   in Loop: Header=BB8_145 Depth=1
	s_mov_b32 s4, 0x6356be3f
	s_mov_b32 s5, 0xbff762d8
	v_add_f64 v[13:14], -|v[9:10]|, 2.0
	v_add_f64 v[15:16], |v[9:10]|, s[4:5]
	v_add_f64 v[17:18], |v[9:10]|, -1.0
	v_cmp_gt_u32_e32 vcc_lo, 0x3ffbb4c3, v12
	v_cmp_gt_u32_e64 s4, 0x3ff3b4c4, v12
	s_delay_alu instid0(VALU_DEP_4) | instskip(SKIP_1) | instid1(VALU_DEP_2)
	v_dual_cndmask_b32 v2, v14, v16 :: v_dual_cndmask_b32 v11, v13, v15
	v_cndmask_b32_e64 v13, 0, 1, vcc_lo
	v_cndmask_b32_e64 v16, v2, v18, s4
	s_delay_alu instid0(VALU_DEP_3) | instskip(NEXT) | instid1(VALU_DEP_3)
	v_cndmask_b32_e64 v15, v11, v17, s4
	v_cndmask_b32_e64 v2, v13, 2, s4
	s_mov_b64 s[4:5], 0
.LBB8_167:                              ;   in Loop: Header=BB8_145 Depth=1
	s_or_saveexec_b32 s73, s6
	v_dual_mov_b32 v14, s5 :: v_dual_mov_b32 v13, s4
	s_xor_b32 exec_lo, exec_lo, s73
	s_cbranch_execz .LBB8_169
; %bb.168:                              ;   in Loop: Header=BB8_145 Depth=1
	v_frexp_mant_f64_e64 v[13:14], |v[9:10]|
	s_mov_b32 s15, s71
	s_mov_b32 s4, 0x8d5af8fc
	;; [unrolled: 1-line block ×3, first 2 shown]
	v_cmp_gt_u32_e64 s6, 0x3fcda661, v12
	s_delay_alu instid0(VALU_DEP_2) | instskip(SKIP_1) | instid1(VALU_DEP_1)
	v_cmp_gt_f64_e32 vcc_lo, s[70:71], v[13:14]
	v_cndmask_b32_e64 v2, 0x3ff00000, 2.0, vcc_lo
	v_mul_f64 v[13:14], v[13:14], v[1:2]
	v_frexp_exp_i32_f64_e32 v2, v[9:10]
	s_delay_alu instid0(VALU_DEP_2) | instskip(NEXT) | instid1(VALU_DEP_2)
	v_add_f64 v[15:16], v[13:14], 1.0
	v_subrev_co_ci_u32_e32 v2, vcc_lo, 0, v2, vcc_lo
	v_cmp_class_f64_e64 vcc_lo, v[9:10], 0x204
	s_delay_alu instid0(VALU_DEP_3) | instskip(SKIP_2) | instid1(VALU_DEP_1)
	v_rcp_f64_e32 v[17:18], v[15:16]
	s_waitcnt_depctr 0xfff
	v_fma_f64 v[19:20], -v[15:16], v[17:18], 1.0
	v_fma_f64 v[17:18], v[19:20], v[17:18], v[17:18]
	s_delay_alu instid0(VALU_DEP_1) | instskip(NEXT) | instid1(VALU_DEP_1)
	v_fma_f64 v[19:20], -v[15:16], v[17:18], 1.0
	v_fma_f64 v[17:18], v[19:20], v[17:18], v[17:18]
	v_add_f64 v[19:20], v[15:16], -1.0
	s_delay_alu instid0(VALU_DEP_1) | instskip(SKIP_1) | instid1(VALU_DEP_1)
	v_add_f64 v[19:20], v[13:14], -v[19:20]
	v_add_f64 v[13:14], v[13:14], -1.0
	v_mul_f64 v[21:22], v[13:14], v[17:18]
	s_delay_alu instid0(VALU_DEP_1) | instskip(NEXT) | instid1(VALU_DEP_1)
	v_mul_f64 v[23:24], v[15:16], v[21:22]
	v_fma_f64 v[15:16], v[21:22], v[15:16], -v[23:24]
	s_delay_alu instid0(VALU_DEP_1) | instskip(NEXT) | instid1(VALU_DEP_1)
	v_fma_f64 v[15:16], v[21:22], v[19:20], v[15:16]
	v_add_f64 v[19:20], v[23:24], v[15:16]
	s_delay_alu instid0(VALU_DEP_1) | instskip(NEXT) | instid1(VALU_DEP_1)
	v_add_f64 v[23:24], v[19:20], -v[23:24]
	v_add_f64 v[15:16], v[23:24], -v[15:16]
	;; [unrolled: 1-line block ×3, first 2 shown]
	s_delay_alu instid0(VALU_DEP_1) | instskip(NEXT) | instid1(VALU_DEP_1)
	v_add_f64 v[13:14], v[13:14], -v[23:24]
	v_add_f64 v[13:14], v[13:14], -v[19:20]
	s_delay_alu instid0(VALU_DEP_1) | instskip(SKIP_1) | instid1(VALU_DEP_2)
	v_add_f64 v[13:14], v[15:16], v[13:14]
	v_cvt_f64_i32_e32 v[15:16], v2
	v_add_f64 v[13:14], v[23:24], v[13:14]
	s_delay_alu instid0(VALU_DEP_1) | instskip(NEXT) | instid1(VALU_DEP_3)
	v_mul_f64 v[13:14], v[17:18], v[13:14]
	v_mul_f64 v[17:18], v[15:16], s[28:29]
	s_delay_alu instid0(VALU_DEP_1) | instskip(NEXT) | instid1(VALU_DEP_1)
	v_fma_f64 v[19:20], v[15:16], s[28:29], -v[17:18]
	v_fma_f64 v[15:16], v[15:16], s[30:31], v[19:20]
	s_delay_alu instid0(VALU_DEP_4) | instskip(NEXT) | instid1(VALU_DEP_1)
	v_add_f64 v[19:20], v[21:22], v[13:14]
	v_add_f64 v[21:22], v[19:20], -v[21:22]
	s_delay_alu instid0(VALU_DEP_1) | instskip(SKIP_1) | instid1(VALU_DEP_2)
	v_add_f64 v[13:14], v[13:14], -v[21:22]
	v_mul_f64 v[21:22], v[19:20], v[19:20]
	v_ldexp_f64 v[13:14], v[13:14], 1
	s_delay_alu instid0(VALU_DEP_2) | instskip(NEXT) | instid1(VALU_DEP_1)
	v_fma_f64 v[23:24], v[21:22], s[18:19], s[16:17]
	v_fma_f64 v[23:24], v[21:22], v[23:24], s[20:21]
	s_delay_alu instid0(VALU_DEP_1) | instskip(NEXT) | instid1(VALU_DEP_1)
	v_fma_f64 v[23:24], v[21:22], v[23:24], s[22:23]
	v_fma_f64 v[23:24], v[21:22], v[23:24], s[24:25]
	s_delay_alu instid0(VALU_DEP_1) | instskip(NEXT) | instid1(VALU_DEP_1)
	v_fma_f64 v[23:24], v[21:22], v[23:24], s[26:27]
	v_fma_f64 v[23:24], v[21:22], v[23:24], s[14:15]
	v_mul_f64 v[21:22], v[19:20], v[21:22]
	v_ldexp_f64 v[19:20], v[19:20], 1
	s_delay_alu instid0(VALU_DEP_2) | instskip(NEXT) | instid1(VALU_DEP_1)
	v_mul_f64 v[21:22], v[21:22], v[23:24]
	v_add_f64 v[23:24], v[19:20], v[21:22]
	s_delay_alu instid0(VALU_DEP_1) | instskip(NEXT) | instid1(VALU_DEP_1)
	v_add_f64 v[19:20], v[23:24], -v[19:20]
	v_add_f64 v[19:20], v[21:22], -v[19:20]
	s_delay_alu instid0(VALU_DEP_1) | instskip(SKIP_1) | instid1(VALU_DEP_1)
	v_add_f64 v[13:14], v[13:14], v[19:20]
	v_add_f64 v[19:20], v[17:18], v[15:16]
	v_add_f64 v[17:18], v[19:20], -v[17:18]
	s_delay_alu instid0(VALU_DEP_1) | instskip(NEXT) | instid1(VALU_DEP_4)
	v_add_f64 v[15:16], v[15:16], -v[17:18]
	v_add_f64 v[17:18], v[23:24], v[13:14]
	s_delay_alu instid0(VALU_DEP_1) | instskip(SKIP_1) | instid1(VALU_DEP_2)
	v_add_f64 v[21:22], v[17:18], -v[23:24]
	v_add_f64 v[23:24], v[19:20], v[17:18]
	v_add_f64 v[13:14], v[13:14], -v[21:22]
	s_delay_alu instid0(VALU_DEP_2) | instskip(NEXT) | instid1(VALU_DEP_1)
	v_add_f64 v[25:26], v[23:24], -v[19:20]
	v_add_f64 v[17:18], v[17:18], -v[25:26]
	;; [unrolled: 1-line block ×3, first 2 shown]
	s_delay_alu instid0(VALU_DEP_1) | instskip(NEXT) | instid1(VALU_DEP_1)
	v_add_f64 v[19:20], v[19:20], -v[25:26]
	v_add_f64 v[17:18], v[17:18], v[19:20]
	v_add_f64 v[19:20], v[15:16], v[13:14]
	s_delay_alu instid0(VALU_DEP_1) | instskip(NEXT) | instid1(VALU_DEP_3)
	v_add_f64 v[21:22], v[19:20], -v[15:16]
	v_add_f64 v[17:18], v[19:20], v[17:18]
	s_delay_alu instid0(VALU_DEP_2) | instskip(SKIP_1) | instid1(VALU_DEP_1)
	v_add_f64 v[13:14], v[13:14], -v[21:22]
	v_add_f64 v[21:22], v[19:20], -v[21:22]
	;; [unrolled: 1-line block ×3, first 2 shown]
	s_delay_alu instid0(VALU_DEP_1) | instskip(SKIP_1) | instid1(VALU_DEP_1)
	v_add_f64 v[13:14], v[13:14], v[15:16]
	v_add_f64 v[15:16], v[23:24], v[17:18]
	v_add_f64 v[19:20], v[15:16], -v[23:24]
	s_delay_alu instid0(VALU_DEP_1) | instskip(NEXT) | instid1(VALU_DEP_1)
	v_add_f64 v[17:18], v[17:18], -v[19:20]
	v_add_f64 v[13:14], v[13:14], v[17:18]
	v_add_f64 v[17:18], -|v[9:10]|, 1.0
	s_delay_alu instid0(VALU_DEP_2) | instskip(SKIP_3) | instid1(VALU_DEP_4)
	v_add_f64 v[13:14], v[15:16], v[13:14]
	v_add_f64 v[15:16], |v[9:10]|, s[4:5]
	v_cmp_neq_f64_e64 s4, 0, v[9:10]
	v_cmp_gt_u32_e64 s5, 0x3fe76944, v12
	v_cndmask_b32_e64 v14, -v14, -v12, vcc_lo
	s_delay_alu instid0(VALU_DEP_2)
	v_cndmask_b32_e64 v2, v18, v16, s5
	v_cndmask_b32_e64 v11, v17, v15, s5
	v_cndmask_b32_e32 v13, v13, v9, vcc_lo
	v_cndmask_b32_e64 v17, 0, 1, s5
	v_cndmask_b32_e64 v14, 0x7ff00000, v14, s4
	;; [unrolled: 1-line block ×6, first 2 shown]
.LBB8_169:                              ;   in Loop: Header=BB8_145 Depth=1
	s_or_b32 exec_lo, exec_lo, s73
	s_delay_alu instid0(SALU_CYCLE_1) | instskip(NEXT) | instid1(VALU_DEP_1)
	s_mov_b32 s4, exec_lo
                                        ; implicit-def: $vgpr17_vgpr18
	v_cmpx_lt_i32_e32 1, v2
	s_xor_b32 s4, exec_lo, s4
	s_cbranch_execz .LBB8_171
; %bb.170:                              ;   in Loop: Header=BB8_145 Depth=1
	s_mov_b32 s78, 0xf6010924
	s_mov_b32 s79, 0x3fcd4eae
	v_fma_f64 v[19:20], v[15:16], s[90:91], s[88:89]
	v_fma_f64 v[17:18], v[15:16], s[80:81], s[78:79]
	s_mov_b32 s6, s60
                                        ; implicit-def: $vgpr2
	s_delay_alu instid0(VALU_DEP_2) | instskip(NEXT) | instid1(VALU_DEP_2)
	v_fma_f64 v[19:20], v[15:16], v[19:20], s[92:93]
	v_fma_f64 v[17:18], v[15:16], v[17:18], s[82:83]
	s_delay_alu instid0(VALU_DEP_2) | instskip(NEXT) | instid1(VALU_DEP_2)
	v_fma_f64 v[19:20], v[15:16], v[19:20], s[94:95]
	v_fma_f64 v[17:18], v[15:16], v[17:18], s[84:85]
	;; [unrolled: 3-line block ×3, first 2 shown]
	s_delay_alu instid0(VALU_DEP_2) | instskip(NEXT) | instid1(VALU_DEP_2)
	v_fma_f64 v[19:20], v[15:16], v[19:20], 1.0
	v_fma_f64 v[17:18], v[15:16], v[17:18], s[6:7]
	s_delay_alu instid0(VALU_DEP_1) | instskip(NEXT) | instid1(VALU_DEP_1)
	v_mul_f64 v[17:18], v[15:16], v[17:18]
	v_div_scale_f64 v[21:22], null, v[19:20], v[19:20], v[17:18]
	s_delay_alu instid0(VALU_DEP_1) | instskip(SKIP_2) | instid1(VALU_DEP_1)
	v_rcp_f64_e32 v[23:24], v[21:22]
	s_waitcnt_depctr 0xfff
	v_fma_f64 v[25:26], -v[21:22], v[23:24], 1.0
	v_fma_f64 v[23:24], v[23:24], v[25:26], v[23:24]
	s_delay_alu instid0(VALU_DEP_1) | instskip(NEXT) | instid1(VALU_DEP_1)
	v_fma_f64 v[25:26], -v[21:22], v[23:24], 1.0
	v_fma_f64 v[23:24], v[23:24], v[25:26], v[23:24]
	v_div_scale_f64 v[25:26], vcc_lo, v[17:18], v[19:20], v[17:18]
	s_delay_alu instid0(VALU_DEP_1) | instskip(NEXT) | instid1(VALU_DEP_1)
	v_mul_f64 v[27:28], v[25:26], v[23:24]
	v_fma_f64 v[21:22], -v[21:22], v[27:28], v[25:26]
	s_delay_alu instid0(VALU_DEP_1) | instskip(NEXT) | instid1(VALU_DEP_1)
	v_div_fmas_f64 v[21:22], v[21:22], v[23:24], v[27:28]
	v_div_fixup_f64 v[17:18], v[21:22], v[19:20], v[17:18]
	s_delay_alu instid0(VALU_DEP_1)
	v_fma_f64 v[17:18], v[15:16], -0.5, v[17:18]
                                        ; implicit-def: $vgpr15_vgpr16
.LBB8_171:                              ;   in Loop: Header=BB8_145 Depth=1
	s_and_not1_saveexec_b32 s4, s4
	s_cbranch_execz .LBB8_177
; %bb.172:                              ;   in Loop: Header=BB8_145 Depth=1
	s_mov_b32 s5, exec_lo
                                        ; implicit-def: $vgpr17_vgpr18
	v_cmpx_ne_u32_e32 1, v2
	s_xor_b32 s5, exec_lo, s5
	s_cbranch_execz .LBB8_174
; %bb.173:                              ;   in Loop: Header=BB8_145 Depth=1
	v_mul_f64 v[17:18], v[15:16], v[15:16]
	s_mov_b32 s78, 0x987dfb07
	s_mov_b32 s80, 0x90a45837
	;; [unrolled: 1-line block ×4, first 2 shown]
	s_delay_alu instid0(VALU_DEP_1) | instid1(SALU_CYCLE_1)
	v_fma_f64 v[19:20], v[17:18], s[80:81], s[78:79]
	s_mov_b32 s78, 0xed10e54d
	s_mov_b32 s80, 0x428cfa52
	s_mov_b32 s79, 0x3f2cf2ec
	s_mov_b32 s81, 0x3efa7074
	s_delay_alu instid0(SALU_CYCLE_1) | instskip(SKIP_4) | instid1(VALU_DEP_2)
	v_fma_f64 v[21:22], v[17:18], s[80:81], s[78:79]
	s_mov_b32 s78, 0x89b99c00
	s_mov_b32 s79, 0x3f40b6c6
	;; [unrolled: 1-line block ×4, first 2 shown]
	v_fma_f64 v[19:20], v[17:18], v[19:20], s[78:79]
	s_mov_b32 s78, 0x116f3f5d
	s_mov_b32 s79, 0x3f538a94
	s_delay_alu instid0(VALU_DEP_2) | instid1(SALU_CYCLE_1)
	v_fma_f64 v[21:22], v[17:18], v[21:22], s[78:79]
	s_mov_b32 s78, 0xccb7926b
	s_mov_b32 s79, 0x3f67add8
	s_delay_alu instid0(VALU_DEP_2) | instid1(SALU_CYCLE_1)
	v_fma_f64 v[19:20], v[17:18], v[19:20], s[78:79]
	s_mov_b32 s78, 0xb68fefe8
	s_mov_b32 s79, 0x3f7e404f
	s_delay_alu instid0(VALU_DEP_2) | instid1(SALU_CYCLE_1)
	v_fma_f64 v[21:22], v[17:18], v[21:22], s[78:79]
	s_mov_b32 s78, 0xac92547b
	s_mov_b32 s79, 0x3f951322
	s_delay_alu instid0(VALU_DEP_2) | instid1(SALU_CYCLE_1)
	v_fma_f64 v[19:20], v[17:18], v[19:20], s[78:79]
	s_mov_b32 s78, 0x1a5562a7
	s_mov_b32 s79, 0x3fb13e00
	s_delay_alu instid0(VALU_DEP_2) | instid1(SALU_CYCLE_1)
	v_fma_f64 v[21:22], v[17:18], v[21:22], s[78:79]
	s_mov_b32 s78, 0xc4a60fad
	s_mov_b32 s79, 0x3fd4a34c
	s_delay_alu instid0(VALU_DEP_2) | instid1(SALU_CYCLE_1)
	v_fma_f64 v[19:20], v[17:18], v[19:20], s[78:79]
	s_delay_alu instid0(VALU_DEP_2) | instskip(NEXT) | instid1(VALU_DEP_2)
	v_fma_f64 v[21:22], v[17:18], v[21:22], s[60:61]
	v_mul_f64 v[17:18], v[17:18], v[19:20]
	s_delay_alu instid0(VALU_DEP_1) | instskip(NEXT) | instid1(VALU_DEP_1)
	v_fma_f64 v[17:18], v[15:16], v[21:22], v[17:18]
	v_fma_f64 v[17:18], v[15:16], -0.5, v[17:18]
                                        ; implicit-def: $vgpr15_vgpr16
.LBB8_174:                              ;   in Loop: Header=BB8_145 Depth=1
	s_and_not1_saveexec_b32 s5, s5
	s_cbranch_execz .LBB8_176
; %bb.175:                              ;   in Loop: Header=BB8_145 Depth=1
	v_mul_f64 v[17:18], v[15:16], v[15:16]
	s_mov_b32 s78, 0xef61a8e9
	s_mov_b32 s82, 0xecc38c38
	;; [unrolled: 1-line block ×4, first 2 shown]
	s_delay_alu instid0(VALU_DEP_1) | instskip(NEXT) | instid1(VALU_DEP_1)
	v_mul_f64 v[19:20], v[15:16], v[17:18]
	v_fma_f64 v[21:22], v[19:20], s[82:83], s[78:79]
	s_mov_b32 s78, 0x9c73e0ec
	s_mov_b32 s82, 0xe8c2d3f4
	;; [unrolled: 1-line block ×4, first 2 shown]
	s_delay_alu instid0(SALU_CYCLE_1) | instskip(SKIP_4) | instid1(VALU_DEP_2)
	v_fma_f64 v[23:24], v[19:20], s[82:83], s[78:79]
	s_mov_b32 s78, 0xb3e914d7
	s_mov_b32 s79, 0xbf6e2eff
	;; [unrolled: 1-line block ×4, first 2 shown]
	v_fma_f64 v[21:22], v[19:20], v[21:22], s[78:79]
	s_mov_b32 s78, 0x2e15c915
	s_mov_b32 s79, 0x3f6282d3
	s_delay_alu instid0(VALU_DEP_2) | instid1(SALU_CYCLE_1)
	v_fma_f64 v[23:24], v[19:20], v[23:24], s[78:79]
	s_mov_b32 s78, 0xbf2d1af1
	s_mov_b32 s79, 0xbf56fe8e
	s_delay_alu instid0(SALU_CYCLE_1) | instskip(SKIP_4) | instid1(VALU_DEP_3)
	v_fma_f64 v[25:26], v[19:20], s[82:83], s[78:79]
	s_mov_b32 s78, 0x970af9ec
	s_mov_b32 s79, 0x3f9266e7
	;; [unrolled: 1-line block ×4, first 2 shown]
	v_fma_f64 v[21:22], v[19:20], v[21:22], s[78:79]
	s_mov_b32 s78, 0xba91ec6a
	s_mov_b32 s79, 0xbf851f9f
	s_delay_alu instid0(VALU_DEP_3) | instid1(SALU_CYCLE_1)
	v_fma_f64 v[23:24], v[19:20], v[23:24], s[78:79]
	s_mov_b32 s78, 0xe370e344
	s_mov_b32 s79, 0x3f78fce0
	s_delay_alu instid0(VALU_DEP_3) | instid1(SALU_CYCLE_1)
	;; [unrolled: 4-line block ×5, first 2 shown]
	v_fma_f64 v[25:26], v[19:20], v[25:26], s[78:79]
	s_mov_b32 s78, 0xc8ee38a2
	s_mov_b32 s79, 0x3fdef72b
	s_delay_alu instid0(VALU_DEP_2) | instskip(NEXT) | instid1(VALU_DEP_2)
	v_fma_f64 v[15:16], v[15:16], v[23:24], v[21:22]
	v_fma_f64 v[21:22], v[19:20], v[25:26], s[78:79]
	s_mov_b32 s78, 0xa48a971f
	s_mov_b32 s79, 0xbc50c7ca
	s_delay_alu instid0(VALU_DEP_2) | instid1(SALU_CYCLE_1)
	v_fma_f64 v[15:16], v[19:20], -v[15:16], s[78:79]
	s_mov_b32 s78, 0xbcc38a42
	s_mov_b32 s79, 0xbfbf19b9
	s_delay_alu instid0(VALU_DEP_1) | instskip(NEXT) | instid1(VALU_DEP_1)
	v_fma_f64 v[15:16], v[17:18], v[21:22], -v[15:16]
	v_add_f64 v[17:18], v[15:16], s[78:79]
.LBB8_176:                              ;   in Loop: Header=BB8_145 Depth=1
	s_or_b32 exec_lo, exec_lo, s5
.LBB8_177:                              ;   in Loop: Header=BB8_145 Depth=1
	s_delay_alu instid0(SALU_CYCLE_1) | instskip(NEXT) | instid1(VALU_DEP_1)
	s_or_b32 exec_lo, exec_lo, s4
	v_add_f64 v[13:14], v[13:14], v[17:18]
.LBB8_178:                              ;   in Loop: Header=BB8_145 Depth=1
	s_or_b32 exec_lo, exec_lo, s72
.LBB8_179:                              ;   in Loop: Header=BB8_145 Depth=1
	s_and_not1_saveexec_b32 s5, vcc_hi
	s_cbranch_execz .LBB8_181
; %bb.180:                              ;   in Loop: Header=BB8_145 Depth=1
	v_frexp_mant_f64_e64 v[13:14], |v[9:10]|
	s_mov_b32 s15, s71
	v_cmp_neq_f64_e64 s4, 0, v[9:10]
	s_delay_alu instid0(VALU_DEP_2) | instskip(SKIP_1) | instid1(VALU_DEP_1)
	v_cmp_gt_f64_e32 vcc_lo, s[70:71], v[13:14]
	v_cndmask_b32_e64 v2, 0x3ff00000, 2.0, vcc_lo
	v_mul_f64 v[13:14], v[13:14], v[1:2]
	v_frexp_exp_i32_f64_e32 v2, v[9:10]
	s_delay_alu instid0(VALU_DEP_2) | instskip(NEXT) | instid1(VALU_DEP_2)
	v_add_f64 v[15:16], v[13:14], 1.0
	v_subrev_co_ci_u32_e32 v2, vcc_lo, 0, v2, vcc_lo
	v_cmp_class_f64_e64 vcc_lo, v[9:10], 0x204
	s_delay_alu instid0(VALU_DEP_3) | instskip(SKIP_2) | instid1(VALU_DEP_1)
	v_rcp_f64_e32 v[17:18], v[15:16]
	s_waitcnt_depctr 0xfff
	v_fma_f64 v[19:20], -v[15:16], v[17:18], 1.0
	v_fma_f64 v[17:18], v[19:20], v[17:18], v[17:18]
	s_delay_alu instid0(VALU_DEP_1) | instskip(NEXT) | instid1(VALU_DEP_1)
	v_fma_f64 v[19:20], -v[15:16], v[17:18], 1.0
	v_fma_f64 v[17:18], v[19:20], v[17:18], v[17:18]
	v_add_f64 v[19:20], v[15:16], -1.0
	s_delay_alu instid0(VALU_DEP_1) | instskip(SKIP_1) | instid1(VALU_DEP_1)
	v_add_f64 v[19:20], v[13:14], -v[19:20]
	v_add_f64 v[13:14], v[13:14], -1.0
	v_mul_f64 v[21:22], v[13:14], v[17:18]
	s_delay_alu instid0(VALU_DEP_1) | instskip(NEXT) | instid1(VALU_DEP_1)
	v_mul_f64 v[23:24], v[15:16], v[21:22]
	v_fma_f64 v[15:16], v[21:22], v[15:16], -v[23:24]
	s_delay_alu instid0(VALU_DEP_1) | instskip(NEXT) | instid1(VALU_DEP_1)
	v_fma_f64 v[15:16], v[21:22], v[19:20], v[15:16]
	v_add_f64 v[19:20], v[23:24], v[15:16]
	s_delay_alu instid0(VALU_DEP_1) | instskip(NEXT) | instid1(VALU_DEP_1)
	v_add_f64 v[23:24], v[19:20], -v[23:24]
	v_add_f64 v[15:16], v[23:24], -v[15:16]
	;; [unrolled: 1-line block ×3, first 2 shown]
	s_delay_alu instid0(VALU_DEP_1) | instskip(NEXT) | instid1(VALU_DEP_1)
	v_add_f64 v[13:14], v[13:14], -v[23:24]
	v_add_f64 v[13:14], v[13:14], -v[19:20]
	s_delay_alu instid0(VALU_DEP_1) | instskip(SKIP_1) | instid1(VALU_DEP_2)
	v_add_f64 v[13:14], v[15:16], v[13:14]
	v_cvt_f64_i32_e32 v[15:16], v2
	v_add_f64 v[13:14], v[23:24], v[13:14]
	s_delay_alu instid0(VALU_DEP_1) | instskip(NEXT) | instid1(VALU_DEP_3)
	v_mul_f64 v[13:14], v[17:18], v[13:14]
	v_mul_f64 v[17:18], v[15:16], s[28:29]
	s_delay_alu instid0(VALU_DEP_1) | instskip(NEXT) | instid1(VALU_DEP_1)
	v_fma_f64 v[19:20], v[15:16], s[28:29], -v[17:18]
	v_fma_f64 v[15:16], v[15:16], s[30:31], v[19:20]
	s_delay_alu instid0(VALU_DEP_4) | instskip(NEXT) | instid1(VALU_DEP_1)
	v_add_f64 v[19:20], v[21:22], v[13:14]
	v_add_f64 v[21:22], v[19:20], -v[21:22]
	s_delay_alu instid0(VALU_DEP_1) | instskip(SKIP_1) | instid1(VALU_DEP_2)
	v_add_f64 v[13:14], v[13:14], -v[21:22]
	v_mul_f64 v[21:22], v[19:20], v[19:20]
	v_ldexp_f64 v[13:14], v[13:14], 1
	s_delay_alu instid0(VALU_DEP_2) | instskip(NEXT) | instid1(VALU_DEP_1)
	v_fma_f64 v[23:24], v[21:22], s[18:19], s[16:17]
	v_fma_f64 v[23:24], v[21:22], v[23:24], s[20:21]
	s_delay_alu instid0(VALU_DEP_1) | instskip(NEXT) | instid1(VALU_DEP_1)
	v_fma_f64 v[23:24], v[21:22], v[23:24], s[22:23]
	v_fma_f64 v[23:24], v[21:22], v[23:24], s[24:25]
	s_delay_alu instid0(VALU_DEP_1) | instskip(NEXT) | instid1(VALU_DEP_1)
	v_fma_f64 v[23:24], v[21:22], v[23:24], s[26:27]
	v_fma_f64 v[23:24], v[21:22], v[23:24], s[14:15]
	v_mul_f64 v[21:22], v[19:20], v[21:22]
	v_ldexp_f64 v[19:20], v[19:20], 1
	s_delay_alu instid0(VALU_DEP_2) | instskip(NEXT) | instid1(VALU_DEP_1)
	v_mul_f64 v[21:22], v[21:22], v[23:24]
	v_add_f64 v[23:24], v[19:20], v[21:22]
	s_delay_alu instid0(VALU_DEP_1) | instskip(NEXT) | instid1(VALU_DEP_1)
	v_add_f64 v[19:20], v[23:24], -v[19:20]
	v_add_f64 v[19:20], v[21:22], -v[19:20]
	s_delay_alu instid0(VALU_DEP_1) | instskip(SKIP_1) | instid1(VALU_DEP_1)
	v_add_f64 v[13:14], v[13:14], v[19:20]
	v_add_f64 v[19:20], v[17:18], v[15:16]
	v_add_f64 v[17:18], v[19:20], -v[17:18]
	s_delay_alu instid0(VALU_DEP_1) | instskip(NEXT) | instid1(VALU_DEP_4)
	v_add_f64 v[15:16], v[15:16], -v[17:18]
	v_add_f64 v[17:18], v[23:24], v[13:14]
	s_delay_alu instid0(VALU_DEP_1) | instskip(SKIP_1) | instid1(VALU_DEP_2)
	v_add_f64 v[21:22], v[17:18], -v[23:24]
	v_add_f64 v[23:24], v[19:20], v[17:18]
	v_add_f64 v[13:14], v[13:14], -v[21:22]
	s_delay_alu instid0(VALU_DEP_2) | instskip(NEXT) | instid1(VALU_DEP_1)
	v_add_f64 v[25:26], v[23:24], -v[19:20]
	v_add_f64 v[17:18], v[17:18], -v[25:26]
	;; [unrolled: 1-line block ×3, first 2 shown]
	s_delay_alu instid0(VALU_DEP_1) | instskip(NEXT) | instid1(VALU_DEP_1)
	v_add_f64 v[19:20], v[19:20], -v[25:26]
	v_add_f64 v[17:18], v[17:18], v[19:20]
	v_add_f64 v[19:20], v[15:16], v[13:14]
	s_delay_alu instid0(VALU_DEP_1) | instskip(NEXT) | instid1(VALU_DEP_3)
	v_add_f64 v[21:22], v[19:20], -v[15:16]
	v_add_f64 v[17:18], v[19:20], v[17:18]
	s_delay_alu instid0(VALU_DEP_2) | instskip(SKIP_1) | instid1(VALU_DEP_1)
	v_add_f64 v[13:14], v[13:14], -v[21:22]
	v_add_f64 v[21:22], v[19:20], -v[21:22]
	;; [unrolled: 1-line block ×3, first 2 shown]
	s_delay_alu instid0(VALU_DEP_1) | instskip(SKIP_1) | instid1(VALU_DEP_1)
	v_add_f64 v[13:14], v[13:14], v[15:16]
	v_add_f64 v[15:16], v[23:24], v[17:18]
	v_add_f64 v[19:20], v[15:16], -v[23:24]
	s_delay_alu instid0(VALU_DEP_1) | instskip(NEXT) | instid1(VALU_DEP_1)
	v_add_f64 v[17:18], v[17:18], -v[19:20]
	v_add_f64 v[13:14], v[13:14], v[17:18]
	v_fma_f64 v[17:18], |v[9:10]|, s[46:47], s[44:45]
	s_delay_alu instid0(VALU_DEP_2) | instskip(NEXT) | instid1(VALU_DEP_2)
	v_add_f64 v[13:14], v[15:16], v[13:14]
	v_fma_f64 v[17:18], |v[9:10]|, v[17:18], s[98:99]
	s_delay_alu instid0(VALU_DEP_2) | instskip(NEXT) | instid1(VALU_DEP_2)
	v_cndmask_b32_e64 v2, -v14, -v12, vcc_lo
	v_fma_f64 v[17:18], |v[9:10]|, v[17:18], s[100:101]
	s_delay_alu instid0(VALU_DEP_4) | instskip(NEXT) | instid1(VALU_DEP_3)
	v_cndmask_b32_e32 v11, v13, v9, vcc_lo
	v_cndmask_b32_e64 v14, 0x7ff00000, v2, s4
	s_delay_alu instid0(VALU_DEP_2) | instskip(NEXT) | instid1(VALU_DEP_4)
	v_cndmask_b32_e64 v13, 0, v11, s4
	v_fma_f64 v[15:16], |v[9:10]|, v[17:18], s[102:103]
	s_delay_alu instid0(VALU_DEP_1)
	v_fma_f64 v[13:14], |v[9:10]|, v[15:16], v[13:14]
.LBB8_181:                              ;   in Loop: Header=BB8_145 Depth=1
	s_or_b32 exec_lo, exec_lo, s5
	s_delay_alu instid0(SALU_CYCLE_1)
	s_mov_b32 s4, exec_lo
	v_cmpx_le_f64_e32 0, v[9:10]
	s_xor_b32 s5, exec_lo, s4
; %bb.182:                              ;   in Loop: Header=BB8_145 Depth=1
	v_cmp_eq_f64_e32 vcc_lo, 1.0, v[9:10]
	v_cmp_eq_f64_e64 s4, 2.0, v[9:10]
	s_delay_alu instid0(VALU_DEP_1)
	s_or_b32 s4, vcc_lo, s4
	s_delay_alu instid0(VALU_DEP_4) | instid1(SALU_CYCLE_1)
	v_cndmask_b32_e64 v14, v14, 0, s4
	v_cndmask_b32_e64 v13, v13, 0, s4
; %bb.183:                              ;   in Loop: Header=BB8_145 Depth=1
	s_and_not1_saveexec_b32 s5, s5
	s_cbranch_execz .LBB8_187
; %bb.184:                              ;   in Loop: Header=BB8_145 Depth=1
	v_add_nc_u32_e32 v2, 0xc32fffff, v12
	s_mov_b32 s6, exec_lo
	s_delay_alu instid0(VALU_DEP_1)
	v_cmpx_gt_u32_e32 0x65fffff, v2
	s_cbranch_execz .LBB8_186
; %bb.185:                              ;   in Loop: Header=BB8_145 Depth=1
	v_mul_f64 v[15:16], |v[9:10]|, 0.5
	v_cmp_gt_f64_e64 s4, |v[9:10]|, 1.0
	s_mov_b32 s15, s71
	s_delay_alu instid0(VALU_DEP_2) | instskip(SKIP_1) | instid1(VALU_DEP_2)
	v_fract_f64_e32 v[17:18], v[15:16]
	v_cmp_neq_f64_e64 vcc_lo, 0x7ff00000, |v[15:16]|
	v_add_f64 v[15:16], v[17:18], v[17:18]
	s_delay_alu instid0(VALU_DEP_1) | instskip(NEXT) | instid1(VALU_DEP_1)
	v_dual_cndmask_b32 v2, 0, v16 :: v_dual_cndmask_b32 v11, 0, v15
	v_cndmask_b32_e64 v16, v12, v2, s4
	s_delay_alu instid0(VALU_DEP_2) | instskip(NEXT) | instid1(VALU_DEP_1)
	v_cndmask_b32_e64 v15, v9, v11, s4
	v_add_f64 v[17:18], v[15:16], v[15:16]
	s_delay_alu instid0(VALU_DEP_1) | instskip(NEXT) | instid1(VALU_DEP_1)
	v_rndne_f64_e32 v[17:18], v[17:18]
	v_fma_f64 v[15:16], v[17:18], -0.5, v[15:16]
	v_cvt_i32_f64_e32 v2, v[17:18]
	s_delay_alu instid0(VALU_DEP_2) | instskip(NEXT) | instid1(VALU_DEP_2)
	v_mul_f64 v[19:20], v[15:16], v[15:16]
	v_and_b32_e32 v11, 1, v2
	v_lshlrev_b32_e32 v2, 30, v2
	s_delay_alu instid0(VALU_DEP_2) | instskip(NEXT) | instid1(VALU_DEP_2)
	v_cmp_eq_u32_e32 vcc_lo, 0, v11
	v_xor_b32_e32 v2, v2, v10
	s_delay_alu instid0(VALU_DEP_1) | instskip(SKIP_2) | instid1(VALU_DEP_2)
	v_and_b32_e32 v2, 0x80000000, v2
	v_fma_f64 v[21:22], v[19:20], s[36:37], s[34:35]
	v_mul_f64 v[23:24], v[15:16], v[19:20]
	v_fma_f64 v[21:22], v[19:20], v[21:22], s[38:39]
	s_delay_alu instid0(VALU_DEP_1) | instskip(NEXT) | instid1(VALU_DEP_1)
	v_fma_f64 v[21:22], v[19:20], v[21:22], s[40:41]
	v_fma_f64 v[21:22], v[19:20], v[21:22], s[42:43]
	s_delay_alu instid0(VALU_DEP_1) | instskip(NEXT) | instid1(VALU_DEP_1)
	v_fma_f64 v[21:22], v[19:20], v[21:22], s[48:49]
	v_mul_f64 v[21:22], v[23:24], v[21:22]
	s_delay_alu instid0(VALU_DEP_1) | instskip(SKIP_1) | instid1(VALU_DEP_1)
	v_fma_f64 v[15:16], v[15:16], s[50:51], v[21:22]
	v_fma_f64 v[21:22], v[19:20], s[54:55], s[52:53]
	;; [unrolled: 1-line block ×3, first 2 shown]
	s_delay_alu instid0(VALU_DEP_1) | instskip(NEXT) | instid1(VALU_DEP_1)
	v_fma_f64 v[21:22], v[19:20], v[21:22], s[58:59]
	v_fma_f64 v[21:22], v[19:20], v[21:22], s[62:63]
	s_delay_alu instid0(VALU_DEP_1) | instskip(NEXT) | instid1(VALU_DEP_1)
	v_fma_f64 v[21:22], v[19:20], v[21:22], s[64:65]
	v_fma_f64 v[21:22], v[19:20], v[21:22], s[66:67]
	s_delay_alu instid0(VALU_DEP_1) | instskip(NEXT) | instid1(VALU_DEP_1)
	v_fma_f64 v[19:20], v[19:20], v[21:22], 1.0
	v_cndmask_b32_e32 v11, v19, v15, vcc_lo
	s_delay_alu instid0(VALU_DEP_2) | instskip(SKIP_1) | instid1(VALU_DEP_2)
	v_cndmask_b32_e32 v15, v20, v16, vcc_lo
	v_cmp_class_f64_e64 vcc_lo, v[9:10], 0x1f8
	v_xor_b32_e32 v2, v15, v2
	s_delay_alu instid0(VALU_DEP_4) | instskip(NEXT) | instid1(VALU_DEP_2)
	v_cndmask_b32_e32 v15, 0, v11, vcc_lo
	v_cndmask_b32_e32 v16, 0x7ff80000, v2, vcc_lo
	s_delay_alu instid0(VALU_DEP_1) | instskip(NEXT) | instid1(VALU_DEP_1)
	v_mul_f64 v[15:16], v[9:10], v[15:16]
	v_dual_mov_b32 v17, v15 :: v_dual_and_b32 v18, 0x7fffffff, v16
	s_delay_alu instid0(VALU_DEP_1) | instskip(SKIP_1) | instid1(VALU_DEP_2)
	v_div_scale_f64 v[19:20], null, v[17:18], v[17:18], s[50:51]
	v_div_scale_f64 v[17:18], vcc_lo, s[50:51], v[17:18], s[50:51]
	v_rcp_f64_e32 v[21:22], v[19:20]
	s_waitcnt_depctr 0xfff
	v_fma_f64 v[23:24], -v[19:20], v[21:22], 1.0
	s_delay_alu instid0(VALU_DEP_1) | instskip(NEXT) | instid1(VALU_DEP_1)
	v_fma_f64 v[21:22], v[21:22], v[23:24], v[21:22]
	v_fma_f64 v[23:24], -v[19:20], v[21:22], 1.0
	s_delay_alu instid0(VALU_DEP_1) | instskip(NEXT) | instid1(VALU_DEP_1)
	v_fma_f64 v[21:22], v[21:22], v[23:24], v[21:22]
	v_mul_f64 v[23:24], v[17:18], v[21:22]
	s_delay_alu instid0(VALU_DEP_1) | instskip(NEXT) | instid1(VALU_DEP_1)
	v_fma_f64 v[17:18], -v[19:20], v[23:24], v[17:18]
	v_div_fmas_f64 v[17:18], v[17:18], v[21:22], v[23:24]
	s_delay_alu instid0(VALU_DEP_1) | instskip(NEXT) | instid1(VALU_DEP_1)
	v_div_fixup_f64 v[15:16], v[17:18], |v[15:16]|, s[50:51]
	v_frexp_mant_f64_e32 v[17:18], v[15:16]
	v_cmp_neq_f64_e64 s4, 0, v[15:16]
	s_delay_alu instid0(VALU_DEP_2) | instskip(SKIP_1) | instid1(VALU_DEP_1)
	v_cmp_gt_f64_e32 vcc_lo, s[70:71], v[17:18]
	v_cndmask_b32_e64 v2, 0x3ff00000, 2.0, vcc_lo
	v_mul_f64 v[17:18], v[17:18], v[1:2]
	v_frexp_exp_i32_f64_e32 v2, v[15:16]
	s_delay_alu instid0(VALU_DEP_2) | instskip(NEXT) | instid1(VALU_DEP_2)
	v_add_f64 v[19:20], v[17:18], 1.0
	v_subrev_co_ci_u32_e32 v2, vcc_lo, 0, v2, vcc_lo
	v_cmp_class_f64_e64 vcc_lo, v[15:16], 0x204
	s_delay_alu instid0(VALU_DEP_3) | instskip(SKIP_2) | instid1(VALU_DEP_1)
	v_rcp_f64_e32 v[21:22], v[19:20]
	s_waitcnt_depctr 0xfff
	v_fma_f64 v[23:24], -v[19:20], v[21:22], 1.0
	v_fma_f64 v[21:22], v[23:24], v[21:22], v[21:22]
	s_delay_alu instid0(VALU_DEP_1) | instskip(NEXT) | instid1(VALU_DEP_1)
	v_fma_f64 v[23:24], -v[19:20], v[21:22], 1.0
	v_fma_f64 v[21:22], v[23:24], v[21:22], v[21:22]
	v_add_f64 v[23:24], v[19:20], -1.0
	s_delay_alu instid0(VALU_DEP_1) | instskip(SKIP_1) | instid1(VALU_DEP_1)
	v_add_f64 v[23:24], v[17:18], -v[23:24]
	v_add_f64 v[17:18], v[17:18], -1.0
	v_mul_f64 v[25:26], v[17:18], v[21:22]
	s_delay_alu instid0(VALU_DEP_1) | instskip(NEXT) | instid1(VALU_DEP_1)
	v_mul_f64 v[27:28], v[19:20], v[25:26]
	v_fma_f64 v[19:20], v[25:26], v[19:20], -v[27:28]
	s_delay_alu instid0(VALU_DEP_1) | instskip(NEXT) | instid1(VALU_DEP_1)
	v_fma_f64 v[19:20], v[25:26], v[23:24], v[19:20]
	v_add_f64 v[23:24], v[27:28], v[19:20]
	s_delay_alu instid0(VALU_DEP_1) | instskip(NEXT) | instid1(VALU_DEP_1)
	v_add_f64 v[27:28], v[23:24], -v[27:28]
	v_add_f64 v[19:20], v[27:28], -v[19:20]
	;; [unrolled: 1-line block ×3, first 2 shown]
	s_delay_alu instid0(VALU_DEP_1) | instskip(NEXT) | instid1(VALU_DEP_1)
	v_add_f64 v[17:18], v[17:18], -v[27:28]
	v_add_f64 v[17:18], v[17:18], -v[23:24]
	s_delay_alu instid0(VALU_DEP_1) | instskip(SKIP_1) | instid1(VALU_DEP_2)
	v_add_f64 v[17:18], v[19:20], v[17:18]
	v_cvt_f64_i32_e32 v[19:20], v2
	v_add_f64 v[17:18], v[27:28], v[17:18]
	s_delay_alu instid0(VALU_DEP_1) | instskip(NEXT) | instid1(VALU_DEP_3)
	v_mul_f64 v[17:18], v[21:22], v[17:18]
	v_mul_f64 v[21:22], v[19:20], s[28:29]
	s_delay_alu instid0(VALU_DEP_1) | instskip(NEXT) | instid1(VALU_DEP_1)
	v_fma_f64 v[23:24], v[19:20], s[28:29], -v[21:22]
	v_fma_f64 v[19:20], v[19:20], s[30:31], v[23:24]
	s_delay_alu instid0(VALU_DEP_4) | instskip(NEXT) | instid1(VALU_DEP_1)
	v_add_f64 v[23:24], v[25:26], v[17:18]
	v_add_f64 v[25:26], v[23:24], -v[25:26]
	s_delay_alu instid0(VALU_DEP_1) | instskip(SKIP_1) | instid1(VALU_DEP_2)
	v_add_f64 v[17:18], v[17:18], -v[25:26]
	v_mul_f64 v[25:26], v[23:24], v[23:24]
	v_ldexp_f64 v[17:18], v[17:18], 1
	s_delay_alu instid0(VALU_DEP_2) | instskip(NEXT) | instid1(VALU_DEP_1)
	v_fma_f64 v[27:28], v[25:26], s[18:19], s[16:17]
	v_fma_f64 v[27:28], v[25:26], v[27:28], s[20:21]
	s_delay_alu instid0(VALU_DEP_1) | instskip(NEXT) | instid1(VALU_DEP_1)
	v_fma_f64 v[27:28], v[25:26], v[27:28], s[22:23]
	v_fma_f64 v[27:28], v[25:26], v[27:28], s[24:25]
	s_delay_alu instid0(VALU_DEP_1) | instskip(NEXT) | instid1(VALU_DEP_1)
	v_fma_f64 v[27:28], v[25:26], v[27:28], s[26:27]
	v_fma_f64 v[27:28], v[25:26], v[27:28], s[14:15]
	v_mul_f64 v[25:26], v[23:24], v[25:26]
	v_ldexp_f64 v[23:24], v[23:24], 1
	s_delay_alu instid0(VALU_DEP_2) | instskip(NEXT) | instid1(VALU_DEP_1)
	v_mul_f64 v[25:26], v[25:26], v[27:28]
	v_add_f64 v[27:28], v[23:24], v[25:26]
	s_delay_alu instid0(VALU_DEP_1) | instskip(NEXT) | instid1(VALU_DEP_1)
	v_add_f64 v[23:24], v[27:28], -v[23:24]
	v_add_f64 v[23:24], v[25:26], -v[23:24]
	s_delay_alu instid0(VALU_DEP_1) | instskip(SKIP_1) | instid1(VALU_DEP_1)
	v_add_f64 v[17:18], v[17:18], v[23:24]
	v_add_f64 v[23:24], v[21:22], v[19:20]
	v_add_f64 v[21:22], v[23:24], -v[21:22]
	s_delay_alu instid0(VALU_DEP_1) | instskip(NEXT) | instid1(VALU_DEP_4)
	v_add_f64 v[19:20], v[19:20], -v[21:22]
	v_add_f64 v[21:22], v[27:28], v[17:18]
	s_delay_alu instid0(VALU_DEP_1) | instskip(SKIP_1) | instid1(VALU_DEP_2)
	v_add_f64 v[25:26], v[21:22], -v[27:28]
	v_add_f64 v[27:28], v[23:24], v[21:22]
	v_add_f64 v[17:18], v[17:18], -v[25:26]
	s_delay_alu instid0(VALU_DEP_2) | instskip(NEXT) | instid1(VALU_DEP_1)
	v_add_f64 v[29:30], v[27:28], -v[23:24]
	v_add_f64 v[21:22], v[21:22], -v[29:30]
	;; [unrolled: 1-line block ×3, first 2 shown]
	s_delay_alu instid0(VALU_DEP_1) | instskip(NEXT) | instid1(VALU_DEP_1)
	v_add_f64 v[23:24], v[23:24], -v[29:30]
	v_add_f64 v[21:22], v[21:22], v[23:24]
	v_add_f64 v[23:24], v[19:20], v[17:18]
	s_delay_alu instid0(VALU_DEP_1) | instskip(NEXT) | instid1(VALU_DEP_3)
	v_add_f64 v[25:26], v[23:24], -v[19:20]
	v_add_f64 v[21:22], v[23:24], v[21:22]
	s_delay_alu instid0(VALU_DEP_2) | instskip(SKIP_1) | instid1(VALU_DEP_1)
	v_add_f64 v[17:18], v[17:18], -v[25:26]
	v_add_f64 v[25:26], v[23:24], -v[25:26]
	;; [unrolled: 1-line block ×3, first 2 shown]
	s_delay_alu instid0(VALU_DEP_1) | instskip(SKIP_1) | instid1(VALU_DEP_1)
	v_add_f64 v[17:18], v[17:18], v[19:20]
	v_add_f64 v[19:20], v[27:28], v[21:22]
	v_add_f64 v[23:24], v[19:20], -v[27:28]
	s_delay_alu instid0(VALU_DEP_1) | instskip(NEXT) | instid1(VALU_DEP_1)
	v_add_f64 v[21:22], v[21:22], -v[23:24]
	v_add_f64 v[17:18], v[17:18], v[21:22]
	s_delay_alu instid0(VALU_DEP_1) | instskip(NEXT) | instid1(VALU_DEP_1)
	v_add_f64 v[17:18], v[19:20], v[17:18]
	v_dual_cndmask_b32 v2, v17, v15 :: v_dual_cndmask_b32 v11, v18, v16
	v_fract_f64_e32 v[15:16], v[9:10]
	s_delay_alu instid0(VALU_DEP_2) | instskip(NEXT) | instid1(VALU_DEP_3)
	v_cndmask_b32_e64 v17, 0, v2, s4
	v_cndmask_b32_e64 v18, 0xfff00000, v11, s4
	v_cmp_class_f64_e64 s4, v[9:10], 0x204
	s_delay_alu instid0(VALU_DEP_2) | instskip(SKIP_1) | instid1(VALU_DEP_3)
	v_add_f64 v[13:14], v[17:18], -v[13:14]
	v_cmp_eq_f64_e32 vcc_lo, 0, v[15:16]
	s_or_b32 s4, s4, vcc_lo
	s_delay_alu instid0(VALU_DEP_2) | instid1(SALU_CYCLE_1)
	v_cndmask_b32_e64 v14, v14, 0x7ff00000, s4
	s_delay_alu instid0(VALU_DEP_3)
	v_cndmask_b32_e64 v13, v13, 0, s4
.LBB8_186:                              ;   in Loop: Header=BB8_145 Depth=1
	s_or_b32 exec_lo, exec_lo, s6
.LBB8_187:                              ;   in Loop: Header=BB8_145 Depth=1
	s_delay_alu instid0(SALU_CYCLE_1) | instskip(SKIP_2) | instid1(VALU_DEP_1)
	s_or_b32 exec_lo, exec_lo, s5
	v_dual_mov_b32 v15, v5 :: v_dual_and_b32 v16, 0x7fffffff, v6
                                        ; implicit-def: $vgpr17_vgpr18
	s_mov_b32 s4, exec_lo
	v_cmpx_lt_u32_e32 0x3f6fffff, v16
	s_xor_b32 vcc_hi, exec_lo, s4
	s_cbranch_execz .LBB8_213
; %bb.188:                              ;   in Loop: Header=BB8_145 Depth=1
                                        ; implicit-def: $vgpr17_vgpr18
	s_mov_b32 s4, exec_lo
	v_cmpx_lt_u32_e32 0x3fffffff, v16
	s_xor_b32 s72, exec_lo, s4
	s_cbranch_execz .LBB8_198
; %bb.189:                              ;   in Loop: Header=BB8_145 Depth=1
                                        ; implicit-def: $vgpr17_vgpr18
	s_mov_b32 s4, exec_lo
	v_cmpx_lt_u32_e32 0x401fffff, v16
	s_xor_b32 s5, exec_lo, s4
	s_cbranch_execz .LBB8_195
; %bb.190:                              ;   in Loop: Header=BB8_145 Depth=1
                                        ; implicit-def: $vgpr17_vgpr18
	s_mov_b32 s4, exec_lo
	v_cmpx_lt_u32_e32 0x438fffff, v16
	s_xor_b32 s6, exec_lo, s4
	s_cbranch_execz .LBB8_192
; %bb.191:                              ;   in Loop: Header=BB8_145 Depth=1
	v_frexp_mant_f64_e64 v[17:18], |v[5:6]|
	s_mov_b32 s15, s71
	v_cmp_neq_f64_e64 s4, 0, v[5:6]
	s_delay_alu instid0(VALU_DEP_2) | instskip(SKIP_1) | instid1(VALU_DEP_1)
	v_cmp_gt_f64_e32 vcc_lo, s[70:71], v[17:18]
	v_cndmask_b32_e64 v2, 0x3ff00000, 2.0, vcc_lo
	v_mul_f64 v[17:18], v[17:18], v[1:2]
	v_frexp_exp_i32_f64_e32 v2, v[5:6]
	s_delay_alu instid0(VALU_DEP_2) | instskip(NEXT) | instid1(VALU_DEP_2)
	v_add_f64 v[19:20], v[17:18], 1.0
	v_subrev_co_ci_u32_e32 v2, vcc_lo, 0, v2, vcc_lo
	v_cmp_class_f64_e64 vcc_lo, v[5:6], 0x204
	s_delay_alu instid0(VALU_DEP_3) | instskip(SKIP_2) | instid1(VALU_DEP_1)
	v_rcp_f64_e32 v[21:22], v[19:20]
	s_waitcnt_depctr 0xfff
	v_fma_f64 v[23:24], -v[19:20], v[21:22], 1.0
	v_fma_f64 v[21:22], v[23:24], v[21:22], v[21:22]
	s_delay_alu instid0(VALU_DEP_1) | instskip(NEXT) | instid1(VALU_DEP_1)
	v_fma_f64 v[23:24], -v[19:20], v[21:22], 1.0
	v_fma_f64 v[21:22], v[23:24], v[21:22], v[21:22]
	v_add_f64 v[23:24], v[19:20], -1.0
	s_delay_alu instid0(VALU_DEP_1) | instskip(SKIP_1) | instid1(VALU_DEP_1)
	v_add_f64 v[23:24], v[17:18], -v[23:24]
	v_add_f64 v[17:18], v[17:18], -1.0
	v_mul_f64 v[25:26], v[17:18], v[21:22]
	s_delay_alu instid0(VALU_DEP_1) | instskip(NEXT) | instid1(VALU_DEP_1)
	v_mul_f64 v[27:28], v[19:20], v[25:26]
	v_fma_f64 v[19:20], v[25:26], v[19:20], -v[27:28]
	s_delay_alu instid0(VALU_DEP_1) | instskip(NEXT) | instid1(VALU_DEP_1)
	v_fma_f64 v[19:20], v[25:26], v[23:24], v[19:20]
	v_add_f64 v[23:24], v[27:28], v[19:20]
	s_delay_alu instid0(VALU_DEP_1) | instskip(NEXT) | instid1(VALU_DEP_1)
	v_add_f64 v[27:28], v[23:24], -v[27:28]
	v_add_f64 v[19:20], v[27:28], -v[19:20]
	;; [unrolled: 1-line block ×3, first 2 shown]
	s_delay_alu instid0(VALU_DEP_1) | instskip(NEXT) | instid1(VALU_DEP_1)
	v_add_f64 v[17:18], v[17:18], -v[27:28]
	v_add_f64 v[17:18], v[17:18], -v[23:24]
	s_delay_alu instid0(VALU_DEP_1) | instskip(SKIP_1) | instid1(VALU_DEP_2)
	v_add_f64 v[17:18], v[19:20], v[17:18]
	v_cvt_f64_i32_e32 v[19:20], v2
	v_add_f64 v[17:18], v[27:28], v[17:18]
	s_delay_alu instid0(VALU_DEP_1) | instskip(NEXT) | instid1(VALU_DEP_3)
	v_mul_f64 v[17:18], v[21:22], v[17:18]
	v_mul_f64 v[21:22], v[19:20], s[28:29]
	s_delay_alu instid0(VALU_DEP_1) | instskip(NEXT) | instid1(VALU_DEP_1)
	v_fma_f64 v[23:24], v[19:20], s[28:29], -v[21:22]
	v_fma_f64 v[19:20], v[19:20], s[30:31], v[23:24]
	s_delay_alu instid0(VALU_DEP_4) | instskip(NEXT) | instid1(VALU_DEP_1)
	v_add_f64 v[23:24], v[25:26], v[17:18]
	v_add_f64 v[25:26], v[23:24], -v[25:26]
	s_delay_alu instid0(VALU_DEP_1) | instskip(SKIP_1) | instid1(VALU_DEP_2)
	v_add_f64 v[17:18], v[17:18], -v[25:26]
	v_mul_f64 v[25:26], v[23:24], v[23:24]
	v_ldexp_f64 v[17:18], v[17:18], 1
	s_delay_alu instid0(VALU_DEP_2) | instskip(NEXT) | instid1(VALU_DEP_1)
	v_fma_f64 v[27:28], v[25:26], s[18:19], s[16:17]
	v_fma_f64 v[27:28], v[25:26], v[27:28], s[20:21]
	s_delay_alu instid0(VALU_DEP_1) | instskip(NEXT) | instid1(VALU_DEP_1)
	v_fma_f64 v[27:28], v[25:26], v[27:28], s[22:23]
	v_fma_f64 v[27:28], v[25:26], v[27:28], s[24:25]
	s_delay_alu instid0(VALU_DEP_1) | instskip(NEXT) | instid1(VALU_DEP_1)
	v_fma_f64 v[27:28], v[25:26], v[27:28], s[26:27]
	v_fma_f64 v[27:28], v[25:26], v[27:28], s[14:15]
	v_mul_f64 v[25:26], v[23:24], v[25:26]
	v_ldexp_f64 v[23:24], v[23:24], 1
	s_delay_alu instid0(VALU_DEP_2) | instskip(NEXT) | instid1(VALU_DEP_1)
	v_mul_f64 v[25:26], v[25:26], v[27:28]
	v_add_f64 v[27:28], v[23:24], v[25:26]
	s_delay_alu instid0(VALU_DEP_1) | instskip(NEXT) | instid1(VALU_DEP_1)
	v_add_f64 v[23:24], v[27:28], -v[23:24]
	v_add_f64 v[23:24], v[25:26], -v[23:24]
	s_delay_alu instid0(VALU_DEP_1) | instskip(SKIP_1) | instid1(VALU_DEP_1)
	v_add_f64 v[17:18], v[17:18], v[23:24]
	v_add_f64 v[23:24], v[21:22], v[19:20]
	v_add_f64 v[21:22], v[23:24], -v[21:22]
	s_delay_alu instid0(VALU_DEP_1) | instskip(NEXT) | instid1(VALU_DEP_4)
	v_add_f64 v[19:20], v[19:20], -v[21:22]
	v_add_f64 v[21:22], v[27:28], v[17:18]
	s_delay_alu instid0(VALU_DEP_1) | instskip(SKIP_1) | instid1(VALU_DEP_2)
	v_add_f64 v[25:26], v[21:22], -v[27:28]
	v_add_f64 v[27:28], v[23:24], v[21:22]
	v_add_f64 v[17:18], v[17:18], -v[25:26]
	s_delay_alu instid0(VALU_DEP_2) | instskip(NEXT) | instid1(VALU_DEP_1)
	v_add_f64 v[29:30], v[27:28], -v[23:24]
	v_add_f64 v[21:22], v[21:22], -v[29:30]
	;; [unrolled: 1-line block ×3, first 2 shown]
	s_delay_alu instid0(VALU_DEP_1) | instskip(NEXT) | instid1(VALU_DEP_1)
	v_add_f64 v[23:24], v[23:24], -v[29:30]
	v_add_f64 v[21:22], v[21:22], v[23:24]
	v_add_f64 v[23:24], v[19:20], v[17:18]
	s_delay_alu instid0(VALU_DEP_1) | instskip(NEXT) | instid1(VALU_DEP_3)
	v_add_f64 v[25:26], v[23:24], -v[19:20]
	v_add_f64 v[21:22], v[23:24], v[21:22]
	s_delay_alu instid0(VALU_DEP_2) | instskip(SKIP_1) | instid1(VALU_DEP_1)
	v_add_f64 v[17:18], v[17:18], -v[25:26]
	v_add_f64 v[25:26], v[23:24], -v[25:26]
	;; [unrolled: 1-line block ×3, first 2 shown]
	s_delay_alu instid0(VALU_DEP_1) | instskip(SKIP_1) | instid1(VALU_DEP_1)
	v_add_f64 v[17:18], v[17:18], v[19:20]
	v_add_f64 v[19:20], v[27:28], v[21:22]
	v_add_f64 v[23:24], v[19:20], -v[27:28]
	s_delay_alu instid0(VALU_DEP_1) | instskip(NEXT) | instid1(VALU_DEP_1)
	v_add_f64 v[21:22], v[21:22], -v[23:24]
	v_add_f64 v[17:18], v[17:18], v[21:22]
	s_delay_alu instid0(VALU_DEP_1) | instskip(NEXT) | instid1(VALU_DEP_1)
	v_add_f64 v[17:18], v[19:20], v[17:18]
	v_dual_cndmask_b32 v2, v18, v16 :: v_dual_cndmask_b32 v11, v17, v5
	s_delay_alu instid0(VALU_DEP_1) | instskip(NEXT) | instid1(VALU_DEP_2)
	v_cndmask_b32_e64 v18, 0xfff00000, v2, s4
	v_cndmask_b32_e64 v17, 0, v11, s4
	s_delay_alu instid0(VALU_DEP_1)
	v_fma_f64 v[17:18], |v[5:6]|, v[17:18], -|v[5:6]|
.LBB8_192:                              ;   in Loop: Header=BB8_145 Depth=1
	s_and_not1_saveexec_b32 s4, s6
	s_cbranch_execz .LBB8_194
; %bb.193:                              ;   in Loop: Header=BB8_145 Depth=1
	v_mov_b32_e32 v15, v5
	s_mov_b32 s15, s71
	s_mov_b32 s74, 0x4cdad5d1
	;; [unrolled: 1-line block ×4, first 2 shown]
	v_div_scale_f64 v[17:18], null, v[15:16], v[15:16], 1.0
	s_mov_b32 s77, 0xbf5ab89d
	s_delay_alu instid0(VALU_DEP_1) | instskip(SKIP_2) | instid1(VALU_DEP_1)
	v_rcp_f64_e32 v[19:20], v[17:18]
	s_waitcnt_depctr 0xfff
	v_fma_f64 v[21:22], -v[17:18], v[19:20], 1.0
	v_fma_f64 v[19:20], v[19:20], v[21:22], v[19:20]
	s_delay_alu instid0(VALU_DEP_1) | instskip(NEXT) | instid1(VALU_DEP_1)
	v_fma_f64 v[21:22], -v[17:18], v[19:20], 1.0
	v_fma_f64 v[19:20], v[19:20], v[21:22], v[19:20]
	v_div_scale_f64 v[21:22], vcc_lo, 1.0, v[15:16], 1.0
	s_delay_alu instid0(VALU_DEP_1) | instskip(NEXT) | instid1(VALU_DEP_1)
	v_mul_f64 v[23:24], v[21:22], v[19:20]
	v_fma_f64 v[17:18], -v[17:18], v[23:24], v[21:22]
	s_delay_alu instid0(VALU_DEP_1) | instskip(SKIP_1) | instid1(VALU_DEP_2)
	v_div_fmas_f64 v[17:18], v[17:18], v[19:20], v[23:24]
	v_frexp_mant_f64_e64 v[19:20], |v[5:6]|
	v_div_fixup_f64 v[17:18], v[17:18], |v[5:6]|, 1.0
	s_delay_alu instid0(VALU_DEP_2) | instskip(SKIP_1) | instid1(VALU_DEP_1)
	v_cmp_gt_f64_e32 vcc_lo, s[70:71], v[19:20]
	v_cndmask_b32_e64 v2, 0x3ff00000, 2.0, vcc_lo
	v_mul_f64 v[19:20], v[19:20], v[1:2]
	v_frexp_exp_i32_f64_e32 v2, v[5:6]
	s_delay_alu instid0(VALU_DEP_2) | instskip(NEXT) | instid1(VALU_DEP_2)
	v_add_f64 v[21:22], v[19:20], 1.0
	v_subrev_co_ci_u32_e32 v2, vcc_lo, 0, v2, vcc_lo
	v_cmp_class_f64_e64 vcc_lo, v[5:6], 0x204
	s_delay_alu instid0(VALU_DEP_3) | instskip(SKIP_2) | instid1(VALU_DEP_1)
	v_rcp_f64_e32 v[23:24], v[21:22]
	s_waitcnt_depctr 0xfff
	v_fma_f64 v[25:26], -v[21:22], v[23:24], 1.0
	v_fma_f64 v[23:24], v[25:26], v[23:24], v[23:24]
	s_delay_alu instid0(VALU_DEP_1) | instskip(NEXT) | instid1(VALU_DEP_1)
	v_fma_f64 v[25:26], -v[21:22], v[23:24], 1.0
	v_fma_f64 v[23:24], v[25:26], v[23:24], v[23:24]
	v_add_f64 v[25:26], v[21:22], -1.0
	s_delay_alu instid0(VALU_DEP_1) | instskip(SKIP_1) | instid1(VALU_DEP_1)
	v_add_f64 v[25:26], v[19:20], -v[25:26]
	v_add_f64 v[19:20], v[19:20], -1.0
	v_mul_f64 v[27:28], v[19:20], v[23:24]
	s_delay_alu instid0(VALU_DEP_1) | instskip(NEXT) | instid1(VALU_DEP_1)
	v_mul_f64 v[29:30], v[21:22], v[27:28]
	v_fma_f64 v[21:22], v[27:28], v[21:22], -v[29:30]
	s_delay_alu instid0(VALU_DEP_1) | instskip(NEXT) | instid1(VALU_DEP_1)
	v_fma_f64 v[21:22], v[27:28], v[25:26], v[21:22]
	v_add_f64 v[25:26], v[29:30], v[21:22]
	s_delay_alu instid0(VALU_DEP_1) | instskip(NEXT) | instid1(VALU_DEP_1)
	v_add_f64 v[29:30], v[25:26], -v[29:30]
	v_add_f64 v[21:22], v[29:30], -v[21:22]
	;; [unrolled: 1-line block ×3, first 2 shown]
	s_delay_alu instid0(VALU_DEP_1) | instskip(NEXT) | instid1(VALU_DEP_1)
	v_add_f64 v[19:20], v[19:20], -v[29:30]
	v_add_f64 v[19:20], v[19:20], -v[25:26]
	s_delay_alu instid0(VALU_DEP_1) | instskip(SKIP_1) | instid1(VALU_DEP_2)
	v_add_f64 v[19:20], v[21:22], v[19:20]
	v_cvt_f64_i32_e32 v[21:22], v2
	v_add_f64 v[19:20], v[29:30], v[19:20]
	s_delay_alu instid0(VALU_DEP_1) | instskip(NEXT) | instid1(VALU_DEP_3)
	v_mul_f64 v[19:20], v[23:24], v[19:20]
	v_mul_f64 v[23:24], v[21:22], s[28:29]
	s_delay_alu instid0(VALU_DEP_1) | instskip(NEXT) | instid1(VALU_DEP_1)
	v_fma_f64 v[25:26], v[21:22], s[28:29], -v[23:24]
	v_fma_f64 v[21:22], v[21:22], s[30:31], v[25:26]
	s_delay_alu instid0(VALU_DEP_4) | instskip(NEXT) | instid1(VALU_DEP_1)
	v_add_f64 v[25:26], v[27:28], v[19:20]
	v_add_f64 v[27:28], v[25:26], -v[27:28]
	s_delay_alu instid0(VALU_DEP_1) | instskip(SKIP_1) | instid1(VALU_DEP_2)
	v_add_f64 v[19:20], v[19:20], -v[27:28]
	v_mul_f64 v[27:28], v[25:26], v[25:26]
	v_ldexp_f64 v[19:20], v[19:20], 1
	s_delay_alu instid0(VALU_DEP_2) | instskip(NEXT) | instid1(VALU_DEP_1)
	v_fma_f64 v[29:30], v[27:28], s[18:19], s[16:17]
	v_fma_f64 v[29:30], v[27:28], v[29:30], s[20:21]
	s_delay_alu instid0(VALU_DEP_1) | instskip(NEXT) | instid1(VALU_DEP_1)
	v_fma_f64 v[29:30], v[27:28], v[29:30], s[22:23]
	v_fma_f64 v[29:30], v[27:28], v[29:30], s[24:25]
	s_delay_alu instid0(VALU_DEP_1) | instskip(NEXT) | instid1(VALU_DEP_1)
	v_fma_f64 v[29:30], v[27:28], v[29:30], s[26:27]
	v_fma_f64 v[29:30], v[27:28], v[29:30], s[14:15]
	v_mul_f64 v[27:28], v[25:26], v[27:28]
	v_ldexp_f64 v[25:26], v[25:26], 1
	s_delay_alu instid0(VALU_DEP_2) | instskip(NEXT) | instid1(VALU_DEP_1)
	v_mul_f64 v[27:28], v[27:28], v[29:30]
	v_add_f64 v[29:30], v[25:26], v[27:28]
	s_delay_alu instid0(VALU_DEP_1) | instskip(NEXT) | instid1(VALU_DEP_1)
	v_add_f64 v[25:26], v[29:30], -v[25:26]
	v_add_f64 v[25:26], v[27:28], -v[25:26]
	s_delay_alu instid0(VALU_DEP_1) | instskip(SKIP_1) | instid1(VALU_DEP_1)
	v_add_f64 v[19:20], v[19:20], v[25:26]
	v_add_f64 v[25:26], v[23:24], v[21:22]
	v_add_f64 v[23:24], v[25:26], -v[23:24]
	s_delay_alu instid0(VALU_DEP_1) | instskip(NEXT) | instid1(VALU_DEP_4)
	v_add_f64 v[21:22], v[21:22], -v[23:24]
	v_add_f64 v[23:24], v[29:30], v[19:20]
	s_delay_alu instid0(VALU_DEP_1) | instskip(SKIP_1) | instid1(VALU_DEP_2)
	v_add_f64 v[27:28], v[23:24], -v[29:30]
	v_add_f64 v[29:30], v[25:26], v[23:24]
	v_add_f64 v[19:20], v[19:20], -v[27:28]
	s_delay_alu instid0(VALU_DEP_2) | instskip(NEXT) | instid1(VALU_DEP_1)
	v_add_f64 v[53:54], v[29:30], -v[25:26]
	v_add_f64 v[23:24], v[23:24], -v[53:54]
	;; [unrolled: 1-line block ×3, first 2 shown]
	s_delay_alu instid0(VALU_DEP_1) | instskip(NEXT) | instid1(VALU_DEP_1)
	v_add_f64 v[25:26], v[25:26], -v[53:54]
	v_add_f64 v[23:24], v[23:24], v[25:26]
	v_add_f64 v[25:26], v[21:22], v[19:20]
	s_delay_alu instid0(VALU_DEP_1) | instskip(NEXT) | instid1(VALU_DEP_3)
	v_add_f64 v[27:28], v[25:26], -v[21:22]
	v_add_f64 v[23:24], v[25:26], v[23:24]
	s_delay_alu instid0(VALU_DEP_2) | instskip(SKIP_1) | instid1(VALU_DEP_1)
	v_add_f64 v[19:20], v[19:20], -v[27:28]
	v_add_f64 v[27:28], v[25:26], -v[27:28]
	;; [unrolled: 1-line block ×3, first 2 shown]
	s_delay_alu instid0(VALU_DEP_1) | instskip(SKIP_1) | instid1(VALU_DEP_1)
	v_add_f64 v[19:20], v[19:20], v[21:22]
	v_add_f64 v[21:22], v[29:30], v[23:24]
	v_add_f64 v[25:26], v[21:22], -v[29:30]
	s_delay_alu instid0(VALU_DEP_1) | instskip(NEXT) | instid1(VALU_DEP_1)
	v_add_f64 v[23:24], v[23:24], -v[25:26]
	v_add_f64 v[19:20], v[19:20], v[23:24]
	s_delay_alu instid0(VALU_DEP_1) | instskip(SKIP_1) | instid1(VALU_DEP_2)
	v_add_f64 v[19:20], v[21:22], v[19:20]
	v_mul_f64 v[21:22], v[17:18], v[17:18]
	v_cndmask_b32_e32 v20, v20, v16, vcc_lo
	s_delay_alu instid0(VALU_DEP_2) | instskip(SKIP_2) | instid1(VALU_DEP_4)
	v_fma_f64 v[23:24], v[21:22], s[76:77], s[74:75]
	s_mov_b32 s74, 0x8c0fe741
	s_mov_b32 s75, 0xbf4380cb
	v_cndmask_b32_e32 v19, v19, v15, vcc_lo
	v_cmp_neq_f64_e32 vcc_lo, 0, v[5:6]
	s_mov_b32 s76, 0xdd17e945
	s_mov_b32 s77, 0x3f00bfec
	s_delay_alu instid0(VALU_DEP_2) | instskip(NEXT) | instid1(VALU_DEP_4)
	v_add_f64 v[19:20], v[19:20], -1.0
	v_fma_f64 v[23:24], v[21:22], v[23:24], s[74:75]
	s_mov_b32 s74, 0x98cf38b6
	s_mov_b32 s75, 0x3f4a019f
	s_delay_alu instid0(VALU_DEP_2) | instskip(NEXT) | instid1(VALU_DEP_3)
	v_cndmask_b32_e32 v20, 0xfff00000, v20, vcc_lo
	v_cndmask_b32_e32 v19, 0, v19, vcc_lo
	s_delay_alu instid0(VALU_DEP_3)
	v_fma_f64 v[23:24], v[21:22], v[23:24], s[74:75]
	s_mov_b32 s74, 0x16b02e5c
	s_mov_b32 s75, 0xbf66c16c
	s_delay_alu instid0(VALU_DEP_1) | instid1(SALU_CYCLE_1)
	v_fma_f64 v[23:24], v[21:22], v[23:24], s[74:75]
	s_mov_b32 s74, 0x5555553b
	s_mov_b32 s75, 0x3fb55555
	s_delay_alu instid0(VALU_DEP_1) | instid1(SALU_CYCLE_1)
	;; [unrolled: 4-line block ×3, first 2 shown]
	v_fma_f64 v[17:18], v[17:18], v[21:22], s[74:75]
	v_add_f64 v[21:22], |v[5:6]|, -0.5
	s_mov_b32 s74, 0x7368f239
	s_mov_b32 s75, 0x3f5e26b6
	s_delay_alu instid0(VALU_DEP_1)
	v_fma_f64 v[17:18], v[21:22], v[19:20], v[17:18]
.LBB8_194:                              ;   in Loop: Header=BB8_145 Depth=1
	s_or_b32 exec_lo, exec_lo, s4
.LBB8_195:                              ;   in Loop: Header=BB8_145 Depth=1
	s_and_not1_saveexec_b32 s73, s5
	s_cbranch_execz .LBB8_197
; %bb.196:                              ;   in Loop: Header=BB8_145 Depth=1
	v_cvt_i32_f64_e32 v2, v[15:16]
	s_mov_b32 s4, 0xca41a95b
	s_mov_b32 s78, 0xa5b38140
	s_mov_b32 s5, 0x3f497dda
	s_mov_b32 s79, 0x3edebaf7
	s_mov_b32 s6, s60
	s_mov_b32 s15, s71
	s_delay_alu instid0(VALU_DEP_1) | instskip(NEXT) | instid1(VALU_DEP_1)
	v_cvt_f64_i32_e32 v[17:18], v2
	v_add_f64 v[17:18], |v[5:6]|, -v[17:18]
	s_delay_alu instid0(VALU_DEP_1)
	v_fma_f64 v[19:20], v[17:18], s[76:77], s[74:75]
	v_fma_f64 v[21:22], v[17:18], s[78:79], s[4:5]
	s_mov_b32 s4, 0x7e939961
	s_mov_b32 s5, 0x3f9b481c
	s_delay_alu instid0(VALU_DEP_2) | instid1(SALU_CYCLE_1)
	v_fma_f64 v[19:20], v[17:18], v[19:20], s[4:5]
	s_mov_b32 s4, 0x742ed475
	s_mov_b32 s5, 0x3f9317ea
	s_delay_alu instid0(VALU_DEP_2) | instid1(SALU_CYCLE_1)
	;; [unrolled: 4-line block ×8, first 2 shown]
	v_fma_f64 v[21:22], v[17:18], v[21:22], s[4:5]
	s_delay_alu instid0(VALU_DEP_2) | instskip(NEXT) | instid1(VALU_DEP_2)
	v_fma_f64 v[19:20], v[17:18], v[19:20], s[6:7]
	v_fma_f64 v[21:22], v[17:18], v[21:22], 1.0
	s_delay_alu instid0(VALU_DEP_2) | instskip(NEXT) | instid1(VALU_DEP_1)
	v_mul_f64 v[19:20], v[17:18], v[19:20]
	v_div_scale_f64 v[23:24], null, v[21:22], v[21:22], v[19:20]
	s_delay_alu instid0(VALU_DEP_1) | instskip(SKIP_2) | instid1(VALU_DEP_1)
	v_rcp_f64_e32 v[25:26], v[23:24]
	s_waitcnt_depctr 0xfff
	v_fma_f64 v[27:28], -v[23:24], v[25:26], 1.0
	v_fma_f64 v[25:26], v[25:26], v[27:28], v[25:26]
	s_delay_alu instid0(VALU_DEP_1) | instskip(NEXT) | instid1(VALU_DEP_1)
	v_fma_f64 v[27:28], -v[23:24], v[25:26], 1.0
	v_fma_f64 v[25:26], v[25:26], v[27:28], v[25:26]
	v_div_scale_f64 v[27:28], vcc_lo, v[19:20], v[21:22], v[19:20]
	s_delay_alu instid0(VALU_DEP_1) | instskip(NEXT) | instid1(VALU_DEP_1)
	v_mul_f64 v[29:30], v[27:28], v[25:26]
	v_fma_f64 v[23:24], -v[23:24], v[29:30], v[27:28]
	s_delay_alu instid0(VALU_DEP_1) | instskip(SKIP_1) | instid1(VALU_DEP_2)
	v_div_fmas_f64 v[23:24], v[23:24], v[25:26], v[29:30]
	v_cmp_lt_i32_e32 vcc_lo, 2, v2
	v_div_fixup_f64 v[19:20], v[23:24], v[21:22], v[19:20]
	v_add_f64 v[21:22], v[17:18], 2.0
	v_add_f64 v[23:24], 0x40080000, v[17:18]
	s_delay_alu instid0(VALU_DEP_2) | instskip(NEXT) | instid1(VALU_DEP_3)
	v_cndmask_b32_e32 v22, 0x3ff00000, v22, vcc_lo
	v_cndmask_b32_e32 v21, 0, v21, vcc_lo
	v_cmp_lt_i32_e32 vcc_lo, 3, v2
	s_delay_alu instid0(VALU_DEP_4) | instskip(SKIP_2) | instid1(VALU_DEP_2)
	v_cndmask_b32_e32 v24, 0x3ff00000, v24, vcc_lo
	v_cndmask_b32_e32 v23, 0, v23, vcc_lo
	v_cmp_lt_i32_e32 vcc_lo, 4, v2
	v_mul_f64 v[21:22], v[21:22], v[23:24]
	v_add_f64 v[23:24], v[17:18], 4.0
	s_delay_alu instid0(VALU_DEP_1) | instskip(NEXT) | instid1(VALU_DEP_2)
	v_cndmask_b32_e32 v24, 0x3ff00000, v24, vcc_lo
	v_cndmask_b32_e32 v23, 0, v23, vcc_lo
	v_cmp_lt_i32_e32 vcc_lo, 5, v2
	s_delay_alu instid0(VALU_DEP_2) | instskip(SKIP_1) | instid1(VALU_DEP_1)
	v_mul_f64 v[21:22], v[23:24], v[21:22]
	v_add_f64 v[23:24], 0x40140000, v[17:18]
	v_cndmask_b32_e32 v24, 0x3ff00000, v24, vcc_lo
	s_delay_alu instid0(VALU_DEP_2) | instskip(SKIP_1) | instid1(VALU_DEP_2)
	v_cndmask_b32_e32 v23, 0, v23, vcc_lo
	v_cmp_lt_i32_e32 vcc_lo, 6, v2
	v_mul_f64 v[21:22], v[23:24], v[21:22]
	v_add_f64 v[23:24], 0x40180000, v[17:18]
	v_fma_f64 v[17:18], v[17:18], 0.5, v[19:20]
	s_delay_alu instid0(VALU_DEP_2) | instskip(NEXT) | instid1(VALU_DEP_3)
	v_cndmask_b32_e32 v24, 0x3ff00000, v24, vcc_lo
	v_cndmask_b32_e32 v23, 0, v23, vcc_lo
	s_delay_alu instid0(VALU_DEP_1) | instskip(NEXT) | instid1(VALU_DEP_1)
	v_mul_f64 v[21:22], v[23:24], v[21:22]
	v_frexp_mant_f64_e32 v[23:24], v[21:22]
	v_cmp_ngt_f64_e64 s4, 0, v[21:22]
	v_cmp_nge_f64_e64 s5, 0, v[21:22]
	v_cmp_neq_f64_e64 s6, 0, v[21:22]
	s_delay_alu instid0(VALU_DEP_4) | instskip(SKIP_1) | instid1(VALU_DEP_1)
	v_cmp_gt_f64_e32 vcc_lo, s[70:71], v[23:24]
	v_cndmask_b32_e64 v2, 0x3ff00000, 2.0, vcc_lo
	v_mul_f64 v[23:24], v[23:24], v[1:2]
	v_frexp_exp_i32_f64_e32 v2, v[21:22]
	s_delay_alu instid0(VALU_DEP_2) | instskip(NEXT) | instid1(VALU_DEP_2)
	v_add_f64 v[25:26], v[23:24], 1.0
	v_subrev_co_ci_u32_e32 v2, vcc_lo, 0, v2, vcc_lo
	v_cmp_class_f64_e64 vcc_lo, v[21:22], 0x204
	s_delay_alu instid0(VALU_DEP_3) | instskip(SKIP_2) | instid1(VALU_DEP_1)
	v_rcp_f64_e32 v[27:28], v[25:26]
	s_waitcnt_depctr 0xfff
	v_fma_f64 v[29:30], -v[25:26], v[27:28], 1.0
	v_fma_f64 v[27:28], v[29:30], v[27:28], v[27:28]
	s_delay_alu instid0(VALU_DEP_1) | instskip(NEXT) | instid1(VALU_DEP_1)
	v_fma_f64 v[29:30], -v[25:26], v[27:28], 1.0
	v_fma_f64 v[27:28], v[29:30], v[27:28], v[27:28]
	v_add_f64 v[29:30], v[25:26], -1.0
	s_delay_alu instid0(VALU_DEP_1) | instskip(SKIP_1) | instid1(VALU_DEP_1)
	v_add_f64 v[29:30], v[23:24], -v[29:30]
	v_add_f64 v[23:24], v[23:24], -1.0
	v_mul_f64 v[53:54], v[23:24], v[27:28]
	s_delay_alu instid0(VALU_DEP_1) | instskip(NEXT) | instid1(VALU_DEP_1)
	v_mul_f64 v[55:56], v[25:26], v[53:54]
	v_fma_f64 v[25:26], v[53:54], v[25:26], -v[55:56]
	s_delay_alu instid0(VALU_DEP_1) | instskip(NEXT) | instid1(VALU_DEP_1)
	v_fma_f64 v[25:26], v[53:54], v[29:30], v[25:26]
	v_add_f64 v[29:30], v[55:56], v[25:26]
	s_delay_alu instid0(VALU_DEP_1) | instskip(NEXT) | instid1(VALU_DEP_1)
	v_add_f64 v[55:56], v[29:30], -v[55:56]
	v_add_f64 v[25:26], v[55:56], -v[25:26]
	;; [unrolled: 1-line block ×3, first 2 shown]
	s_delay_alu instid0(VALU_DEP_1) | instskip(NEXT) | instid1(VALU_DEP_1)
	v_add_f64 v[23:24], v[23:24], -v[55:56]
	v_add_f64 v[23:24], v[23:24], -v[29:30]
	s_delay_alu instid0(VALU_DEP_1) | instskip(SKIP_1) | instid1(VALU_DEP_2)
	v_add_f64 v[23:24], v[25:26], v[23:24]
	v_cvt_f64_i32_e32 v[25:26], v2
	v_add_f64 v[23:24], v[55:56], v[23:24]
	s_delay_alu instid0(VALU_DEP_1) | instskip(NEXT) | instid1(VALU_DEP_3)
	v_mul_f64 v[23:24], v[27:28], v[23:24]
	v_mul_f64 v[27:28], v[25:26], s[28:29]
	s_delay_alu instid0(VALU_DEP_1) | instskip(NEXT) | instid1(VALU_DEP_1)
	v_fma_f64 v[29:30], v[25:26], s[28:29], -v[27:28]
	v_fma_f64 v[25:26], v[25:26], s[30:31], v[29:30]
	s_delay_alu instid0(VALU_DEP_4) | instskip(NEXT) | instid1(VALU_DEP_1)
	v_add_f64 v[29:30], v[53:54], v[23:24]
	v_add_f64 v[53:54], v[29:30], -v[53:54]
	s_delay_alu instid0(VALU_DEP_1) | instskip(SKIP_1) | instid1(VALU_DEP_2)
	v_add_f64 v[23:24], v[23:24], -v[53:54]
	v_mul_f64 v[53:54], v[29:30], v[29:30]
	v_ldexp_f64 v[23:24], v[23:24], 1
	s_delay_alu instid0(VALU_DEP_2) | instskip(NEXT) | instid1(VALU_DEP_1)
	v_fma_f64 v[55:56], v[53:54], s[18:19], s[16:17]
	v_fma_f64 v[55:56], v[53:54], v[55:56], s[20:21]
	s_delay_alu instid0(VALU_DEP_1) | instskip(NEXT) | instid1(VALU_DEP_1)
	v_fma_f64 v[55:56], v[53:54], v[55:56], s[22:23]
	v_fma_f64 v[55:56], v[53:54], v[55:56], s[24:25]
	s_delay_alu instid0(VALU_DEP_1) | instskip(NEXT) | instid1(VALU_DEP_1)
	v_fma_f64 v[55:56], v[53:54], v[55:56], s[26:27]
	v_fma_f64 v[55:56], v[53:54], v[55:56], s[14:15]
	v_mul_f64 v[53:54], v[29:30], v[53:54]
	v_ldexp_f64 v[29:30], v[29:30], 1
	s_delay_alu instid0(VALU_DEP_2) | instskip(NEXT) | instid1(VALU_DEP_1)
	v_mul_f64 v[53:54], v[53:54], v[55:56]
	v_add_f64 v[55:56], v[29:30], v[53:54]
	s_delay_alu instid0(VALU_DEP_1) | instskip(NEXT) | instid1(VALU_DEP_1)
	v_add_f64 v[29:30], v[55:56], -v[29:30]
	v_add_f64 v[29:30], v[53:54], -v[29:30]
	s_delay_alu instid0(VALU_DEP_1) | instskip(SKIP_1) | instid1(VALU_DEP_1)
	v_add_f64 v[23:24], v[23:24], v[29:30]
	v_add_f64 v[29:30], v[27:28], v[25:26]
	v_add_f64 v[27:28], v[29:30], -v[27:28]
	s_delay_alu instid0(VALU_DEP_1) | instskip(NEXT) | instid1(VALU_DEP_4)
	v_add_f64 v[25:26], v[25:26], -v[27:28]
	v_add_f64 v[27:28], v[55:56], v[23:24]
	s_delay_alu instid0(VALU_DEP_1) | instskip(SKIP_1) | instid1(VALU_DEP_2)
	v_add_f64 v[53:54], v[27:28], -v[55:56]
	v_add_f64 v[55:56], v[29:30], v[27:28]
	v_add_f64 v[23:24], v[23:24], -v[53:54]
	s_delay_alu instid0(VALU_DEP_2) | instskip(NEXT) | instid1(VALU_DEP_1)
	v_add_f64 v[57:58], v[55:56], -v[29:30]
	v_add_f64 v[27:28], v[27:28], -v[57:58]
	;; [unrolled: 1-line block ×3, first 2 shown]
	s_delay_alu instid0(VALU_DEP_1) | instskip(NEXT) | instid1(VALU_DEP_1)
	v_add_f64 v[29:30], v[29:30], -v[57:58]
	v_add_f64 v[27:28], v[27:28], v[29:30]
	v_add_f64 v[29:30], v[25:26], v[23:24]
	s_delay_alu instid0(VALU_DEP_1) | instskip(NEXT) | instid1(VALU_DEP_3)
	v_add_f64 v[53:54], v[29:30], -v[25:26]
	v_add_f64 v[27:28], v[29:30], v[27:28]
	s_delay_alu instid0(VALU_DEP_2) | instskip(SKIP_1) | instid1(VALU_DEP_1)
	v_add_f64 v[23:24], v[23:24], -v[53:54]
	v_add_f64 v[53:54], v[29:30], -v[53:54]
	v_add_f64 v[25:26], v[25:26], -v[53:54]
	s_delay_alu instid0(VALU_DEP_1) | instskip(SKIP_1) | instid1(VALU_DEP_1)
	v_add_f64 v[23:24], v[23:24], v[25:26]
	v_add_f64 v[25:26], v[55:56], v[27:28]
	v_add_f64 v[29:30], v[25:26], -v[55:56]
	s_delay_alu instid0(VALU_DEP_1) | instskip(NEXT) | instid1(VALU_DEP_1)
	v_add_f64 v[27:28], v[27:28], -v[29:30]
	v_add_f64 v[23:24], v[23:24], v[27:28]
	s_delay_alu instid0(VALU_DEP_1) | instskip(NEXT) | instid1(VALU_DEP_1)
	v_add_f64 v[19:20], v[25:26], v[23:24]
	v_dual_cndmask_b32 v2, v20, v22 :: v_dual_cndmask_b32 v11, v19, v21
	s_delay_alu instid0(VALU_DEP_1) | instskip(NEXT) | instid1(VALU_DEP_2)
	v_cndmask_b32_e64 v2, 0x7ff80000, v2, s4
	v_cndmask_b32_e64 v19, 0, v11, s5
	s_delay_alu instid0(VALU_DEP_2) | instskip(NEXT) | instid1(VALU_DEP_1)
	v_cndmask_b32_e64 v20, 0xfff00000, v2, s6
	v_add_f64 v[17:18], v[17:18], v[19:20]
.LBB8_197:                              ;   in Loop: Header=BB8_145 Depth=1
	s_or_b32 exec_lo, exec_lo, s73
.LBB8_198:                              ;   in Loop: Header=BB8_145 Depth=1
	s_and_not1_saveexec_b32 s72, s72
	s_cbranch_execz .LBB8_212
; %bb.199:                              ;   in Loop: Header=BB8_145 Depth=1
	s_mov_b32 s6, exec_lo
                                        ; implicit-def: $sgpr4_sgpr5
                                        ; implicit-def: $vgpr2
                                        ; implicit-def: $vgpr19_vgpr20
	v_cmpx_lt_u32_e32 0x3feccccc, v16
	s_xor_b32 s6, exec_lo, s6
	s_cbranch_execz .LBB8_201
; %bb.200:                              ;   in Loop: Header=BB8_145 Depth=1
	s_mov_b32 s4, 0x6356be3f
	s_mov_b32 s5, 0xbff762d8
	v_add_f64 v[17:18], -|v[5:6]|, 2.0
	v_add_f64 v[19:20], |v[5:6]|, s[4:5]
	v_add_f64 v[21:22], |v[5:6]|, -1.0
	v_cmp_gt_u32_e32 vcc_lo, 0x3ffbb4c3, v16
	v_cmp_gt_u32_e64 s4, 0x3ff3b4c4, v16
	v_cndmask_b32_e64 v15, 0, 1, vcc_lo
	v_dual_cndmask_b32 v2, v18, v20 :: v_dual_cndmask_b32 v11, v17, v19
	s_delay_alu instid0(VALU_DEP_1) | instskip(NEXT) | instid1(VALU_DEP_2)
	v_cndmask_b32_e64 v20, v2, v22, s4
	v_cndmask_b32_e64 v19, v11, v21, s4
	s_delay_alu instid0(VALU_DEP_4)
	v_cndmask_b32_e64 v2, v15, 2, s4
	s_mov_b64 s[4:5], 0
.LBB8_201:                              ;   in Loop: Header=BB8_145 Depth=1
	s_or_saveexec_b32 s73, s6
	v_dual_mov_b32 v18, s5 :: v_dual_mov_b32 v17, s4
	s_xor_b32 exec_lo, exec_lo, s73
	s_cbranch_execz .LBB8_203
; %bb.202:                              ;   in Loop: Header=BB8_145 Depth=1
	v_frexp_mant_f64_e64 v[17:18], |v[5:6]|
	s_mov_b32 s15, s71
	s_mov_b32 s4, 0x8d5af8fc
	;; [unrolled: 1-line block ×3, first 2 shown]
	v_cmp_gt_u32_e64 s6, 0x3fcda661, v16
	s_delay_alu instid0(VALU_DEP_2) | instskip(SKIP_1) | instid1(VALU_DEP_1)
	v_cmp_gt_f64_e32 vcc_lo, s[70:71], v[17:18]
	v_cndmask_b32_e64 v2, 0x3ff00000, 2.0, vcc_lo
	v_mul_f64 v[17:18], v[17:18], v[1:2]
	v_frexp_exp_i32_f64_e32 v2, v[5:6]
	s_delay_alu instid0(VALU_DEP_2) | instskip(NEXT) | instid1(VALU_DEP_2)
	v_add_f64 v[19:20], v[17:18], 1.0
	v_subrev_co_ci_u32_e32 v2, vcc_lo, 0, v2, vcc_lo
	v_cmp_class_f64_e64 vcc_lo, v[5:6], 0x204
	s_delay_alu instid0(VALU_DEP_3) | instskip(SKIP_2) | instid1(VALU_DEP_1)
	v_rcp_f64_e32 v[21:22], v[19:20]
	s_waitcnt_depctr 0xfff
	v_fma_f64 v[23:24], -v[19:20], v[21:22], 1.0
	v_fma_f64 v[21:22], v[23:24], v[21:22], v[21:22]
	s_delay_alu instid0(VALU_DEP_1) | instskip(NEXT) | instid1(VALU_DEP_1)
	v_fma_f64 v[23:24], -v[19:20], v[21:22], 1.0
	v_fma_f64 v[21:22], v[23:24], v[21:22], v[21:22]
	v_add_f64 v[23:24], v[19:20], -1.0
	s_delay_alu instid0(VALU_DEP_1) | instskip(SKIP_1) | instid1(VALU_DEP_1)
	v_add_f64 v[23:24], v[17:18], -v[23:24]
	v_add_f64 v[17:18], v[17:18], -1.0
	v_mul_f64 v[25:26], v[17:18], v[21:22]
	s_delay_alu instid0(VALU_DEP_1) | instskip(NEXT) | instid1(VALU_DEP_1)
	v_mul_f64 v[27:28], v[19:20], v[25:26]
	v_fma_f64 v[19:20], v[25:26], v[19:20], -v[27:28]
	s_delay_alu instid0(VALU_DEP_1) | instskip(NEXT) | instid1(VALU_DEP_1)
	v_fma_f64 v[19:20], v[25:26], v[23:24], v[19:20]
	v_add_f64 v[23:24], v[27:28], v[19:20]
	s_delay_alu instid0(VALU_DEP_1) | instskip(NEXT) | instid1(VALU_DEP_1)
	v_add_f64 v[27:28], v[23:24], -v[27:28]
	v_add_f64 v[19:20], v[27:28], -v[19:20]
	;; [unrolled: 1-line block ×3, first 2 shown]
	s_delay_alu instid0(VALU_DEP_1) | instskip(NEXT) | instid1(VALU_DEP_1)
	v_add_f64 v[17:18], v[17:18], -v[27:28]
	v_add_f64 v[17:18], v[17:18], -v[23:24]
	s_delay_alu instid0(VALU_DEP_1) | instskip(SKIP_1) | instid1(VALU_DEP_2)
	v_add_f64 v[17:18], v[19:20], v[17:18]
	v_cvt_f64_i32_e32 v[19:20], v2
	v_add_f64 v[17:18], v[27:28], v[17:18]
	s_delay_alu instid0(VALU_DEP_1) | instskip(NEXT) | instid1(VALU_DEP_3)
	v_mul_f64 v[17:18], v[21:22], v[17:18]
	v_mul_f64 v[21:22], v[19:20], s[28:29]
	s_delay_alu instid0(VALU_DEP_1) | instskip(NEXT) | instid1(VALU_DEP_1)
	v_fma_f64 v[23:24], v[19:20], s[28:29], -v[21:22]
	v_fma_f64 v[19:20], v[19:20], s[30:31], v[23:24]
	s_delay_alu instid0(VALU_DEP_4) | instskip(NEXT) | instid1(VALU_DEP_1)
	v_add_f64 v[23:24], v[25:26], v[17:18]
	v_add_f64 v[25:26], v[23:24], -v[25:26]
	s_delay_alu instid0(VALU_DEP_1) | instskip(SKIP_1) | instid1(VALU_DEP_2)
	v_add_f64 v[17:18], v[17:18], -v[25:26]
	v_mul_f64 v[25:26], v[23:24], v[23:24]
	v_ldexp_f64 v[17:18], v[17:18], 1
	s_delay_alu instid0(VALU_DEP_2) | instskip(NEXT) | instid1(VALU_DEP_1)
	v_fma_f64 v[27:28], v[25:26], s[18:19], s[16:17]
	v_fma_f64 v[27:28], v[25:26], v[27:28], s[20:21]
	s_delay_alu instid0(VALU_DEP_1) | instskip(NEXT) | instid1(VALU_DEP_1)
	v_fma_f64 v[27:28], v[25:26], v[27:28], s[22:23]
	v_fma_f64 v[27:28], v[25:26], v[27:28], s[24:25]
	s_delay_alu instid0(VALU_DEP_1) | instskip(NEXT) | instid1(VALU_DEP_1)
	v_fma_f64 v[27:28], v[25:26], v[27:28], s[26:27]
	v_fma_f64 v[27:28], v[25:26], v[27:28], s[14:15]
	v_mul_f64 v[25:26], v[23:24], v[25:26]
	v_ldexp_f64 v[23:24], v[23:24], 1
	s_delay_alu instid0(VALU_DEP_2) | instskip(NEXT) | instid1(VALU_DEP_1)
	v_mul_f64 v[25:26], v[25:26], v[27:28]
	v_add_f64 v[27:28], v[23:24], v[25:26]
	s_delay_alu instid0(VALU_DEP_1) | instskip(NEXT) | instid1(VALU_DEP_1)
	v_add_f64 v[23:24], v[27:28], -v[23:24]
	v_add_f64 v[23:24], v[25:26], -v[23:24]
	s_delay_alu instid0(VALU_DEP_1) | instskip(SKIP_1) | instid1(VALU_DEP_1)
	v_add_f64 v[17:18], v[17:18], v[23:24]
	v_add_f64 v[23:24], v[21:22], v[19:20]
	v_add_f64 v[21:22], v[23:24], -v[21:22]
	s_delay_alu instid0(VALU_DEP_1) | instskip(NEXT) | instid1(VALU_DEP_4)
	v_add_f64 v[19:20], v[19:20], -v[21:22]
	v_add_f64 v[21:22], v[27:28], v[17:18]
	s_delay_alu instid0(VALU_DEP_1) | instskip(SKIP_1) | instid1(VALU_DEP_2)
	v_add_f64 v[25:26], v[21:22], -v[27:28]
	v_add_f64 v[27:28], v[23:24], v[21:22]
	v_add_f64 v[17:18], v[17:18], -v[25:26]
	s_delay_alu instid0(VALU_DEP_2) | instskip(NEXT) | instid1(VALU_DEP_1)
	v_add_f64 v[29:30], v[27:28], -v[23:24]
	v_add_f64 v[21:22], v[21:22], -v[29:30]
	;; [unrolled: 1-line block ×3, first 2 shown]
	s_delay_alu instid0(VALU_DEP_1) | instskip(NEXT) | instid1(VALU_DEP_1)
	v_add_f64 v[23:24], v[23:24], -v[29:30]
	v_add_f64 v[21:22], v[21:22], v[23:24]
	v_add_f64 v[23:24], v[19:20], v[17:18]
	s_delay_alu instid0(VALU_DEP_1) | instskip(NEXT) | instid1(VALU_DEP_3)
	v_add_f64 v[25:26], v[23:24], -v[19:20]
	v_add_f64 v[21:22], v[23:24], v[21:22]
	s_delay_alu instid0(VALU_DEP_2) | instskip(SKIP_1) | instid1(VALU_DEP_1)
	v_add_f64 v[17:18], v[17:18], -v[25:26]
	v_add_f64 v[25:26], v[23:24], -v[25:26]
	;; [unrolled: 1-line block ×3, first 2 shown]
	s_delay_alu instid0(VALU_DEP_1) | instskip(SKIP_1) | instid1(VALU_DEP_1)
	v_add_f64 v[17:18], v[17:18], v[19:20]
	v_add_f64 v[19:20], v[27:28], v[21:22]
	v_add_f64 v[23:24], v[19:20], -v[27:28]
	s_delay_alu instid0(VALU_DEP_1) | instskip(NEXT) | instid1(VALU_DEP_1)
	v_add_f64 v[21:22], v[21:22], -v[23:24]
	v_add_f64 v[17:18], v[17:18], v[21:22]
	v_add_f64 v[21:22], -|v[5:6]|, 1.0
	s_delay_alu instid0(VALU_DEP_2) | instskip(SKIP_3) | instid1(VALU_DEP_4)
	v_add_f64 v[17:18], v[19:20], v[17:18]
	v_add_f64 v[19:20], |v[5:6]|, s[4:5]
	v_cmp_neq_f64_e64 s4, 0, v[5:6]
	v_cmp_gt_u32_e64 s5, 0x3fe76944, v16
	v_cndmask_b32_e64 v15, -v18, -v16, vcc_lo
	s_delay_alu instid0(VALU_DEP_2)
	v_cndmask_b32_e64 v2, v22, v20, s5
	v_cndmask_b32_e64 v11, v21, v19, s5
	v_cndmask_b32_e32 v17, v17, v5, vcc_lo
	v_cndmask_b32_e64 v21, 0, 1, s5
	v_cndmask_b32_e64 v18, 0x7ff00000, v15, s4
	;; [unrolled: 1-line block ×6, first 2 shown]
.LBB8_203:                              ;   in Loop: Header=BB8_145 Depth=1
	s_or_b32 exec_lo, exec_lo, s73
	s_delay_alu instid0(SALU_CYCLE_1) | instskip(NEXT) | instid1(VALU_DEP_1)
	s_mov_b32 s4, exec_lo
                                        ; implicit-def: $vgpr21_vgpr22
	v_cmpx_lt_i32_e32 1, v2
	s_xor_b32 s4, exec_lo, s4
	s_cbranch_execz .LBB8_205
; %bb.204:                              ;   in Loop: Header=BB8_145 Depth=1
	s_mov_b32 s78, 0xf6010924
	s_mov_b32 s79, 0x3fcd4eae
	v_fma_f64 v[23:24], v[19:20], s[90:91], s[88:89]
	v_fma_f64 v[21:22], v[19:20], s[80:81], s[78:79]
	s_mov_b32 s6, s60
                                        ; implicit-def: $vgpr2
	s_delay_alu instid0(VALU_DEP_2) | instskip(NEXT) | instid1(VALU_DEP_2)
	v_fma_f64 v[23:24], v[19:20], v[23:24], s[92:93]
	v_fma_f64 v[21:22], v[19:20], v[21:22], s[82:83]
	s_delay_alu instid0(VALU_DEP_2) | instskip(NEXT) | instid1(VALU_DEP_2)
	v_fma_f64 v[23:24], v[19:20], v[23:24], s[94:95]
	v_fma_f64 v[21:22], v[19:20], v[21:22], s[84:85]
	;; [unrolled: 3-line block ×3, first 2 shown]
	s_delay_alu instid0(VALU_DEP_2) | instskip(NEXT) | instid1(VALU_DEP_2)
	v_fma_f64 v[23:24], v[19:20], v[23:24], 1.0
	v_fma_f64 v[21:22], v[19:20], v[21:22], s[6:7]
	s_delay_alu instid0(VALU_DEP_1) | instskip(NEXT) | instid1(VALU_DEP_1)
	v_mul_f64 v[21:22], v[19:20], v[21:22]
	v_div_scale_f64 v[25:26], null, v[23:24], v[23:24], v[21:22]
	s_delay_alu instid0(VALU_DEP_1) | instskip(SKIP_2) | instid1(VALU_DEP_1)
	v_rcp_f64_e32 v[27:28], v[25:26]
	s_waitcnt_depctr 0xfff
	v_fma_f64 v[29:30], -v[25:26], v[27:28], 1.0
	v_fma_f64 v[27:28], v[27:28], v[29:30], v[27:28]
	s_delay_alu instid0(VALU_DEP_1) | instskip(NEXT) | instid1(VALU_DEP_1)
	v_fma_f64 v[29:30], -v[25:26], v[27:28], 1.0
	v_fma_f64 v[27:28], v[27:28], v[29:30], v[27:28]
	v_div_scale_f64 v[29:30], vcc_lo, v[21:22], v[23:24], v[21:22]
	s_delay_alu instid0(VALU_DEP_1) | instskip(NEXT) | instid1(VALU_DEP_1)
	v_mul_f64 v[53:54], v[29:30], v[27:28]
	v_fma_f64 v[25:26], -v[25:26], v[53:54], v[29:30]
	s_delay_alu instid0(VALU_DEP_1) | instskip(NEXT) | instid1(VALU_DEP_1)
	v_div_fmas_f64 v[25:26], v[25:26], v[27:28], v[53:54]
	v_div_fixup_f64 v[21:22], v[25:26], v[23:24], v[21:22]
	s_delay_alu instid0(VALU_DEP_1)
	v_fma_f64 v[21:22], v[19:20], -0.5, v[21:22]
                                        ; implicit-def: $vgpr19_vgpr20
.LBB8_205:                              ;   in Loop: Header=BB8_145 Depth=1
	s_and_not1_saveexec_b32 s4, s4
	s_cbranch_execz .LBB8_211
; %bb.206:                              ;   in Loop: Header=BB8_145 Depth=1
	s_mov_b32 s5, exec_lo
                                        ; implicit-def: $vgpr21_vgpr22
	v_cmpx_ne_u32_e32 1, v2
	s_xor_b32 s5, exec_lo, s5
	s_cbranch_execz .LBB8_208
; %bb.207:                              ;   in Loop: Header=BB8_145 Depth=1
	v_mul_f64 v[21:22], v[19:20], v[19:20]
	s_mov_b32 s78, 0x987dfb07
	s_mov_b32 s80, 0x90a45837
	;; [unrolled: 1-line block ×4, first 2 shown]
	s_delay_alu instid0(VALU_DEP_1) | instid1(SALU_CYCLE_1)
	v_fma_f64 v[23:24], v[21:22], s[80:81], s[78:79]
	s_mov_b32 s78, 0xed10e54d
	s_mov_b32 s80, 0x428cfa52
	;; [unrolled: 1-line block ×4, first 2 shown]
	s_delay_alu instid0(SALU_CYCLE_1) | instskip(SKIP_4) | instid1(VALU_DEP_2)
	v_fma_f64 v[25:26], v[21:22], s[80:81], s[78:79]
	s_mov_b32 s78, 0x89b99c00
	s_mov_b32 s79, 0x3f40b6c6
	;; [unrolled: 1-line block ×4, first 2 shown]
	v_fma_f64 v[23:24], v[21:22], v[23:24], s[78:79]
	s_mov_b32 s78, 0x116f3f5d
	s_mov_b32 s79, 0x3f538a94
	s_delay_alu instid0(VALU_DEP_2) | instid1(SALU_CYCLE_1)
	v_fma_f64 v[25:26], v[21:22], v[25:26], s[78:79]
	s_mov_b32 s78, 0xccb7926b
	s_mov_b32 s79, 0x3f67add8
	s_delay_alu instid0(VALU_DEP_2) | instid1(SALU_CYCLE_1)
	;; [unrolled: 4-line block ×6, first 2 shown]
	v_fma_f64 v[23:24], v[21:22], v[23:24], s[78:79]
	s_delay_alu instid0(VALU_DEP_2) | instskip(NEXT) | instid1(VALU_DEP_2)
	v_fma_f64 v[25:26], v[21:22], v[25:26], s[60:61]
	v_mul_f64 v[21:22], v[21:22], v[23:24]
	s_delay_alu instid0(VALU_DEP_1) | instskip(NEXT) | instid1(VALU_DEP_1)
	v_fma_f64 v[21:22], v[19:20], v[25:26], v[21:22]
	v_fma_f64 v[21:22], v[19:20], -0.5, v[21:22]
                                        ; implicit-def: $vgpr19_vgpr20
.LBB8_208:                              ;   in Loop: Header=BB8_145 Depth=1
	s_and_not1_saveexec_b32 s5, s5
	s_cbranch_execz .LBB8_210
; %bb.209:                              ;   in Loop: Header=BB8_145 Depth=1
	v_mul_f64 v[21:22], v[19:20], v[19:20]
	s_mov_b32 s78, 0xef61a8e9
	s_mov_b32 s82, 0xecc38c38
	;; [unrolled: 1-line block ×4, first 2 shown]
	s_delay_alu instid0(VALU_DEP_1) | instskip(NEXT) | instid1(VALU_DEP_1)
	v_mul_f64 v[23:24], v[19:20], v[21:22]
	v_fma_f64 v[25:26], v[23:24], s[82:83], s[78:79]
	s_mov_b32 s78, 0x9c73e0ec
	s_mov_b32 s82, 0xe8c2d3f4
	;; [unrolled: 1-line block ×4, first 2 shown]
	s_delay_alu instid0(SALU_CYCLE_1) | instskip(SKIP_4) | instid1(VALU_DEP_2)
	v_fma_f64 v[27:28], v[23:24], s[82:83], s[78:79]
	s_mov_b32 s78, 0xb3e914d7
	s_mov_b32 s79, 0xbf6e2eff
	;; [unrolled: 1-line block ×4, first 2 shown]
	v_fma_f64 v[25:26], v[23:24], v[25:26], s[78:79]
	s_mov_b32 s78, 0x2e15c915
	s_mov_b32 s79, 0x3f6282d3
	s_delay_alu instid0(VALU_DEP_2) | instid1(SALU_CYCLE_1)
	v_fma_f64 v[27:28], v[23:24], v[27:28], s[78:79]
	s_mov_b32 s78, 0xbf2d1af1
	s_mov_b32 s79, 0xbf56fe8e
	s_delay_alu instid0(SALU_CYCLE_1) | instskip(SKIP_4) | instid1(VALU_DEP_3)
	v_fma_f64 v[29:30], v[23:24], s[82:83], s[78:79]
	s_mov_b32 s78, 0x970af9ec
	s_mov_b32 s79, 0x3f9266e7
	;; [unrolled: 1-line block ×4, first 2 shown]
	v_fma_f64 v[25:26], v[23:24], v[25:26], s[78:79]
	s_mov_b32 s78, 0xba91ec6a
	s_mov_b32 s79, 0xbf851f9f
	s_delay_alu instid0(VALU_DEP_3) | instid1(SALU_CYCLE_1)
	v_fma_f64 v[27:28], v[23:24], v[27:28], s[78:79]
	s_mov_b32 s78, 0xe370e344
	s_mov_b32 s79, 0x3f78fce0
	s_delay_alu instid0(VALU_DEP_3) | instid1(SALU_CYCLE_1)
	v_fma_f64 v[29:30], v[23:24], v[29:30], s[78:79]
	s_mov_b32 s78, 0x8dc6c509
	s_mov_b32 s79, 0xbfc2e427
	s_delay_alu instid0(VALU_DEP_3) | instid1(SALU_CYCLE_1)
	v_fma_f64 v[25:26], v[23:24], v[25:26], s[78:79]
	s_mov_b32 s78, 0x94d5419b
	s_mov_b32 s79, 0x3fb08b42
	s_delay_alu instid0(VALU_DEP_3) | instid1(SALU_CYCLE_1)
	v_fma_f64 v[27:28], v[23:24], v[27:28], s[78:79]
	s_mov_b32 s78, 0xdf35b713
	s_mov_b32 s79, 0xbfa0c9a8
	s_delay_alu instid0(VALU_DEP_3) | instid1(SALU_CYCLE_1)
	v_fma_f64 v[29:30], v[23:24], v[29:30], s[78:79]
	s_mov_b32 s78, 0xc8ee38a2
	s_mov_b32 s79, 0x3fdef72b
	s_delay_alu instid0(VALU_DEP_2) | instskip(NEXT) | instid1(VALU_DEP_2)
	v_fma_f64 v[19:20], v[19:20], v[27:28], v[25:26]
	v_fma_f64 v[25:26], v[23:24], v[29:30], s[78:79]
	s_mov_b32 s78, 0xa48a971f
	s_mov_b32 s79, 0xbc50c7ca
	s_delay_alu instid0(VALU_DEP_2) | instid1(SALU_CYCLE_1)
	v_fma_f64 v[19:20], v[23:24], -v[19:20], s[78:79]
	s_mov_b32 s78, 0xbcc38a42
	s_mov_b32 s79, 0xbfbf19b9
	s_delay_alu instid0(VALU_DEP_1) | instskip(NEXT) | instid1(VALU_DEP_1)
	v_fma_f64 v[19:20], v[21:22], v[25:26], -v[19:20]
	v_add_f64 v[21:22], v[19:20], s[78:79]
.LBB8_210:                              ;   in Loop: Header=BB8_145 Depth=1
	s_or_b32 exec_lo, exec_lo, s5
.LBB8_211:                              ;   in Loop: Header=BB8_145 Depth=1
	s_delay_alu instid0(SALU_CYCLE_1) | instskip(NEXT) | instid1(VALU_DEP_1)
	s_or_b32 exec_lo, exec_lo, s4
	v_add_f64 v[17:18], v[17:18], v[21:22]
.LBB8_212:                              ;   in Loop: Header=BB8_145 Depth=1
	s_or_b32 exec_lo, exec_lo, s72
.LBB8_213:                              ;   in Loop: Header=BB8_145 Depth=1
	s_and_not1_saveexec_b32 s5, vcc_hi
	s_cbranch_execz .LBB8_215
; %bb.214:                              ;   in Loop: Header=BB8_145 Depth=1
	v_frexp_mant_f64_e64 v[17:18], |v[5:6]|
	s_mov_b32 s15, s71
	v_cmp_neq_f64_e64 s4, 0, v[5:6]
	s_delay_alu instid0(VALU_DEP_2) | instskip(SKIP_1) | instid1(VALU_DEP_1)
	v_cmp_gt_f64_e32 vcc_lo, s[70:71], v[17:18]
	v_cndmask_b32_e64 v2, 0x3ff00000, 2.0, vcc_lo
	v_mul_f64 v[17:18], v[17:18], v[1:2]
	v_frexp_exp_i32_f64_e32 v2, v[5:6]
	s_delay_alu instid0(VALU_DEP_2) | instskip(NEXT) | instid1(VALU_DEP_2)
	v_add_f64 v[19:20], v[17:18], 1.0
	v_subrev_co_ci_u32_e32 v2, vcc_lo, 0, v2, vcc_lo
	v_cmp_class_f64_e64 vcc_lo, v[5:6], 0x204
	s_delay_alu instid0(VALU_DEP_3) | instskip(SKIP_2) | instid1(VALU_DEP_1)
	v_rcp_f64_e32 v[21:22], v[19:20]
	s_waitcnt_depctr 0xfff
	v_fma_f64 v[23:24], -v[19:20], v[21:22], 1.0
	v_fma_f64 v[21:22], v[23:24], v[21:22], v[21:22]
	s_delay_alu instid0(VALU_DEP_1) | instskip(NEXT) | instid1(VALU_DEP_1)
	v_fma_f64 v[23:24], -v[19:20], v[21:22], 1.0
	v_fma_f64 v[21:22], v[23:24], v[21:22], v[21:22]
	v_add_f64 v[23:24], v[19:20], -1.0
	s_delay_alu instid0(VALU_DEP_1) | instskip(SKIP_1) | instid1(VALU_DEP_1)
	v_add_f64 v[23:24], v[17:18], -v[23:24]
	v_add_f64 v[17:18], v[17:18], -1.0
	v_mul_f64 v[25:26], v[17:18], v[21:22]
	s_delay_alu instid0(VALU_DEP_1) | instskip(NEXT) | instid1(VALU_DEP_1)
	v_mul_f64 v[27:28], v[19:20], v[25:26]
	v_fma_f64 v[19:20], v[25:26], v[19:20], -v[27:28]
	s_delay_alu instid0(VALU_DEP_1) | instskip(NEXT) | instid1(VALU_DEP_1)
	v_fma_f64 v[19:20], v[25:26], v[23:24], v[19:20]
	v_add_f64 v[23:24], v[27:28], v[19:20]
	s_delay_alu instid0(VALU_DEP_1) | instskip(NEXT) | instid1(VALU_DEP_1)
	v_add_f64 v[27:28], v[23:24], -v[27:28]
	v_add_f64 v[19:20], v[27:28], -v[19:20]
	;; [unrolled: 1-line block ×3, first 2 shown]
	s_delay_alu instid0(VALU_DEP_1) | instskip(NEXT) | instid1(VALU_DEP_1)
	v_add_f64 v[17:18], v[17:18], -v[27:28]
	v_add_f64 v[17:18], v[17:18], -v[23:24]
	s_delay_alu instid0(VALU_DEP_1) | instskip(SKIP_1) | instid1(VALU_DEP_2)
	v_add_f64 v[17:18], v[19:20], v[17:18]
	v_cvt_f64_i32_e32 v[19:20], v2
	v_add_f64 v[17:18], v[27:28], v[17:18]
	s_delay_alu instid0(VALU_DEP_1) | instskip(NEXT) | instid1(VALU_DEP_3)
	v_mul_f64 v[17:18], v[21:22], v[17:18]
	v_mul_f64 v[21:22], v[19:20], s[28:29]
	s_delay_alu instid0(VALU_DEP_1) | instskip(NEXT) | instid1(VALU_DEP_1)
	v_fma_f64 v[23:24], v[19:20], s[28:29], -v[21:22]
	v_fma_f64 v[19:20], v[19:20], s[30:31], v[23:24]
	s_delay_alu instid0(VALU_DEP_4) | instskip(NEXT) | instid1(VALU_DEP_1)
	v_add_f64 v[23:24], v[25:26], v[17:18]
	v_add_f64 v[25:26], v[23:24], -v[25:26]
	s_delay_alu instid0(VALU_DEP_1) | instskip(SKIP_1) | instid1(VALU_DEP_2)
	v_add_f64 v[17:18], v[17:18], -v[25:26]
	v_mul_f64 v[25:26], v[23:24], v[23:24]
	v_ldexp_f64 v[17:18], v[17:18], 1
	s_delay_alu instid0(VALU_DEP_2) | instskip(NEXT) | instid1(VALU_DEP_1)
	v_fma_f64 v[27:28], v[25:26], s[18:19], s[16:17]
	v_fma_f64 v[27:28], v[25:26], v[27:28], s[20:21]
	s_delay_alu instid0(VALU_DEP_1) | instskip(NEXT) | instid1(VALU_DEP_1)
	v_fma_f64 v[27:28], v[25:26], v[27:28], s[22:23]
	v_fma_f64 v[27:28], v[25:26], v[27:28], s[24:25]
	s_delay_alu instid0(VALU_DEP_1) | instskip(NEXT) | instid1(VALU_DEP_1)
	v_fma_f64 v[27:28], v[25:26], v[27:28], s[26:27]
	v_fma_f64 v[27:28], v[25:26], v[27:28], s[14:15]
	v_mul_f64 v[25:26], v[23:24], v[25:26]
	v_ldexp_f64 v[23:24], v[23:24], 1
	s_delay_alu instid0(VALU_DEP_2) | instskip(NEXT) | instid1(VALU_DEP_1)
	v_mul_f64 v[25:26], v[25:26], v[27:28]
	v_add_f64 v[27:28], v[23:24], v[25:26]
	s_delay_alu instid0(VALU_DEP_1) | instskip(NEXT) | instid1(VALU_DEP_1)
	v_add_f64 v[23:24], v[27:28], -v[23:24]
	v_add_f64 v[23:24], v[25:26], -v[23:24]
	s_delay_alu instid0(VALU_DEP_1) | instskip(SKIP_1) | instid1(VALU_DEP_1)
	v_add_f64 v[17:18], v[17:18], v[23:24]
	v_add_f64 v[23:24], v[21:22], v[19:20]
	v_add_f64 v[21:22], v[23:24], -v[21:22]
	s_delay_alu instid0(VALU_DEP_1) | instskip(NEXT) | instid1(VALU_DEP_4)
	v_add_f64 v[19:20], v[19:20], -v[21:22]
	v_add_f64 v[21:22], v[27:28], v[17:18]
	s_delay_alu instid0(VALU_DEP_1) | instskip(SKIP_1) | instid1(VALU_DEP_2)
	v_add_f64 v[25:26], v[21:22], -v[27:28]
	v_add_f64 v[27:28], v[23:24], v[21:22]
	v_add_f64 v[17:18], v[17:18], -v[25:26]
	s_delay_alu instid0(VALU_DEP_2) | instskip(NEXT) | instid1(VALU_DEP_1)
	v_add_f64 v[29:30], v[27:28], -v[23:24]
	v_add_f64 v[21:22], v[21:22], -v[29:30]
	v_add_f64 v[29:30], v[27:28], -v[29:30]
	s_delay_alu instid0(VALU_DEP_1) | instskip(NEXT) | instid1(VALU_DEP_1)
	v_add_f64 v[23:24], v[23:24], -v[29:30]
	v_add_f64 v[21:22], v[21:22], v[23:24]
	v_add_f64 v[23:24], v[19:20], v[17:18]
	s_delay_alu instid0(VALU_DEP_1) | instskip(NEXT) | instid1(VALU_DEP_3)
	v_add_f64 v[25:26], v[23:24], -v[19:20]
	v_add_f64 v[21:22], v[23:24], v[21:22]
	s_delay_alu instid0(VALU_DEP_2) | instskip(SKIP_1) | instid1(VALU_DEP_1)
	v_add_f64 v[17:18], v[17:18], -v[25:26]
	v_add_f64 v[25:26], v[23:24], -v[25:26]
	;; [unrolled: 1-line block ×3, first 2 shown]
	s_delay_alu instid0(VALU_DEP_1) | instskip(SKIP_1) | instid1(VALU_DEP_1)
	v_add_f64 v[17:18], v[17:18], v[19:20]
	v_add_f64 v[19:20], v[27:28], v[21:22]
	v_add_f64 v[23:24], v[19:20], -v[27:28]
	s_delay_alu instid0(VALU_DEP_1) | instskip(NEXT) | instid1(VALU_DEP_1)
	v_add_f64 v[21:22], v[21:22], -v[23:24]
	v_add_f64 v[17:18], v[17:18], v[21:22]
	v_fma_f64 v[21:22], |v[5:6]|, s[46:47], s[44:45]
	s_delay_alu instid0(VALU_DEP_2) | instskip(NEXT) | instid1(VALU_DEP_2)
	v_add_f64 v[17:18], v[19:20], v[17:18]
	v_fma_f64 v[21:22], |v[5:6]|, v[21:22], s[98:99]
	s_delay_alu instid0(VALU_DEP_2) | instskip(NEXT) | instid1(VALU_DEP_2)
	v_cndmask_b32_e64 v2, -v18, -v16, vcc_lo
	v_fma_f64 v[21:22], |v[5:6]|, v[21:22], s[100:101]
	s_delay_alu instid0(VALU_DEP_4) | instskip(NEXT) | instid1(VALU_DEP_3)
	v_cndmask_b32_e32 v11, v17, v5, vcc_lo
	v_cndmask_b32_e64 v18, 0x7ff00000, v2, s4
	s_delay_alu instid0(VALU_DEP_2) | instskip(NEXT) | instid1(VALU_DEP_4)
	v_cndmask_b32_e64 v17, 0, v11, s4
	v_fma_f64 v[19:20], |v[5:6]|, v[21:22], s[102:103]
	s_delay_alu instid0(VALU_DEP_1)
	v_fma_f64 v[17:18], |v[5:6]|, v[19:20], v[17:18]
.LBB8_215:                              ;   in Loop: Header=BB8_145 Depth=1
	s_or_b32 exec_lo, exec_lo, s5
	s_delay_alu instid0(SALU_CYCLE_1)
	s_mov_b32 s4, exec_lo
	v_cmpx_le_f64_e32 0, v[5:6]
	s_xor_b32 s5, exec_lo, s4
; %bb.216:                              ;   in Loop: Header=BB8_145 Depth=1
	v_cmp_eq_f64_e32 vcc_lo, 1.0, v[5:6]
	v_cmp_eq_f64_e64 s4, 2.0, v[5:6]
	s_delay_alu instid0(VALU_DEP_1)
	s_or_b32 s4, vcc_lo, s4
	s_delay_alu instid0(VALU_DEP_4) | instid1(SALU_CYCLE_1)
	v_cndmask_b32_e64 v18, v18, 0, s4
	v_cndmask_b32_e64 v17, v17, 0, s4
; %bb.217:                              ;   in Loop: Header=BB8_145 Depth=1
	s_and_not1_saveexec_b32 s5, s5
	s_cbranch_execz .LBB8_221
; %bb.218:                              ;   in Loop: Header=BB8_145 Depth=1
	v_add_nc_u32_e32 v2, 0xc32fffff, v16
	s_mov_b32 s6, exec_lo
	s_delay_alu instid0(VALU_DEP_1)
	v_cmpx_gt_u32_e32 0x65fffff, v2
	s_cbranch_execz .LBB8_220
; %bb.219:                              ;   in Loop: Header=BB8_145 Depth=1
	v_mul_f64 v[19:20], |v[5:6]|, 0.5
	v_cmp_gt_f64_e64 s4, |v[5:6]|, 1.0
	s_mov_b32 s15, s71
	s_delay_alu instid0(VALU_DEP_2) | instskip(SKIP_1) | instid1(VALU_DEP_2)
	v_fract_f64_e32 v[21:22], v[19:20]
	v_cmp_neq_f64_e64 vcc_lo, 0x7ff00000, |v[19:20]|
	v_add_f64 v[19:20], v[21:22], v[21:22]
	s_delay_alu instid0(VALU_DEP_1) | instskip(NEXT) | instid1(VALU_DEP_1)
	v_dual_cndmask_b32 v2, 0, v20 :: v_dual_cndmask_b32 v11, 0, v19
	v_cndmask_b32_e64 v20, v16, v2, s4
	s_delay_alu instid0(VALU_DEP_2) | instskip(NEXT) | instid1(VALU_DEP_1)
	v_cndmask_b32_e64 v19, v5, v11, s4
	v_add_f64 v[21:22], v[19:20], v[19:20]
	s_delay_alu instid0(VALU_DEP_1) | instskip(NEXT) | instid1(VALU_DEP_1)
	v_rndne_f64_e32 v[21:22], v[21:22]
	v_fma_f64 v[19:20], v[21:22], -0.5, v[19:20]
	v_cvt_i32_f64_e32 v2, v[21:22]
	s_delay_alu instid0(VALU_DEP_2) | instskip(NEXT) | instid1(VALU_DEP_2)
	v_mul_f64 v[23:24], v[19:20], v[19:20]
	v_and_b32_e32 v11, 1, v2
	v_lshlrev_b32_e32 v2, 30, v2
	s_delay_alu instid0(VALU_DEP_2) | instskip(NEXT) | instid1(VALU_DEP_2)
	v_cmp_eq_u32_e32 vcc_lo, 0, v11
	v_xor_b32_e32 v2, v2, v6
	s_delay_alu instid0(VALU_DEP_1) | instskip(SKIP_2) | instid1(VALU_DEP_2)
	v_and_b32_e32 v2, 0x80000000, v2
	v_fma_f64 v[25:26], v[23:24], s[36:37], s[34:35]
	v_mul_f64 v[27:28], v[19:20], v[23:24]
	v_fma_f64 v[25:26], v[23:24], v[25:26], s[38:39]
	s_delay_alu instid0(VALU_DEP_1) | instskip(NEXT) | instid1(VALU_DEP_1)
	v_fma_f64 v[25:26], v[23:24], v[25:26], s[40:41]
	v_fma_f64 v[25:26], v[23:24], v[25:26], s[42:43]
	s_delay_alu instid0(VALU_DEP_1) | instskip(NEXT) | instid1(VALU_DEP_1)
	v_fma_f64 v[25:26], v[23:24], v[25:26], s[48:49]
	v_mul_f64 v[25:26], v[27:28], v[25:26]
	s_delay_alu instid0(VALU_DEP_1) | instskip(SKIP_1) | instid1(VALU_DEP_1)
	v_fma_f64 v[19:20], v[19:20], s[50:51], v[25:26]
	v_fma_f64 v[25:26], v[23:24], s[54:55], s[52:53]
	;; [unrolled: 1-line block ×3, first 2 shown]
	s_delay_alu instid0(VALU_DEP_1) | instskip(NEXT) | instid1(VALU_DEP_1)
	v_fma_f64 v[25:26], v[23:24], v[25:26], s[58:59]
	v_fma_f64 v[25:26], v[23:24], v[25:26], s[62:63]
	s_delay_alu instid0(VALU_DEP_1) | instskip(NEXT) | instid1(VALU_DEP_1)
	v_fma_f64 v[25:26], v[23:24], v[25:26], s[64:65]
	v_fma_f64 v[25:26], v[23:24], v[25:26], s[66:67]
	s_delay_alu instid0(VALU_DEP_1) | instskip(NEXT) | instid1(VALU_DEP_1)
	v_fma_f64 v[23:24], v[23:24], v[25:26], 1.0
	v_cndmask_b32_e32 v11, v23, v19, vcc_lo
	s_delay_alu instid0(VALU_DEP_2) | instskip(SKIP_1) | instid1(VALU_DEP_2)
	v_cndmask_b32_e32 v15, v24, v20, vcc_lo
	v_cmp_class_f64_e64 vcc_lo, v[5:6], 0x1f8
	v_xor_b32_e32 v2, v15, v2
	s_delay_alu instid0(VALU_DEP_4) | instskip(NEXT) | instid1(VALU_DEP_2)
	v_cndmask_b32_e32 v19, 0, v11, vcc_lo
	v_cndmask_b32_e32 v20, 0x7ff80000, v2, vcc_lo
	s_delay_alu instid0(VALU_DEP_1) | instskip(NEXT) | instid1(VALU_DEP_1)
	v_mul_f64 v[19:20], v[5:6], v[19:20]
	v_dual_mov_b32 v21, v19 :: v_dual_and_b32 v22, 0x7fffffff, v20
	s_delay_alu instid0(VALU_DEP_1) | instskip(SKIP_1) | instid1(VALU_DEP_2)
	v_div_scale_f64 v[23:24], null, v[21:22], v[21:22], s[50:51]
	v_div_scale_f64 v[21:22], vcc_lo, s[50:51], v[21:22], s[50:51]
	v_rcp_f64_e32 v[25:26], v[23:24]
	s_waitcnt_depctr 0xfff
	v_fma_f64 v[27:28], -v[23:24], v[25:26], 1.0
	s_delay_alu instid0(VALU_DEP_1) | instskip(NEXT) | instid1(VALU_DEP_1)
	v_fma_f64 v[25:26], v[25:26], v[27:28], v[25:26]
	v_fma_f64 v[27:28], -v[23:24], v[25:26], 1.0
	s_delay_alu instid0(VALU_DEP_1) | instskip(NEXT) | instid1(VALU_DEP_1)
	v_fma_f64 v[25:26], v[25:26], v[27:28], v[25:26]
	v_mul_f64 v[27:28], v[21:22], v[25:26]
	s_delay_alu instid0(VALU_DEP_1) | instskip(NEXT) | instid1(VALU_DEP_1)
	v_fma_f64 v[21:22], -v[23:24], v[27:28], v[21:22]
	v_div_fmas_f64 v[21:22], v[21:22], v[25:26], v[27:28]
	s_delay_alu instid0(VALU_DEP_1) | instskip(NEXT) | instid1(VALU_DEP_1)
	v_div_fixup_f64 v[19:20], v[21:22], |v[19:20]|, s[50:51]
	v_frexp_mant_f64_e32 v[21:22], v[19:20]
	v_cmp_neq_f64_e64 s4, 0, v[19:20]
	s_delay_alu instid0(VALU_DEP_2) | instskip(SKIP_1) | instid1(VALU_DEP_1)
	v_cmp_gt_f64_e32 vcc_lo, s[70:71], v[21:22]
	v_cndmask_b32_e64 v2, 0x3ff00000, 2.0, vcc_lo
	v_mul_f64 v[21:22], v[21:22], v[1:2]
	v_frexp_exp_i32_f64_e32 v2, v[19:20]
	s_delay_alu instid0(VALU_DEP_2) | instskip(NEXT) | instid1(VALU_DEP_2)
	v_add_f64 v[23:24], v[21:22], 1.0
	v_subrev_co_ci_u32_e32 v2, vcc_lo, 0, v2, vcc_lo
	v_cmp_class_f64_e64 vcc_lo, v[19:20], 0x204
	s_delay_alu instid0(VALU_DEP_3) | instskip(SKIP_2) | instid1(VALU_DEP_1)
	v_rcp_f64_e32 v[25:26], v[23:24]
	s_waitcnt_depctr 0xfff
	v_fma_f64 v[27:28], -v[23:24], v[25:26], 1.0
	v_fma_f64 v[25:26], v[27:28], v[25:26], v[25:26]
	s_delay_alu instid0(VALU_DEP_1) | instskip(NEXT) | instid1(VALU_DEP_1)
	v_fma_f64 v[27:28], -v[23:24], v[25:26], 1.0
	v_fma_f64 v[25:26], v[27:28], v[25:26], v[25:26]
	v_add_f64 v[27:28], v[23:24], -1.0
	s_delay_alu instid0(VALU_DEP_1) | instskip(SKIP_1) | instid1(VALU_DEP_1)
	v_add_f64 v[27:28], v[21:22], -v[27:28]
	v_add_f64 v[21:22], v[21:22], -1.0
	v_mul_f64 v[29:30], v[21:22], v[25:26]
	s_delay_alu instid0(VALU_DEP_1) | instskip(NEXT) | instid1(VALU_DEP_1)
	v_mul_f64 v[53:54], v[23:24], v[29:30]
	v_fma_f64 v[23:24], v[29:30], v[23:24], -v[53:54]
	s_delay_alu instid0(VALU_DEP_1) | instskip(NEXT) | instid1(VALU_DEP_1)
	v_fma_f64 v[23:24], v[29:30], v[27:28], v[23:24]
	v_add_f64 v[27:28], v[53:54], v[23:24]
	s_delay_alu instid0(VALU_DEP_1) | instskip(NEXT) | instid1(VALU_DEP_1)
	v_add_f64 v[53:54], v[27:28], -v[53:54]
	v_add_f64 v[23:24], v[53:54], -v[23:24]
	;; [unrolled: 1-line block ×3, first 2 shown]
	s_delay_alu instid0(VALU_DEP_1) | instskip(NEXT) | instid1(VALU_DEP_1)
	v_add_f64 v[21:22], v[21:22], -v[53:54]
	v_add_f64 v[21:22], v[21:22], -v[27:28]
	s_delay_alu instid0(VALU_DEP_1) | instskip(SKIP_1) | instid1(VALU_DEP_2)
	v_add_f64 v[21:22], v[23:24], v[21:22]
	v_cvt_f64_i32_e32 v[23:24], v2
	v_add_f64 v[21:22], v[53:54], v[21:22]
	s_delay_alu instid0(VALU_DEP_1) | instskip(NEXT) | instid1(VALU_DEP_3)
	v_mul_f64 v[21:22], v[25:26], v[21:22]
	v_mul_f64 v[25:26], v[23:24], s[28:29]
	s_delay_alu instid0(VALU_DEP_1) | instskip(NEXT) | instid1(VALU_DEP_1)
	v_fma_f64 v[27:28], v[23:24], s[28:29], -v[25:26]
	v_fma_f64 v[23:24], v[23:24], s[30:31], v[27:28]
	s_delay_alu instid0(VALU_DEP_4) | instskip(NEXT) | instid1(VALU_DEP_1)
	v_add_f64 v[27:28], v[29:30], v[21:22]
	v_add_f64 v[29:30], v[27:28], -v[29:30]
	s_delay_alu instid0(VALU_DEP_1) | instskip(SKIP_1) | instid1(VALU_DEP_2)
	v_add_f64 v[21:22], v[21:22], -v[29:30]
	v_mul_f64 v[29:30], v[27:28], v[27:28]
	v_ldexp_f64 v[21:22], v[21:22], 1
	s_delay_alu instid0(VALU_DEP_2) | instskip(NEXT) | instid1(VALU_DEP_1)
	v_fma_f64 v[53:54], v[29:30], s[18:19], s[16:17]
	v_fma_f64 v[53:54], v[29:30], v[53:54], s[20:21]
	s_delay_alu instid0(VALU_DEP_1) | instskip(NEXT) | instid1(VALU_DEP_1)
	v_fma_f64 v[53:54], v[29:30], v[53:54], s[22:23]
	v_fma_f64 v[53:54], v[29:30], v[53:54], s[24:25]
	s_delay_alu instid0(VALU_DEP_1) | instskip(NEXT) | instid1(VALU_DEP_1)
	v_fma_f64 v[53:54], v[29:30], v[53:54], s[26:27]
	v_fma_f64 v[53:54], v[29:30], v[53:54], s[14:15]
	v_mul_f64 v[29:30], v[27:28], v[29:30]
	v_ldexp_f64 v[27:28], v[27:28], 1
	s_delay_alu instid0(VALU_DEP_2) | instskip(NEXT) | instid1(VALU_DEP_1)
	v_mul_f64 v[29:30], v[29:30], v[53:54]
	v_add_f64 v[53:54], v[27:28], v[29:30]
	s_delay_alu instid0(VALU_DEP_1) | instskip(NEXT) | instid1(VALU_DEP_1)
	v_add_f64 v[27:28], v[53:54], -v[27:28]
	v_add_f64 v[27:28], v[29:30], -v[27:28]
	s_delay_alu instid0(VALU_DEP_1) | instskip(SKIP_1) | instid1(VALU_DEP_1)
	v_add_f64 v[21:22], v[21:22], v[27:28]
	v_add_f64 v[27:28], v[25:26], v[23:24]
	v_add_f64 v[25:26], v[27:28], -v[25:26]
	s_delay_alu instid0(VALU_DEP_1) | instskip(NEXT) | instid1(VALU_DEP_4)
	v_add_f64 v[23:24], v[23:24], -v[25:26]
	v_add_f64 v[25:26], v[53:54], v[21:22]
	s_delay_alu instid0(VALU_DEP_1) | instskip(SKIP_1) | instid1(VALU_DEP_2)
	v_add_f64 v[29:30], v[25:26], -v[53:54]
	v_add_f64 v[53:54], v[27:28], v[25:26]
	v_add_f64 v[21:22], v[21:22], -v[29:30]
	s_delay_alu instid0(VALU_DEP_2) | instskip(NEXT) | instid1(VALU_DEP_1)
	v_add_f64 v[55:56], v[53:54], -v[27:28]
	v_add_f64 v[25:26], v[25:26], -v[55:56]
	;; [unrolled: 1-line block ×3, first 2 shown]
	s_delay_alu instid0(VALU_DEP_1) | instskip(NEXT) | instid1(VALU_DEP_1)
	v_add_f64 v[27:28], v[27:28], -v[55:56]
	v_add_f64 v[25:26], v[25:26], v[27:28]
	v_add_f64 v[27:28], v[23:24], v[21:22]
	s_delay_alu instid0(VALU_DEP_1) | instskip(NEXT) | instid1(VALU_DEP_3)
	v_add_f64 v[29:30], v[27:28], -v[23:24]
	v_add_f64 v[25:26], v[27:28], v[25:26]
	s_delay_alu instid0(VALU_DEP_2) | instskip(SKIP_1) | instid1(VALU_DEP_1)
	v_add_f64 v[21:22], v[21:22], -v[29:30]
	v_add_f64 v[29:30], v[27:28], -v[29:30]
	;; [unrolled: 1-line block ×3, first 2 shown]
	s_delay_alu instid0(VALU_DEP_1) | instskip(SKIP_1) | instid1(VALU_DEP_1)
	v_add_f64 v[21:22], v[21:22], v[23:24]
	v_add_f64 v[23:24], v[53:54], v[25:26]
	v_add_f64 v[27:28], v[23:24], -v[53:54]
	s_delay_alu instid0(VALU_DEP_1) | instskip(NEXT) | instid1(VALU_DEP_1)
	v_add_f64 v[25:26], v[25:26], -v[27:28]
	v_add_f64 v[21:22], v[21:22], v[25:26]
	s_delay_alu instid0(VALU_DEP_1) | instskip(NEXT) | instid1(VALU_DEP_1)
	v_add_f64 v[21:22], v[23:24], v[21:22]
	v_dual_cndmask_b32 v2, v21, v19 :: v_dual_cndmask_b32 v11, v22, v20
	v_fract_f64_e32 v[19:20], v[5:6]
	s_delay_alu instid0(VALU_DEP_2) | instskip(NEXT) | instid1(VALU_DEP_3)
	v_cndmask_b32_e64 v21, 0, v2, s4
	v_cndmask_b32_e64 v22, 0xfff00000, v11, s4
	v_cmp_class_f64_e64 s4, v[5:6], 0x204
	s_delay_alu instid0(VALU_DEP_2) | instskip(SKIP_1) | instid1(VALU_DEP_3)
	v_add_f64 v[17:18], v[21:22], -v[17:18]
	v_cmp_eq_f64_e32 vcc_lo, 0, v[19:20]
	s_or_b32 s4, s4, vcc_lo
	s_delay_alu instid0(VALU_DEP_2) | instid1(SALU_CYCLE_1)
	v_cndmask_b32_e64 v18, v18, 0x7ff00000, s4
	s_delay_alu instid0(VALU_DEP_3)
	v_cndmask_b32_e64 v17, v17, 0, s4
.LBB8_220:                              ;   in Loop: Header=BB8_145 Depth=1
	s_or_b32 exec_lo, exec_lo, s6
.LBB8_221:                              ;   in Loop: Header=BB8_145 Depth=1
	s_delay_alu instid0(SALU_CYCLE_1) | instskip(SKIP_2) | instid1(VALU_DEP_1)
	s_or_b32 exec_lo, exec_lo, s5
	v_dual_mov_b32 v19, v7 :: v_dual_and_b32 v20, 0x7fffffff, v8
                                        ; implicit-def: $vgpr21_vgpr22
	s_mov_b32 s4, exec_lo
	v_cmpx_lt_u32_e32 0x3f6fffff, v20
	s_xor_b32 vcc_hi, exec_lo, s4
	s_cbranch_execz .LBB8_247
; %bb.222:                              ;   in Loop: Header=BB8_145 Depth=1
                                        ; implicit-def: $vgpr21_vgpr22
	s_mov_b32 s4, exec_lo
	v_cmpx_lt_u32_e32 0x3fffffff, v20
	s_xor_b32 s72, exec_lo, s4
	s_cbranch_execz .LBB8_232
; %bb.223:                              ;   in Loop: Header=BB8_145 Depth=1
                                        ; implicit-def: $vgpr21_vgpr22
	s_mov_b32 s4, exec_lo
	v_cmpx_lt_u32_e32 0x401fffff, v20
	s_xor_b32 s5, exec_lo, s4
	;; [unrolled: 6-line block ×3, first 2 shown]
	s_cbranch_execz .LBB8_226
; %bb.225:                              ;   in Loop: Header=BB8_145 Depth=1
	v_frexp_mant_f64_e64 v[21:22], |v[7:8]|
	s_mov_b32 s15, s71
	v_cmp_neq_f64_e64 s4, 0, v[7:8]
	s_delay_alu instid0(VALU_DEP_2) | instskip(SKIP_1) | instid1(VALU_DEP_1)
	v_cmp_gt_f64_e32 vcc_lo, s[70:71], v[21:22]
	v_cndmask_b32_e64 v2, 0x3ff00000, 2.0, vcc_lo
	v_mul_f64 v[21:22], v[21:22], v[1:2]
	v_frexp_exp_i32_f64_e32 v2, v[7:8]
	s_delay_alu instid0(VALU_DEP_2) | instskip(NEXT) | instid1(VALU_DEP_2)
	v_add_f64 v[23:24], v[21:22], 1.0
	v_subrev_co_ci_u32_e32 v2, vcc_lo, 0, v2, vcc_lo
	v_cmp_class_f64_e64 vcc_lo, v[7:8], 0x204
	s_delay_alu instid0(VALU_DEP_3) | instskip(SKIP_2) | instid1(VALU_DEP_1)
	v_rcp_f64_e32 v[25:26], v[23:24]
	s_waitcnt_depctr 0xfff
	v_fma_f64 v[27:28], -v[23:24], v[25:26], 1.0
	v_fma_f64 v[25:26], v[27:28], v[25:26], v[25:26]
	s_delay_alu instid0(VALU_DEP_1) | instskip(NEXT) | instid1(VALU_DEP_1)
	v_fma_f64 v[27:28], -v[23:24], v[25:26], 1.0
	v_fma_f64 v[25:26], v[27:28], v[25:26], v[25:26]
	v_add_f64 v[27:28], v[23:24], -1.0
	s_delay_alu instid0(VALU_DEP_1) | instskip(SKIP_1) | instid1(VALU_DEP_1)
	v_add_f64 v[27:28], v[21:22], -v[27:28]
	v_add_f64 v[21:22], v[21:22], -1.0
	v_mul_f64 v[29:30], v[21:22], v[25:26]
	s_delay_alu instid0(VALU_DEP_1) | instskip(NEXT) | instid1(VALU_DEP_1)
	v_mul_f64 v[53:54], v[23:24], v[29:30]
	v_fma_f64 v[23:24], v[29:30], v[23:24], -v[53:54]
	s_delay_alu instid0(VALU_DEP_1) | instskip(NEXT) | instid1(VALU_DEP_1)
	v_fma_f64 v[23:24], v[29:30], v[27:28], v[23:24]
	v_add_f64 v[27:28], v[53:54], v[23:24]
	s_delay_alu instid0(VALU_DEP_1) | instskip(NEXT) | instid1(VALU_DEP_1)
	v_add_f64 v[53:54], v[27:28], -v[53:54]
	v_add_f64 v[23:24], v[53:54], -v[23:24]
	;; [unrolled: 1-line block ×3, first 2 shown]
	s_delay_alu instid0(VALU_DEP_1) | instskip(NEXT) | instid1(VALU_DEP_1)
	v_add_f64 v[21:22], v[21:22], -v[53:54]
	v_add_f64 v[21:22], v[21:22], -v[27:28]
	s_delay_alu instid0(VALU_DEP_1) | instskip(SKIP_1) | instid1(VALU_DEP_2)
	v_add_f64 v[21:22], v[23:24], v[21:22]
	v_cvt_f64_i32_e32 v[23:24], v2
	v_add_f64 v[21:22], v[53:54], v[21:22]
	s_delay_alu instid0(VALU_DEP_1) | instskip(NEXT) | instid1(VALU_DEP_3)
	v_mul_f64 v[21:22], v[25:26], v[21:22]
	v_mul_f64 v[25:26], v[23:24], s[28:29]
	s_delay_alu instid0(VALU_DEP_1) | instskip(NEXT) | instid1(VALU_DEP_1)
	v_fma_f64 v[27:28], v[23:24], s[28:29], -v[25:26]
	v_fma_f64 v[23:24], v[23:24], s[30:31], v[27:28]
	s_delay_alu instid0(VALU_DEP_4) | instskip(NEXT) | instid1(VALU_DEP_1)
	v_add_f64 v[27:28], v[29:30], v[21:22]
	v_add_f64 v[29:30], v[27:28], -v[29:30]
	s_delay_alu instid0(VALU_DEP_1) | instskip(SKIP_1) | instid1(VALU_DEP_2)
	v_add_f64 v[21:22], v[21:22], -v[29:30]
	v_mul_f64 v[29:30], v[27:28], v[27:28]
	v_ldexp_f64 v[21:22], v[21:22], 1
	s_delay_alu instid0(VALU_DEP_2) | instskip(NEXT) | instid1(VALU_DEP_1)
	v_fma_f64 v[53:54], v[29:30], s[18:19], s[16:17]
	v_fma_f64 v[53:54], v[29:30], v[53:54], s[20:21]
	s_delay_alu instid0(VALU_DEP_1) | instskip(NEXT) | instid1(VALU_DEP_1)
	v_fma_f64 v[53:54], v[29:30], v[53:54], s[22:23]
	v_fma_f64 v[53:54], v[29:30], v[53:54], s[24:25]
	s_delay_alu instid0(VALU_DEP_1) | instskip(NEXT) | instid1(VALU_DEP_1)
	v_fma_f64 v[53:54], v[29:30], v[53:54], s[26:27]
	v_fma_f64 v[53:54], v[29:30], v[53:54], s[14:15]
	v_mul_f64 v[29:30], v[27:28], v[29:30]
	v_ldexp_f64 v[27:28], v[27:28], 1
	s_delay_alu instid0(VALU_DEP_2) | instskip(NEXT) | instid1(VALU_DEP_1)
	v_mul_f64 v[29:30], v[29:30], v[53:54]
	v_add_f64 v[53:54], v[27:28], v[29:30]
	s_delay_alu instid0(VALU_DEP_1) | instskip(NEXT) | instid1(VALU_DEP_1)
	v_add_f64 v[27:28], v[53:54], -v[27:28]
	v_add_f64 v[27:28], v[29:30], -v[27:28]
	s_delay_alu instid0(VALU_DEP_1) | instskip(SKIP_1) | instid1(VALU_DEP_1)
	v_add_f64 v[21:22], v[21:22], v[27:28]
	v_add_f64 v[27:28], v[25:26], v[23:24]
	v_add_f64 v[25:26], v[27:28], -v[25:26]
	s_delay_alu instid0(VALU_DEP_1) | instskip(NEXT) | instid1(VALU_DEP_4)
	v_add_f64 v[23:24], v[23:24], -v[25:26]
	v_add_f64 v[25:26], v[53:54], v[21:22]
	s_delay_alu instid0(VALU_DEP_1) | instskip(SKIP_1) | instid1(VALU_DEP_2)
	v_add_f64 v[29:30], v[25:26], -v[53:54]
	v_add_f64 v[53:54], v[27:28], v[25:26]
	v_add_f64 v[21:22], v[21:22], -v[29:30]
	s_delay_alu instid0(VALU_DEP_2) | instskip(NEXT) | instid1(VALU_DEP_1)
	v_add_f64 v[55:56], v[53:54], -v[27:28]
	v_add_f64 v[25:26], v[25:26], -v[55:56]
	;; [unrolled: 1-line block ×3, first 2 shown]
	s_delay_alu instid0(VALU_DEP_1) | instskip(NEXT) | instid1(VALU_DEP_1)
	v_add_f64 v[27:28], v[27:28], -v[55:56]
	v_add_f64 v[25:26], v[25:26], v[27:28]
	v_add_f64 v[27:28], v[23:24], v[21:22]
	s_delay_alu instid0(VALU_DEP_1) | instskip(NEXT) | instid1(VALU_DEP_3)
	v_add_f64 v[29:30], v[27:28], -v[23:24]
	v_add_f64 v[25:26], v[27:28], v[25:26]
	s_delay_alu instid0(VALU_DEP_2) | instskip(SKIP_1) | instid1(VALU_DEP_1)
	v_add_f64 v[21:22], v[21:22], -v[29:30]
	v_add_f64 v[29:30], v[27:28], -v[29:30]
	;; [unrolled: 1-line block ×3, first 2 shown]
	s_delay_alu instid0(VALU_DEP_1) | instskip(SKIP_1) | instid1(VALU_DEP_1)
	v_add_f64 v[21:22], v[21:22], v[23:24]
	v_add_f64 v[23:24], v[53:54], v[25:26]
	v_add_f64 v[27:28], v[23:24], -v[53:54]
	s_delay_alu instid0(VALU_DEP_1) | instskip(NEXT) | instid1(VALU_DEP_1)
	v_add_f64 v[25:26], v[25:26], -v[27:28]
	v_add_f64 v[21:22], v[21:22], v[25:26]
	s_delay_alu instid0(VALU_DEP_1) | instskip(NEXT) | instid1(VALU_DEP_1)
	v_add_f64 v[21:22], v[23:24], v[21:22]
	v_dual_cndmask_b32 v2, v22, v20 :: v_dual_cndmask_b32 v11, v21, v7
	s_delay_alu instid0(VALU_DEP_1) | instskip(NEXT) | instid1(VALU_DEP_2)
	v_cndmask_b32_e64 v22, 0xfff00000, v2, s4
	v_cndmask_b32_e64 v21, 0, v11, s4
	s_delay_alu instid0(VALU_DEP_1)
	v_fma_f64 v[21:22], |v[7:8]|, v[21:22], -|v[7:8]|
.LBB8_226:                              ;   in Loop: Header=BB8_145 Depth=1
	s_and_not1_saveexec_b32 s4, s6
	s_cbranch_execz .LBB8_228
; %bb.227:                              ;   in Loop: Header=BB8_145 Depth=1
	v_mov_b32_e32 v19, v7
	s_mov_b32 s15, s71
	s_mov_b32 s74, 0x4cdad5d1
	;; [unrolled: 1-line block ×4, first 2 shown]
	v_div_scale_f64 v[21:22], null, v[19:20], v[19:20], 1.0
	s_mov_b32 s77, 0xbf5ab89d
	s_delay_alu instid0(VALU_DEP_1) | instskip(SKIP_2) | instid1(VALU_DEP_1)
	v_rcp_f64_e32 v[23:24], v[21:22]
	s_waitcnt_depctr 0xfff
	v_fma_f64 v[25:26], -v[21:22], v[23:24], 1.0
	v_fma_f64 v[23:24], v[23:24], v[25:26], v[23:24]
	s_delay_alu instid0(VALU_DEP_1) | instskip(NEXT) | instid1(VALU_DEP_1)
	v_fma_f64 v[25:26], -v[21:22], v[23:24], 1.0
	v_fma_f64 v[23:24], v[23:24], v[25:26], v[23:24]
	v_div_scale_f64 v[25:26], vcc_lo, 1.0, v[19:20], 1.0
	s_delay_alu instid0(VALU_DEP_1) | instskip(NEXT) | instid1(VALU_DEP_1)
	v_mul_f64 v[27:28], v[25:26], v[23:24]
	v_fma_f64 v[21:22], -v[21:22], v[27:28], v[25:26]
	s_delay_alu instid0(VALU_DEP_1) | instskip(SKIP_1) | instid1(VALU_DEP_2)
	v_div_fmas_f64 v[21:22], v[21:22], v[23:24], v[27:28]
	v_frexp_mant_f64_e64 v[23:24], |v[7:8]|
	v_div_fixup_f64 v[21:22], v[21:22], |v[7:8]|, 1.0
	s_delay_alu instid0(VALU_DEP_2) | instskip(SKIP_1) | instid1(VALU_DEP_1)
	v_cmp_gt_f64_e32 vcc_lo, s[70:71], v[23:24]
	v_cndmask_b32_e64 v2, 0x3ff00000, 2.0, vcc_lo
	v_mul_f64 v[23:24], v[23:24], v[1:2]
	v_frexp_exp_i32_f64_e32 v2, v[7:8]
	s_delay_alu instid0(VALU_DEP_2) | instskip(NEXT) | instid1(VALU_DEP_2)
	v_add_f64 v[25:26], v[23:24], 1.0
	v_subrev_co_ci_u32_e32 v2, vcc_lo, 0, v2, vcc_lo
	v_cmp_class_f64_e64 vcc_lo, v[7:8], 0x204
	s_delay_alu instid0(VALU_DEP_3) | instskip(SKIP_2) | instid1(VALU_DEP_1)
	v_rcp_f64_e32 v[27:28], v[25:26]
	s_waitcnt_depctr 0xfff
	v_fma_f64 v[29:30], -v[25:26], v[27:28], 1.0
	v_fma_f64 v[27:28], v[29:30], v[27:28], v[27:28]
	s_delay_alu instid0(VALU_DEP_1) | instskip(NEXT) | instid1(VALU_DEP_1)
	v_fma_f64 v[29:30], -v[25:26], v[27:28], 1.0
	v_fma_f64 v[27:28], v[29:30], v[27:28], v[27:28]
	v_add_f64 v[29:30], v[25:26], -1.0
	s_delay_alu instid0(VALU_DEP_1) | instskip(SKIP_1) | instid1(VALU_DEP_1)
	v_add_f64 v[29:30], v[23:24], -v[29:30]
	v_add_f64 v[23:24], v[23:24], -1.0
	v_mul_f64 v[53:54], v[23:24], v[27:28]
	s_delay_alu instid0(VALU_DEP_1) | instskip(NEXT) | instid1(VALU_DEP_1)
	v_mul_f64 v[55:56], v[25:26], v[53:54]
	v_fma_f64 v[25:26], v[53:54], v[25:26], -v[55:56]
	s_delay_alu instid0(VALU_DEP_1) | instskip(NEXT) | instid1(VALU_DEP_1)
	v_fma_f64 v[25:26], v[53:54], v[29:30], v[25:26]
	v_add_f64 v[29:30], v[55:56], v[25:26]
	s_delay_alu instid0(VALU_DEP_1) | instskip(NEXT) | instid1(VALU_DEP_1)
	v_add_f64 v[55:56], v[29:30], -v[55:56]
	v_add_f64 v[25:26], v[55:56], -v[25:26]
	;; [unrolled: 1-line block ×3, first 2 shown]
	s_delay_alu instid0(VALU_DEP_1) | instskip(NEXT) | instid1(VALU_DEP_1)
	v_add_f64 v[23:24], v[23:24], -v[55:56]
	v_add_f64 v[23:24], v[23:24], -v[29:30]
	s_delay_alu instid0(VALU_DEP_1) | instskip(SKIP_1) | instid1(VALU_DEP_2)
	v_add_f64 v[23:24], v[25:26], v[23:24]
	v_cvt_f64_i32_e32 v[25:26], v2
	v_add_f64 v[23:24], v[55:56], v[23:24]
	s_delay_alu instid0(VALU_DEP_1) | instskip(NEXT) | instid1(VALU_DEP_3)
	v_mul_f64 v[23:24], v[27:28], v[23:24]
	v_mul_f64 v[27:28], v[25:26], s[28:29]
	s_delay_alu instid0(VALU_DEP_1) | instskip(NEXT) | instid1(VALU_DEP_1)
	v_fma_f64 v[29:30], v[25:26], s[28:29], -v[27:28]
	v_fma_f64 v[25:26], v[25:26], s[30:31], v[29:30]
	s_delay_alu instid0(VALU_DEP_4) | instskip(NEXT) | instid1(VALU_DEP_1)
	v_add_f64 v[29:30], v[53:54], v[23:24]
	v_add_f64 v[53:54], v[29:30], -v[53:54]
	s_delay_alu instid0(VALU_DEP_1) | instskip(SKIP_1) | instid1(VALU_DEP_2)
	v_add_f64 v[23:24], v[23:24], -v[53:54]
	v_mul_f64 v[53:54], v[29:30], v[29:30]
	v_ldexp_f64 v[23:24], v[23:24], 1
	s_delay_alu instid0(VALU_DEP_2) | instskip(NEXT) | instid1(VALU_DEP_1)
	v_fma_f64 v[55:56], v[53:54], s[18:19], s[16:17]
	v_fma_f64 v[55:56], v[53:54], v[55:56], s[20:21]
	s_delay_alu instid0(VALU_DEP_1) | instskip(NEXT) | instid1(VALU_DEP_1)
	v_fma_f64 v[55:56], v[53:54], v[55:56], s[22:23]
	v_fma_f64 v[55:56], v[53:54], v[55:56], s[24:25]
	s_delay_alu instid0(VALU_DEP_1) | instskip(NEXT) | instid1(VALU_DEP_1)
	v_fma_f64 v[55:56], v[53:54], v[55:56], s[26:27]
	v_fma_f64 v[55:56], v[53:54], v[55:56], s[14:15]
	v_mul_f64 v[53:54], v[29:30], v[53:54]
	v_ldexp_f64 v[29:30], v[29:30], 1
	s_delay_alu instid0(VALU_DEP_2) | instskip(NEXT) | instid1(VALU_DEP_1)
	v_mul_f64 v[53:54], v[53:54], v[55:56]
	v_add_f64 v[55:56], v[29:30], v[53:54]
	s_delay_alu instid0(VALU_DEP_1) | instskip(NEXT) | instid1(VALU_DEP_1)
	v_add_f64 v[29:30], v[55:56], -v[29:30]
	v_add_f64 v[29:30], v[53:54], -v[29:30]
	s_delay_alu instid0(VALU_DEP_1) | instskip(SKIP_1) | instid1(VALU_DEP_1)
	v_add_f64 v[23:24], v[23:24], v[29:30]
	v_add_f64 v[29:30], v[27:28], v[25:26]
	v_add_f64 v[27:28], v[29:30], -v[27:28]
	s_delay_alu instid0(VALU_DEP_1) | instskip(NEXT) | instid1(VALU_DEP_4)
	v_add_f64 v[25:26], v[25:26], -v[27:28]
	v_add_f64 v[27:28], v[55:56], v[23:24]
	s_delay_alu instid0(VALU_DEP_1) | instskip(SKIP_1) | instid1(VALU_DEP_2)
	v_add_f64 v[53:54], v[27:28], -v[55:56]
	v_add_f64 v[55:56], v[29:30], v[27:28]
	v_add_f64 v[23:24], v[23:24], -v[53:54]
	s_delay_alu instid0(VALU_DEP_2) | instskip(NEXT) | instid1(VALU_DEP_1)
	v_add_f64 v[57:58], v[55:56], -v[29:30]
	v_add_f64 v[27:28], v[27:28], -v[57:58]
	;; [unrolled: 1-line block ×3, first 2 shown]
	s_delay_alu instid0(VALU_DEP_1) | instskip(NEXT) | instid1(VALU_DEP_1)
	v_add_f64 v[29:30], v[29:30], -v[57:58]
	v_add_f64 v[27:28], v[27:28], v[29:30]
	v_add_f64 v[29:30], v[25:26], v[23:24]
	s_delay_alu instid0(VALU_DEP_1) | instskip(NEXT) | instid1(VALU_DEP_3)
	v_add_f64 v[53:54], v[29:30], -v[25:26]
	v_add_f64 v[27:28], v[29:30], v[27:28]
	s_delay_alu instid0(VALU_DEP_2) | instskip(SKIP_1) | instid1(VALU_DEP_1)
	v_add_f64 v[23:24], v[23:24], -v[53:54]
	v_add_f64 v[53:54], v[29:30], -v[53:54]
	;; [unrolled: 1-line block ×3, first 2 shown]
	s_delay_alu instid0(VALU_DEP_1) | instskip(SKIP_1) | instid1(VALU_DEP_1)
	v_add_f64 v[23:24], v[23:24], v[25:26]
	v_add_f64 v[25:26], v[55:56], v[27:28]
	v_add_f64 v[29:30], v[25:26], -v[55:56]
	s_delay_alu instid0(VALU_DEP_1) | instskip(NEXT) | instid1(VALU_DEP_1)
	v_add_f64 v[27:28], v[27:28], -v[29:30]
	v_add_f64 v[23:24], v[23:24], v[27:28]
	s_delay_alu instid0(VALU_DEP_1) | instskip(SKIP_1) | instid1(VALU_DEP_2)
	v_add_f64 v[23:24], v[25:26], v[23:24]
	v_mul_f64 v[25:26], v[21:22], v[21:22]
	v_cndmask_b32_e32 v24, v24, v20, vcc_lo
	s_delay_alu instid0(VALU_DEP_2) | instskip(SKIP_2) | instid1(VALU_DEP_4)
	v_fma_f64 v[27:28], v[25:26], s[76:77], s[74:75]
	s_mov_b32 s74, 0x8c0fe741
	s_mov_b32 s75, 0xbf4380cb
	v_cndmask_b32_e32 v23, v23, v19, vcc_lo
	v_cmp_neq_f64_e32 vcc_lo, 0, v[7:8]
	s_mov_b32 s76, 0xdd17e945
	s_mov_b32 s77, 0x3f00bfec
	s_delay_alu instid0(VALU_DEP_2) | instskip(NEXT) | instid1(VALU_DEP_4)
	v_add_f64 v[23:24], v[23:24], -1.0
	v_fma_f64 v[27:28], v[25:26], v[27:28], s[74:75]
	s_mov_b32 s74, 0x98cf38b6
	s_mov_b32 s75, 0x3f4a019f
	s_delay_alu instid0(VALU_DEP_2) | instskip(NEXT) | instid1(VALU_DEP_3)
	v_cndmask_b32_e32 v24, 0xfff00000, v24, vcc_lo
	v_cndmask_b32_e32 v23, 0, v23, vcc_lo
	s_delay_alu instid0(VALU_DEP_3)
	v_fma_f64 v[27:28], v[25:26], v[27:28], s[74:75]
	s_mov_b32 s74, 0x16b02e5c
	s_mov_b32 s75, 0xbf66c16c
	s_delay_alu instid0(VALU_DEP_1) | instid1(SALU_CYCLE_1)
	v_fma_f64 v[27:28], v[25:26], v[27:28], s[74:75]
	s_mov_b32 s74, 0x5555553b
	s_mov_b32 s75, 0x3fb55555
	s_delay_alu instid0(VALU_DEP_1) | instid1(SALU_CYCLE_1)
	;; [unrolled: 4-line block ×3, first 2 shown]
	v_fma_f64 v[21:22], v[21:22], v[25:26], s[74:75]
	v_add_f64 v[25:26], |v[7:8]|, -0.5
	s_mov_b32 s74, 0x7368f239
	s_mov_b32 s75, 0x3f5e26b6
	s_delay_alu instid0(VALU_DEP_1)
	v_fma_f64 v[21:22], v[25:26], v[23:24], v[21:22]
.LBB8_228:                              ;   in Loop: Header=BB8_145 Depth=1
	s_or_b32 exec_lo, exec_lo, s4
.LBB8_229:                              ;   in Loop: Header=BB8_145 Depth=1
	s_and_not1_saveexec_b32 s73, s5
	s_cbranch_execz .LBB8_231
; %bb.230:                              ;   in Loop: Header=BB8_145 Depth=1
	v_cvt_i32_f64_e32 v2, v[19:20]
	s_mov_b32 s4, 0xca41a95b
	s_mov_b32 s78, 0xa5b38140
	s_mov_b32 s5, 0x3f497dda
	s_mov_b32 s79, 0x3edebaf7
	s_mov_b32 s6, s60
	s_mov_b32 s15, s71
	s_delay_alu instid0(VALU_DEP_1) | instskip(NEXT) | instid1(VALU_DEP_1)
	v_cvt_f64_i32_e32 v[21:22], v2
	v_add_f64 v[21:22], |v[7:8]|, -v[21:22]
	s_delay_alu instid0(VALU_DEP_1)
	v_fma_f64 v[23:24], v[21:22], s[76:77], s[74:75]
	v_fma_f64 v[25:26], v[21:22], s[78:79], s[4:5]
	s_mov_b32 s4, 0x7e939961
	s_mov_b32 s5, 0x3f9b481c
	s_delay_alu instid0(VALU_DEP_2) | instid1(SALU_CYCLE_1)
	v_fma_f64 v[23:24], v[21:22], v[23:24], s[4:5]
	s_mov_b32 s4, 0x742ed475
	s_mov_b32 s5, 0x3f9317ea
	s_delay_alu instid0(VALU_DEP_2) | instid1(SALU_CYCLE_1)
	;; [unrolled: 4-line block ×8, first 2 shown]
	v_fma_f64 v[25:26], v[21:22], v[25:26], s[4:5]
	s_delay_alu instid0(VALU_DEP_2) | instskip(NEXT) | instid1(VALU_DEP_2)
	v_fma_f64 v[23:24], v[21:22], v[23:24], s[6:7]
	v_fma_f64 v[25:26], v[21:22], v[25:26], 1.0
	s_delay_alu instid0(VALU_DEP_2) | instskip(NEXT) | instid1(VALU_DEP_1)
	v_mul_f64 v[23:24], v[21:22], v[23:24]
	v_div_scale_f64 v[27:28], null, v[25:26], v[25:26], v[23:24]
	s_delay_alu instid0(VALU_DEP_1) | instskip(SKIP_2) | instid1(VALU_DEP_1)
	v_rcp_f64_e32 v[29:30], v[27:28]
	s_waitcnt_depctr 0xfff
	v_fma_f64 v[53:54], -v[27:28], v[29:30], 1.0
	v_fma_f64 v[29:30], v[29:30], v[53:54], v[29:30]
	s_delay_alu instid0(VALU_DEP_1) | instskip(NEXT) | instid1(VALU_DEP_1)
	v_fma_f64 v[53:54], -v[27:28], v[29:30], 1.0
	v_fma_f64 v[29:30], v[29:30], v[53:54], v[29:30]
	v_div_scale_f64 v[53:54], vcc_lo, v[23:24], v[25:26], v[23:24]
	s_delay_alu instid0(VALU_DEP_1) | instskip(NEXT) | instid1(VALU_DEP_1)
	v_mul_f64 v[55:56], v[53:54], v[29:30]
	v_fma_f64 v[27:28], -v[27:28], v[55:56], v[53:54]
	s_delay_alu instid0(VALU_DEP_1) | instskip(SKIP_1) | instid1(VALU_DEP_2)
	v_div_fmas_f64 v[27:28], v[27:28], v[29:30], v[55:56]
	v_cmp_lt_i32_e32 vcc_lo, 2, v2
	v_div_fixup_f64 v[23:24], v[27:28], v[25:26], v[23:24]
	v_add_f64 v[25:26], v[21:22], 2.0
	v_add_f64 v[27:28], 0x40080000, v[21:22]
	s_delay_alu instid0(VALU_DEP_2) | instskip(NEXT) | instid1(VALU_DEP_3)
	v_cndmask_b32_e32 v26, 0x3ff00000, v26, vcc_lo
	v_cndmask_b32_e32 v25, 0, v25, vcc_lo
	v_cmp_lt_i32_e32 vcc_lo, 3, v2
	s_delay_alu instid0(VALU_DEP_4) | instskip(SKIP_2) | instid1(VALU_DEP_2)
	v_cndmask_b32_e32 v28, 0x3ff00000, v28, vcc_lo
	v_cndmask_b32_e32 v27, 0, v27, vcc_lo
	v_cmp_lt_i32_e32 vcc_lo, 4, v2
	v_mul_f64 v[25:26], v[25:26], v[27:28]
	v_add_f64 v[27:28], v[21:22], 4.0
	s_delay_alu instid0(VALU_DEP_1) | instskip(NEXT) | instid1(VALU_DEP_2)
	v_cndmask_b32_e32 v28, 0x3ff00000, v28, vcc_lo
	v_cndmask_b32_e32 v27, 0, v27, vcc_lo
	v_cmp_lt_i32_e32 vcc_lo, 5, v2
	s_delay_alu instid0(VALU_DEP_2) | instskip(SKIP_1) | instid1(VALU_DEP_1)
	v_mul_f64 v[25:26], v[27:28], v[25:26]
	v_add_f64 v[27:28], 0x40140000, v[21:22]
	v_cndmask_b32_e32 v28, 0x3ff00000, v28, vcc_lo
	s_delay_alu instid0(VALU_DEP_2) | instskip(SKIP_1) | instid1(VALU_DEP_2)
	v_cndmask_b32_e32 v27, 0, v27, vcc_lo
	v_cmp_lt_i32_e32 vcc_lo, 6, v2
	v_mul_f64 v[25:26], v[27:28], v[25:26]
	v_add_f64 v[27:28], 0x40180000, v[21:22]
	v_fma_f64 v[21:22], v[21:22], 0.5, v[23:24]
	s_delay_alu instid0(VALU_DEP_2) | instskip(NEXT) | instid1(VALU_DEP_3)
	v_cndmask_b32_e32 v28, 0x3ff00000, v28, vcc_lo
	v_cndmask_b32_e32 v27, 0, v27, vcc_lo
	s_delay_alu instid0(VALU_DEP_1) | instskip(NEXT) | instid1(VALU_DEP_1)
	v_mul_f64 v[25:26], v[27:28], v[25:26]
	v_frexp_mant_f64_e32 v[27:28], v[25:26]
	v_cmp_ngt_f64_e64 s4, 0, v[25:26]
	v_cmp_nge_f64_e64 s5, 0, v[25:26]
	v_cmp_neq_f64_e64 s6, 0, v[25:26]
	s_delay_alu instid0(VALU_DEP_4) | instskip(SKIP_1) | instid1(VALU_DEP_1)
	v_cmp_gt_f64_e32 vcc_lo, s[70:71], v[27:28]
	v_cndmask_b32_e64 v2, 0x3ff00000, 2.0, vcc_lo
	v_mul_f64 v[27:28], v[27:28], v[1:2]
	v_frexp_exp_i32_f64_e32 v2, v[25:26]
	s_delay_alu instid0(VALU_DEP_2) | instskip(NEXT) | instid1(VALU_DEP_2)
	v_add_f64 v[29:30], v[27:28], 1.0
	v_subrev_co_ci_u32_e32 v2, vcc_lo, 0, v2, vcc_lo
	v_cmp_class_f64_e64 vcc_lo, v[25:26], 0x204
	s_delay_alu instid0(VALU_DEP_3) | instskip(SKIP_2) | instid1(VALU_DEP_1)
	v_rcp_f64_e32 v[53:54], v[29:30]
	s_waitcnt_depctr 0xfff
	v_fma_f64 v[55:56], -v[29:30], v[53:54], 1.0
	v_fma_f64 v[53:54], v[55:56], v[53:54], v[53:54]
	s_delay_alu instid0(VALU_DEP_1) | instskip(NEXT) | instid1(VALU_DEP_1)
	v_fma_f64 v[55:56], -v[29:30], v[53:54], 1.0
	v_fma_f64 v[53:54], v[55:56], v[53:54], v[53:54]
	v_add_f64 v[55:56], v[29:30], -1.0
	s_delay_alu instid0(VALU_DEP_1) | instskip(SKIP_1) | instid1(VALU_DEP_1)
	v_add_f64 v[55:56], v[27:28], -v[55:56]
	v_add_f64 v[27:28], v[27:28], -1.0
	v_mul_f64 v[57:58], v[27:28], v[53:54]
	s_delay_alu instid0(VALU_DEP_1) | instskip(NEXT) | instid1(VALU_DEP_1)
	v_mul_f64 v[59:60], v[29:30], v[57:58]
	v_fma_f64 v[29:30], v[57:58], v[29:30], -v[59:60]
	s_delay_alu instid0(VALU_DEP_1) | instskip(NEXT) | instid1(VALU_DEP_1)
	v_fma_f64 v[29:30], v[57:58], v[55:56], v[29:30]
	v_add_f64 v[55:56], v[59:60], v[29:30]
	s_delay_alu instid0(VALU_DEP_1) | instskip(NEXT) | instid1(VALU_DEP_1)
	v_add_f64 v[59:60], v[55:56], -v[59:60]
	v_add_f64 v[29:30], v[59:60], -v[29:30]
	;; [unrolled: 1-line block ×3, first 2 shown]
	s_delay_alu instid0(VALU_DEP_1) | instskip(NEXT) | instid1(VALU_DEP_1)
	v_add_f64 v[27:28], v[27:28], -v[59:60]
	v_add_f64 v[27:28], v[27:28], -v[55:56]
	s_delay_alu instid0(VALU_DEP_1) | instskip(SKIP_1) | instid1(VALU_DEP_2)
	v_add_f64 v[27:28], v[29:30], v[27:28]
	v_cvt_f64_i32_e32 v[29:30], v2
	v_add_f64 v[27:28], v[59:60], v[27:28]
	s_delay_alu instid0(VALU_DEP_1) | instskip(NEXT) | instid1(VALU_DEP_3)
	v_mul_f64 v[27:28], v[53:54], v[27:28]
	v_mul_f64 v[53:54], v[29:30], s[28:29]
	s_delay_alu instid0(VALU_DEP_1) | instskip(NEXT) | instid1(VALU_DEP_1)
	v_fma_f64 v[55:56], v[29:30], s[28:29], -v[53:54]
	v_fma_f64 v[29:30], v[29:30], s[30:31], v[55:56]
	s_delay_alu instid0(VALU_DEP_4) | instskip(NEXT) | instid1(VALU_DEP_1)
	v_add_f64 v[55:56], v[57:58], v[27:28]
	v_add_f64 v[57:58], v[55:56], -v[57:58]
	s_delay_alu instid0(VALU_DEP_1) | instskip(SKIP_1) | instid1(VALU_DEP_2)
	v_add_f64 v[27:28], v[27:28], -v[57:58]
	v_mul_f64 v[57:58], v[55:56], v[55:56]
	v_ldexp_f64 v[27:28], v[27:28], 1
	s_delay_alu instid0(VALU_DEP_2) | instskip(NEXT) | instid1(VALU_DEP_1)
	v_fma_f64 v[59:60], v[57:58], s[18:19], s[16:17]
	v_fma_f64 v[59:60], v[57:58], v[59:60], s[20:21]
	s_delay_alu instid0(VALU_DEP_1) | instskip(NEXT) | instid1(VALU_DEP_1)
	v_fma_f64 v[59:60], v[57:58], v[59:60], s[22:23]
	v_fma_f64 v[59:60], v[57:58], v[59:60], s[24:25]
	s_delay_alu instid0(VALU_DEP_1) | instskip(NEXT) | instid1(VALU_DEP_1)
	v_fma_f64 v[59:60], v[57:58], v[59:60], s[26:27]
	v_fma_f64 v[59:60], v[57:58], v[59:60], s[14:15]
	v_mul_f64 v[57:58], v[55:56], v[57:58]
	v_ldexp_f64 v[55:56], v[55:56], 1
	s_delay_alu instid0(VALU_DEP_2) | instskip(NEXT) | instid1(VALU_DEP_1)
	v_mul_f64 v[57:58], v[57:58], v[59:60]
	v_add_f64 v[59:60], v[55:56], v[57:58]
	s_delay_alu instid0(VALU_DEP_1) | instskip(NEXT) | instid1(VALU_DEP_1)
	v_add_f64 v[55:56], v[59:60], -v[55:56]
	v_add_f64 v[55:56], v[57:58], -v[55:56]
	s_delay_alu instid0(VALU_DEP_1) | instskip(SKIP_1) | instid1(VALU_DEP_1)
	v_add_f64 v[27:28], v[27:28], v[55:56]
	v_add_f64 v[55:56], v[53:54], v[29:30]
	v_add_f64 v[53:54], v[55:56], -v[53:54]
	s_delay_alu instid0(VALU_DEP_1) | instskip(NEXT) | instid1(VALU_DEP_4)
	v_add_f64 v[29:30], v[29:30], -v[53:54]
	v_add_f64 v[53:54], v[59:60], v[27:28]
	s_delay_alu instid0(VALU_DEP_1) | instskip(SKIP_1) | instid1(VALU_DEP_2)
	v_add_f64 v[57:58], v[53:54], -v[59:60]
	v_add_f64 v[59:60], v[55:56], v[53:54]
	v_add_f64 v[27:28], v[27:28], -v[57:58]
	s_delay_alu instid0(VALU_DEP_2) | instskip(NEXT) | instid1(VALU_DEP_1)
	v_add_f64 v[61:62], v[59:60], -v[55:56]
	v_add_f64 v[53:54], v[53:54], -v[61:62]
	;; [unrolled: 1-line block ×3, first 2 shown]
	s_delay_alu instid0(VALU_DEP_1) | instskip(NEXT) | instid1(VALU_DEP_1)
	v_add_f64 v[55:56], v[55:56], -v[61:62]
	v_add_f64 v[53:54], v[53:54], v[55:56]
	v_add_f64 v[55:56], v[29:30], v[27:28]
	s_delay_alu instid0(VALU_DEP_1) | instskip(NEXT) | instid1(VALU_DEP_3)
	v_add_f64 v[57:58], v[55:56], -v[29:30]
	v_add_f64 v[53:54], v[55:56], v[53:54]
	s_delay_alu instid0(VALU_DEP_2) | instskip(SKIP_1) | instid1(VALU_DEP_1)
	v_add_f64 v[27:28], v[27:28], -v[57:58]
	v_add_f64 v[57:58], v[55:56], -v[57:58]
	;; [unrolled: 1-line block ×3, first 2 shown]
	s_delay_alu instid0(VALU_DEP_1) | instskip(SKIP_1) | instid1(VALU_DEP_1)
	v_add_f64 v[27:28], v[27:28], v[29:30]
	v_add_f64 v[29:30], v[59:60], v[53:54]
	v_add_f64 v[55:56], v[29:30], -v[59:60]
	s_delay_alu instid0(VALU_DEP_1) | instskip(NEXT) | instid1(VALU_DEP_1)
	v_add_f64 v[53:54], v[53:54], -v[55:56]
	v_add_f64 v[27:28], v[27:28], v[53:54]
	s_delay_alu instid0(VALU_DEP_1) | instskip(NEXT) | instid1(VALU_DEP_1)
	v_add_f64 v[23:24], v[29:30], v[27:28]
	v_dual_cndmask_b32 v2, v24, v26 :: v_dual_cndmask_b32 v11, v23, v25
	s_delay_alu instid0(VALU_DEP_1) | instskip(NEXT) | instid1(VALU_DEP_2)
	v_cndmask_b32_e64 v2, 0x7ff80000, v2, s4
	v_cndmask_b32_e64 v23, 0, v11, s5
	s_delay_alu instid0(VALU_DEP_2) | instskip(NEXT) | instid1(VALU_DEP_1)
	v_cndmask_b32_e64 v24, 0xfff00000, v2, s6
	v_add_f64 v[21:22], v[21:22], v[23:24]
.LBB8_231:                              ;   in Loop: Header=BB8_145 Depth=1
	s_or_b32 exec_lo, exec_lo, s73
.LBB8_232:                              ;   in Loop: Header=BB8_145 Depth=1
	s_and_not1_saveexec_b32 s72, s72
	s_cbranch_execz .LBB8_246
; %bb.233:                              ;   in Loop: Header=BB8_145 Depth=1
	s_mov_b32 s6, exec_lo
                                        ; implicit-def: $sgpr4_sgpr5
                                        ; implicit-def: $vgpr2
                                        ; implicit-def: $vgpr23_vgpr24
	v_cmpx_lt_u32_e32 0x3feccccc, v20
	s_xor_b32 s6, exec_lo, s6
	s_cbranch_execz .LBB8_235
; %bb.234:                              ;   in Loop: Header=BB8_145 Depth=1
	s_mov_b32 s4, 0x6356be3f
	s_mov_b32 s5, 0xbff762d8
	v_add_f64 v[21:22], -|v[7:8]|, 2.0
	v_add_f64 v[23:24], |v[7:8]|, s[4:5]
	v_add_f64 v[25:26], |v[7:8]|, -1.0
	v_cmp_gt_u32_e32 vcc_lo, 0x3ffbb4c3, v20
	v_cmp_gt_u32_e64 s4, 0x3ff3b4c4, v20
	v_cndmask_b32_e64 v15, 0, 1, vcc_lo
	v_dual_cndmask_b32 v2, v22, v24 :: v_dual_cndmask_b32 v11, v21, v23
	s_delay_alu instid0(VALU_DEP_1) | instskip(NEXT) | instid1(VALU_DEP_2)
	v_cndmask_b32_e64 v24, v2, v26, s4
	v_cndmask_b32_e64 v23, v11, v25, s4
	s_delay_alu instid0(VALU_DEP_4)
	v_cndmask_b32_e64 v2, v15, 2, s4
	s_mov_b64 s[4:5], 0
.LBB8_235:                              ;   in Loop: Header=BB8_145 Depth=1
	s_or_saveexec_b32 s73, s6
	v_dual_mov_b32 v22, s5 :: v_dual_mov_b32 v21, s4
	s_xor_b32 exec_lo, exec_lo, s73
	s_cbranch_execz .LBB8_237
; %bb.236:                              ;   in Loop: Header=BB8_145 Depth=1
	v_frexp_mant_f64_e64 v[21:22], |v[7:8]|
	s_mov_b32 s15, s71
	s_mov_b32 s4, 0x8d5af8fc
	;; [unrolled: 1-line block ×3, first 2 shown]
	v_cmp_gt_u32_e64 s6, 0x3fcda661, v20
	s_delay_alu instid0(VALU_DEP_2) | instskip(SKIP_1) | instid1(VALU_DEP_1)
	v_cmp_gt_f64_e32 vcc_lo, s[70:71], v[21:22]
	v_cndmask_b32_e64 v2, 0x3ff00000, 2.0, vcc_lo
	v_mul_f64 v[21:22], v[21:22], v[1:2]
	v_frexp_exp_i32_f64_e32 v2, v[7:8]
	s_delay_alu instid0(VALU_DEP_2) | instskip(NEXT) | instid1(VALU_DEP_2)
	v_add_f64 v[23:24], v[21:22], 1.0
	v_subrev_co_ci_u32_e32 v2, vcc_lo, 0, v2, vcc_lo
	v_cmp_class_f64_e64 vcc_lo, v[7:8], 0x204
	s_delay_alu instid0(VALU_DEP_3) | instskip(SKIP_2) | instid1(VALU_DEP_1)
	v_rcp_f64_e32 v[25:26], v[23:24]
	s_waitcnt_depctr 0xfff
	v_fma_f64 v[27:28], -v[23:24], v[25:26], 1.0
	v_fma_f64 v[25:26], v[27:28], v[25:26], v[25:26]
	s_delay_alu instid0(VALU_DEP_1) | instskip(NEXT) | instid1(VALU_DEP_1)
	v_fma_f64 v[27:28], -v[23:24], v[25:26], 1.0
	v_fma_f64 v[25:26], v[27:28], v[25:26], v[25:26]
	v_add_f64 v[27:28], v[23:24], -1.0
	s_delay_alu instid0(VALU_DEP_1) | instskip(SKIP_1) | instid1(VALU_DEP_1)
	v_add_f64 v[27:28], v[21:22], -v[27:28]
	v_add_f64 v[21:22], v[21:22], -1.0
	v_mul_f64 v[29:30], v[21:22], v[25:26]
	s_delay_alu instid0(VALU_DEP_1) | instskip(NEXT) | instid1(VALU_DEP_1)
	v_mul_f64 v[53:54], v[23:24], v[29:30]
	v_fma_f64 v[23:24], v[29:30], v[23:24], -v[53:54]
	s_delay_alu instid0(VALU_DEP_1) | instskip(NEXT) | instid1(VALU_DEP_1)
	v_fma_f64 v[23:24], v[29:30], v[27:28], v[23:24]
	v_add_f64 v[27:28], v[53:54], v[23:24]
	s_delay_alu instid0(VALU_DEP_1) | instskip(NEXT) | instid1(VALU_DEP_1)
	v_add_f64 v[53:54], v[27:28], -v[53:54]
	v_add_f64 v[23:24], v[53:54], -v[23:24]
	v_add_f64 v[53:54], v[21:22], -v[27:28]
	s_delay_alu instid0(VALU_DEP_1) | instskip(NEXT) | instid1(VALU_DEP_1)
	v_add_f64 v[21:22], v[21:22], -v[53:54]
	v_add_f64 v[21:22], v[21:22], -v[27:28]
	s_delay_alu instid0(VALU_DEP_1) | instskip(SKIP_1) | instid1(VALU_DEP_2)
	v_add_f64 v[21:22], v[23:24], v[21:22]
	v_cvt_f64_i32_e32 v[23:24], v2
	v_add_f64 v[21:22], v[53:54], v[21:22]
	s_delay_alu instid0(VALU_DEP_1) | instskip(NEXT) | instid1(VALU_DEP_3)
	v_mul_f64 v[21:22], v[25:26], v[21:22]
	v_mul_f64 v[25:26], v[23:24], s[28:29]
	s_delay_alu instid0(VALU_DEP_1) | instskip(NEXT) | instid1(VALU_DEP_1)
	v_fma_f64 v[27:28], v[23:24], s[28:29], -v[25:26]
	v_fma_f64 v[23:24], v[23:24], s[30:31], v[27:28]
	s_delay_alu instid0(VALU_DEP_4) | instskip(NEXT) | instid1(VALU_DEP_1)
	v_add_f64 v[27:28], v[29:30], v[21:22]
	v_add_f64 v[29:30], v[27:28], -v[29:30]
	s_delay_alu instid0(VALU_DEP_1) | instskip(SKIP_1) | instid1(VALU_DEP_2)
	v_add_f64 v[21:22], v[21:22], -v[29:30]
	v_mul_f64 v[29:30], v[27:28], v[27:28]
	v_ldexp_f64 v[21:22], v[21:22], 1
	s_delay_alu instid0(VALU_DEP_2) | instskip(NEXT) | instid1(VALU_DEP_1)
	v_fma_f64 v[53:54], v[29:30], s[18:19], s[16:17]
	v_fma_f64 v[53:54], v[29:30], v[53:54], s[20:21]
	s_delay_alu instid0(VALU_DEP_1) | instskip(NEXT) | instid1(VALU_DEP_1)
	v_fma_f64 v[53:54], v[29:30], v[53:54], s[22:23]
	v_fma_f64 v[53:54], v[29:30], v[53:54], s[24:25]
	s_delay_alu instid0(VALU_DEP_1) | instskip(NEXT) | instid1(VALU_DEP_1)
	v_fma_f64 v[53:54], v[29:30], v[53:54], s[26:27]
	v_fma_f64 v[53:54], v[29:30], v[53:54], s[14:15]
	v_mul_f64 v[29:30], v[27:28], v[29:30]
	v_ldexp_f64 v[27:28], v[27:28], 1
	s_delay_alu instid0(VALU_DEP_2) | instskip(NEXT) | instid1(VALU_DEP_1)
	v_mul_f64 v[29:30], v[29:30], v[53:54]
	v_add_f64 v[53:54], v[27:28], v[29:30]
	s_delay_alu instid0(VALU_DEP_1) | instskip(NEXT) | instid1(VALU_DEP_1)
	v_add_f64 v[27:28], v[53:54], -v[27:28]
	v_add_f64 v[27:28], v[29:30], -v[27:28]
	s_delay_alu instid0(VALU_DEP_1) | instskip(SKIP_1) | instid1(VALU_DEP_1)
	v_add_f64 v[21:22], v[21:22], v[27:28]
	v_add_f64 v[27:28], v[25:26], v[23:24]
	v_add_f64 v[25:26], v[27:28], -v[25:26]
	s_delay_alu instid0(VALU_DEP_1) | instskip(NEXT) | instid1(VALU_DEP_4)
	v_add_f64 v[23:24], v[23:24], -v[25:26]
	v_add_f64 v[25:26], v[53:54], v[21:22]
	s_delay_alu instid0(VALU_DEP_1) | instskip(SKIP_1) | instid1(VALU_DEP_2)
	v_add_f64 v[29:30], v[25:26], -v[53:54]
	v_add_f64 v[53:54], v[27:28], v[25:26]
	v_add_f64 v[21:22], v[21:22], -v[29:30]
	s_delay_alu instid0(VALU_DEP_2) | instskip(NEXT) | instid1(VALU_DEP_1)
	v_add_f64 v[55:56], v[53:54], -v[27:28]
	v_add_f64 v[25:26], v[25:26], -v[55:56]
	;; [unrolled: 1-line block ×3, first 2 shown]
	s_delay_alu instid0(VALU_DEP_1) | instskip(NEXT) | instid1(VALU_DEP_1)
	v_add_f64 v[27:28], v[27:28], -v[55:56]
	v_add_f64 v[25:26], v[25:26], v[27:28]
	v_add_f64 v[27:28], v[23:24], v[21:22]
	s_delay_alu instid0(VALU_DEP_1) | instskip(NEXT) | instid1(VALU_DEP_3)
	v_add_f64 v[29:30], v[27:28], -v[23:24]
	v_add_f64 v[25:26], v[27:28], v[25:26]
	s_delay_alu instid0(VALU_DEP_2) | instskip(SKIP_1) | instid1(VALU_DEP_1)
	v_add_f64 v[21:22], v[21:22], -v[29:30]
	v_add_f64 v[29:30], v[27:28], -v[29:30]
	;; [unrolled: 1-line block ×3, first 2 shown]
	s_delay_alu instid0(VALU_DEP_1) | instskip(SKIP_1) | instid1(VALU_DEP_1)
	v_add_f64 v[21:22], v[21:22], v[23:24]
	v_add_f64 v[23:24], v[53:54], v[25:26]
	v_add_f64 v[27:28], v[23:24], -v[53:54]
	s_delay_alu instid0(VALU_DEP_1) | instskip(NEXT) | instid1(VALU_DEP_1)
	v_add_f64 v[25:26], v[25:26], -v[27:28]
	v_add_f64 v[21:22], v[21:22], v[25:26]
	v_add_f64 v[25:26], -|v[7:8]|, 1.0
	s_delay_alu instid0(VALU_DEP_2) | instskip(SKIP_3) | instid1(VALU_DEP_4)
	v_add_f64 v[21:22], v[23:24], v[21:22]
	v_add_f64 v[23:24], |v[7:8]|, s[4:5]
	v_cmp_neq_f64_e64 s4, 0, v[7:8]
	v_cmp_gt_u32_e64 s5, 0x3fe76944, v20
	v_cndmask_b32_e64 v15, -v22, -v20, vcc_lo
	s_delay_alu instid0(VALU_DEP_2)
	v_cndmask_b32_e64 v2, v26, v24, s5
	v_cndmask_b32_e64 v11, v25, v23, s5
	v_cndmask_b32_e32 v19, v21, v7, vcc_lo
	v_cndmask_b32_e64 v25, 0, 1, s5
	v_cndmask_b32_e64 v22, 0x7ff00000, v15, s4
	;; [unrolled: 1-line block ×6, first 2 shown]
.LBB8_237:                              ;   in Loop: Header=BB8_145 Depth=1
	s_or_b32 exec_lo, exec_lo, s73
	s_delay_alu instid0(SALU_CYCLE_1) | instskip(NEXT) | instid1(VALU_DEP_1)
	s_mov_b32 s4, exec_lo
                                        ; implicit-def: $vgpr25_vgpr26
	v_cmpx_lt_i32_e32 1, v2
	s_xor_b32 s4, exec_lo, s4
	s_cbranch_execz .LBB8_239
; %bb.238:                              ;   in Loop: Header=BB8_145 Depth=1
	s_mov_b32 s78, 0xf6010924
	s_mov_b32 s79, 0x3fcd4eae
	v_fma_f64 v[27:28], v[23:24], s[90:91], s[88:89]
	v_fma_f64 v[25:26], v[23:24], s[80:81], s[78:79]
	s_mov_b32 s6, s60
                                        ; implicit-def: $vgpr2
	s_delay_alu instid0(VALU_DEP_2) | instskip(NEXT) | instid1(VALU_DEP_2)
	v_fma_f64 v[27:28], v[23:24], v[27:28], s[92:93]
	v_fma_f64 v[25:26], v[23:24], v[25:26], s[82:83]
	s_delay_alu instid0(VALU_DEP_2) | instskip(NEXT) | instid1(VALU_DEP_2)
	v_fma_f64 v[27:28], v[23:24], v[27:28], s[94:95]
	v_fma_f64 v[25:26], v[23:24], v[25:26], s[84:85]
	;; [unrolled: 3-line block ×3, first 2 shown]
	s_delay_alu instid0(VALU_DEP_2) | instskip(NEXT) | instid1(VALU_DEP_2)
	v_fma_f64 v[27:28], v[23:24], v[27:28], 1.0
	v_fma_f64 v[25:26], v[23:24], v[25:26], s[6:7]
	s_delay_alu instid0(VALU_DEP_1) | instskip(NEXT) | instid1(VALU_DEP_1)
	v_mul_f64 v[25:26], v[23:24], v[25:26]
	v_div_scale_f64 v[29:30], null, v[27:28], v[27:28], v[25:26]
	s_delay_alu instid0(VALU_DEP_1) | instskip(SKIP_2) | instid1(VALU_DEP_1)
	v_rcp_f64_e32 v[53:54], v[29:30]
	s_waitcnt_depctr 0xfff
	v_fma_f64 v[55:56], -v[29:30], v[53:54], 1.0
	v_fma_f64 v[53:54], v[53:54], v[55:56], v[53:54]
	s_delay_alu instid0(VALU_DEP_1) | instskip(NEXT) | instid1(VALU_DEP_1)
	v_fma_f64 v[55:56], -v[29:30], v[53:54], 1.0
	v_fma_f64 v[53:54], v[53:54], v[55:56], v[53:54]
	v_div_scale_f64 v[55:56], vcc_lo, v[25:26], v[27:28], v[25:26]
	s_delay_alu instid0(VALU_DEP_1) | instskip(NEXT) | instid1(VALU_DEP_1)
	v_mul_f64 v[57:58], v[55:56], v[53:54]
	v_fma_f64 v[29:30], -v[29:30], v[57:58], v[55:56]
	s_delay_alu instid0(VALU_DEP_1) | instskip(NEXT) | instid1(VALU_DEP_1)
	v_div_fmas_f64 v[29:30], v[29:30], v[53:54], v[57:58]
	v_div_fixup_f64 v[25:26], v[29:30], v[27:28], v[25:26]
	s_delay_alu instid0(VALU_DEP_1)
	v_fma_f64 v[25:26], v[23:24], -0.5, v[25:26]
                                        ; implicit-def: $vgpr23_vgpr24
.LBB8_239:                              ;   in Loop: Header=BB8_145 Depth=1
	s_and_not1_saveexec_b32 s4, s4
	s_cbranch_execz .LBB8_245
; %bb.240:                              ;   in Loop: Header=BB8_145 Depth=1
	s_mov_b32 s5, exec_lo
                                        ; implicit-def: $vgpr25_vgpr26
	v_cmpx_ne_u32_e32 1, v2
	s_xor_b32 s5, exec_lo, s5
	s_cbranch_execz .LBB8_242
; %bb.241:                              ;   in Loop: Header=BB8_145 Depth=1
	v_mul_f64 v[25:26], v[23:24], v[23:24]
	s_mov_b32 s78, 0x987dfb07
	s_mov_b32 s80, 0x90a45837
	;; [unrolled: 1-line block ×4, first 2 shown]
	s_delay_alu instid0(VALU_DEP_1) | instid1(SALU_CYCLE_1)
	v_fma_f64 v[27:28], v[25:26], s[80:81], s[78:79]
	s_mov_b32 s78, 0xed10e54d
	s_mov_b32 s80, 0x428cfa52
	;; [unrolled: 1-line block ×4, first 2 shown]
	s_delay_alu instid0(SALU_CYCLE_1) | instskip(SKIP_4) | instid1(VALU_DEP_2)
	v_fma_f64 v[29:30], v[25:26], s[80:81], s[78:79]
	s_mov_b32 s78, 0x89b99c00
	s_mov_b32 s79, 0x3f40b6c6
	;; [unrolled: 1-line block ×4, first 2 shown]
	v_fma_f64 v[27:28], v[25:26], v[27:28], s[78:79]
	s_mov_b32 s78, 0x116f3f5d
	s_mov_b32 s79, 0x3f538a94
	s_delay_alu instid0(VALU_DEP_2) | instid1(SALU_CYCLE_1)
	v_fma_f64 v[29:30], v[25:26], v[29:30], s[78:79]
	s_mov_b32 s78, 0xccb7926b
	s_mov_b32 s79, 0x3f67add8
	s_delay_alu instid0(VALU_DEP_2) | instid1(SALU_CYCLE_1)
	;; [unrolled: 4-line block ×6, first 2 shown]
	v_fma_f64 v[27:28], v[25:26], v[27:28], s[78:79]
	s_delay_alu instid0(VALU_DEP_2) | instskip(NEXT) | instid1(VALU_DEP_2)
	v_fma_f64 v[29:30], v[25:26], v[29:30], s[60:61]
	v_mul_f64 v[25:26], v[25:26], v[27:28]
	s_delay_alu instid0(VALU_DEP_1) | instskip(NEXT) | instid1(VALU_DEP_1)
	v_fma_f64 v[25:26], v[23:24], v[29:30], v[25:26]
	v_fma_f64 v[25:26], v[23:24], -0.5, v[25:26]
                                        ; implicit-def: $vgpr23_vgpr24
.LBB8_242:                              ;   in Loop: Header=BB8_145 Depth=1
	s_and_not1_saveexec_b32 s5, s5
	s_cbranch_execz .LBB8_244
; %bb.243:                              ;   in Loop: Header=BB8_145 Depth=1
	v_mul_f64 v[25:26], v[23:24], v[23:24]
	s_mov_b32 s78, 0xef61a8e9
	s_mov_b32 s82, 0xecc38c38
	;; [unrolled: 1-line block ×4, first 2 shown]
	s_delay_alu instid0(VALU_DEP_1) | instskip(NEXT) | instid1(VALU_DEP_1)
	v_mul_f64 v[27:28], v[23:24], v[25:26]
	v_fma_f64 v[29:30], v[27:28], s[82:83], s[78:79]
	s_mov_b32 s78, 0x9c73e0ec
	s_mov_b32 s82, 0xe8c2d3f4
	;; [unrolled: 1-line block ×4, first 2 shown]
	s_delay_alu instid0(SALU_CYCLE_1) | instskip(SKIP_4) | instid1(VALU_DEP_2)
	v_fma_f64 v[53:54], v[27:28], s[82:83], s[78:79]
	s_mov_b32 s78, 0xb3e914d7
	s_mov_b32 s79, 0xbf6e2eff
	;; [unrolled: 1-line block ×4, first 2 shown]
	v_fma_f64 v[29:30], v[27:28], v[29:30], s[78:79]
	s_mov_b32 s78, 0x2e15c915
	s_mov_b32 s79, 0x3f6282d3
	s_delay_alu instid0(VALU_DEP_2) | instid1(SALU_CYCLE_1)
	v_fma_f64 v[53:54], v[27:28], v[53:54], s[78:79]
	s_mov_b32 s78, 0xbf2d1af1
	s_mov_b32 s79, 0xbf56fe8e
	s_delay_alu instid0(SALU_CYCLE_1) | instskip(SKIP_4) | instid1(VALU_DEP_3)
	v_fma_f64 v[55:56], v[27:28], s[82:83], s[78:79]
	s_mov_b32 s78, 0x970af9ec
	s_mov_b32 s79, 0x3f9266e7
	;; [unrolled: 1-line block ×4, first 2 shown]
	v_fma_f64 v[29:30], v[27:28], v[29:30], s[78:79]
	s_mov_b32 s78, 0xba91ec6a
	s_mov_b32 s79, 0xbf851f9f
	s_delay_alu instid0(VALU_DEP_3) | instid1(SALU_CYCLE_1)
	v_fma_f64 v[53:54], v[27:28], v[53:54], s[78:79]
	s_mov_b32 s78, 0xe370e344
	s_mov_b32 s79, 0x3f78fce0
	s_delay_alu instid0(VALU_DEP_3) | instid1(SALU_CYCLE_1)
	;; [unrolled: 4-line block ×5, first 2 shown]
	v_fma_f64 v[55:56], v[27:28], v[55:56], s[78:79]
	s_mov_b32 s78, 0xc8ee38a2
	s_mov_b32 s79, 0x3fdef72b
	s_delay_alu instid0(VALU_DEP_2) | instskip(NEXT) | instid1(VALU_DEP_2)
	v_fma_f64 v[23:24], v[23:24], v[53:54], v[29:30]
	v_fma_f64 v[29:30], v[27:28], v[55:56], s[78:79]
	s_mov_b32 s78, 0xa48a971f
	s_mov_b32 s79, 0xbc50c7ca
	s_delay_alu instid0(VALU_DEP_2) | instid1(SALU_CYCLE_1)
	v_fma_f64 v[23:24], v[27:28], -v[23:24], s[78:79]
	s_mov_b32 s78, 0xbcc38a42
	s_mov_b32 s79, 0xbfbf19b9
	s_delay_alu instid0(VALU_DEP_1) | instskip(NEXT) | instid1(VALU_DEP_1)
	v_fma_f64 v[23:24], v[25:26], v[29:30], -v[23:24]
	v_add_f64 v[25:26], v[23:24], s[78:79]
.LBB8_244:                              ;   in Loop: Header=BB8_145 Depth=1
	s_or_b32 exec_lo, exec_lo, s5
.LBB8_245:                              ;   in Loop: Header=BB8_145 Depth=1
	s_delay_alu instid0(SALU_CYCLE_1) | instskip(NEXT) | instid1(VALU_DEP_1)
	s_or_b32 exec_lo, exec_lo, s4
	v_add_f64 v[21:22], v[21:22], v[25:26]
.LBB8_246:                              ;   in Loop: Header=BB8_145 Depth=1
	s_or_b32 exec_lo, exec_lo, s72
.LBB8_247:                              ;   in Loop: Header=BB8_145 Depth=1
	s_and_not1_saveexec_b32 s5, vcc_hi
	s_cbranch_execz .LBB8_249
; %bb.248:                              ;   in Loop: Header=BB8_145 Depth=1
	v_frexp_mant_f64_e64 v[21:22], |v[7:8]|
	s_mov_b32 s15, s71
	v_cmp_neq_f64_e64 s4, 0, v[7:8]
	s_delay_alu instid0(VALU_DEP_2) | instskip(SKIP_1) | instid1(VALU_DEP_1)
	v_cmp_gt_f64_e32 vcc_lo, s[70:71], v[21:22]
	v_cndmask_b32_e64 v2, 0x3ff00000, 2.0, vcc_lo
	v_mul_f64 v[21:22], v[21:22], v[1:2]
	v_frexp_exp_i32_f64_e32 v2, v[7:8]
	s_delay_alu instid0(VALU_DEP_2) | instskip(NEXT) | instid1(VALU_DEP_2)
	v_add_f64 v[23:24], v[21:22], 1.0
	v_subrev_co_ci_u32_e32 v2, vcc_lo, 0, v2, vcc_lo
	v_cmp_class_f64_e64 vcc_lo, v[7:8], 0x204
	s_delay_alu instid0(VALU_DEP_3) | instskip(SKIP_2) | instid1(VALU_DEP_1)
	v_rcp_f64_e32 v[25:26], v[23:24]
	s_waitcnt_depctr 0xfff
	v_fma_f64 v[27:28], -v[23:24], v[25:26], 1.0
	v_fma_f64 v[25:26], v[27:28], v[25:26], v[25:26]
	s_delay_alu instid0(VALU_DEP_1) | instskip(NEXT) | instid1(VALU_DEP_1)
	v_fma_f64 v[27:28], -v[23:24], v[25:26], 1.0
	v_fma_f64 v[25:26], v[27:28], v[25:26], v[25:26]
	v_add_f64 v[27:28], v[23:24], -1.0
	s_delay_alu instid0(VALU_DEP_1) | instskip(SKIP_1) | instid1(VALU_DEP_1)
	v_add_f64 v[27:28], v[21:22], -v[27:28]
	v_add_f64 v[21:22], v[21:22], -1.0
	v_mul_f64 v[29:30], v[21:22], v[25:26]
	s_delay_alu instid0(VALU_DEP_1) | instskip(NEXT) | instid1(VALU_DEP_1)
	v_mul_f64 v[53:54], v[23:24], v[29:30]
	v_fma_f64 v[23:24], v[29:30], v[23:24], -v[53:54]
	s_delay_alu instid0(VALU_DEP_1) | instskip(NEXT) | instid1(VALU_DEP_1)
	v_fma_f64 v[23:24], v[29:30], v[27:28], v[23:24]
	v_add_f64 v[27:28], v[53:54], v[23:24]
	s_delay_alu instid0(VALU_DEP_1) | instskip(NEXT) | instid1(VALU_DEP_1)
	v_add_f64 v[53:54], v[27:28], -v[53:54]
	v_add_f64 v[23:24], v[53:54], -v[23:24]
	;; [unrolled: 1-line block ×3, first 2 shown]
	s_delay_alu instid0(VALU_DEP_1) | instskip(NEXT) | instid1(VALU_DEP_1)
	v_add_f64 v[21:22], v[21:22], -v[53:54]
	v_add_f64 v[21:22], v[21:22], -v[27:28]
	s_delay_alu instid0(VALU_DEP_1) | instskip(SKIP_1) | instid1(VALU_DEP_2)
	v_add_f64 v[21:22], v[23:24], v[21:22]
	v_cvt_f64_i32_e32 v[23:24], v2
	v_add_f64 v[21:22], v[53:54], v[21:22]
	s_delay_alu instid0(VALU_DEP_1) | instskip(NEXT) | instid1(VALU_DEP_3)
	v_mul_f64 v[21:22], v[25:26], v[21:22]
	v_mul_f64 v[25:26], v[23:24], s[28:29]
	s_delay_alu instid0(VALU_DEP_1) | instskip(NEXT) | instid1(VALU_DEP_1)
	v_fma_f64 v[27:28], v[23:24], s[28:29], -v[25:26]
	v_fma_f64 v[23:24], v[23:24], s[30:31], v[27:28]
	s_delay_alu instid0(VALU_DEP_4) | instskip(NEXT) | instid1(VALU_DEP_1)
	v_add_f64 v[27:28], v[29:30], v[21:22]
	v_add_f64 v[29:30], v[27:28], -v[29:30]
	s_delay_alu instid0(VALU_DEP_1) | instskip(SKIP_1) | instid1(VALU_DEP_2)
	v_add_f64 v[21:22], v[21:22], -v[29:30]
	v_mul_f64 v[29:30], v[27:28], v[27:28]
	v_ldexp_f64 v[21:22], v[21:22], 1
	s_delay_alu instid0(VALU_DEP_2) | instskip(NEXT) | instid1(VALU_DEP_1)
	v_fma_f64 v[53:54], v[29:30], s[18:19], s[16:17]
	v_fma_f64 v[53:54], v[29:30], v[53:54], s[20:21]
	s_delay_alu instid0(VALU_DEP_1) | instskip(NEXT) | instid1(VALU_DEP_1)
	v_fma_f64 v[53:54], v[29:30], v[53:54], s[22:23]
	v_fma_f64 v[53:54], v[29:30], v[53:54], s[24:25]
	s_delay_alu instid0(VALU_DEP_1) | instskip(NEXT) | instid1(VALU_DEP_1)
	v_fma_f64 v[53:54], v[29:30], v[53:54], s[26:27]
	v_fma_f64 v[53:54], v[29:30], v[53:54], s[14:15]
	v_mul_f64 v[29:30], v[27:28], v[29:30]
	v_ldexp_f64 v[27:28], v[27:28], 1
	s_delay_alu instid0(VALU_DEP_2) | instskip(NEXT) | instid1(VALU_DEP_1)
	v_mul_f64 v[29:30], v[29:30], v[53:54]
	v_add_f64 v[53:54], v[27:28], v[29:30]
	s_delay_alu instid0(VALU_DEP_1) | instskip(NEXT) | instid1(VALU_DEP_1)
	v_add_f64 v[27:28], v[53:54], -v[27:28]
	v_add_f64 v[27:28], v[29:30], -v[27:28]
	s_delay_alu instid0(VALU_DEP_1) | instskip(SKIP_1) | instid1(VALU_DEP_1)
	v_add_f64 v[21:22], v[21:22], v[27:28]
	v_add_f64 v[27:28], v[25:26], v[23:24]
	v_add_f64 v[25:26], v[27:28], -v[25:26]
	s_delay_alu instid0(VALU_DEP_1) | instskip(NEXT) | instid1(VALU_DEP_4)
	v_add_f64 v[23:24], v[23:24], -v[25:26]
	v_add_f64 v[25:26], v[53:54], v[21:22]
	s_delay_alu instid0(VALU_DEP_1) | instskip(SKIP_1) | instid1(VALU_DEP_2)
	v_add_f64 v[29:30], v[25:26], -v[53:54]
	v_add_f64 v[53:54], v[27:28], v[25:26]
	v_add_f64 v[21:22], v[21:22], -v[29:30]
	s_delay_alu instid0(VALU_DEP_2) | instskip(NEXT) | instid1(VALU_DEP_1)
	v_add_f64 v[55:56], v[53:54], -v[27:28]
	v_add_f64 v[25:26], v[25:26], -v[55:56]
	;; [unrolled: 1-line block ×3, first 2 shown]
	s_delay_alu instid0(VALU_DEP_1) | instskip(NEXT) | instid1(VALU_DEP_1)
	v_add_f64 v[27:28], v[27:28], -v[55:56]
	v_add_f64 v[25:26], v[25:26], v[27:28]
	v_add_f64 v[27:28], v[23:24], v[21:22]
	s_delay_alu instid0(VALU_DEP_1) | instskip(NEXT) | instid1(VALU_DEP_3)
	v_add_f64 v[29:30], v[27:28], -v[23:24]
	v_add_f64 v[25:26], v[27:28], v[25:26]
	s_delay_alu instid0(VALU_DEP_2) | instskip(SKIP_1) | instid1(VALU_DEP_1)
	v_add_f64 v[21:22], v[21:22], -v[29:30]
	v_add_f64 v[29:30], v[27:28], -v[29:30]
	;; [unrolled: 1-line block ×3, first 2 shown]
	s_delay_alu instid0(VALU_DEP_1) | instskip(SKIP_1) | instid1(VALU_DEP_1)
	v_add_f64 v[21:22], v[21:22], v[23:24]
	v_add_f64 v[23:24], v[53:54], v[25:26]
	v_add_f64 v[27:28], v[23:24], -v[53:54]
	s_delay_alu instid0(VALU_DEP_1) | instskip(NEXT) | instid1(VALU_DEP_1)
	v_add_f64 v[25:26], v[25:26], -v[27:28]
	v_add_f64 v[21:22], v[21:22], v[25:26]
	v_fma_f64 v[25:26], |v[7:8]|, s[46:47], s[44:45]
	s_delay_alu instid0(VALU_DEP_2) | instskip(NEXT) | instid1(VALU_DEP_2)
	v_add_f64 v[21:22], v[23:24], v[21:22]
	v_fma_f64 v[25:26], |v[7:8]|, v[25:26], s[98:99]
	s_delay_alu instid0(VALU_DEP_2) | instskip(NEXT) | instid1(VALU_DEP_2)
	v_cndmask_b32_e64 v2, -v22, -v20, vcc_lo
	v_fma_f64 v[25:26], |v[7:8]|, v[25:26], s[100:101]
	s_delay_alu instid0(VALU_DEP_4) | instskip(NEXT) | instid1(VALU_DEP_3)
	v_cndmask_b32_e32 v11, v21, v7, vcc_lo
	v_cndmask_b32_e64 v22, 0x7ff00000, v2, s4
	s_delay_alu instid0(VALU_DEP_2) | instskip(NEXT) | instid1(VALU_DEP_4)
	v_cndmask_b32_e64 v21, 0, v11, s4
	v_fma_f64 v[23:24], |v[7:8]|, v[25:26], s[102:103]
	s_delay_alu instid0(VALU_DEP_1)
	v_fma_f64 v[21:22], |v[7:8]|, v[23:24], v[21:22]
.LBB8_249:                              ;   in Loop: Header=BB8_145 Depth=1
	s_or_b32 exec_lo, exec_lo, s5
	s_delay_alu instid0(SALU_CYCLE_1)
	s_mov_b32 s4, exec_lo
	v_cmpx_le_f64_e32 0, v[7:8]
	s_xor_b32 s5, exec_lo, s4
; %bb.250:                              ;   in Loop: Header=BB8_145 Depth=1
	v_cmp_eq_f64_e32 vcc_lo, 1.0, v[7:8]
	v_cmp_eq_f64_e64 s4, 2.0, v[7:8]
	s_delay_alu instid0(VALU_DEP_1)
	s_or_b32 s4, vcc_lo, s4
	s_delay_alu instid0(VALU_DEP_4) | instid1(SALU_CYCLE_1)
	v_cndmask_b32_e64 v22, v22, 0, s4
	v_cndmask_b32_e64 v21, v21, 0, s4
; %bb.251:                              ;   in Loop: Header=BB8_145 Depth=1
	s_and_not1_saveexec_b32 s5, s5
	s_cbranch_execz .LBB8_255
; %bb.252:                              ;   in Loop: Header=BB8_145 Depth=1
	v_add_nc_u32_e32 v2, 0xc32fffff, v20
	s_mov_b32 s6, exec_lo
	s_delay_alu instid0(VALU_DEP_1)
	v_cmpx_gt_u32_e32 0x65fffff, v2
	s_cbranch_execz .LBB8_254
; %bb.253:                              ;   in Loop: Header=BB8_145 Depth=1
	v_mul_f64 v[23:24], |v[7:8]|, 0.5
	v_cmp_gt_f64_e64 s4, |v[7:8]|, 1.0
	s_mov_b32 s15, s71
	s_delay_alu instid0(VALU_DEP_2) | instskip(SKIP_1) | instid1(VALU_DEP_2)
	v_fract_f64_e32 v[25:26], v[23:24]
	v_cmp_neq_f64_e64 vcc_lo, 0x7ff00000, |v[23:24]|
	v_add_f64 v[23:24], v[25:26], v[25:26]
	s_delay_alu instid0(VALU_DEP_1) | instskip(NEXT) | instid1(VALU_DEP_1)
	v_dual_cndmask_b32 v2, 0, v24 :: v_dual_cndmask_b32 v11, 0, v23
	v_cndmask_b32_e64 v24, v20, v2, s4
	s_delay_alu instid0(VALU_DEP_2) | instskip(NEXT) | instid1(VALU_DEP_1)
	v_cndmask_b32_e64 v23, v7, v11, s4
	v_add_f64 v[25:26], v[23:24], v[23:24]
	s_delay_alu instid0(VALU_DEP_1) | instskip(NEXT) | instid1(VALU_DEP_1)
	v_rndne_f64_e32 v[25:26], v[25:26]
	v_fma_f64 v[23:24], v[25:26], -0.5, v[23:24]
	v_cvt_i32_f64_e32 v2, v[25:26]
	s_delay_alu instid0(VALU_DEP_2) | instskip(NEXT) | instid1(VALU_DEP_2)
	v_mul_f64 v[27:28], v[23:24], v[23:24]
	v_and_b32_e32 v11, 1, v2
	v_lshlrev_b32_e32 v2, 30, v2
	s_delay_alu instid0(VALU_DEP_2) | instskip(NEXT) | instid1(VALU_DEP_2)
	v_cmp_eq_u32_e32 vcc_lo, 0, v11
	v_xor_b32_e32 v2, v2, v8
	s_delay_alu instid0(VALU_DEP_1) | instskip(SKIP_2) | instid1(VALU_DEP_2)
	v_and_b32_e32 v2, 0x80000000, v2
	v_fma_f64 v[29:30], v[27:28], s[36:37], s[34:35]
	v_mul_f64 v[53:54], v[23:24], v[27:28]
	v_fma_f64 v[29:30], v[27:28], v[29:30], s[38:39]
	s_delay_alu instid0(VALU_DEP_1) | instskip(NEXT) | instid1(VALU_DEP_1)
	v_fma_f64 v[29:30], v[27:28], v[29:30], s[40:41]
	v_fma_f64 v[29:30], v[27:28], v[29:30], s[42:43]
	s_delay_alu instid0(VALU_DEP_1) | instskip(NEXT) | instid1(VALU_DEP_1)
	v_fma_f64 v[29:30], v[27:28], v[29:30], s[48:49]
	v_mul_f64 v[29:30], v[53:54], v[29:30]
	s_delay_alu instid0(VALU_DEP_1) | instskip(SKIP_1) | instid1(VALU_DEP_1)
	v_fma_f64 v[23:24], v[23:24], s[50:51], v[29:30]
	v_fma_f64 v[29:30], v[27:28], s[54:55], s[52:53]
	;; [unrolled: 1-line block ×3, first 2 shown]
	s_delay_alu instid0(VALU_DEP_1) | instskip(NEXT) | instid1(VALU_DEP_1)
	v_fma_f64 v[29:30], v[27:28], v[29:30], s[58:59]
	v_fma_f64 v[29:30], v[27:28], v[29:30], s[62:63]
	s_delay_alu instid0(VALU_DEP_1) | instskip(NEXT) | instid1(VALU_DEP_1)
	v_fma_f64 v[29:30], v[27:28], v[29:30], s[64:65]
	v_fma_f64 v[29:30], v[27:28], v[29:30], s[66:67]
	s_delay_alu instid0(VALU_DEP_1) | instskip(NEXT) | instid1(VALU_DEP_1)
	v_fma_f64 v[27:28], v[27:28], v[29:30], 1.0
	v_cndmask_b32_e32 v11, v27, v23, vcc_lo
	s_delay_alu instid0(VALU_DEP_2) | instskip(SKIP_1) | instid1(VALU_DEP_2)
	v_cndmask_b32_e32 v15, v28, v24, vcc_lo
	v_cmp_class_f64_e64 vcc_lo, v[7:8], 0x1f8
	v_xor_b32_e32 v2, v15, v2
	s_delay_alu instid0(VALU_DEP_4) | instskip(NEXT) | instid1(VALU_DEP_2)
	v_cndmask_b32_e32 v23, 0, v11, vcc_lo
	v_cndmask_b32_e32 v24, 0x7ff80000, v2, vcc_lo
	s_delay_alu instid0(VALU_DEP_1) | instskip(NEXT) | instid1(VALU_DEP_1)
	v_mul_f64 v[23:24], v[7:8], v[23:24]
	v_dual_mov_b32 v25, v23 :: v_dual_and_b32 v26, 0x7fffffff, v24
	s_delay_alu instid0(VALU_DEP_1) | instskip(SKIP_1) | instid1(VALU_DEP_2)
	v_div_scale_f64 v[27:28], null, v[25:26], v[25:26], s[50:51]
	v_div_scale_f64 v[25:26], vcc_lo, s[50:51], v[25:26], s[50:51]
	v_rcp_f64_e32 v[29:30], v[27:28]
	s_waitcnt_depctr 0xfff
	v_fma_f64 v[53:54], -v[27:28], v[29:30], 1.0
	s_delay_alu instid0(VALU_DEP_1) | instskip(NEXT) | instid1(VALU_DEP_1)
	v_fma_f64 v[29:30], v[29:30], v[53:54], v[29:30]
	v_fma_f64 v[53:54], -v[27:28], v[29:30], 1.0
	s_delay_alu instid0(VALU_DEP_1) | instskip(NEXT) | instid1(VALU_DEP_1)
	v_fma_f64 v[29:30], v[29:30], v[53:54], v[29:30]
	v_mul_f64 v[53:54], v[25:26], v[29:30]
	s_delay_alu instid0(VALU_DEP_1) | instskip(NEXT) | instid1(VALU_DEP_1)
	v_fma_f64 v[25:26], -v[27:28], v[53:54], v[25:26]
	v_div_fmas_f64 v[25:26], v[25:26], v[29:30], v[53:54]
	s_delay_alu instid0(VALU_DEP_1) | instskip(NEXT) | instid1(VALU_DEP_1)
	v_div_fixup_f64 v[23:24], v[25:26], |v[23:24]|, s[50:51]
	v_frexp_mant_f64_e32 v[25:26], v[23:24]
	v_cmp_neq_f64_e64 s4, 0, v[23:24]
	s_delay_alu instid0(VALU_DEP_2) | instskip(SKIP_1) | instid1(VALU_DEP_1)
	v_cmp_gt_f64_e32 vcc_lo, s[70:71], v[25:26]
	v_cndmask_b32_e64 v2, 0x3ff00000, 2.0, vcc_lo
	v_mul_f64 v[25:26], v[25:26], v[1:2]
	v_frexp_exp_i32_f64_e32 v2, v[23:24]
	s_delay_alu instid0(VALU_DEP_2) | instskip(NEXT) | instid1(VALU_DEP_2)
	v_add_f64 v[27:28], v[25:26], 1.0
	v_subrev_co_ci_u32_e32 v2, vcc_lo, 0, v2, vcc_lo
	v_cmp_class_f64_e64 vcc_lo, v[23:24], 0x204
	s_delay_alu instid0(VALU_DEP_3) | instskip(SKIP_2) | instid1(VALU_DEP_1)
	v_rcp_f64_e32 v[29:30], v[27:28]
	s_waitcnt_depctr 0xfff
	v_fma_f64 v[53:54], -v[27:28], v[29:30], 1.0
	v_fma_f64 v[29:30], v[53:54], v[29:30], v[29:30]
	s_delay_alu instid0(VALU_DEP_1) | instskip(NEXT) | instid1(VALU_DEP_1)
	v_fma_f64 v[53:54], -v[27:28], v[29:30], 1.0
	v_fma_f64 v[29:30], v[53:54], v[29:30], v[29:30]
	v_add_f64 v[53:54], v[27:28], -1.0
	s_delay_alu instid0(VALU_DEP_1) | instskip(SKIP_1) | instid1(VALU_DEP_1)
	v_add_f64 v[53:54], v[25:26], -v[53:54]
	v_add_f64 v[25:26], v[25:26], -1.0
	v_mul_f64 v[55:56], v[25:26], v[29:30]
	s_delay_alu instid0(VALU_DEP_1) | instskip(NEXT) | instid1(VALU_DEP_1)
	v_mul_f64 v[57:58], v[27:28], v[55:56]
	v_fma_f64 v[27:28], v[55:56], v[27:28], -v[57:58]
	s_delay_alu instid0(VALU_DEP_1) | instskip(NEXT) | instid1(VALU_DEP_1)
	v_fma_f64 v[27:28], v[55:56], v[53:54], v[27:28]
	v_add_f64 v[53:54], v[57:58], v[27:28]
	s_delay_alu instid0(VALU_DEP_1) | instskip(NEXT) | instid1(VALU_DEP_1)
	v_add_f64 v[57:58], v[53:54], -v[57:58]
	v_add_f64 v[27:28], v[57:58], -v[27:28]
	;; [unrolled: 1-line block ×3, first 2 shown]
	s_delay_alu instid0(VALU_DEP_1) | instskip(NEXT) | instid1(VALU_DEP_1)
	v_add_f64 v[25:26], v[25:26], -v[57:58]
	v_add_f64 v[25:26], v[25:26], -v[53:54]
	s_delay_alu instid0(VALU_DEP_1) | instskip(SKIP_1) | instid1(VALU_DEP_2)
	v_add_f64 v[25:26], v[27:28], v[25:26]
	v_cvt_f64_i32_e32 v[27:28], v2
	v_add_f64 v[25:26], v[57:58], v[25:26]
	s_delay_alu instid0(VALU_DEP_1) | instskip(NEXT) | instid1(VALU_DEP_3)
	v_mul_f64 v[25:26], v[29:30], v[25:26]
	v_mul_f64 v[29:30], v[27:28], s[28:29]
	s_delay_alu instid0(VALU_DEP_1) | instskip(NEXT) | instid1(VALU_DEP_1)
	v_fma_f64 v[53:54], v[27:28], s[28:29], -v[29:30]
	v_fma_f64 v[27:28], v[27:28], s[30:31], v[53:54]
	s_delay_alu instid0(VALU_DEP_4) | instskip(NEXT) | instid1(VALU_DEP_1)
	v_add_f64 v[53:54], v[55:56], v[25:26]
	v_add_f64 v[55:56], v[53:54], -v[55:56]
	s_delay_alu instid0(VALU_DEP_1) | instskip(SKIP_1) | instid1(VALU_DEP_2)
	v_add_f64 v[25:26], v[25:26], -v[55:56]
	v_mul_f64 v[55:56], v[53:54], v[53:54]
	v_ldexp_f64 v[25:26], v[25:26], 1
	s_delay_alu instid0(VALU_DEP_2) | instskip(NEXT) | instid1(VALU_DEP_1)
	v_fma_f64 v[57:58], v[55:56], s[18:19], s[16:17]
	v_fma_f64 v[57:58], v[55:56], v[57:58], s[20:21]
	s_delay_alu instid0(VALU_DEP_1) | instskip(NEXT) | instid1(VALU_DEP_1)
	v_fma_f64 v[57:58], v[55:56], v[57:58], s[22:23]
	v_fma_f64 v[57:58], v[55:56], v[57:58], s[24:25]
	s_delay_alu instid0(VALU_DEP_1) | instskip(NEXT) | instid1(VALU_DEP_1)
	v_fma_f64 v[57:58], v[55:56], v[57:58], s[26:27]
	v_fma_f64 v[57:58], v[55:56], v[57:58], s[14:15]
	v_mul_f64 v[55:56], v[53:54], v[55:56]
	v_ldexp_f64 v[53:54], v[53:54], 1
	s_delay_alu instid0(VALU_DEP_2) | instskip(NEXT) | instid1(VALU_DEP_1)
	v_mul_f64 v[55:56], v[55:56], v[57:58]
	v_add_f64 v[57:58], v[53:54], v[55:56]
	s_delay_alu instid0(VALU_DEP_1) | instskip(NEXT) | instid1(VALU_DEP_1)
	v_add_f64 v[53:54], v[57:58], -v[53:54]
	v_add_f64 v[53:54], v[55:56], -v[53:54]
	s_delay_alu instid0(VALU_DEP_1) | instskip(SKIP_1) | instid1(VALU_DEP_1)
	v_add_f64 v[25:26], v[25:26], v[53:54]
	v_add_f64 v[53:54], v[29:30], v[27:28]
	v_add_f64 v[29:30], v[53:54], -v[29:30]
	s_delay_alu instid0(VALU_DEP_1) | instskip(NEXT) | instid1(VALU_DEP_4)
	v_add_f64 v[27:28], v[27:28], -v[29:30]
	v_add_f64 v[29:30], v[57:58], v[25:26]
	s_delay_alu instid0(VALU_DEP_1) | instskip(SKIP_1) | instid1(VALU_DEP_2)
	v_add_f64 v[55:56], v[29:30], -v[57:58]
	v_add_f64 v[57:58], v[53:54], v[29:30]
	v_add_f64 v[25:26], v[25:26], -v[55:56]
	s_delay_alu instid0(VALU_DEP_2) | instskip(NEXT) | instid1(VALU_DEP_1)
	v_add_f64 v[59:60], v[57:58], -v[53:54]
	v_add_f64 v[29:30], v[29:30], -v[59:60]
	;; [unrolled: 1-line block ×3, first 2 shown]
	s_delay_alu instid0(VALU_DEP_1) | instskip(NEXT) | instid1(VALU_DEP_1)
	v_add_f64 v[53:54], v[53:54], -v[59:60]
	v_add_f64 v[29:30], v[29:30], v[53:54]
	v_add_f64 v[53:54], v[27:28], v[25:26]
	s_delay_alu instid0(VALU_DEP_1) | instskip(NEXT) | instid1(VALU_DEP_3)
	v_add_f64 v[55:56], v[53:54], -v[27:28]
	v_add_f64 v[29:30], v[53:54], v[29:30]
	s_delay_alu instid0(VALU_DEP_2) | instskip(SKIP_1) | instid1(VALU_DEP_1)
	v_add_f64 v[25:26], v[25:26], -v[55:56]
	v_add_f64 v[55:56], v[53:54], -v[55:56]
	;; [unrolled: 1-line block ×3, first 2 shown]
	s_delay_alu instid0(VALU_DEP_1) | instskip(SKIP_1) | instid1(VALU_DEP_1)
	v_add_f64 v[25:26], v[25:26], v[27:28]
	v_add_f64 v[27:28], v[57:58], v[29:30]
	v_add_f64 v[53:54], v[27:28], -v[57:58]
	s_delay_alu instid0(VALU_DEP_1) | instskip(NEXT) | instid1(VALU_DEP_1)
	v_add_f64 v[29:30], v[29:30], -v[53:54]
	v_add_f64 v[25:26], v[25:26], v[29:30]
	s_delay_alu instid0(VALU_DEP_1) | instskip(NEXT) | instid1(VALU_DEP_1)
	v_add_f64 v[25:26], v[27:28], v[25:26]
	v_dual_cndmask_b32 v2, v25, v23 :: v_dual_cndmask_b32 v11, v26, v24
	v_fract_f64_e32 v[23:24], v[7:8]
	s_delay_alu instid0(VALU_DEP_2) | instskip(NEXT) | instid1(VALU_DEP_3)
	v_cndmask_b32_e64 v25, 0, v2, s4
	v_cndmask_b32_e64 v26, 0xfff00000, v11, s4
	v_cmp_class_f64_e64 s4, v[7:8], 0x204
	s_delay_alu instid0(VALU_DEP_2) | instskip(SKIP_1) | instid1(VALU_DEP_3)
	v_add_f64 v[21:22], v[25:26], -v[21:22]
	v_cmp_eq_f64_e32 vcc_lo, 0, v[23:24]
	s_or_b32 s4, s4, vcc_lo
	s_delay_alu instid0(VALU_DEP_2) | instid1(SALU_CYCLE_1)
	v_cndmask_b32_e64 v22, v22, 0x7ff00000, s4
	s_delay_alu instid0(VALU_DEP_3)
	v_cndmask_b32_e64 v21, v21, 0, s4
.LBB8_254:                              ;   in Loop: Header=BB8_145 Depth=1
	s_or_b32 exec_lo, exec_lo, s6
.LBB8_255:                              ;   in Loop: Header=BB8_145 Depth=1
	s_delay_alu instid0(SALU_CYCLE_1) | instskip(SKIP_2) | instid1(VALU_DEP_1)
	s_or_b32 exec_lo, exec_lo, s5
	v_dual_mov_b32 v23, v3 :: v_dual_and_b32 v24, 0x7fffffff, v4
                                        ; implicit-def: $vgpr25_vgpr26
	s_mov_b32 s4, exec_lo
	v_cmpx_lt_u32_e32 0x3f6fffff, v24
	s_xor_b32 vcc_hi, exec_lo, s4
	s_cbranch_execz .LBB8_281
; %bb.256:                              ;   in Loop: Header=BB8_145 Depth=1
                                        ; implicit-def: $vgpr25_vgpr26
	s_mov_b32 s4, exec_lo
	v_cmpx_lt_u32_e32 0x3fffffff, v24
	s_xor_b32 s72, exec_lo, s4
	s_cbranch_execz .LBB8_266
; %bb.257:                              ;   in Loop: Header=BB8_145 Depth=1
                                        ; implicit-def: $vgpr25_vgpr26
	s_mov_b32 s4, exec_lo
	v_cmpx_lt_u32_e32 0x401fffff, v24
	s_xor_b32 s5, exec_lo, s4
	;; [unrolled: 6-line block ×3, first 2 shown]
	s_cbranch_execz .LBB8_260
; %bb.259:                              ;   in Loop: Header=BB8_145 Depth=1
	v_frexp_mant_f64_e64 v[25:26], |v[3:4]|
	s_mov_b32 s15, s71
	v_cmp_neq_f64_e64 s4, 0, v[3:4]
	s_delay_alu instid0(VALU_DEP_2) | instskip(SKIP_1) | instid1(VALU_DEP_1)
	v_cmp_gt_f64_e32 vcc_lo, s[70:71], v[25:26]
	v_cndmask_b32_e64 v2, 0x3ff00000, 2.0, vcc_lo
	v_mul_f64 v[25:26], v[25:26], v[1:2]
	v_frexp_exp_i32_f64_e32 v2, v[3:4]
	s_delay_alu instid0(VALU_DEP_2) | instskip(NEXT) | instid1(VALU_DEP_2)
	v_add_f64 v[27:28], v[25:26], 1.0
	v_subrev_co_ci_u32_e32 v2, vcc_lo, 0, v2, vcc_lo
	v_cmp_class_f64_e64 vcc_lo, v[3:4], 0x204
	s_delay_alu instid0(VALU_DEP_3) | instskip(SKIP_2) | instid1(VALU_DEP_1)
	v_rcp_f64_e32 v[29:30], v[27:28]
	s_waitcnt_depctr 0xfff
	v_fma_f64 v[53:54], -v[27:28], v[29:30], 1.0
	v_fma_f64 v[29:30], v[53:54], v[29:30], v[29:30]
	s_delay_alu instid0(VALU_DEP_1) | instskip(NEXT) | instid1(VALU_DEP_1)
	v_fma_f64 v[53:54], -v[27:28], v[29:30], 1.0
	v_fma_f64 v[29:30], v[53:54], v[29:30], v[29:30]
	v_add_f64 v[53:54], v[27:28], -1.0
	s_delay_alu instid0(VALU_DEP_1) | instskip(SKIP_1) | instid1(VALU_DEP_1)
	v_add_f64 v[53:54], v[25:26], -v[53:54]
	v_add_f64 v[25:26], v[25:26], -1.0
	v_mul_f64 v[55:56], v[25:26], v[29:30]
	s_delay_alu instid0(VALU_DEP_1) | instskip(NEXT) | instid1(VALU_DEP_1)
	v_mul_f64 v[57:58], v[27:28], v[55:56]
	v_fma_f64 v[27:28], v[55:56], v[27:28], -v[57:58]
	s_delay_alu instid0(VALU_DEP_1) | instskip(NEXT) | instid1(VALU_DEP_1)
	v_fma_f64 v[27:28], v[55:56], v[53:54], v[27:28]
	v_add_f64 v[53:54], v[57:58], v[27:28]
	s_delay_alu instid0(VALU_DEP_1) | instskip(NEXT) | instid1(VALU_DEP_1)
	v_add_f64 v[57:58], v[53:54], -v[57:58]
	v_add_f64 v[27:28], v[57:58], -v[27:28]
	;; [unrolled: 1-line block ×3, first 2 shown]
	s_delay_alu instid0(VALU_DEP_1) | instskip(NEXT) | instid1(VALU_DEP_1)
	v_add_f64 v[25:26], v[25:26], -v[57:58]
	v_add_f64 v[25:26], v[25:26], -v[53:54]
	s_delay_alu instid0(VALU_DEP_1) | instskip(SKIP_1) | instid1(VALU_DEP_2)
	v_add_f64 v[25:26], v[27:28], v[25:26]
	v_cvt_f64_i32_e32 v[27:28], v2
	v_add_f64 v[25:26], v[57:58], v[25:26]
	s_delay_alu instid0(VALU_DEP_1) | instskip(NEXT) | instid1(VALU_DEP_3)
	v_mul_f64 v[25:26], v[29:30], v[25:26]
	v_mul_f64 v[29:30], v[27:28], s[28:29]
	s_delay_alu instid0(VALU_DEP_1) | instskip(NEXT) | instid1(VALU_DEP_1)
	v_fma_f64 v[53:54], v[27:28], s[28:29], -v[29:30]
	v_fma_f64 v[27:28], v[27:28], s[30:31], v[53:54]
	s_delay_alu instid0(VALU_DEP_4) | instskip(NEXT) | instid1(VALU_DEP_1)
	v_add_f64 v[53:54], v[55:56], v[25:26]
	v_add_f64 v[55:56], v[53:54], -v[55:56]
	s_delay_alu instid0(VALU_DEP_1) | instskip(SKIP_1) | instid1(VALU_DEP_2)
	v_add_f64 v[25:26], v[25:26], -v[55:56]
	v_mul_f64 v[55:56], v[53:54], v[53:54]
	v_ldexp_f64 v[25:26], v[25:26], 1
	s_delay_alu instid0(VALU_DEP_2) | instskip(NEXT) | instid1(VALU_DEP_1)
	v_fma_f64 v[57:58], v[55:56], s[18:19], s[16:17]
	v_fma_f64 v[57:58], v[55:56], v[57:58], s[20:21]
	s_delay_alu instid0(VALU_DEP_1) | instskip(NEXT) | instid1(VALU_DEP_1)
	v_fma_f64 v[57:58], v[55:56], v[57:58], s[22:23]
	v_fma_f64 v[57:58], v[55:56], v[57:58], s[24:25]
	s_delay_alu instid0(VALU_DEP_1) | instskip(NEXT) | instid1(VALU_DEP_1)
	v_fma_f64 v[57:58], v[55:56], v[57:58], s[26:27]
	v_fma_f64 v[57:58], v[55:56], v[57:58], s[14:15]
	v_mul_f64 v[55:56], v[53:54], v[55:56]
	v_ldexp_f64 v[53:54], v[53:54], 1
	s_delay_alu instid0(VALU_DEP_2) | instskip(NEXT) | instid1(VALU_DEP_1)
	v_mul_f64 v[55:56], v[55:56], v[57:58]
	v_add_f64 v[57:58], v[53:54], v[55:56]
	s_delay_alu instid0(VALU_DEP_1) | instskip(NEXT) | instid1(VALU_DEP_1)
	v_add_f64 v[53:54], v[57:58], -v[53:54]
	v_add_f64 v[53:54], v[55:56], -v[53:54]
	s_delay_alu instid0(VALU_DEP_1) | instskip(SKIP_1) | instid1(VALU_DEP_1)
	v_add_f64 v[25:26], v[25:26], v[53:54]
	v_add_f64 v[53:54], v[29:30], v[27:28]
	v_add_f64 v[29:30], v[53:54], -v[29:30]
	s_delay_alu instid0(VALU_DEP_1) | instskip(NEXT) | instid1(VALU_DEP_4)
	v_add_f64 v[27:28], v[27:28], -v[29:30]
	v_add_f64 v[29:30], v[57:58], v[25:26]
	s_delay_alu instid0(VALU_DEP_1) | instskip(SKIP_1) | instid1(VALU_DEP_2)
	v_add_f64 v[55:56], v[29:30], -v[57:58]
	v_add_f64 v[57:58], v[53:54], v[29:30]
	v_add_f64 v[25:26], v[25:26], -v[55:56]
	s_delay_alu instid0(VALU_DEP_2) | instskip(NEXT) | instid1(VALU_DEP_1)
	v_add_f64 v[59:60], v[57:58], -v[53:54]
	v_add_f64 v[29:30], v[29:30], -v[59:60]
	;; [unrolled: 1-line block ×3, first 2 shown]
	s_delay_alu instid0(VALU_DEP_1) | instskip(NEXT) | instid1(VALU_DEP_1)
	v_add_f64 v[53:54], v[53:54], -v[59:60]
	v_add_f64 v[29:30], v[29:30], v[53:54]
	v_add_f64 v[53:54], v[27:28], v[25:26]
	s_delay_alu instid0(VALU_DEP_1) | instskip(NEXT) | instid1(VALU_DEP_3)
	v_add_f64 v[55:56], v[53:54], -v[27:28]
	v_add_f64 v[29:30], v[53:54], v[29:30]
	s_delay_alu instid0(VALU_DEP_2) | instskip(SKIP_1) | instid1(VALU_DEP_1)
	v_add_f64 v[25:26], v[25:26], -v[55:56]
	v_add_f64 v[55:56], v[53:54], -v[55:56]
	;; [unrolled: 1-line block ×3, first 2 shown]
	s_delay_alu instid0(VALU_DEP_1) | instskip(SKIP_1) | instid1(VALU_DEP_1)
	v_add_f64 v[25:26], v[25:26], v[27:28]
	v_add_f64 v[27:28], v[57:58], v[29:30]
	v_add_f64 v[53:54], v[27:28], -v[57:58]
	s_delay_alu instid0(VALU_DEP_1) | instskip(NEXT) | instid1(VALU_DEP_1)
	v_add_f64 v[29:30], v[29:30], -v[53:54]
	v_add_f64 v[25:26], v[25:26], v[29:30]
	s_delay_alu instid0(VALU_DEP_1) | instskip(NEXT) | instid1(VALU_DEP_1)
	v_add_f64 v[25:26], v[27:28], v[25:26]
	v_dual_cndmask_b32 v2, v26, v24 :: v_dual_cndmask_b32 v11, v25, v3
	s_delay_alu instid0(VALU_DEP_1) | instskip(NEXT) | instid1(VALU_DEP_2)
	v_cndmask_b32_e64 v26, 0xfff00000, v2, s4
	v_cndmask_b32_e64 v25, 0, v11, s4
	s_delay_alu instid0(VALU_DEP_1)
	v_fma_f64 v[25:26], |v[3:4]|, v[25:26], -|v[3:4]|
.LBB8_260:                              ;   in Loop: Header=BB8_145 Depth=1
	s_and_not1_saveexec_b32 s4, s6
	s_cbranch_execz .LBB8_262
; %bb.261:                              ;   in Loop: Header=BB8_145 Depth=1
	v_mov_b32_e32 v23, v3
	s_mov_b32 s15, s71
	s_mov_b32 s74, 0x4cdad5d1
	;; [unrolled: 1-line block ×4, first 2 shown]
	v_div_scale_f64 v[25:26], null, v[23:24], v[23:24], 1.0
	s_mov_b32 s77, 0xbf5ab89d
	s_delay_alu instid0(VALU_DEP_1) | instskip(SKIP_2) | instid1(VALU_DEP_1)
	v_rcp_f64_e32 v[27:28], v[25:26]
	s_waitcnt_depctr 0xfff
	v_fma_f64 v[29:30], -v[25:26], v[27:28], 1.0
	v_fma_f64 v[27:28], v[27:28], v[29:30], v[27:28]
	s_delay_alu instid0(VALU_DEP_1) | instskip(NEXT) | instid1(VALU_DEP_1)
	v_fma_f64 v[29:30], -v[25:26], v[27:28], 1.0
	v_fma_f64 v[27:28], v[27:28], v[29:30], v[27:28]
	v_div_scale_f64 v[29:30], vcc_lo, 1.0, v[23:24], 1.0
	s_delay_alu instid0(VALU_DEP_1) | instskip(NEXT) | instid1(VALU_DEP_1)
	v_mul_f64 v[53:54], v[29:30], v[27:28]
	v_fma_f64 v[25:26], -v[25:26], v[53:54], v[29:30]
	s_delay_alu instid0(VALU_DEP_1) | instskip(SKIP_1) | instid1(VALU_DEP_2)
	v_div_fmas_f64 v[25:26], v[25:26], v[27:28], v[53:54]
	v_frexp_mant_f64_e64 v[27:28], |v[3:4]|
	v_div_fixup_f64 v[25:26], v[25:26], |v[3:4]|, 1.0
	s_delay_alu instid0(VALU_DEP_2) | instskip(SKIP_1) | instid1(VALU_DEP_1)
	v_cmp_gt_f64_e32 vcc_lo, s[70:71], v[27:28]
	v_cndmask_b32_e64 v2, 0x3ff00000, 2.0, vcc_lo
	v_mul_f64 v[27:28], v[27:28], v[1:2]
	v_frexp_exp_i32_f64_e32 v2, v[3:4]
	s_delay_alu instid0(VALU_DEP_2) | instskip(NEXT) | instid1(VALU_DEP_2)
	v_add_f64 v[29:30], v[27:28], 1.0
	v_subrev_co_ci_u32_e32 v2, vcc_lo, 0, v2, vcc_lo
	v_cmp_class_f64_e64 vcc_lo, v[3:4], 0x204
	s_delay_alu instid0(VALU_DEP_3) | instskip(SKIP_2) | instid1(VALU_DEP_1)
	v_rcp_f64_e32 v[53:54], v[29:30]
	s_waitcnt_depctr 0xfff
	v_fma_f64 v[55:56], -v[29:30], v[53:54], 1.0
	v_fma_f64 v[53:54], v[55:56], v[53:54], v[53:54]
	s_delay_alu instid0(VALU_DEP_1) | instskip(NEXT) | instid1(VALU_DEP_1)
	v_fma_f64 v[55:56], -v[29:30], v[53:54], 1.0
	v_fma_f64 v[53:54], v[55:56], v[53:54], v[53:54]
	v_add_f64 v[55:56], v[29:30], -1.0
	s_delay_alu instid0(VALU_DEP_1) | instskip(SKIP_1) | instid1(VALU_DEP_1)
	v_add_f64 v[55:56], v[27:28], -v[55:56]
	v_add_f64 v[27:28], v[27:28], -1.0
	v_mul_f64 v[57:58], v[27:28], v[53:54]
	s_delay_alu instid0(VALU_DEP_1) | instskip(NEXT) | instid1(VALU_DEP_1)
	v_mul_f64 v[59:60], v[29:30], v[57:58]
	v_fma_f64 v[29:30], v[57:58], v[29:30], -v[59:60]
	s_delay_alu instid0(VALU_DEP_1) | instskip(NEXT) | instid1(VALU_DEP_1)
	v_fma_f64 v[29:30], v[57:58], v[55:56], v[29:30]
	v_add_f64 v[55:56], v[59:60], v[29:30]
	s_delay_alu instid0(VALU_DEP_1) | instskip(NEXT) | instid1(VALU_DEP_1)
	v_add_f64 v[59:60], v[55:56], -v[59:60]
	v_add_f64 v[29:30], v[59:60], -v[29:30]
	;; [unrolled: 1-line block ×3, first 2 shown]
	s_delay_alu instid0(VALU_DEP_1) | instskip(NEXT) | instid1(VALU_DEP_1)
	v_add_f64 v[27:28], v[27:28], -v[59:60]
	v_add_f64 v[27:28], v[27:28], -v[55:56]
	s_delay_alu instid0(VALU_DEP_1) | instskip(SKIP_1) | instid1(VALU_DEP_2)
	v_add_f64 v[27:28], v[29:30], v[27:28]
	v_cvt_f64_i32_e32 v[29:30], v2
	v_add_f64 v[27:28], v[59:60], v[27:28]
	s_delay_alu instid0(VALU_DEP_1) | instskip(NEXT) | instid1(VALU_DEP_3)
	v_mul_f64 v[27:28], v[53:54], v[27:28]
	v_mul_f64 v[53:54], v[29:30], s[28:29]
	s_delay_alu instid0(VALU_DEP_1) | instskip(NEXT) | instid1(VALU_DEP_1)
	v_fma_f64 v[55:56], v[29:30], s[28:29], -v[53:54]
	v_fma_f64 v[29:30], v[29:30], s[30:31], v[55:56]
	s_delay_alu instid0(VALU_DEP_4) | instskip(NEXT) | instid1(VALU_DEP_1)
	v_add_f64 v[55:56], v[57:58], v[27:28]
	v_add_f64 v[57:58], v[55:56], -v[57:58]
	s_delay_alu instid0(VALU_DEP_1) | instskip(SKIP_1) | instid1(VALU_DEP_2)
	v_add_f64 v[27:28], v[27:28], -v[57:58]
	v_mul_f64 v[57:58], v[55:56], v[55:56]
	v_ldexp_f64 v[27:28], v[27:28], 1
	s_delay_alu instid0(VALU_DEP_2) | instskip(NEXT) | instid1(VALU_DEP_1)
	v_fma_f64 v[59:60], v[57:58], s[18:19], s[16:17]
	v_fma_f64 v[59:60], v[57:58], v[59:60], s[20:21]
	s_delay_alu instid0(VALU_DEP_1) | instskip(NEXT) | instid1(VALU_DEP_1)
	v_fma_f64 v[59:60], v[57:58], v[59:60], s[22:23]
	v_fma_f64 v[59:60], v[57:58], v[59:60], s[24:25]
	s_delay_alu instid0(VALU_DEP_1) | instskip(NEXT) | instid1(VALU_DEP_1)
	v_fma_f64 v[59:60], v[57:58], v[59:60], s[26:27]
	v_fma_f64 v[59:60], v[57:58], v[59:60], s[14:15]
	v_mul_f64 v[57:58], v[55:56], v[57:58]
	v_ldexp_f64 v[55:56], v[55:56], 1
	s_delay_alu instid0(VALU_DEP_2) | instskip(NEXT) | instid1(VALU_DEP_1)
	v_mul_f64 v[57:58], v[57:58], v[59:60]
	v_add_f64 v[59:60], v[55:56], v[57:58]
	s_delay_alu instid0(VALU_DEP_1) | instskip(NEXT) | instid1(VALU_DEP_1)
	v_add_f64 v[55:56], v[59:60], -v[55:56]
	v_add_f64 v[55:56], v[57:58], -v[55:56]
	s_delay_alu instid0(VALU_DEP_1) | instskip(SKIP_1) | instid1(VALU_DEP_1)
	v_add_f64 v[27:28], v[27:28], v[55:56]
	v_add_f64 v[55:56], v[53:54], v[29:30]
	v_add_f64 v[53:54], v[55:56], -v[53:54]
	s_delay_alu instid0(VALU_DEP_1) | instskip(NEXT) | instid1(VALU_DEP_4)
	v_add_f64 v[29:30], v[29:30], -v[53:54]
	v_add_f64 v[53:54], v[59:60], v[27:28]
	s_delay_alu instid0(VALU_DEP_1) | instskip(SKIP_1) | instid1(VALU_DEP_2)
	v_add_f64 v[57:58], v[53:54], -v[59:60]
	v_add_f64 v[59:60], v[55:56], v[53:54]
	v_add_f64 v[27:28], v[27:28], -v[57:58]
	s_delay_alu instid0(VALU_DEP_2) | instskip(NEXT) | instid1(VALU_DEP_1)
	v_add_f64 v[61:62], v[59:60], -v[55:56]
	v_add_f64 v[53:54], v[53:54], -v[61:62]
	;; [unrolled: 1-line block ×3, first 2 shown]
	s_delay_alu instid0(VALU_DEP_1) | instskip(NEXT) | instid1(VALU_DEP_1)
	v_add_f64 v[55:56], v[55:56], -v[61:62]
	v_add_f64 v[53:54], v[53:54], v[55:56]
	v_add_f64 v[55:56], v[29:30], v[27:28]
	s_delay_alu instid0(VALU_DEP_1) | instskip(NEXT) | instid1(VALU_DEP_3)
	v_add_f64 v[57:58], v[55:56], -v[29:30]
	v_add_f64 v[53:54], v[55:56], v[53:54]
	s_delay_alu instid0(VALU_DEP_2) | instskip(SKIP_1) | instid1(VALU_DEP_1)
	v_add_f64 v[27:28], v[27:28], -v[57:58]
	v_add_f64 v[57:58], v[55:56], -v[57:58]
	;; [unrolled: 1-line block ×3, first 2 shown]
	s_delay_alu instid0(VALU_DEP_1) | instskip(SKIP_1) | instid1(VALU_DEP_1)
	v_add_f64 v[27:28], v[27:28], v[29:30]
	v_add_f64 v[29:30], v[59:60], v[53:54]
	v_add_f64 v[55:56], v[29:30], -v[59:60]
	s_delay_alu instid0(VALU_DEP_1) | instskip(NEXT) | instid1(VALU_DEP_1)
	v_add_f64 v[53:54], v[53:54], -v[55:56]
	v_add_f64 v[27:28], v[27:28], v[53:54]
	s_delay_alu instid0(VALU_DEP_1) | instskip(SKIP_1) | instid1(VALU_DEP_2)
	v_add_f64 v[27:28], v[29:30], v[27:28]
	v_mul_f64 v[29:30], v[25:26], v[25:26]
	v_cndmask_b32_e32 v28, v28, v24, vcc_lo
	s_delay_alu instid0(VALU_DEP_2) | instskip(SKIP_2) | instid1(VALU_DEP_4)
	v_fma_f64 v[53:54], v[29:30], s[76:77], s[74:75]
	s_mov_b32 s74, 0x8c0fe741
	s_mov_b32 s75, 0xbf4380cb
	v_cndmask_b32_e32 v27, v27, v23, vcc_lo
	v_cmp_neq_f64_e32 vcc_lo, 0, v[3:4]
	s_mov_b32 s76, 0xdd17e945
	s_mov_b32 s77, 0x3f00bfec
	s_delay_alu instid0(VALU_DEP_2) | instskip(NEXT) | instid1(VALU_DEP_4)
	v_add_f64 v[27:28], v[27:28], -1.0
	v_fma_f64 v[53:54], v[29:30], v[53:54], s[74:75]
	s_mov_b32 s74, 0x98cf38b6
	s_mov_b32 s75, 0x3f4a019f
	s_delay_alu instid0(VALU_DEP_2) | instskip(NEXT) | instid1(VALU_DEP_3)
	v_cndmask_b32_e32 v28, 0xfff00000, v28, vcc_lo
	v_cndmask_b32_e32 v27, 0, v27, vcc_lo
	s_delay_alu instid0(VALU_DEP_3)
	v_fma_f64 v[53:54], v[29:30], v[53:54], s[74:75]
	s_mov_b32 s74, 0x16b02e5c
	s_mov_b32 s75, 0xbf66c16c
	s_delay_alu instid0(VALU_DEP_1) | instid1(SALU_CYCLE_1)
	v_fma_f64 v[53:54], v[29:30], v[53:54], s[74:75]
	s_mov_b32 s74, 0x5555553b
	s_mov_b32 s75, 0x3fb55555
	s_delay_alu instid0(VALU_DEP_1) | instid1(SALU_CYCLE_1)
	;; [unrolled: 4-line block ×3, first 2 shown]
	v_fma_f64 v[25:26], v[25:26], v[29:30], s[74:75]
	v_add_f64 v[29:30], |v[3:4]|, -0.5
	s_mov_b32 s74, 0x7368f239
	s_mov_b32 s75, 0x3f5e26b6
	s_delay_alu instid0(VALU_DEP_1)
	v_fma_f64 v[25:26], v[29:30], v[27:28], v[25:26]
.LBB8_262:                              ;   in Loop: Header=BB8_145 Depth=1
	s_or_b32 exec_lo, exec_lo, s4
.LBB8_263:                              ;   in Loop: Header=BB8_145 Depth=1
	s_and_not1_saveexec_b32 s73, s5
	s_cbranch_execz .LBB8_265
; %bb.264:                              ;   in Loop: Header=BB8_145 Depth=1
	v_cvt_i32_f64_e32 v2, v[23:24]
	s_mov_b32 s4, 0xca41a95b
	s_mov_b32 s78, 0xa5b38140
	;; [unrolled: 1-line block ×6, first 2 shown]
	s_delay_alu instid0(VALU_DEP_1) | instskip(NEXT) | instid1(VALU_DEP_1)
	v_cvt_f64_i32_e32 v[25:26], v2
	v_add_f64 v[25:26], |v[3:4]|, -v[25:26]
	s_delay_alu instid0(VALU_DEP_1)
	v_fma_f64 v[27:28], v[25:26], s[76:77], s[74:75]
	v_fma_f64 v[29:30], v[25:26], s[78:79], s[4:5]
	s_mov_b32 s4, 0x7e939961
	s_mov_b32 s5, 0x3f9b481c
	s_delay_alu instid0(VALU_DEP_2) | instid1(SALU_CYCLE_1)
	v_fma_f64 v[27:28], v[25:26], v[27:28], s[4:5]
	s_mov_b32 s4, 0x742ed475
	s_mov_b32 s5, 0x3f9317ea
	s_delay_alu instid0(VALU_DEP_2) | instid1(SALU_CYCLE_1)
	;; [unrolled: 4-line block ×8, first 2 shown]
	v_fma_f64 v[29:30], v[25:26], v[29:30], s[4:5]
	s_delay_alu instid0(VALU_DEP_2) | instskip(NEXT) | instid1(VALU_DEP_2)
	v_fma_f64 v[27:28], v[25:26], v[27:28], s[6:7]
	v_fma_f64 v[29:30], v[25:26], v[29:30], 1.0
	s_delay_alu instid0(VALU_DEP_2) | instskip(NEXT) | instid1(VALU_DEP_1)
	v_mul_f64 v[27:28], v[25:26], v[27:28]
	v_div_scale_f64 v[53:54], null, v[29:30], v[29:30], v[27:28]
	s_delay_alu instid0(VALU_DEP_1) | instskip(SKIP_2) | instid1(VALU_DEP_1)
	v_rcp_f64_e32 v[55:56], v[53:54]
	s_waitcnt_depctr 0xfff
	v_fma_f64 v[57:58], -v[53:54], v[55:56], 1.0
	v_fma_f64 v[55:56], v[55:56], v[57:58], v[55:56]
	s_delay_alu instid0(VALU_DEP_1) | instskip(NEXT) | instid1(VALU_DEP_1)
	v_fma_f64 v[57:58], -v[53:54], v[55:56], 1.0
	v_fma_f64 v[55:56], v[55:56], v[57:58], v[55:56]
	v_div_scale_f64 v[57:58], vcc_lo, v[27:28], v[29:30], v[27:28]
	s_delay_alu instid0(VALU_DEP_1) | instskip(NEXT) | instid1(VALU_DEP_1)
	v_mul_f64 v[59:60], v[57:58], v[55:56]
	v_fma_f64 v[53:54], -v[53:54], v[59:60], v[57:58]
	s_delay_alu instid0(VALU_DEP_1) | instskip(SKIP_1) | instid1(VALU_DEP_2)
	v_div_fmas_f64 v[53:54], v[53:54], v[55:56], v[59:60]
	v_cmp_lt_i32_e32 vcc_lo, 2, v2
	v_div_fixup_f64 v[27:28], v[53:54], v[29:30], v[27:28]
	v_add_f64 v[29:30], v[25:26], 2.0
	v_add_f64 v[53:54], 0x40080000, v[25:26]
	s_delay_alu instid0(VALU_DEP_2) | instskip(NEXT) | instid1(VALU_DEP_3)
	v_cndmask_b32_e32 v30, 0x3ff00000, v30, vcc_lo
	v_cndmask_b32_e32 v29, 0, v29, vcc_lo
	v_cmp_lt_i32_e32 vcc_lo, 3, v2
	s_delay_alu instid0(VALU_DEP_4) | instskip(SKIP_2) | instid1(VALU_DEP_2)
	v_cndmask_b32_e32 v54, 0x3ff00000, v54, vcc_lo
	v_cndmask_b32_e32 v53, 0, v53, vcc_lo
	v_cmp_lt_i32_e32 vcc_lo, 4, v2
	v_mul_f64 v[29:30], v[29:30], v[53:54]
	v_add_f64 v[53:54], v[25:26], 4.0
	s_delay_alu instid0(VALU_DEP_1) | instskip(NEXT) | instid1(VALU_DEP_2)
	v_cndmask_b32_e32 v54, 0x3ff00000, v54, vcc_lo
	v_cndmask_b32_e32 v53, 0, v53, vcc_lo
	v_cmp_lt_i32_e32 vcc_lo, 5, v2
	s_delay_alu instid0(VALU_DEP_2) | instskip(SKIP_1) | instid1(VALU_DEP_1)
	v_mul_f64 v[29:30], v[53:54], v[29:30]
	v_add_f64 v[53:54], 0x40140000, v[25:26]
	v_cndmask_b32_e32 v54, 0x3ff00000, v54, vcc_lo
	s_delay_alu instid0(VALU_DEP_2) | instskip(SKIP_1) | instid1(VALU_DEP_2)
	v_cndmask_b32_e32 v53, 0, v53, vcc_lo
	v_cmp_lt_i32_e32 vcc_lo, 6, v2
	v_mul_f64 v[29:30], v[53:54], v[29:30]
	v_add_f64 v[53:54], 0x40180000, v[25:26]
	v_fma_f64 v[25:26], v[25:26], 0.5, v[27:28]
	s_delay_alu instid0(VALU_DEP_2) | instskip(NEXT) | instid1(VALU_DEP_3)
	v_cndmask_b32_e32 v54, 0x3ff00000, v54, vcc_lo
	v_cndmask_b32_e32 v53, 0, v53, vcc_lo
	s_delay_alu instid0(VALU_DEP_1) | instskip(NEXT) | instid1(VALU_DEP_1)
	v_mul_f64 v[29:30], v[53:54], v[29:30]
	v_frexp_mant_f64_e32 v[53:54], v[29:30]
	v_cmp_ngt_f64_e64 s4, 0, v[29:30]
	v_cmp_nge_f64_e64 s5, 0, v[29:30]
	v_cmp_neq_f64_e64 s6, 0, v[29:30]
	s_delay_alu instid0(VALU_DEP_4) | instskip(SKIP_1) | instid1(VALU_DEP_1)
	v_cmp_gt_f64_e32 vcc_lo, s[70:71], v[53:54]
	v_cndmask_b32_e64 v2, 0x3ff00000, 2.0, vcc_lo
	v_mul_f64 v[53:54], v[53:54], v[1:2]
	v_frexp_exp_i32_f64_e32 v2, v[29:30]
	s_delay_alu instid0(VALU_DEP_2) | instskip(NEXT) | instid1(VALU_DEP_2)
	v_add_f64 v[55:56], v[53:54], 1.0
	v_subrev_co_ci_u32_e32 v2, vcc_lo, 0, v2, vcc_lo
	v_cmp_class_f64_e64 vcc_lo, v[29:30], 0x204
	s_delay_alu instid0(VALU_DEP_3) | instskip(SKIP_2) | instid1(VALU_DEP_1)
	v_rcp_f64_e32 v[57:58], v[55:56]
	s_waitcnt_depctr 0xfff
	v_fma_f64 v[59:60], -v[55:56], v[57:58], 1.0
	v_fma_f64 v[57:58], v[59:60], v[57:58], v[57:58]
	s_delay_alu instid0(VALU_DEP_1) | instskip(NEXT) | instid1(VALU_DEP_1)
	v_fma_f64 v[59:60], -v[55:56], v[57:58], 1.0
	v_fma_f64 v[57:58], v[59:60], v[57:58], v[57:58]
	v_add_f64 v[59:60], v[55:56], -1.0
	s_delay_alu instid0(VALU_DEP_1) | instskip(SKIP_1) | instid1(VALU_DEP_1)
	v_add_f64 v[59:60], v[53:54], -v[59:60]
	v_add_f64 v[53:54], v[53:54], -1.0
	v_mul_f64 v[61:62], v[53:54], v[57:58]
	s_delay_alu instid0(VALU_DEP_1) | instskip(NEXT) | instid1(VALU_DEP_1)
	v_mul_f64 v[63:64], v[55:56], v[61:62]
	v_fma_f64 v[55:56], v[61:62], v[55:56], -v[63:64]
	s_delay_alu instid0(VALU_DEP_1) | instskip(NEXT) | instid1(VALU_DEP_1)
	v_fma_f64 v[55:56], v[61:62], v[59:60], v[55:56]
	v_add_f64 v[59:60], v[63:64], v[55:56]
	s_delay_alu instid0(VALU_DEP_1) | instskip(NEXT) | instid1(VALU_DEP_1)
	v_add_f64 v[63:64], v[59:60], -v[63:64]
	v_add_f64 v[55:56], v[63:64], -v[55:56]
	;; [unrolled: 1-line block ×3, first 2 shown]
	s_delay_alu instid0(VALU_DEP_1) | instskip(NEXT) | instid1(VALU_DEP_1)
	v_add_f64 v[53:54], v[53:54], -v[63:64]
	v_add_f64 v[53:54], v[53:54], -v[59:60]
	s_delay_alu instid0(VALU_DEP_1) | instskip(SKIP_1) | instid1(VALU_DEP_2)
	v_add_f64 v[53:54], v[55:56], v[53:54]
	v_cvt_f64_i32_e32 v[55:56], v2
	v_add_f64 v[53:54], v[63:64], v[53:54]
	s_delay_alu instid0(VALU_DEP_1) | instskip(NEXT) | instid1(VALU_DEP_3)
	v_mul_f64 v[53:54], v[57:58], v[53:54]
	v_mul_f64 v[57:58], v[55:56], s[28:29]
	s_delay_alu instid0(VALU_DEP_1) | instskip(NEXT) | instid1(VALU_DEP_1)
	v_fma_f64 v[59:60], v[55:56], s[28:29], -v[57:58]
	v_fma_f64 v[55:56], v[55:56], s[30:31], v[59:60]
	s_delay_alu instid0(VALU_DEP_4) | instskip(NEXT) | instid1(VALU_DEP_1)
	v_add_f64 v[59:60], v[61:62], v[53:54]
	v_add_f64 v[61:62], v[59:60], -v[61:62]
	s_delay_alu instid0(VALU_DEP_1) | instskip(SKIP_1) | instid1(VALU_DEP_2)
	v_add_f64 v[53:54], v[53:54], -v[61:62]
	v_mul_f64 v[61:62], v[59:60], v[59:60]
	v_ldexp_f64 v[53:54], v[53:54], 1
	s_delay_alu instid0(VALU_DEP_2) | instskip(NEXT) | instid1(VALU_DEP_1)
	v_fma_f64 v[63:64], v[61:62], s[18:19], s[16:17]
	v_fma_f64 v[63:64], v[61:62], v[63:64], s[20:21]
	s_delay_alu instid0(VALU_DEP_1) | instskip(NEXT) | instid1(VALU_DEP_1)
	v_fma_f64 v[63:64], v[61:62], v[63:64], s[22:23]
	v_fma_f64 v[63:64], v[61:62], v[63:64], s[24:25]
	s_delay_alu instid0(VALU_DEP_1) | instskip(NEXT) | instid1(VALU_DEP_1)
	v_fma_f64 v[63:64], v[61:62], v[63:64], s[26:27]
	v_fma_f64 v[63:64], v[61:62], v[63:64], s[14:15]
	v_mul_f64 v[61:62], v[59:60], v[61:62]
	v_ldexp_f64 v[59:60], v[59:60], 1
	s_delay_alu instid0(VALU_DEP_2) | instskip(NEXT) | instid1(VALU_DEP_1)
	v_mul_f64 v[61:62], v[61:62], v[63:64]
	v_add_f64 v[63:64], v[59:60], v[61:62]
	s_delay_alu instid0(VALU_DEP_1) | instskip(NEXT) | instid1(VALU_DEP_1)
	v_add_f64 v[59:60], v[63:64], -v[59:60]
	v_add_f64 v[59:60], v[61:62], -v[59:60]
	s_delay_alu instid0(VALU_DEP_1) | instskip(SKIP_1) | instid1(VALU_DEP_1)
	v_add_f64 v[53:54], v[53:54], v[59:60]
	v_add_f64 v[59:60], v[57:58], v[55:56]
	v_add_f64 v[57:58], v[59:60], -v[57:58]
	s_delay_alu instid0(VALU_DEP_1) | instskip(NEXT) | instid1(VALU_DEP_4)
	v_add_f64 v[55:56], v[55:56], -v[57:58]
	v_add_f64 v[57:58], v[63:64], v[53:54]
	s_delay_alu instid0(VALU_DEP_1) | instskip(SKIP_1) | instid1(VALU_DEP_2)
	v_add_f64 v[61:62], v[57:58], -v[63:64]
	v_add_f64 v[63:64], v[59:60], v[57:58]
	v_add_f64 v[53:54], v[53:54], -v[61:62]
	s_delay_alu instid0(VALU_DEP_2) | instskip(NEXT) | instid1(VALU_DEP_1)
	v_add_f64 v[65:66], v[63:64], -v[59:60]
	v_add_f64 v[57:58], v[57:58], -v[65:66]
	;; [unrolled: 1-line block ×3, first 2 shown]
	s_delay_alu instid0(VALU_DEP_1) | instskip(NEXT) | instid1(VALU_DEP_1)
	v_add_f64 v[59:60], v[59:60], -v[65:66]
	v_add_f64 v[57:58], v[57:58], v[59:60]
	v_add_f64 v[59:60], v[55:56], v[53:54]
	s_delay_alu instid0(VALU_DEP_1) | instskip(NEXT) | instid1(VALU_DEP_3)
	v_add_f64 v[61:62], v[59:60], -v[55:56]
	v_add_f64 v[57:58], v[59:60], v[57:58]
	s_delay_alu instid0(VALU_DEP_2) | instskip(SKIP_1) | instid1(VALU_DEP_1)
	v_add_f64 v[53:54], v[53:54], -v[61:62]
	v_add_f64 v[61:62], v[59:60], -v[61:62]
	;; [unrolled: 1-line block ×3, first 2 shown]
	s_delay_alu instid0(VALU_DEP_1) | instskip(SKIP_1) | instid1(VALU_DEP_1)
	v_add_f64 v[53:54], v[53:54], v[55:56]
	v_add_f64 v[55:56], v[63:64], v[57:58]
	v_add_f64 v[59:60], v[55:56], -v[63:64]
	s_delay_alu instid0(VALU_DEP_1) | instskip(NEXT) | instid1(VALU_DEP_1)
	v_add_f64 v[57:58], v[57:58], -v[59:60]
	v_add_f64 v[53:54], v[53:54], v[57:58]
	s_delay_alu instid0(VALU_DEP_1) | instskip(NEXT) | instid1(VALU_DEP_1)
	v_add_f64 v[27:28], v[55:56], v[53:54]
	v_dual_cndmask_b32 v2, v28, v30 :: v_dual_cndmask_b32 v11, v27, v29
	s_delay_alu instid0(VALU_DEP_1) | instskip(NEXT) | instid1(VALU_DEP_2)
	v_cndmask_b32_e64 v2, 0x7ff80000, v2, s4
	v_cndmask_b32_e64 v27, 0, v11, s5
	s_delay_alu instid0(VALU_DEP_2) | instskip(NEXT) | instid1(VALU_DEP_1)
	v_cndmask_b32_e64 v28, 0xfff00000, v2, s6
	v_add_f64 v[25:26], v[25:26], v[27:28]
.LBB8_265:                              ;   in Loop: Header=BB8_145 Depth=1
	s_or_b32 exec_lo, exec_lo, s73
.LBB8_266:                              ;   in Loop: Header=BB8_145 Depth=1
	s_and_not1_saveexec_b32 s72, s72
	s_cbranch_execz .LBB8_280
; %bb.267:                              ;   in Loop: Header=BB8_145 Depth=1
	s_mov_b32 s6, exec_lo
                                        ; implicit-def: $sgpr4_sgpr5
                                        ; implicit-def: $vgpr2
                                        ; implicit-def: $vgpr27_vgpr28
	v_cmpx_lt_u32_e32 0x3feccccc, v24
	s_xor_b32 s6, exec_lo, s6
	s_cbranch_execz .LBB8_269
; %bb.268:                              ;   in Loop: Header=BB8_145 Depth=1
	s_mov_b32 s4, 0x6356be3f
	s_mov_b32 s5, 0xbff762d8
	v_add_f64 v[25:26], -|v[3:4]|, 2.0
	v_add_f64 v[27:28], |v[3:4]|, s[4:5]
	v_add_f64 v[29:30], |v[3:4]|, -1.0
	v_cmp_gt_u32_e32 vcc_lo, 0x3ffbb4c3, v24
	v_cmp_gt_u32_e64 s4, 0x3ff3b4c4, v24
	v_cndmask_b32_e64 v15, 0, 1, vcc_lo
	v_dual_cndmask_b32 v2, v26, v28 :: v_dual_cndmask_b32 v11, v25, v27
	s_delay_alu instid0(VALU_DEP_1) | instskip(NEXT) | instid1(VALU_DEP_2)
	v_cndmask_b32_e64 v28, v2, v30, s4
	v_cndmask_b32_e64 v27, v11, v29, s4
	s_delay_alu instid0(VALU_DEP_4)
	v_cndmask_b32_e64 v2, v15, 2, s4
	s_mov_b64 s[4:5], 0
.LBB8_269:                              ;   in Loop: Header=BB8_145 Depth=1
	s_or_saveexec_b32 s73, s6
	v_dual_mov_b32 v26, s5 :: v_dual_mov_b32 v25, s4
	s_xor_b32 exec_lo, exec_lo, s73
	s_cbranch_execz .LBB8_271
; %bb.270:                              ;   in Loop: Header=BB8_145 Depth=1
	v_frexp_mant_f64_e64 v[25:26], |v[3:4]|
	s_mov_b32 s15, s71
	s_mov_b32 s4, 0x8d5af8fc
	;; [unrolled: 1-line block ×3, first 2 shown]
	v_cmp_gt_u32_e64 s6, 0x3fcda661, v24
	s_delay_alu instid0(VALU_DEP_2) | instskip(SKIP_1) | instid1(VALU_DEP_1)
	v_cmp_gt_f64_e32 vcc_lo, s[70:71], v[25:26]
	v_cndmask_b32_e64 v2, 0x3ff00000, 2.0, vcc_lo
	v_mul_f64 v[25:26], v[25:26], v[1:2]
	v_frexp_exp_i32_f64_e32 v2, v[3:4]
	s_delay_alu instid0(VALU_DEP_2) | instskip(NEXT) | instid1(VALU_DEP_2)
	v_add_f64 v[27:28], v[25:26], 1.0
	v_subrev_co_ci_u32_e32 v2, vcc_lo, 0, v2, vcc_lo
	v_cmp_class_f64_e64 vcc_lo, v[3:4], 0x204
	s_delay_alu instid0(VALU_DEP_3) | instskip(SKIP_2) | instid1(VALU_DEP_1)
	v_rcp_f64_e32 v[29:30], v[27:28]
	s_waitcnt_depctr 0xfff
	v_fma_f64 v[53:54], -v[27:28], v[29:30], 1.0
	v_fma_f64 v[29:30], v[53:54], v[29:30], v[29:30]
	s_delay_alu instid0(VALU_DEP_1) | instskip(NEXT) | instid1(VALU_DEP_1)
	v_fma_f64 v[53:54], -v[27:28], v[29:30], 1.0
	v_fma_f64 v[29:30], v[53:54], v[29:30], v[29:30]
	v_add_f64 v[53:54], v[27:28], -1.0
	s_delay_alu instid0(VALU_DEP_1) | instskip(SKIP_1) | instid1(VALU_DEP_1)
	v_add_f64 v[53:54], v[25:26], -v[53:54]
	v_add_f64 v[25:26], v[25:26], -1.0
	v_mul_f64 v[55:56], v[25:26], v[29:30]
	s_delay_alu instid0(VALU_DEP_1) | instskip(NEXT) | instid1(VALU_DEP_1)
	v_mul_f64 v[57:58], v[27:28], v[55:56]
	v_fma_f64 v[27:28], v[55:56], v[27:28], -v[57:58]
	s_delay_alu instid0(VALU_DEP_1) | instskip(NEXT) | instid1(VALU_DEP_1)
	v_fma_f64 v[27:28], v[55:56], v[53:54], v[27:28]
	v_add_f64 v[53:54], v[57:58], v[27:28]
	s_delay_alu instid0(VALU_DEP_1) | instskip(NEXT) | instid1(VALU_DEP_1)
	v_add_f64 v[57:58], v[53:54], -v[57:58]
	v_add_f64 v[27:28], v[57:58], -v[27:28]
	v_add_f64 v[57:58], v[25:26], -v[53:54]
	s_delay_alu instid0(VALU_DEP_1) | instskip(NEXT) | instid1(VALU_DEP_1)
	v_add_f64 v[25:26], v[25:26], -v[57:58]
	v_add_f64 v[25:26], v[25:26], -v[53:54]
	s_delay_alu instid0(VALU_DEP_1) | instskip(SKIP_1) | instid1(VALU_DEP_2)
	v_add_f64 v[25:26], v[27:28], v[25:26]
	v_cvt_f64_i32_e32 v[27:28], v2
	v_add_f64 v[25:26], v[57:58], v[25:26]
	s_delay_alu instid0(VALU_DEP_1) | instskip(NEXT) | instid1(VALU_DEP_3)
	v_mul_f64 v[25:26], v[29:30], v[25:26]
	v_mul_f64 v[29:30], v[27:28], s[28:29]
	s_delay_alu instid0(VALU_DEP_1) | instskip(NEXT) | instid1(VALU_DEP_1)
	v_fma_f64 v[53:54], v[27:28], s[28:29], -v[29:30]
	v_fma_f64 v[27:28], v[27:28], s[30:31], v[53:54]
	s_delay_alu instid0(VALU_DEP_4) | instskip(NEXT) | instid1(VALU_DEP_1)
	v_add_f64 v[53:54], v[55:56], v[25:26]
	v_add_f64 v[55:56], v[53:54], -v[55:56]
	s_delay_alu instid0(VALU_DEP_1) | instskip(SKIP_1) | instid1(VALU_DEP_2)
	v_add_f64 v[25:26], v[25:26], -v[55:56]
	v_mul_f64 v[55:56], v[53:54], v[53:54]
	v_ldexp_f64 v[25:26], v[25:26], 1
	s_delay_alu instid0(VALU_DEP_2) | instskip(NEXT) | instid1(VALU_DEP_1)
	v_fma_f64 v[57:58], v[55:56], s[18:19], s[16:17]
	v_fma_f64 v[57:58], v[55:56], v[57:58], s[20:21]
	s_delay_alu instid0(VALU_DEP_1) | instskip(NEXT) | instid1(VALU_DEP_1)
	v_fma_f64 v[57:58], v[55:56], v[57:58], s[22:23]
	v_fma_f64 v[57:58], v[55:56], v[57:58], s[24:25]
	s_delay_alu instid0(VALU_DEP_1) | instskip(NEXT) | instid1(VALU_DEP_1)
	v_fma_f64 v[57:58], v[55:56], v[57:58], s[26:27]
	v_fma_f64 v[57:58], v[55:56], v[57:58], s[14:15]
	v_mul_f64 v[55:56], v[53:54], v[55:56]
	v_ldexp_f64 v[53:54], v[53:54], 1
	s_delay_alu instid0(VALU_DEP_2) | instskip(NEXT) | instid1(VALU_DEP_1)
	v_mul_f64 v[55:56], v[55:56], v[57:58]
	v_add_f64 v[57:58], v[53:54], v[55:56]
	s_delay_alu instid0(VALU_DEP_1) | instskip(NEXT) | instid1(VALU_DEP_1)
	v_add_f64 v[53:54], v[57:58], -v[53:54]
	v_add_f64 v[53:54], v[55:56], -v[53:54]
	s_delay_alu instid0(VALU_DEP_1) | instskip(SKIP_1) | instid1(VALU_DEP_1)
	v_add_f64 v[25:26], v[25:26], v[53:54]
	v_add_f64 v[53:54], v[29:30], v[27:28]
	v_add_f64 v[29:30], v[53:54], -v[29:30]
	s_delay_alu instid0(VALU_DEP_1) | instskip(NEXT) | instid1(VALU_DEP_4)
	v_add_f64 v[27:28], v[27:28], -v[29:30]
	v_add_f64 v[29:30], v[57:58], v[25:26]
	s_delay_alu instid0(VALU_DEP_1) | instskip(SKIP_1) | instid1(VALU_DEP_2)
	v_add_f64 v[55:56], v[29:30], -v[57:58]
	v_add_f64 v[57:58], v[53:54], v[29:30]
	v_add_f64 v[25:26], v[25:26], -v[55:56]
	s_delay_alu instid0(VALU_DEP_2) | instskip(NEXT) | instid1(VALU_DEP_1)
	v_add_f64 v[59:60], v[57:58], -v[53:54]
	v_add_f64 v[29:30], v[29:30], -v[59:60]
	;; [unrolled: 1-line block ×3, first 2 shown]
	s_delay_alu instid0(VALU_DEP_1) | instskip(NEXT) | instid1(VALU_DEP_1)
	v_add_f64 v[53:54], v[53:54], -v[59:60]
	v_add_f64 v[29:30], v[29:30], v[53:54]
	v_add_f64 v[53:54], v[27:28], v[25:26]
	s_delay_alu instid0(VALU_DEP_1) | instskip(NEXT) | instid1(VALU_DEP_3)
	v_add_f64 v[55:56], v[53:54], -v[27:28]
	v_add_f64 v[29:30], v[53:54], v[29:30]
	s_delay_alu instid0(VALU_DEP_2) | instskip(SKIP_1) | instid1(VALU_DEP_1)
	v_add_f64 v[25:26], v[25:26], -v[55:56]
	v_add_f64 v[55:56], v[53:54], -v[55:56]
	;; [unrolled: 1-line block ×3, first 2 shown]
	s_delay_alu instid0(VALU_DEP_1) | instskip(SKIP_1) | instid1(VALU_DEP_1)
	v_add_f64 v[25:26], v[25:26], v[27:28]
	v_add_f64 v[27:28], v[57:58], v[29:30]
	v_add_f64 v[53:54], v[27:28], -v[57:58]
	s_delay_alu instid0(VALU_DEP_1) | instskip(NEXT) | instid1(VALU_DEP_1)
	v_add_f64 v[29:30], v[29:30], -v[53:54]
	v_add_f64 v[25:26], v[25:26], v[29:30]
	v_add_f64 v[29:30], -|v[3:4]|, 1.0
	s_delay_alu instid0(VALU_DEP_2) | instskip(SKIP_3) | instid1(VALU_DEP_1)
	v_add_f64 v[25:26], v[27:28], v[25:26]
	v_add_f64 v[27:28], |v[3:4]|, s[4:5]
	v_cmp_neq_f64_e64 s4, 0, v[3:4]
	v_cmp_gt_u32_e64 s5, 0x3fe76944, v24
	v_cndmask_b32_e64 v23, 0, 1, s5
	v_cndmask_b32_e64 v15, -v26, -v24, vcc_lo
	v_cndmask_b32_e64 v2, v30, v28, s5
	v_cndmask_b32_e64 v11, v29, v27, s5
	v_cndmask_b32_e32 v19, v25, v3, vcc_lo
	s_delay_alu instid0(VALU_DEP_4) | instskip(NEXT) | instid1(VALU_DEP_4)
	v_cndmask_b32_e64 v26, 0x7ff00000, v15, s4
	v_cndmask_b32_e64 v28, v2, v24, s6
	s_delay_alu instid0(VALU_DEP_4) | instskip(NEXT) | instid1(VALU_DEP_4)
	v_cndmask_b32_e64 v27, v11, v3, s6
	v_cndmask_b32_e64 v25, 0, v19, s4
	v_cndmask_b32_e64 v2, v23, 2, s6
.LBB8_271:                              ;   in Loop: Header=BB8_145 Depth=1
	s_or_b32 exec_lo, exec_lo, s73
	s_delay_alu instid0(SALU_CYCLE_1) | instskip(NEXT) | instid1(VALU_DEP_1)
	s_mov_b32 s4, exec_lo
                                        ; implicit-def: $vgpr29_vgpr30
	v_cmpx_lt_i32_e32 1, v2
	s_xor_b32 s4, exec_lo, s4
	s_cbranch_execz .LBB8_273
; %bb.272:                              ;   in Loop: Header=BB8_145 Depth=1
	s_mov_b32 s78, 0xf6010924
	s_mov_b32 s79, 0x3fcd4eae
	v_fma_f64 v[53:54], v[27:28], s[90:91], s[88:89]
	v_fma_f64 v[29:30], v[27:28], s[80:81], s[78:79]
	s_mov_b32 s6, s60
                                        ; implicit-def: $vgpr2
	s_delay_alu instid0(VALU_DEP_2) | instskip(NEXT) | instid1(VALU_DEP_2)
	v_fma_f64 v[53:54], v[27:28], v[53:54], s[92:93]
	v_fma_f64 v[29:30], v[27:28], v[29:30], s[82:83]
	s_delay_alu instid0(VALU_DEP_2) | instskip(NEXT) | instid1(VALU_DEP_2)
	v_fma_f64 v[53:54], v[27:28], v[53:54], s[94:95]
	v_fma_f64 v[29:30], v[27:28], v[29:30], s[84:85]
	;; [unrolled: 3-line block ×3, first 2 shown]
	s_delay_alu instid0(VALU_DEP_2) | instskip(NEXT) | instid1(VALU_DEP_2)
	v_fma_f64 v[53:54], v[27:28], v[53:54], 1.0
	v_fma_f64 v[29:30], v[27:28], v[29:30], s[6:7]
	s_delay_alu instid0(VALU_DEP_1) | instskip(NEXT) | instid1(VALU_DEP_1)
	v_mul_f64 v[29:30], v[27:28], v[29:30]
	v_div_scale_f64 v[55:56], null, v[53:54], v[53:54], v[29:30]
	s_delay_alu instid0(VALU_DEP_1) | instskip(SKIP_2) | instid1(VALU_DEP_1)
	v_rcp_f64_e32 v[57:58], v[55:56]
	s_waitcnt_depctr 0xfff
	v_fma_f64 v[59:60], -v[55:56], v[57:58], 1.0
	v_fma_f64 v[57:58], v[57:58], v[59:60], v[57:58]
	s_delay_alu instid0(VALU_DEP_1) | instskip(NEXT) | instid1(VALU_DEP_1)
	v_fma_f64 v[59:60], -v[55:56], v[57:58], 1.0
	v_fma_f64 v[57:58], v[57:58], v[59:60], v[57:58]
	v_div_scale_f64 v[59:60], vcc_lo, v[29:30], v[53:54], v[29:30]
	s_delay_alu instid0(VALU_DEP_1) | instskip(NEXT) | instid1(VALU_DEP_1)
	v_mul_f64 v[61:62], v[59:60], v[57:58]
	v_fma_f64 v[55:56], -v[55:56], v[61:62], v[59:60]
	s_delay_alu instid0(VALU_DEP_1) | instskip(NEXT) | instid1(VALU_DEP_1)
	v_div_fmas_f64 v[55:56], v[55:56], v[57:58], v[61:62]
	v_div_fixup_f64 v[29:30], v[55:56], v[53:54], v[29:30]
	s_delay_alu instid0(VALU_DEP_1)
	v_fma_f64 v[29:30], v[27:28], -0.5, v[29:30]
                                        ; implicit-def: $vgpr27_vgpr28
.LBB8_273:                              ;   in Loop: Header=BB8_145 Depth=1
	s_and_not1_saveexec_b32 s4, s4
	s_cbranch_execz .LBB8_279
; %bb.274:                              ;   in Loop: Header=BB8_145 Depth=1
	s_mov_b32 s5, exec_lo
                                        ; implicit-def: $vgpr29_vgpr30
	v_cmpx_ne_u32_e32 1, v2
	s_xor_b32 s5, exec_lo, s5
	s_cbranch_execz .LBB8_276
; %bb.275:                              ;   in Loop: Header=BB8_145 Depth=1
	v_mul_f64 v[29:30], v[27:28], v[27:28]
	s_mov_b32 s78, 0x987dfb07
	s_mov_b32 s80, 0x90a45837
	;; [unrolled: 1-line block ×4, first 2 shown]
	s_delay_alu instid0(VALU_DEP_1) | instid1(SALU_CYCLE_1)
	v_fma_f64 v[53:54], v[29:30], s[80:81], s[78:79]
	s_mov_b32 s78, 0xed10e54d
	s_mov_b32 s80, 0x428cfa52
	;; [unrolled: 1-line block ×4, first 2 shown]
	s_delay_alu instid0(SALU_CYCLE_1) | instskip(SKIP_4) | instid1(VALU_DEP_2)
	v_fma_f64 v[55:56], v[29:30], s[80:81], s[78:79]
	s_mov_b32 s78, 0x89b99c00
	s_mov_b32 s79, 0x3f40b6c6
	;; [unrolled: 1-line block ×4, first 2 shown]
	v_fma_f64 v[53:54], v[29:30], v[53:54], s[78:79]
	s_mov_b32 s78, 0x116f3f5d
	s_mov_b32 s79, 0x3f538a94
	s_delay_alu instid0(VALU_DEP_2) | instid1(SALU_CYCLE_1)
	v_fma_f64 v[55:56], v[29:30], v[55:56], s[78:79]
	s_mov_b32 s78, 0xccb7926b
	s_mov_b32 s79, 0x3f67add8
	s_delay_alu instid0(VALU_DEP_2) | instid1(SALU_CYCLE_1)
	;; [unrolled: 4-line block ×6, first 2 shown]
	v_fma_f64 v[53:54], v[29:30], v[53:54], s[78:79]
	s_delay_alu instid0(VALU_DEP_2) | instskip(NEXT) | instid1(VALU_DEP_2)
	v_fma_f64 v[55:56], v[29:30], v[55:56], s[60:61]
	v_mul_f64 v[29:30], v[29:30], v[53:54]
	s_delay_alu instid0(VALU_DEP_1) | instskip(NEXT) | instid1(VALU_DEP_1)
	v_fma_f64 v[29:30], v[27:28], v[55:56], v[29:30]
	v_fma_f64 v[29:30], v[27:28], -0.5, v[29:30]
                                        ; implicit-def: $vgpr27_vgpr28
.LBB8_276:                              ;   in Loop: Header=BB8_145 Depth=1
	s_and_not1_saveexec_b32 s5, s5
	s_cbranch_execz .LBB8_278
; %bb.277:                              ;   in Loop: Header=BB8_145 Depth=1
	v_mul_f64 v[29:30], v[27:28], v[27:28]
	s_mov_b32 s78, 0xef61a8e9
	s_mov_b32 s82, 0xecc38c38
	;; [unrolled: 1-line block ×4, first 2 shown]
	s_delay_alu instid0(VALU_DEP_1) | instskip(NEXT) | instid1(VALU_DEP_1)
	v_mul_f64 v[53:54], v[27:28], v[29:30]
	v_fma_f64 v[55:56], v[53:54], s[82:83], s[78:79]
	s_mov_b32 s78, 0x9c73e0ec
	s_mov_b32 s82, 0xe8c2d3f4
	;; [unrolled: 1-line block ×4, first 2 shown]
	s_delay_alu instid0(SALU_CYCLE_1) | instskip(SKIP_4) | instid1(VALU_DEP_2)
	v_fma_f64 v[57:58], v[53:54], s[82:83], s[78:79]
	s_mov_b32 s78, 0xb3e914d7
	s_mov_b32 s79, 0xbf6e2eff
	;; [unrolled: 1-line block ×4, first 2 shown]
	v_fma_f64 v[55:56], v[53:54], v[55:56], s[78:79]
	s_mov_b32 s78, 0x2e15c915
	s_mov_b32 s79, 0x3f6282d3
	s_delay_alu instid0(VALU_DEP_2) | instid1(SALU_CYCLE_1)
	v_fma_f64 v[57:58], v[53:54], v[57:58], s[78:79]
	s_mov_b32 s78, 0xbf2d1af1
	s_mov_b32 s79, 0xbf56fe8e
	s_delay_alu instid0(SALU_CYCLE_1) | instskip(SKIP_4) | instid1(VALU_DEP_3)
	v_fma_f64 v[59:60], v[53:54], s[82:83], s[78:79]
	s_mov_b32 s78, 0x970af9ec
	s_mov_b32 s79, 0x3f9266e7
	;; [unrolled: 1-line block ×4, first 2 shown]
	v_fma_f64 v[55:56], v[53:54], v[55:56], s[78:79]
	s_mov_b32 s78, 0xba91ec6a
	s_mov_b32 s79, 0xbf851f9f
	s_delay_alu instid0(VALU_DEP_3) | instid1(SALU_CYCLE_1)
	v_fma_f64 v[57:58], v[53:54], v[57:58], s[78:79]
	s_mov_b32 s78, 0xe370e344
	s_mov_b32 s79, 0x3f78fce0
	s_delay_alu instid0(VALU_DEP_3) | instid1(SALU_CYCLE_1)
	;; [unrolled: 4-line block ×5, first 2 shown]
	v_fma_f64 v[59:60], v[53:54], v[59:60], s[78:79]
	s_mov_b32 s78, 0xc8ee38a2
	s_mov_b32 s79, 0x3fdef72b
	s_delay_alu instid0(VALU_DEP_2) | instskip(NEXT) | instid1(VALU_DEP_2)
	v_fma_f64 v[27:28], v[27:28], v[57:58], v[55:56]
	v_fma_f64 v[55:56], v[53:54], v[59:60], s[78:79]
	s_mov_b32 s78, 0xa48a971f
	s_mov_b32 s79, 0xbc50c7ca
	s_delay_alu instid0(VALU_DEP_2) | instid1(SALU_CYCLE_1)
	v_fma_f64 v[27:28], v[53:54], -v[27:28], s[78:79]
	s_mov_b32 s78, 0xbcc38a42
	s_mov_b32 s79, 0xbfbf19b9
	s_delay_alu instid0(VALU_DEP_1) | instskip(NEXT) | instid1(VALU_DEP_1)
	v_fma_f64 v[27:28], v[29:30], v[55:56], -v[27:28]
	v_add_f64 v[29:30], v[27:28], s[78:79]
.LBB8_278:                              ;   in Loop: Header=BB8_145 Depth=1
	s_or_b32 exec_lo, exec_lo, s5
.LBB8_279:                              ;   in Loop: Header=BB8_145 Depth=1
	s_delay_alu instid0(SALU_CYCLE_1) | instskip(NEXT) | instid1(VALU_DEP_1)
	s_or_b32 exec_lo, exec_lo, s4
	v_add_f64 v[25:26], v[25:26], v[29:30]
.LBB8_280:                              ;   in Loop: Header=BB8_145 Depth=1
	s_or_b32 exec_lo, exec_lo, s72
.LBB8_281:                              ;   in Loop: Header=BB8_145 Depth=1
	s_and_not1_saveexec_b32 s5, vcc_hi
	s_cbranch_execz .LBB8_283
; %bb.282:                              ;   in Loop: Header=BB8_145 Depth=1
	v_frexp_mant_f64_e64 v[25:26], |v[3:4]|
	s_mov_b32 s15, s71
	v_cmp_neq_f64_e64 s4, 0, v[3:4]
	s_delay_alu instid0(VALU_DEP_2) | instskip(SKIP_1) | instid1(VALU_DEP_1)
	v_cmp_gt_f64_e32 vcc_lo, s[70:71], v[25:26]
	v_cndmask_b32_e64 v2, 0x3ff00000, 2.0, vcc_lo
	v_mul_f64 v[25:26], v[25:26], v[1:2]
	v_frexp_exp_i32_f64_e32 v2, v[3:4]
	s_delay_alu instid0(VALU_DEP_2) | instskip(NEXT) | instid1(VALU_DEP_2)
	v_add_f64 v[27:28], v[25:26], 1.0
	v_subrev_co_ci_u32_e32 v2, vcc_lo, 0, v2, vcc_lo
	v_cmp_class_f64_e64 vcc_lo, v[3:4], 0x204
	s_delay_alu instid0(VALU_DEP_3) | instskip(SKIP_2) | instid1(VALU_DEP_1)
	v_rcp_f64_e32 v[29:30], v[27:28]
	s_waitcnt_depctr 0xfff
	v_fma_f64 v[53:54], -v[27:28], v[29:30], 1.0
	v_fma_f64 v[29:30], v[53:54], v[29:30], v[29:30]
	s_delay_alu instid0(VALU_DEP_1) | instskip(NEXT) | instid1(VALU_DEP_1)
	v_fma_f64 v[53:54], -v[27:28], v[29:30], 1.0
	v_fma_f64 v[29:30], v[53:54], v[29:30], v[29:30]
	v_add_f64 v[53:54], v[27:28], -1.0
	s_delay_alu instid0(VALU_DEP_1) | instskip(SKIP_1) | instid1(VALU_DEP_1)
	v_add_f64 v[53:54], v[25:26], -v[53:54]
	v_add_f64 v[25:26], v[25:26], -1.0
	v_mul_f64 v[55:56], v[25:26], v[29:30]
	s_delay_alu instid0(VALU_DEP_1) | instskip(NEXT) | instid1(VALU_DEP_1)
	v_mul_f64 v[57:58], v[27:28], v[55:56]
	v_fma_f64 v[27:28], v[55:56], v[27:28], -v[57:58]
	s_delay_alu instid0(VALU_DEP_1) | instskip(NEXT) | instid1(VALU_DEP_1)
	v_fma_f64 v[27:28], v[55:56], v[53:54], v[27:28]
	v_add_f64 v[53:54], v[57:58], v[27:28]
	s_delay_alu instid0(VALU_DEP_1) | instskip(NEXT) | instid1(VALU_DEP_1)
	v_add_f64 v[57:58], v[53:54], -v[57:58]
	v_add_f64 v[27:28], v[57:58], -v[27:28]
	;; [unrolled: 1-line block ×3, first 2 shown]
	s_delay_alu instid0(VALU_DEP_1) | instskip(NEXT) | instid1(VALU_DEP_1)
	v_add_f64 v[25:26], v[25:26], -v[57:58]
	v_add_f64 v[25:26], v[25:26], -v[53:54]
	s_delay_alu instid0(VALU_DEP_1) | instskip(SKIP_1) | instid1(VALU_DEP_2)
	v_add_f64 v[25:26], v[27:28], v[25:26]
	v_cvt_f64_i32_e32 v[27:28], v2
	v_add_f64 v[25:26], v[57:58], v[25:26]
	s_delay_alu instid0(VALU_DEP_1) | instskip(NEXT) | instid1(VALU_DEP_3)
	v_mul_f64 v[25:26], v[29:30], v[25:26]
	v_mul_f64 v[29:30], v[27:28], s[28:29]
	s_delay_alu instid0(VALU_DEP_1) | instskip(NEXT) | instid1(VALU_DEP_1)
	v_fma_f64 v[53:54], v[27:28], s[28:29], -v[29:30]
	v_fma_f64 v[27:28], v[27:28], s[30:31], v[53:54]
	s_delay_alu instid0(VALU_DEP_4) | instskip(NEXT) | instid1(VALU_DEP_1)
	v_add_f64 v[53:54], v[55:56], v[25:26]
	v_add_f64 v[55:56], v[53:54], -v[55:56]
	s_delay_alu instid0(VALU_DEP_1) | instskip(SKIP_1) | instid1(VALU_DEP_2)
	v_add_f64 v[25:26], v[25:26], -v[55:56]
	v_mul_f64 v[55:56], v[53:54], v[53:54]
	v_ldexp_f64 v[25:26], v[25:26], 1
	s_delay_alu instid0(VALU_DEP_2) | instskip(NEXT) | instid1(VALU_DEP_1)
	v_fma_f64 v[57:58], v[55:56], s[18:19], s[16:17]
	v_fma_f64 v[57:58], v[55:56], v[57:58], s[20:21]
	s_delay_alu instid0(VALU_DEP_1) | instskip(NEXT) | instid1(VALU_DEP_1)
	v_fma_f64 v[57:58], v[55:56], v[57:58], s[22:23]
	v_fma_f64 v[57:58], v[55:56], v[57:58], s[24:25]
	s_delay_alu instid0(VALU_DEP_1) | instskip(NEXT) | instid1(VALU_DEP_1)
	v_fma_f64 v[57:58], v[55:56], v[57:58], s[26:27]
	v_fma_f64 v[57:58], v[55:56], v[57:58], s[14:15]
	v_mul_f64 v[55:56], v[53:54], v[55:56]
	v_ldexp_f64 v[53:54], v[53:54], 1
	s_delay_alu instid0(VALU_DEP_2) | instskip(NEXT) | instid1(VALU_DEP_1)
	v_mul_f64 v[55:56], v[55:56], v[57:58]
	v_add_f64 v[57:58], v[53:54], v[55:56]
	s_delay_alu instid0(VALU_DEP_1) | instskip(NEXT) | instid1(VALU_DEP_1)
	v_add_f64 v[53:54], v[57:58], -v[53:54]
	v_add_f64 v[53:54], v[55:56], -v[53:54]
	s_delay_alu instid0(VALU_DEP_1) | instskip(SKIP_1) | instid1(VALU_DEP_1)
	v_add_f64 v[25:26], v[25:26], v[53:54]
	v_add_f64 v[53:54], v[29:30], v[27:28]
	v_add_f64 v[29:30], v[53:54], -v[29:30]
	s_delay_alu instid0(VALU_DEP_1) | instskip(NEXT) | instid1(VALU_DEP_4)
	v_add_f64 v[27:28], v[27:28], -v[29:30]
	v_add_f64 v[29:30], v[57:58], v[25:26]
	s_delay_alu instid0(VALU_DEP_1) | instskip(SKIP_1) | instid1(VALU_DEP_2)
	v_add_f64 v[55:56], v[29:30], -v[57:58]
	v_add_f64 v[57:58], v[53:54], v[29:30]
	v_add_f64 v[25:26], v[25:26], -v[55:56]
	s_delay_alu instid0(VALU_DEP_2) | instskip(NEXT) | instid1(VALU_DEP_1)
	v_add_f64 v[59:60], v[57:58], -v[53:54]
	v_add_f64 v[29:30], v[29:30], -v[59:60]
	;; [unrolled: 1-line block ×3, first 2 shown]
	s_delay_alu instid0(VALU_DEP_1) | instskip(NEXT) | instid1(VALU_DEP_1)
	v_add_f64 v[53:54], v[53:54], -v[59:60]
	v_add_f64 v[29:30], v[29:30], v[53:54]
	v_add_f64 v[53:54], v[27:28], v[25:26]
	s_delay_alu instid0(VALU_DEP_1) | instskip(NEXT) | instid1(VALU_DEP_3)
	v_add_f64 v[55:56], v[53:54], -v[27:28]
	v_add_f64 v[29:30], v[53:54], v[29:30]
	s_delay_alu instid0(VALU_DEP_2) | instskip(SKIP_1) | instid1(VALU_DEP_1)
	v_add_f64 v[25:26], v[25:26], -v[55:56]
	v_add_f64 v[55:56], v[53:54], -v[55:56]
	;; [unrolled: 1-line block ×3, first 2 shown]
	s_delay_alu instid0(VALU_DEP_1) | instskip(SKIP_1) | instid1(VALU_DEP_1)
	v_add_f64 v[25:26], v[25:26], v[27:28]
	v_add_f64 v[27:28], v[57:58], v[29:30]
	v_add_f64 v[53:54], v[27:28], -v[57:58]
	s_delay_alu instid0(VALU_DEP_1) | instskip(NEXT) | instid1(VALU_DEP_1)
	v_add_f64 v[29:30], v[29:30], -v[53:54]
	v_add_f64 v[25:26], v[25:26], v[29:30]
	v_fma_f64 v[29:30], |v[3:4]|, s[46:47], s[44:45]
	s_delay_alu instid0(VALU_DEP_2) | instskip(NEXT) | instid1(VALU_DEP_2)
	v_add_f64 v[25:26], v[27:28], v[25:26]
	v_fma_f64 v[29:30], |v[3:4]|, v[29:30], s[98:99]
	s_delay_alu instid0(VALU_DEP_2) | instskip(NEXT) | instid1(VALU_DEP_2)
	v_cndmask_b32_e64 v2, -v26, -v24, vcc_lo
	v_fma_f64 v[29:30], |v[3:4]|, v[29:30], s[100:101]
	s_delay_alu instid0(VALU_DEP_4) | instskip(NEXT) | instid1(VALU_DEP_3)
	v_cndmask_b32_e32 v11, v25, v3, vcc_lo
	v_cndmask_b32_e64 v26, 0x7ff00000, v2, s4
	s_delay_alu instid0(VALU_DEP_2) | instskip(NEXT) | instid1(VALU_DEP_4)
	v_cndmask_b32_e64 v25, 0, v11, s4
	v_fma_f64 v[27:28], |v[3:4]|, v[29:30], s[102:103]
	s_delay_alu instid0(VALU_DEP_1)
	v_fma_f64 v[25:26], |v[3:4]|, v[27:28], v[25:26]
.LBB8_283:                              ;   in Loop: Header=BB8_145 Depth=1
	s_or_b32 exec_lo, exec_lo, s5
	s_delay_alu instid0(SALU_CYCLE_1)
	s_mov_b32 s4, exec_lo
	v_cmpx_le_f64_e32 0, v[3:4]
	s_xor_b32 s5, exec_lo, s4
	s_cbranch_execnz .LBB8_289
; %bb.284:                              ;   in Loop: Header=BB8_145 Depth=1
	s_and_not1_saveexec_b32 s5, s5
	s_cbranch_execnz .LBB8_290
.LBB8_285:                              ;   in Loop: Header=BB8_145 Depth=1
	s_or_b32 exec_lo, exec_lo, s5
	s_and_saveexec_b32 s4, s3
	s_delay_alu instid0(SALU_CYCLE_1)
	s_xor_b32 s5, exec_lo, s4
	s_cbranch_execnz .LBB8_293
.LBB8_286:                              ;   in Loop: Header=BB8_145 Depth=1
	s_or_b32 exec_lo, exec_lo, s5
	s_and_saveexec_b32 s4, s2
	s_cbranch_execnz .LBB8_294
.LBB8_287:                              ;   in Loop: Header=BB8_145 Depth=1
	s_or_b32 exec_lo, exec_lo, s4
	s_and_saveexec_b32 s3, s1
	s_cbranch_execnz .LBB8_295
.LBB8_288:                              ;   in Loop: Header=BB8_145 Depth=1
	s_or_b32 exec_lo, exec_lo, s3
	s_and_saveexec_b32 s2, s0
	s_cbranch_execz .LBB8_144
	s_branch .LBB8_296
.LBB8_289:                              ;   in Loop: Header=BB8_145 Depth=1
	v_cmp_eq_f64_e32 vcc_lo, 1.0, v[3:4]
	v_cmp_eq_f64_e64 s4, 2.0, v[3:4]
	s_delay_alu instid0(VALU_DEP_1)
	s_or_b32 s4, vcc_lo, s4
	s_delay_alu instid0(VALU_DEP_4) | instid1(SALU_CYCLE_1)
	v_cndmask_b32_e64 v26, v26, 0, s4
	v_cndmask_b32_e64 v25, v25, 0, s4
	s_and_not1_saveexec_b32 s5, s5
	s_cbranch_execz .LBB8_285
.LBB8_290:                              ;   in Loop: Header=BB8_145 Depth=1
	v_add_nc_u32_e32 v2, 0xc32fffff, v24
	s_mov_b32 s6, exec_lo
	s_delay_alu instid0(VALU_DEP_1)
	v_cmpx_gt_u32_e32 0x65fffff, v2
	s_cbranch_execz .LBB8_292
; %bb.291:                              ;   in Loop: Header=BB8_145 Depth=1
	v_mul_f64 v[27:28], |v[3:4]|, 0.5
	v_cmp_gt_f64_e64 s4, |v[3:4]|, 1.0
	s_mov_b32 s15, s71
	s_delay_alu instid0(VALU_DEP_2) | instskip(SKIP_1) | instid1(VALU_DEP_2)
	v_fract_f64_e32 v[29:30], v[27:28]
	v_cmp_neq_f64_e64 vcc_lo, 0x7ff00000, |v[27:28]|
	v_add_f64 v[27:28], v[29:30], v[29:30]
	s_delay_alu instid0(VALU_DEP_1) | instskip(NEXT) | instid1(VALU_DEP_1)
	v_dual_cndmask_b32 v2, 0, v28 :: v_dual_cndmask_b32 v11, 0, v27
	v_cndmask_b32_e64 v28, v24, v2, s4
	s_delay_alu instid0(VALU_DEP_2) | instskip(NEXT) | instid1(VALU_DEP_1)
	v_cndmask_b32_e64 v27, v3, v11, s4
	v_add_f64 v[29:30], v[27:28], v[27:28]
	s_delay_alu instid0(VALU_DEP_1) | instskip(NEXT) | instid1(VALU_DEP_1)
	v_rndne_f64_e32 v[29:30], v[29:30]
	v_fma_f64 v[27:28], v[29:30], -0.5, v[27:28]
	v_cvt_i32_f64_e32 v2, v[29:30]
	s_delay_alu instid0(VALU_DEP_2) | instskip(NEXT) | instid1(VALU_DEP_2)
	v_mul_f64 v[53:54], v[27:28], v[27:28]
	v_and_b32_e32 v11, 1, v2
	v_lshlrev_b32_e32 v2, 30, v2
	s_delay_alu instid0(VALU_DEP_2) | instskip(NEXT) | instid1(VALU_DEP_2)
	v_cmp_eq_u32_e32 vcc_lo, 0, v11
	v_xor_b32_e32 v2, v2, v4
	s_delay_alu instid0(VALU_DEP_1) | instskip(SKIP_2) | instid1(VALU_DEP_2)
	v_and_b32_e32 v2, 0x80000000, v2
	v_fma_f64 v[55:56], v[53:54], s[36:37], s[34:35]
	v_mul_f64 v[57:58], v[27:28], v[53:54]
	v_fma_f64 v[55:56], v[53:54], v[55:56], s[38:39]
	s_delay_alu instid0(VALU_DEP_1) | instskip(NEXT) | instid1(VALU_DEP_1)
	v_fma_f64 v[55:56], v[53:54], v[55:56], s[40:41]
	v_fma_f64 v[55:56], v[53:54], v[55:56], s[42:43]
	s_delay_alu instid0(VALU_DEP_1) | instskip(NEXT) | instid1(VALU_DEP_1)
	v_fma_f64 v[55:56], v[53:54], v[55:56], s[48:49]
	v_mul_f64 v[55:56], v[57:58], v[55:56]
	s_delay_alu instid0(VALU_DEP_1) | instskip(SKIP_1) | instid1(VALU_DEP_1)
	v_fma_f64 v[27:28], v[27:28], s[50:51], v[55:56]
	v_fma_f64 v[55:56], v[53:54], s[54:55], s[52:53]
	v_fma_f64 v[55:56], v[53:54], v[55:56], s[56:57]
	s_delay_alu instid0(VALU_DEP_1) | instskip(NEXT) | instid1(VALU_DEP_1)
	v_fma_f64 v[55:56], v[53:54], v[55:56], s[58:59]
	v_fma_f64 v[55:56], v[53:54], v[55:56], s[62:63]
	s_delay_alu instid0(VALU_DEP_1) | instskip(NEXT) | instid1(VALU_DEP_1)
	v_fma_f64 v[55:56], v[53:54], v[55:56], s[64:65]
	v_fma_f64 v[55:56], v[53:54], v[55:56], s[66:67]
	s_delay_alu instid0(VALU_DEP_1) | instskip(NEXT) | instid1(VALU_DEP_1)
	v_fma_f64 v[53:54], v[53:54], v[55:56], 1.0
	v_cndmask_b32_e32 v11, v53, v27, vcc_lo
	s_delay_alu instid0(VALU_DEP_2) | instskip(SKIP_1) | instid1(VALU_DEP_2)
	v_cndmask_b32_e32 v15, v54, v28, vcc_lo
	v_cmp_class_f64_e64 vcc_lo, v[3:4], 0x1f8
	v_xor_b32_e32 v2, v15, v2
	s_delay_alu instid0(VALU_DEP_4) | instskip(NEXT) | instid1(VALU_DEP_2)
	v_cndmask_b32_e32 v27, 0, v11, vcc_lo
	v_cndmask_b32_e32 v28, 0x7ff80000, v2, vcc_lo
	s_delay_alu instid0(VALU_DEP_1) | instskip(NEXT) | instid1(VALU_DEP_1)
	v_mul_f64 v[27:28], v[3:4], v[27:28]
	v_dual_mov_b32 v29, v27 :: v_dual_and_b32 v30, 0x7fffffff, v28
	s_delay_alu instid0(VALU_DEP_1) | instskip(SKIP_1) | instid1(VALU_DEP_2)
	v_div_scale_f64 v[53:54], null, v[29:30], v[29:30], s[50:51]
	v_div_scale_f64 v[29:30], vcc_lo, s[50:51], v[29:30], s[50:51]
	v_rcp_f64_e32 v[55:56], v[53:54]
	s_waitcnt_depctr 0xfff
	v_fma_f64 v[57:58], -v[53:54], v[55:56], 1.0
	s_delay_alu instid0(VALU_DEP_1) | instskip(NEXT) | instid1(VALU_DEP_1)
	v_fma_f64 v[55:56], v[55:56], v[57:58], v[55:56]
	v_fma_f64 v[57:58], -v[53:54], v[55:56], 1.0
	s_delay_alu instid0(VALU_DEP_1) | instskip(NEXT) | instid1(VALU_DEP_1)
	v_fma_f64 v[55:56], v[55:56], v[57:58], v[55:56]
	v_mul_f64 v[57:58], v[29:30], v[55:56]
	s_delay_alu instid0(VALU_DEP_1) | instskip(NEXT) | instid1(VALU_DEP_1)
	v_fma_f64 v[29:30], -v[53:54], v[57:58], v[29:30]
	v_div_fmas_f64 v[29:30], v[29:30], v[55:56], v[57:58]
	s_delay_alu instid0(VALU_DEP_1) | instskip(NEXT) | instid1(VALU_DEP_1)
	v_div_fixup_f64 v[27:28], v[29:30], |v[27:28]|, s[50:51]
	v_frexp_mant_f64_e32 v[29:30], v[27:28]
	v_cmp_neq_f64_e64 s4, 0, v[27:28]
	s_delay_alu instid0(VALU_DEP_2) | instskip(SKIP_1) | instid1(VALU_DEP_1)
	v_cmp_gt_f64_e32 vcc_lo, s[70:71], v[29:30]
	v_cndmask_b32_e64 v2, 0x3ff00000, 2.0, vcc_lo
	v_mul_f64 v[29:30], v[29:30], v[1:2]
	v_frexp_exp_i32_f64_e32 v2, v[27:28]
	s_delay_alu instid0(VALU_DEP_2) | instskip(NEXT) | instid1(VALU_DEP_2)
	v_add_f64 v[53:54], v[29:30], 1.0
	v_subrev_co_ci_u32_e32 v2, vcc_lo, 0, v2, vcc_lo
	v_cmp_class_f64_e64 vcc_lo, v[27:28], 0x204
	s_delay_alu instid0(VALU_DEP_3) | instskip(SKIP_2) | instid1(VALU_DEP_1)
	v_rcp_f64_e32 v[55:56], v[53:54]
	s_waitcnt_depctr 0xfff
	v_fma_f64 v[57:58], -v[53:54], v[55:56], 1.0
	v_fma_f64 v[55:56], v[57:58], v[55:56], v[55:56]
	s_delay_alu instid0(VALU_DEP_1) | instskip(NEXT) | instid1(VALU_DEP_1)
	v_fma_f64 v[57:58], -v[53:54], v[55:56], 1.0
	v_fma_f64 v[55:56], v[57:58], v[55:56], v[55:56]
	v_add_f64 v[57:58], v[53:54], -1.0
	s_delay_alu instid0(VALU_DEP_1) | instskip(SKIP_1) | instid1(VALU_DEP_1)
	v_add_f64 v[57:58], v[29:30], -v[57:58]
	v_add_f64 v[29:30], v[29:30], -1.0
	v_mul_f64 v[59:60], v[29:30], v[55:56]
	s_delay_alu instid0(VALU_DEP_1) | instskip(NEXT) | instid1(VALU_DEP_1)
	v_mul_f64 v[61:62], v[53:54], v[59:60]
	v_fma_f64 v[53:54], v[59:60], v[53:54], -v[61:62]
	s_delay_alu instid0(VALU_DEP_1) | instskip(NEXT) | instid1(VALU_DEP_1)
	v_fma_f64 v[53:54], v[59:60], v[57:58], v[53:54]
	v_add_f64 v[57:58], v[61:62], v[53:54]
	s_delay_alu instid0(VALU_DEP_1) | instskip(NEXT) | instid1(VALU_DEP_1)
	v_add_f64 v[61:62], v[57:58], -v[61:62]
	v_add_f64 v[53:54], v[61:62], -v[53:54]
	;; [unrolled: 1-line block ×3, first 2 shown]
	s_delay_alu instid0(VALU_DEP_1) | instskip(NEXT) | instid1(VALU_DEP_1)
	v_add_f64 v[29:30], v[29:30], -v[61:62]
	v_add_f64 v[29:30], v[29:30], -v[57:58]
	s_delay_alu instid0(VALU_DEP_1) | instskip(SKIP_1) | instid1(VALU_DEP_2)
	v_add_f64 v[29:30], v[53:54], v[29:30]
	v_cvt_f64_i32_e32 v[53:54], v2
	v_add_f64 v[29:30], v[61:62], v[29:30]
	s_delay_alu instid0(VALU_DEP_1) | instskip(NEXT) | instid1(VALU_DEP_3)
	v_mul_f64 v[29:30], v[55:56], v[29:30]
	v_mul_f64 v[55:56], v[53:54], s[28:29]
	s_delay_alu instid0(VALU_DEP_1) | instskip(NEXT) | instid1(VALU_DEP_1)
	v_fma_f64 v[57:58], v[53:54], s[28:29], -v[55:56]
	v_fma_f64 v[53:54], v[53:54], s[30:31], v[57:58]
	s_delay_alu instid0(VALU_DEP_4) | instskip(NEXT) | instid1(VALU_DEP_1)
	v_add_f64 v[57:58], v[59:60], v[29:30]
	v_add_f64 v[59:60], v[57:58], -v[59:60]
	s_delay_alu instid0(VALU_DEP_1) | instskip(SKIP_1) | instid1(VALU_DEP_2)
	v_add_f64 v[29:30], v[29:30], -v[59:60]
	v_mul_f64 v[59:60], v[57:58], v[57:58]
	v_ldexp_f64 v[29:30], v[29:30], 1
	s_delay_alu instid0(VALU_DEP_2) | instskip(NEXT) | instid1(VALU_DEP_1)
	v_fma_f64 v[61:62], v[59:60], s[18:19], s[16:17]
	v_fma_f64 v[61:62], v[59:60], v[61:62], s[20:21]
	s_delay_alu instid0(VALU_DEP_1) | instskip(NEXT) | instid1(VALU_DEP_1)
	v_fma_f64 v[61:62], v[59:60], v[61:62], s[22:23]
	v_fma_f64 v[61:62], v[59:60], v[61:62], s[24:25]
	s_delay_alu instid0(VALU_DEP_1) | instskip(NEXT) | instid1(VALU_DEP_1)
	v_fma_f64 v[61:62], v[59:60], v[61:62], s[26:27]
	v_fma_f64 v[61:62], v[59:60], v[61:62], s[14:15]
	v_mul_f64 v[59:60], v[57:58], v[59:60]
	v_ldexp_f64 v[57:58], v[57:58], 1
	s_delay_alu instid0(VALU_DEP_2) | instskip(NEXT) | instid1(VALU_DEP_1)
	v_mul_f64 v[59:60], v[59:60], v[61:62]
	v_add_f64 v[61:62], v[57:58], v[59:60]
	s_delay_alu instid0(VALU_DEP_1) | instskip(NEXT) | instid1(VALU_DEP_1)
	v_add_f64 v[57:58], v[61:62], -v[57:58]
	v_add_f64 v[57:58], v[59:60], -v[57:58]
	s_delay_alu instid0(VALU_DEP_1) | instskip(SKIP_1) | instid1(VALU_DEP_1)
	v_add_f64 v[29:30], v[29:30], v[57:58]
	v_add_f64 v[57:58], v[55:56], v[53:54]
	v_add_f64 v[55:56], v[57:58], -v[55:56]
	s_delay_alu instid0(VALU_DEP_1) | instskip(NEXT) | instid1(VALU_DEP_4)
	v_add_f64 v[53:54], v[53:54], -v[55:56]
	v_add_f64 v[55:56], v[61:62], v[29:30]
	s_delay_alu instid0(VALU_DEP_1) | instskip(SKIP_1) | instid1(VALU_DEP_2)
	v_add_f64 v[59:60], v[55:56], -v[61:62]
	v_add_f64 v[61:62], v[57:58], v[55:56]
	v_add_f64 v[29:30], v[29:30], -v[59:60]
	s_delay_alu instid0(VALU_DEP_2) | instskip(NEXT) | instid1(VALU_DEP_1)
	v_add_f64 v[63:64], v[61:62], -v[57:58]
	v_add_f64 v[55:56], v[55:56], -v[63:64]
	;; [unrolled: 1-line block ×3, first 2 shown]
	s_delay_alu instid0(VALU_DEP_1) | instskip(NEXT) | instid1(VALU_DEP_1)
	v_add_f64 v[57:58], v[57:58], -v[63:64]
	v_add_f64 v[55:56], v[55:56], v[57:58]
	v_add_f64 v[57:58], v[53:54], v[29:30]
	s_delay_alu instid0(VALU_DEP_1) | instskip(NEXT) | instid1(VALU_DEP_3)
	v_add_f64 v[59:60], v[57:58], -v[53:54]
	v_add_f64 v[55:56], v[57:58], v[55:56]
	s_delay_alu instid0(VALU_DEP_2) | instskip(SKIP_1) | instid1(VALU_DEP_1)
	v_add_f64 v[29:30], v[29:30], -v[59:60]
	v_add_f64 v[59:60], v[57:58], -v[59:60]
	;; [unrolled: 1-line block ×3, first 2 shown]
	s_delay_alu instid0(VALU_DEP_1) | instskip(SKIP_1) | instid1(VALU_DEP_1)
	v_add_f64 v[29:30], v[29:30], v[53:54]
	v_add_f64 v[53:54], v[61:62], v[55:56]
	v_add_f64 v[57:58], v[53:54], -v[61:62]
	s_delay_alu instid0(VALU_DEP_1) | instskip(NEXT) | instid1(VALU_DEP_1)
	v_add_f64 v[55:56], v[55:56], -v[57:58]
	v_add_f64 v[29:30], v[29:30], v[55:56]
	s_delay_alu instid0(VALU_DEP_1) | instskip(NEXT) | instid1(VALU_DEP_1)
	v_add_f64 v[29:30], v[53:54], v[29:30]
	v_dual_cndmask_b32 v2, v29, v27 :: v_dual_cndmask_b32 v11, v30, v28
	v_fract_f64_e32 v[27:28], v[3:4]
	s_delay_alu instid0(VALU_DEP_2) | instskip(NEXT) | instid1(VALU_DEP_3)
	v_cndmask_b32_e64 v29, 0, v2, s4
	v_cndmask_b32_e64 v30, 0xfff00000, v11, s4
	v_cmp_class_f64_e64 s4, v[3:4], 0x204
	s_delay_alu instid0(VALU_DEP_2) | instskip(SKIP_1) | instid1(VALU_DEP_3)
	v_add_f64 v[25:26], v[29:30], -v[25:26]
	v_cmp_eq_f64_e32 vcc_lo, 0, v[27:28]
	s_or_b32 s4, s4, vcc_lo
	s_delay_alu instid0(VALU_DEP_2) | instid1(SALU_CYCLE_1)
	v_cndmask_b32_e64 v26, v26, 0x7ff00000, s4
	s_delay_alu instid0(VALU_DEP_3)
	v_cndmask_b32_e64 v25, v25, 0, s4
.LBB8_292:                              ;   in Loop: Header=BB8_145 Depth=1
	s_or_b32 exec_lo, exec_lo, s6
	s_delay_alu instid0(SALU_CYCLE_1) | instskip(SKIP_1) | instid1(SALU_CYCLE_1)
	s_or_b32 exec_lo, exec_lo, s5
	s_and_saveexec_b32 s4, s3
	s_xor_b32 s5, exec_lo, s4
	s_cbranch_execz .LBB8_286
.LBB8_293:                              ;   in Loop: Header=BB8_145 Depth=1
	v_cmp_gt_f64_e32 vcc_lo, 0, v[9:10]
	v_cmp_class_f64_e64 s6, v[9:10], 0x264
	v_cmp_u_f64_e64 s3, v[9:10], v[9:10]
	v_cmp_lt_u32_e64 s4, 0x432fffff, v12
	s_delay_alu instid0(VALU_DEP_1) | instskip(SKIP_1) | instid1(VALU_DEP_4)
	s_and_b32 s4, vcc_lo, s4
	v_add_co_u32 v11, vcc_lo, v32, s8
	s_or_b32 s4, s6, s4
	s_delay_alu instid0(SALU_CYCLE_1) | instskip(SKIP_1) | instid1(VALU_DEP_2)
	v_cndmask_b32_e64 v2, v14, 0x7ff00000, s4
	v_cndmask_b32_e64 v12, v13, 0, s4
	;; [unrolled: 1-line block ×3, first 2 shown]
	s_delay_alu instid0(VALU_DEP_2)
	v_cndmask_b32_e64 v9, v12, v9, s3
	v_add_co_ci_u32_e32 v12, vcc_lo, s9, v45, vcc_lo
	global_store_b64 v[11:12], v[9:10], off
	s_or_b32 exec_lo, exec_lo, s5
	s_and_saveexec_b32 s4, s2
	s_cbranch_execz .LBB8_287
.LBB8_294:                              ;   in Loop: Header=BB8_145 Depth=1
	v_cmp_gt_f64_e32 vcc_lo, 0, v[5:6]
	v_cmp_class_f64_e64 s5, v[5:6], 0x264
	v_cmp_u_f64_e64 s2, v[5:6], v[5:6]
	v_cmp_lt_u32_e64 s3, 0x432fffff, v16
	s_delay_alu instid0(VALU_DEP_1) | instskip(SKIP_1) | instid1(VALU_DEP_4)
	s_and_b32 s3, vcc_lo, s3
	v_add_co_u32 v9, vcc_lo, v43, s8
	s_or_b32 s3, s5, s3
	s_delay_alu instid0(SALU_CYCLE_1) | instskip(SKIP_1) | instid1(VALU_DEP_2)
	v_cndmask_b32_e64 v2, v18, 0x7ff00000, s3
	v_cndmask_b32_e64 v10, v17, 0, s3
	v_cndmask_b32_e64 v6, v2, v6, s2
	s_delay_alu instid0(VALU_DEP_2)
	v_cndmask_b32_e64 v5, v10, v5, s2
	v_add_co_ci_u32_e32 v10, vcc_lo, s9, v52, vcc_lo
	global_store_b64 v[9:10], v[5:6], off
	s_or_b32 exec_lo, exec_lo, s4
	s_and_saveexec_b32 s3, s1
	s_cbranch_execz .LBB8_288
.LBB8_295:                              ;   in Loop: Header=BB8_145 Depth=1
	v_cmp_gt_f64_e32 vcc_lo, 0, v[7:8]
	v_cmp_class_f64_e64 s4, v[7:8], 0x264
	v_cmp_u_f64_e64 s1, v[7:8], v[7:8]
	v_cmp_lt_u32_e64 s2, 0x432fffff, v20
	s_delay_alu instid0(VALU_DEP_1) | instskip(SKIP_1) | instid1(VALU_DEP_4)
	s_and_b32 s2, vcc_lo, s2
	v_add_co_u32 v5, vcc_lo, v38, s8
	s_or_b32 s2, s4, s2
	s_delay_alu instid0(SALU_CYCLE_1) | instskip(SKIP_1) | instid1(VALU_DEP_2)
	v_cndmask_b32_e64 v2, v22, 0x7ff00000, s2
	v_cndmask_b32_e64 v6, v21, 0, s2
	;; [unrolled: 1-line block ×3, first 2 shown]
	s_delay_alu instid0(VALU_DEP_2)
	v_cndmask_b32_e64 v7, v6, v7, s1
	v_add_co_ci_u32_e32 v6, vcc_lo, s9, v40, vcc_lo
	global_store_b64 v[5:6], v[7:8], off
	s_or_b32 exec_lo, exec_lo, s3
	s_and_saveexec_b32 s2, s0
	s_cbranch_execz .LBB8_144
.LBB8_296:                              ;   in Loop: Header=BB8_145 Depth=1
	v_cmp_gt_f64_e32 vcc_lo, 0, v[3:4]
	v_cmp_class_f64_e64 s3, v[3:4], 0x264
	v_cmp_u_f64_e64 s0, v[3:4], v[3:4]
	v_cmp_lt_u32_e64 s1, 0x432fffff, v24
	s_delay_alu instid0(VALU_DEP_1) | instskip(SKIP_1) | instid1(VALU_DEP_4)
	s_and_b32 s1, vcc_lo, s1
	v_add_co_u32 v2, vcc_lo, v34, s8
	s_or_b32 s1, s3, s1
	s_delay_alu instid0(SALU_CYCLE_1) | instskip(SKIP_1) | instid1(VALU_DEP_2)
	v_cndmask_b32_e64 v5, v26, 0x7ff00000, s1
	v_cndmask_b32_e64 v6, v25, 0, s1
	;; [unrolled: 1-line block ×3, first 2 shown]
	s_delay_alu instid0(VALU_DEP_2)
	v_cndmask_b32_e64 v4, v6, v3, s0
	v_add_co_ci_u32_e32 v3, vcc_lo, s9, v36, vcc_lo
	global_store_b64 v[2:3], v[4:5], off
	s_branch .LBB8_144
.LBB8_297:
	s_nop 0
	s_sendmsg sendmsg(MSG_DEALLOC_VGPRS)
	s_endpgm
	.section	.rodata,"a",@progbits
	.p2align	6, 0x0
	.amdhsa_kernel _ZN2at6native12_GLOBAL__N_125multi_tensor_apply_kernelINS1_18TensorListMetadataILi2EEENS1_14UnaryOpFunctorIdLi2ELi1ELi1EEEJNS0_6LgammaIdEEEEEvT_T0_DpT1_
		.amdhsa_group_segment_fixed_size 0
		.amdhsa_private_segment_fixed_size 0
		.amdhsa_kernarg_size 3408
		.amdhsa_user_sgpr_count 15
		.amdhsa_user_sgpr_dispatch_ptr 0
		.amdhsa_user_sgpr_queue_ptr 0
		.amdhsa_user_sgpr_kernarg_segment_ptr 1
		.amdhsa_user_sgpr_dispatch_id 0
		.amdhsa_user_sgpr_private_segment_size 0
		.amdhsa_wavefront_size32 1
		.amdhsa_uses_dynamic_stack 0
		.amdhsa_enable_private_segment 0
		.amdhsa_system_sgpr_workgroup_id_x 1
		.amdhsa_system_sgpr_workgroup_id_y 0
		.amdhsa_system_sgpr_workgroup_id_z 0
		.amdhsa_system_sgpr_workgroup_info 0
		.amdhsa_system_vgpr_workitem_id 0
		.amdhsa_next_free_vgpr 68
		.amdhsa_next_free_sgpr 105
		.amdhsa_reserve_vcc 1
		.amdhsa_float_round_mode_32 0
		.amdhsa_float_round_mode_16_64 0
		.amdhsa_float_denorm_mode_32 3
		.amdhsa_float_denorm_mode_16_64 3
		.amdhsa_dx10_clamp 1
		.amdhsa_ieee_mode 1
		.amdhsa_fp16_overflow 0
		.amdhsa_workgroup_processor_mode 1
		.amdhsa_memory_ordered 1
		.amdhsa_forward_progress 0
		.amdhsa_shared_vgpr_count 0
		.amdhsa_exception_fp_ieee_invalid_op 0
		.amdhsa_exception_fp_denorm_src 0
		.amdhsa_exception_fp_ieee_div_zero 0
		.amdhsa_exception_fp_ieee_overflow 0
		.amdhsa_exception_fp_ieee_underflow 0
		.amdhsa_exception_fp_ieee_inexact 0
		.amdhsa_exception_int_div_zero 0
	.end_amdhsa_kernel
	.section	.text._ZN2at6native12_GLOBAL__N_125multi_tensor_apply_kernelINS1_18TensorListMetadataILi2EEENS1_14UnaryOpFunctorIdLi2ELi1ELi1EEEJNS0_6LgammaIdEEEEEvT_T0_DpT1_,"axG",@progbits,_ZN2at6native12_GLOBAL__N_125multi_tensor_apply_kernelINS1_18TensorListMetadataILi2EEENS1_14UnaryOpFunctorIdLi2ELi1ELi1EEEJNS0_6LgammaIdEEEEEvT_T0_DpT1_,comdat
.Lfunc_end8:
	.size	_ZN2at6native12_GLOBAL__N_125multi_tensor_apply_kernelINS1_18TensorListMetadataILi2EEENS1_14UnaryOpFunctorIdLi2ELi1ELi1EEEJNS0_6LgammaIdEEEEEvT_T0_DpT1_, .Lfunc_end8-_ZN2at6native12_GLOBAL__N_125multi_tensor_apply_kernelINS1_18TensorListMetadataILi2EEENS1_14UnaryOpFunctorIdLi2ELi1ELi1EEEJNS0_6LgammaIdEEEEEvT_T0_DpT1_
                                        ; -- End function
	.section	.AMDGPU.csdata,"",@progbits
; Kernel info:
; codeLenInByte = 65796
; NumSgprs: 107
; NumVgprs: 68
; ScratchSize: 0
; MemoryBound: 1
; FloatMode: 240
; IeeeMode: 1
; LDSByteSize: 0 bytes/workgroup (compile time only)
; SGPRBlocks: 13
; VGPRBlocks: 8
; NumSGPRsForWavesPerEU: 107
; NumVGPRsForWavesPerEU: 68
; Occupancy: 16
; WaveLimiterHint : 0
; COMPUTE_PGM_RSRC2:SCRATCH_EN: 0
; COMPUTE_PGM_RSRC2:USER_SGPR: 15
; COMPUTE_PGM_RSRC2:TRAP_HANDLER: 0
; COMPUTE_PGM_RSRC2:TGID_X_EN: 1
; COMPUTE_PGM_RSRC2:TGID_Y_EN: 0
; COMPUTE_PGM_RSRC2:TGID_Z_EN: 0
; COMPUTE_PGM_RSRC2:TIDIG_COMP_CNT: 0
	.section	.text._ZN2at6native12_GLOBAL__N_125multi_tensor_apply_kernelINS1_18TensorListMetadataILi2EEENS1_14UnaryOpFunctorIfLi2ELi1ELi1EEEJNS0_6LgammaIfEEEEEvT_T0_DpT1_,"axG",@progbits,_ZN2at6native12_GLOBAL__N_125multi_tensor_apply_kernelINS1_18TensorListMetadataILi2EEENS1_14UnaryOpFunctorIfLi2ELi1ELi1EEEJNS0_6LgammaIfEEEEEvT_T0_DpT1_,comdat
	.globl	_ZN2at6native12_GLOBAL__N_125multi_tensor_apply_kernelINS1_18TensorListMetadataILi2EEENS1_14UnaryOpFunctorIfLi2ELi1ELi1EEEJNS0_6LgammaIfEEEEEvT_T0_DpT1_ ; -- Begin function _ZN2at6native12_GLOBAL__N_125multi_tensor_apply_kernelINS1_18TensorListMetadataILi2EEENS1_14UnaryOpFunctorIfLi2ELi1ELi1EEEJNS0_6LgammaIfEEEEEvT_T0_DpT1_
	.p2align	8
	.type	_ZN2at6native12_GLOBAL__N_125multi_tensor_apply_kernelINS1_18TensorListMetadataILi2EEENS1_14UnaryOpFunctorIfLi2ELi1ELi1EEEJNS0_6LgammaIfEEEEEvT_T0_DpT1_,@function
_ZN2at6native12_GLOBAL__N_125multi_tensor_apply_kernelINS1_18TensorListMetadataILi2EEENS1_14UnaryOpFunctorIfLi2ELi1ELi1EEEJNS0_6LgammaIfEEEEEvT_T0_DpT1_: ; @_ZN2at6native12_GLOBAL__N_125multi_tensor_apply_kernelINS1_18TensorListMetadataILi2EEENS1_14UnaryOpFunctorIfLi2ELi1ELi1EEEJNS0_6LgammaIfEEEEEvT_T0_DpT1_
; %bb.0:
	v_mov_b32_e32 v1, s15
	s_add_u32 s2, s0, s15
	s_mul_hi_u32 s3, s15, 3
	s_mul_i32 s15, s15, 3
	s_addc_u32 s4, s1, 0
	global_load_u8 v1, v1, s[0:1] offset:1536
	s_add_u32 s2, s2, s15
	s_addc_u32 s3, s4, s3
	s_mov_b32 s13, 0
	s_load_b32 s2, s[2:3], 0x740
	s_mov_b32 s21, s13
	s_mov_b32 s23, s13
	s_waitcnt vmcnt(0)
	v_readfirstlane_b32 s5, v1
	s_delay_alu instid0(VALU_DEP_1)
	s_lshl_b32 s3, s5, 3
	s_clause 0x2
	s_load_b64 s[8:9], s[0:1], s3 offset:0x0
	s_load_b64 s[16:17], s[0:1], s3 offset:0x200
	;; [unrolled: 1-line block ×3, first 2 shown]
	s_waitcnt lgkmcnt(0)
	s_ashr_i32 s3, s2, 31
	s_delay_alu instid0(SALU_CYCLE_1) | instskip(NEXT) | instid1(SALU_CYCLE_1)
	s_lshl_b64 s[10:11], s[2:3], 18
	s_add_u32 s7, s8, s10
	s_addc_u32 s14, s9, s11
	s_and_b32 s12, s7, 15
	s_add_u32 s15, s16, s10
	s_addc_u32 s18, s17, s11
	s_and_b32 s20, s4, 3
	s_and_b32 s22, s15, 15
	s_or_b64 s[12:13], s[12:13], s[20:21]
	s_lshl_b64 s[2:3], s[2:3], 16
	s_or_b64 s[20:21], s[22:23], s[12:13]
	s_sub_u32 s12, s4, s2
	s_subb_u32 s13, s5, s3
	s_cmp_eq_u64 s[20:21], 0
	s_mov_b32 s2, -1
	s_cbranch_scc0 .LBB9_157
; %bb.1:
	v_dual_mov_b32 v6, 0 :: v_dual_lshlrev_b32 v5, 2, v0
	s_mov_b32 s19, exec_lo
	s_delay_alu instid0(VALU_DEP_1)
	v_cmpx_gt_i64_e64 s[12:13], v[5:6]
	s_cbranch_execz .LBB9_156
; %bb.2:
	s_load_b32 s2, s[0:1], 0xc5c
	v_lshlrev_b32_e32 v7, 4, v0
	s_mov_b32 s20, 0
	s_mov_b32 s21, 0xbad5c4e8
	;; [unrolled: 1-line block ×14, first 2 shown]
	s_waitcnt lgkmcnt(0)
	s_and_b32 s2, s2, 0xffff
	s_delay_alu instid0(SALU_CYCLE_1)
	v_add_lshl_u32 v5, v0, s2, 2
	s_lshl_b32 s30, s2, 2
	s_lshl_b32 s31, s2, 4
	s_branch .LBB9_4
.LBB9_3:                                ;   in Loop: Header=BB9_4 Depth=1
	s_or_b32 exec_lo, exec_lo, s37
	v_cmp_gt_f32_e64 s5, 0x4b000000, |v3|
	v_cmp_gt_f32_e64 s6, 0x4b000000, |v2|
	;; [unrolled: 1-line block ×3, first 2 shown]
	s_delay_alu instid0(VALU_DEP_3) | instskip(NEXT) | instid1(VALU_DEP_2)
	s_or_b32 s3, s3, s5
	s_or_b32 s2, s2, s6
	v_cndmask_b32_e64 v10, 0x7f800000, v10, s3
	v_cndmask_b32_e64 v9, 0x7f800000, v9, s2
	v_cmp_class_f32_e64 s2, v3, 0x264
	s_or_b32 vcc_lo, vcc_lo, s37
	v_cmp_gt_f32_e64 s3, 0x4b000000, |v4|
	v_cndmask_b32_e32 v8, 0x7f800000, v8, vcc_lo
	v_cmp_u_f32_e32 vcc_lo, v3, v3
	v_cndmask_b32_e64 v10, v10, 0x7f800000, s2
	v_cmp_class_f32_e64 s2, v2, 0x264
	s_delay_alu instid0(VALU_DEP_1) | instskip(NEXT) | instid1(VALU_DEP_3)
	v_cndmask_b32_e64 v9, v9, 0x7f800000, s2
	v_cndmask_b32_e32 v3, v10, v3, vcc_lo
	s_or_b32 vcc_lo, s4, s3
	v_cmp_class_f32_e64 s2, v1, 0x264
	v_cndmask_b32_e32 v10, 0x7f800000, v12, vcc_lo
	v_cmp_u_f32_e32 vcc_lo, v2, v2
	v_cmp_u_f32_e64 s3, v4, v4
	s_delay_alu instid0(VALU_DEP_4) | instskip(SKIP_3) | instid1(VALU_DEP_3)
	v_cndmask_b32_e64 v8, v8, 0x7f800000, s2
	v_cmp_class_f32_e64 s2, v4, 0x264
	v_cndmask_b32_e32 v2, v9, v2, vcc_lo
	v_cmp_u_f32_e32 vcc_lo, v1, v1
	v_cndmask_b32_e64 v9, v10, 0x7f800000, s2
	v_cmp_lt_u64_e64 s2, 0xffff, v[5:6]
	v_cndmask_b32_e32 v1, v8, v1, vcc_lo
	v_cmp_le_i64_e32 vcc_lo, s[12:13], v[5:6]
	s_delay_alu instid0(VALU_DEP_4) | instskip(SKIP_1) | instid1(VALU_DEP_1)
	v_cndmask_b32_e64 v4, v9, v4, s3
	v_add_co_u32 v8, s3, s15, v7
	v_add_co_ci_u32_e64 v9, null, s18, 0, s3
	s_or_b32 s2, vcc_lo, s2
	s_add_u32 s7, s7, s31
	v_add_co_u32 v5, vcc_lo, v5, s30
	s_addc_u32 s14, s14, 0
	s_add_u32 s15, s15, s31
	v_add_co_ci_u32_e32 v6, vcc_lo, 0, v6, vcc_lo
	s_addc_u32 s18, s18, 0
	s_and_b32 s2, exec_lo, s2
	global_store_b128 v[8:9], v[1:4], off
	s_or_b32 s20, s2, s20
	s_delay_alu instid0(SALU_CYCLE_1)
	s_and_not1_b32 exec_lo, exec_lo, s20
	s_cbranch_execz .LBB9_156
.LBB9_4:                                ; =>This Inner Loop Header: Depth=1
	v_add_co_u32 v1, s2, s7, v7
	s_delay_alu instid0(VALU_DEP_1)
	v_add_co_ci_u32_e64 v2, null, s14, 0, s2
	s_mov_b32 s3, exec_lo
                                        ; implicit-def: $vgpr8
	global_load_b128 v[1:4], v[1:2], off
	s_waitcnt vmcnt(0)
	v_and_b32_e32 v9, 0x7fffffff, v1
	v_cmpx_ngt_f32_e64 0x3c800000, |v1|
	s_xor_b32 s3, exec_lo, s3
	s_cbranch_execz .LBB9_34
; %bb.5:                                ;   in Loop: Header=BB9_4 Depth=1
	s_mov_b32 s4, exec_lo
                                        ; implicit-def: $vgpr8
	v_cmpx_nlt_f32_e64 |v1|, 2.0
	s_xor_b32 s4, exec_lo, s4
	s_cbranch_execz .LBB9_15
; %bb.6:                                ;   in Loop: Header=BB9_4 Depth=1
	v_cmp_ngt_f32_e64 s2, 0x41000000, |v1|
                                        ; implicit-def: $vgpr8
	s_delay_alu instid0(VALU_DEP_1) | instskip(NEXT) | instid1(SALU_CYCLE_1)
	s_and_saveexec_b32 s5, s2
	s_xor_b32 s2, exec_lo, s5
	s_cbranch_execz .LBB9_12
; %bb.7:                                ;   in Loop: Header=BB9_4 Depth=1
	v_cmp_ngt_f32_e64 s5, 0x5c800000, |v1|
                                        ; implicit-def: $vgpr8
	s_delay_alu instid0(VALU_DEP_1) | instskip(NEXT) | instid1(SALU_CYCLE_1)
	s_and_saveexec_b32 s6, s5
	s_xor_b32 s5, exec_lo, s6
	s_cbranch_execz .LBB9_9
; %bb.8:                                ;   in Loop: Header=BB9_4 Depth=1
	v_cmp_gt_f32_e64 s6, 0x800000, |v1|
	s_delay_alu instid0(VALU_DEP_1) | instskip(NEXT) | instid1(VALU_DEP_1)
	v_cndmask_b32_e64 v8, 1.0, 0x4f800000, s6
	v_mul_f32_e64 v8, |v1|, v8
	s_delay_alu instid0(VALU_DEP_1) | instskip(SKIP_3) | instid1(VALU_DEP_2)
	v_log_f32_e32 v8, v8
	s_waitcnt_depctr 0xfff
	v_mul_f32_e32 v10, 0x3f317217, v8
	v_cmp_gt_f32_e64 vcc_lo, 0x7f800000, |v8|
	v_fma_f32 v11, 0x3f317217, v8, -v10
	s_delay_alu instid0(VALU_DEP_1) | instskip(NEXT) | instid1(VALU_DEP_1)
	v_fmac_f32_e32 v11, 0x3377d1cf, v8
	v_add_f32_e32 v10, v10, v11
	s_delay_alu instid0(VALU_DEP_1) | instskip(SKIP_1) | instid1(VALU_DEP_1)
	v_cndmask_b32_e32 v8, v8, v10, vcc_lo
	v_cndmask_b32_e64 v10, 0, 0x41b17218, s6
	v_sub_f32_e32 v8, v8, v10
	s_delay_alu instid0(VALU_DEP_1)
	v_fma_f32 v8, |v1|, v8, -|v1|
.LBB9_9:                                ;   in Loop: Header=BB9_4 Depth=1
	s_and_not1_saveexec_b32 s5, s5
	s_cbranch_execz .LBB9_11
; %bb.10:                               ;   in Loop: Header=BB9_4 Depth=1
	v_cmp_gt_f32_e64 s6, 0x800000, |v1|
	v_rcp_f32_e64 v10, |v1|
	s_delay_alu instid0(VALU_DEP_1) | instskip(NEXT) | instid1(VALU_DEP_1)
	v_cndmask_b32_e64 v8, 1.0, 0x4f800000, s6
	v_mul_f32_e64 v8, |v1|, v8
	s_delay_alu instid0(VALU_DEP_1) | instskip(SKIP_3) | instid1(VALU_DEP_2)
	v_log_f32_e32 v8, v8
	s_waitcnt_depctr 0xfff
	v_dual_mul_f32 v11, v10, v10 :: v_dual_mul_f32 v12, 0x3f317217, v8
	v_cmp_gt_f32_e64 vcc_lo, 0x7f800000, |v8|
	v_fma_f32 v14, 0x3f317217, v8, -v12
	s_delay_alu instid0(VALU_DEP_1) | instskip(NEXT) | instid1(VALU_DEP_1)
	v_fmac_f32_e32 v14, 0x3377d1cf, v8
	v_dual_fmaak_f32 v13, s21, v11, 0x3a5b3dd2 :: v_dual_add_f32 v12, v12, v14
	s_delay_alu instid0(VALU_DEP_1) | instskip(SKIP_1) | instid1(VALU_DEP_1)
	v_dual_fmaak_f32 v13, v11, v13, 0xba1c065c :: v_dual_cndmask_b32 v8, v8, v12
	v_cndmask_b32_e64 v12, 0, 0x41b17218, s6
	v_dual_fmaak_f32 v13, v11, v13, 0x3a500cfd :: v_dual_sub_f32 v12, v8, v12
	s_delay_alu instid0(VALU_DEP_1) | instskip(NEXT) | instid1(VALU_DEP_1)
	v_fmaak_f32 v13, v11, v13, 0xbb360b61
	v_fmaak_f32 v11, v11, v13, 0x3daaaaab
	s_delay_alu instid0(VALU_DEP_1) | instskip(SKIP_1) | instid1(VALU_DEP_1)
	v_dual_fmaak_f32 v8, v10, v11, 0x3ed67f1d :: v_dual_add_f32 v11, -1.0, v12
	v_add_f32_e64 v10, |v1|, -0.5
	v_fmac_f32_e32 v8, v10, v11
.LBB9_11:                               ;   in Loop: Header=BB9_4 Depth=1
	s_or_b32 exec_lo, exec_lo, s5
.LBB9_12:                               ;   in Loop: Header=BB9_4 Depth=1
	s_and_not1_saveexec_b32 s5, s2
	s_cbranch_execz .LBB9_14
; %bb.13:                               ;   in Loop: Header=BB9_4 Depth=1
	v_cvt_i32_f32_e32 v8, v9
	s_delay_alu instid0(VALU_DEP_1) | instskip(SKIP_1) | instid1(VALU_DEP_2)
	v_cvt_f32_i32_e32 v10, v8
	v_cmp_lt_i32_e32 vcc_lo, 2, v8
	v_sub_f32_e64 v10, |v1|, v10
	s_delay_alu instid0(VALU_DEP_1) | instskip(SKIP_1) | instid1(VALU_DEP_1)
	v_add_f32_e32 v12, 0x40400000, v10
	v_add_f32_e32 v11, 2.0, v10
	v_cndmask_b32_e32 v11, 1.0, v11, vcc_lo
	v_cmp_lt_i32_e32 vcc_lo, 3, v8
	s_delay_alu instid0(VALU_DEP_4) | instskip(SKIP_1) | instid1(VALU_DEP_2)
	v_cndmask_b32_e32 v12, 1.0, v12, vcc_lo
	v_cmp_lt_i32_e32 vcc_lo, 4, v8
	v_dual_mul_f32 v11, v11, v12 :: v_dual_add_f32 v12, 0x40c00000, v10
	v_add_f32_e32 v13, 4.0, v10
	s_delay_alu instid0(VALU_DEP_1) | instskip(SKIP_1) | instid1(VALU_DEP_2)
	v_dual_add_f32 v14, 0x40a00000, v10 :: v_dual_cndmask_b32 v13, 1.0, v13
	v_cmp_lt_i32_e32 vcc_lo, 5, v8
	v_dual_mul_f32 v11, v13, v11 :: v_dual_cndmask_b32 v14, 1.0, v14
	v_cmp_lt_i32_e32 vcc_lo, 6, v8
	v_fmaak_f32 v13, s22, v10, 0x3af135b4
	s_delay_alu instid0(VALU_DEP_3) | instskip(NEXT) | instid1(VALU_DEP_1)
	v_dual_mul_f32 v11, v14, v11 :: v_dual_cndmask_b32 v8, 1.0, v12
	v_dual_mul_f32 v8, v8, v11 :: v_dual_fmaak_f32 v11, s23, v10, 0x3a4beed6
	s_delay_alu instid0(VALU_DEP_1) | instskip(SKIP_1) | instid1(VALU_DEP_1)
	v_cmp_gt_f32_e32 vcc_lo, 0x800000, v8
	v_cndmask_b32_e64 v12, 1.0, 0x4f800000, vcc_lo
	v_mul_f32_e32 v8, v8, v12
	v_fmaak_f32 v12, v10, v13, 0x3cda40e4
	s_delay_alu instid0(VALU_DEP_2) | instskip(SKIP_3) | instid1(VALU_DEP_2)
	v_log_f32_e32 v8, v8
	s_waitcnt_depctr 0xfff
	v_mul_f32_e32 v13, 0x3f317217, v8
	v_cmp_gt_f32_e64 s2, 0x7f800000, |v8|
	v_fma_f32 v14, 0x3f317217, v8, -v13
	s_delay_alu instid0(VALU_DEP_1) | instskip(NEXT) | instid1(VALU_DEP_1)
	v_fmac_f32_e32 v14, 0x3377d1cf, v8
	v_dual_add_f32 v13, v13, v14 :: v_dual_fmaak_f32 v12, v10, v12, 0x3e15dce6
	s_delay_alu instid0(VALU_DEP_1) | instskip(SKIP_1) | instid1(VALU_DEP_3)
	v_cndmask_b32_e64 v8, v8, v13, s2
	v_fmaak_f32 v11, v10, v11, 0x3c98bf54
	v_fmaak_f32 v12, v10, v12, 0x3ea6cc7a
	s_delay_alu instid0(VALU_DEP_2) | instskip(NEXT) | instid1(VALU_DEP_2)
	v_fmaak_f32 v11, v10, v11, 0x3e300f6e
	v_fmaak_f32 v12, v10, v12, 0x3e5c245a
	s_delay_alu instid0(VALU_DEP_2) | instskip(NEXT) | instid1(VALU_DEP_2)
	;; [unrolled: 3-line block ×3, first 2 shown]
	v_fmaak_f32 v11, v10, v11, 0x3fb22d3b
	v_mul_f32_e32 v12, v10, v12
	s_delay_alu instid0(VALU_DEP_2) | instskip(NEXT) | instid1(VALU_DEP_1)
	v_fma_f32 v11, v10, v11, 1.0
	v_rcp_f32_e32 v11, v11
	s_waitcnt_depctr 0xfff
	v_mul_f32_e32 v11, v12, v11
	v_cndmask_b32_e64 v12, 0, 0x41b17218, vcc_lo
	s_delay_alu instid0(VALU_DEP_1) | instskip(NEXT) | instid1(VALU_DEP_1)
	v_dual_fmac_f32 v11, 0.5, v10 :: v_dual_sub_f32 v8, v8, v12
	v_add_f32_e32 v8, v8, v11
.LBB9_14:                               ;   in Loop: Header=BB9_4 Depth=1
	s_or_b32 exec_lo, exec_lo, s5
.LBB9_15:                               ;   in Loop: Header=BB9_4 Depth=1
	s_and_not1_saveexec_b32 s4, s4
	s_cbranch_execz .LBB9_33
; %bb.16:                               ;   in Loop: Header=BB9_4 Depth=1
	s_mov_b32 s5, exec_lo
                                        ; implicit-def: $vgpr8
                                        ; implicit-def: $vgpr11
                                        ; implicit-def: $vgpr10
	v_cmpx_ge_f32_e64 0x3f666666, |v1|
	s_xor_b32 s5, exec_lo, s5
	s_cbranch_execz .LBB9_18
; %bb.17:                               ;   in Loop: Header=BB9_4 Depth=1
	v_cmp_gt_f32_e64 s2, 0x800000, |v1|
	v_sub_f32_e64 v12, 1.0, |v1|
	v_cmp_gt_f32_e64 vcc_lo, 0x3f3b4a23, |v1|
	s_delay_alu instid0(VALU_DEP_3) | instskip(SKIP_1) | instid1(VALU_DEP_2)
	v_cndmask_b32_e64 v8, 1.0, 0x4f800000, s2
	v_cndmask_b32_e64 v13, 0, 0x41b17218, s2
	v_mul_f32_e64 v8, |v1|, v8
	s_delay_alu instid0(VALU_DEP_1) | instskip(SKIP_3) | instid1(VALU_DEP_2)
	v_log_f32_e32 v8, v8
	s_waitcnt_depctr 0xfff
	v_mul_f32_e32 v10, 0x3f317217, v8
	v_cmp_gt_f32_e64 s2, 0x7f800000, |v8|
	v_fma_f32 v11, 0x3f317217, v8, -v10
	s_delay_alu instid0(VALU_DEP_1) | instskip(NEXT) | instid1(VALU_DEP_1)
	v_fmac_f32_e32 v11, 0x3377d1cf, v8
	v_add_f32_e32 v10, v10, v11
	v_add_f32_e64 v11, 0xbeec5b0c, |v1|
	s_delay_alu instid0(VALU_DEP_2) | instskip(NEXT) | instid1(VALU_DEP_2)
	v_cndmask_b32_e64 v8, v8, v10, s2
	v_cndmask_b32_e32 v10, v12, v11, vcc_lo
	v_cndmask_b32_e64 v11, 0, 1, vcc_lo
	v_cmp_gt_f32_e64 s2, 0x3e6d3309, |v1|
	s_delay_alu instid0(VALU_DEP_4) | instskip(NEXT) | instid1(VALU_DEP_2)
	v_sub_f32_e32 v8, v8, v13
	v_cndmask_b32_e64 v10, v10, |v1|, s2
	s_delay_alu instid0(VALU_DEP_4) | instskip(NEXT) | instid1(VALU_DEP_3)
	v_cndmask_b32_e64 v11, v11, 2, s2
	v_xor_b32_e32 v8, 0x80000000, v8
.LBB9_18:                               ;   in Loop: Header=BB9_4 Depth=1
	s_and_not1_saveexec_b32 s2, s5
; %bb.19:                               ;   in Loop: Header=BB9_4 Depth=1
	v_sub_f32_e64 v8, 2.0, |v1|
	v_add_f32_e64 v10, 0xbfbb16c3, |v1|
	v_cmp_gt_f32_e64 vcc_lo, 0x3fdda512, |v1|
	v_add_f32_e64 v11, |v1|, -1.0
	s_delay_alu instid0(VALU_DEP_3) | instskip(NEXT) | instid1(VALU_DEP_3)
	v_cndmask_b32_e32 v10, v8, v10, vcc_lo
	v_cndmask_b32_e64 v8, v8, 1.0, vcc_lo
	v_cmp_gt_f32_e64 vcc_lo, 0x3f9d70a4, |v1|
	s_delay_alu instid0(VALU_DEP_2) | instskip(NEXT) | instid1(VALU_DEP_4)
	v_cvt_i32_f32_e32 v8, v8
	v_cndmask_b32_e32 v10, v10, v11, vcc_lo
	s_delay_alu instid0(VALU_DEP_2)
	v_cndmask_b32_e64 v11, v8, 2, vcc_lo
	v_mov_b32_e32 v8, 0
; %bb.20:                               ;   in Loop: Header=BB9_4 Depth=1
	s_or_b32 exec_lo, exec_lo, s2
	s_delay_alu instid0(SALU_CYCLE_1) | instskip(NEXT) | instid1(VALU_DEP_2)
	s_mov_b32 s2, exec_lo
	v_cmpx_lt_i32_e32 0, v11
	s_xor_b32 s2, exec_lo, s2
	s_cbranch_execz .LBB9_28
; %bb.21:                               ;   in Loop: Header=BB9_4 Depth=1
	s_mov_b32 s5, exec_lo
	v_cmpx_lt_i32_e32 1, v11
	s_xor_b32 s5, exec_lo, s5
	s_cbranch_execz .LBB9_25
; %bb.22:                               ;   in Loop: Header=BB9_4 Depth=1
	s_mov_b32 s6, exec_lo
	v_cmpx_eq_u32_e32 2, v11
	s_cbranch_execz .LBB9_24
; %bb.23:                               ;   in Loop: Header=BB9_4 Depth=1
	v_fmaak_f32 v12, s24, v10, 0x3e6a7578
	s_delay_alu instid0(VALU_DEP_1) | instskip(NEXT) | instid1(VALU_DEP_1)
	v_fmaak_f32 v12, v10, v12, 0x3f7a4bb2
	v_fmaak_f32 v12, v10, v12, 0x3fba3ae7
	s_delay_alu instid0(VALU_DEP_1) | instskip(NEXT) | instid1(VALU_DEP_1)
	v_fmaak_f32 v12, v10, v12, 0x3f2200f4
	v_fmaak_f32 v12, v10, v12, 0xbd9e233f
	s_delay_alu instid0(VALU_DEP_1) | instskip(NEXT) | instid1(VALU_DEP_1)
	v_dual_fmaak_f32 v11, s25, v10, 0x3dd572af :: v_dual_mul_f32 v12, v10, v12
	v_fmaak_f32 v11, v10, v11, 0x3f44efdf
	s_delay_alu instid0(VALU_DEP_1) | instskip(NEXT) | instid1(VALU_DEP_1)
	v_fmaak_f32 v11, v10, v11, 0x4008392d
	v_fmaak_f32 v11, v10, v11, 0x401d2ebe
	s_delay_alu instid0(VALU_DEP_1) | instskip(NEXT) | instid1(VALU_DEP_1)
	v_fma_f32 v11, v10, v11, 1.0
	v_rcp_f32_e32 v11, v11
	s_waitcnt_depctr 0xfff
	v_mul_f32_e32 v11, v12, v11
	s_delay_alu instid0(VALU_DEP_1) | instskip(NEXT) | instid1(VALU_DEP_1)
	v_fmac_f32_e32 v11, -0.5, v10
	v_add_f32_e32 v8, v8, v11
.LBB9_24:                               ;   in Loop: Header=BB9_4 Depth=1
	s_or_b32 exec_lo, exec_lo, s6
                                        ; implicit-def: $vgpr10
.LBB9_25:                               ;   in Loop: Header=BB9_4 Depth=1
	s_and_not1_saveexec_b32 s5, s5
	s_cbranch_execz .LBB9_27
; %bb.26:                               ;   in Loop: Header=BB9_4 Depth=1
	v_mul_f32_e32 v11, v10, v10
	s_delay_alu instid0(VALU_DEP_1) | instskip(NEXT) | instid1(VALU_DEP_1)
	v_mul_f32_e32 v12, v10, v11
	v_fmaak_f32 v14, s28, v12, 0xba0d3085
	v_fmaak_f32 v13, s27, v12, 0x3a66f867
	v_fmaak_f32 v15, s26, v12, 0xbab7f476
	s_delay_alu instid0(VALU_DEP_3) | instskip(NEXT) | instid1(VALU_DEP_3)
	v_fmaak_f32 v14, v12, v14, 0x3b141699
	v_fmaak_f32 v13, v12, v13, 0xbb7177fe
	s_delay_alu instid0(VALU_DEP_3) | instskip(NEXT) | instid1(VALU_DEP_3)
	v_fmaak_f32 v15, v12, v15, 0x3bc7e707
	v_fmaak_f32 v14, v12, v14, 0xbc28fcfe
	;; [unrolled: 3-line block ×4, first 2 shown]
	s_delay_alu instid0(VALU_DEP_1) | instskip(NEXT) | instid1(VALU_DEP_1)
	v_dual_fmac_f32 v13, v10, v14 :: v_dual_fmaak_f32 v10, v12, v15, 0x3ef7b95e
	v_fma_f32 v12, v12, -v13, 0xa2863e55
	s_delay_alu instid0(VALU_DEP_1) | instskip(NEXT) | instid1(VALU_DEP_1)
	v_fma_f32 v10, v11, v10, -v12
	v_add_f32_e32 v10, 0xbdf8cdce, v10
	s_delay_alu instid0(VALU_DEP_1)
	v_add_f32_e32 v8, v8, v10
.LBB9_27:                               ;   in Loop: Header=BB9_4 Depth=1
	s_or_b32 exec_lo, exec_lo, s5
                                        ; implicit-def: $vgpr11
                                        ; implicit-def: $vgpr10
.LBB9_28:                               ;   in Loop: Header=BB9_4 Depth=1
	s_and_not1_saveexec_b32 s2, s2
	s_cbranch_execz .LBB9_32
; %bb.29:                               ;   in Loop: Header=BB9_4 Depth=1
	s_mov_b32 s5, exec_lo
	v_cmpx_eq_u32_e32 0, v11
	s_cbranch_execz .LBB9_31
; %bb.30:                               ;   in Loop: Header=BB9_4 Depth=1
	v_mul_f32_e32 v11, v10, v10
	s_delay_alu instid0(VALU_DEP_1) | instskip(NEXT) | instid1(VALU_DEP_1)
	v_fmaak_f32 v13, s29, v11, 0x39679767
	v_fmaak_f32 v13, v11, v13, 0x3a9c54a1
	s_delay_alu instid0(VALU_DEP_1) | instskip(NEXT) | instid1(VALU_DEP_1)
	v_fmaak_f32 v13, v11, v13, 0x3bf2027e
	v_fmaak_f32 v13, v11, v13, 0x3d89f001
	s_delay_alu instid0(VALU_DEP_1) | instskip(SKIP_1) | instid1(VALU_DEP_1)
	v_fmaak_f32 v13, v11, v13, 0x3d9e233f
	v_fmaak_f32 v12, s33, v11, 0x38e28445
	;; [unrolled: 1-line block ×3, first 2 shown]
	s_delay_alu instid0(VALU_DEP_1) | instskip(NEXT) | instid1(VALU_DEP_1)
	v_fmaak_f32 v12, v11, v12, 0x3b3d6ec6
	v_fmaak_f32 v12, v11, v12, 0x3ca89915
	s_delay_alu instid0(VALU_DEP_1) | instskip(NEXT) | instid1(VALU_DEP_1)
	v_fmaak_f32 v12, v11, v12, 0x3ea51a66
	v_mul_f32_e32 v11, v11, v12
	s_delay_alu instid0(VALU_DEP_1) | instskip(NEXT) | instid1(VALU_DEP_1)
	v_fmac_f32_e32 v11, v10, v13
	v_fmac_f32_e32 v11, -0.5, v10
	s_delay_alu instid0(VALU_DEP_1)
	v_add_f32_e32 v8, v8, v11
.LBB9_31:                               ;   in Loop: Header=BB9_4 Depth=1
	s_or_b32 exec_lo, exec_lo, s5
.LBB9_32:                               ;   in Loop: Header=BB9_4 Depth=1
	s_delay_alu instid0(SALU_CYCLE_1)
	s_or_b32 exec_lo, exec_lo, s2
.LBB9_33:                               ;   in Loop: Header=BB9_4 Depth=1
	s_delay_alu instid0(SALU_CYCLE_1)
	s_or_b32 exec_lo, exec_lo, s4
.LBB9_34:                               ;   in Loop: Header=BB9_4 Depth=1
	s_and_not1_saveexec_b32 s2, s3
	s_cbranch_execz .LBB9_36
; %bb.35:                               ;   in Loop: Header=BB9_4 Depth=1
	v_cmp_gt_f32_e64 s3, 0x800000, |v1|
	v_fma_f32 v12, |v1|, s34, 0xbecd26ab
	s_delay_alu instid0(VALU_DEP_2) | instskip(NEXT) | instid1(VALU_DEP_1)
	v_cndmask_b32_e64 v8, 1.0, 0x4f800000, s3
	v_mul_f32_e64 v8, |v1|, v8
	s_delay_alu instid0(VALU_DEP_1) | instskip(SKIP_3) | instid1(VALU_DEP_2)
	v_log_f32_e32 v8, v8
	s_waitcnt_depctr 0xfff
	v_mul_f32_e32 v10, 0x3f317217, v8
	v_cmp_gt_f32_e64 vcc_lo, 0x7f800000, |v8|
	v_fma_f32 v11, 0x3f317217, v8, -v10
	s_delay_alu instid0(VALU_DEP_1) | instskip(NEXT) | instid1(VALU_DEP_1)
	v_fmac_f32_e32 v11, 0x3377d1cf, v8
	v_add_f32_e32 v10, v10, v11
	v_fma_f32 v11, |v1|, v12, 0x3f528d33
	s_delay_alu instid0(VALU_DEP_2) | instskip(SKIP_1) | instid1(VALU_DEP_3)
	v_cndmask_b32_e32 v8, v8, v10, vcc_lo
	v_cndmask_b32_e64 v10, 0, 0x41b17218, s3
	v_fma_f32 v11, |v1|, v11, 0xbf13c468
	s_delay_alu instid0(VALU_DEP_2) | instskip(NEXT) | instid1(VALU_DEP_1)
	v_sub_f32_e32 v8, v8, v10
	v_fma_f32 v8, |v1|, v11, -v8
.LBB9_36:                               ;   in Loop: Header=BB9_4 Depth=1
	s_or_b32 exec_lo, exec_lo, s2
	v_cmp_le_f32_e32 vcc_lo, 0, v1
	s_mov_b32 s3, exec_lo
	v_cmpx_nle_f32_e32 0, v1
	s_xor_b32 s4, exec_lo, s3
	s_cbranch_execz .LBB9_40
; %bb.37:                               ;   in Loop: Header=BB9_4 Depth=1
	v_cmp_gt_f32_e64 s2, 0x4b000000, |v1|
	v_cmp_lt_f32_e64 s3, 0x35000000, |v1|
	s_delay_alu instid0(VALU_DEP_1) | instskip(NEXT) | instid1(SALU_CYCLE_1)
	s_and_b32 s2, s2, s3
	s_and_saveexec_b32 s5, s2
	s_cbranch_execz .LBB9_39
; %bb.38:                               ;   in Loop: Header=BB9_4 Depth=1
	v_mul_f32_e64 v10, |v1|, 0.5
	v_xor_b32_e32 v9, v9, v1
	s_delay_alu instid0(VALU_DEP_2) | instskip(SKIP_1) | instid1(VALU_DEP_2)
	v_floor_f32_e32 v11, v10
	v_cmp_neq_f32_e64 s2, 0x7f800000, v10
	v_sub_f32_e32 v11, v10, v11
	s_delay_alu instid0(VALU_DEP_1) | instskip(NEXT) | instid1(VALU_DEP_1)
	v_min_f32_e32 v11, 0x3f7fffff, v11
	v_add_f32_e32 v11, v11, v11
	s_delay_alu instid0(VALU_DEP_1) | instskip(SKIP_1) | instid1(VALU_DEP_1)
	v_cndmask_b32_e64 v10, 0, v11, s2
	v_cmp_gt_f32_e64 s2, |v1|, 1.0
	v_cndmask_b32_e64 v10, |v1|, v10, s2
	s_delay_alu instid0(VALU_DEP_1) | instskip(NEXT) | instid1(VALU_DEP_1)
	v_add_f32_e32 v11, v10, v10
	v_rndne_f32_e32 v11, v11
	s_delay_alu instid0(VALU_DEP_1) | instskip(SKIP_1) | instid1(VALU_DEP_2)
	v_fmac_f32_e32 v10, -0.5, v11
	v_cvt_i32_f32_e32 v11, v11
	v_mul_f32_e32 v12, v10, v10
	s_delay_alu instid0(VALU_DEP_1) | instskip(SKIP_1) | instid1(VALU_DEP_2)
	v_fmaak_f32 v13, s35, v12, 0xbf1f24be
	v_fmaak_f32 v14, s36, v12, 0x3e642e9d
	;; [unrolled: 1-line block ×3, first 2 shown]
	s_delay_alu instid0(VALU_DEP_2) | instskip(NEXT) | instid1(VALU_DEP_2)
	v_dual_fmaak_f32 v14, v12, v14, 0xbfaad1da :: v_dual_mul_f32 v15, v10, v12
	v_fmaak_f32 v13, v12, v13, 0xc0a55e0e
	s_delay_alu instid0(VALU_DEP_1) | instskip(NEXT) | instid1(VALU_DEP_1)
	v_dual_fmaak_f32 v14, v12, v14, 0x4081e0d3 :: v_dual_mul_f32 v13, v15, v13
	v_dual_fmaak_f32 v14, v12, v14, 0xc09de9e6 :: v_dual_and_b32 v15, 1, v11
	v_lshlrev_b32_e32 v11, 30, v11
	s_delay_alu instid0(VALU_DEP_3) | instskip(NEXT) | instid1(VALU_DEP_3)
	v_fmac_f32_e32 v13, 0x40490fdb, v10
	v_fma_f32 v10, v12, v14, 1.0
	s_delay_alu instid0(VALU_DEP_4) | instskip(NEXT) | instid1(VALU_DEP_4)
	v_cmp_eq_u32_e64 s2, 0, v15
	v_and_b32_e32 v11, 0x80000000, v11
	s_delay_alu instid0(VALU_DEP_2) | instskip(NEXT) | instid1(VALU_DEP_1)
	v_cndmask_b32_e64 v10, v10, v13, s2
	v_xor3_b32 v9, v9, v11, v10
	s_delay_alu instid0(VALU_DEP_1) | instskip(NEXT) | instid1(VALU_DEP_1)
	v_mul_f32_e32 v9, v1, v9
	v_frexp_mant_f32_e64 v10, |v9|
	v_frexp_exp_i32_f32_e32 v9, v9
	s_delay_alu instid0(VALU_DEP_2) | instskip(NEXT) | instid1(VALU_DEP_1)
	v_rcp_f32_e32 v10, v10
	v_sub_nc_u32_e32 v9, 2, v9
	s_waitcnt_depctr 0xfff
	v_mul_f32_e32 v10, 0x3f490fdb, v10
	s_delay_alu instid0(VALU_DEP_1) | instskip(NEXT) | instid1(VALU_DEP_1)
	v_ldexp_f32 v9, v10, v9
	v_cmp_gt_f32_e64 s2, 0x800000, v9
	s_delay_alu instid0(VALU_DEP_1) | instskip(NEXT) | instid1(VALU_DEP_1)
	v_cndmask_b32_e64 v10, 1.0, 0x4f800000, s2
	v_mul_f32_e32 v9, v9, v10
	s_delay_alu instid0(VALU_DEP_1) | instskip(SKIP_3) | instid1(VALU_DEP_2)
	v_log_f32_e32 v9, v9
	s_waitcnt_depctr 0xfff
	v_mul_f32_e32 v10, 0x3f317217, v9
	v_cmp_gt_f32_e64 s3, 0x7f800000, |v9|
	v_fma_f32 v11, 0x3f317217, v9, -v10
	s_delay_alu instid0(VALU_DEP_1) | instskip(NEXT) | instid1(VALU_DEP_1)
	v_fmac_f32_e32 v11, 0x3377d1cf, v9
	v_add_f32_e32 v10, v10, v11
	v_floor_f32_e32 v11, v1
	s_delay_alu instid0(VALU_DEP_2) | instskip(SKIP_1) | instid1(VALU_DEP_3)
	v_cndmask_b32_e64 v9, v9, v10, s3
	v_cndmask_b32_e64 v10, 0, 0x41b17218, s2
	v_sub_f32_e32 v11, v1, v11
	s_delay_alu instid0(VALU_DEP_1) | instskip(NEXT) | instid1(VALU_DEP_1)
	v_dual_sub_f32 v9, v9, v10 :: v_dual_min_f32 v10, 0x3f7fffff, v11
	v_sub_f32_e32 v8, v9, v8
	s_delay_alu instid0(VALU_DEP_2) | instskip(NEXT) | instid1(VALU_DEP_1)
	v_cmp_neq_f32_e64 s2, 0, v10
	v_cndmask_b32_e64 v8, 0x7f800000, v8, s2
.LBB9_39:                               ;   in Loop: Header=BB9_4 Depth=1
	s_or_b32 exec_lo, exec_lo, s5
.LBB9_40:                               ;   in Loop: Header=BB9_4 Depth=1
	s_and_not1_saveexec_b32 s4, s4
; %bb.41:                               ;   in Loop: Header=BB9_4 Depth=1
	v_cmp_eq_f32_e64 s2, 1.0, v1
	v_cmp_eq_f32_e64 s3, 2.0, v1
	s_delay_alu instid0(VALU_DEP_1) | instskip(NEXT) | instid1(SALU_CYCLE_1)
	s_or_b32 s2, s2, s3
	v_cndmask_b32_e64 v8, v8, 0, s2
; %bb.42:                               ;   in Loop: Header=BB9_4 Depth=1
	s_or_b32 exec_lo, exec_lo, s4
	v_and_b32_e32 v10, 0x7fffffff, v2
                                        ; implicit-def: $vgpr9
	s_mov_b32 s3, exec_lo
	v_cmpx_ngt_f32_e64 0x3c800000, |v2|
	s_xor_b32 s4, exec_lo, s3
	s_cbranch_execz .LBB9_72
; %bb.43:                               ;   in Loop: Header=BB9_4 Depth=1
                                        ; implicit-def: $vgpr9
	s_mov_b32 s3, exec_lo
	v_cmpx_nlt_f32_e64 |v2|, 2.0
	s_xor_b32 s5, exec_lo, s3
	s_cbranch_execz .LBB9_53
; %bb.44:                               ;   in Loop: Header=BB9_4 Depth=1
	s_mov_b32 s3, exec_lo
                                        ; implicit-def: $vgpr9
	v_cmpx_ngt_f32_e64 0x41000000, |v2|
	s_xor_b32 s3, exec_lo, s3
	s_cbranch_execz .LBB9_50
; %bb.45:                               ;   in Loop: Header=BB9_4 Depth=1
	s_mov_b32 s6, exec_lo
                                        ; implicit-def: $vgpr9
	v_cmpx_ngt_f32_e64 0x5c800000, |v2|
	s_xor_b32 s6, exec_lo, s6
	s_cbranch_execz .LBB9_47
; %bb.46:                               ;   in Loop: Header=BB9_4 Depth=1
	v_cmp_gt_f32_e64 s37, 0x800000, |v2|
	s_delay_alu instid0(VALU_DEP_1) | instskip(NEXT) | instid1(VALU_DEP_1)
	v_cndmask_b32_e64 v9, 1.0, 0x4f800000, s37
	v_mul_f32_e64 v9, |v2|, v9
	s_delay_alu instid0(VALU_DEP_1) | instskip(SKIP_3) | instid1(VALU_DEP_2)
	v_log_f32_e32 v9, v9
	s_waitcnt_depctr 0xfff
	v_mul_f32_e32 v11, 0x3f317217, v9
	v_cmp_gt_f32_e64 s2, 0x7f800000, |v9|
	v_fma_f32 v12, 0x3f317217, v9, -v11
	s_delay_alu instid0(VALU_DEP_1) | instskip(NEXT) | instid1(VALU_DEP_1)
	v_fmac_f32_e32 v12, 0x3377d1cf, v9
	v_add_f32_e32 v11, v11, v12
	s_delay_alu instid0(VALU_DEP_1) | instskip(SKIP_1) | instid1(VALU_DEP_1)
	v_cndmask_b32_e64 v9, v9, v11, s2
	v_cndmask_b32_e64 v11, 0, 0x41b17218, s37
	v_sub_f32_e32 v9, v9, v11
	s_delay_alu instid0(VALU_DEP_1)
	v_fma_f32 v9, |v2|, v9, -|v2|
.LBB9_47:                               ;   in Loop: Header=BB9_4 Depth=1
	s_and_not1_saveexec_b32 s6, s6
	s_cbranch_execz .LBB9_49
; %bb.48:                               ;   in Loop: Header=BB9_4 Depth=1
	v_cmp_gt_f32_e64 s37, 0x800000, |v2|
	v_rcp_f32_e64 v11, |v2|
	s_delay_alu instid0(VALU_DEP_1) | instskip(NEXT) | instid1(VALU_DEP_1)
	v_cndmask_b32_e64 v9, 1.0, 0x4f800000, s37
	v_mul_f32_e64 v9, |v2|, v9
	s_delay_alu instid0(VALU_DEP_1) | instskip(SKIP_3) | instid1(VALU_DEP_2)
	v_log_f32_e32 v9, v9
	s_waitcnt_depctr 0xfff
	v_dual_mul_f32 v12, v11, v11 :: v_dual_mul_f32 v13, 0x3f317217, v9
	v_cmp_gt_f32_e64 s2, 0x7f800000, |v9|
	v_fma_f32 v15, 0x3f317217, v9, -v13
	s_delay_alu instid0(VALU_DEP_1) | instskip(NEXT) | instid1(VALU_DEP_1)
	v_fmac_f32_e32 v15, 0x3377d1cf, v9
	v_dual_fmaak_f32 v14, s21, v12, 0x3a5b3dd2 :: v_dual_add_f32 v13, v13, v15
	s_delay_alu instid0(VALU_DEP_1) | instskip(SKIP_1) | instid1(VALU_DEP_1)
	v_cndmask_b32_e64 v9, v9, v13, s2
	v_cndmask_b32_e64 v13, 0, 0x41b17218, s37
	v_dual_fmaak_f32 v14, v12, v14, 0xba1c065c :: v_dual_sub_f32 v13, v9, v13
	s_delay_alu instid0(VALU_DEP_1) | instskip(NEXT) | instid1(VALU_DEP_1)
	v_fmaak_f32 v14, v12, v14, 0x3a500cfd
	v_fmaak_f32 v14, v12, v14, 0xbb360b61
	s_delay_alu instid0(VALU_DEP_1) | instskip(NEXT) | instid1(VALU_DEP_1)
	v_fmaak_f32 v12, v12, v14, 0x3daaaaab
	v_dual_fmaak_f32 v9, v11, v12, 0x3ed67f1d :: v_dual_add_f32 v12, -1.0, v13
	v_add_f32_e64 v11, |v2|, -0.5
	s_delay_alu instid0(VALU_DEP_1)
	v_fmac_f32_e32 v9, v11, v12
.LBB9_49:                               ;   in Loop: Header=BB9_4 Depth=1
	s_or_b32 exec_lo, exec_lo, s6
.LBB9_50:                               ;   in Loop: Header=BB9_4 Depth=1
	s_and_not1_saveexec_b32 s6, s3
	s_cbranch_execz .LBB9_52
; %bb.51:                               ;   in Loop: Header=BB9_4 Depth=1
	v_cvt_i32_f32_e32 v9, v10
	s_delay_alu instid0(VALU_DEP_1) | instskip(SKIP_1) | instid1(VALU_DEP_2)
	v_cvt_f32_i32_e32 v11, v9
	v_cmp_lt_i32_e64 s2, 2, v9
	v_sub_f32_e64 v11, |v2|, v11
	s_delay_alu instid0(VALU_DEP_1) | instskip(SKIP_2) | instid1(VALU_DEP_3)
	v_add_f32_e32 v12, 2.0, v11
	v_add_f32_e32 v13, 0x40400000, v11
	v_add_f32_e32 v14, 4.0, v11
	v_cndmask_b32_e64 v12, 1.0, v12, s2
	v_cmp_lt_i32_e64 s2, 3, v9
	s_delay_alu instid0(VALU_DEP_1) | instskip(SKIP_1) | instid1(VALU_DEP_2)
	v_cndmask_b32_e64 v13, 1.0, v13, s2
	v_cmp_lt_i32_e64 s2, 4, v9
	v_dual_add_f32 v15, 0x40a00000, v11 :: v_dual_mul_f32 v12, v12, v13
	s_delay_alu instid0(VALU_DEP_2) | instskip(SKIP_1) | instid1(VALU_DEP_2)
	v_cndmask_b32_e64 v14, 1.0, v14, s2
	v_cmp_lt_i32_e64 s2, 5, v9
	v_mul_f32_e32 v12, v14, v12
	s_delay_alu instid0(VALU_DEP_2) | instskip(SKIP_3) | instid1(VALU_DEP_4)
	v_cndmask_b32_e64 v15, 1.0, v15, s2
	v_add_f32_e32 v13, 0x40c00000, v11
	v_cmp_lt_i32_e64 s2, 6, v9
	v_fmaak_f32 v14, s22, v11, 0x3af135b4
	v_mul_f32_e32 v12, v15, v12
	s_delay_alu instid0(VALU_DEP_3) | instskip(NEXT) | instid1(VALU_DEP_1)
	v_cndmask_b32_e64 v9, 1.0, v13, s2
	v_mul_f32_e32 v9, v9, v12
	s_delay_alu instid0(VALU_DEP_1) | instskip(NEXT) | instid1(VALU_DEP_1)
	v_cmp_gt_f32_e64 s2, 0x800000, v9
	v_cndmask_b32_e64 v13, 1.0, 0x4f800000, s2
	s_delay_alu instid0(VALU_DEP_1) | instskip(SKIP_1) | instid1(VALU_DEP_2)
	v_mul_f32_e32 v9, v9, v13
	v_fmaak_f32 v13, v11, v14, 0x3cda40e4
	v_log_f32_e32 v9, v9
	s_waitcnt_depctr 0xfff
	v_mul_f32_e32 v14, 0x3f317217, v9
	v_cmp_gt_f32_e64 s3, 0x7f800000, |v9|
	s_delay_alu instid0(VALU_DEP_2) | instskip(NEXT) | instid1(VALU_DEP_1)
	v_fma_f32 v15, 0x3f317217, v9, -v14
	v_fmac_f32_e32 v15, 0x3377d1cf, v9
	s_delay_alu instid0(VALU_DEP_1) | instskip(NEXT) | instid1(VALU_DEP_1)
	v_dual_add_f32 v14, v14, v15 :: v_dual_fmaak_f32 v13, v11, v13, 0x3e15dce6
	v_cndmask_b32_e64 v9, v9, v14, s3
	s_delay_alu instid0(VALU_DEP_2) | instskip(NEXT) | instid1(VALU_DEP_1)
	v_fmaak_f32 v13, v11, v13, 0x3ea6cc7a
	v_fmaak_f32 v13, v11, v13, 0x3e5c245a
	s_delay_alu instid0(VALU_DEP_1) | instskip(NEXT) | instid1(VALU_DEP_1)
	v_fmaak_f32 v13, v11, v13, 0xbd9e233f
	v_dual_fmaak_f32 v12, s23, v11, 0x3a4beed6 :: v_dual_mul_f32 v13, v11, v13
	s_delay_alu instid0(VALU_DEP_1) | instskip(NEXT) | instid1(VALU_DEP_1)
	v_fmaak_f32 v12, v11, v12, 0x3c98bf54
	v_fmaak_f32 v12, v11, v12, 0x3e300f6e
	s_delay_alu instid0(VALU_DEP_1) | instskip(NEXT) | instid1(VALU_DEP_1)
	v_fmaak_f32 v12, v11, v12, 0x3f38d0c5
	v_fmaak_f32 v12, v11, v12, 0x3fb22d3b
	s_delay_alu instid0(VALU_DEP_1) | instskip(NEXT) | instid1(VALU_DEP_1)
	v_fma_f32 v12, v11, v12, 1.0
	v_rcp_f32_e32 v12, v12
	s_waitcnt_depctr 0xfff
	v_mul_f32_e32 v12, v13, v12
	v_cndmask_b32_e64 v13, 0, 0x41b17218, s2
	s_delay_alu instid0(VALU_DEP_1) | instskip(NEXT) | instid1(VALU_DEP_1)
	v_dual_fmac_f32 v12, 0.5, v11 :: v_dual_sub_f32 v9, v9, v13
	v_add_f32_e32 v9, v9, v12
.LBB9_52:                               ;   in Loop: Header=BB9_4 Depth=1
	s_or_b32 exec_lo, exec_lo, s6
.LBB9_53:                               ;   in Loop: Header=BB9_4 Depth=1
	s_and_not1_saveexec_b32 s5, s5
	s_cbranch_execz .LBB9_71
; %bb.54:                               ;   in Loop: Header=BB9_4 Depth=1
                                        ; implicit-def: $vgpr9
                                        ; implicit-def: $vgpr12
                                        ; implicit-def: $vgpr11
	s_mov_b32 s3, exec_lo
	v_cmpx_ge_f32_e64 0x3f666666, |v2|
	s_xor_b32 s6, exec_lo, s3
	s_cbranch_execz .LBB9_56
; %bb.55:                               ;   in Loop: Header=BB9_4 Depth=1
	v_cmp_gt_f32_e64 s3, 0x800000, |v2|
	v_sub_f32_e64 v13, 1.0, |v2|
	v_cmp_gt_f32_e64 s2, 0x3f3b4a23, |v2|
	s_delay_alu instid0(VALU_DEP_3) | instskip(SKIP_1) | instid1(VALU_DEP_2)
	v_cndmask_b32_e64 v9, 1.0, 0x4f800000, s3
	v_cndmask_b32_e64 v14, 0, 0x41b17218, s3
	v_mul_f32_e64 v9, |v2|, v9
	s_delay_alu instid0(VALU_DEP_1) | instskip(SKIP_3) | instid1(VALU_DEP_2)
	v_log_f32_e32 v9, v9
	s_waitcnt_depctr 0xfff
	v_mul_f32_e32 v11, 0x3f317217, v9
	v_cmp_gt_f32_e64 s3, 0x7f800000, |v9|
	v_fma_f32 v12, 0x3f317217, v9, -v11
	s_delay_alu instid0(VALU_DEP_1) | instskip(NEXT) | instid1(VALU_DEP_1)
	v_fmac_f32_e32 v12, 0x3377d1cf, v9
	v_add_f32_e32 v11, v11, v12
	v_add_f32_e64 v12, 0xbeec5b0c, |v2|
	s_delay_alu instid0(VALU_DEP_2) | instskip(NEXT) | instid1(VALU_DEP_2)
	v_cndmask_b32_e64 v9, v9, v11, s3
	v_cndmask_b32_e64 v11, v13, v12, s2
	;; [unrolled: 1-line block ×3, first 2 shown]
	v_cmp_gt_f32_e64 s2, 0x3e6d3309, |v2|
	s_delay_alu instid0(VALU_DEP_4) | instskip(NEXT) | instid1(VALU_DEP_2)
	v_sub_f32_e32 v9, v9, v14
	v_cndmask_b32_e64 v11, v11, |v2|, s2
	s_delay_alu instid0(VALU_DEP_4) | instskip(NEXT) | instid1(VALU_DEP_3)
	v_cndmask_b32_e64 v12, v12, 2, s2
	v_xor_b32_e32 v9, 0x80000000, v9
.LBB9_56:                               ;   in Loop: Header=BB9_4 Depth=1
	s_and_not1_saveexec_b32 s3, s6
; %bb.57:                               ;   in Loop: Header=BB9_4 Depth=1
	v_sub_f32_e64 v9, 2.0, |v2|
	v_add_f32_e64 v11, 0xbfbb16c3, |v2|
	v_cmp_gt_f32_e64 s2, 0x3fdda512, |v2|
	v_add_f32_e64 v12, |v2|, -1.0
	s_delay_alu instid0(VALU_DEP_2) | instskip(SKIP_2) | instid1(VALU_DEP_2)
	v_cndmask_b32_e64 v11, v9, v11, s2
	v_cndmask_b32_e64 v9, v9, 1.0, s2
	v_cmp_gt_f32_e64 s2, 0x3f9d70a4, |v2|
	v_cvt_i32_f32_e32 v9, v9
	s_delay_alu instid0(VALU_DEP_2) | instskip(NEXT) | instid1(VALU_DEP_2)
	v_cndmask_b32_e64 v11, v11, v12, s2
	v_cndmask_b32_e64 v12, v9, 2, s2
	v_mov_b32_e32 v9, 0
; %bb.58:                               ;   in Loop: Header=BB9_4 Depth=1
	s_or_b32 exec_lo, exec_lo, s3
	s_delay_alu instid0(SALU_CYCLE_1) | instskip(NEXT) | instid1(VALU_DEP_2)
	s_mov_b32 s3, exec_lo
	v_cmpx_lt_i32_e32 0, v12
	s_xor_b32 s3, exec_lo, s3
	s_cbranch_execz .LBB9_66
; %bb.59:                               ;   in Loop: Header=BB9_4 Depth=1
	s_mov_b32 s6, exec_lo
	v_cmpx_lt_i32_e32 1, v12
	s_xor_b32 s6, exec_lo, s6
	s_cbranch_execz .LBB9_63
; %bb.60:                               ;   in Loop: Header=BB9_4 Depth=1
	s_mov_b32 s37, exec_lo
	v_cmpx_eq_u32_e32 2, v12
	s_cbranch_execz .LBB9_62
; %bb.61:                               ;   in Loop: Header=BB9_4 Depth=1
	v_fmaak_f32 v13, s24, v11, 0x3e6a7578
	s_delay_alu instid0(VALU_DEP_1) | instskip(NEXT) | instid1(VALU_DEP_1)
	v_fmaak_f32 v13, v11, v13, 0x3f7a4bb2
	v_fmaak_f32 v13, v11, v13, 0x3fba3ae7
	s_delay_alu instid0(VALU_DEP_1) | instskip(NEXT) | instid1(VALU_DEP_1)
	v_fmaak_f32 v13, v11, v13, 0x3f2200f4
	v_fmaak_f32 v13, v11, v13, 0xbd9e233f
	s_delay_alu instid0(VALU_DEP_1) | instskip(NEXT) | instid1(VALU_DEP_1)
	v_dual_fmaak_f32 v12, s25, v11, 0x3dd572af :: v_dual_mul_f32 v13, v11, v13
	v_fmaak_f32 v12, v11, v12, 0x3f44efdf
	s_delay_alu instid0(VALU_DEP_1) | instskip(NEXT) | instid1(VALU_DEP_1)
	v_fmaak_f32 v12, v11, v12, 0x4008392d
	v_fmaak_f32 v12, v11, v12, 0x401d2ebe
	s_delay_alu instid0(VALU_DEP_1) | instskip(NEXT) | instid1(VALU_DEP_1)
	v_fma_f32 v12, v11, v12, 1.0
	v_rcp_f32_e32 v12, v12
	s_waitcnt_depctr 0xfff
	v_mul_f32_e32 v12, v13, v12
	s_delay_alu instid0(VALU_DEP_1) | instskip(NEXT) | instid1(VALU_DEP_1)
	v_fmac_f32_e32 v12, -0.5, v11
	v_add_f32_e32 v9, v9, v12
.LBB9_62:                               ;   in Loop: Header=BB9_4 Depth=1
	s_or_b32 exec_lo, exec_lo, s37
                                        ; implicit-def: $vgpr11
.LBB9_63:                               ;   in Loop: Header=BB9_4 Depth=1
	s_and_not1_saveexec_b32 s2, s6
	s_cbranch_execz .LBB9_65
; %bb.64:                               ;   in Loop: Header=BB9_4 Depth=1
	v_mul_f32_e32 v12, v11, v11
	s_delay_alu instid0(VALU_DEP_1) | instskip(NEXT) | instid1(VALU_DEP_1)
	v_mul_f32_e32 v13, v11, v12
	v_fmaak_f32 v15, s28, v13, 0xba0d3085
	v_fmaak_f32 v14, s27, v13, 0x3a66f867
	;; [unrolled: 1-line block ×3, first 2 shown]
	s_delay_alu instid0(VALU_DEP_3) | instskip(NEXT) | instid1(VALU_DEP_3)
	v_fmaak_f32 v15, v13, v15, 0x3b141699
	v_fmaak_f32 v14, v13, v14, 0xbb7177fe
	s_delay_alu instid0(VALU_DEP_3) | instskip(NEXT) | instid1(VALU_DEP_3)
	v_fmaak_f32 v16, v13, v16, 0x3bc7e707
	v_fmaak_f32 v15, v13, v15, 0xbc28fcfe
	;; [unrolled: 3-line block ×4, first 2 shown]
	s_delay_alu instid0(VALU_DEP_1) | instskip(NEXT) | instid1(VALU_DEP_1)
	v_dual_fmac_f32 v14, v11, v15 :: v_dual_fmaak_f32 v11, v13, v16, 0x3ef7b95e
	v_fma_f32 v13, v13, -v14, 0xa2863e55
	s_delay_alu instid0(VALU_DEP_1) | instskip(NEXT) | instid1(VALU_DEP_1)
	v_fma_f32 v11, v12, v11, -v13
	v_add_f32_e32 v11, 0xbdf8cdce, v11
	s_delay_alu instid0(VALU_DEP_1)
	v_add_f32_e32 v9, v9, v11
.LBB9_65:                               ;   in Loop: Header=BB9_4 Depth=1
	s_or_b32 exec_lo, exec_lo, s2
                                        ; implicit-def: $vgpr12
                                        ; implicit-def: $vgpr11
.LBB9_66:                               ;   in Loop: Header=BB9_4 Depth=1
	s_and_not1_saveexec_b32 s3, s3
	s_cbranch_execz .LBB9_70
; %bb.67:                               ;   in Loop: Header=BB9_4 Depth=1
	s_mov_b32 s6, exec_lo
	v_cmpx_eq_u32_e32 0, v12
	s_cbranch_execz .LBB9_69
; %bb.68:                               ;   in Loop: Header=BB9_4 Depth=1
	v_mul_f32_e32 v12, v11, v11
	s_delay_alu instid0(VALU_DEP_1) | instskip(NEXT) | instid1(VALU_DEP_1)
	v_fmaak_f32 v14, s29, v12, 0x39679767
	v_fmaak_f32 v14, v12, v14, 0x3a9c54a1
	s_delay_alu instid0(VALU_DEP_1) | instskip(NEXT) | instid1(VALU_DEP_1)
	v_fmaak_f32 v14, v12, v14, 0x3bf2027e
	v_fmaak_f32 v14, v12, v14, 0x3d89f001
	s_delay_alu instid0(VALU_DEP_1) | instskip(SKIP_1) | instid1(VALU_DEP_1)
	v_fmaak_f32 v14, v12, v14, 0x3d9e233f
	v_fmaak_f32 v13, s33, v12, 0x38e28445
	;; [unrolled: 1-line block ×3, first 2 shown]
	s_delay_alu instid0(VALU_DEP_1) | instskip(NEXT) | instid1(VALU_DEP_1)
	v_fmaak_f32 v13, v12, v13, 0x3b3d6ec6
	v_fmaak_f32 v13, v12, v13, 0x3ca89915
	s_delay_alu instid0(VALU_DEP_1) | instskip(NEXT) | instid1(VALU_DEP_1)
	v_fmaak_f32 v13, v12, v13, 0x3ea51a66
	v_mul_f32_e32 v12, v12, v13
	s_delay_alu instid0(VALU_DEP_1) | instskip(NEXT) | instid1(VALU_DEP_1)
	v_fmac_f32_e32 v12, v11, v14
	v_fmac_f32_e32 v12, -0.5, v11
	s_delay_alu instid0(VALU_DEP_1)
	v_add_f32_e32 v9, v9, v12
.LBB9_69:                               ;   in Loop: Header=BB9_4 Depth=1
	s_or_b32 exec_lo, exec_lo, s6
.LBB9_70:                               ;   in Loop: Header=BB9_4 Depth=1
	s_delay_alu instid0(SALU_CYCLE_1)
	s_or_b32 exec_lo, exec_lo, s3
.LBB9_71:                               ;   in Loop: Header=BB9_4 Depth=1
	s_delay_alu instid0(SALU_CYCLE_1)
	s_or_b32 exec_lo, exec_lo, s5
.LBB9_72:                               ;   in Loop: Header=BB9_4 Depth=1
	s_and_not1_saveexec_b32 s3, s4
	s_cbranch_execz .LBB9_74
; %bb.73:                               ;   in Loop: Header=BB9_4 Depth=1
	v_cmp_gt_f32_e64 s4, 0x800000, |v2|
	v_fma_f32 v13, |v2|, s34, 0xbecd26ab
	s_delay_alu instid0(VALU_DEP_2) | instskip(NEXT) | instid1(VALU_DEP_1)
	v_cndmask_b32_e64 v9, 1.0, 0x4f800000, s4
	v_mul_f32_e64 v9, |v2|, v9
	s_delay_alu instid0(VALU_DEP_1) | instskip(SKIP_3) | instid1(VALU_DEP_2)
	v_log_f32_e32 v9, v9
	s_waitcnt_depctr 0xfff
	v_mul_f32_e32 v11, 0x3f317217, v9
	v_cmp_gt_f32_e64 s2, 0x7f800000, |v9|
	v_fma_f32 v12, 0x3f317217, v9, -v11
	s_delay_alu instid0(VALU_DEP_1) | instskip(NEXT) | instid1(VALU_DEP_1)
	v_fmac_f32_e32 v12, 0x3377d1cf, v9
	v_add_f32_e32 v11, v11, v12
	v_fma_f32 v12, |v2|, v13, 0x3f528d33
	s_delay_alu instid0(VALU_DEP_2) | instskip(SKIP_1) | instid1(VALU_DEP_3)
	v_cndmask_b32_e64 v9, v9, v11, s2
	v_cndmask_b32_e64 v11, 0, 0x41b17218, s4
	v_fma_f32 v12, |v2|, v12, 0xbf13c468
	s_delay_alu instid0(VALU_DEP_2) | instskip(NEXT) | instid1(VALU_DEP_1)
	v_sub_f32_e32 v9, v9, v11
	v_fma_f32 v9, |v2|, v12, -v9
.LBB9_74:                               ;   in Loop: Header=BB9_4 Depth=1
	s_or_b32 exec_lo, exec_lo, s3
	v_cmp_le_f32_e64 s2, 0, v2
	s_mov_b32 s4, exec_lo
	v_cmpx_nle_f32_e32 0, v2
	s_xor_b32 s5, exec_lo, s4
	s_cbranch_execz .LBB9_78
; %bb.75:                               ;   in Loop: Header=BB9_4 Depth=1
	v_cmp_gt_f32_e64 s3, 0x4b000000, |v2|
	v_cmp_lt_f32_e64 s4, 0x35000000, |v2|
	s_delay_alu instid0(VALU_DEP_1) | instskip(NEXT) | instid1(SALU_CYCLE_1)
	s_and_b32 s3, s3, s4
	s_and_saveexec_b32 s6, s3
	s_cbranch_execz .LBB9_77
; %bb.76:                               ;   in Loop: Header=BB9_4 Depth=1
	v_mul_f32_e64 v11, |v2|, 0.5
	v_xor_b32_e32 v10, v10, v2
	s_delay_alu instid0(VALU_DEP_2) | instskip(SKIP_1) | instid1(VALU_DEP_2)
	v_floor_f32_e32 v12, v11
	v_cmp_neq_f32_e64 s3, 0x7f800000, v11
	v_sub_f32_e32 v12, v11, v12
	s_delay_alu instid0(VALU_DEP_1) | instskip(NEXT) | instid1(VALU_DEP_1)
	v_min_f32_e32 v12, 0x3f7fffff, v12
	v_add_f32_e32 v12, v12, v12
	s_delay_alu instid0(VALU_DEP_1) | instskip(SKIP_1) | instid1(VALU_DEP_1)
	v_cndmask_b32_e64 v11, 0, v12, s3
	v_cmp_gt_f32_e64 s3, |v2|, 1.0
	v_cndmask_b32_e64 v11, |v2|, v11, s3
	s_delay_alu instid0(VALU_DEP_1) | instskip(NEXT) | instid1(VALU_DEP_1)
	v_add_f32_e32 v12, v11, v11
	v_rndne_f32_e32 v12, v12
	s_delay_alu instid0(VALU_DEP_1) | instskip(SKIP_1) | instid1(VALU_DEP_2)
	v_fmac_f32_e32 v11, -0.5, v12
	v_cvt_i32_f32_e32 v12, v12
	v_mul_f32_e32 v13, v11, v11
	s_delay_alu instid0(VALU_DEP_1) | instskip(SKIP_1) | instid1(VALU_DEP_2)
	v_fmaak_f32 v14, s35, v13, 0xbf1f24be
	v_fmaak_f32 v15, s36, v13, 0x3e642e9d
	;; [unrolled: 1-line block ×3, first 2 shown]
	s_delay_alu instid0(VALU_DEP_2) | instskip(NEXT) | instid1(VALU_DEP_2)
	v_dual_fmaak_f32 v15, v13, v15, 0xbfaad1da :: v_dual_mul_f32 v16, v11, v13
	v_fmaak_f32 v14, v13, v14, 0xc0a55e0e
	s_delay_alu instid0(VALU_DEP_1) | instskip(NEXT) | instid1(VALU_DEP_1)
	v_dual_fmaak_f32 v15, v13, v15, 0x4081e0d3 :: v_dual_mul_f32 v14, v16, v14
	v_dual_fmaak_f32 v15, v13, v15, 0xc09de9e6 :: v_dual_and_b32 v16, 1, v12
	v_lshlrev_b32_e32 v12, 30, v12
	s_delay_alu instid0(VALU_DEP_3) | instskip(NEXT) | instid1(VALU_DEP_3)
	v_fmac_f32_e32 v14, 0x40490fdb, v11
	v_fma_f32 v11, v13, v15, 1.0
	s_delay_alu instid0(VALU_DEP_4) | instskip(NEXT) | instid1(VALU_DEP_4)
	v_cmp_eq_u32_e64 s3, 0, v16
	v_and_b32_e32 v12, 0x80000000, v12
	s_delay_alu instid0(VALU_DEP_2) | instskip(NEXT) | instid1(VALU_DEP_1)
	v_cndmask_b32_e64 v11, v11, v14, s3
	v_xor3_b32 v10, v10, v12, v11
	s_delay_alu instid0(VALU_DEP_1) | instskip(NEXT) | instid1(VALU_DEP_1)
	v_mul_f32_e32 v10, v2, v10
	v_frexp_mant_f32_e64 v11, |v10|
	v_frexp_exp_i32_f32_e32 v10, v10
	s_delay_alu instid0(VALU_DEP_2) | instskip(NEXT) | instid1(VALU_DEP_1)
	v_rcp_f32_e32 v11, v11
	v_sub_nc_u32_e32 v10, 2, v10
	s_waitcnt_depctr 0xfff
	v_mul_f32_e32 v11, 0x3f490fdb, v11
	s_delay_alu instid0(VALU_DEP_1) | instskip(NEXT) | instid1(VALU_DEP_1)
	v_ldexp_f32 v10, v11, v10
	v_cmp_gt_f32_e64 s3, 0x800000, v10
	s_delay_alu instid0(VALU_DEP_1) | instskip(NEXT) | instid1(VALU_DEP_1)
	v_cndmask_b32_e64 v11, 1.0, 0x4f800000, s3
	v_mul_f32_e32 v10, v10, v11
	s_delay_alu instid0(VALU_DEP_1) | instskip(SKIP_3) | instid1(VALU_DEP_2)
	v_log_f32_e32 v10, v10
	s_waitcnt_depctr 0xfff
	v_mul_f32_e32 v11, 0x3f317217, v10
	v_cmp_gt_f32_e64 s4, 0x7f800000, |v10|
	v_fma_f32 v12, 0x3f317217, v10, -v11
	s_delay_alu instid0(VALU_DEP_1) | instskip(NEXT) | instid1(VALU_DEP_1)
	v_fmac_f32_e32 v12, 0x3377d1cf, v10
	v_add_f32_e32 v11, v11, v12
	v_floor_f32_e32 v12, v2
	s_delay_alu instid0(VALU_DEP_2) | instskip(SKIP_1) | instid1(VALU_DEP_3)
	v_cndmask_b32_e64 v10, v10, v11, s4
	v_cndmask_b32_e64 v11, 0, 0x41b17218, s3
	v_sub_f32_e32 v12, v2, v12
	s_delay_alu instid0(VALU_DEP_1) | instskip(NEXT) | instid1(VALU_DEP_1)
	v_dual_sub_f32 v10, v10, v11 :: v_dual_min_f32 v11, 0x3f7fffff, v12
	v_sub_f32_e32 v9, v10, v9
	s_delay_alu instid0(VALU_DEP_2) | instskip(NEXT) | instid1(VALU_DEP_1)
	v_cmp_neq_f32_e64 s3, 0, v11
	v_cndmask_b32_e64 v9, 0x7f800000, v9, s3
.LBB9_77:                               ;   in Loop: Header=BB9_4 Depth=1
	s_or_b32 exec_lo, exec_lo, s6
.LBB9_78:                               ;   in Loop: Header=BB9_4 Depth=1
	s_and_not1_saveexec_b32 s5, s5
; %bb.79:                               ;   in Loop: Header=BB9_4 Depth=1
	v_cmp_eq_f32_e64 s3, 1.0, v2
	v_cmp_eq_f32_e64 s4, 2.0, v2
	s_delay_alu instid0(VALU_DEP_1) | instskip(NEXT) | instid1(SALU_CYCLE_1)
	s_or_b32 s3, s3, s4
	v_cndmask_b32_e64 v9, v9, 0, s3
; %bb.80:                               ;   in Loop: Header=BB9_4 Depth=1
	s_or_b32 exec_lo, exec_lo, s5
	v_and_b32_e32 v11, 0x7fffffff, v3
                                        ; implicit-def: $vgpr10
	s_mov_b32 s4, exec_lo
	v_cmpx_ngt_f32_e64 0x3c800000, |v3|
	s_xor_b32 s5, exec_lo, s4
	s_cbranch_execz .LBB9_110
; %bb.81:                               ;   in Loop: Header=BB9_4 Depth=1
                                        ; implicit-def: $vgpr10
	s_mov_b32 s4, exec_lo
	v_cmpx_nlt_f32_e64 |v3|, 2.0
	s_xor_b32 s6, exec_lo, s4
	s_cbranch_execz .LBB9_91
; %bb.82:                               ;   in Loop: Header=BB9_4 Depth=1
	s_mov_b32 s4, exec_lo
                                        ; implicit-def: $vgpr10
	v_cmpx_ngt_f32_e64 0x41000000, |v3|
	s_xor_b32 s4, exec_lo, s4
	s_cbranch_execz .LBB9_88
; %bb.83:                               ;   in Loop: Header=BB9_4 Depth=1
	s_mov_b32 s37, exec_lo
                                        ; implicit-def: $vgpr10
	v_cmpx_ngt_f32_e64 0x5c800000, |v3|
	s_xor_b32 s37, exec_lo, s37
	s_cbranch_execz .LBB9_85
; %bb.84:                               ;   in Loop: Header=BB9_4 Depth=1
	v_cmp_gt_f32_e64 s38, 0x800000, |v3|
	s_delay_alu instid0(VALU_DEP_1) | instskip(NEXT) | instid1(VALU_DEP_1)
	v_cndmask_b32_e64 v10, 1.0, 0x4f800000, s38
	v_mul_f32_e64 v10, |v3|, v10
	s_delay_alu instid0(VALU_DEP_1) | instskip(SKIP_3) | instid1(VALU_DEP_2)
	v_log_f32_e32 v10, v10
	s_waitcnt_depctr 0xfff
	v_mul_f32_e32 v12, 0x3f317217, v10
	v_cmp_gt_f32_e64 s3, 0x7f800000, |v10|
	v_fma_f32 v13, 0x3f317217, v10, -v12
	s_delay_alu instid0(VALU_DEP_1) | instskip(NEXT) | instid1(VALU_DEP_1)
	v_fmac_f32_e32 v13, 0x3377d1cf, v10
	v_add_f32_e32 v12, v12, v13
	s_delay_alu instid0(VALU_DEP_1) | instskip(SKIP_1) | instid1(VALU_DEP_1)
	v_cndmask_b32_e64 v10, v10, v12, s3
	v_cndmask_b32_e64 v12, 0, 0x41b17218, s38
	v_sub_f32_e32 v10, v10, v12
	s_delay_alu instid0(VALU_DEP_1)
	v_fma_f32 v10, |v3|, v10, -|v3|
.LBB9_85:                               ;   in Loop: Header=BB9_4 Depth=1
	s_and_not1_saveexec_b32 s37, s37
	s_cbranch_execz .LBB9_87
; %bb.86:                               ;   in Loop: Header=BB9_4 Depth=1
	v_cmp_gt_f32_e64 s38, 0x800000, |v3|
	v_rcp_f32_e64 v12, |v3|
	s_delay_alu instid0(VALU_DEP_1) | instskip(NEXT) | instid1(VALU_DEP_1)
	v_cndmask_b32_e64 v10, 1.0, 0x4f800000, s38
	v_mul_f32_e64 v10, |v3|, v10
	s_delay_alu instid0(VALU_DEP_1) | instskip(SKIP_3) | instid1(VALU_DEP_2)
	v_log_f32_e32 v10, v10
	s_waitcnt_depctr 0xfff
	v_dual_mul_f32 v13, v12, v12 :: v_dual_mul_f32 v14, 0x3f317217, v10
	v_cmp_gt_f32_e64 s3, 0x7f800000, |v10|
	v_fma_f32 v16, 0x3f317217, v10, -v14
	s_delay_alu instid0(VALU_DEP_1) | instskip(NEXT) | instid1(VALU_DEP_1)
	v_fmac_f32_e32 v16, 0x3377d1cf, v10
	v_dual_fmaak_f32 v15, s21, v13, 0x3a5b3dd2 :: v_dual_add_f32 v14, v14, v16
	s_delay_alu instid0(VALU_DEP_1) | instskip(SKIP_1) | instid1(VALU_DEP_1)
	v_cndmask_b32_e64 v10, v10, v14, s3
	v_cndmask_b32_e64 v14, 0, 0x41b17218, s38
	v_dual_fmaak_f32 v15, v13, v15, 0xba1c065c :: v_dual_sub_f32 v14, v10, v14
	s_delay_alu instid0(VALU_DEP_1) | instskip(NEXT) | instid1(VALU_DEP_1)
	v_fmaak_f32 v15, v13, v15, 0x3a500cfd
	v_fmaak_f32 v15, v13, v15, 0xbb360b61
	s_delay_alu instid0(VALU_DEP_1) | instskip(NEXT) | instid1(VALU_DEP_1)
	v_fmaak_f32 v13, v13, v15, 0x3daaaaab
	v_dual_fmaak_f32 v10, v12, v13, 0x3ed67f1d :: v_dual_add_f32 v13, -1.0, v14
	v_add_f32_e64 v12, |v3|, -0.5
	s_delay_alu instid0(VALU_DEP_1)
	v_fmac_f32_e32 v10, v12, v13
.LBB9_87:                               ;   in Loop: Header=BB9_4 Depth=1
	s_or_b32 exec_lo, exec_lo, s37
.LBB9_88:                               ;   in Loop: Header=BB9_4 Depth=1
	s_and_not1_saveexec_b32 s37, s4
	s_cbranch_execz .LBB9_90
; %bb.89:                               ;   in Loop: Header=BB9_4 Depth=1
	v_cvt_i32_f32_e32 v10, v11
	s_delay_alu instid0(VALU_DEP_1) | instskip(SKIP_1) | instid1(VALU_DEP_2)
	v_cvt_f32_i32_e32 v12, v10
	v_cmp_lt_i32_e64 s3, 2, v10
	v_sub_f32_e64 v12, |v3|, v12
	s_delay_alu instid0(VALU_DEP_1) | instskip(SKIP_2) | instid1(VALU_DEP_3)
	v_add_f32_e32 v13, 2.0, v12
	v_add_f32_e32 v14, 0x40400000, v12
	v_add_f32_e32 v15, 4.0, v12
	v_cndmask_b32_e64 v13, 1.0, v13, s3
	v_cmp_lt_i32_e64 s3, 3, v10
	s_delay_alu instid0(VALU_DEP_1) | instskip(SKIP_1) | instid1(VALU_DEP_2)
	v_cndmask_b32_e64 v14, 1.0, v14, s3
	v_cmp_lt_i32_e64 s3, 4, v10
	v_dual_add_f32 v16, 0x40a00000, v12 :: v_dual_mul_f32 v13, v13, v14
	s_delay_alu instid0(VALU_DEP_2) | instskip(SKIP_1) | instid1(VALU_DEP_2)
	v_cndmask_b32_e64 v15, 1.0, v15, s3
	v_cmp_lt_i32_e64 s3, 5, v10
	v_mul_f32_e32 v13, v15, v13
	s_delay_alu instid0(VALU_DEP_2) | instskip(SKIP_3) | instid1(VALU_DEP_4)
	v_cndmask_b32_e64 v16, 1.0, v16, s3
	v_add_f32_e32 v14, 0x40c00000, v12
	v_cmp_lt_i32_e64 s3, 6, v10
	v_fmaak_f32 v15, s22, v12, 0x3af135b4
	v_mul_f32_e32 v13, v16, v13
	s_delay_alu instid0(VALU_DEP_3) | instskip(NEXT) | instid1(VALU_DEP_1)
	v_cndmask_b32_e64 v10, 1.0, v14, s3
	v_mul_f32_e32 v10, v10, v13
	s_delay_alu instid0(VALU_DEP_1) | instskip(NEXT) | instid1(VALU_DEP_1)
	v_cmp_gt_f32_e64 s3, 0x800000, v10
	v_cndmask_b32_e64 v14, 1.0, 0x4f800000, s3
	s_delay_alu instid0(VALU_DEP_1) | instskip(SKIP_1) | instid1(VALU_DEP_2)
	v_mul_f32_e32 v10, v10, v14
	v_fmaak_f32 v14, v12, v15, 0x3cda40e4
	v_log_f32_e32 v10, v10
	s_waitcnt_depctr 0xfff
	v_mul_f32_e32 v15, 0x3f317217, v10
	v_cmp_gt_f32_e64 s4, 0x7f800000, |v10|
	s_delay_alu instid0(VALU_DEP_2) | instskip(NEXT) | instid1(VALU_DEP_1)
	v_fma_f32 v16, 0x3f317217, v10, -v15
	v_fmac_f32_e32 v16, 0x3377d1cf, v10
	s_delay_alu instid0(VALU_DEP_1) | instskip(NEXT) | instid1(VALU_DEP_1)
	v_dual_add_f32 v15, v15, v16 :: v_dual_fmaak_f32 v14, v12, v14, 0x3e15dce6
	v_cndmask_b32_e64 v10, v10, v15, s4
	s_delay_alu instid0(VALU_DEP_2) | instskip(NEXT) | instid1(VALU_DEP_1)
	v_fmaak_f32 v14, v12, v14, 0x3ea6cc7a
	v_fmaak_f32 v14, v12, v14, 0x3e5c245a
	s_delay_alu instid0(VALU_DEP_1) | instskip(NEXT) | instid1(VALU_DEP_1)
	v_fmaak_f32 v14, v12, v14, 0xbd9e233f
	v_dual_fmaak_f32 v13, s23, v12, 0x3a4beed6 :: v_dual_mul_f32 v14, v12, v14
	s_delay_alu instid0(VALU_DEP_1) | instskip(NEXT) | instid1(VALU_DEP_1)
	v_fmaak_f32 v13, v12, v13, 0x3c98bf54
	v_fmaak_f32 v13, v12, v13, 0x3e300f6e
	s_delay_alu instid0(VALU_DEP_1) | instskip(NEXT) | instid1(VALU_DEP_1)
	v_fmaak_f32 v13, v12, v13, 0x3f38d0c5
	v_fmaak_f32 v13, v12, v13, 0x3fb22d3b
	s_delay_alu instid0(VALU_DEP_1) | instskip(NEXT) | instid1(VALU_DEP_1)
	v_fma_f32 v13, v12, v13, 1.0
	v_rcp_f32_e32 v13, v13
	s_waitcnt_depctr 0xfff
	v_mul_f32_e32 v13, v14, v13
	v_cndmask_b32_e64 v14, 0, 0x41b17218, s3
	s_delay_alu instid0(VALU_DEP_1) | instskip(NEXT) | instid1(VALU_DEP_1)
	v_dual_fmac_f32 v13, 0.5, v12 :: v_dual_sub_f32 v10, v10, v14
	v_add_f32_e32 v10, v10, v13
.LBB9_90:                               ;   in Loop: Header=BB9_4 Depth=1
	s_or_b32 exec_lo, exec_lo, s37
.LBB9_91:                               ;   in Loop: Header=BB9_4 Depth=1
	s_and_not1_saveexec_b32 s6, s6
	s_cbranch_execz .LBB9_109
; %bb.92:                               ;   in Loop: Header=BB9_4 Depth=1
                                        ; implicit-def: $vgpr10
                                        ; implicit-def: $vgpr13
                                        ; implicit-def: $vgpr12
	s_mov_b32 s4, exec_lo
	v_cmpx_ge_f32_e64 0x3f666666, |v3|
	s_xor_b32 s37, exec_lo, s4
	s_cbranch_execz .LBB9_94
; %bb.93:                               ;   in Loop: Header=BB9_4 Depth=1
	v_cmp_gt_f32_e64 s4, 0x800000, |v3|
	v_sub_f32_e64 v14, 1.0, |v3|
	v_cmp_gt_f32_e64 s3, 0x3f3b4a23, |v3|
	s_delay_alu instid0(VALU_DEP_3) | instskip(SKIP_1) | instid1(VALU_DEP_2)
	v_cndmask_b32_e64 v10, 1.0, 0x4f800000, s4
	v_cndmask_b32_e64 v15, 0, 0x41b17218, s4
	v_mul_f32_e64 v10, |v3|, v10
	s_delay_alu instid0(VALU_DEP_1) | instskip(SKIP_3) | instid1(VALU_DEP_2)
	v_log_f32_e32 v10, v10
	s_waitcnt_depctr 0xfff
	v_mul_f32_e32 v12, 0x3f317217, v10
	v_cmp_gt_f32_e64 s4, 0x7f800000, |v10|
	v_fma_f32 v13, 0x3f317217, v10, -v12
	s_delay_alu instid0(VALU_DEP_1) | instskip(NEXT) | instid1(VALU_DEP_1)
	v_fmac_f32_e32 v13, 0x3377d1cf, v10
	v_add_f32_e32 v12, v12, v13
	v_add_f32_e64 v13, 0xbeec5b0c, |v3|
	s_delay_alu instid0(VALU_DEP_2) | instskip(NEXT) | instid1(VALU_DEP_2)
	v_cndmask_b32_e64 v10, v10, v12, s4
	v_cndmask_b32_e64 v12, v14, v13, s3
	;; [unrolled: 1-line block ×3, first 2 shown]
	v_cmp_gt_f32_e64 s3, 0x3e6d3309, |v3|
	s_delay_alu instid0(VALU_DEP_4) | instskip(NEXT) | instid1(VALU_DEP_2)
	v_sub_f32_e32 v10, v10, v15
	v_cndmask_b32_e64 v12, v12, |v3|, s3
	s_delay_alu instid0(VALU_DEP_4) | instskip(NEXT) | instid1(VALU_DEP_3)
	v_cndmask_b32_e64 v13, v13, 2, s3
	v_xor_b32_e32 v10, 0x80000000, v10
.LBB9_94:                               ;   in Loop: Header=BB9_4 Depth=1
	s_and_not1_saveexec_b32 s4, s37
; %bb.95:                               ;   in Loop: Header=BB9_4 Depth=1
	v_sub_f32_e64 v10, 2.0, |v3|
	v_add_f32_e64 v12, 0xbfbb16c3, |v3|
	v_cmp_gt_f32_e64 s3, 0x3fdda512, |v3|
	v_add_f32_e64 v13, |v3|, -1.0
	s_delay_alu instid0(VALU_DEP_2) | instskip(SKIP_2) | instid1(VALU_DEP_2)
	v_cndmask_b32_e64 v12, v10, v12, s3
	v_cndmask_b32_e64 v10, v10, 1.0, s3
	v_cmp_gt_f32_e64 s3, 0x3f9d70a4, |v3|
	v_cvt_i32_f32_e32 v10, v10
	s_delay_alu instid0(VALU_DEP_2) | instskip(NEXT) | instid1(VALU_DEP_2)
	v_cndmask_b32_e64 v12, v12, v13, s3
	v_cndmask_b32_e64 v13, v10, 2, s3
	v_mov_b32_e32 v10, 0
; %bb.96:                               ;   in Loop: Header=BB9_4 Depth=1
	s_or_b32 exec_lo, exec_lo, s4
	s_delay_alu instid0(SALU_CYCLE_1) | instskip(NEXT) | instid1(VALU_DEP_2)
	s_mov_b32 s4, exec_lo
	v_cmpx_lt_i32_e32 0, v13
	s_xor_b32 s4, exec_lo, s4
	s_cbranch_execz .LBB9_104
; %bb.97:                               ;   in Loop: Header=BB9_4 Depth=1
	s_mov_b32 s37, exec_lo
	v_cmpx_lt_i32_e32 1, v13
	s_xor_b32 s37, exec_lo, s37
	s_cbranch_execz .LBB9_101
; %bb.98:                               ;   in Loop: Header=BB9_4 Depth=1
	s_mov_b32 s38, exec_lo
	v_cmpx_eq_u32_e32 2, v13
	s_cbranch_execz .LBB9_100
; %bb.99:                               ;   in Loop: Header=BB9_4 Depth=1
	v_fmaak_f32 v14, s24, v12, 0x3e6a7578
	s_delay_alu instid0(VALU_DEP_1) | instskip(NEXT) | instid1(VALU_DEP_1)
	v_fmaak_f32 v14, v12, v14, 0x3f7a4bb2
	v_fmaak_f32 v14, v12, v14, 0x3fba3ae7
	s_delay_alu instid0(VALU_DEP_1) | instskip(NEXT) | instid1(VALU_DEP_1)
	v_fmaak_f32 v14, v12, v14, 0x3f2200f4
	v_fmaak_f32 v14, v12, v14, 0xbd9e233f
	s_delay_alu instid0(VALU_DEP_1) | instskip(NEXT) | instid1(VALU_DEP_1)
	v_dual_fmaak_f32 v13, s25, v12, 0x3dd572af :: v_dual_mul_f32 v14, v12, v14
	v_fmaak_f32 v13, v12, v13, 0x3f44efdf
	s_delay_alu instid0(VALU_DEP_1) | instskip(NEXT) | instid1(VALU_DEP_1)
	v_fmaak_f32 v13, v12, v13, 0x4008392d
	v_fmaak_f32 v13, v12, v13, 0x401d2ebe
	s_delay_alu instid0(VALU_DEP_1) | instskip(NEXT) | instid1(VALU_DEP_1)
	v_fma_f32 v13, v12, v13, 1.0
	v_rcp_f32_e32 v13, v13
	s_waitcnt_depctr 0xfff
	v_mul_f32_e32 v13, v14, v13
	s_delay_alu instid0(VALU_DEP_1) | instskip(NEXT) | instid1(VALU_DEP_1)
	v_fmac_f32_e32 v13, -0.5, v12
	v_add_f32_e32 v10, v10, v13
.LBB9_100:                              ;   in Loop: Header=BB9_4 Depth=1
	s_or_b32 exec_lo, exec_lo, s38
                                        ; implicit-def: $vgpr12
.LBB9_101:                              ;   in Loop: Header=BB9_4 Depth=1
	s_and_not1_saveexec_b32 s3, s37
	s_cbranch_execz .LBB9_103
; %bb.102:                              ;   in Loop: Header=BB9_4 Depth=1
	v_mul_f32_e32 v13, v12, v12
	s_delay_alu instid0(VALU_DEP_1) | instskip(NEXT) | instid1(VALU_DEP_1)
	v_mul_f32_e32 v14, v12, v13
	v_fmaak_f32 v16, s28, v14, 0xba0d3085
	v_fmaak_f32 v15, s27, v14, 0x3a66f867
	;; [unrolled: 1-line block ×3, first 2 shown]
	s_delay_alu instid0(VALU_DEP_3) | instskip(NEXT) | instid1(VALU_DEP_3)
	v_fmaak_f32 v16, v14, v16, 0x3b141699
	v_fmaak_f32 v15, v14, v15, 0xbb7177fe
	s_delay_alu instid0(VALU_DEP_3) | instskip(NEXT) | instid1(VALU_DEP_3)
	v_fmaak_f32 v17, v14, v17, 0x3bc7e707
	v_fmaak_f32 v16, v14, v16, 0xbc28fcfe
	;; [unrolled: 3-line block ×4, first 2 shown]
	s_delay_alu instid0(VALU_DEP_1) | instskip(NEXT) | instid1(VALU_DEP_1)
	v_dual_fmac_f32 v15, v12, v16 :: v_dual_fmaak_f32 v12, v14, v17, 0x3ef7b95e
	v_fma_f32 v14, v14, -v15, 0xa2863e55
	s_delay_alu instid0(VALU_DEP_1) | instskip(NEXT) | instid1(VALU_DEP_1)
	v_fma_f32 v12, v13, v12, -v14
	v_add_f32_e32 v12, 0xbdf8cdce, v12
	s_delay_alu instid0(VALU_DEP_1)
	v_add_f32_e32 v10, v10, v12
.LBB9_103:                              ;   in Loop: Header=BB9_4 Depth=1
	s_or_b32 exec_lo, exec_lo, s3
                                        ; implicit-def: $vgpr13
                                        ; implicit-def: $vgpr12
.LBB9_104:                              ;   in Loop: Header=BB9_4 Depth=1
	s_and_not1_saveexec_b32 s4, s4
	s_cbranch_execz .LBB9_108
; %bb.105:                              ;   in Loop: Header=BB9_4 Depth=1
	s_mov_b32 s37, exec_lo
	v_cmpx_eq_u32_e32 0, v13
	s_cbranch_execz .LBB9_107
; %bb.106:                              ;   in Loop: Header=BB9_4 Depth=1
	v_mul_f32_e32 v13, v12, v12
	s_delay_alu instid0(VALU_DEP_1) | instskip(NEXT) | instid1(VALU_DEP_1)
	v_fmaak_f32 v15, s29, v13, 0x39679767
	v_fmaak_f32 v15, v13, v15, 0x3a9c54a1
	s_delay_alu instid0(VALU_DEP_1) | instskip(NEXT) | instid1(VALU_DEP_1)
	v_fmaak_f32 v15, v13, v15, 0x3bf2027e
	v_fmaak_f32 v15, v13, v15, 0x3d89f001
	s_delay_alu instid0(VALU_DEP_1) | instskip(SKIP_1) | instid1(VALU_DEP_1)
	v_fmaak_f32 v15, v13, v15, 0x3d9e233f
	v_fmaak_f32 v14, s33, v13, 0x38e28445
	;; [unrolled: 1-line block ×3, first 2 shown]
	s_delay_alu instid0(VALU_DEP_1) | instskip(NEXT) | instid1(VALU_DEP_1)
	v_fmaak_f32 v14, v13, v14, 0x3b3d6ec6
	v_fmaak_f32 v14, v13, v14, 0x3ca89915
	s_delay_alu instid0(VALU_DEP_1) | instskip(NEXT) | instid1(VALU_DEP_1)
	v_fmaak_f32 v14, v13, v14, 0x3ea51a66
	v_mul_f32_e32 v13, v13, v14
	s_delay_alu instid0(VALU_DEP_1) | instskip(NEXT) | instid1(VALU_DEP_1)
	v_fmac_f32_e32 v13, v12, v15
	v_fmac_f32_e32 v13, -0.5, v12
	s_delay_alu instid0(VALU_DEP_1)
	v_add_f32_e32 v10, v10, v13
.LBB9_107:                              ;   in Loop: Header=BB9_4 Depth=1
	s_or_b32 exec_lo, exec_lo, s37
.LBB9_108:                              ;   in Loop: Header=BB9_4 Depth=1
	s_delay_alu instid0(SALU_CYCLE_1)
	s_or_b32 exec_lo, exec_lo, s4
.LBB9_109:                              ;   in Loop: Header=BB9_4 Depth=1
	s_delay_alu instid0(SALU_CYCLE_1)
	s_or_b32 exec_lo, exec_lo, s6
.LBB9_110:                              ;   in Loop: Header=BB9_4 Depth=1
	s_and_not1_saveexec_b32 s4, s5
	s_cbranch_execz .LBB9_112
; %bb.111:                              ;   in Loop: Header=BB9_4 Depth=1
	v_cmp_gt_f32_e64 s5, 0x800000, |v3|
	v_fma_f32 v14, |v3|, s34, 0xbecd26ab
	s_delay_alu instid0(VALU_DEP_2) | instskip(NEXT) | instid1(VALU_DEP_1)
	v_cndmask_b32_e64 v10, 1.0, 0x4f800000, s5
	v_mul_f32_e64 v10, |v3|, v10
	s_delay_alu instid0(VALU_DEP_1) | instskip(SKIP_3) | instid1(VALU_DEP_2)
	v_log_f32_e32 v10, v10
	s_waitcnt_depctr 0xfff
	v_mul_f32_e32 v12, 0x3f317217, v10
	v_cmp_gt_f32_e64 s3, 0x7f800000, |v10|
	v_fma_f32 v13, 0x3f317217, v10, -v12
	s_delay_alu instid0(VALU_DEP_1) | instskip(NEXT) | instid1(VALU_DEP_1)
	v_fmac_f32_e32 v13, 0x3377d1cf, v10
	v_add_f32_e32 v12, v12, v13
	v_fma_f32 v13, |v3|, v14, 0x3f528d33
	s_delay_alu instid0(VALU_DEP_2) | instskip(SKIP_1) | instid1(VALU_DEP_3)
	v_cndmask_b32_e64 v10, v10, v12, s3
	v_cndmask_b32_e64 v12, 0, 0x41b17218, s5
	v_fma_f32 v13, |v3|, v13, 0xbf13c468
	s_delay_alu instid0(VALU_DEP_2) | instskip(NEXT) | instid1(VALU_DEP_1)
	v_sub_f32_e32 v10, v10, v12
	v_fma_f32 v10, |v3|, v13, -v10
.LBB9_112:                              ;   in Loop: Header=BB9_4 Depth=1
	s_or_b32 exec_lo, exec_lo, s4
	v_cmp_le_f32_e64 s3, 0, v3
	s_mov_b32 s5, exec_lo
	v_cmpx_nle_f32_e32 0, v3
	s_xor_b32 s6, exec_lo, s5
	s_cbranch_execz .LBB9_116
; %bb.113:                              ;   in Loop: Header=BB9_4 Depth=1
	v_cmp_gt_f32_e64 s4, 0x4b000000, |v3|
	v_cmp_lt_f32_e64 s5, 0x35000000, |v3|
	s_delay_alu instid0(VALU_DEP_1) | instskip(NEXT) | instid1(SALU_CYCLE_1)
	s_and_b32 s4, s4, s5
	s_and_saveexec_b32 s37, s4
	s_cbranch_execz .LBB9_115
; %bb.114:                              ;   in Loop: Header=BB9_4 Depth=1
	v_mul_f32_e64 v12, |v3|, 0.5
	v_xor_b32_e32 v11, v11, v3
	s_delay_alu instid0(VALU_DEP_2) | instskip(SKIP_1) | instid1(VALU_DEP_2)
	v_floor_f32_e32 v13, v12
	v_cmp_neq_f32_e64 s4, 0x7f800000, v12
	v_sub_f32_e32 v13, v12, v13
	s_delay_alu instid0(VALU_DEP_1) | instskip(NEXT) | instid1(VALU_DEP_1)
	v_min_f32_e32 v13, 0x3f7fffff, v13
	v_add_f32_e32 v13, v13, v13
	s_delay_alu instid0(VALU_DEP_1) | instskip(SKIP_1) | instid1(VALU_DEP_1)
	v_cndmask_b32_e64 v12, 0, v13, s4
	v_cmp_gt_f32_e64 s4, |v3|, 1.0
	v_cndmask_b32_e64 v12, |v3|, v12, s4
	s_delay_alu instid0(VALU_DEP_1) | instskip(NEXT) | instid1(VALU_DEP_1)
	v_add_f32_e32 v13, v12, v12
	v_rndne_f32_e32 v13, v13
	s_delay_alu instid0(VALU_DEP_1) | instskip(SKIP_1) | instid1(VALU_DEP_2)
	v_fmac_f32_e32 v12, -0.5, v13
	v_cvt_i32_f32_e32 v13, v13
	v_mul_f32_e32 v14, v12, v12
	s_delay_alu instid0(VALU_DEP_1) | instskip(SKIP_1) | instid1(VALU_DEP_2)
	v_fmaak_f32 v15, s35, v14, 0xbf1f24be
	v_fmaak_f32 v16, s36, v14, 0x3e642e9d
	;; [unrolled: 1-line block ×3, first 2 shown]
	s_delay_alu instid0(VALU_DEP_2) | instskip(NEXT) | instid1(VALU_DEP_2)
	v_dual_fmaak_f32 v16, v14, v16, 0xbfaad1da :: v_dual_mul_f32 v17, v12, v14
	v_fmaak_f32 v15, v14, v15, 0xc0a55e0e
	s_delay_alu instid0(VALU_DEP_1) | instskip(NEXT) | instid1(VALU_DEP_1)
	v_dual_fmaak_f32 v16, v14, v16, 0x4081e0d3 :: v_dual_mul_f32 v15, v17, v15
	v_dual_fmaak_f32 v16, v14, v16, 0xc09de9e6 :: v_dual_and_b32 v17, 1, v13
	v_lshlrev_b32_e32 v13, 30, v13
	s_delay_alu instid0(VALU_DEP_3) | instskip(NEXT) | instid1(VALU_DEP_3)
	v_fmac_f32_e32 v15, 0x40490fdb, v12
	v_fma_f32 v12, v14, v16, 1.0
	s_delay_alu instid0(VALU_DEP_4) | instskip(NEXT) | instid1(VALU_DEP_4)
	v_cmp_eq_u32_e64 s4, 0, v17
	v_and_b32_e32 v13, 0x80000000, v13
	s_delay_alu instid0(VALU_DEP_2) | instskip(NEXT) | instid1(VALU_DEP_1)
	v_cndmask_b32_e64 v12, v12, v15, s4
	v_xor3_b32 v11, v11, v13, v12
	s_delay_alu instid0(VALU_DEP_1) | instskip(NEXT) | instid1(VALU_DEP_1)
	v_mul_f32_e32 v11, v3, v11
	v_frexp_mant_f32_e64 v12, |v11|
	v_frexp_exp_i32_f32_e32 v11, v11
	s_delay_alu instid0(VALU_DEP_2) | instskip(NEXT) | instid1(VALU_DEP_1)
	v_rcp_f32_e32 v12, v12
	v_sub_nc_u32_e32 v11, 2, v11
	s_waitcnt_depctr 0xfff
	v_mul_f32_e32 v12, 0x3f490fdb, v12
	s_delay_alu instid0(VALU_DEP_1) | instskip(NEXT) | instid1(VALU_DEP_1)
	v_ldexp_f32 v11, v12, v11
	v_cmp_gt_f32_e64 s4, 0x800000, v11
	s_delay_alu instid0(VALU_DEP_1) | instskip(NEXT) | instid1(VALU_DEP_1)
	v_cndmask_b32_e64 v12, 1.0, 0x4f800000, s4
	v_mul_f32_e32 v11, v11, v12
	s_delay_alu instid0(VALU_DEP_1) | instskip(SKIP_3) | instid1(VALU_DEP_2)
	v_log_f32_e32 v11, v11
	s_waitcnt_depctr 0xfff
	v_mul_f32_e32 v12, 0x3f317217, v11
	v_cmp_gt_f32_e64 s5, 0x7f800000, |v11|
	v_fma_f32 v13, 0x3f317217, v11, -v12
	s_delay_alu instid0(VALU_DEP_1) | instskip(NEXT) | instid1(VALU_DEP_1)
	v_fmac_f32_e32 v13, 0x3377d1cf, v11
	v_add_f32_e32 v12, v12, v13
	v_floor_f32_e32 v13, v3
	s_delay_alu instid0(VALU_DEP_2) | instskip(SKIP_1) | instid1(VALU_DEP_3)
	v_cndmask_b32_e64 v11, v11, v12, s5
	v_cndmask_b32_e64 v12, 0, 0x41b17218, s4
	v_sub_f32_e32 v13, v3, v13
	s_delay_alu instid0(VALU_DEP_1) | instskip(NEXT) | instid1(VALU_DEP_1)
	v_dual_sub_f32 v11, v11, v12 :: v_dual_min_f32 v12, 0x3f7fffff, v13
	v_sub_f32_e32 v10, v11, v10
	s_delay_alu instid0(VALU_DEP_2) | instskip(NEXT) | instid1(VALU_DEP_1)
	v_cmp_neq_f32_e64 s4, 0, v12
	v_cndmask_b32_e64 v10, 0x7f800000, v10, s4
.LBB9_115:                              ;   in Loop: Header=BB9_4 Depth=1
	s_or_b32 exec_lo, exec_lo, s37
.LBB9_116:                              ;   in Loop: Header=BB9_4 Depth=1
	s_and_not1_saveexec_b32 s6, s6
; %bb.117:                              ;   in Loop: Header=BB9_4 Depth=1
	v_cmp_eq_f32_e64 s4, 1.0, v3
	v_cmp_eq_f32_e64 s5, 2.0, v3
	s_delay_alu instid0(VALU_DEP_1) | instskip(NEXT) | instid1(SALU_CYCLE_1)
	s_or_b32 s4, s4, s5
	v_cndmask_b32_e64 v10, v10, 0, s4
; %bb.118:                              ;   in Loop: Header=BB9_4 Depth=1
	s_or_b32 exec_lo, exec_lo, s6
	v_and_b32_e32 v11, 0x7fffffff, v4
                                        ; implicit-def: $vgpr12
	s_mov_b32 s5, exec_lo
	v_cmpx_ngt_f32_e64 0x3c800000, |v4|
	s_xor_b32 s6, exec_lo, s5
	s_cbranch_execz .LBB9_148
; %bb.119:                              ;   in Loop: Header=BB9_4 Depth=1
                                        ; implicit-def: $vgpr12
	s_mov_b32 s5, exec_lo
	v_cmpx_nlt_f32_e64 |v4|, 2.0
	s_xor_b32 s37, exec_lo, s5
	s_cbranch_execz .LBB9_129
; %bb.120:                              ;   in Loop: Header=BB9_4 Depth=1
	s_mov_b32 s5, exec_lo
                                        ; implicit-def: $vgpr12
	v_cmpx_ngt_f32_e64 0x41000000, |v4|
	s_xor_b32 s5, exec_lo, s5
	s_cbranch_execz .LBB9_126
; %bb.121:                              ;   in Loop: Header=BB9_4 Depth=1
	s_mov_b32 s38, exec_lo
                                        ; implicit-def: $vgpr12
	v_cmpx_ngt_f32_e64 0x5c800000, |v4|
	s_xor_b32 s38, exec_lo, s38
	s_cbranch_execz .LBB9_123
; %bb.122:                              ;   in Loop: Header=BB9_4 Depth=1
	v_cmp_gt_f32_e64 s39, 0x800000, |v4|
	s_delay_alu instid0(VALU_DEP_1) | instskip(NEXT) | instid1(VALU_DEP_1)
	v_cndmask_b32_e64 v12, 1.0, 0x4f800000, s39
	v_mul_f32_e64 v12, |v4|, v12
	s_delay_alu instid0(VALU_DEP_1) | instskip(SKIP_3) | instid1(VALU_DEP_2)
	v_log_f32_e32 v12, v12
	s_waitcnt_depctr 0xfff
	v_mul_f32_e32 v13, 0x3f317217, v12
	v_cmp_gt_f32_e64 s4, 0x7f800000, |v12|
	v_fma_f32 v14, 0x3f317217, v12, -v13
	s_delay_alu instid0(VALU_DEP_1) | instskip(NEXT) | instid1(VALU_DEP_1)
	v_fmac_f32_e32 v14, 0x3377d1cf, v12
	v_add_f32_e32 v13, v13, v14
	s_delay_alu instid0(VALU_DEP_1) | instskip(SKIP_1) | instid1(VALU_DEP_1)
	v_cndmask_b32_e64 v12, v12, v13, s4
	v_cndmask_b32_e64 v13, 0, 0x41b17218, s39
	v_sub_f32_e32 v12, v12, v13
	s_delay_alu instid0(VALU_DEP_1)
	v_fma_f32 v12, |v4|, v12, -|v4|
.LBB9_123:                              ;   in Loop: Header=BB9_4 Depth=1
	s_and_not1_saveexec_b32 s38, s38
	s_cbranch_execz .LBB9_125
; %bb.124:                              ;   in Loop: Header=BB9_4 Depth=1
	v_cmp_gt_f32_e64 s39, 0x800000, |v4|
	v_rcp_f32_e64 v13, |v4|
	s_delay_alu instid0(VALU_DEP_1) | instskip(NEXT) | instid1(VALU_DEP_1)
	v_cndmask_b32_e64 v12, 1.0, 0x4f800000, s39
	v_mul_f32_e64 v12, |v4|, v12
	s_delay_alu instid0(VALU_DEP_1) | instskip(SKIP_3) | instid1(VALU_DEP_2)
	v_log_f32_e32 v12, v12
	s_waitcnt_depctr 0xfff
	v_dual_mul_f32 v14, v13, v13 :: v_dual_mul_f32 v15, 0x3f317217, v12
	v_cmp_gt_f32_e64 s4, 0x7f800000, |v12|
	v_fma_f32 v17, 0x3f317217, v12, -v15
	s_delay_alu instid0(VALU_DEP_1) | instskip(NEXT) | instid1(VALU_DEP_1)
	v_fmac_f32_e32 v17, 0x3377d1cf, v12
	v_dual_fmaak_f32 v16, s21, v14, 0x3a5b3dd2 :: v_dual_add_f32 v15, v15, v17
	s_delay_alu instid0(VALU_DEP_1) | instskip(SKIP_1) | instid1(VALU_DEP_1)
	v_cndmask_b32_e64 v12, v12, v15, s4
	v_cndmask_b32_e64 v15, 0, 0x41b17218, s39
	v_dual_fmaak_f32 v16, v14, v16, 0xba1c065c :: v_dual_sub_f32 v15, v12, v15
	s_delay_alu instid0(VALU_DEP_1) | instskip(NEXT) | instid1(VALU_DEP_1)
	v_fmaak_f32 v16, v14, v16, 0x3a500cfd
	v_fmaak_f32 v16, v14, v16, 0xbb360b61
	s_delay_alu instid0(VALU_DEP_1) | instskip(NEXT) | instid1(VALU_DEP_1)
	v_fmaak_f32 v14, v14, v16, 0x3daaaaab
	v_fmaak_f32 v12, v13, v14, 0x3ed67f1d
	v_add_f32_e64 v13, |v4|, -0.5
	v_add_f32_e32 v14, -1.0, v15
	s_delay_alu instid0(VALU_DEP_1)
	v_fmac_f32_e32 v12, v13, v14
.LBB9_125:                              ;   in Loop: Header=BB9_4 Depth=1
	s_or_b32 exec_lo, exec_lo, s38
.LBB9_126:                              ;   in Loop: Header=BB9_4 Depth=1
	s_and_not1_saveexec_b32 s38, s5
	s_cbranch_execz .LBB9_128
; %bb.127:                              ;   in Loop: Header=BB9_4 Depth=1
	v_cvt_i32_f32_e32 v12, v11
	s_delay_alu instid0(VALU_DEP_1) | instskip(SKIP_1) | instid1(VALU_DEP_2)
	v_cvt_f32_i32_e32 v13, v12
	v_cmp_lt_i32_e64 s4, 2, v12
	v_sub_f32_e64 v13, |v4|, v13
	s_delay_alu instid0(VALU_DEP_1) | instskip(SKIP_2) | instid1(VALU_DEP_3)
	v_add_f32_e32 v14, 2.0, v13
	v_add_f32_e32 v15, 0x40400000, v13
	v_add_f32_e32 v16, 4.0, v13
	v_cndmask_b32_e64 v14, 1.0, v14, s4
	v_cmp_lt_i32_e64 s4, 3, v12
	s_delay_alu instid0(VALU_DEP_1) | instskip(SKIP_1) | instid1(VALU_DEP_2)
	v_cndmask_b32_e64 v15, 1.0, v15, s4
	v_cmp_lt_i32_e64 s4, 4, v12
	v_dual_add_f32 v17, 0x40a00000, v13 :: v_dual_mul_f32 v14, v14, v15
	s_delay_alu instid0(VALU_DEP_2) | instskip(SKIP_1) | instid1(VALU_DEP_2)
	v_cndmask_b32_e64 v16, 1.0, v16, s4
	v_cmp_lt_i32_e64 s4, 5, v12
	v_mul_f32_e32 v14, v16, v14
	s_delay_alu instid0(VALU_DEP_2) | instskip(SKIP_3) | instid1(VALU_DEP_4)
	v_cndmask_b32_e64 v17, 1.0, v17, s4
	v_add_f32_e32 v15, 0x40c00000, v13
	v_cmp_lt_i32_e64 s4, 6, v12
	v_fmaak_f32 v16, s22, v13, 0x3af135b4
	v_mul_f32_e32 v14, v17, v14
	s_delay_alu instid0(VALU_DEP_3) | instskip(NEXT) | instid1(VALU_DEP_1)
	v_cndmask_b32_e64 v12, 1.0, v15, s4
	v_mul_f32_e32 v12, v12, v14
	s_delay_alu instid0(VALU_DEP_1) | instskip(NEXT) | instid1(VALU_DEP_1)
	v_cmp_gt_f32_e64 s4, 0x800000, v12
	v_cndmask_b32_e64 v15, 1.0, 0x4f800000, s4
	s_delay_alu instid0(VALU_DEP_1) | instskip(NEXT) | instid1(VALU_DEP_1)
	v_dual_mul_f32 v12, v12, v15 :: v_dual_fmaak_f32 v15, v13, v16, 0x3cda40e4
	v_log_f32_e32 v12, v12
	s_delay_alu instid0(VALU_DEP_1) | instskip(NEXT) | instid1(VALU_DEP_1)
	v_fmaak_f32 v15, v13, v15, 0x3e15dce6
	v_fmaak_f32 v15, v13, v15, 0x3ea6cc7a
	s_waitcnt_depctr 0xfff
	v_mul_f32_e32 v16, 0x3f317217, v12
	v_cmp_gt_f32_e64 s5, 0x7f800000, |v12|
	s_delay_alu instid0(VALU_DEP_2) | instskip(NEXT) | instid1(VALU_DEP_1)
	v_fma_f32 v17, 0x3f317217, v12, -v16
	v_fmac_f32_e32 v17, 0x3377d1cf, v12
	s_delay_alu instid0(VALU_DEP_1) | instskip(NEXT) | instid1(VALU_DEP_1)
	v_dual_fmaak_f32 v15, v13, v15, 0x3e5c245a :: v_dual_add_f32 v16, v16, v17
	v_fmaak_f32 v15, v13, v15, 0xbd9e233f
	v_fmaak_f32 v14, s23, v13, 0x3a4beed6
	s_delay_alu instid0(VALU_DEP_3) | instskip(NEXT) | instid1(VALU_DEP_3)
	v_cndmask_b32_e64 v12, v12, v16, s5
	v_mul_f32_e32 v15, v13, v15
	s_delay_alu instid0(VALU_DEP_3) | instskip(NEXT) | instid1(VALU_DEP_1)
	v_fmaak_f32 v14, v13, v14, 0x3c98bf54
	v_fmaak_f32 v14, v13, v14, 0x3e300f6e
	s_delay_alu instid0(VALU_DEP_1) | instskip(NEXT) | instid1(VALU_DEP_1)
	v_fmaak_f32 v14, v13, v14, 0x3f38d0c5
	v_fmaak_f32 v14, v13, v14, 0x3fb22d3b
	s_delay_alu instid0(VALU_DEP_1) | instskip(NEXT) | instid1(VALU_DEP_1)
	v_fma_f32 v14, v13, v14, 1.0
	v_rcp_f32_e32 v14, v14
	s_waitcnt_depctr 0xfff
	v_mul_f32_e32 v14, v15, v14
	v_cndmask_b32_e64 v15, 0, 0x41b17218, s4
	s_delay_alu instid0(VALU_DEP_2) | instskip(NEXT) | instid1(VALU_DEP_2)
	v_fmac_f32_e32 v14, 0.5, v13
	v_sub_f32_e32 v12, v12, v15
	s_delay_alu instid0(VALU_DEP_1)
	v_add_f32_e32 v12, v12, v14
.LBB9_128:                              ;   in Loop: Header=BB9_4 Depth=1
	s_or_b32 exec_lo, exec_lo, s38
.LBB9_129:                              ;   in Loop: Header=BB9_4 Depth=1
	s_and_not1_saveexec_b32 s37, s37
	s_cbranch_execz .LBB9_147
; %bb.130:                              ;   in Loop: Header=BB9_4 Depth=1
                                        ; implicit-def: $vgpr12
                                        ; implicit-def: $vgpr14
                                        ; implicit-def: $vgpr13
	s_mov_b32 s5, exec_lo
	v_cmpx_ge_f32_e64 0x3f666666, |v4|
	s_xor_b32 s38, exec_lo, s5
	s_cbranch_execz .LBB9_132
; %bb.131:                              ;   in Loop: Header=BB9_4 Depth=1
	v_cmp_gt_f32_e64 s5, 0x800000, |v4|
	v_sub_f32_e64 v15, 1.0, |v4|
	v_cmp_gt_f32_e64 s4, 0x3f3b4a23, |v4|
	s_delay_alu instid0(VALU_DEP_3) | instskip(SKIP_1) | instid1(VALU_DEP_2)
	v_cndmask_b32_e64 v12, 1.0, 0x4f800000, s5
	v_cndmask_b32_e64 v16, 0, 0x41b17218, s5
	v_mul_f32_e64 v12, |v4|, v12
	s_delay_alu instid0(VALU_DEP_1) | instskip(SKIP_3) | instid1(VALU_DEP_2)
	v_log_f32_e32 v12, v12
	s_waitcnt_depctr 0xfff
	v_mul_f32_e32 v13, 0x3f317217, v12
	v_cmp_gt_f32_e64 s5, 0x7f800000, |v12|
	v_fma_f32 v14, 0x3f317217, v12, -v13
	s_delay_alu instid0(VALU_DEP_1) | instskip(NEXT) | instid1(VALU_DEP_1)
	v_fmac_f32_e32 v14, 0x3377d1cf, v12
	v_add_f32_e32 v13, v13, v14
	v_add_f32_e64 v14, 0xbeec5b0c, |v4|
	s_delay_alu instid0(VALU_DEP_2) | instskip(NEXT) | instid1(VALU_DEP_2)
	v_cndmask_b32_e64 v12, v12, v13, s5
	v_cndmask_b32_e64 v13, v15, v14, s4
	;; [unrolled: 1-line block ×3, first 2 shown]
	v_cmp_gt_f32_e64 s4, 0x3e6d3309, |v4|
	s_delay_alu instid0(VALU_DEP_4) | instskip(NEXT) | instid1(VALU_DEP_2)
	v_sub_f32_e32 v12, v12, v16
	v_cndmask_b32_e64 v13, v13, |v4|, s4
	s_delay_alu instid0(VALU_DEP_4) | instskip(NEXT) | instid1(VALU_DEP_3)
	v_cndmask_b32_e64 v14, v14, 2, s4
	v_xor_b32_e32 v12, 0x80000000, v12
.LBB9_132:                              ;   in Loop: Header=BB9_4 Depth=1
	s_and_not1_saveexec_b32 s5, s38
; %bb.133:                              ;   in Loop: Header=BB9_4 Depth=1
	v_sub_f32_e64 v12, 2.0, |v4|
	v_add_f32_e64 v13, 0xbfbb16c3, |v4|
	v_cmp_gt_f32_e64 s4, 0x3fdda512, |v4|
	v_add_f32_e64 v14, |v4|, -1.0
	s_delay_alu instid0(VALU_DEP_2) | instskip(SKIP_2) | instid1(VALU_DEP_2)
	v_cndmask_b32_e64 v13, v12, v13, s4
	v_cndmask_b32_e64 v12, v12, 1.0, s4
	v_cmp_gt_f32_e64 s4, 0x3f9d70a4, |v4|
	v_cvt_i32_f32_e32 v12, v12
	s_delay_alu instid0(VALU_DEP_2) | instskip(NEXT) | instid1(VALU_DEP_2)
	v_cndmask_b32_e64 v13, v13, v14, s4
	v_cndmask_b32_e64 v14, v12, 2, s4
	v_mov_b32_e32 v12, 0
; %bb.134:                              ;   in Loop: Header=BB9_4 Depth=1
	s_or_b32 exec_lo, exec_lo, s5
	s_delay_alu instid0(SALU_CYCLE_1) | instskip(NEXT) | instid1(VALU_DEP_2)
	s_mov_b32 s5, exec_lo
	v_cmpx_lt_i32_e32 0, v14
	s_xor_b32 s5, exec_lo, s5
	s_cbranch_execz .LBB9_142
; %bb.135:                              ;   in Loop: Header=BB9_4 Depth=1
	s_mov_b32 s38, exec_lo
	v_cmpx_lt_i32_e32 1, v14
	s_xor_b32 s38, exec_lo, s38
	s_cbranch_execz .LBB9_139
; %bb.136:                              ;   in Loop: Header=BB9_4 Depth=1
	s_mov_b32 s39, exec_lo
	v_cmpx_eq_u32_e32 2, v14
	s_cbranch_execz .LBB9_138
; %bb.137:                              ;   in Loop: Header=BB9_4 Depth=1
	v_fmaak_f32 v15, s24, v13, 0x3e6a7578
	s_delay_alu instid0(VALU_DEP_1) | instskip(NEXT) | instid1(VALU_DEP_1)
	v_fmaak_f32 v15, v13, v15, 0x3f7a4bb2
	v_fmaak_f32 v15, v13, v15, 0x3fba3ae7
	s_delay_alu instid0(VALU_DEP_1) | instskip(NEXT) | instid1(VALU_DEP_1)
	v_fmaak_f32 v15, v13, v15, 0x3f2200f4
	v_fmaak_f32 v15, v13, v15, 0xbd9e233f
	s_delay_alu instid0(VALU_DEP_1) | instskip(NEXT) | instid1(VALU_DEP_1)
	v_dual_fmaak_f32 v14, s25, v13, 0x3dd572af :: v_dual_mul_f32 v15, v13, v15
	v_fmaak_f32 v14, v13, v14, 0x3f44efdf
	s_delay_alu instid0(VALU_DEP_1) | instskip(NEXT) | instid1(VALU_DEP_1)
	v_fmaak_f32 v14, v13, v14, 0x4008392d
	v_fmaak_f32 v14, v13, v14, 0x401d2ebe
	s_delay_alu instid0(VALU_DEP_1) | instskip(NEXT) | instid1(VALU_DEP_1)
	v_fma_f32 v14, v13, v14, 1.0
	v_rcp_f32_e32 v14, v14
	s_waitcnt_depctr 0xfff
	v_mul_f32_e32 v14, v15, v14
	s_delay_alu instid0(VALU_DEP_1) | instskip(NEXT) | instid1(VALU_DEP_1)
	v_fmac_f32_e32 v14, -0.5, v13
	v_add_f32_e32 v12, v12, v14
.LBB9_138:                              ;   in Loop: Header=BB9_4 Depth=1
	s_or_b32 exec_lo, exec_lo, s39
                                        ; implicit-def: $vgpr13
.LBB9_139:                              ;   in Loop: Header=BB9_4 Depth=1
	s_and_not1_saveexec_b32 s4, s38
	s_cbranch_execz .LBB9_141
; %bb.140:                              ;   in Loop: Header=BB9_4 Depth=1
	v_mul_f32_e32 v14, v13, v13
	s_delay_alu instid0(VALU_DEP_1) | instskip(NEXT) | instid1(VALU_DEP_1)
	v_mul_f32_e32 v15, v13, v14
	v_fmaak_f32 v16, s27, v15, 0x3a66f867
	v_fmaak_f32 v17, s28, v15, 0xba0d3085
	;; [unrolled: 1-line block ×3, first 2 shown]
	s_delay_alu instid0(VALU_DEP_3) | instskip(NEXT) | instid1(VALU_DEP_3)
	v_fmaak_f32 v16, v15, v16, 0xbb7177fe
	v_fmaak_f32 v17, v15, v17, 0x3b141699
	s_delay_alu instid0(VALU_DEP_3) | instskip(NEXT) | instid1(VALU_DEP_3)
	v_fmaak_f32 v18, v15, v18, 0x3bc7e707
	v_fmaak_f32 v16, v15, v16, 0x3c93373d
	;; [unrolled: 3-line block ×4, first 2 shown]
	s_delay_alu instid0(VALU_DEP_1) | instskip(NEXT) | instid1(VALU_DEP_1)
	v_dual_fmac_f32 v16, v13, v17 :: v_dual_fmaak_f32 v13, v15, v18, 0x3ef7b95e
	v_fma_f32 v15, v15, -v16, 0xa2863e55
	s_delay_alu instid0(VALU_DEP_1) | instskip(NEXT) | instid1(VALU_DEP_1)
	v_fma_f32 v13, v14, v13, -v15
	v_add_f32_e32 v13, 0xbdf8cdce, v13
	s_delay_alu instid0(VALU_DEP_1)
	v_add_f32_e32 v12, v12, v13
.LBB9_141:                              ;   in Loop: Header=BB9_4 Depth=1
	s_or_b32 exec_lo, exec_lo, s4
                                        ; implicit-def: $vgpr14
                                        ; implicit-def: $vgpr13
.LBB9_142:                              ;   in Loop: Header=BB9_4 Depth=1
	s_and_not1_saveexec_b32 s5, s5
	s_cbranch_execz .LBB9_146
; %bb.143:                              ;   in Loop: Header=BB9_4 Depth=1
	s_mov_b32 s38, exec_lo
	v_cmpx_eq_u32_e32 0, v14
	s_cbranch_execz .LBB9_145
; %bb.144:                              ;   in Loop: Header=BB9_4 Depth=1
	v_mul_f32_e32 v14, v13, v13
	s_delay_alu instid0(VALU_DEP_1) | instskip(NEXT) | instid1(VALU_DEP_1)
	v_fmaak_f32 v16, s29, v14, 0x39679767
	v_fmaak_f32 v16, v14, v16, 0x3a9c54a1
	s_delay_alu instid0(VALU_DEP_1) | instskip(NEXT) | instid1(VALU_DEP_1)
	v_fmaak_f32 v16, v14, v16, 0x3bf2027e
	v_fmaak_f32 v16, v14, v16, 0x3d89f001
	s_delay_alu instid0(VALU_DEP_1) | instskip(SKIP_1) | instid1(VALU_DEP_1)
	v_fmaak_f32 v16, v14, v16, 0x3d9e233f
	v_fmaak_f32 v15, s33, v14, 0x38e28445
	;; [unrolled: 1-line block ×3, first 2 shown]
	s_delay_alu instid0(VALU_DEP_1) | instskip(NEXT) | instid1(VALU_DEP_1)
	v_fmaak_f32 v15, v14, v15, 0x3b3d6ec6
	v_fmaak_f32 v15, v14, v15, 0x3ca89915
	s_delay_alu instid0(VALU_DEP_1) | instskip(NEXT) | instid1(VALU_DEP_1)
	v_fmaak_f32 v15, v14, v15, 0x3ea51a66
	v_mul_f32_e32 v14, v14, v15
	s_delay_alu instid0(VALU_DEP_1) | instskip(NEXT) | instid1(VALU_DEP_1)
	v_fmac_f32_e32 v14, v13, v16
	v_fmac_f32_e32 v14, -0.5, v13
	s_delay_alu instid0(VALU_DEP_1)
	v_add_f32_e32 v12, v12, v14
.LBB9_145:                              ;   in Loop: Header=BB9_4 Depth=1
	s_or_b32 exec_lo, exec_lo, s38
.LBB9_146:                              ;   in Loop: Header=BB9_4 Depth=1
	s_delay_alu instid0(SALU_CYCLE_1)
	s_or_b32 exec_lo, exec_lo, s5
.LBB9_147:                              ;   in Loop: Header=BB9_4 Depth=1
	s_delay_alu instid0(SALU_CYCLE_1)
	s_or_b32 exec_lo, exec_lo, s37
.LBB9_148:                              ;   in Loop: Header=BB9_4 Depth=1
	s_and_not1_saveexec_b32 s5, s6
	s_cbranch_execz .LBB9_150
; %bb.149:                              ;   in Loop: Header=BB9_4 Depth=1
	v_cmp_gt_f32_e64 s6, 0x800000, |v4|
	v_fma_f32 v15, |v4|, s34, 0xbecd26ab
	s_delay_alu instid0(VALU_DEP_2) | instskip(NEXT) | instid1(VALU_DEP_1)
	v_cndmask_b32_e64 v12, 1.0, 0x4f800000, s6
	v_mul_f32_e64 v12, |v4|, v12
	s_delay_alu instid0(VALU_DEP_1) | instskip(SKIP_3) | instid1(VALU_DEP_2)
	v_log_f32_e32 v12, v12
	s_waitcnt_depctr 0xfff
	v_mul_f32_e32 v13, 0x3f317217, v12
	v_cmp_gt_f32_e64 s4, 0x7f800000, |v12|
	v_fma_f32 v14, 0x3f317217, v12, -v13
	s_delay_alu instid0(VALU_DEP_1) | instskip(NEXT) | instid1(VALU_DEP_1)
	v_fmac_f32_e32 v14, 0x3377d1cf, v12
	v_add_f32_e32 v13, v13, v14
	v_fma_f32 v14, |v4|, v15, 0x3f528d33
	s_delay_alu instid0(VALU_DEP_2) | instskip(SKIP_1) | instid1(VALU_DEP_3)
	v_cndmask_b32_e64 v12, v12, v13, s4
	v_cndmask_b32_e64 v13, 0, 0x41b17218, s6
	v_fma_f32 v14, |v4|, v14, 0xbf13c468
	s_delay_alu instid0(VALU_DEP_2) | instskip(NEXT) | instid1(VALU_DEP_1)
	v_sub_f32_e32 v12, v12, v13
	v_fma_f32 v12, |v4|, v14, -v12
.LBB9_150:                              ;   in Loop: Header=BB9_4 Depth=1
	s_or_b32 exec_lo, exec_lo, s5
	v_cmp_le_f32_e64 s4, 0, v4
	s_mov_b32 s6, exec_lo
	v_cmpx_nle_f32_e32 0, v4
	s_xor_b32 s37, exec_lo, s6
	s_cbranch_execz .LBB9_154
; %bb.151:                              ;   in Loop: Header=BB9_4 Depth=1
	v_cmp_gt_f32_e64 s5, 0x4b000000, |v4|
	v_cmp_lt_f32_e64 s6, 0x35000000, |v4|
	s_delay_alu instid0(VALU_DEP_1) | instskip(NEXT) | instid1(SALU_CYCLE_1)
	s_and_b32 s5, s5, s6
	s_and_saveexec_b32 s38, s5
	s_cbranch_execz .LBB9_153
; %bb.152:                              ;   in Loop: Header=BB9_4 Depth=1
	v_mul_f32_e64 v13, |v4|, 0.5
	v_xor_b32_e32 v11, v11, v4
	s_delay_alu instid0(VALU_DEP_2) | instskip(SKIP_1) | instid1(VALU_DEP_2)
	v_floor_f32_e32 v14, v13
	v_cmp_neq_f32_e64 s5, 0x7f800000, v13
	v_sub_f32_e32 v14, v13, v14
	s_delay_alu instid0(VALU_DEP_1) | instskip(NEXT) | instid1(VALU_DEP_1)
	v_min_f32_e32 v14, 0x3f7fffff, v14
	v_add_f32_e32 v14, v14, v14
	s_delay_alu instid0(VALU_DEP_1) | instskip(SKIP_1) | instid1(VALU_DEP_1)
	v_cndmask_b32_e64 v13, 0, v14, s5
	v_cmp_gt_f32_e64 s5, |v4|, 1.0
	v_cndmask_b32_e64 v13, |v4|, v13, s5
	s_delay_alu instid0(VALU_DEP_1) | instskip(NEXT) | instid1(VALU_DEP_1)
	v_add_f32_e32 v14, v13, v13
	v_rndne_f32_e32 v14, v14
	s_delay_alu instid0(VALU_DEP_1) | instskip(SKIP_1) | instid1(VALU_DEP_2)
	v_fmac_f32_e32 v13, -0.5, v14
	v_cvt_i32_f32_e32 v14, v14
	v_mul_f32_e32 v15, v13, v13
	s_delay_alu instid0(VALU_DEP_1) | instskip(SKIP_1) | instid1(VALU_DEP_2)
	v_fmaak_f32 v16, s35, v15, 0xbf1f24be
	v_fmaak_f32 v17, s36, v15, 0x3e642e9d
	;; [unrolled: 1-line block ×3, first 2 shown]
	s_delay_alu instid0(VALU_DEP_2) | instskip(NEXT) | instid1(VALU_DEP_2)
	v_dual_fmaak_f32 v17, v15, v17, 0xbfaad1da :: v_dual_mul_f32 v18, v13, v15
	v_fmaak_f32 v16, v15, v16, 0xc0a55e0e
	s_delay_alu instid0(VALU_DEP_1) | instskip(NEXT) | instid1(VALU_DEP_1)
	v_dual_fmaak_f32 v17, v15, v17, 0x4081e0d3 :: v_dual_mul_f32 v16, v18, v16
	v_dual_fmaak_f32 v17, v15, v17, 0xc09de9e6 :: v_dual_and_b32 v18, 1, v14
	v_lshlrev_b32_e32 v14, 30, v14
	s_delay_alu instid0(VALU_DEP_3) | instskip(NEXT) | instid1(VALU_DEP_3)
	v_fmac_f32_e32 v16, 0x40490fdb, v13
	v_fma_f32 v13, v15, v17, 1.0
	s_delay_alu instid0(VALU_DEP_4) | instskip(NEXT) | instid1(VALU_DEP_4)
	v_cmp_eq_u32_e64 s5, 0, v18
	v_and_b32_e32 v14, 0x80000000, v14
	s_delay_alu instid0(VALU_DEP_2) | instskip(NEXT) | instid1(VALU_DEP_1)
	v_cndmask_b32_e64 v13, v13, v16, s5
	v_xor3_b32 v11, v11, v14, v13
	s_delay_alu instid0(VALU_DEP_1) | instskip(NEXT) | instid1(VALU_DEP_1)
	v_mul_f32_e32 v11, v4, v11
	v_frexp_mant_f32_e64 v13, |v11|
	v_frexp_exp_i32_f32_e32 v11, v11
	s_delay_alu instid0(VALU_DEP_2) | instskip(NEXT) | instid1(VALU_DEP_1)
	v_rcp_f32_e32 v13, v13
	v_sub_nc_u32_e32 v11, 2, v11
	s_waitcnt_depctr 0xfff
	v_mul_f32_e32 v13, 0x3f490fdb, v13
	s_delay_alu instid0(VALU_DEP_1) | instskip(NEXT) | instid1(VALU_DEP_1)
	v_ldexp_f32 v11, v13, v11
	v_cmp_gt_f32_e64 s5, 0x800000, v11
	s_delay_alu instid0(VALU_DEP_1) | instskip(NEXT) | instid1(VALU_DEP_1)
	v_cndmask_b32_e64 v13, 1.0, 0x4f800000, s5
	v_mul_f32_e32 v11, v11, v13
	s_delay_alu instid0(VALU_DEP_1) | instskip(SKIP_3) | instid1(VALU_DEP_2)
	v_log_f32_e32 v11, v11
	s_waitcnt_depctr 0xfff
	v_mul_f32_e32 v13, 0x3f317217, v11
	v_cmp_gt_f32_e64 s6, 0x7f800000, |v11|
	v_fma_f32 v14, 0x3f317217, v11, -v13
	s_delay_alu instid0(VALU_DEP_1) | instskip(NEXT) | instid1(VALU_DEP_1)
	v_fmac_f32_e32 v14, 0x3377d1cf, v11
	v_add_f32_e32 v13, v13, v14
	v_floor_f32_e32 v14, v4
	s_delay_alu instid0(VALU_DEP_2) | instskip(NEXT) | instid1(VALU_DEP_2)
	v_cndmask_b32_e64 v11, v11, v13, s6
	v_sub_f32_e32 v14, v4, v14
	v_cndmask_b32_e64 v13, 0, 0x41b17218, s5
	s_delay_alu instid0(VALU_DEP_1) | instskip(NEXT) | instid1(VALU_DEP_3)
	v_sub_f32_e32 v11, v11, v13
	v_min_f32_e32 v13, 0x3f7fffff, v14
	s_delay_alu instid0(VALU_DEP_2) | instskip(NEXT) | instid1(VALU_DEP_2)
	v_sub_f32_e32 v11, v11, v12
	v_cmp_neq_f32_e64 s5, 0, v13
	s_delay_alu instid0(VALU_DEP_1)
	v_cndmask_b32_e64 v12, 0x7f800000, v11, s5
.LBB9_153:                              ;   in Loop: Header=BB9_4 Depth=1
	s_or_b32 exec_lo, exec_lo, s38
.LBB9_154:                              ;   in Loop: Header=BB9_4 Depth=1
	s_and_not1_saveexec_b32 s37, s37
	s_cbranch_execz .LBB9_3
; %bb.155:                              ;   in Loop: Header=BB9_4 Depth=1
	v_cmp_eq_f32_e64 s5, 1.0, v4
	v_cmp_eq_f32_e64 s6, 2.0, v4
	s_delay_alu instid0(VALU_DEP_1) | instskip(NEXT) | instid1(SALU_CYCLE_1)
	s_or_b32 s5, s5, s6
	v_cndmask_b32_e64 v12, v12, 0, s5
	s_branch .LBB9_3
.LBB9_156:
	s_or_b32 exec_lo, exec_lo, s19
	s_mov_b32 s2, 0
.LBB9_157:
	s_delay_alu instid0(SALU_CYCLE_1)
	s_and_not1_b32 vcc_lo, exec_lo, s2
	s_cbranch_vccnz .LBB9_329
; %bb.158:
	v_cmp_lt_i64_e64 s2, s[12:13], 1
	s_delay_alu instid0(VALU_DEP_1)
	s_and_b32 vcc_lo, exec_lo, s2
	s_cbranch_vccnz .LBB9_329
; %bb.159:
	s_load_b32 s0, s[0:1], 0xc5c
	v_dual_mov_b32 v10, 0 :: v_dual_lshlrev_b32 v9, 2, v0
	v_cmp_gt_u64_e64 s1, 0x10000, s[12:13]
	s_mov_b32 s20, 0x3805ff67
	s_mov_b32 s21, 0x36f5d7bd
	s_delay_alu instid0(VALU_DEP_2) | instskip(NEXT) | instid1(VALU_DEP_1)
	v_add_co_u32 v1, s2, s8, v9
	v_add_co_ci_u32_e64 v2, null, s9, 0, s2
	v_add_co_u32 v3, s2, s16, v9
	s_delay_alu instid0(VALU_DEP_1)
	v_add_co_ci_u32_e64 v4, null, s17, 0, s2
	s_mov_b32 s22, 0x3c5b3c5e
	s_mov_b32 s23, 0x3b52d5db
	;; [unrolled: 1-line block ×6, first 2 shown]
	s_waitcnt lgkmcnt(0)
	s_and_b32 s0, s0, 0xffff
	s_and_b32 s1, s1, exec_lo
	v_mad_u64_u32 v[7:8], null, s0, 12, v[9:10]
	s_cselect_b32 s15, s13, 0
	s_cselect_b32 s14, s12, 0x10000
	s_lshl_b32 s1, s0, 1
	s_mul_i32 s2, s0, 3
	s_lshl_b32 s18, s0, 2
	s_lshl_b32 s19, s0, 4
	;; [unrolled: 1-line block ×3, first 2 shown]
	v_add_co_u32 v13, s0, v0, s0
	v_add_co_u32 v5, vcc_lo, s8, v7
	v_add_co_u32 v14, s3, s3, v9
	v_add_co_ci_u32_e32 v6, vcc_lo, s9, v8, vcc_lo
	s_delay_alu instid0(VALU_DEP_4)
	v_lshlrev_b32_e32 v21, 2, v13
	v_add_co_u32 v7, vcc_lo, s16, v7
	v_add_co_ci_u32_e64 v15, null, 0, 0, s3
	v_add_co_ci_u32_e32 v8, vcc_lo, s17, v8, vcc_lo
	v_add_co_ci_u32_e64 v16, null, 0, 0, s0
	v_add_co_u32 v17, s0, s1, v0
	v_add_co_u32 v11, vcc_lo, s8, v14
	v_add_co_ci_u32_e64 v18, null, 0, 0, s0
	v_add_co_u32 v19, s0, s8, v21
	v_add_co_ci_u32_e32 v12, vcc_lo, s9, v15, vcc_lo
	v_add_co_u32 v9, s2, s2, v0
	v_add_co_u32 v14, vcc_lo, s16, v14
	v_add_co_ci_u32_e64 v20, null, s9, 0, s0
	v_add_co_u32 v21, s0, s16, v21
	v_add_co_ci_u32_e64 v10, null, 0, 0, s2
	v_add_co_ci_u32_e32 v15, vcc_lo, s17, v15, vcc_lo
	v_add_co_ci_u32_e64 v22, null, s17, 0, s0
	s_mov_b64 s[16:17], 0
	s_mov_b32 s9, 0xbad5c4e8
	s_mov_b32 s28, 0x383c2c75
	;; [unrolled: 1-line block ×5, first 2 shown]
	s_branch .LBB9_161
.LBB9_160:                              ;   in Loop: Header=BB9_161 Depth=1
	s_or_b32 exec_lo, exec_lo, s1
	v_add_co_u32 v1, vcc_lo, v1, s19
	v_add_co_ci_u32_e32 v2, vcc_lo, 0, v2, vcc_lo
	v_add_co_u32 v3, vcc_lo, v3, s19
	v_add_co_ci_u32_e32 v4, vcc_lo, 0, v4, vcc_lo
	;; [unrolled: 2-line block ×5, first 2 shown]
	s_add_u32 s16, s16, s18
	v_add_co_u32 v14, vcc_lo, v14, s19
	s_addc_u32 s17, s17, 0
	v_add_co_ci_u32_e32 v15, vcc_lo, 0, v15, vcc_lo
	v_cmp_ge_i64_e64 s0, s[16:17], s[12:13]
	v_cmp_lt_u64_e64 s1, 0xffff, s[16:17]
	v_add_co_u32 v19, vcc_lo, v19, s19
	v_add_co_ci_u32_e32 v20, vcc_lo, 0, v20, vcc_lo
	v_add_co_u32 v21, vcc_lo, v21, s19
	v_add_co_ci_u32_e32 v22, vcc_lo, 0, v22, vcc_lo
	s_or_b32 s0, s0, s1
	s_delay_alu instid0(SALU_CYCLE_1)
	s_and_b32 vcc_lo, exec_lo, s0
	s_cbranch_vccnz .LBB9_329
.LBB9_161:                              ; =>This Inner Loop Header: Depth=1
	v_add_co_u32 v23, s0, v0, s16
	s_delay_alu instid0(VALU_DEP_1) | instskip(SKIP_1) | instid1(VALU_DEP_2)
	v_add_co_ci_u32_e64 v24, null, 0, s17, s0
	v_mov_b32_e32 v26, 0
	v_cmp_gt_u64_e64 s2, s[14:15], v[23:24]
	s_delay_alu instid0(VALU_DEP_1)
	s_and_saveexec_b32 s0, s2
	s_cbranch_execz .LBB9_163
; %bb.162:                              ;   in Loop: Header=BB9_161 Depth=1
	v_add_co_u32 v23, vcc_lo, v1, s10
	v_add_co_ci_u32_e32 v24, vcc_lo, s11, v2, vcc_lo
	global_load_b32 v26, v[23:24], off
.LBB9_163:                              ;   in Loop: Header=BB9_161 Depth=1
	s_or_b32 exec_lo, exec_lo, s0
	v_add_co_u32 v23, vcc_lo, v13, s16
	v_add_co_ci_u32_e32 v24, vcc_lo, s17, v16, vcc_lo
	s_delay_alu instid0(VALU_DEP_1) | instskip(SKIP_1) | instid1(VALU_DEP_2)
	v_cmp_gt_u64_e64 s1, s[14:15], v[23:24]
	v_mov_b32_e32 v24, 0
	s_and_saveexec_b32 s0, s1
	s_cbranch_execz .LBB9_165
; %bb.164:                              ;   in Loop: Header=BB9_161 Depth=1
	v_add_co_u32 v23, vcc_lo, v19, s10
	v_add_co_ci_u32_e32 v24, vcc_lo, s11, v20, vcc_lo
	global_load_b32 v24, v[23:24], off
.LBB9_165:                              ;   in Loop: Header=BB9_161 Depth=1
	s_or_b32 exec_lo, exec_lo, s0
	v_add_co_u32 v27, vcc_lo, v17, s16
	v_add_co_ci_u32_e32 v28, vcc_lo, s17, v18, vcc_lo
	v_mov_b32_e32 v23, 0
	v_mov_b32_e32 v25, 0
	s_delay_alu instid0(VALU_DEP_3)
	v_cmp_gt_u64_e32 vcc_lo, s[14:15], v[27:28]
	s_and_saveexec_b32 s3, vcc_lo
	s_cbranch_execz .LBB9_167
; %bb.166:                              ;   in Loop: Header=BB9_161 Depth=1
	v_add_co_u32 v27, s0, v11, s10
	s_delay_alu instid0(VALU_DEP_1)
	v_add_co_ci_u32_e64 v28, s0, s11, v12, s0
	global_load_b32 v25, v[27:28], off
.LBB9_167:                              ;   in Loop: Header=BB9_161 Depth=1
	s_or_b32 exec_lo, exec_lo, s3
	v_add_co_u32 v27, s0, v9, s16
	s_delay_alu instid0(VALU_DEP_1) | instskip(NEXT) | instid1(VALU_DEP_1)
	v_add_co_ci_u32_e64 v28, s0, s17, v10, s0
	v_cmp_gt_u64_e64 s0, s[14:15], v[27:28]
	s_delay_alu instid0(VALU_DEP_1)
	s_and_saveexec_b32 s4, s0
	s_cbranch_execz .LBB9_169
; %bb.168:                              ;   in Loop: Header=BB9_161 Depth=1
	v_add_co_u32 v27, s3, v5, s10
	s_delay_alu instid0(VALU_DEP_1)
	v_add_co_ci_u32_e64 v28, s3, s11, v6, s3
	global_load_b32 v23, v[27:28], off
.LBB9_169:                              ;   in Loop: Header=BB9_161 Depth=1
	s_or_b32 exec_lo, exec_lo, s4
	s_waitcnt vmcnt(0)
	v_and_b32_e32 v28, 0x7fffffff, v26
                                        ; implicit-def: $vgpr27
	s_mov_b32 s4, exec_lo
	v_cmpx_ngt_f32_e64 0x3c800000, |v26|
	s_xor_b32 s5, exec_lo, s4
	s_cbranch_execz .LBB9_199
; %bb.170:                              ;   in Loop: Header=BB9_161 Depth=1
                                        ; implicit-def: $vgpr27
	s_mov_b32 s4, exec_lo
	v_cmpx_nlt_f32_e64 |v26|, 2.0
	s_xor_b32 s6, exec_lo, s4
	s_cbranch_execz .LBB9_180
; %bb.171:                              ;   in Loop: Header=BB9_161 Depth=1
	s_mov_b32 s4, exec_lo
                                        ; implicit-def: $vgpr27
	v_cmpx_ngt_f32_e64 0x41000000, |v26|
	s_xor_b32 s4, exec_lo, s4
	s_cbranch_execz .LBB9_177
; %bb.172:                              ;   in Loop: Header=BB9_161 Depth=1
	s_mov_b32 s7, exec_lo
                                        ; implicit-def: $vgpr27
	v_cmpx_ngt_f32_e64 0x5c800000, |v26|
	s_xor_b32 s7, exec_lo, s7
	s_cbranch_execz .LBB9_174
; %bb.173:                              ;   in Loop: Header=BB9_161 Depth=1
	v_cmp_gt_f32_e64 s8, 0x800000, |v26|
	s_delay_alu instid0(VALU_DEP_1) | instskip(NEXT) | instid1(VALU_DEP_1)
	v_cndmask_b32_e64 v27, 1.0, 0x4f800000, s8
	v_mul_f32_e64 v27, |v26|, v27
	s_delay_alu instid0(VALU_DEP_1) | instskip(SKIP_3) | instid1(VALU_DEP_2)
	v_log_f32_e32 v27, v27
	s_waitcnt_depctr 0xfff
	v_mul_f32_e32 v29, 0x3f317217, v27
	v_cmp_gt_f32_e64 s3, 0x7f800000, |v27|
	v_fma_f32 v30, 0x3f317217, v27, -v29
	s_delay_alu instid0(VALU_DEP_1) | instskip(NEXT) | instid1(VALU_DEP_1)
	v_fmac_f32_e32 v30, 0x3377d1cf, v27
	v_add_f32_e32 v29, v29, v30
	s_delay_alu instid0(VALU_DEP_1) | instskip(SKIP_1) | instid1(VALU_DEP_1)
	v_cndmask_b32_e64 v27, v27, v29, s3
	v_cndmask_b32_e64 v29, 0, 0x41b17218, s8
	v_sub_f32_e32 v27, v27, v29
	s_delay_alu instid0(VALU_DEP_1)
	v_fma_f32 v27, |v26|, v27, -|v26|
.LBB9_174:                              ;   in Loop: Header=BB9_161 Depth=1
	s_and_not1_saveexec_b32 s7, s7
	s_cbranch_execz .LBB9_176
; %bb.175:                              ;   in Loop: Header=BB9_161 Depth=1
	v_cmp_gt_f32_e64 s8, 0x800000, |v26|
	v_rcp_f32_e64 v29, |v26|
	s_delay_alu instid0(VALU_DEP_1) | instskip(NEXT) | instid1(VALU_DEP_1)
	v_cndmask_b32_e64 v27, 1.0, 0x4f800000, s8
	v_mul_f32_e64 v27, |v26|, v27
	s_delay_alu instid0(VALU_DEP_1) | instskip(SKIP_3) | instid1(VALU_DEP_2)
	v_log_f32_e32 v27, v27
	s_waitcnt_depctr 0xfff
	v_dual_mul_f32 v30, v29, v29 :: v_dual_mul_f32 v31, 0x3f317217, v27
	v_cmp_gt_f32_e64 s3, 0x7f800000, |v27|
	v_fma_f32 v33, 0x3f317217, v27, -v31
	s_delay_alu instid0(VALU_DEP_1) | instskip(NEXT) | instid1(VALU_DEP_1)
	v_fmac_f32_e32 v33, 0x3377d1cf, v27
	v_dual_fmaak_f32 v32, s9, v30, 0x3a5b3dd2 :: v_dual_add_f32 v31, v31, v33
	s_delay_alu instid0(VALU_DEP_1) | instskip(SKIP_1) | instid1(VALU_DEP_1)
	v_cndmask_b32_e64 v27, v27, v31, s3
	v_cndmask_b32_e64 v31, 0, 0x41b17218, s8
	v_dual_fmaak_f32 v32, v30, v32, 0xba1c065c :: v_dual_sub_f32 v31, v27, v31
	s_delay_alu instid0(VALU_DEP_1) | instskip(NEXT) | instid1(VALU_DEP_1)
	v_fmaak_f32 v32, v30, v32, 0x3a500cfd
	v_fmaak_f32 v32, v30, v32, 0xbb360b61
	s_delay_alu instid0(VALU_DEP_1) | instskip(NEXT) | instid1(VALU_DEP_1)
	v_fmaak_f32 v30, v30, v32, 0x3daaaaab
	v_dual_fmaak_f32 v27, v29, v30, 0x3ed67f1d :: v_dual_add_f32 v30, -1.0, v31
	v_add_f32_e64 v29, |v26|, -0.5
	s_delay_alu instid0(VALU_DEP_1)
	v_fmac_f32_e32 v27, v29, v30
.LBB9_176:                              ;   in Loop: Header=BB9_161 Depth=1
	s_or_b32 exec_lo, exec_lo, s7
.LBB9_177:                              ;   in Loop: Header=BB9_161 Depth=1
	s_and_not1_saveexec_b32 s7, s4
	s_cbranch_execz .LBB9_179
; %bb.178:                              ;   in Loop: Header=BB9_161 Depth=1
	v_cvt_i32_f32_e32 v27, v28
	s_delay_alu instid0(VALU_DEP_1) | instskip(SKIP_1) | instid1(VALU_DEP_2)
	v_cvt_f32_i32_e32 v29, v27
	v_cmp_lt_i32_e64 s3, 2, v27
	v_sub_f32_e64 v29, |v26|, v29
	s_delay_alu instid0(VALU_DEP_1) | instskip(SKIP_2) | instid1(VALU_DEP_3)
	v_add_f32_e32 v30, 2.0, v29
	v_add_f32_e32 v31, 0x40400000, v29
	v_add_f32_e32 v32, 4.0, v29
	v_cndmask_b32_e64 v30, 1.0, v30, s3
	v_cmp_lt_i32_e64 s3, 3, v27
	s_delay_alu instid0(VALU_DEP_1) | instskip(SKIP_1) | instid1(VALU_DEP_2)
	v_cndmask_b32_e64 v31, 1.0, v31, s3
	v_cmp_lt_i32_e64 s3, 4, v27
	v_dual_add_f32 v33, 0x40a00000, v29 :: v_dual_mul_f32 v30, v30, v31
	s_delay_alu instid0(VALU_DEP_2) | instskip(SKIP_1) | instid1(VALU_DEP_2)
	v_cndmask_b32_e64 v32, 1.0, v32, s3
	v_cmp_lt_i32_e64 s3, 5, v27
	v_mul_f32_e32 v30, v32, v30
	s_delay_alu instid0(VALU_DEP_2) | instskip(SKIP_3) | instid1(VALU_DEP_4)
	v_cndmask_b32_e64 v33, 1.0, v33, s3
	v_add_f32_e32 v31, 0x40c00000, v29
	v_cmp_lt_i32_e64 s3, 6, v27
	v_fmaak_f32 v32, s20, v29, 0x3af135b4
	v_mul_f32_e32 v30, v33, v30
	s_delay_alu instid0(VALU_DEP_3) | instskip(NEXT) | instid1(VALU_DEP_1)
	v_cndmask_b32_e64 v27, 1.0, v31, s3
	v_mul_f32_e32 v27, v27, v30
	s_delay_alu instid0(VALU_DEP_1) | instskip(NEXT) | instid1(VALU_DEP_1)
	v_cmp_gt_f32_e64 s3, 0x800000, v27
	v_cndmask_b32_e64 v31, 1.0, 0x4f800000, s3
	s_delay_alu instid0(VALU_DEP_1) | instskip(SKIP_1) | instid1(VALU_DEP_2)
	v_mul_f32_e32 v27, v27, v31
	v_fmaak_f32 v31, v29, v32, 0x3cda40e4
	v_log_f32_e32 v27, v27
	s_waitcnt_depctr 0xfff
	v_mul_f32_e32 v32, 0x3f317217, v27
	v_cmp_gt_f32_e64 s4, 0x7f800000, |v27|
	s_delay_alu instid0(VALU_DEP_2) | instskip(NEXT) | instid1(VALU_DEP_1)
	v_fma_f32 v33, 0x3f317217, v27, -v32
	v_fmac_f32_e32 v33, 0x3377d1cf, v27
	s_delay_alu instid0(VALU_DEP_1) | instskip(NEXT) | instid1(VALU_DEP_1)
	v_dual_add_f32 v32, v32, v33 :: v_dual_fmaak_f32 v31, v29, v31, 0x3e15dce6
	v_cndmask_b32_e64 v27, v27, v32, s4
	s_delay_alu instid0(VALU_DEP_2) | instskip(NEXT) | instid1(VALU_DEP_1)
	v_fmaak_f32 v31, v29, v31, 0x3ea6cc7a
	v_fmaak_f32 v31, v29, v31, 0x3e5c245a
	s_delay_alu instid0(VALU_DEP_1) | instskip(NEXT) | instid1(VALU_DEP_1)
	v_fmaak_f32 v31, v29, v31, 0xbd9e233f
	v_dual_fmaak_f32 v30, s21, v29, 0x3a4beed6 :: v_dual_mul_f32 v31, v29, v31
	s_delay_alu instid0(VALU_DEP_1) | instskip(NEXT) | instid1(VALU_DEP_1)
	v_fmaak_f32 v30, v29, v30, 0x3c98bf54
	v_fmaak_f32 v30, v29, v30, 0x3e300f6e
	s_delay_alu instid0(VALU_DEP_1) | instskip(NEXT) | instid1(VALU_DEP_1)
	v_fmaak_f32 v30, v29, v30, 0x3f38d0c5
	v_fmaak_f32 v30, v29, v30, 0x3fb22d3b
	s_delay_alu instid0(VALU_DEP_1) | instskip(NEXT) | instid1(VALU_DEP_1)
	v_fma_f32 v30, v29, v30, 1.0
	v_rcp_f32_e32 v30, v30
	s_waitcnt_depctr 0xfff
	v_mul_f32_e32 v30, v31, v30
	v_cndmask_b32_e64 v31, 0, 0x41b17218, s3
	s_delay_alu instid0(VALU_DEP_1) | instskip(NEXT) | instid1(VALU_DEP_1)
	v_dual_fmac_f32 v30, 0.5, v29 :: v_dual_sub_f32 v27, v27, v31
	v_add_f32_e32 v27, v27, v30
.LBB9_179:                              ;   in Loop: Header=BB9_161 Depth=1
	s_or_b32 exec_lo, exec_lo, s7
.LBB9_180:                              ;   in Loop: Header=BB9_161 Depth=1
	s_and_not1_saveexec_b32 s6, s6
	s_cbranch_execz .LBB9_198
; %bb.181:                              ;   in Loop: Header=BB9_161 Depth=1
                                        ; implicit-def: $vgpr27
                                        ; implicit-def: $vgpr30
                                        ; implicit-def: $vgpr29
	s_mov_b32 s4, exec_lo
	v_cmpx_ge_f32_e64 0x3f666666, |v26|
	s_xor_b32 s7, exec_lo, s4
	s_cbranch_execz .LBB9_183
; %bb.182:                              ;   in Loop: Header=BB9_161 Depth=1
	v_cmp_gt_f32_e64 s4, 0x800000, |v26|
	v_sub_f32_e64 v31, 1.0, |v26|
	v_cmp_gt_f32_e64 s3, 0x3f3b4a23, |v26|
	s_delay_alu instid0(VALU_DEP_3) | instskip(SKIP_1) | instid1(VALU_DEP_2)
	v_cndmask_b32_e64 v27, 1.0, 0x4f800000, s4
	v_cndmask_b32_e64 v32, 0, 0x41b17218, s4
	v_mul_f32_e64 v27, |v26|, v27
	s_delay_alu instid0(VALU_DEP_1) | instskip(SKIP_3) | instid1(VALU_DEP_2)
	v_log_f32_e32 v27, v27
	s_waitcnt_depctr 0xfff
	v_mul_f32_e32 v29, 0x3f317217, v27
	v_cmp_gt_f32_e64 s4, 0x7f800000, |v27|
	v_fma_f32 v30, 0x3f317217, v27, -v29
	s_delay_alu instid0(VALU_DEP_1) | instskip(NEXT) | instid1(VALU_DEP_1)
	v_fmac_f32_e32 v30, 0x3377d1cf, v27
	v_add_f32_e32 v29, v29, v30
	v_add_f32_e64 v30, 0xbeec5b0c, |v26|
	s_delay_alu instid0(VALU_DEP_2) | instskip(NEXT) | instid1(VALU_DEP_2)
	v_cndmask_b32_e64 v27, v27, v29, s4
	v_cndmask_b32_e64 v29, v31, v30, s3
	;; [unrolled: 1-line block ×3, first 2 shown]
	v_cmp_gt_f32_e64 s3, 0x3e6d3309, |v26|
	s_delay_alu instid0(VALU_DEP_4) | instskip(NEXT) | instid1(VALU_DEP_2)
	v_sub_f32_e32 v27, v27, v32
	v_cndmask_b32_e64 v29, v29, |v26|, s3
	s_delay_alu instid0(VALU_DEP_4) | instskip(NEXT) | instid1(VALU_DEP_3)
	v_cndmask_b32_e64 v30, v30, 2, s3
	v_xor_b32_e32 v27, 0x80000000, v27
.LBB9_183:                              ;   in Loop: Header=BB9_161 Depth=1
	s_and_not1_saveexec_b32 s4, s7
; %bb.184:                              ;   in Loop: Header=BB9_161 Depth=1
	v_sub_f32_e64 v27, 2.0, |v26|
	v_add_f32_e64 v29, 0xbfbb16c3, |v26|
	v_cmp_gt_f32_e64 s3, 0x3fdda512, |v26|
	v_add_f32_e64 v30, |v26|, -1.0
	s_delay_alu instid0(VALU_DEP_2) | instskip(SKIP_2) | instid1(VALU_DEP_2)
	v_cndmask_b32_e64 v29, v27, v29, s3
	v_cndmask_b32_e64 v27, v27, 1.0, s3
	v_cmp_gt_f32_e64 s3, 0x3f9d70a4, |v26|
	v_cvt_i32_f32_e32 v27, v27
	s_delay_alu instid0(VALU_DEP_2) | instskip(NEXT) | instid1(VALU_DEP_2)
	v_cndmask_b32_e64 v29, v29, v30, s3
	v_cndmask_b32_e64 v30, v27, 2, s3
	v_mov_b32_e32 v27, 0
; %bb.185:                              ;   in Loop: Header=BB9_161 Depth=1
	s_or_b32 exec_lo, exec_lo, s4
	s_delay_alu instid0(SALU_CYCLE_1) | instskip(NEXT) | instid1(VALU_DEP_2)
	s_mov_b32 s4, exec_lo
	v_cmpx_lt_i32_e32 0, v30
	s_xor_b32 s4, exec_lo, s4
	s_cbranch_execz .LBB9_193
; %bb.186:                              ;   in Loop: Header=BB9_161 Depth=1
	s_mov_b32 s7, exec_lo
	v_cmpx_lt_i32_e32 1, v30
	s_xor_b32 s7, exec_lo, s7
	s_cbranch_execz .LBB9_190
; %bb.187:                              ;   in Loop: Header=BB9_161 Depth=1
	s_mov_b32 s8, exec_lo
	v_cmpx_eq_u32_e32 2, v30
	s_cbranch_execz .LBB9_189
; %bb.188:                              ;   in Loop: Header=BB9_161 Depth=1
	v_fmaak_f32 v31, s22, v29, 0x3e6a7578
	s_delay_alu instid0(VALU_DEP_1) | instskip(NEXT) | instid1(VALU_DEP_1)
	v_fmaak_f32 v31, v29, v31, 0x3f7a4bb2
	v_fmaak_f32 v31, v29, v31, 0x3fba3ae7
	s_delay_alu instid0(VALU_DEP_1) | instskip(NEXT) | instid1(VALU_DEP_1)
	v_fmaak_f32 v31, v29, v31, 0x3f2200f4
	v_fmaak_f32 v31, v29, v31, 0xbd9e233f
	s_delay_alu instid0(VALU_DEP_1) | instskip(NEXT) | instid1(VALU_DEP_1)
	v_dual_fmaak_f32 v30, s23, v29, 0x3dd572af :: v_dual_mul_f32 v31, v29, v31
	v_fmaak_f32 v30, v29, v30, 0x3f44efdf
	s_delay_alu instid0(VALU_DEP_1) | instskip(NEXT) | instid1(VALU_DEP_1)
	v_fmaak_f32 v30, v29, v30, 0x4008392d
	v_fmaak_f32 v30, v29, v30, 0x401d2ebe
	s_delay_alu instid0(VALU_DEP_1) | instskip(NEXT) | instid1(VALU_DEP_1)
	v_fma_f32 v30, v29, v30, 1.0
	v_rcp_f32_e32 v30, v30
	s_waitcnt_depctr 0xfff
	v_mul_f32_e32 v30, v31, v30
	s_delay_alu instid0(VALU_DEP_1) | instskip(NEXT) | instid1(VALU_DEP_1)
	v_fmac_f32_e32 v30, -0.5, v29
	v_add_f32_e32 v27, v27, v30
.LBB9_189:                              ;   in Loop: Header=BB9_161 Depth=1
	s_or_b32 exec_lo, exec_lo, s8
                                        ; implicit-def: $vgpr29
.LBB9_190:                              ;   in Loop: Header=BB9_161 Depth=1
	s_and_not1_saveexec_b32 s3, s7
	s_cbranch_execz .LBB9_192
; %bb.191:                              ;   in Loop: Header=BB9_161 Depth=1
	v_mul_f32_e32 v30, v29, v29
	s_delay_alu instid0(VALU_DEP_1) | instskip(NEXT) | instid1(VALU_DEP_1)
	v_mul_f32_e32 v31, v29, v30
	v_fmaak_f32 v33, s26, v31, 0xba0d3085
	v_fmaak_f32 v32, s25, v31, 0x3a66f867
	v_fmaak_f32 v34, s24, v31, 0xbab7f476
	s_delay_alu instid0(VALU_DEP_3) | instskip(NEXT) | instid1(VALU_DEP_3)
	v_fmaak_f32 v33, v31, v33, 0x3b141699
	v_fmaak_f32 v32, v31, v32, 0xbb7177fe
	s_delay_alu instid0(VALU_DEP_3) | instskip(NEXT) | instid1(VALU_DEP_3)
	v_fmaak_f32 v34, v31, v34, 0x3bc7e707
	v_fmaak_f32 v33, v31, v33, 0xbc28fcfe
	;; [unrolled: 3-line block ×4, first 2 shown]
	s_delay_alu instid0(VALU_DEP_1) | instskip(NEXT) | instid1(VALU_DEP_1)
	v_dual_fmac_f32 v32, v29, v33 :: v_dual_fmaak_f32 v29, v31, v34, 0x3ef7b95e
	v_fma_f32 v31, v31, -v32, 0xa2863e55
	s_delay_alu instid0(VALU_DEP_1) | instskip(NEXT) | instid1(VALU_DEP_1)
	v_fma_f32 v29, v30, v29, -v31
	v_add_f32_e32 v29, 0xbdf8cdce, v29
	s_delay_alu instid0(VALU_DEP_1)
	v_add_f32_e32 v27, v27, v29
.LBB9_192:                              ;   in Loop: Header=BB9_161 Depth=1
	s_or_b32 exec_lo, exec_lo, s3
                                        ; implicit-def: $vgpr30
                                        ; implicit-def: $vgpr29
.LBB9_193:                              ;   in Loop: Header=BB9_161 Depth=1
	s_and_not1_saveexec_b32 s4, s4
	s_cbranch_execz .LBB9_197
; %bb.194:                              ;   in Loop: Header=BB9_161 Depth=1
	s_mov_b32 s7, exec_lo
	v_cmpx_eq_u32_e32 0, v30
	s_cbranch_execz .LBB9_196
; %bb.195:                              ;   in Loop: Header=BB9_161 Depth=1
	v_mul_f32_e32 v30, v29, v29
	s_delay_alu instid0(VALU_DEP_1) | instskip(NEXT) | instid1(VALU_DEP_1)
	v_fmaak_f32 v32, s27, v30, 0x39679767
	v_fmaak_f32 v32, v30, v32, 0x3a9c54a1
	s_delay_alu instid0(VALU_DEP_1) | instskip(NEXT) | instid1(VALU_DEP_1)
	v_fmaak_f32 v32, v30, v32, 0x3bf2027e
	v_fmaak_f32 v32, v30, v32, 0x3d89f001
	s_delay_alu instid0(VALU_DEP_1) | instskip(SKIP_1) | instid1(VALU_DEP_1)
	v_fmaak_f32 v32, v30, v32, 0x3d9e233f
	v_fmaak_f32 v31, s28, v30, 0x38e28445
	;; [unrolled: 1-line block ×3, first 2 shown]
	s_delay_alu instid0(VALU_DEP_1) | instskip(NEXT) | instid1(VALU_DEP_1)
	v_fmaak_f32 v31, v30, v31, 0x3b3d6ec6
	v_fmaak_f32 v31, v30, v31, 0x3ca89915
	s_delay_alu instid0(VALU_DEP_1) | instskip(NEXT) | instid1(VALU_DEP_1)
	v_fmaak_f32 v31, v30, v31, 0x3ea51a66
	v_mul_f32_e32 v30, v30, v31
	s_delay_alu instid0(VALU_DEP_1) | instskip(NEXT) | instid1(VALU_DEP_1)
	v_fmac_f32_e32 v30, v29, v32
	v_fmac_f32_e32 v30, -0.5, v29
	s_delay_alu instid0(VALU_DEP_1)
	v_add_f32_e32 v27, v27, v30
.LBB9_196:                              ;   in Loop: Header=BB9_161 Depth=1
	s_or_b32 exec_lo, exec_lo, s7
.LBB9_197:                              ;   in Loop: Header=BB9_161 Depth=1
	s_delay_alu instid0(SALU_CYCLE_1)
	s_or_b32 exec_lo, exec_lo, s4
.LBB9_198:                              ;   in Loop: Header=BB9_161 Depth=1
	s_delay_alu instid0(SALU_CYCLE_1)
	s_or_b32 exec_lo, exec_lo, s6
.LBB9_199:                              ;   in Loop: Header=BB9_161 Depth=1
	s_and_not1_saveexec_b32 s4, s5
	s_cbranch_execz .LBB9_201
; %bb.200:                              ;   in Loop: Header=BB9_161 Depth=1
	v_cmp_gt_f32_e64 s5, 0x800000, |v26|
	v_fma_f32 v31, |v26|, s29, 0xbecd26ab
	s_delay_alu instid0(VALU_DEP_2) | instskip(NEXT) | instid1(VALU_DEP_1)
	v_cndmask_b32_e64 v27, 1.0, 0x4f800000, s5
	v_mul_f32_e64 v27, |v26|, v27
	s_delay_alu instid0(VALU_DEP_1) | instskip(SKIP_3) | instid1(VALU_DEP_2)
	v_log_f32_e32 v27, v27
	s_waitcnt_depctr 0xfff
	v_mul_f32_e32 v29, 0x3f317217, v27
	v_cmp_gt_f32_e64 s3, 0x7f800000, |v27|
	v_fma_f32 v30, 0x3f317217, v27, -v29
	s_delay_alu instid0(VALU_DEP_1) | instskip(NEXT) | instid1(VALU_DEP_1)
	v_fmac_f32_e32 v30, 0x3377d1cf, v27
	v_add_f32_e32 v29, v29, v30
	v_fma_f32 v30, |v26|, v31, 0x3f528d33
	s_delay_alu instid0(VALU_DEP_2) | instskip(SKIP_1) | instid1(VALU_DEP_3)
	v_cndmask_b32_e64 v27, v27, v29, s3
	v_cndmask_b32_e64 v29, 0, 0x41b17218, s5
	v_fma_f32 v30, |v26|, v30, 0xbf13c468
	s_delay_alu instid0(VALU_DEP_2) | instskip(NEXT) | instid1(VALU_DEP_1)
	v_sub_f32_e32 v27, v27, v29
	v_fma_f32 v27, |v26|, v30, -v27
.LBB9_201:                              ;   in Loop: Header=BB9_161 Depth=1
	s_or_b32 exec_lo, exec_lo, s4
	v_cmp_le_f32_e64 s3, 0, v26
	s_mov_b32 s5, exec_lo
	v_cmpx_nle_f32_e32 0, v26
	s_xor_b32 s6, exec_lo, s5
	s_cbranch_execz .LBB9_205
; %bb.202:                              ;   in Loop: Header=BB9_161 Depth=1
	v_cmp_gt_f32_e64 s4, 0x4b000000, |v26|
	v_cmp_lt_f32_e64 s5, 0x35000000, |v26|
	s_delay_alu instid0(VALU_DEP_1) | instskip(NEXT) | instid1(SALU_CYCLE_1)
	s_and_b32 s4, s4, s5
	s_and_saveexec_b32 s7, s4
	s_cbranch_execz .LBB9_204
; %bb.203:                              ;   in Loop: Header=BB9_161 Depth=1
	v_mul_f32_e64 v29, |v26|, 0.5
	v_xor_b32_e32 v28, v28, v26
	s_delay_alu instid0(VALU_DEP_2) | instskip(SKIP_1) | instid1(VALU_DEP_2)
	v_floor_f32_e32 v30, v29
	v_cmp_neq_f32_e64 s4, 0x7f800000, v29
	v_sub_f32_e32 v30, v29, v30
	s_delay_alu instid0(VALU_DEP_1) | instskip(NEXT) | instid1(VALU_DEP_1)
	v_min_f32_e32 v30, 0x3f7fffff, v30
	v_add_f32_e32 v30, v30, v30
	s_delay_alu instid0(VALU_DEP_1) | instskip(SKIP_1) | instid1(VALU_DEP_1)
	v_cndmask_b32_e64 v29, 0, v30, s4
	v_cmp_gt_f32_e64 s4, |v26|, 1.0
	v_cndmask_b32_e64 v29, |v26|, v29, s4
	s_delay_alu instid0(VALU_DEP_1) | instskip(NEXT) | instid1(VALU_DEP_1)
	v_add_f32_e32 v30, v29, v29
	v_rndne_f32_e32 v30, v30
	s_delay_alu instid0(VALU_DEP_1) | instskip(SKIP_1) | instid1(VALU_DEP_2)
	v_fmac_f32_e32 v29, -0.5, v30
	v_cvt_i32_f32_e32 v30, v30
	v_mul_f32_e32 v31, v29, v29
	s_delay_alu instid0(VALU_DEP_1) | instskip(SKIP_1) | instid1(VALU_DEP_2)
	v_fmaak_f32 v32, s30, v31, 0xbf1f24be
	v_fmaak_f32 v33, s31, v31, 0x3e642e9d
	v_fmaak_f32 v32, v31, v32, 0x40234736
	s_delay_alu instid0(VALU_DEP_2) | instskip(NEXT) | instid1(VALU_DEP_2)
	v_dual_fmaak_f32 v33, v31, v33, 0xbfaad1da :: v_dual_mul_f32 v34, v29, v31
	v_fmaak_f32 v32, v31, v32, 0xc0a55e0e
	s_delay_alu instid0(VALU_DEP_1) | instskip(NEXT) | instid1(VALU_DEP_1)
	v_dual_fmaak_f32 v33, v31, v33, 0x4081e0d3 :: v_dual_mul_f32 v32, v34, v32
	v_dual_fmaak_f32 v33, v31, v33, 0xc09de9e6 :: v_dual_and_b32 v34, 1, v30
	v_lshlrev_b32_e32 v30, 30, v30
	s_delay_alu instid0(VALU_DEP_3) | instskip(NEXT) | instid1(VALU_DEP_3)
	v_fmac_f32_e32 v32, 0x40490fdb, v29
	v_fma_f32 v29, v31, v33, 1.0
	s_delay_alu instid0(VALU_DEP_4) | instskip(NEXT) | instid1(VALU_DEP_4)
	v_cmp_eq_u32_e64 s4, 0, v34
	v_and_b32_e32 v30, 0x80000000, v30
	s_delay_alu instid0(VALU_DEP_2) | instskip(NEXT) | instid1(VALU_DEP_1)
	v_cndmask_b32_e64 v29, v29, v32, s4
	v_xor3_b32 v28, v28, v30, v29
	s_delay_alu instid0(VALU_DEP_1) | instskip(NEXT) | instid1(VALU_DEP_1)
	v_mul_f32_e32 v28, v26, v28
	v_frexp_mant_f32_e64 v29, |v28|
	v_frexp_exp_i32_f32_e32 v28, v28
	s_delay_alu instid0(VALU_DEP_2) | instskip(NEXT) | instid1(VALU_DEP_1)
	v_rcp_f32_e32 v29, v29
	v_sub_nc_u32_e32 v28, 2, v28
	s_waitcnt_depctr 0xfff
	v_mul_f32_e32 v29, 0x3f490fdb, v29
	s_delay_alu instid0(VALU_DEP_1) | instskip(NEXT) | instid1(VALU_DEP_1)
	v_ldexp_f32 v28, v29, v28
	v_cmp_gt_f32_e64 s4, 0x800000, v28
	s_delay_alu instid0(VALU_DEP_1) | instskip(NEXT) | instid1(VALU_DEP_1)
	v_cndmask_b32_e64 v29, 1.0, 0x4f800000, s4
	v_mul_f32_e32 v28, v28, v29
	s_delay_alu instid0(VALU_DEP_1) | instskip(SKIP_3) | instid1(VALU_DEP_2)
	v_log_f32_e32 v28, v28
	s_waitcnt_depctr 0xfff
	v_mul_f32_e32 v29, 0x3f317217, v28
	v_cmp_gt_f32_e64 s5, 0x7f800000, |v28|
	v_fma_f32 v30, 0x3f317217, v28, -v29
	s_delay_alu instid0(VALU_DEP_1) | instskip(NEXT) | instid1(VALU_DEP_1)
	v_fmac_f32_e32 v30, 0x3377d1cf, v28
	v_add_f32_e32 v29, v29, v30
	v_floor_f32_e32 v30, v26
	s_delay_alu instid0(VALU_DEP_2) | instskip(SKIP_1) | instid1(VALU_DEP_3)
	v_cndmask_b32_e64 v28, v28, v29, s5
	v_cndmask_b32_e64 v29, 0, 0x41b17218, s4
	v_sub_f32_e32 v30, v26, v30
	s_delay_alu instid0(VALU_DEP_1) | instskip(NEXT) | instid1(VALU_DEP_1)
	v_dual_sub_f32 v28, v28, v29 :: v_dual_min_f32 v29, 0x3f7fffff, v30
	v_sub_f32_e32 v27, v28, v27
	s_delay_alu instid0(VALU_DEP_2) | instskip(NEXT) | instid1(VALU_DEP_1)
	v_cmp_neq_f32_e64 s4, 0, v29
	v_cndmask_b32_e64 v27, 0x7f800000, v27, s4
.LBB9_204:                              ;   in Loop: Header=BB9_161 Depth=1
	s_or_b32 exec_lo, exec_lo, s7
.LBB9_205:                              ;   in Loop: Header=BB9_161 Depth=1
	s_and_not1_saveexec_b32 s6, s6
; %bb.206:                              ;   in Loop: Header=BB9_161 Depth=1
	v_cmp_eq_f32_e64 s4, 1.0, v26
	v_cmp_eq_f32_e64 s5, 2.0, v26
	s_delay_alu instid0(VALU_DEP_1) | instskip(NEXT) | instid1(SALU_CYCLE_1)
	s_or_b32 s4, s4, s5
	v_cndmask_b32_e64 v27, v27, 0, s4
; %bb.207:                              ;   in Loop: Header=BB9_161 Depth=1
	s_or_b32 exec_lo, exec_lo, s6
	v_and_b32_e32 v29, 0x7fffffff, v24
                                        ; implicit-def: $vgpr28
	s_mov_b32 s5, exec_lo
	v_cmpx_ngt_f32_e64 0x3c800000, |v24|
	s_xor_b32 s6, exec_lo, s5
	s_cbranch_execz .LBB9_237
; %bb.208:                              ;   in Loop: Header=BB9_161 Depth=1
                                        ; implicit-def: $vgpr28
	s_mov_b32 s5, exec_lo
	v_cmpx_nlt_f32_e64 |v24|, 2.0
	s_xor_b32 s7, exec_lo, s5
	s_cbranch_execz .LBB9_218
; %bb.209:                              ;   in Loop: Header=BB9_161 Depth=1
	s_mov_b32 s5, exec_lo
                                        ; implicit-def: $vgpr28
	v_cmpx_ngt_f32_e64 0x41000000, |v24|
	s_xor_b32 s5, exec_lo, s5
	s_cbranch_execz .LBB9_215
; %bb.210:                              ;   in Loop: Header=BB9_161 Depth=1
	s_mov_b32 s8, exec_lo
                                        ; implicit-def: $vgpr28
	v_cmpx_ngt_f32_e64 0x5c800000, |v24|
	s_xor_b32 s8, exec_lo, s8
	s_cbranch_execz .LBB9_212
; %bb.211:                              ;   in Loop: Header=BB9_161 Depth=1
	v_cmp_gt_f32_e64 s33, 0x800000, |v24|
	s_delay_alu instid0(VALU_DEP_1) | instskip(NEXT) | instid1(VALU_DEP_1)
	v_cndmask_b32_e64 v28, 1.0, 0x4f800000, s33
	v_mul_f32_e64 v28, |v24|, v28
	s_delay_alu instid0(VALU_DEP_1) | instskip(SKIP_3) | instid1(VALU_DEP_2)
	v_log_f32_e32 v28, v28
	s_waitcnt_depctr 0xfff
	v_mul_f32_e32 v30, 0x3f317217, v28
	v_cmp_gt_f32_e64 s4, 0x7f800000, |v28|
	v_fma_f32 v31, 0x3f317217, v28, -v30
	s_delay_alu instid0(VALU_DEP_1) | instskip(NEXT) | instid1(VALU_DEP_1)
	v_fmac_f32_e32 v31, 0x3377d1cf, v28
	v_add_f32_e32 v30, v30, v31
	s_delay_alu instid0(VALU_DEP_1) | instskip(SKIP_1) | instid1(VALU_DEP_1)
	v_cndmask_b32_e64 v28, v28, v30, s4
	v_cndmask_b32_e64 v30, 0, 0x41b17218, s33
	v_sub_f32_e32 v28, v28, v30
	s_delay_alu instid0(VALU_DEP_1)
	v_fma_f32 v28, |v24|, v28, -|v24|
.LBB9_212:                              ;   in Loop: Header=BB9_161 Depth=1
	s_and_not1_saveexec_b32 s8, s8
	s_cbranch_execz .LBB9_214
; %bb.213:                              ;   in Loop: Header=BB9_161 Depth=1
	v_cmp_gt_f32_e64 s33, 0x800000, |v24|
	v_rcp_f32_e64 v30, |v24|
	s_delay_alu instid0(VALU_DEP_1) | instskip(NEXT) | instid1(VALU_DEP_1)
	v_cndmask_b32_e64 v28, 1.0, 0x4f800000, s33
	v_mul_f32_e64 v28, |v24|, v28
	s_delay_alu instid0(VALU_DEP_1) | instskip(SKIP_3) | instid1(VALU_DEP_2)
	v_log_f32_e32 v28, v28
	s_waitcnt_depctr 0xfff
	v_dual_mul_f32 v31, v30, v30 :: v_dual_mul_f32 v32, 0x3f317217, v28
	v_cmp_gt_f32_e64 s4, 0x7f800000, |v28|
	v_fma_f32 v34, 0x3f317217, v28, -v32
	s_delay_alu instid0(VALU_DEP_1) | instskip(NEXT) | instid1(VALU_DEP_1)
	v_fmac_f32_e32 v34, 0x3377d1cf, v28
	v_dual_fmaak_f32 v33, s9, v31, 0x3a5b3dd2 :: v_dual_add_f32 v32, v32, v34
	s_delay_alu instid0(VALU_DEP_1) | instskip(SKIP_1) | instid1(VALU_DEP_1)
	v_cndmask_b32_e64 v28, v28, v32, s4
	v_cndmask_b32_e64 v32, 0, 0x41b17218, s33
	v_dual_fmaak_f32 v33, v31, v33, 0xba1c065c :: v_dual_sub_f32 v32, v28, v32
	s_delay_alu instid0(VALU_DEP_1) | instskip(NEXT) | instid1(VALU_DEP_1)
	v_fmaak_f32 v33, v31, v33, 0x3a500cfd
	v_fmaak_f32 v33, v31, v33, 0xbb360b61
	s_delay_alu instid0(VALU_DEP_1) | instskip(NEXT) | instid1(VALU_DEP_1)
	v_fmaak_f32 v31, v31, v33, 0x3daaaaab
	v_dual_fmaak_f32 v28, v30, v31, 0x3ed67f1d :: v_dual_add_f32 v31, -1.0, v32
	v_add_f32_e64 v30, |v24|, -0.5
	s_delay_alu instid0(VALU_DEP_1)
	v_fmac_f32_e32 v28, v30, v31
.LBB9_214:                              ;   in Loop: Header=BB9_161 Depth=1
	s_or_b32 exec_lo, exec_lo, s8
.LBB9_215:                              ;   in Loop: Header=BB9_161 Depth=1
	s_and_not1_saveexec_b32 s8, s5
	s_cbranch_execz .LBB9_217
; %bb.216:                              ;   in Loop: Header=BB9_161 Depth=1
	v_cvt_i32_f32_e32 v28, v29
	s_delay_alu instid0(VALU_DEP_1) | instskip(SKIP_1) | instid1(VALU_DEP_2)
	v_cvt_f32_i32_e32 v30, v28
	v_cmp_lt_i32_e64 s4, 2, v28
	v_sub_f32_e64 v30, |v24|, v30
	s_delay_alu instid0(VALU_DEP_1) | instskip(SKIP_2) | instid1(VALU_DEP_3)
	v_add_f32_e32 v31, 2.0, v30
	v_add_f32_e32 v32, 0x40400000, v30
	v_add_f32_e32 v33, 4.0, v30
	v_cndmask_b32_e64 v31, 1.0, v31, s4
	v_cmp_lt_i32_e64 s4, 3, v28
	s_delay_alu instid0(VALU_DEP_1) | instskip(SKIP_1) | instid1(VALU_DEP_2)
	v_cndmask_b32_e64 v32, 1.0, v32, s4
	v_cmp_lt_i32_e64 s4, 4, v28
	v_dual_add_f32 v34, 0x40a00000, v30 :: v_dual_mul_f32 v31, v31, v32
	s_delay_alu instid0(VALU_DEP_2) | instskip(SKIP_1) | instid1(VALU_DEP_2)
	v_cndmask_b32_e64 v33, 1.0, v33, s4
	v_cmp_lt_i32_e64 s4, 5, v28
	v_mul_f32_e32 v31, v33, v31
	s_delay_alu instid0(VALU_DEP_2) | instskip(SKIP_3) | instid1(VALU_DEP_4)
	v_cndmask_b32_e64 v34, 1.0, v34, s4
	v_add_f32_e32 v32, 0x40c00000, v30
	v_cmp_lt_i32_e64 s4, 6, v28
	v_fmaak_f32 v33, s20, v30, 0x3af135b4
	v_mul_f32_e32 v31, v34, v31
	s_delay_alu instid0(VALU_DEP_3) | instskip(NEXT) | instid1(VALU_DEP_1)
	v_cndmask_b32_e64 v28, 1.0, v32, s4
	v_mul_f32_e32 v28, v28, v31
	s_delay_alu instid0(VALU_DEP_1) | instskip(NEXT) | instid1(VALU_DEP_1)
	v_cmp_gt_f32_e64 s4, 0x800000, v28
	v_cndmask_b32_e64 v32, 1.0, 0x4f800000, s4
	s_delay_alu instid0(VALU_DEP_1) | instskip(SKIP_1) | instid1(VALU_DEP_2)
	v_mul_f32_e32 v28, v28, v32
	v_fmaak_f32 v32, v30, v33, 0x3cda40e4
	v_log_f32_e32 v28, v28
	s_waitcnt_depctr 0xfff
	v_mul_f32_e32 v33, 0x3f317217, v28
	v_cmp_gt_f32_e64 s5, 0x7f800000, |v28|
	s_delay_alu instid0(VALU_DEP_2) | instskip(NEXT) | instid1(VALU_DEP_1)
	v_fma_f32 v34, 0x3f317217, v28, -v33
	v_fmac_f32_e32 v34, 0x3377d1cf, v28
	s_delay_alu instid0(VALU_DEP_1) | instskip(NEXT) | instid1(VALU_DEP_1)
	v_dual_add_f32 v33, v33, v34 :: v_dual_fmaak_f32 v32, v30, v32, 0x3e15dce6
	v_cndmask_b32_e64 v28, v28, v33, s5
	s_delay_alu instid0(VALU_DEP_2) | instskip(NEXT) | instid1(VALU_DEP_1)
	v_fmaak_f32 v32, v30, v32, 0x3ea6cc7a
	v_fmaak_f32 v32, v30, v32, 0x3e5c245a
	s_delay_alu instid0(VALU_DEP_1) | instskip(NEXT) | instid1(VALU_DEP_1)
	v_fmaak_f32 v32, v30, v32, 0xbd9e233f
	v_dual_fmaak_f32 v31, s21, v30, 0x3a4beed6 :: v_dual_mul_f32 v32, v30, v32
	s_delay_alu instid0(VALU_DEP_1) | instskip(NEXT) | instid1(VALU_DEP_1)
	v_fmaak_f32 v31, v30, v31, 0x3c98bf54
	v_fmaak_f32 v31, v30, v31, 0x3e300f6e
	s_delay_alu instid0(VALU_DEP_1) | instskip(NEXT) | instid1(VALU_DEP_1)
	v_fmaak_f32 v31, v30, v31, 0x3f38d0c5
	v_fmaak_f32 v31, v30, v31, 0x3fb22d3b
	s_delay_alu instid0(VALU_DEP_1) | instskip(NEXT) | instid1(VALU_DEP_1)
	v_fma_f32 v31, v30, v31, 1.0
	v_rcp_f32_e32 v31, v31
	s_waitcnt_depctr 0xfff
	v_mul_f32_e32 v31, v32, v31
	v_cndmask_b32_e64 v32, 0, 0x41b17218, s4
	s_delay_alu instid0(VALU_DEP_1) | instskip(NEXT) | instid1(VALU_DEP_1)
	v_dual_fmac_f32 v31, 0.5, v30 :: v_dual_sub_f32 v28, v28, v32
	v_add_f32_e32 v28, v28, v31
.LBB9_217:                              ;   in Loop: Header=BB9_161 Depth=1
	s_or_b32 exec_lo, exec_lo, s8
.LBB9_218:                              ;   in Loop: Header=BB9_161 Depth=1
	s_and_not1_saveexec_b32 s7, s7
	s_cbranch_execz .LBB9_236
; %bb.219:                              ;   in Loop: Header=BB9_161 Depth=1
                                        ; implicit-def: $vgpr28
                                        ; implicit-def: $vgpr31
                                        ; implicit-def: $vgpr30
	s_mov_b32 s5, exec_lo
	v_cmpx_ge_f32_e64 0x3f666666, |v24|
	s_xor_b32 s8, exec_lo, s5
	s_cbranch_execz .LBB9_221
; %bb.220:                              ;   in Loop: Header=BB9_161 Depth=1
	v_cmp_gt_f32_e64 s5, 0x800000, |v24|
	v_sub_f32_e64 v32, 1.0, |v24|
	v_cmp_gt_f32_e64 s4, 0x3f3b4a23, |v24|
	s_delay_alu instid0(VALU_DEP_3) | instskip(SKIP_1) | instid1(VALU_DEP_2)
	v_cndmask_b32_e64 v28, 1.0, 0x4f800000, s5
	v_cndmask_b32_e64 v33, 0, 0x41b17218, s5
	v_mul_f32_e64 v28, |v24|, v28
	s_delay_alu instid0(VALU_DEP_1) | instskip(SKIP_3) | instid1(VALU_DEP_2)
	v_log_f32_e32 v28, v28
	s_waitcnt_depctr 0xfff
	v_mul_f32_e32 v30, 0x3f317217, v28
	v_cmp_gt_f32_e64 s5, 0x7f800000, |v28|
	v_fma_f32 v31, 0x3f317217, v28, -v30
	s_delay_alu instid0(VALU_DEP_1) | instskip(NEXT) | instid1(VALU_DEP_1)
	v_fmac_f32_e32 v31, 0x3377d1cf, v28
	v_add_f32_e32 v30, v30, v31
	v_add_f32_e64 v31, 0xbeec5b0c, |v24|
	s_delay_alu instid0(VALU_DEP_2) | instskip(NEXT) | instid1(VALU_DEP_2)
	v_cndmask_b32_e64 v28, v28, v30, s5
	v_cndmask_b32_e64 v30, v32, v31, s4
	;; [unrolled: 1-line block ×3, first 2 shown]
	v_cmp_gt_f32_e64 s4, 0x3e6d3309, |v24|
	s_delay_alu instid0(VALU_DEP_4) | instskip(NEXT) | instid1(VALU_DEP_2)
	v_sub_f32_e32 v28, v28, v33
	v_cndmask_b32_e64 v30, v30, |v24|, s4
	s_delay_alu instid0(VALU_DEP_4) | instskip(NEXT) | instid1(VALU_DEP_3)
	v_cndmask_b32_e64 v31, v31, 2, s4
	v_xor_b32_e32 v28, 0x80000000, v28
.LBB9_221:                              ;   in Loop: Header=BB9_161 Depth=1
	s_and_not1_saveexec_b32 s5, s8
; %bb.222:                              ;   in Loop: Header=BB9_161 Depth=1
	v_sub_f32_e64 v28, 2.0, |v24|
	v_add_f32_e64 v30, 0xbfbb16c3, |v24|
	v_cmp_gt_f32_e64 s4, 0x3fdda512, |v24|
	v_add_f32_e64 v31, |v24|, -1.0
	s_delay_alu instid0(VALU_DEP_2) | instskip(SKIP_2) | instid1(VALU_DEP_2)
	v_cndmask_b32_e64 v30, v28, v30, s4
	v_cndmask_b32_e64 v28, v28, 1.0, s4
	v_cmp_gt_f32_e64 s4, 0x3f9d70a4, |v24|
	v_cvt_i32_f32_e32 v28, v28
	s_delay_alu instid0(VALU_DEP_2) | instskip(NEXT) | instid1(VALU_DEP_2)
	v_cndmask_b32_e64 v30, v30, v31, s4
	v_cndmask_b32_e64 v31, v28, 2, s4
	v_mov_b32_e32 v28, 0
; %bb.223:                              ;   in Loop: Header=BB9_161 Depth=1
	s_or_b32 exec_lo, exec_lo, s5
	s_delay_alu instid0(SALU_CYCLE_1) | instskip(NEXT) | instid1(VALU_DEP_2)
	s_mov_b32 s5, exec_lo
	v_cmpx_lt_i32_e32 0, v31
	s_xor_b32 s5, exec_lo, s5
	s_cbranch_execz .LBB9_231
; %bb.224:                              ;   in Loop: Header=BB9_161 Depth=1
	s_mov_b32 s8, exec_lo
	v_cmpx_lt_i32_e32 1, v31
	s_xor_b32 s8, exec_lo, s8
	s_cbranch_execz .LBB9_228
; %bb.225:                              ;   in Loop: Header=BB9_161 Depth=1
	s_mov_b32 s33, exec_lo
	v_cmpx_eq_u32_e32 2, v31
	s_cbranch_execz .LBB9_227
; %bb.226:                              ;   in Loop: Header=BB9_161 Depth=1
	v_fmaak_f32 v32, s22, v30, 0x3e6a7578
	s_delay_alu instid0(VALU_DEP_1) | instskip(NEXT) | instid1(VALU_DEP_1)
	v_fmaak_f32 v32, v30, v32, 0x3f7a4bb2
	v_fmaak_f32 v32, v30, v32, 0x3fba3ae7
	s_delay_alu instid0(VALU_DEP_1) | instskip(NEXT) | instid1(VALU_DEP_1)
	v_fmaak_f32 v32, v30, v32, 0x3f2200f4
	v_fmaak_f32 v32, v30, v32, 0xbd9e233f
	s_delay_alu instid0(VALU_DEP_1) | instskip(NEXT) | instid1(VALU_DEP_1)
	v_dual_fmaak_f32 v31, s23, v30, 0x3dd572af :: v_dual_mul_f32 v32, v30, v32
	v_fmaak_f32 v31, v30, v31, 0x3f44efdf
	s_delay_alu instid0(VALU_DEP_1) | instskip(NEXT) | instid1(VALU_DEP_1)
	v_fmaak_f32 v31, v30, v31, 0x4008392d
	v_fmaak_f32 v31, v30, v31, 0x401d2ebe
	s_delay_alu instid0(VALU_DEP_1) | instskip(NEXT) | instid1(VALU_DEP_1)
	v_fma_f32 v31, v30, v31, 1.0
	v_rcp_f32_e32 v31, v31
	s_waitcnt_depctr 0xfff
	v_mul_f32_e32 v31, v32, v31
	s_delay_alu instid0(VALU_DEP_1) | instskip(NEXT) | instid1(VALU_DEP_1)
	v_fmac_f32_e32 v31, -0.5, v30
	v_add_f32_e32 v28, v28, v31
.LBB9_227:                              ;   in Loop: Header=BB9_161 Depth=1
	s_or_b32 exec_lo, exec_lo, s33
                                        ; implicit-def: $vgpr30
.LBB9_228:                              ;   in Loop: Header=BB9_161 Depth=1
	s_and_not1_saveexec_b32 s4, s8
	s_cbranch_execz .LBB9_230
; %bb.229:                              ;   in Loop: Header=BB9_161 Depth=1
	v_mul_f32_e32 v31, v30, v30
	s_delay_alu instid0(VALU_DEP_1) | instskip(NEXT) | instid1(VALU_DEP_1)
	v_mul_f32_e32 v32, v30, v31
	v_fmaak_f32 v34, s26, v32, 0xba0d3085
	v_fmaak_f32 v33, s25, v32, 0x3a66f867
	;; [unrolled: 1-line block ×3, first 2 shown]
	s_delay_alu instid0(VALU_DEP_3) | instskip(NEXT) | instid1(VALU_DEP_3)
	v_fmaak_f32 v34, v32, v34, 0x3b141699
	v_fmaak_f32 v33, v32, v33, 0xbb7177fe
	s_delay_alu instid0(VALU_DEP_3) | instskip(NEXT) | instid1(VALU_DEP_3)
	v_fmaak_f32 v35, v32, v35, 0x3bc7e707
	v_fmaak_f32 v34, v32, v34, 0xbc28fcfe
	;; [unrolled: 3-line block ×4, first 2 shown]
	s_delay_alu instid0(VALU_DEP_1) | instskip(NEXT) | instid1(VALU_DEP_1)
	v_dual_fmac_f32 v33, v30, v34 :: v_dual_fmaak_f32 v30, v32, v35, 0x3ef7b95e
	v_fma_f32 v32, v32, -v33, 0xa2863e55
	s_delay_alu instid0(VALU_DEP_1) | instskip(NEXT) | instid1(VALU_DEP_1)
	v_fma_f32 v30, v31, v30, -v32
	v_add_f32_e32 v30, 0xbdf8cdce, v30
	s_delay_alu instid0(VALU_DEP_1)
	v_add_f32_e32 v28, v28, v30
.LBB9_230:                              ;   in Loop: Header=BB9_161 Depth=1
	s_or_b32 exec_lo, exec_lo, s4
                                        ; implicit-def: $vgpr31
                                        ; implicit-def: $vgpr30
.LBB9_231:                              ;   in Loop: Header=BB9_161 Depth=1
	s_and_not1_saveexec_b32 s5, s5
	s_cbranch_execz .LBB9_235
; %bb.232:                              ;   in Loop: Header=BB9_161 Depth=1
	s_mov_b32 s8, exec_lo
	v_cmpx_eq_u32_e32 0, v31
	s_cbranch_execz .LBB9_234
; %bb.233:                              ;   in Loop: Header=BB9_161 Depth=1
	v_mul_f32_e32 v31, v30, v30
	s_delay_alu instid0(VALU_DEP_1) | instskip(NEXT) | instid1(VALU_DEP_1)
	v_fmaak_f32 v33, s27, v31, 0x39679767
	v_fmaak_f32 v33, v31, v33, 0x3a9c54a1
	s_delay_alu instid0(VALU_DEP_1) | instskip(NEXT) | instid1(VALU_DEP_1)
	v_fmaak_f32 v33, v31, v33, 0x3bf2027e
	v_fmaak_f32 v33, v31, v33, 0x3d89f001
	s_delay_alu instid0(VALU_DEP_1) | instskip(SKIP_1) | instid1(VALU_DEP_1)
	v_fmaak_f32 v33, v31, v33, 0x3d9e233f
	v_fmaak_f32 v32, s28, v31, 0x38e28445
	;; [unrolled: 1-line block ×3, first 2 shown]
	s_delay_alu instid0(VALU_DEP_1) | instskip(NEXT) | instid1(VALU_DEP_1)
	v_fmaak_f32 v32, v31, v32, 0x3b3d6ec6
	v_fmaak_f32 v32, v31, v32, 0x3ca89915
	s_delay_alu instid0(VALU_DEP_1) | instskip(NEXT) | instid1(VALU_DEP_1)
	v_fmaak_f32 v32, v31, v32, 0x3ea51a66
	v_mul_f32_e32 v31, v31, v32
	s_delay_alu instid0(VALU_DEP_1) | instskip(NEXT) | instid1(VALU_DEP_1)
	v_fmac_f32_e32 v31, v30, v33
	v_fmac_f32_e32 v31, -0.5, v30
	s_delay_alu instid0(VALU_DEP_1)
	v_add_f32_e32 v28, v28, v31
.LBB9_234:                              ;   in Loop: Header=BB9_161 Depth=1
	s_or_b32 exec_lo, exec_lo, s8
.LBB9_235:                              ;   in Loop: Header=BB9_161 Depth=1
	s_delay_alu instid0(SALU_CYCLE_1)
	s_or_b32 exec_lo, exec_lo, s5
.LBB9_236:                              ;   in Loop: Header=BB9_161 Depth=1
	s_delay_alu instid0(SALU_CYCLE_1)
	s_or_b32 exec_lo, exec_lo, s7
.LBB9_237:                              ;   in Loop: Header=BB9_161 Depth=1
	s_and_not1_saveexec_b32 s5, s6
	s_cbranch_execz .LBB9_239
; %bb.238:                              ;   in Loop: Header=BB9_161 Depth=1
	v_cmp_gt_f32_e64 s6, 0x800000, |v24|
	v_fma_f32 v32, |v24|, s29, 0xbecd26ab
	s_delay_alu instid0(VALU_DEP_2) | instskip(NEXT) | instid1(VALU_DEP_1)
	v_cndmask_b32_e64 v28, 1.0, 0x4f800000, s6
	v_mul_f32_e64 v28, |v24|, v28
	s_delay_alu instid0(VALU_DEP_1) | instskip(SKIP_3) | instid1(VALU_DEP_2)
	v_log_f32_e32 v28, v28
	s_waitcnt_depctr 0xfff
	v_mul_f32_e32 v30, 0x3f317217, v28
	v_cmp_gt_f32_e64 s4, 0x7f800000, |v28|
	v_fma_f32 v31, 0x3f317217, v28, -v30
	s_delay_alu instid0(VALU_DEP_1) | instskip(NEXT) | instid1(VALU_DEP_1)
	v_fmac_f32_e32 v31, 0x3377d1cf, v28
	v_add_f32_e32 v30, v30, v31
	v_fma_f32 v31, |v24|, v32, 0x3f528d33
	s_delay_alu instid0(VALU_DEP_2) | instskip(SKIP_1) | instid1(VALU_DEP_3)
	v_cndmask_b32_e64 v28, v28, v30, s4
	v_cndmask_b32_e64 v30, 0, 0x41b17218, s6
	v_fma_f32 v31, |v24|, v31, 0xbf13c468
	s_delay_alu instid0(VALU_DEP_2) | instskip(NEXT) | instid1(VALU_DEP_1)
	v_sub_f32_e32 v28, v28, v30
	v_fma_f32 v28, |v24|, v31, -v28
.LBB9_239:                              ;   in Loop: Header=BB9_161 Depth=1
	s_or_b32 exec_lo, exec_lo, s5
	v_cmp_le_f32_e64 s4, 0, v24
	s_mov_b32 s6, exec_lo
	v_cmpx_nle_f32_e32 0, v24
	s_xor_b32 s7, exec_lo, s6
	s_cbranch_execz .LBB9_243
; %bb.240:                              ;   in Loop: Header=BB9_161 Depth=1
	v_cmp_gt_f32_e64 s5, 0x4b000000, |v24|
	v_cmp_lt_f32_e64 s6, 0x35000000, |v24|
	s_delay_alu instid0(VALU_DEP_1) | instskip(NEXT) | instid1(SALU_CYCLE_1)
	s_and_b32 s5, s5, s6
	s_and_saveexec_b32 s8, s5
	s_cbranch_execz .LBB9_242
; %bb.241:                              ;   in Loop: Header=BB9_161 Depth=1
	v_mul_f32_e64 v30, |v24|, 0.5
	v_xor_b32_e32 v29, v29, v24
	s_delay_alu instid0(VALU_DEP_2) | instskip(SKIP_1) | instid1(VALU_DEP_2)
	v_floor_f32_e32 v31, v30
	v_cmp_neq_f32_e64 s5, 0x7f800000, v30
	v_sub_f32_e32 v31, v30, v31
	s_delay_alu instid0(VALU_DEP_1) | instskip(NEXT) | instid1(VALU_DEP_1)
	v_min_f32_e32 v31, 0x3f7fffff, v31
	v_add_f32_e32 v31, v31, v31
	s_delay_alu instid0(VALU_DEP_1) | instskip(SKIP_1) | instid1(VALU_DEP_1)
	v_cndmask_b32_e64 v30, 0, v31, s5
	v_cmp_gt_f32_e64 s5, |v24|, 1.0
	v_cndmask_b32_e64 v30, |v24|, v30, s5
	s_delay_alu instid0(VALU_DEP_1) | instskip(NEXT) | instid1(VALU_DEP_1)
	v_add_f32_e32 v31, v30, v30
	v_rndne_f32_e32 v31, v31
	s_delay_alu instid0(VALU_DEP_1) | instskip(SKIP_1) | instid1(VALU_DEP_2)
	v_fmac_f32_e32 v30, -0.5, v31
	v_cvt_i32_f32_e32 v31, v31
	v_mul_f32_e32 v32, v30, v30
	s_delay_alu instid0(VALU_DEP_1) | instskip(SKIP_1) | instid1(VALU_DEP_2)
	v_fmaak_f32 v33, s30, v32, 0xbf1f24be
	v_fmaak_f32 v34, s31, v32, 0x3e642e9d
	;; [unrolled: 1-line block ×3, first 2 shown]
	s_delay_alu instid0(VALU_DEP_2) | instskip(NEXT) | instid1(VALU_DEP_2)
	v_dual_fmaak_f32 v34, v32, v34, 0xbfaad1da :: v_dual_mul_f32 v35, v30, v32
	v_fmaak_f32 v33, v32, v33, 0xc0a55e0e
	s_delay_alu instid0(VALU_DEP_1) | instskip(NEXT) | instid1(VALU_DEP_1)
	v_dual_fmaak_f32 v34, v32, v34, 0x4081e0d3 :: v_dual_mul_f32 v33, v35, v33
	v_dual_fmaak_f32 v34, v32, v34, 0xc09de9e6 :: v_dual_and_b32 v35, 1, v31
	v_lshlrev_b32_e32 v31, 30, v31
	s_delay_alu instid0(VALU_DEP_3) | instskip(NEXT) | instid1(VALU_DEP_3)
	v_fmac_f32_e32 v33, 0x40490fdb, v30
	v_fma_f32 v30, v32, v34, 1.0
	s_delay_alu instid0(VALU_DEP_4) | instskip(NEXT) | instid1(VALU_DEP_4)
	v_cmp_eq_u32_e64 s5, 0, v35
	v_and_b32_e32 v31, 0x80000000, v31
	s_delay_alu instid0(VALU_DEP_2) | instskip(NEXT) | instid1(VALU_DEP_1)
	v_cndmask_b32_e64 v30, v30, v33, s5
	v_xor3_b32 v29, v29, v31, v30
	s_delay_alu instid0(VALU_DEP_1) | instskip(NEXT) | instid1(VALU_DEP_1)
	v_mul_f32_e32 v29, v24, v29
	v_frexp_mant_f32_e64 v30, |v29|
	v_frexp_exp_i32_f32_e32 v29, v29
	s_delay_alu instid0(VALU_DEP_2) | instskip(NEXT) | instid1(VALU_DEP_1)
	v_rcp_f32_e32 v30, v30
	v_sub_nc_u32_e32 v29, 2, v29
	s_waitcnt_depctr 0xfff
	v_mul_f32_e32 v30, 0x3f490fdb, v30
	s_delay_alu instid0(VALU_DEP_1) | instskip(NEXT) | instid1(VALU_DEP_1)
	v_ldexp_f32 v29, v30, v29
	v_cmp_gt_f32_e64 s5, 0x800000, v29
	s_delay_alu instid0(VALU_DEP_1) | instskip(NEXT) | instid1(VALU_DEP_1)
	v_cndmask_b32_e64 v30, 1.0, 0x4f800000, s5
	v_mul_f32_e32 v29, v29, v30
	s_delay_alu instid0(VALU_DEP_1) | instskip(SKIP_3) | instid1(VALU_DEP_2)
	v_log_f32_e32 v29, v29
	s_waitcnt_depctr 0xfff
	v_mul_f32_e32 v30, 0x3f317217, v29
	v_cmp_gt_f32_e64 s6, 0x7f800000, |v29|
	v_fma_f32 v31, 0x3f317217, v29, -v30
	s_delay_alu instid0(VALU_DEP_1) | instskip(NEXT) | instid1(VALU_DEP_1)
	v_fmac_f32_e32 v31, 0x3377d1cf, v29
	v_add_f32_e32 v30, v30, v31
	v_floor_f32_e32 v31, v24
	s_delay_alu instid0(VALU_DEP_2) | instskip(SKIP_1) | instid1(VALU_DEP_3)
	v_cndmask_b32_e64 v29, v29, v30, s6
	v_cndmask_b32_e64 v30, 0, 0x41b17218, s5
	v_sub_f32_e32 v31, v24, v31
	s_delay_alu instid0(VALU_DEP_1) | instskip(NEXT) | instid1(VALU_DEP_1)
	v_dual_sub_f32 v29, v29, v30 :: v_dual_min_f32 v30, 0x3f7fffff, v31
	v_sub_f32_e32 v28, v29, v28
	s_delay_alu instid0(VALU_DEP_2) | instskip(NEXT) | instid1(VALU_DEP_1)
	v_cmp_neq_f32_e64 s5, 0, v30
	v_cndmask_b32_e64 v28, 0x7f800000, v28, s5
.LBB9_242:                              ;   in Loop: Header=BB9_161 Depth=1
	s_or_b32 exec_lo, exec_lo, s8
.LBB9_243:                              ;   in Loop: Header=BB9_161 Depth=1
	s_and_not1_saveexec_b32 s7, s7
; %bb.244:                              ;   in Loop: Header=BB9_161 Depth=1
	v_cmp_eq_f32_e64 s5, 1.0, v24
	v_cmp_eq_f32_e64 s6, 2.0, v24
	s_delay_alu instid0(VALU_DEP_1) | instskip(NEXT) | instid1(SALU_CYCLE_1)
	s_or_b32 s5, s5, s6
	v_cndmask_b32_e64 v28, v28, 0, s5
; %bb.245:                              ;   in Loop: Header=BB9_161 Depth=1
	s_or_b32 exec_lo, exec_lo, s7
	v_and_b32_e32 v30, 0x7fffffff, v25
                                        ; implicit-def: $vgpr29
	s_mov_b32 s6, exec_lo
	v_cmpx_ngt_f32_e64 0x3c800000, |v25|
	s_xor_b32 s7, exec_lo, s6
	s_cbranch_execz .LBB9_275
; %bb.246:                              ;   in Loop: Header=BB9_161 Depth=1
                                        ; implicit-def: $vgpr29
	s_mov_b32 s6, exec_lo
	v_cmpx_nlt_f32_e64 |v25|, 2.0
	s_xor_b32 s8, exec_lo, s6
	s_cbranch_execz .LBB9_256
; %bb.247:                              ;   in Loop: Header=BB9_161 Depth=1
	s_mov_b32 s6, exec_lo
                                        ; implicit-def: $vgpr29
	v_cmpx_ngt_f32_e64 0x41000000, |v25|
	s_xor_b32 s6, exec_lo, s6
	s_cbranch_execz .LBB9_253
; %bb.248:                              ;   in Loop: Header=BB9_161 Depth=1
	s_mov_b32 s33, exec_lo
                                        ; implicit-def: $vgpr29
	v_cmpx_ngt_f32_e64 0x5c800000, |v25|
	s_xor_b32 s33, exec_lo, s33
	s_cbranch_execz .LBB9_250
; %bb.249:                              ;   in Loop: Header=BB9_161 Depth=1
	v_cmp_gt_f32_e64 s34, 0x800000, |v25|
	s_delay_alu instid0(VALU_DEP_1) | instskip(NEXT) | instid1(VALU_DEP_1)
	v_cndmask_b32_e64 v29, 1.0, 0x4f800000, s34
	v_mul_f32_e64 v29, |v25|, v29
	s_delay_alu instid0(VALU_DEP_1) | instskip(SKIP_3) | instid1(VALU_DEP_2)
	v_log_f32_e32 v29, v29
	s_waitcnt_depctr 0xfff
	v_mul_f32_e32 v31, 0x3f317217, v29
	v_cmp_gt_f32_e64 s5, 0x7f800000, |v29|
	v_fma_f32 v32, 0x3f317217, v29, -v31
	s_delay_alu instid0(VALU_DEP_1) | instskip(NEXT) | instid1(VALU_DEP_1)
	v_fmac_f32_e32 v32, 0x3377d1cf, v29
	v_add_f32_e32 v31, v31, v32
	s_delay_alu instid0(VALU_DEP_1) | instskip(SKIP_1) | instid1(VALU_DEP_1)
	v_cndmask_b32_e64 v29, v29, v31, s5
	v_cndmask_b32_e64 v31, 0, 0x41b17218, s34
	v_sub_f32_e32 v29, v29, v31
	s_delay_alu instid0(VALU_DEP_1)
	v_fma_f32 v29, |v25|, v29, -|v25|
.LBB9_250:                              ;   in Loop: Header=BB9_161 Depth=1
	s_and_not1_saveexec_b32 s33, s33
	s_cbranch_execz .LBB9_252
; %bb.251:                              ;   in Loop: Header=BB9_161 Depth=1
	v_cmp_gt_f32_e64 s34, 0x800000, |v25|
	v_rcp_f32_e64 v31, |v25|
	s_delay_alu instid0(VALU_DEP_1) | instskip(NEXT) | instid1(VALU_DEP_1)
	v_cndmask_b32_e64 v29, 1.0, 0x4f800000, s34
	v_mul_f32_e64 v29, |v25|, v29
	s_delay_alu instid0(VALU_DEP_1) | instskip(SKIP_3) | instid1(VALU_DEP_2)
	v_log_f32_e32 v29, v29
	s_waitcnt_depctr 0xfff
	v_dual_mul_f32 v32, v31, v31 :: v_dual_mul_f32 v33, 0x3f317217, v29
	v_cmp_gt_f32_e64 s5, 0x7f800000, |v29|
	v_fma_f32 v35, 0x3f317217, v29, -v33
	s_delay_alu instid0(VALU_DEP_1) | instskip(NEXT) | instid1(VALU_DEP_1)
	v_fmac_f32_e32 v35, 0x3377d1cf, v29
	v_dual_fmaak_f32 v34, s9, v32, 0x3a5b3dd2 :: v_dual_add_f32 v33, v33, v35
	s_delay_alu instid0(VALU_DEP_1) | instskip(SKIP_1) | instid1(VALU_DEP_1)
	v_cndmask_b32_e64 v29, v29, v33, s5
	v_cndmask_b32_e64 v33, 0, 0x41b17218, s34
	v_dual_fmaak_f32 v34, v32, v34, 0xba1c065c :: v_dual_sub_f32 v33, v29, v33
	s_delay_alu instid0(VALU_DEP_1) | instskip(NEXT) | instid1(VALU_DEP_1)
	v_fmaak_f32 v34, v32, v34, 0x3a500cfd
	v_fmaak_f32 v34, v32, v34, 0xbb360b61
	s_delay_alu instid0(VALU_DEP_1) | instskip(NEXT) | instid1(VALU_DEP_1)
	v_fmaak_f32 v32, v32, v34, 0x3daaaaab
	v_dual_fmaak_f32 v29, v31, v32, 0x3ed67f1d :: v_dual_add_f32 v32, -1.0, v33
	v_add_f32_e64 v31, |v25|, -0.5
	s_delay_alu instid0(VALU_DEP_1)
	v_fmac_f32_e32 v29, v31, v32
.LBB9_252:                              ;   in Loop: Header=BB9_161 Depth=1
	s_or_b32 exec_lo, exec_lo, s33
.LBB9_253:                              ;   in Loop: Header=BB9_161 Depth=1
	s_and_not1_saveexec_b32 s33, s6
	s_cbranch_execz .LBB9_255
; %bb.254:                              ;   in Loop: Header=BB9_161 Depth=1
	v_cvt_i32_f32_e32 v29, v30
	s_delay_alu instid0(VALU_DEP_1) | instskip(SKIP_1) | instid1(VALU_DEP_2)
	v_cvt_f32_i32_e32 v31, v29
	v_cmp_lt_i32_e64 s5, 2, v29
	v_sub_f32_e64 v31, |v25|, v31
	s_delay_alu instid0(VALU_DEP_1) | instskip(SKIP_2) | instid1(VALU_DEP_3)
	v_add_f32_e32 v32, 2.0, v31
	v_add_f32_e32 v33, 0x40400000, v31
	v_add_f32_e32 v34, 4.0, v31
	v_cndmask_b32_e64 v32, 1.0, v32, s5
	v_cmp_lt_i32_e64 s5, 3, v29
	s_delay_alu instid0(VALU_DEP_1) | instskip(SKIP_1) | instid1(VALU_DEP_2)
	v_cndmask_b32_e64 v33, 1.0, v33, s5
	v_cmp_lt_i32_e64 s5, 4, v29
	v_dual_add_f32 v35, 0x40a00000, v31 :: v_dual_mul_f32 v32, v32, v33
	s_delay_alu instid0(VALU_DEP_2) | instskip(SKIP_1) | instid1(VALU_DEP_2)
	v_cndmask_b32_e64 v34, 1.0, v34, s5
	v_cmp_lt_i32_e64 s5, 5, v29
	v_mul_f32_e32 v32, v34, v32
	s_delay_alu instid0(VALU_DEP_2) | instskip(SKIP_3) | instid1(VALU_DEP_4)
	v_cndmask_b32_e64 v35, 1.0, v35, s5
	v_add_f32_e32 v33, 0x40c00000, v31
	v_cmp_lt_i32_e64 s5, 6, v29
	v_fmaak_f32 v34, s20, v31, 0x3af135b4
	v_mul_f32_e32 v32, v35, v32
	s_delay_alu instid0(VALU_DEP_3) | instskip(NEXT) | instid1(VALU_DEP_1)
	v_cndmask_b32_e64 v29, 1.0, v33, s5
	v_mul_f32_e32 v29, v29, v32
	s_delay_alu instid0(VALU_DEP_1) | instskip(NEXT) | instid1(VALU_DEP_1)
	v_cmp_gt_f32_e64 s5, 0x800000, v29
	v_cndmask_b32_e64 v33, 1.0, 0x4f800000, s5
	s_delay_alu instid0(VALU_DEP_1) | instskip(SKIP_1) | instid1(VALU_DEP_2)
	v_mul_f32_e32 v29, v29, v33
	v_fmaak_f32 v33, v31, v34, 0x3cda40e4
	v_log_f32_e32 v29, v29
	s_waitcnt_depctr 0xfff
	v_mul_f32_e32 v34, 0x3f317217, v29
	v_cmp_gt_f32_e64 s6, 0x7f800000, |v29|
	s_delay_alu instid0(VALU_DEP_2) | instskip(NEXT) | instid1(VALU_DEP_1)
	v_fma_f32 v35, 0x3f317217, v29, -v34
	v_fmac_f32_e32 v35, 0x3377d1cf, v29
	s_delay_alu instid0(VALU_DEP_1) | instskip(NEXT) | instid1(VALU_DEP_1)
	v_dual_add_f32 v34, v34, v35 :: v_dual_fmaak_f32 v33, v31, v33, 0x3e15dce6
	v_cndmask_b32_e64 v29, v29, v34, s6
	s_delay_alu instid0(VALU_DEP_2) | instskip(NEXT) | instid1(VALU_DEP_1)
	v_fmaak_f32 v33, v31, v33, 0x3ea6cc7a
	v_fmaak_f32 v33, v31, v33, 0x3e5c245a
	s_delay_alu instid0(VALU_DEP_1) | instskip(NEXT) | instid1(VALU_DEP_1)
	v_fmaak_f32 v33, v31, v33, 0xbd9e233f
	v_dual_fmaak_f32 v32, s21, v31, 0x3a4beed6 :: v_dual_mul_f32 v33, v31, v33
	s_delay_alu instid0(VALU_DEP_1) | instskip(NEXT) | instid1(VALU_DEP_1)
	v_fmaak_f32 v32, v31, v32, 0x3c98bf54
	v_fmaak_f32 v32, v31, v32, 0x3e300f6e
	s_delay_alu instid0(VALU_DEP_1) | instskip(NEXT) | instid1(VALU_DEP_1)
	v_fmaak_f32 v32, v31, v32, 0x3f38d0c5
	v_fmaak_f32 v32, v31, v32, 0x3fb22d3b
	s_delay_alu instid0(VALU_DEP_1) | instskip(NEXT) | instid1(VALU_DEP_1)
	v_fma_f32 v32, v31, v32, 1.0
	v_rcp_f32_e32 v32, v32
	s_waitcnt_depctr 0xfff
	v_mul_f32_e32 v32, v33, v32
	v_cndmask_b32_e64 v33, 0, 0x41b17218, s5
	s_delay_alu instid0(VALU_DEP_1) | instskip(NEXT) | instid1(VALU_DEP_1)
	v_dual_fmac_f32 v32, 0.5, v31 :: v_dual_sub_f32 v29, v29, v33
	v_add_f32_e32 v29, v29, v32
.LBB9_255:                              ;   in Loop: Header=BB9_161 Depth=1
	s_or_b32 exec_lo, exec_lo, s33
.LBB9_256:                              ;   in Loop: Header=BB9_161 Depth=1
	s_and_not1_saveexec_b32 s8, s8
	s_cbranch_execz .LBB9_274
; %bb.257:                              ;   in Loop: Header=BB9_161 Depth=1
                                        ; implicit-def: $vgpr29
                                        ; implicit-def: $vgpr32
                                        ; implicit-def: $vgpr31
	s_mov_b32 s6, exec_lo
	v_cmpx_ge_f32_e64 0x3f666666, |v25|
	s_xor_b32 s33, exec_lo, s6
	s_cbranch_execz .LBB9_259
; %bb.258:                              ;   in Loop: Header=BB9_161 Depth=1
	v_cmp_gt_f32_e64 s6, 0x800000, |v25|
	v_sub_f32_e64 v33, 1.0, |v25|
	v_cmp_gt_f32_e64 s5, 0x3f3b4a23, |v25|
	s_delay_alu instid0(VALU_DEP_3) | instskip(SKIP_1) | instid1(VALU_DEP_2)
	v_cndmask_b32_e64 v29, 1.0, 0x4f800000, s6
	v_cndmask_b32_e64 v34, 0, 0x41b17218, s6
	v_mul_f32_e64 v29, |v25|, v29
	s_delay_alu instid0(VALU_DEP_1) | instskip(SKIP_3) | instid1(VALU_DEP_2)
	v_log_f32_e32 v29, v29
	s_waitcnt_depctr 0xfff
	v_mul_f32_e32 v31, 0x3f317217, v29
	v_cmp_gt_f32_e64 s6, 0x7f800000, |v29|
	v_fma_f32 v32, 0x3f317217, v29, -v31
	s_delay_alu instid0(VALU_DEP_1) | instskip(NEXT) | instid1(VALU_DEP_1)
	v_fmac_f32_e32 v32, 0x3377d1cf, v29
	v_add_f32_e32 v31, v31, v32
	v_add_f32_e64 v32, 0xbeec5b0c, |v25|
	s_delay_alu instid0(VALU_DEP_2) | instskip(NEXT) | instid1(VALU_DEP_2)
	v_cndmask_b32_e64 v29, v29, v31, s6
	v_cndmask_b32_e64 v31, v33, v32, s5
	;; [unrolled: 1-line block ×3, first 2 shown]
	v_cmp_gt_f32_e64 s5, 0x3e6d3309, |v25|
	s_delay_alu instid0(VALU_DEP_4) | instskip(NEXT) | instid1(VALU_DEP_2)
	v_sub_f32_e32 v29, v29, v34
	v_cndmask_b32_e64 v31, v31, |v25|, s5
	s_delay_alu instid0(VALU_DEP_4) | instskip(NEXT) | instid1(VALU_DEP_3)
	v_cndmask_b32_e64 v32, v32, 2, s5
	v_xor_b32_e32 v29, 0x80000000, v29
.LBB9_259:                              ;   in Loop: Header=BB9_161 Depth=1
	s_and_not1_saveexec_b32 s6, s33
; %bb.260:                              ;   in Loop: Header=BB9_161 Depth=1
	v_sub_f32_e64 v29, 2.0, |v25|
	v_add_f32_e64 v31, 0xbfbb16c3, |v25|
	v_cmp_gt_f32_e64 s5, 0x3fdda512, |v25|
	v_add_f32_e64 v32, |v25|, -1.0
	s_delay_alu instid0(VALU_DEP_2) | instskip(SKIP_2) | instid1(VALU_DEP_2)
	v_cndmask_b32_e64 v31, v29, v31, s5
	v_cndmask_b32_e64 v29, v29, 1.0, s5
	v_cmp_gt_f32_e64 s5, 0x3f9d70a4, |v25|
	v_cvt_i32_f32_e32 v29, v29
	s_delay_alu instid0(VALU_DEP_2) | instskip(NEXT) | instid1(VALU_DEP_2)
	v_cndmask_b32_e64 v31, v31, v32, s5
	v_cndmask_b32_e64 v32, v29, 2, s5
	v_mov_b32_e32 v29, 0
; %bb.261:                              ;   in Loop: Header=BB9_161 Depth=1
	s_or_b32 exec_lo, exec_lo, s6
	s_delay_alu instid0(SALU_CYCLE_1) | instskip(NEXT) | instid1(VALU_DEP_2)
	s_mov_b32 s6, exec_lo
	v_cmpx_lt_i32_e32 0, v32
	s_xor_b32 s6, exec_lo, s6
	s_cbranch_execz .LBB9_269
; %bb.262:                              ;   in Loop: Header=BB9_161 Depth=1
	s_mov_b32 s33, exec_lo
	v_cmpx_lt_i32_e32 1, v32
	s_xor_b32 s33, exec_lo, s33
	s_cbranch_execz .LBB9_266
; %bb.263:                              ;   in Loop: Header=BB9_161 Depth=1
	s_mov_b32 s34, exec_lo
	v_cmpx_eq_u32_e32 2, v32
	s_cbranch_execz .LBB9_265
; %bb.264:                              ;   in Loop: Header=BB9_161 Depth=1
	v_fmaak_f32 v33, s22, v31, 0x3e6a7578
	s_delay_alu instid0(VALU_DEP_1) | instskip(NEXT) | instid1(VALU_DEP_1)
	v_fmaak_f32 v33, v31, v33, 0x3f7a4bb2
	v_fmaak_f32 v33, v31, v33, 0x3fba3ae7
	s_delay_alu instid0(VALU_DEP_1) | instskip(NEXT) | instid1(VALU_DEP_1)
	v_fmaak_f32 v33, v31, v33, 0x3f2200f4
	v_fmaak_f32 v33, v31, v33, 0xbd9e233f
	s_delay_alu instid0(VALU_DEP_1) | instskip(NEXT) | instid1(VALU_DEP_1)
	v_dual_fmaak_f32 v32, s23, v31, 0x3dd572af :: v_dual_mul_f32 v33, v31, v33
	v_fmaak_f32 v32, v31, v32, 0x3f44efdf
	s_delay_alu instid0(VALU_DEP_1) | instskip(NEXT) | instid1(VALU_DEP_1)
	v_fmaak_f32 v32, v31, v32, 0x4008392d
	v_fmaak_f32 v32, v31, v32, 0x401d2ebe
	s_delay_alu instid0(VALU_DEP_1) | instskip(NEXT) | instid1(VALU_DEP_1)
	v_fma_f32 v32, v31, v32, 1.0
	v_rcp_f32_e32 v32, v32
	s_waitcnt_depctr 0xfff
	v_mul_f32_e32 v32, v33, v32
	s_delay_alu instid0(VALU_DEP_1) | instskip(NEXT) | instid1(VALU_DEP_1)
	v_fmac_f32_e32 v32, -0.5, v31
	v_add_f32_e32 v29, v29, v32
.LBB9_265:                              ;   in Loop: Header=BB9_161 Depth=1
	s_or_b32 exec_lo, exec_lo, s34
                                        ; implicit-def: $vgpr31
.LBB9_266:                              ;   in Loop: Header=BB9_161 Depth=1
	s_and_not1_saveexec_b32 s5, s33
	s_cbranch_execz .LBB9_268
; %bb.267:                              ;   in Loop: Header=BB9_161 Depth=1
	v_mul_f32_e32 v32, v31, v31
	s_delay_alu instid0(VALU_DEP_1) | instskip(NEXT) | instid1(VALU_DEP_1)
	v_mul_f32_e32 v33, v31, v32
	v_fmaak_f32 v35, s26, v33, 0xba0d3085
	v_fmaak_f32 v34, s25, v33, 0x3a66f867
	;; [unrolled: 1-line block ×3, first 2 shown]
	s_delay_alu instid0(VALU_DEP_3) | instskip(NEXT) | instid1(VALU_DEP_3)
	v_fmaak_f32 v35, v33, v35, 0x3b141699
	v_fmaak_f32 v34, v33, v34, 0xbb7177fe
	s_delay_alu instid0(VALU_DEP_3) | instskip(NEXT) | instid1(VALU_DEP_3)
	v_fmaak_f32 v36, v33, v36, 0x3bc7e707
	v_fmaak_f32 v35, v33, v35, 0xbc28fcfe
	;; [unrolled: 3-line block ×4, first 2 shown]
	s_delay_alu instid0(VALU_DEP_1) | instskip(NEXT) | instid1(VALU_DEP_1)
	v_dual_fmac_f32 v34, v31, v35 :: v_dual_fmaak_f32 v31, v33, v36, 0x3ef7b95e
	v_fma_f32 v33, v33, -v34, 0xa2863e55
	s_delay_alu instid0(VALU_DEP_1) | instskip(NEXT) | instid1(VALU_DEP_1)
	v_fma_f32 v31, v32, v31, -v33
	v_add_f32_e32 v31, 0xbdf8cdce, v31
	s_delay_alu instid0(VALU_DEP_1)
	v_add_f32_e32 v29, v29, v31
.LBB9_268:                              ;   in Loop: Header=BB9_161 Depth=1
	s_or_b32 exec_lo, exec_lo, s5
                                        ; implicit-def: $vgpr32
                                        ; implicit-def: $vgpr31
.LBB9_269:                              ;   in Loop: Header=BB9_161 Depth=1
	s_and_not1_saveexec_b32 s6, s6
	s_cbranch_execz .LBB9_273
; %bb.270:                              ;   in Loop: Header=BB9_161 Depth=1
	s_mov_b32 s33, exec_lo
	v_cmpx_eq_u32_e32 0, v32
	s_cbranch_execz .LBB9_272
; %bb.271:                              ;   in Loop: Header=BB9_161 Depth=1
	v_mul_f32_e32 v32, v31, v31
	s_delay_alu instid0(VALU_DEP_1) | instskip(NEXT) | instid1(VALU_DEP_1)
	v_fmaak_f32 v34, s27, v32, 0x39679767
	v_fmaak_f32 v34, v32, v34, 0x3a9c54a1
	s_delay_alu instid0(VALU_DEP_1) | instskip(NEXT) | instid1(VALU_DEP_1)
	v_fmaak_f32 v34, v32, v34, 0x3bf2027e
	v_fmaak_f32 v34, v32, v34, 0x3d89f001
	s_delay_alu instid0(VALU_DEP_1) | instskip(SKIP_1) | instid1(VALU_DEP_1)
	v_fmaak_f32 v34, v32, v34, 0x3d9e233f
	v_fmaak_f32 v33, s28, v32, 0x38e28445
	;; [unrolled: 1-line block ×3, first 2 shown]
	s_delay_alu instid0(VALU_DEP_1) | instskip(NEXT) | instid1(VALU_DEP_1)
	v_fmaak_f32 v33, v32, v33, 0x3b3d6ec6
	v_fmaak_f32 v33, v32, v33, 0x3ca89915
	s_delay_alu instid0(VALU_DEP_1) | instskip(NEXT) | instid1(VALU_DEP_1)
	v_fmaak_f32 v33, v32, v33, 0x3ea51a66
	v_mul_f32_e32 v32, v32, v33
	s_delay_alu instid0(VALU_DEP_1) | instskip(NEXT) | instid1(VALU_DEP_1)
	v_fmac_f32_e32 v32, v31, v34
	v_fmac_f32_e32 v32, -0.5, v31
	s_delay_alu instid0(VALU_DEP_1)
	v_add_f32_e32 v29, v29, v32
.LBB9_272:                              ;   in Loop: Header=BB9_161 Depth=1
	s_or_b32 exec_lo, exec_lo, s33
.LBB9_273:                              ;   in Loop: Header=BB9_161 Depth=1
	s_delay_alu instid0(SALU_CYCLE_1)
	s_or_b32 exec_lo, exec_lo, s6
.LBB9_274:                              ;   in Loop: Header=BB9_161 Depth=1
	s_delay_alu instid0(SALU_CYCLE_1)
	s_or_b32 exec_lo, exec_lo, s8
.LBB9_275:                              ;   in Loop: Header=BB9_161 Depth=1
	s_and_not1_saveexec_b32 s6, s7
	s_cbranch_execz .LBB9_277
; %bb.276:                              ;   in Loop: Header=BB9_161 Depth=1
	v_cmp_gt_f32_e64 s7, 0x800000, |v25|
	v_fma_f32 v33, |v25|, s29, 0xbecd26ab
	s_delay_alu instid0(VALU_DEP_2) | instskip(NEXT) | instid1(VALU_DEP_1)
	v_cndmask_b32_e64 v29, 1.0, 0x4f800000, s7
	v_mul_f32_e64 v29, |v25|, v29
	s_delay_alu instid0(VALU_DEP_1) | instskip(SKIP_3) | instid1(VALU_DEP_2)
	v_log_f32_e32 v29, v29
	s_waitcnt_depctr 0xfff
	v_mul_f32_e32 v31, 0x3f317217, v29
	v_cmp_gt_f32_e64 s5, 0x7f800000, |v29|
	v_fma_f32 v32, 0x3f317217, v29, -v31
	s_delay_alu instid0(VALU_DEP_1) | instskip(NEXT) | instid1(VALU_DEP_1)
	v_fmac_f32_e32 v32, 0x3377d1cf, v29
	v_add_f32_e32 v31, v31, v32
	v_fma_f32 v32, |v25|, v33, 0x3f528d33
	s_delay_alu instid0(VALU_DEP_2) | instskip(SKIP_1) | instid1(VALU_DEP_3)
	v_cndmask_b32_e64 v29, v29, v31, s5
	v_cndmask_b32_e64 v31, 0, 0x41b17218, s7
	v_fma_f32 v32, |v25|, v32, 0xbf13c468
	s_delay_alu instid0(VALU_DEP_2) | instskip(NEXT) | instid1(VALU_DEP_1)
	v_sub_f32_e32 v29, v29, v31
	v_fma_f32 v29, |v25|, v32, -v29
.LBB9_277:                              ;   in Loop: Header=BB9_161 Depth=1
	s_or_b32 exec_lo, exec_lo, s6
	v_cmp_le_f32_e64 s5, 0, v25
	s_mov_b32 s7, exec_lo
	v_cmpx_nle_f32_e32 0, v25
	s_xor_b32 s8, exec_lo, s7
	s_cbranch_execz .LBB9_281
; %bb.278:                              ;   in Loop: Header=BB9_161 Depth=1
	v_cmp_gt_f32_e64 s6, 0x4b000000, |v25|
	v_cmp_lt_f32_e64 s7, 0x35000000, |v25|
	s_delay_alu instid0(VALU_DEP_1) | instskip(NEXT) | instid1(SALU_CYCLE_1)
	s_and_b32 s6, s6, s7
	s_and_saveexec_b32 s33, s6
	s_cbranch_execz .LBB9_280
; %bb.279:                              ;   in Loop: Header=BB9_161 Depth=1
	v_mul_f32_e64 v31, |v25|, 0.5
	v_xor_b32_e32 v30, v30, v25
	s_delay_alu instid0(VALU_DEP_2) | instskip(SKIP_1) | instid1(VALU_DEP_2)
	v_floor_f32_e32 v32, v31
	v_cmp_neq_f32_e64 s6, 0x7f800000, v31
	v_sub_f32_e32 v32, v31, v32
	s_delay_alu instid0(VALU_DEP_1) | instskip(NEXT) | instid1(VALU_DEP_1)
	v_min_f32_e32 v32, 0x3f7fffff, v32
	v_add_f32_e32 v32, v32, v32
	s_delay_alu instid0(VALU_DEP_1) | instskip(SKIP_1) | instid1(VALU_DEP_1)
	v_cndmask_b32_e64 v31, 0, v32, s6
	v_cmp_gt_f32_e64 s6, |v25|, 1.0
	v_cndmask_b32_e64 v31, |v25|, v31, s6
	s_delay_alu instid0(VALU_DEP_1) | instskip(NEXT) | instid1(VALU_DEP_1)
	v_add_f32_e32 v32, v31, v31
	v_rndne_f32_e32 v32, v32
	s_delay_alu instid0(VALU_DEP_1) | instskip(SKIP_1) | instid1(VALU_DEP_2)
	v_fmac_f32_e32 v31, -0.5, v32
	v_cvt_i32_f32_e32 v32, v32
	v_mul_f32_e32 v33, v31, v31
	s_delay_alu instid0(VALU_DEP_1) | instskip(SKIP_1) | instid1(VALU_DEP_2)
	v_fmaak_f32 v34, s30, v33, 0xbf1f24be
	v_fmaak_f32 v35, s31, v33, 0x3e642e9d
	;; [unrolled: 1-line block ×3, first 2 shown]
	s_delay_alu instid0(VALU_DEP_2) | instskip(NEXT) | instid1(VALU_DEP_2)
	v_dual_fmaak_f32 v35, v33, v35, 0xbfaad1da :: v_dual_mul_f32 v36, v31, v33
	v_fmaak_f32 v34, v33, v34, 0xc0a55e0e
	s_delay_alu instid0(VALU_DEP_1) | instskip(NEXT) | instid1(VALU_DEP_1)
	v_dual_fmaak_f32 v35, v33, v35, 0x4081e0d3 :: v_dual_mul_f32 v34, v36, v34
	v_dual_fmaak_f32 v35, v33, v35, 0xc09de9e6 :: v_dual_and_b32 v36, 1, v32
	v_lshlrev_b32_e32 v32, 30, v32
	s_delay_alu instid0(VALU_DEP_3) | instskip(NEXT) | instid1(VALU_DEP_3)
	v_fmac_f32_e32 v34, 0x40490fdb, v31
	v_fma_f32 v31, v33, v35, 1.0
	s_delay_alu instid0(VALU_DEP_4) | instskip(NEXT) | instid1(VALU_DEP_4)
	v_cmp_eq_u32_e64 s6, 0, v36
	v_and_b32_e32 v32, 0x80000000, v32
	s_delay_alu instid0(VALU_DEP_2) | instskip(NEXT) | instid1(VALU_DEP_1)
	v_cndmask_b32_e64 v31, v31, v34, s6
	v_xor3_b32 v30, v30, v32, v31
	s_delay_alu instid0(VALU_DEP_1) | instskip(NEXT) | instid1(VALU_DEP_1)
	v_mul_f32_e32 v30, v25, v30
	v_frexp_mant_f32_e64 v31, |v30|
	v_frexp_exp_i32_f32_e32 v30, v30
	s_delay_alu instid0(VALU_DEP_2) | instskip(NEXT) | instid1(VALU_DEP_1)
	v_rcp_f32_e32 v31, v31
	v_sub_nc_u32_e32 v30, 2, v30
	s_waitcnt_depctr 0xfff
	v_mul_f32_e32 v31, 0x3f490fdb, v31
	s_delay_alu instid0(VALU_DEP_1) | instskip(NEXT) | instid1(VALU_DEP_1)
	v_ldexp_f32 v30, v31, v30
	v_cmp_gt_f32_e64 s6, 0x800000, v30
	s_delay_alu instid0(VALU_DEP_1) | instskip(NEXT) | instid1(VALU_DEP_1)
	v_cndmask_b32_e64 v31, 1.0, 0x4f800000, s6
	v_mul_f32_e32 v30, v30, v31
	s_delay_alu instid0(VALU_DEP_1) | instskip(SKIP_3) | instid1(VALU_DEP_2)
	v_log_f32_e32 v30, v30
	s_waitcnt_depctr 0xfff
	v_mul_f32_e32 v31, 0x3f317217, v30
	v_cmp_gt_f32_e64 s7, 0x7f800000, |v30|
	v_fma_f32 v32, 0x3f317217, v30, -v31
	s_delay_alu instid0(VALU_DEP_1) | instskip(NEXT) | instid1(VALU_DEP_1)
	v_fmac_f32_e32 v32, 0x3377d1cf, v30
	v_add_f32_e32 v31, v31, v32
	v_floor_f32_e32 v32, v25
	s_delay_alu instid0(VALU_DEP_2) | instskip(SKIP_1) | instid1(VALU_DEP_3)
	v_cndmask_b32_e64 v30, v30, v31, s7
	v_cndmask_b32_e64 v31, 0, 0x41b17218, s6
	v_sub_f32_e32 v32, v25, v32
	s_delay_alu instid0(VALU_DEP_1) | instskip(NEXT) | instid1(VALU_DEP_1)
	v_dual_sub_f32 v30, v30, v31 :: v_dual_min_f32 v31, 0x3f7fffff, v32
	v_sub_f32_e32 v29, v30, v29
	s_delay_alu instid0(VALU_DEP_2) | instskip(NEXT) | instid1(VALU_DEP_1)
	v_cmp_neq_f32_e64 s6, 0, v31
	v_cndmask_b32_e64 v29, 0x7f800000, v29, s6
.LBB9_280:                              ;   in Loop: Header=BB9_161 Depth=1
	s_or_b32 exec_lo, exec_lo, s33
.LBB9_281:                              ;   in Loop: Header=BB9_161 Depth=1
	s_and_not1_saveexec_b32 s8, s8
; %bb.282:                              ;   in Loop: Header=BB9_161 Depth=1
	v_cmp_eq_f32_e64 s6, 1.0, v25
	v_cmp_eq_f32_e64 s7, 2.0, v25
	s_delay_alu instid0(VALU_DEP_1) | instskip(NEXT) | instid1(SALU_CYCLE_1)
	s_or_b32 s6, s6, s7
	v_cndmask_b32_e64 v29, v29, 0, s6
; %bb.283:                              ;   in Loop: Header=BB9_161 Depth=1
	s_or_b32 exec_lo, exec_lo, s8
	v_and_b32_e32 v30, 0x7fffffff, v23
                                        ; implicit-def: $vgpr31
	s_mov_b32 s7, exec_lo
	v_cmpx_ngt_f32_e64 0x3c800000, |v23|
	s_xor_b32 s8, exec_lo, s7
	s_cbranch_execz .LBB9_313
; %bb.284:                              ;   in Loop: Header=BB9_161 Depth=1
                                        ; implicit-def: $vgpr31
	s_mov_b32 s7, exec_lo
	v_cmpx_nlt_f32_e64 |v23|, 2.0
	s_xor_b32 s33, exec_lo, s7
	s_cbranch_execz .LBB9_294
; %bb.285:                              ;   in Loop: Header=BB9_161 Depth=1
	s_mov_b32 s7, exec_lo
                                        ; implicit-def: $vgpr31
	v_cmpx_ngt_f32_e64 0x41000000, |v23|
	s_xor_b32 s7, exec_lo, s7
	s_cbranch_execz .LBB9_291
; %bb.286:                              ;   in Loop: Header=BB9_161 Depth=1
	s_mov_b32 s34, exec_lo
                                        ; implicit-def: $vgpr31
	v_cmpx_ngt_f32_e64 0x5c800000, |v23|
	s_xor_b32 s34, exec_lo, s34
	s_cbranch_execz .LBB9_288
; %bb.287:                              ;   in Loop: Header=BB9_161 Depth=1
	v_cmp_gt_f32_e64 s35, 0x800000, |v23|
	s_delay_alu instid0(VALU_DEP_1) | instskip(NEXT) | instid1(VALU_DEP_1)
	v_cndmask_b32_e64 v31, 1.0, 0x4f800000, s35
	v_mul_f32_e64 v31, |v23|, v31
	s_delay_alu instid0(VALU_DEP_1) | instskip(SKIP_3) | instid1(VALU_DEP_2)
	v_log_f32_e32 v31, v31
	s_waitcnt_depctr 0xfff
	v_mul_f32_e32 v32, 0x3f317217, v31
	v_cmp_gt_f32_e64 s6, 0x7f800000, |v31|
	v_fma_f32 v33, 0x3f317217, v31, -v32
	s_delay_alu instid0(VALU_DEP_1) | instskip(NEXT) | instid1(VALU_DEP_1)
	v_fmac_f32_e32 v33, 0x3377d1cf, v31
	v_add_f32_e32 v32, v32, v33
	s_delay_alu instid0(VALU_DEP_1) | instskip(SKIP_1) | instid1(VALU_DEP_1)
	v_cndmask_b32_e64 v31, v31, v32, s6
	v_cndmask_b32_e64 v32, 0, 0x41b17218, s35
	v_sub_f32_e32 v31, v31, v32
	s_delay_alu instid0(VALU_DEP_1)
	v_fma_f32 v31, |v23|, v31, -|v23|
.LBB9_288:                              ;   in Loop: Header=BB9_161 Depth=1
	s_and_not1_saveexec_b32 s34, s34
	s_cbranch_execz .LBB9_290
; %bb.289:                              ;   in Loop: Header=BB9_161 Depth=1
	v_cmp_gt_f32_e64 s35, 0x800000, |v23|
	v_rcp_f32_e64 v32, |v23|
	s_delay_alu instid0(VALU_DEP_1) | instskip(NEXT) | instid1(VALU_DEP_1)
	v_cndmask_b32_e64 v31, 1.0, 0x4f800000, s35
	v_mul_f32_e64 v31, |v23|, v31
	s_delay_alu instid0(VALU_DEP_1) | instskip(SKIP_3) | instid1(VALU_DEP_2)
	v_log_f32_e32 v31, v31
	s_waitcnt_depctr 0xfff
	v_dual_mul_f32 v33, v32, v32 :: v_dual_mul_f32 v34, 0x3f317217, v31
	v_cmp_gt_f32_e64 s6, 0x7f800000, |v31|
	v_fma_f32 v36, 0x3f317217, v31, -v34
	s_delay_alu instid0(VALU_DEP_1) | instskip(NEXT) | instid1(VALU_DEP_1)
	v_fmac_f32_e32 v36, 0x3377d1cf, v31
	v_dual_fmaak_f32 v35, s9, v33, 0x3a5b3dd2 :: v_dual_add_f32 v34, v34, v36
	s_delay_alu instid0(VALU_DEP_1) | instskip(SKIP_1) | instid1(VALU_DEP_1)
	v_cndmask_b32_e64 v31, v31, v34, s6
	v_cndmask_b32_e64 v34, 0, 0x41b17218, s35
	v_dual_fmaak_f32 v35, v33, v35, 0xba1c065c :: v_dual_sub_f32 v34, v31, v34
	s_delay_alu instid0(VALU_DEP_1) | instskip(NEXT) | instid1(VALU_DEP_1)
	v_fmaak_f32 v35, v33, v35, 0x3a500cfd
	v_fmaak_f32 v35, v33, v35, 0xbb360b61
	s_delay_alu instid0(VALU_DEP_1) | instskip(NEXT) | instid1(VALU_DEP_1)
	v_fmaak_f32 v33, v33, v35, 0x3daaaaab
	v_fmaak_f32 v31, v32, v33, 0x3ed67f1d
	v_add_f32_e64 v32, |v23|, -0.5
	v_add_f32_e32 v33, -1.0, v34
	s_delay_alu instid0(VALU_DEP_1)
	v_fmac_f32_e32 v31, v32, v33
.LBB9_290:                              ;   in Loop: Header=BB9_161 Depth=1
	s_or_b32 exec_lo, exec_lo, s34
.LBB9_291:                              ;   in Loop: Header=BB9_161 Depth=1
	s_and_not1_saveexec_b32 s34, s7
	s_cbranch_execz .LBB9_293
; %bb.292:                              ;   in Loop: Header=BB9_161 Depth=1
	v_cvt_i32_f32_e32 v31, v30
	s_delay_alu instid0(VALU_DEP_1) | instskip(SKIP_1) | instid1(VALU_DEP_2)
	v_cvt_f32_i32_e32 v32, v31
	v_cmp_lt_i32_e64 s6, 2, v31
	v_sub_f32_e64 v32, |v23|, v32
	s_delay_alu instid0(VALU_DEP_1) | instskip(SKIP_2) | instid1(VALU_DEP_3)
	v_add_f32_e32 v33, 2.0, v32
	v_add_f32_e32 v34, 0x40400000, v32
	v_add_f32_e32 v35, 4.0, v32
	v_cndmask_b32_e64 v33, 1.0, v33, s6
	v_cmp_lt_i32_e64 s6, 3, v31
	s_delay_alu instid0(VALU_DEP_1) | instskip(SKIP_1) | instid1(VALU_DEP_2)
	v_cndmask_b32_e64 v34, 1.0, v34, s6
	v_cmp_lt_i32_e64 s6, 4, v31
	v_dual_add_f32 v36, 0x40a00000, v32 :: v_dual_mul_f32 v33, v33, v34
	s_delay_alu instid0(VALU_DEP_2) | instskip(SKIP_1) | instid1(VALU_DEP_2)
	v_cndmask_b32_e64 v35, 1.0, v35, s6
	v_cmp_lt_i32_e64 s6, 5, v31
	v_mul_f32_e32 v33, v35, v33
	s_delay_alu instid0(VALU_DEP_2) | instskip(SKIP_3) | instid1(VALU_DEP_4)
	v_cndmask_b32_e64 v36, 1.0, v36, s6
	v_add_f32_e32 v34, 0x40c00000, v32
	v_cmp_lt_i32_e64 s6, 6, v31
	v_fmaak_f32 v35, s20, v32, 0x3af135b4
	v_mul_f32_e32 v33, v36, v33
	s_delay_alu instid0(VALU_DEP_3) | instskip(NEXT) | instid1(VALU_DEP_1)
	v_cndmask_b32_e64 v31, 1.0, v34, s6
	v_mul_f32_e32 v31, v31, v33
	s_delay_alu instid0(VALU_DEP_1) | instskip(NEXT) | instid1(VALU_DEP_1)
	v_cmp_gt_f32_e64 s6, 0x800000, v31
	v_cndmask_b32_e64 v34, 1.0, 0x4f800000, s6
	s_delay_alu instid0(VALU_DEP_1) | instskip(NEXT) | instid1(VALU_DEP_1)
	v_dual_mul_f32 v31, v31, v34 :: v_dual_fmaak_f32 v34, v32, v35, 0x3cda40e4
	v_log_f32_e32 v31, v31
	s_delay_alu instid0(VALU_DEP_1) | instskip(NEXT) | instid1(VALU_DEP_1)
	v_fmaak_f32 v34, v32, v34, 0x3e15dce6
	v_fmaak_f32 v34, v32, v34, 0x3ea6cc7a
	s_waitcnt_depctr 0xfff
	v_mul_f32_e32 v35, 0x3f317217, v31
	v_cmp_gt_f32_e64 s7, 0x7f800000, |v31|
	s_delay_alu instid0(VALU_DEP_2) | instskip(NEXT) | instid1(VALU_DEP_1)
	v_fma_f32 v36, 0x3f317217, v31, -v35
	v_fmac_f32_e32 v36, 0x3377d1cf, v31
	s_delay_alu instid0(VALU_DEP_1) | instskip(NEXT) | instid1(VALU_DEP_1)
	v_dual_fmaak_f32 v34, v32, v34, 0x3e5c245a :: v_dual_add_f32 v35, v35, v36
	v_fmaak_f32 v34, v32, v34, 0xbd9e233f
	v_fmaak_f32 v33, s21, v32, 0x3a4beed6
	s_delay_alu instid0(VALU_DEP_3) | instskip(NEXT) | instid1(VALU_DEP_3)
	v_cndmask_b32_e64 v31, v31, v35, s7
	v_mul_f32_e32 v34, v32, v34
	s_delay_alu instid0(VALU_DEP_3) | instskip(NEXT) | instid1(VALU_DEP_1)
	v_fmaak_f32 v33, v32, v33, 0x3c98bf54
	v_fmaak_f32 v33, v32, v33, 0x3e300f6e
	s_delay_alu instid0(VALU_DEP_1) | instskip(NEXT) | instid1(VALU_DEP_1)
	v_fmaak_f32 v33, v32, v33, 0x3f38d0c5
	v_fmaak_f32 v33, v32, v33, 0x3fb22d3b
	s_delay_alu instid0(VALU_DEP_1) | instskip(NEXT) | instid1(VALU_DEP_1)
	v_fma_f32 v33, v32, v33, 1.0
	v_rcp_f32_e32 v33, v33
	s_waitcnt_depctr 0xfff
	v_mul_f32_e32 v33, v34, v33
	v_cndmask_b32_e64 v34, 0, 0x41b17218, s6
	s_delay_alu instid0(VALU_DEP_2) | instskip(NEXT) | instid1(VALU_DEP_2)
	v_fmac_f32_e32 v33, 0.5, v32
	v_sub_f32_e32 v31, v31, v34
	s_delay_alu instid0(VALU_DEP_1)
	v_add_f32_e32 v31, v31, v33
.LBB9_293:                              ;   in Loop: Header=BB9_161 Depth=1
	s_or_b32 exec_lo, exec_lo, s34
.LBB9_294:                              ;   in Loop: Header=BB9_161 Depth=1
	s_and_not1_saveexec_b32 s33, s33
	s_cbranch_execz .LBB9_312
; %bb.295:                              ;   in Loop: Header=BB9_161 Depth=1
                                        ; implicit-def: $vgpr31
                                        ; implicit-def: $vgpr33
                                        ; implicit-def: $vgpr32
	s_mov_b32 s7, exec_lo
	v_cmpx_ge_f32_e64 0x3f666666, |v23|
	s_xor_b32 s34, exec_lo, s7
	s_cbranch_execz .LBB9_297
; %bb.296:                              ;   in Loop: Header=BB9_161 Depth=1
	v_cmp_gt_f32_e64 s7, 0x800000, |v23|
	v_sub_f32_e64 v34, 1.0, |v23|
	v_cmp_gt_f32_e64 s6, 0x3f3b4a23, |v23|
	s_delay_alu instid0(VALU_DEP_3) | instskip(SKIP_1) | instid1(VALU_DEP_2)
	v_cndmask_b32_e64 v31, 1.0, 0x4f800000, s7
	v_cndmask_b32_e64 v35, 0, 0x41b17218, s7
	v_mul_f32_e64 v31, |v23|, v31
	s_delay_alu instid0(VALU_DEP_1) | instskip(SKIP_3) | instid1(VALU_DEP_2)
	v_log_f32_e32 v31, v31
	s_waitcnt_depctr 0xfff
	v_mul_f32_e32 v32, 0x3f317217, v31
	v_cmp_gt_f32_e64 s7, 0x7f800000, |v31|
	v_fma_f32 v33, 0x3f317217, v31, -v32
	s_delay_alu instid0(VALU_DEP_1) | instskip(NEXT) | instid1(VALU_DEP_1)
	v_fmac_f32_e32 v33, 0x3377d1cf, v31
	v_add_f32_e32 v32, v32, v33
	v_add_f32_e64 v33, 0xbeec5b0c, |v23|
	s_delay_alu instid0(VALU_DEP_2) | instskip(NEXT) | instid1(VALU_DEP_2)
	v_cndmask_b32_e64 v31, v31, v32, s7
	v_cndmask_b32_e64 v32, v34, v33, s6
	;; [unrolled: 1-line block ×3, first 2 shown]
	v_cmp_gt_f32_e64 s6, 0x3e6d3309, |v23|
	s_delay_alu instid0(VALU_DEP_4) | instskip(NEXT) | instid1(VALU_DEP_2)
	v_sub_f32_e32 v31, v31, v35
	v_cndmask_b32_e64 v32, v32, |v23|, s6
	s_delay_alu instid0(VALU_DEP_4) | instskip(NEXT) | instid1(VALU_DEP_3)
	v_cndmask_b32_e64 v33, v33, 2, s6
	v_xor_b32_e32 v31, 0x80000000, v31
.LBB9_297:                              ;   in Loop: Header=BB9_161 Depth=1
	s_and_not1_saveexec_b32 s7, s34
; %bb.298:                              ;   in Loop: Header=BB9_161 Depth=1
	v_sub_f32_e64 v31, 2.0, |v23|
	v_add_f32_e64 v32, 0xbfbb16c3, |v23|
	v_cmp_gt_f32_e64 s6, 0x3fdda512, |v23|
	v_add_f32_e64 v33, |v23|, -1.0
	s_delay_alu instid0(VALU_DEP_2) | instskip(SKIP_2) | instid1(VALU_DEP_2)
	v_cndmask_b32_e64 v32, v31, v32, s6
	v_cndmask_b32_e64 v31, v31, 1.0, s6
	v_cmp_gt_f32_e64 s6, 0x3f9d70a4, |v23|
	v_cvt_i32_f32_e32 v31, v31
	s_delay_alu instid0(VALU_DEP_2) | instskip(NEXT) | instid1(VALU_DEP_2)
	v_cndmask_b32_e64 v32, v32, v33, s6
	v_cndmask_b32_e64 v33, v31, 2, s6
	v_mov_b32_e32 v31, 0
; %bb.299:                              ;   in Loop: Header=BB9_161 Depth=1
	s_or_b32 exec_lo, exec_lo, s7
	s_delay_alu instid0(SALU_CYCLE_1) | instskip(NEXT) | instid1(VALU_DEP_2)
	s_mov_b32 s7, exec_lo
	v_cmpx_lt_i32_e32 0, v33
	s_xor_b32 s7, exec_lo, s7
	s_cbranch_execz .LBB9_307
; %bb.300:                              ;   in Loop: Header=BB9_161 Depth=1
	s_mov_b32 s34, exec_lo
	v_cmpx_lt_i32_e32 1, v33
	s_xor_b32 s34, exec_lo, s34
	s_cbranch_execz .LBB9_304
; %bb.301:                              ;   in Loop: Header=BB9_161 Depth=1
	s_mov_b32 s35, exec_lo
	v_cmpx_eq_u32_e32 2, v33
	s_cbranch_execz .LBB9_303
; %bb.302:                              ;   in Loop: Header=BB9_161 Depth=1
	v_fmaak_f32 v34, s22, v32, 0x3e6a7578
	s_delay_alu instid0(VALU_DEP_1) | instskip(NEXT) | instid1(VALU_DEP_1)
	v_fmaak_f32 v34, v32, v34, 0x3f7a4bb2
	v_fmaak_f32 v34, v32, v34, 0x3fba3ae7
	s_delay_alu instid0(VALU_DEP_1) | instskip(NEXT) | instid1(VALU_DEP_1)
	v_fmaak_f32 v34, v32, v34, 0x3f2200f4
	v_fmaak_f32 v34, v32, v34, 0xbd9e233f
	s_delay_alu instid0(VALU_DEP_1) | instskip(NEXT) | instid1(VALU_DEP_1)
	v_dual_fmaak_f32 v33, s23, v32, 0x3dd572af :: v_dual_mul_f32 v34, v32, v34
	v_fmaak_f32 v33, v32, v33, 0x3f44efdf
	s_delay_alu instid0(VALU_DEP_1) | instskip(NEXT) | instid1(VALU_DEP_1)
	v_fmaak_f32 v33, v32, v33, 0x4008392d
	v_fmaak_f32 v33, v32, v33, 0x401d2ebe
	s_delay_alu instid0(VALU_DEP_1) | instskip(NEXT) | instid1(VALU_DEP_1)
	v_fma_f32 v33, v32, v33, 1.0
	v_rcp_f32_e32 v33, v33
	s_waitcnt_depctr 0xfff
	v_mul_f32_e32 v33, v34, v33
	s_delay_alu instid0(VALU_DEP_1) | instskip(NEXT) | instid1(VALU_DEP_1)
	v_fmac_f32_e32 v33, -0.5, v32
	v_add_f32_e32 v31, v31, v33
.LBB9_303:                              ;   in Loop: Header=BB9_161 Depth=1
	s_or_b32 exec_lo, exec_lo, s35
                                        ; implicit-def: $vgpr32
.LBB9_304:                              ;   in Loop: Header=BB9_161 Depth=1
	s_and_not1_saveexec_b32 s6, s34
	s_cbranch_execz .LBB9_306
; %bb.305:                              ;   in Loop: Header=BB9_161 Depth=1
	v_mul_f32_e32 v33, v32, v32
	s_delay_alu instid0(VALU_DEP_1) | instskip(NEXT) | instid1(VALU_DEP_1)
	v_mul_f32_e32 v34, v32, v33
	v_fmaak_f32 v35, s25, v34, 0x3a66f867
	v_fmaak_f32 v36, s26, v34, 0xba0d3085
	;; [unrolled: 1-line block ×3, first 2 shown]
	s_delay_alu instid0(VALU_DEP_3) | instskip(NEXT) | instid1(VALU_DEP_3)
	v_fmaak_f32 v35, v34, v35, 0xbb7177fe
	v_fmaak_f32 v36, v34, v36, 0x3b141699
	s_delay_alu instid0(VALU_DEP_3) | instskip(NEXT) | instid1(VALU_DEP_3)
	v_fmaak_f32 v37, v34, v37, 0x3bc7e707
	v_fmaak_f32 v35, v34, v35, 0x3c93373d
	;; [unrolled: 3-line block ×4, first 2 shown]
	s_delay_alu instid0(VALU_DEP_1) | instskip(NEXT) | instid1(VALU_DEP_1)
	v_dual_fmac_f32 v35, v32, v36 :: v_dual_fmaak_f32 v32, v34, v37, 0x3ef7b95e
	v_fma_f32 v34, v34, -v35, 0xa2863e55
	s_delay_alu instid0(VALU_DEP_1) | instskip(NEXT) | instid1(VALU_DEP_1)
	v_fma_f32 v32, v33, v32, -v34
	v_add_f32_e32 v32, 0xbdf8cdce, v32
	s_delay_alu instid0(VALU_DEP_1)
	v_add_f32_e32 v31, v31, v32
.LBB9_306:                              ;   in Loop: Header=BB9_161 Depth=1
	s_or_b32 exec_lo, exec_lo, s6
                                        ; implicit-def: $vgpr33
                                        ; implicit-def: $vgpr32
.LBB9_307:                              ;   in Loop: Header=BB9_161 Depth=1
	s_and_not1_saveexec_b32 s7, s7
	s_cbranch_execz .LBB9_311
; %bb.308:                              ;   in Loop: Header=BB9_161 Depth=1
	s_mov_b32 s34, exec_lo
	v_cmpx_eq_u32_e32 0, v33
	s_cbranch_execz .LBB9_310
; %bb.309:                              ;   in Loop: Header=BB9_161 Depth=1
	v_mul_f32_e32 v33, v32, v32
	s_delay_alu instid0(VALU_DEP_1) | instskip(NEXT) | instid1(VALU_DEP_1)
	v_fmaak_f32 v35, s27, v33, 0x39679767
	v_fmaak_f32 v35, v33, v35, 0x3a9c54a1
	s_delay_alu instid0(VALU_DEP_1) | instskip(NEXT) | instid1(VALU_DEP_1)
	v_fmaak_f32 v35, v33, v35, 0x3bf2027e
	v_fmaak_f32 v35, v33, v35, 0x3d89f001
	s_delay_alu instid0(VALU_DEP_1) | instskip(SKIP_1) | instid1(VALU_DEP_1)
	v_fmaak_f32 v35, v33, v35, 0x3d9e233f
	v_fmaak_f32 v34, s28, v33, 0x38e28445
	v_fmaak_f32 v34, v33, v34, 0x3a05b634
	s_delay_alu instid0(VALU_DEP_1) | instskip(NEXT) | instid1(VALU_DEP_1)
	v_fmaak_f32 v34, v33, v34, 0x3b3d6ec6
	v_fmaak_f32 v34, v33, v34, 0x3ca89915
	s_delay_alu instid0(VALU_DEP_1) | instskip(NEXT) | instid1(VALU_DEP_1)
	v_fmaak_f32 v34, v33, v34, 0x3ea51a66
	v_mul_f32_e32 v33, v33, v34
	s_delay_alu instid0(VALU_DEP_1) | instskip(NEXT) | instid1(VALU_DEP_1)
	v_fmac_f32_e32 v33, v32, v35
	v_fmac_f32_e32 v33, -0.5, v32
	s_delay_alu instid0(VALU_DEP_1)
	v_add_f32_e32 v31, v31, v33
.LBB9_310:                              ;   in Loop: Header=BB9_161 Depth=1
	s_or_b32 exec_lo, exec_lo, s34
.LBB9_311:                              ;   in Loop: Header=BB9_161 Depth=1
	s_delay_alu instid0(SALU_CYCLE_1)
	s_or_b32 exec_lo, exec_lo, s7
.LBB9_312:                              ;   in Loop: Header=BB9_161 Depth=1
	s_delay_alu instid0(SALU_CYCLE_1)
	s_or_b32 exec_lo, exec_lo, s33
.LBB9_313:                              ;   in Loop: Header=BB9_161 Depth=1
	s_and_not1_saveexec_b32 s7, s8
	s_cbranch_execz .LBB9_315
; %bb.314:                              ;   in Loop: Header=BB9_161 Depth=1
	v_cmp_gt_f32_e64 s8, 0x800000, |v23|
	v_fma_f32 v34, |v23|, s29, 0xbecd26ab
	s_delay_alu instid0(VALU_DEP_2) | instskip(NEXT) | instid1(VALU_DEP_1)
	v_cndmask_b32_e64 v31, 1.0, 0x4f800000, s8
	v_mul_f32_e64 v31, |v23|, v31
	s_delay_alu instid0(VALU_DEP_1) | instskip(SKIP_3) | instid1(VALU_DEP_2)
	v_log_f32_e32 v31, v31
	s_waitcnt_depctr 0xfff
	v_mul_f32_e32 v32, 0x3f317217, v31
	v_cmp_gt_f32_e64 s6, 0x7f800000, |v31|
	v_fma_f32 v33, 0x3f317217, v31, -v32
	s_delay_alu instid0(VALU_DEP_1) | instskip(NEXT) | instid1(VALU_DEP_1)
	v_fmac_f32_e32 v33, 0x3377d1cf, v31
	v_add_f32_e32 v32, v32, v33
	v_fma_f32 v33, |v23|, v34, 0x3f528d33
	s_delay_alu instid0(VALU_DEP_2) | instskip(SKIP_1) | instid1(VALU_DEP_3)
	v_cndmask_b32_e64 v31, v31, v32, s6
	v_cndmask_b32_e64 v32, 0, 0x41b17218, s8
	v_fma_f32 v33, |v23|, v33, 0xbf13c468
	s_delay_alu instid0(VALU_DEP_2) | instskip(NEXT) | instid1(VALU_DEP_1)
	v_sub_f32_e32 v31, v31, v32
	v_fma_f32 v31, |v23|, v33, -v31
.LBB9_315:                              ;   in Loop: Header=BB9_161 Depth=1
	s_or_b32 exec_lo, exec_lo, s7
	v_cmp_le_f32_e64 s6, 0, v23
	s_mov_b32 s8, exec_lo
	v_cmpx_nle_f32_e32 0, v23
	s_xor_b32 s33, exec_lo, s8
	s_cbranch_execnz .LBB9_321
; %bb.316:                              ;   in Loop: Header=BB9_161 Depth=1
	s_and_not1_saveexec_b32 s33, s33
	s_cbranch_execnz .LBB9_324
.LBB9_317:                              ;   in Loop: Header=BB9_161 Depth=1
	s_or_b32 exec_lo, exec_lo, s33
	s_and_saveexec_b32 s7, s2
	s_delay_alu instid0(SALU_CYCLE_1)
	s_xor_b32 s7, exec_lo, s7
	s_cbranch_execnz .LBB9_325
.LBB9_318:                              ;   in Loop: Header=BB9_161 Depth=1
	s_or_b32 exec_lo, exec_lo, s7
	s_and_saveexec_b32 s2, s1
	s_cbranch_execnz .LBB9_326
.LBB9_319:                              ;   in Loop: Header=BB9_161 Depth=1
	s_or_b32 exec_lo, exec_lo, s2
	s_and_saveexec_b32 s1, vcc_lo
	s_cbranch_execnz .LBB9_327
.LBB9_320:                              ;   in Loop: Header=BB9_161 Depth=1
	s_or_b32 exec_lo, exec_lo, s1
	s_and_saveexec_b32 s1, s0
	s_cbranch_execz .LBB9_160
	s_branch .LBB9_328
.LBB9_321:                              ;   in Loop: Header=BB9_161 Depth=1
	v_cmp_gt_f32_e64 s7, 0x4b000000, |v23|
	v_cmp_lt_f32_e64 s8, 0x35000000, |v23|
	s_delay_alu instid0(VALU_DEP_1) | instskip(NEXT) | instid1(SALU_CYCLE_1)
	s_and_b32 s7, s7, s8
	s_and_saveexec_b32 s34, s7
	s_cbranch_execz .LBB9_323
; %bb.322:                              ;   in Loop: Header=BB9_161 Depth=1
	v_mul_f32_e64 v32, |v23|, 0.5
	v_xor_b32_e32 v30, v30, v23
	s_delay_alu instid0(VALU_DEP_2) | instskip(SKIP_1) | instid1(VALU_DEP_2)
	v_floor_f32_e32 v33, v32
	v_cmp_neq_f32_e64 s7, 0x7f800000, v32
	v_sub_f32_e32 v33, v32, v33
	s_delay_alu instid0(VALU_DEP_1) | instskip(NEXT) | instid1(VALU_DEP_1)
	v_min_f32_e32 v33, 0x3f7fffff, v33
	v_add_f32_e32 v33, v33, v33
	s_delay_alu instid0(VALU_DEP_1) | instskip(SKIP_1) | instid1(VALU_DEP_1)
	v_cndmask_b32_e64 v32, 0, v33, s7
	v_cmp_gt_f32_e64 s7, |v23|, 1.0
	v_cndmask_b32_e64 v32, |v23|, v32, s7
	s_delay_alu instid0(VALU_DEP_1) | instskip(NEXT) | instid1(VALU_DEP_1)
	v_add_f32_e32 v33, v32, v32
	v_rndne_f32_e32 v33, v33
	s_delay_alu instid0(VALU_DEP_1) | instskip(SKIP_1) | instid1(VALU_DEP_2)
	v_fmac_f32_e32 v32, -0.5, v33
	v_cvt_i32_f32_e32 v33, v33
	v_mul_f32_e32 v34, v32, v32
	s_delay_alu instid0(VALU_DEP_1) | instskip(SKIP_1) | instid1(VALU_DEP_2)
	v_fmaak_f32 v35, s30, v34, 0xbf1f24be
	v_fmaak_f32 v36, s31, v34, 0x3e642e9d
	;; [unrolled: 1-line block ×3, first 2 shown]
	s_delay_alu instid0(VALU_DEP_2) | instskip(NEXT) | instid1(VALU_DEP_2)
	v_dual_fmaak_f32 v36, v34, v36, 0xbfaad1da :: v_dual_mul_f32 v37, v32, v34
	v_fmaak_f32 v35, v34, v35, 0xc0a55e0e
	s_delay_alu instid0(VALU_DEP_1) | instskip(NEXT) | instid1(VALU_DEP_1)
	v_dual_fmaak_f32 v36, v34, v36, 0x4081e0d3 :: v_dual_mul_f32 v35, v37, v35
	v_dual_fmaak_f32 v36, v34, v36, 0xc09de9e6 :: v_dual_and_b32 v37, 1, v33
	v_lshlrev_b32_e32 v33, 30, v33
	s_delay_alu instid0(VALU_DEP_3) | instskip(NEXT) | instid1(VALU_DEP_3)
	v_fmac_f32_e32 v35, 0x40490fdb, v32
	v_fma_f32 v32, v34, v36, 1.0
	s_delay_alu instid0(VALU_DEP_4) | instskip(NEXT) | instid1(VALU_DEP_4)
	v_cmp_eq_u32_e64 s7, 0, v37
	v_and_b32_e32 v33, 0x80000000, v33
	s_delay_alu instid0(VALU_DEP_2) | instskip(NEXT) | instid1(VALU_DEP_1)
	v_cndmask_b32_e64 v32, v32, v35, s7
	v_xor3_b32 v30, v30, v33, v32
	s_delay_alu instid0(VALU_DEP_1) | instskip(NEXT) | instid1(VALU_DEP_1)
	v_mul_f32_e32 v30, v23, v30
	v_frexp_mant_f32_e64 v32, |v30|
	v_frexp_exp_i32_f32_e32 v30, v30
	s_delay_alu instid0(VALU_DEP_2) | instskip(NEXT) | instid1(VALU_DEP_1)
	v_rcp_f32_e32 v32, v32
	v_sub_nc_u32_e32 v30, 2, v30
	s_waitcnt_depctr 0xfff
	v_mul_f32_e32 v32, 0x3f490fdb, v32
	s_delay_alu instid0(VALU_DEP_1) | instskip(NEXT) | instid1(VALU_DEP_1)
	v_ldexp_f32 v30, v32, v30
	v_cmp_gt_f32_e64 s7, 0x800000, v30
	s_delay_alu instid0(VALU_DEP_1) | instskip(NEXT) | instid1(VALU_DEP_1)
	v_cndmask_b32_e64 v32, 1.0, 0x4f800000, s7
	v_mul_f32_e32 v30, v30, v32
	s_delay_alu instid0(VALU_DEP_1) | instskip(SKIP_3) | instid1(VALU_DEP_2)
	v_log_f32_e32 v30, v30
	s_waitcnt_depctr 0xfff
	v_mul_f32_e32 v32, 0x3f317217, v30
	v_cmp_gt_f32_e64 s8, 0x7f800000, |v30|
	v_fma_f32 v33, 0x3f317217, v30, -v32
	s_delay_alu instid0(VALU_DEP_1) | instskip(NEXT) | instid1(VALU_DEP_1)
	v_fmac_f32_e32 v33, 0x3377d1cf, v30
	v_add_f32_e32 v32, v32, v33
	v_floor_f32_e32 v33, v23
	s_delay_alu instid0(VALU_DEP_2) | instskip(NEXT) | instid1(VALU_DEP_2)
	v_cndmask_b32_e64 v30, v30, v32, s8
	v_sub_f32_e32 v33, v23, v33
	v_cndmask_b32_e64 v32, 0, 0x41b17218, s7
	s_delay_alu instid0(VALU_DEP_1) | instskip(NEXT) | instid1(VALU_DEP_3)
	v_sub_f32_e32 v30, v30, v32
	v_min_f32_e32 v32, 0x3f7fffff, v33
	s_delay_alu instid0(VALU_DEP_2) | instskip(NEXT) | instid1(VALU_DEP_2)
	v_sub_f32_e32 v30, v30, v31
	v_cmp_neq_f32_e64 s7, 0, v32
	s_delay_alu instid0(VALU_DEP_1)
	v_cndmask_b32_e64 v31, 0x7f800000, v30, s7
.LBB9_323:                              ;   in Loop: Header=BB9_161 Depth=1
	s_or_b32 exec_lo, exec_lo, s34
	s_and_not1_saveexec_b32 s33, s33
	s_cbranch_execz .LBB9_317
.LBB9_324:                              ;   in Loop: Header=BB9_161 Depth=1
	v_cmp_eq_f32_e64 s7, 1.0, v23
	v_cmp_eq_f32_e64 s8, 2.0, v23
	s_delay_alu instid0(VALU_DEP_1) | instskip(NEXT) | instid1(SALU_CYCLE_1)
	s_or_b32 s7, s7, s8
	v_cndmask_b32_e64 v31, v31, 0, s7
	s_or_b32 exec_lo, exec_lo, s33
	s_and_saveexec_b32 s7, s2
	s_delay_alu instid0(SALU_CYCLE_1)
	s_xor_b32 s7, exec_lo, s7
	s_cbranch_execz .LBB9_318
.LBB9_325:                              ;   in Loop: Header=BB9_161 Depth=1
	v_cmp_gt_f32_e64 s2, 0x4b000000, |v26|
	s_delay_alu instid0(VALU_DEP_1) | instskip(NEXT) | instid1(SALU_CYCLE_1)
	s_or_b32 s2, s3, s2
	v_cndmask_b32_e64 v27, 0x7f800000, v27, s2
	v_cmp_class_f32_e64 s2, v26, 0x264
	s_delay_alu instid0(VALU_DEP_1) | instskip(SKIP_1) | instid1(VALU_DEP_1)
	v_cndmask_b32_e64 v27, v27, 0x7f800000, s2
	v_cmp_u_f32_e64 s2, v26, v26
	v_cndmask_b32_e64 v30, v27, v26, s2
	v_add_co_u32 v26, s2, v3, s10
	s_delay_alu instid0(VALU_DEP_1)
	v_add_co_ci_u32_e64 v27, s2, s11, v4, s2
	global_store_b32 v[26:27], v30, off
	s_or_b32 exec_lo, exec_lo, s7
	s_and_saveexec_b32 s2, s1
	s_cbranch_execz .LBB9_319
.LBB9_326:                              ;   in Loop: Header=BB9_161 Depth=1
	v_cmp_gt_f32_e64 s1, 0x4b000000, |v24|
	s_delay_alu instid0(VALU_DEP_1) | instskip(NEXT) | instid1(SALU_CYCLE_1)
	s_or_b32 s1, s4, s1
	v_cndmask_b32_e64 v26, 0x7f800000, v28, s1
	v_cmp_class_f32_e64 s1, v24, 0x264
	s_delay_alu instid0(VALU_DEP_1) | instskip(SKIP_1) | instid1(VALU_DEP_1)
	v_cndmask_b32_e64 v26, v26, 0x7f800000, s1
	v_cmp_u_f32_e64 s1, v24, v24
	v_cndmask_b32_e64 v24, v26, v24, s1
	v_add_co_u32 v26, s1, v21, s10
	s_delay_alu instid0(VALU_DEP_1)
	v_add_co_ci_u32_e64 v27, s1, s11, v22, s1
	global_store_b32 v[26:27], v24, off
	s_or_b32 exec_lo, exec_lo, s2
	s_and_saveexec_b32 s1, vcc_lo
	s_cbranch_execz .LBB9_320
.LBB9_327:                              ;   in Loop: Header=BB9_161 Depth=1
	v_cmp_gt_f32_e64 s2, 0x4b000000, |v25|
	s_delay_alu instid0(VALU_DEP_1) | instskip(SKIP_3) | instid1(VALU_DEP_2)
	s_or_b32 vcc_lo, s5, s2
	v_cmp_class_f32_e64 s2, v25, 0x264
	v_cndmask_b32_e32 v24, 0x7f800000, v29, vcc_lo
	v_cmp_u_f32_e32 vcc_lo, v25, v25
	v_cndmask_b32_e64 v24, v24, 0x7f800000, s2
	s_delay_alu instid0(VALU_DEP_1)
	v_cndmask_b32_e32 v26, v24, v25, vcc_lo
	v_add_co_u32 v24, vcc_lo, v14, s10
	v_add_co_ci_u32_e32 v25, vcc_lo, s11, v15, vcc_lo
	global_store_b32 v[24:25], v26, off
	s_or_b32 exec_lo, exec_lo, s1
	s_and_saveexec_b32 s1, s0
	s_cbranch_execz .LBB9_160
.LBB9_328:                              ;   in Loop: Header=BB9_161 Depth=1
	v_cmp_gt_f32_e64 s0, 0x4b000000, |v23|
	s_delay_alu instid0(VALU_DEP_1) | instskip(SKIP_3) | instid1(VALU_DEP_2)
	s_or_b32 vcc_lo, s6, s0
	v_cmp_class_f32_e64 s0, v23, 0x264
	v_cndmask_b32_e32 v24, 0x7f800000, v31, vcc_lo
	v_cmp_u_f32_e32 vcc_lo, v23, v23
	v_cndmask_b32_e64 v24, v24, 0x7f800000, s0
	s_delay_alu instid0(VALU_DEP_1)
	v_cndmask_b32_e32 v25, v24, v23, vcc_lo
	v_add_co_u32 v23, vcc_lo, v7, s10
	v_add_co_ci_u32_e32 v24, vcc_lo, s11, v8, vcc_lo
	global_store_b32 v[23:24], v25, off
	s_branch .LBB9_160
.LBB9_329:
	s_nop 0
	s_sendmsg sendmsg(MSG_DEALLOC_VGPRS)
	s_endpgm
	.section	.rodata,"a",@progbits
	.p2align	6, 0x0
	.amdhsa_kernel _ZN2at6native12_GLOBAL__N_125multi_tensor_apply_kernelINS1_18TensorListMetadataILi2EEENS1_14UnaryOpFunctorIfLi2ELi1ELi1EEEJNS0_6LgammaIfEEEEEvT_T0_DpT1_
		.amdhsa_group_segment_fixed_size 0
		.amdhsa_private_segment_fixed_size 0
		.amdhsa_kernarg_size 3408
		.amdhsa_user_sgpr_count 15
		.amdhsa_user_sgpr_dispatch_ptr 0
		.amdhsa_user_sgpr_queue_ptr 0
		.amdhsa_user_sgpr_kernarg_segment_ptr 1
		.amdhsa_user_sgpr_dispatch_id 0
		.amdhsa_user_sgpr_private_segment_size 0
		.amdhsa_wavefront_size32 1
		.amdhsa_uses_dynamic_stack 0
		.amdhsa_enable_private_segment 0
		.amdhsa_system_sgpr_workgroup_id_x 1
		.amdhsa_system_sgpr_workgroup_id_y 0
		.amdhsa_system_sgpr_workgroup_id_z 0
		.amdhsa_system_sgpr_workgroup_info 0
		.amdhsa_system_vgpr_workitem_id 0
		.amdhsa_next_free_vgpr 38
		.amdhsa_next_free_sgpr 40
		.amdhsa_reserve_vcc 1
		.amdhsa_float_round_mode_32 0
		.amdhsa_float_round_mode_16_64 0
		.amdhsa_float_denorm_mode_32 3
		.amdhsa_float_denorm_mode_16_64 3
		.amdhsa_dx10_clamp 1
		.amdhsa_ieee_mode 1
		.amdhsa_fp16_overflow 0
		.amdhsa_workgroup_processor_mode 1
		.amdhsa_memory_ordered 1
		.amdhsa_forward_progress 0
		.amdhsa_shared_vgpr_count 0
		.amdhsa_exception_fp_ieee_invalid_op 0
		.amdhsa_exception_fp_denorm_src 0
		.amdhsa_exception_fp_ieee_div_zero 0
		.amdhsa_exception_fp_ieee_overflow 0
		.amdhsa_exception_fp_ieee_underflow 0
		.amdhsa_exception_fp_ieee_inexact 0
		.amdhsa_exception_int_div_zero 0
	.end_amdhsa_kernel
	.section	.text._ZN2at6native12_GLOBAL__N_125multi_tensor_apply_kernelINS1_18TensorListMetadataILi2EEENS1_14UnaryOpFunctorIfLi2ELi1ELi1EEEJNS0_6LgammaIfEEEEEvT_T0_DpT1_,"axG",@progbits,_ZN2at6native12_GLOBAL__N_125multi_tensor_apply_kernelINS1_18TensorListMetadataILi2EEENS1_14UnaryOpFunctorIfLi2ELi1ELi1EEEJNS0_6LgammaIfEEEEEvT_T0_DpT1_,comdat
.Lfunc_end9:
	.size	_ZN2at6native12_GLOBAL__N_125multi_tensor_apply_kernelINS1_18TensorListMetadataILi2EEENS1_14UnaryOpFunctorIfLi2ELi1ELi1EEEJNS0_6LgammaIfEEEEEvT_T0_DpT1_, .Lfunc_end9-_ZN2at6native12_GLOBAL__N_125multi_tensor_apply_kernelINS1_18TensorListMetadataILi2EEENS1_14UnaryOpFunctorIfLi2ELi1ELi1EEEJNS0_6LgammaIfEEEEEvT_T0_DpT1_
                                        ; -- End function
	.section	.AMDGPU.csdata,"",@progbits
; Kernel info:
; codeLenInByte = 22532
; NumSgprs: 42
; NumVgprs: 38
; ScratchSize: 0
; MemoryBound: 0
; FloatMode: 240
; IeeeMode: 1
; LDSByteSize: 0 bytes/workgroup (compile time only)
; SGPRBlocks: 5
; VGPRBlocks: 4
; NumSGPRsForWavesPerEU: 42
; NumVGPRsForWavesPerEU: 38
; Occupancy: 16
; WaveLimiterHint : 0
; COMPUTE_PGM_RSRC2:SCRATCH_EN: 0
; COMPUTE_PGM_RSRC2:USER_SGPR: 15
; COMPUTE_PGM_RSRC2:TRAP_HANDLER: 0
; COMPUTE_PGM_RSRC2:TGID_X_EN: 1
; COMPUTE_PGM_RSRC2:TGID_Y_EN: 0
; COMPUTE_PGM_RSRC2:TGID_Z_EN: 0
; COMPUTE_PGM_RSRC2:TIDIG_COMP_CNT: 0
	.section	.text._ZN2at6native12_GLOBAL__N_125multi_tensor_apply_kernelINS1_18TensorListMetadataILi2EEENS1_14UnaryOpFunctorIN3c104HalfELi2ELi1ELi1EEEJNS0_6LgammaIfEEEEEvT_T0_DpT1_,"axG",@progbits,_ZN2at6native12_GLOBAL__N_125multi_tensor_apply_kernelINS1_18TensorListMetadataILi2EEENS1_14UnaryOpFunctorIN3c104HalfELi2ELi1ELi1EEEJNS0_6LgammaIfEEEEEvT_T0_DpT1_,comdat
	.globl	_ZN2at6native12_GLOBAL__N_125multi_tensor_apply_kernelINS1_18TensorListMetadataILi2EEENS1_14UnaryOpFunctorIN3c104HalfELi2ELi1ELi1EEEJNS0_6LgammaIfEEEEEvT_T0_DpT1_ ; -- Begin function _ZN2at6native12_GLOBAL__N_125multi_tensor_apply_kernelINS1_18TensorListMetadataILi2EEENS1_14UnaryOpFunctorIN3c104HalfELi2ELi1ELi1EEEJNS0_6LgammaIfEEEEEvT_T0_DpT1_
	.p2align	8
	.type	_ZN2at6native12_GLOBAL__N_125multi_tensor_apply_kernelINS1_18TensorListMetadataILi2EEENS1_14UnaryOpFunctorIN3c104HalfELi2ELi1ELi1EEEJNS0_6LgammaIfEEEEEvT_T0_DpT1_,@function
_ZN2at6native12_GLOBAL__N_125multi_tensor_apply_kernelINS1_18TensorListMetadataILi2EEENS1_14UnaryOpFunctorIN3c104HalfELi2ELi1ELi1EEEJNS0_6LgammaIfEEEEEvT_T0_DpT1_: ; @_ZN2at6native12_GLOBAL__N_125multi_tensor_apply_kernelINS1_18TensorListMetadataILi2EEENS1_14UnaryOpFunctorIN3c104HalfELi2ELi1ELi1EEEJNS0_6LgammaIfEEEEEvT_T0_DpT1_
; %bb.0:
	v_mov_b32_e32 v1, s15
	s_add_u32 s2, s0, s15
	s_mul_hi_u32 s3, s15, 3
	s_mul_i32 s15, s15, 3
	s_addc_u32 s4, s1, 0
	global_load_u8 v1, v1, s[0:1] offset:1536
	s_add_u32 s2, s2, s15
	s_addc_u32 s3, s4, s3
	s_mov_b32 s13, 0
	s_load_b32 s2, s[2:3], 0x740
	s_mov_b32 s21, s13
	s_mov_b32 s23, s13
	s_waitcnt vmcnt(0)
	v_readfirstlane_b32 s5, v1
	s_delay_alu instid0(VALU_DEP_1)
	s_lshl_b32 s3, s5, 3
	s_clause 0x2
	s_load_b64 s[8:9], s[0:1], s3 offset:0x0
	s_load_b64 s[16:17], s[0:1], s3 offset:0x200
	;; [unrolled: 1-line block ×3, first 2 shown]
	s_waitcnt lgkmcnt(0)
	s_ashr_i32 s3, s2, 31
	s_delay_alu instid0(SALU_CYCLE_1) | instskip(NEXT) | instid1(SALU_CYCLE_1)
	s_lshl_b64 s[10:11], s[2:3], 17
	s_add_u32 s7, s8, s10
	s_addc_u32 s14, s9, s11
	s_and_b32 s12, s7, 7
	s_add_u32 s15, s16, s10
	s_addc_u32 s18, s17, s11
	s_and_b32 s20, s4, 3
	s_and_b32 s22, s15, 7
	s_or_b64 s[12:13], s[12:13], s[20:21]
	s_lshl_b64 s[2:3], s[2:3], 16
	s_or_b64 s[20:21], s[22:23], s[12:13]
	s_sub_u32 s12, s4, s2
	s_subb_u32 s13, s5, s3
	s_cmp_eq_u64 s[20:21], 0
	s_mov_b32 s2, -1
	s_cbranch_scc0 .LBB10_157
; %bb.1:
	v_dual_mov_b32 v2, 0 :: v_dual_lshlrev_b32 v1, 2, v0
	s_mov_b32 s19, exec_lo
	s_delay_alu instid0(VALU_DEP_1)
	v_cmpx_gt_i64_e64 s[12:13], v[1:2]
	s_cbranch_execz .LBB10_156
; %bb.2:
	s_load_b32 s2, s[0:1], 0xc5c
	v_lshlrev_b32_e32 v5, 3, v0
	s_mov_b32 s20, 0
	s_mov_b32 s21, 0xbad5c4e8
	;; [unrolled: 1-line block ×14, first 2 shown]
	s_waitcnt lgkmcnt(0)
	s_and_b32 s2, s2, 0xffff
	s_delay_alu instid0(SALU_CYCLE_1)
	v_add_lshl_u32 v1, v0, s2, 2
	s_lshl_b32 s30, s2, 2
	s_lshl_b32 s31, s2, 3
	s_branch .LBB10_4
.LBB10_3:                               ;   in Loop: Header=BB10_4 Depth=1
	s_or_b32 exec_lo, exec_lo, s37
	v_cmp_gt_f32_e64 s5, 0x4b000000, |v11|
	v_cvt_f16_f32_e32 v12, v12
	v_cmp_gt_f32_e64 s6, 0x4b000000, |v9|
	v_cvt_f16_f32_e32 v10, v10
	v_cmp_class_f32_e64 s37, v11, 0x264
	s_or_b32 s3, s3, s5
	v_cvt_f16_f32_e32 v7, v7
	v_cndmask_b32_e64 v12, 0x7c00, v12, s3
	s_or_b32 s2, s2, s6
	v_cmp_gt_f32_e64 s3, 0x4b000000, |v6|
	v_cndmask_b32_e64 v10, 0x7c00, v10, s2
	v_cmp_u_f16_e64 s2, v4, v4
	v_cndmask_b32_e64 v11, v12, 0x7c00, s37
	v_cmp_gt_f32_e64 s5, 0x4b000000, |v14|
	v_cvt_f16_f32_e32 v12, v16
	s_or_b32 vcc_lo, vcc_lo, s3
	s_delay_alu instid0(VALU_DEP_3) | instskip(SKIP_4) | instid1(VALU_DEP_3)
	v_cndmask_b32_e64 v11, v11, v4, s2
	v_cmp_class_f32_e64 s2, v9, 0x264
	v_cndmask_b32_e32 v4, 0x7c00, v7, vcc_lo
	s_or_b32 vcc_lo, s4, s5
	v_cndmask_b32_e32 v7, 0x7c00, v12, vcc_lo
	v_cndmask_b32_e64 v9, v10, 0x7c00, s2
	v_cmp_class_f32_e64 s2, v6, 0x264
	v_cmp_u_f16_e32 vcc_lo, v8, v8
	s_delay_alu instid0(VALU_DEP_2) | instskip(SKIP_3) | instid1(VALU_DEP_3)
	v_cndmask_b32_e64 v4, v4, 0x7c00, s2
	v_cmp_class_f32_e64 s2, v14, 0x264
	v_cndmask_b32_e32 v8, v9, v8, vcc_lo
	v_cmp_u_f16_e32 vcc_lo, v3, v3
	v_cndmask_b32_e64 v6, v7, 0x7c00, s2
	v_cmp_lt_u64_e64 s2, 0xffff, v[1:2]
	v_cndmask_b32_e32 v9, v4, v3, vcc_lo
	v_cmp_u_f16_e32 vcc_lo, v13, v13
	v_add_co_u32 v3, s3, s15, v5
	s_delay_alu instid0(VALU_DEP_1) | instskip(SKIP_2) | instid1(VALU_DEP_2)
	v_add_co_ci_u32_e64 v4, null, s18, 0, s3
	v_cndmask_b32_e32 v6, v6, v13, vcc_lo
	v_cmp_le_i64_e32 vcc_lo, s[12:13], v[1:2]
	v_perm_b32 v7, v6, v11, 0x5040100
	v_perm_b32 v6, v8, v9, 0x5040100
	s_or_b32 s2, vcc_lo, s2
	s_add_u32 s7, s7, s31
	v_add_co_u32 v1, vcc_lo, v1, s30
	s_addc_u32 s14, s14, 0
	s_add_u32 s15, s15, s31
	v_add_co_ci_u32_e32 v2, vcc_lo, 0, v2, vcc_lo
	s_addc_u32 s18, s18, 0
	s_and_b32 s2, exec_lo, s2
	global_store_b64 v[3:4], v[6:7], off
	s_or_b32 s20, s2, s20
	s_delay_alu instid0(SALU_CYCLE_1)
	s_and_not1_b32 exec_lo, exec_lo, s20
	s_cbranch_execz .LBB10_156
.LBB10_4:                               ; =>This Inner Loop Header: Depth=1
	v_add_co_u32 v3, s2, s7, v5
	s_delay_alu instid0(VALU_DEP_1) | instskip(SKIP_4) | instid1(VALU_DEP_1)
	v_add_co_ci_u32_e64 v4, null, s14, 0, s2
	s_mov_b32 s3, exec_lo
                                        ; implicit-def: $vgpr7
	global_load_b64 v[3:4], v[3:4], off
	s_waitcnt vmcnt(0)
	v_cvt_f32_f16_e32 v6, v3
	v_and_b32_e32 v8, 0x7fffffff, v6
	v_cmpx_ngt_f32_e64 0x3c800000, |v6|
	s_xor_b32 s3, exec_lo, s3
	s_cbranch_execz .LBB10_34
; %bb.5:                                ;   in Loop: Header=BB10_4 Depth=1
	s_mov_b32 s4, exec_lo
                                        ; implicit-def: $vgpr7
	v_cmpx_nlt_f32_e64 |v6|, 2.0
	s_xor_b32 s4, exec_lo, s4
	s_cbranch_execz .LBB10_15
; %bb.6:                                ;   in Loop: Header=BB10_4 Depth=1
	v_cmp_ngt_f32_e64 s2, 0x41000000, |v6|
                                        ; implicit-def: $vgpr7
	s_delay_alu instid0(VALU_DEP_1) | instskip(NEXT) | instid1(SALU_CYCLE_1)
	s_and_saveexec_b32 s5, s2
	s_xor_b32 s2, exec_lo, s5
	s_cbranch_execz .LBB10_12
; %bb.7:                                ;   in Loop: Header=BB10_4 Depth=1
	v_cmp_ngt_f32_e64 s5, 0x5c800000, |v6|
                                        ; implicit-def: $vgpr7
	s_delay_alu instid0(VALU_DEP_1) | instskip(NEXT) | instid1(SALU_CYCLE_1)
	s_and_saveexec_b32 s6, s5
	s_xor_b32 s5, exec_lo, s6
	s_cbranch_execz .LBB10_9
; %bb.8:                                ;   in Loop: Header=BB10_4 Depth=1
	v_cmp_gt_f32_e64 s6, 0x800000, |v6|
	s_delay_alu instid0(VALU_DEP_1) | instskip(NEXT) | instid1(VALU_DEP_1)
	v_cndmask_b32_e64 v7, 1.0, 0x4f800000, s6
	v_mul_f32_e64 v7, |v6|, v7
	s_delay_alu instid0(VALU_DEP_1) | instskip(SKIP_3) | instid1(VALU_DEP_2)
	v_log_f32_e32 v7, v7
	s_waitcnt_depctr 0xfff
	v_mul_f32_e32 v9, 0x3f317217, v7
	v_cmp_gt_f32_e64 vcc_lo, 0x7f800000, |v7|
	v_fma_f32 v10, 0x3f317217, v7, -v9
	s_delay_alu instid0(VALU_DEP_1) | instskip(NEXT) | instid1(VALU_DEP_1)
	v_fmac_f32_e32 v10, 0x3377d1cf, v7
	v_add_f32_e32 v9, v9, v10
	s_delay_alu instid0(VALU_DEP_1) | instskip(SKIP_1) | instid1(VALU_DEP_1)
	v_cndmask_b32_e32 v7, v7, v9, vcc_lo
	v_cndmask_b32_e64 v9, 0, 0x41b17218, s6
	v_sub_f32_e32 v7, v7, v9
	s_delay_alu instid0(VALU_DEP_1)
	v_fma_f32 v7, |v6|, v7, -|v6|
.LBB10_9:                               ;   in Loop: Header=BB10_4 Depth=1
	s_and_not1_saveexec_b32 s5, s5
	s_cbranch_execz .LBB10_11
; %bb.10:                               ;   in Loop: Header=BB10_4 Depth=1
	v_cmp_gt_f32_e64 s6, 0x800000, |v6|
	v_rcp_f32_e64 v9, |v6|
	s_delay_alu instid0(VALU_DEP_1) | instskip(NEXT) | instid1(VALU_DEP_1)
	v_cndmask_b32_e64 v7, 1.0, 0x4f800000, s6
	v_mul_f32_e64 v7, |v6|, v7
	s_delay_alu instid0(VALU_DEP_1) | instskip(SKIP_3) | instid1(VALU_DEP_2)
	v_log_f32_e32 v7, v7
	s_waitcnt_depctr 0xfff
	v_dual_mul_f32 v10, v9, v9 :: v_dual_mul_f32 v11, 0x3f317217, v7
	v_cmp_gt_f32_e64 vcc_lo, 0x7f800000, |v7|
	v_fma_f32 v13, 0x3f317217, v7, -v11
	s_delay_alu instid0(VALU_DEP_1) | instskip(NEXT) | instid1(VALU_DEP_1)
	v_fmac_f32_e32 v13, 0x3377d1cf, v7
	v_dual_fmaak_f32 v12, s21, v10, 0x3a5b3dd2 :: v_dual_add_f32 v11, v11, v13
	s_delay_alu instid0(VALU_DEP_1) | instskip(SKIP_1) | instid1(VALU_DEP_1)
	v_dual_fmaak_f32 v12, v10, v12, 0xba1c065c :: v_dual_cndmask_b32 v7, v7, v11
	v_cndmask_b32_e64 v11, 0, 0x41b17218, s6
	v_dual_fmaak_f32 v12, v10, v12, 0x3a500cfd :: v_dual_sub_f32 v11, v7, v11
	s_delay_alu instid0(VALU_DEP_1) | instskip(NEXT) | instid1(VALU_DEP_1)
	v_fmaak_f32 v12, v10, v12, 0xbb360b61
	v_fmaak_f32 v10, v10, v12, 0x3daaaaab
	s_delay_alu instid0(VALU_DEP_1) | instskip(SKIP_1) | instid1(VALU_DEP_1)
	v_dual_fmaak_f32 v7, v9, v10, 0x3ed67f1d :: v_dual_add_f32 v10, -1.0, v11
	v_add_f32_e64 v9, |v6|, -0.5
	v_fmac_f32_e32 v7, v9, v10
.LBB10_11:                              ;   in Loop: Header=BB10_4 Depth=1
	s_or_b32 exec_lo, exec_lo, s5
.LBB10_12:                              ;   in Loop: Header=BB10_4 Depth=1
	s_and_not1_saveexec_b32 s5, s2
	s_cbranch_execz .LBB10_14
; %bb.13:                               ;   in Loop: Header=BB10_4 Depth=1
	v_cvt_i32_f32_e32 v7, v8
	s_delay_alu instid0(VALU_DEP_1) | instskip(SKIP_1) | instid1(VALU_DEP_2)
	v_cvt_f32_i32_e32 v9, v7
	v_cmp_lt_i32_e32 vcc_lo, 2, v7
	v_sub_f32_e64 v9, |v6|, v9
	s_delay_alu instid0(VALU_DEP_1) | instskip(SKIP_1) | instid1(VALU_DEP_1)
	v_add_f32_e32 v11, 0x40400000, v9
	v_add_f32_e32 v10, 2.0, v9
	v_cndmask_b32_e32 v10, 1.0, v10, vcc_lo
	v_cmp_lt_i32_e32 vcc_lo, 3, v7
	s_delay_alu instid0(VALU_DEP_4) | instskip(SKIP_1) | instid1(VALU_DEP_2)
	v_cndmask_b32_e32 v11, 1.0, v11, vcc_lo
	v_cmp_lt_i32_e32 vcc_lo, 4, v7
	v_dual_mul_f32 v10, v10, v11 :: v_dual_add_f32 v11, 0x40c00000, v9
	v_add_f32_e32 v12, 4.0, v9
	s_delay_alu instid0(VALU_DEP_1) | instskip(SKIP_1) | instid1(VALU_DEP_2)
	v_dual_add_f32 v13, 0x40a00000, v9 :: v_dual_cndmask_b32 v12, 1.0, v12
	v_cmp_lt_i32_e32 vcc_lo, 5, v7
	v_dual_mul_f32 v10, v12, v10 :: v_dual_cndmask_b32 v13, 1.0, v13
	v_cmp_lt_i32_e32 vcc_lo, 6, v7
	v_fmaak_f32 v12, s22, v9, 0x3af135b4
	s_delay_alu instid0(VALU_DEP_3) | instskip(NEXT) | instid1(VALU_DEP_1)
	v_dual_mul_f32 v10, v13, v10 :: v_dual_cndmask_b32 v7, 1.0, v11
	v_dual_mul_f32 v7, v7, v10 :: v_dual_fmaak_f32 v10, s23, v9, 0x3a4beed6
	s_delay_alu instid0(VALU_DEP_1) | instskip(SKIP_1) | instid1(VALU_DEP_1)
	v_cmp_gt_f32_e32 vcc_lo, 0x800000, v7
	v_cndmask_b32_e64 v11, 1.0, 0x4f800000, vcc_lo
	v_mul_f32_e32 v7, v7, v11
	v_fmaak_f32 v11, v9, v12, 0x3cda40e4
	s_delay_alu instid0(VALU_DEP_2) | instskip(SKIP_3) | instid1(VALU_DEP_2)
	v_log_f32_e32 v7, v7
	s_waitcnt_depctr 0xfff
	v_mul_f32_e32 v12, 0x3f317217, v7
	v_cmp_gt_f32_e64 s2, 0x7f800000, |v7|
	v_fma_f32 v13, 0x3f317217, v7, -v12
	s_delay_alu instid0(VALU_DEP_1) | instskip(NEXT) | instid1(VALU_DEP_1)
	v_fmac_f32_e32 v13, 0x3377d1cf, v7
	v_dual_add_f32 v12, v12, v13 :: v_dual_fmaak_f32 v11, v9, v11, 0x3e15dce6
	s_delay_alu instid0(VALU_DEP_1) | instskip(SKIP_1) | instid1(VALU_DEP_3)
	v_cndmask_b32_e64 v7, v7, v12, s2
	v_fmaak_f32 v10, v9, v10, 0x3c98bf54
	v_fmaak_f32 v11, v9, v11, 0x3ea6cc7a
	s_delay_alu instid0(VALU_DEP_2) | instskip(NEXT) | instid1(VALU_DEP_2)
	v_fmaak_f32 v10, v9, v10, 0x3e300f6e
	v_fmaak_f32 v11, v9, v11, 0x3e5c245a
	s_delay_alu instid0(VALU_DEP_2) | instskip(NEXT) | instid1(VALU_DEP_2)
	;; [unrolled: 3-line block ×3, first 2 shown]
	v_fmaak_f32 v10, v9, v10, 0x3fb22d3b
	v_mul_f32_e32 v11, v9, v11
	s_delay_alu instid0(VALU_DEP_2) | instskip(NEXT) | instid1(VALU_DEP_1)
	v_fma_f32 v10, v9, v10, 1.0
	v_rcp_f32_e32 v10, v10
	s_waitcnt_depctr 0xfff
	v_mul_f32_e32 v10, v11, v10
	v_cndmask_b32_e64 v11, 0, 0x41b17218, vcc_lo
	s_delay_alu instid0(VALU_DEP_1) | instskip(NEXT) | instid1(VALU_DEP_1)
	v_dual_fmac_f32 v10, 0.5, v9 :: v_dual_sub_f32 v7, v7, v11
	v_add_f32_e32 v7, v7, v10
.LBB10_14:                              ;   in Loop: Header=BB10_4 Depth=1
	s_or_b32 exec_lo, exec_lo, s5
.LBB10_15:                              ;   in Loop: Header=BB10_4 Depth=1
	s_and_not1_saveexec_b32 s4, s4
	s_cbranch_execz .LBB10_33
; %bb.16:                               ;   in Loop: Header=BB10_4 Depth=1
	s_mov_b32 s5, exec_lo
                                        ; implicit-def: $vgpr7
                                        ; implicit-def: $vgpr10
                                        ; implicit-def: $vgpr9
	v_cmpx_ge_f32_e64 0x3f666666, |v6|
	s_xor_b32 s5, exec_lo, s5
	s_cbranch_execz .LBB10_18
; %bb.17:                               ;   in Loop: Header=BB10_4 Depth=1
	v_cmp_gt_f32_e64 s2, 0x800000, |v6|
	v_sub_f32_e64 v11, 1.0, |v6|
	v_cmp_gt_f32_e64 vcc_lo, 0x3f3b4a23, |v6|
	s_delay_alu instid0(VALU_DEP_3) | instskip(SKIP_1) | instid1(VALU_DEP_2)
	v_cndmask_b32_e64 v7, 1.0, 0x4f800000, s2
	v_cndmask_b32_e64 v12, 0, 0x41b17218, s2
	v_mul_f32_e64 v7, |v6|, v7
	s_delay_alu instid0(VALU_DEP_1) | instskip(SKIP_3) | instid1(VALU_DEP_2)
	v_log_f32_e32 v7, v7
	s_waitcnt_depctr 0xfff
	v_mul_f32_e32 v9, 0x3f317217, v7
	v_cmp_gt_f32_e64 s2, 0x7f800000, |v7|
	v_fma_f32 v10, 0x3f317217, v7, -v9
	s_delay_alu instid0(VALU_DEP_1) | instskip(NEXT) | instid1(VALU_DEP_1)
	v_fmac_f32_e32 v10, 0x3377d1cf, v7
	v_add_f32_e32 v9, v9, v10
	v_add_f32_e64 v10, 0xbeec5b0c, |v6|
	s_delay_alu instid0(VALU_DEP_2) | instskip(NEXT) | instid1(VALU_DEP_2)
	v_cndmask_b32_e64 v7, v7, v9, s2
	v_cndmask_b32_e32 v9, v11, v10, vcc_lo
	v_cndmask_b32_e64 v10, 0, 1, vcc_lo
	v_cmp_gt_f32_e64 s2, 0x3e6d3309, |v6|
	s_delay_alu instid0(VALU_DEP_4) | instskip(NEXT) | instid1(VALU_DEP_2)
	v_sub_f32_e32 v7, v7, v12
	v_cndmask_b32_e64 v9, v9, |v6|, s2
	s_delay_alu instid0(VALU_DEP_4) | instskip(NEXT) | instid1(VALU_DEP_3)
	v_cndmask_b32_e64 v10, v10, 2, s2
	v_xor_b32_e32 v7, 0x80000000, v7
.LBB10_18:                              ;   in Loop: Header=BB10_4 Depth=1
	s_and_not1_saveexec_b32 s2, s5
; %bb.19:                               ;   in Loop: Header=BB10_4 Depth=1
	v_sub_f32_e64 v7, 2.0, |v6|
	v_add_f32_e64 v9, 0xbfbb16c3, |v6|
	v_cmp_gt_f32_e64 vcc_lo, 0x3fdda512, |v6|
	v_add_f32_e64 v10, |v6|, -1.0
	s_delay_alu instid0(VALU_DEP_3) | instskip(NEXT) | instid1(VALU_DEP_3)
	v_cndmask_b32_e32 v9, v7, v9, vcc_lo
	v_cndmask_b32_e64 v7, v7, 1.0, vcc_lo
	v_cmp_gt_f32_e64 vcc_lo, 0x3f9d70a4, |v6|
	s_delay_alu instid0(VALU_DEP_2) | instskip(NEXT) | instid1(VALU_DEP_4)
	v_cvt_i32_f32_e32 v7, v7
	v_cndmask_b32_e32 v9, v9, v10, vcc_lo
	s_delay_alu instid0(VALU_DEP_2)
	v_cndmask_b32_e64 v10, v7, 2, vcc_lo
	v_mov_b32_e32 v7, 0
; %bb.20:                               ;   in Loop: Header=BB10_4 Depth=1
	s_or_b32 exec_lo, exec_lo, s2
	s_delay_alu instid0(SALU_CYCLE_1) | instskip(NEXT) | instid1(VALU_DEP_2)
	s_mov_b32 s2, exec_lo
	v_cmpx_lt_i32_e32 0, v10
	s_xor_b32 s2, exec_lo, s2
	s_cbranch_execz .LBB10_28
; %bb.21:                               ;   in Loop: Header=BB10_4 Depth=1
	s_mov_b32 s5, exec_lo
	v_cmpx_lt_i32_e32 1, v10
	s_xor_b32 s5, exec_lo, s5
	s_cbranch_execz .LBB10_25
; %bb.22:                               ;   in Loop: Header=BB10_4 Depth=1
	s_mov_b32 s6, exec_lo
	v_cmpx_eq_u32_e32 2, v10
	s_cbranch_execz .LBB10_24
; %bb.23:                               ;   in Loop: Header=BB10_4 Depth=1
	v_fmaak_f32 v11, s24, v9, 0x3e6a7578
	s_delay_alu instid0(VALU_DEP_1) | instskip(NEXT) | instid1(VALU_DEP_1)
	v_fmaak_f32 v11, v9, v11, 0x3f7a4bb2
	v_fmaak_f32 v11, v9, v11, 0x3fba3ae7
	s_delay_alu instid0(VALU_DEP_1) | instskip(NEXT) | instid1(VALU_DEP_1)
	v_fmaak_f32 v11, v9, v11, 0x3f2200f4
	v_fmaak_f32 v11, v9, v11, 0xbd9e233f
	s_delay_alu instid0(VALU_DEP_1) | instskip(NEXT) | instid1(VALU_DEP_1)
	v_dual_fmaak_f32 v10, s25, v9, 0x3dd572af :: v_dual_mul_f32 v11, v9, v11
	v_fmaak_f32 v10, v9, v10, 0x3f44efdf
	s_delay_alu instid0(VALU_DEP_1) | instskip(NEXT) | instid1(VALU_DEP_1)
	v_fmaak_f32 v10, v9, v10, 0x4008392d
	v_fmaak_f32 v10, v9, v10, 0x401d2ebe
	s_delay_alu instid0(VALU_DEP_1) | instskip(NEXT) | instid1(VALU_DEP_1)
	v_fma_f32 v10, v9, v10, 1.0
	v_rcp_f32_e32 v10, v10
	s_waitcnt_depctr 0xfff
	v_mul_f32_e32 v10, v11, v10
	s_delay_alu instid0(VALU_DEP_1) | instskip(NEXT) | instid1(VALU_DEP_1)
	v_fmac_f32_e32 v10, -0.5, v9
	v_add_f32_e32 v7, v7, v10
.LBB10_24:                              ;   in Loop: Header=BB10_4 Depth=1
	s_or_b32 exec_lo, exec_lo, s6
                                        ; implicit-def: $vgpr9
.LBB10_25:                              ;   in Loop: Header=BB10_4 Depth=1
	s_and_not1_saveexec_b32 s5, s5
	s_cbranch_execz .LBB10_27
; %bb.26:                               ;   in Loop: Header=BB10_4 Depth=1
	v_mul_f32_e32 v10, v9, v9
	s_delay_alu instid0(VALU_DEP_1) | instskip(NEXT) | instid1(VALU_DEP_1)
	v_mul_f32_e32 v11, v9, v10
	v_fmaak_f32 v13, s28, v11, 0xba0d3085
	v_fmaak_f32 v12, s27, v11, 0x3a66f867
	;; [unrolled: 1-line block ×3, first 2 shown]
	s_delay_alu instid0(VALU_DEP_3) | instskip(NEXT) | instid1(VALU_DEP_3)
	v_fmaak_f32 v13, v11, v13, 0x3b141699
	v_fmaak_f32 v12, v11, v12, 0xbb7177fe
	s_delay_alu instid0(VALU_DEP_3) | instskip(NEXT) | instid1(VALU_DEP_3)
	v_fmaak_f32 v14, v11, v14, 0x3bc7e707
	v_fmaak_f32 v13, v11, v13, 0xbc28fcfe
	;; [unrolled: 3-line block ×4, first 2 shown]
	s_delay_alu instid0(VALU_DEP_1) | instskip(NEXT) | instid1(VALU_DEP_1)
	v_dual_fmac_f32 v12, v9, v13 :: v_dual_fmaak_f32 v9, v11, v14, 0x3ef7b95e
	v_fma_f32 v11, v11, -v12, 0xa2863e55
	s_delay_alu instid0(VALU_DEP_1) | instskip(NEXT) | instid1(VALU_DEP_1)
	v_fma_f32 v9, v10, v9, -v11
	v_add_f32_e32 v9, 0xbdf8cdce, v9
	s_delay_alu instid0(VALU_DEP_1)
	v_add_f32_e32 v7, v7, v9
.LBB10_27:                              ;   in Loop: Header=BB10_4 Depth=1
	s_or_b32 exec_lo, exec_lo, s5
                                        ; implicit-def: $vgpr10
                                        ; implicit-def: $vgpr9
.LBB10_28:                              ;   in Loop: Header=BB10_4 Depth=1
	s_and_not1_saveexec_b32 s2, s2
	s_cbranch_execz .LBB10_32
; %bb.29:                               ;   in Loop: Header=BB10_4 Depth=1
	s_mov_b32 s5, exec_lo
	v_cmpx_eq_u32_e32 0, v10
	s_cbranch_execz .LBB10_31
; %bb.30:                               ;   in Loop: Header=BB10_4 Depth=1
	v_mul_f32_e32 v10, v9, v9
	s_delay_alu instid0(VALU_DEP_1) | instskip(NEXT) | instid1(VALU_DEP_1)
	v_fmaak_f32 v12, s29, v10, 0x39679767
	v_fmaak_f32 v12, v10, v12, 0x3a9c54a1
	s_delay_alu instid0(VALU_DEP_1) | instskip(NEXT) | instid1(VALU_DEP_1)
	v_fmaak_f32 v12, v10, v12, 0x3bf2027e
	v_fmaak_f32 v12, v10, v12, 0x3d89f001
	s_delay_alu instid0(VALU_DEP_1) | instskip(SKIP_1) | instid1(VALU_DEP_1)
	v_fmaak_f32 v12, v10, v12, 0x3d9e233f
	v_fmaak_f32 v11, s33, v10, 0x38e28445
	;; [unrolled: 1-line block ×3, first 2 shown]
	s_delay_alu instid0(VALU_DEP_1) | instskip(NEXT) | instid1(VALU_DEP_1)
	v_fmaak_f32 v11, v10, v11, 0x3b3d6ec6
	v_fmaak_f32 v11, v10, v11, 0x3ca89915
	s_delay_alu instid0(VALU_DEP_1) | instskip(NEXT) | instid1(VALU_DEP_1)
	v_fmaak_f32 v11, v10, v11, 0x3ea51a66
	v_mul_f32_e32 v10, v10, v11
	s_delay_alu instid0(VALU_DEP_1) | instskip(NEXT) | instid1(VALU_DEP_1)
	v_fmac_f32_e32 v10, v9, v12
	v_fmac_f32_e32 v10, -0.5, v9
	s_delay_alu instid0(VALU_DEP_1)
	v_add_f32_e32 v7, v7, v10
.LBB10_31:                              ;   in Loop: Header=BB10_4 Depth=1
	s_or_b32 exec_lo, exec_lo, s5
.LBB10_32:                              ;   in Loop: Header=BB10_4 Depth=1
	s_delay_alu instid0(SALU_CYCLE_1)
	s_or_b32 exec_lo, exec_lo, s2
.LBB10_33:                              ;   in Loop: Header=BB10_4 Depth=1
	s_delay_alu instid0(SALU_CYCLE_1)
	s_or_b32 exec_lo, exec_lo, s4
.LBB10_34:                              ;   in Loop: Header=BB10_4 Depth=1
	s_and_not1_saveexec_b32 s2, s3
	s_cbranch_execz .LBB10_36
; %bb.35:                               ;   in Loop: Header=BB10_4 Depth=1
	v_cmp_gt_f32_e64 s3, 0x800000, |v6|
	v_fma_f32 v11, |v6|, s34, 0xbecd26ab
	s_delay_alu instid0(VALU_DEP_2) | instskip(NEXT) | instid1(VALU_DEP_1)
	v_cndmask_b32_e64 v7, 1.0, 0x4f800000, s3
	v_mul_f32_e64 v7, |v6|, v7
	s_delay_alu instid0(VALU_DEP_1) | instskip(SKIP_3) | instid1(VALU_DEP_2)
	v_log_f32_e32 v7, v7
	s_waitcnt_depctr 0xfff
	v_mul_f32_e32 v9, 0x3f317217, v7
	v_cmp_gt_f32_e64 vcc_lo, 0x7f800000, |v7|
	v_fma_f32 v10, 0x3f317217, v7, -v9
	s_delay_alu instid0(VALU_DEP_1) | instskip(NEXT) | instid1(VALU_DEP_1)
	v_fmac_f32_e32 v10, 0x3377d1cf, v7
	v_add_f32_e32 v9, v9, v10
	v_fma_f32 v10, |v6|, v11, 0x3f528d33
	s_delay_alu instid0(VALU_DEP_2) | instskip(SKIP_1) | instid1(VALU_DEP_3)
	v_cndmask_b32_e32 v7, v7, v9, vcc_lo
	v_cndmask_b32_e64 v9, 0, 0x41b17218, s3
	v_fma_f32 v10, |v6|, v10, 0xbf13c468
	s_delay_alu instid0(VALU_DEP_2) | instskip(NEXT) | instid1(VALU_DEP_1)
	v_sub_f32_e32 v7, v7, v9
	v_fma_f32 v7, |v6|, v10, -v7
.LBB10_36:                              ;   in Loop: Header=BB10_4 Depth=1
	s_or_b32 exec_lo, exec_lo, s2
	v_cmp_le_f16_e32 vcc_lo, 0, v3
	s_mov_b32 s3, exec_lo
	v_cmpx_nle_f16_e32 0, v3
	s_xor_b32 s4, exec_lo, s3
	s_cbranch_execz .LBB10_40
; %bb.37:                               ;   in Loop: Header=BB10_4 Depth=1
	v_cmp_gt_f32_e64 s2, 0x4b000000, |v6|
	v_cmp_lt_f32_e64 s3, 0x35000000, |v6|
	s_delay_alu instid0(VALU_DEP_1) | instskip(NEXT) | instid1(SALU_CYCLE_1)
	s_and_b32 s2, s2, s3
	s_and_saveexec_b32 s5, s2
	s_cbranch_execz .LBB10_39
; %bb.38:                               ;   in Loop: Header=BB10_4 Depth=1
	v_mul_f32_e64 v9, |v6|, 0.5
	v_xor_b32_e32 v8, v8, v6
	s_delay_alu instid0(VALU_DEP_2) | instskip(SKIP_1) | instid1(VALU_DEP_2)
	v_floor_f32_e32 v10, v9
	v_cmp_neq_f32_e64 s2, 0x7f800000, v9
	v_sub_f32_e32 v10, v9, v10
	s_delay_alu instid0(VALU_DEP_1) | instskip(NEXT) | instid1(VALU_DEP_1)
	v_min_f32_e32 v10, 0x3f7fffff, v10
	v_add_f32_e32 v10, v10, v10
	s_delay_alu instid0(VALU_DEP_1) | instskip(SKIP_1) | instid1(VALU_DEP_1)
	v_cndmask_b32_e64 v9, 0, v10, s2
	v_cmp_gt_f32_e64 s2, |v6|, 1.0
	v_cndmask_b32_e64 v9, |v6|, v9, s2
	s_delay_alu instid0(VALU_DEP_1) | instskip(NEXT) | instid1(VALU_DEP_1)
	v_add_f32_e32 v10, v9, v9
	v_rndne_f32_e32 v10, v10
	s_delay_alu instid0(VALU_DEP_1) | instskip(SKIP_1) | instid1(VALU_DEP_2)
	v_fmac_f32_e32 v9, -0.5, v10
	v_cvt_i32_f32_e32 v10, v10
	v_mul_f32_e32 v11, v9, v9
	s_delay_alu instid0(VALU_DEP_1) | instskip(SKIP_1) | instid1(VALU_DEP_2)
	v_fmaak_f32 v12, s35, v11, 0xbf1f24be
	v_fmaak_f32 v13, s36, v11, 0x3e642e9d
	;; [unrolled: 1-line block ×3, first 2 shown]
	s_delay_alu instid0(VALU_DEP_2) | instskip(NEXT) | instid1(VALU_DEP_2)
	v_dual_fmaak_f32 v13, v11, v13, 0xbfaad1da :: v_dual_mul_f32 v14, v9, v11
	v_fmaak_f32 v12, v11, v12, 0xc0a55e0e
	s_delay_alu instid0(VALU_DEP_1) | instskip(NEXT) | instid1(VALU_DEP_1)
	v_dual_fmaak_f32 v13, v11, v13, 0x4081e0d3 :: v_dual_mul_f32 v12, v14, v12
	v_dual_fmaak_f32 v13, v11, v13, 0xc09de9e6 :: v_dual_and_b32 v14, 1, v10
	v_lshlrev_b32_e32 v10, 30, v10
	s_delay_alu instid0(VALU_DEP_3) | instskip(NEXT) | instid1(VALU_DEP_3)
	v_fmac_f32_e32 v12, 0x40490fdb, v9
	v_fma_f32 v9, v11, v13, 1.0
	s_delay_alu instid0(VALU_DEP_4) | instskip(NEXT) | instid1(VALU_DEP_4)
	v_cmp_eq_u32_e64 s2, 0, v14
	v_and_b32_e32 v10, 0x80000000, v10
	s_delay_alu instid0(VALU_DEP_2) | instskip(NEXT) | instid1(VALU_DEP_1)
	v_cndmask_b32_e64 v9, v9, v12, s2
	v_xor3_b32 v8, v8, v10, v9
	s_delay_alu instid0(VALU_DEP_1) | instskip(NEXT) | instid1(VALU_DEP_1)
	v_mul_f32_e32 v8, v6, v8
	v_frexp_mant_f32_e64 v9, |v8|
	v_frexp_exp_i32_f32_e32 v8, v8
	s_delay_alu instid0(VALU_DEP_2) | instskip(NEXT) | instid1(VALU_DEP_1)
	v_rcp_f32_e32 v9, v9
	v_sub_nc_u32_e32 v8, 2, v8
	s_waitcnt_depctr 0xfff
	v_mul_f32_e32 v9, 0x3f490fdb, v9
	s_delay_alu instid0(VALU_DEP_1) | instskip(NEXT) | instid1(VALU_DEP_1)
	v_ldexp_f32 v8, v9, v8
	v_cmp_gt_f32_e64 s2, 0x800000, v8
	s_delay_alu instid0(VALU_DEP_1) | instskip(NEXT) | instid1(VALU_DEP_1)
	v_cndmask_b32_e64 v9, 1.0, 0x4f800000, s2
	v_mul_f32_e32 v8, v8, v9
	s_delay_alu instid0(VALU_DEP_1) | instskip(SKIP_3) | instid1(VALU_DEP_2)
	v_log_f32_e32 v8, v8
	s_waitcnt_depctr 0xfff
	v_mul_f32_e32 v9, 0x3f317217, v8
	v_cmp_gt_f32_e64 s3, 0x7f800000, |v8|
	v_fma_f32 v10, 0x3f317217, v8, -v9
	s_delay_alu instid0(VALU_DEP_1) | instskip(NEXT) | instid1(VALU_DEP_1)
	v_fmac_f32_e32 v10, 0x3377d1cf, v8
	v_add_f32_e32 v9, v9, v10
	v_floor_f32_e32 v10, v6
	s_delay_alu instid0(VALU_DEP_2) | instskip(SKIP_1) | instid1(VALU_DEP_3)
	v_cndmask_b32_e64 v8, v8, v9, s3
	v_cndmask_b32_e64 v9, 0, 0x41b17218, s2
	v_sub_f32_e32 v10, v6, v10
	s_delay_alu instid0(VALU_DEP_1) | instskip(NEXT) | instid1(VALU_DEP_1)
	v_dual_sub_f32 v8, v8, v9 :: v_dual_min_f32 v9, 0x3f7fffff, v10
	v_sub_f32_e32 v7, v8, v7
	s_delay_alu instid0(VALU_DEP_2) | instskip(NEXT) | instid1(VALU_DEP_1)
	v_cmp_neq_f32_e64 s2, 0, v9
	v_cndmask_b32_e64 v7, 0x7f800000, v7, s2
.LBB10_39:                              ;   in Loop: Header=BB10_4 Depth=1
	s_or_b32 exec_lo, exec_lo, s5
.LBB10_40:                              ;   in Loop: Header=BB10_4 Depth=1
	s_and_not1_saveexec_b32 s4, s4
; %bb.41:                               ;   in Loop: Header=BB10_4 Depth=1
	v_cmp_eq_f16_e64 s2, 1.0, v3
	v_cmp_eq_f16_e64 s3, 2.0, v3
	s_delay_alu instid0(VALU_DEP_1) | instskip(NEXT) | instid1(SALU_CYCLE_1)
	s_or_b32 s2, s2, s3
	v_cndmask_b32_e64 v7, v7, 0, s2
; %bb.42:                               ;   in Loop: Header=BB10_4 Depth=1
	s_or_b32 exec_lo, exec_lo, s4
	v_lshrrev_b32_e32 v8, 16, v3
                                        ; implicit-def: $vgpr10
	s_mov_b32 s3, exec_lo
	s_delay_alu instid0(VALU_DEP_1) | instskip(NEXT) | instid1(VALU_DEP_1)
	v_cvt_f32_f16_e32 v9, v8
	v_and_b32_e32 v11, 0x7fffffff, v9
	v_cmpx_ngt_f32_e64 0x3c800000, |v9|
	s_xor_b32 s4, exec_lo, s3
	s_cbranch_execz .LBB10_72
; %bb.43:                               ;   in Loop: Header=BB10_4 Depth=1
                                        ; implicit-def: $vgpr10
	s_mov_b32 s3, exec_lo
	v_cmpx_nlt_f32_e64 |v9|, 2.0
	s_xor_b32 s5, exec_lo, s3
	s_cbranch_execz .LBB10_53
; %bb.44:                               ;   in Loop: Header=BB10_4 Depth=1
	s_mov_b32 s3, exec_lo
                                        ; implicit-def: $vgpr10
	v_cmpx_ngt_f32_e64 0x41000000, |v9|
	s_xor_b32 s3, exec_lo, s3
	s_cbranch_execz .LBB10_50
; %bb.45:                               ;   in Loop: Header=BB10_4 Depth=1
	s_mov_b32 s6, exec_lo
                                        ; implicit-def: $vgpr10
	v_cmpx_ngt_f32_e64 0x5c800000, |v9|
	s_xor_b32 s6, exec_lo, s6
	s_cbranch_execz .LBB10_47
; %bb.46:                               ;   in Loop: Header=BB10_4 Depth=1
	v_cmp_gt_f32_e64 s37, 0x800000, |v9|
	s_delay_alu instid0(VALU_DEP_1) | instskip(NEXT) | instid1(VALU_DEP_1)
	v_cndmask_b32_e64 v10, 1.0, 0x4f800000, s37
	v_mul_f32_e64 v10, |v9|, v10
	s_delay_alu instid0(VALU_DEP_1) | instskip(SKIP_3) | instid1(VALU_DEP_2)
	v_log_f32_e32 v10, v10
	s_waitcnt_depctr 0xfff
	v_mul_f32_e32 v12, 0x3f317217, v10
	v_cmp_gt_f32_e64 s2, 0x7f800000, |v10|
	v_fma_f32 v13, 0x3f317217, v10, -v12
	s_delay_alu instid0(VALU_DEP_1) | instskip(NEXT) | instid1(VALU_DEP_1)
	v_fmac_f32_e32 v13, 0x3377d1cf, v10
	v_add_f32_e32 v12, v12, v13
	s_delay_alu instid0(VALU_DEP_1) | instskip(SKIP_1) | instid1(VALU_DEP_1)
	v_cndmask_b32_e64 v10, v10, v12, s2
	v_cndmask_b32_e64 v12, 0, 0x41b17218, s37
	v_sub_f32_e32 v10, v10, v12
	s_delay_alu instid0(VALU_DEP_1)
	v_fma_f32 v10, |v9|, v10, -|v9|
.LBB10_47:                              ;   in Loop: Header=BB10_4 Depth=1
	s_and_not1_saveexec_b32 s6, s6
	s_cbranch_execz .LBB10_49
; %bb.48:                               ;   in Loop: Header=BB10_4 Depth=1
	v_cmp_gt_f32_e64 s37, 0x800000, |v9|
	v_rcp_f32_e64 v12, |v9|
	s_delay_alu instid0(VALU_DEP_1) | instskip(NEXT) | instid1(VALU_DEP_1)
	v_cndmask_b32_e64 v10, 1.0, 0x4f800000, s37
	v_mul_f32_e64 v10, |v9|, v10
	s_delay_alu instid0(VALU_DEP_1) | instskip(SKIP_3) | instid1(VALU_DEP_2)
	v_log_f32_e32 v10, v10
	s_waitcnt_depctr 0xfff
	v_dual_mul_f32 v13, v12, v12 :: v_dual_mul_f32 v14, 0x3f317217, v10
	v_cmp_gt_f32_e64 s2, 0x7f800000, |v10|
	v_fma_f32 v16, 0x3f317217, v10, -v14
	s_delay_alu instid0(VALU_DEP_1) | instskip(NEXT) | instid1(VALU_DEP_1)
	v_fmac_f32_e32 v16, 0x3377d1cf, v10
	v_dual_fmaak_f32 v15, s21, v13, 0x3a5b3dd2 :: v_dual_add_f32 v14, v14, v16
	s_delay_alu instid0(VALU_DEP_1) | instskip(SKIP_1) | instid1(VALU_DEP_1)
	v_cndmask_b32_e64 v10, v10, v14, s2
	v_cndmask_b32_e64 v14, 0, 0x41b17218, s37
	v_dual_fmaak_f32 v15, v13, v15, 0xba1c065c :: v_dual_sub_f32 v14, v10, v14
	s_delay_alu instid0(VALU_DEP_1) | instskip(NEXT) | instid1(VALU_DEP_1)
	v_fmaak_f32 v15, v13, v15, 0x3a500cfd
	v_fmaak_f32 v15, v13, v15, 0xbb360b61
	s_delay_alu instid0(VALU_DEP_1) | instskip(NEXT) | instid1(VALU_DEP_1)
	v_fmaak_f32 v13, v13, v15, 0x3daaaaab
	v_dual_fmaak_f32 v10, v12, v13, 0x3ed67f1d :: v_dual_add_f32 v13, -1.0, v14
	v_add_f32_e64 v12, |v9|, -0.5
	s_delay_alu instid0(VALU_DEP_1)
	v_fmac_f32_e32 v10, v12, v13
.LBB10_49:                              ;   in Loop: Header=BB10_4 Depth=1
	s_or_b32 exec_lo, exec_lo, s6
.LBB10_50:                              ;   in Loop: Header=BB10_4 Depth=1
	s_and_not1_saveexec_b32 s6, s3
	s_cbranch_execz .LBB10_52
; %bb.51:                               ;   in Loop: Header=BB10_4 Depth=1
	v_cvt_i32_f32_e32 v10, v11
	s_delay_alu instid0(VALU_DEP_1) | instskip(SKIP_1) | instid1(VALU_DEP_2)
	v_cvt_f32_i32_e32 v12, v10
	v_cmp_lt_i32_e64 s2, 2, v10
	v_sub_f32_e64 v12, |v9|, v12
	s_delay_alu instid0(VALU_DEP_1) | instskip(SKIP_2) | instid1(VALU_DEP_3)
	v_add_f32_e32 v13, 2.0, v12
	v_add_f32_e32 v14, 0x40400000, v12
	v_add_f32_e32 v15, 4.0, v12
	v_cndmask_b32_e64 v13, 1.0, v13, s2
	v_cmp_lt_i32_e64 s2, 3, v10
	s_delay_alu instid0(VALU_DEP_1) | instskip(SKIP_1) | instid1(VALU_DEP_2)
	v_cndmask_b32_e64 v14, 1.0, v14, s2
	v_cmp_lt_i32_e64 s2, 4, v10
	v_dual_add_f32 v16, 0x40a00000, v12 :: v_dual_mul_f32 v13, v13, v14
	s_delay_alu instid0(VALU_DEP_2) | instskip(SKIP_1) | instid1(VALU_DEP_2)
	v_cndmask_b32_e64 v15, 1.0, v15, s2
	v_cmp_lt_i32_e64 s2, 5, v10
	v_mul_f32_e32 v13, v15, v13
	s_delay_alu instid0(VALU_DEP_2) | instskip(SKIP_3) | instid1(VALU_DEP_4)
	v_cndmask_b32_e64 v16, 1.0, v16, s2
	v_add_f32_e32 v14, 0x40c00000, v12
	v_cmp_lt_i32_e64 s2, 6, v10
	v_fmaak_f32 v15, s22, v12, 0x3af135b4
	v_mul_f32_e32 v13, v16, v13
	s_delay_alu instid0(VALU_DEP_3) | instskip(NEXT) | instid1(VALU_DEP_1)
	v_cndmask_b32_e64 v10, 1.0, v14, s2
	v_mul_f32_e32 v10, v10, v13
	s_delay_alu instid0(VALU_DEP_1) | instskip(NEXT) | instid1(VALU_DEP_1)
	v_cmp_gt_f32_e64 s2, 0x800000, v10
	v_cndmask_b32_e64 v14, 1.0, 0x4f800000, s2
	s_delay_alu instid0(VALU_DEP_1) | instskip(SKIP_1) | instid1(VALU_DEP_2)
	v_mul_f32_e32 v10, v10, v14
	v_fmaak_f32 v14, v12, v15, 0x3cda40e4
	v_log_f32_e32 v10, v10
	s_waitcnt_depctr 0xfff
	v_mul_f32_e32 v15, 0x3f317217, v10
	v_cmp_gt_f32_e64 s3, 0x7f800000, |v10|
	s_delay_alu instid0(VALU_DEP_2) | instskip(NEXT) | instid1(VALU_DEP_1)
	v_fma_f32 v16, 0x3f317217, v10, -v15
	v_fmac_f32_e32 v16, 0x3377d1cf, v10
	s_delay_alu instid0(VALU_DEP_1) | instskip(NEXT) | instid1(VALU_DEP_1)
	v_dual_add_f32 v15, v15, v16 :: v_dual_fmaak_f32 v14, v12, v14, 0x3e15dce6
	v_cndmask_b32_e64 v10, v10, v15, s3
	s_delay_alu instid0(VALU_DEP_2) | instskip(NEXT) | instid1(VALU_DEP_1)
	v_fmaak_f32 v14, v12, v14, 0x3ea6cc7a
	v_fmaak_f32 v14, v12, v14, 0x3e5c245a
	s_delay_alu instid0(VALU_DEP_1) | instskip(NEXT) | instid1(VALU_DEP_1)
	v_fmaak_f32 v14, v12, v14, 0xbd9e233f
	v_dual_fmaak_f32 v13, s23, v12, 0x3a4beed6 :: v_dual_mul_f32 v14, v12, v14
	s_delay_alu instid0(VALU_DEP_1) | instskip(NEXT) | instid1(VALU_DEP_1)
	v_fmaak_f32 v13, v12, v13, 0x3c98bf54
	v_fmaak_f32 v13, v12, v13, 0x3e300f6e
	s_delay_alu instid0(VALU_DEP_1) | instskip(NEXT) | instid1(VALU_DEP_1)
	v_fmaak_f32 v13, v12, v13, 0x3f38d0c5
	v_fmaak_f32 v13, v12, v13, 0x3fb22d3b
	s_delay_alu instid0(VALU_DEP_1) | instskip(NEXT) | instid1(VALU_DEP_1)
	v_fma_f32 v13, v12, v13, 1.0
	v_rcp_f32_e32 v13, v13
	s_waitcnt_depctr 0xfff
	v_mul_f32_e32 v13, v14, v13
	v_cndmask_b32_e64 v14, 0, 0x41b17218, s2
	s_delay_alu instid0(VALU_DEP_1) | instskip(NEXT) | instid1(VALU_DEP_1)
	v_dual_fmac_f32 v13, 0.5, v12 :: v_dual_sub_f32 v10, v10, v14
	v_add_f32_e32 v10, v10, v13
.LBB10_52:                              ;   in Loop: Header=BB10_4 Depth=1
	s_or_b32 exec_lo, exec_lo, s6
.LBB10_53:                              ;   in Loop: Header=BB10_4 Depth=1
	s_and_not1_saveexec_b32 s5, s5
	s_cbranch_execz .LBB10_71
; %bb.54:                               ;   in Loop: Header=BB10_4 Depth=1
                                        ; implicit-def: $vgpr10
                                        ; implicit-def: $vgpr13
                                        ; implicit-def: $vgpr12
	s_mov_b32 s3, exec_lo
	v_cmpx_ge_f32_e64 0x3f666666, |v9|
	s_xor_b32 s6, exec_lo, s3
	s_cbranch_execz .LBB10_56
; %bb.55:                               ;   in Loop: Header=BB10_4 Depth=1
	v_cmp_gt_f32_e64 s3, 0x800000, |v9|
	v_sub_f32_e64 v14, 1.0, |v9|
	v_cmp_gt_f32_e64 s2, 0x3f3b4a23, |v9|
	s_delay_alu instid0(VALU_DEP_3) | instskip(SKIP_1) | instid1(VALU_DEP_2)
	v_cndmask_b32_e64 v10, 1.0, 0x4f800000, s3
	v_cndmask_b32_e64 v15, 0, 0x41b17218, s3
	v_mul_f32_e64 v10, |v9|, v10
	s_delay_alu instid0(VALU_DEP_1) | instskip(SKIP_3) | instid1(VALU_DEP_2)
	v_log_f32_e32 v10, v10
	s_waitcnt_depctr 0xfff
	v_mul_f32_e32 v12, 0x3f317217, v10
	v_cmp_gt_f32_e64 s3, 0x7f800000, |v10|
	v_fma_f32 v13, 0x3f317217, v10, -v12
	s_delay_alu instid0(VALU_DEP_1) | instskip(NEXT) | instid1(VALU_DEP_1)
	v_fmac_f32_e32 v13, 0x3377d1cf, v10
	v_add_f32_e32 v12, v12, v13
	v_add_f32_e64 v13, 0xbeec5b0c, |v9|
	s_delay_alu instid0(VALU_DEP_2) | instskip(NEXT) | instid1(VALU_DEP_2)
	v_cndmask_b32_e64 v10, v10, v12, s3
	v_cndmask_b32_e64 v12, v14, v13, s2
	;; [unrolled: 1-line block ×3, first 2 shown]
	v_cmp_gt_f32_e64 s2, 0x3e6d3309, |v9|
	s_delay_alu instid0(VALU_DEP_4) | instskip(NEXT) | instid1(VALU_DEP_2)
	v_sub_f32_e32 v10, v10, v15
	v_cndmask_b32_e64 v12, v12, |v9|, s2
	s_delay_alu instid0(VALU_DEP_4) | instskip(NEXT) | instid1(VALU_DEP_3)
	v_cndmask_b32_e64 v13, v13, 2, s2
	v_xor_b32_e32 v10, 0x80000000, v10
.LBB10_56:                              ;   in Loop: Header=BB10_4 Depth=1
	s_and_not1_saveexec_b32 s3, s6
; %bb.57:                               ;   in Loop: Header=BB10_4 Depth=1
	v_sub_f32_e64 v10, 2.0, |v9|
	v_add_f32_e64 v12, 0xbfbb16c3, |v9|
	v_cmp_gt_f32_e64 s2, 0x3fdda512, |v9|
	v_add_f32_e64 v13, |v9|, -1.0
	s_delay_alu instid0(VALU_DEP_2) | instskip(SKIP_2) | instid1(VALU_DEP_2)
	v_cndmask_b32_e64 v12, v10, v12, s2
	v_cndmask_b32_e64 v10, v10, 1.0, s2
	v_cmp_gt_f32_e64 s2, 0x3f9d70a4, |v9|
	v_cvt_i32_f32_e32 v10, v10
	s_delay_alu instid0(VALU_DEP_2) | instskip(NEXT) | instid1(VALU_DEP_2)
	v_cndmask_b32_e64 v12, v12, v13, s2
	v_cndmask_b32_e64 v13, v10, 2, s2
	v_mov_b32_e32 v10, 0
; %bb.58:                               ;   in Loop: Header=BB10_4 Depth=1
	s_or_b32 exec_lo, exec_lo, s3
	s_delay_alu instid0(SALU_CYCLE_1) | instskip(NEXT) | instid1(VALU_DEP_2)
	s_mov_b32 s3, exec_lo
	v_cmpx_lt_i32_e32 0, v13
	s_xor_b32 s3, exec_lo, s3
	s_cbranch_execz .LBB10_66
; %bb.59:                               ;   in Loop: Header=BB10_4 Depth=1
	s_mov_b32 s6, exec_lo
	v_cmpx_lt_i32_e32 1, v13
	s_xor_b32 s6, exec_lo, s6
	s_cbranch_execz .LBB10_63
; %bb.60:                               ;   in Loop: Header=BB10_4 Depth=1
	s_mov_b32 s37, exec_lo
	v_cmpx_eq_u32_e32 2, v13
	s_cbranch_execz .LBB10_62
; %bb.61:                               ;   in Loop: Header=BB10_4 Depth=1
	v_fmaak_f32 v14, s24, v12, 0x3e6a7578
	s_delay_alu instid0(VALU_DEP_1) | instskip(NEXT) | instid1(VALU_DEP_1)
	v_fmaak_f32 v14, v12, v14, 0x3f7a4bb2
	v_fmaak_f32 v14, v12, v14, 0x3fba3ae7
	s_delay_alu instid0(VALU_DEP_1) | instskip(NEXT) | instid1(VALU_DEP_1)
	v_fmaak_f32 v14, v12, v14, 0x3f2200f4
	v_fmaak_f32 v14, v12, v14, 0xbd9e233f
	s_delay_alu instid0(VALU_DEP_1) | instskip(NEXT) | instid1(VALU_DEP_1)
	v_dual_fmaak_f32 v13, s25, v12, 0x3dd572af :: v_dual_mul_f32 v14, v12, v14
	v_fmaak_f32 v13, v12, v13, 0x3f44efdf
	s_delay_alu instid0(VALU_DEP_1) | instskip(NEXT) | instid1(VALU_DEP_1)
	v_fmaak_f32 v13, v12, v13, 0x4008392d
	v_fmaak_f32 v13, v12, v13, 0x401d2ebe
	s_delay_alu instid0(VALU_DEP_1) | instskip(NEXT) | instid1(VALU_DEP_1)
	v_fma_f32 v13, v12, v13, 1.0
	v_rcp_f32_e32 v13, v13
	s_waitcnt_depctr 0xfff
	v_mul_f32_e32 v13, v14, v13
	s_delay_alu instid0(VALU_DEP_1) | instskip(NEXT) | instid1(VALU_DEP_1)
	v_fmac_f32_e32 v13, -0.5, v12
	v_add_f32_e32 v10, v10, v13
.LBB10_62:                              ;   in Loop: Header=BB10_4 Depth=1
	s_or_b32 exec_lo, exec_lo, s37
                                        ; implicit-def: $vgpr12
.LBB10_63:                              ;   in Loop: Header=BB10_4 Depth=1
	s_and_not1_saveexec_b32 s2, s6
	s_cbranch_execz .LBB10_65
; %bb.64:                               ;   in Loop: Header=BB10_4 Depth=1
	v_mul_f32_e32 v13, v12, v12
	s_delay_alu instid0(VALU_DEP_1) | instskip(NEXT) | instid1(VALU_DEP_1)
	v_mul_f32_e32 v14, v12, v13
	v_fmaak_f32 v16, s28, v14, 0xba0d3085
	v_fmaak_f32 v15, s27, v14, 0x3a66f867
	;; [unrolled: 1-line block ×3, first 2 shown]
	s_delay_alu instid0(VALU_DEP_3) | instskip(NEXT) | instid1(VALU_DEP_3)
	v_fmaak_f32 v16, v14, v16, 0x3b141699
	v_fmaak_f32 v15, v14, v15, 0xbb7177fe
	s_delay_alu instid0(VALU_DEP_3) | instskip(NEXT) | instid1(VALU_DEP_3)
	v_fmaak_f32 v17, v14, v17, 0x3bc7e707
	v_fmaak_f32 v16, v14, v16, 0xbc28fcfe
	;; [unrolled: 3-line block ×4, first 2 shown]
	s_delay_alu instid0(VALU_DEP_1) | instskip(NEXT) | instid1(VALU_DEP_1)
	v_dual_fmac_f32 v15, v12, v16 :: v_dual_fmaak_f32 v12, v14, v17, 0x3ef7b95e
	v_fma_f32 v14, v14, -v15, 0xa2863e55
	s_delay_alu instid0(VALU_DEP_1) | instskip(NEXT) | instid1(VALU_DEP_1)
	v_fma_f32 v12, v13, v12, -v14
	v_add_f32_e32 v12, 0xbdf8cdce, v12
	s_delay_alu instid0(VALU_DEP_1)
	v_add_f32_e32 v10, v10, v12
.LBB10_65:                              ;   in Loop: Header=BB10_4 Depth=1
	s_or_b32 exec_lo, exec_lo, s2
                                        ; implicit-def: $vgpr13
                                        ; implicit-def: $vgpr12
.LBB10_66:                              ;   in Loop: Header=BB10_4 Depth=1
	s_and_not1_saveexec_b32 s3, s3
	s_cbranch_execz .LBB10_70
; %bb.67:                               ;   in Loop: Header=BB10_4 Depth=1
	s_mov_b32 s6, exec_lo
	v_cmpx_eq_u32_e32 0, v13
	s_cbranch_execz .LBB10_69
; %bb.68:                               ;   in Loop: Header=BB10_4 Depth=1
	v_mul_f32_e32 v13, v12, v12
	s_delay_alu instid0(VALU_DEP_1) | instskip(NEXT) | instid1(VALU_DEP_1)
	v_fmaak_f32 v15, s29, v13, 0x39679767
	v_fmaak_f32 v15, v13, v15, 0x3a9c54a1
	s_delay_alu instid0(VALU_DEP_1) | instskip(NEXT) | instid1(VALU_DEP_1)
	v_fmaak_f32 v15, v13, v15, 0x3bf2027e
	v_fmaak_f32 v15, v13, v15, 0x3d89f001
	s_delay_alu instid0(VALU_DEP_1) | instskip(SKIP_1) | instid1(VALU_DEP_1)
	v_fmaak_f32 v15, v13, v15, 0x3d9e233f
	v_fmaak_f32 v14, s33, v13, 0x38e28445
	;; [unrolled: 1-line block ×3, first 2 shown]
	s_delay_alu instid0(VALU_DEP_1) | instskip(NEXT) | instid1(VALU_DEP_1)
	v_fmaak_f32 v14, v13, v14, 0x3b3d6ec6
	v_fmaak_f32 v14, v13, v14, 0x3ca89915
	s_delay_alu instid0(VALU_DEP_1) | instskip(NEXT) | instid1(VALU_DEP_1)
	v_fmaak_f32 v14, v13, v14, 0x3ea51a66
	v_mul_f32_e32 v13, v13, v14
	s_delay_alu instid0(VALU_DEP_1) | instskip(NEXT) | instid1(VALU_DEP_1)
	v_fmac_f32_e32 v13, v12, v15
	v_fmac_f32_e32 v13, -0.5, v12
	s_delay_alu instid0(VALU_DEP_1)
	v_add_f32_e32 v10, v10, v13
.LBB10_69:                              ;   in Loop: Header=BB10_4 Depth=1
	s_or_b32 exec_lo, exec_lo, s6
.LBB10_70:                              ;   in Loop: Header=BB10_4 Depth=1
	s_delay_alu instid0(SALU_CYCLE_1)
	s_or_b32 exec_lo, exec_lo, s3
.LBB10_71:                              ;   in Loop: Header=BB10_4 Depth=1
	s_delay_alu instid0(SALU_CYCLE_1)
	s_or_b32 exec_lo, exec_lo, s5
.LBB10_72:                              ;   in Loop: Header=BB10_4 Depth=1
	s_and_not1_saveexec_b32 s3, s4
	s_cbranch_execz .LBB10_74
; %bb.73:                               ;   in Loop: Header=BB10_4 Depth=1
	v_cmp_gt_f32_e64 s4, 0x800000, |v9|
	v_fma_f32 v14, |v9|, s34, 0xbecd26ab
	s_delay_alu instid0(VALU_DEP_2) | instskip(NEXT) | instid1(VALU_DEP_1)
	v_cndmask_b32_e64 v10, 1.0, 0x4f800000, s4
	v_mul_f32_e64 v10, |v9|, v10
	s_delay_alu instid0(VALU_DEP_1) | instskip(SKIP_3) | instid1(VALU_DEP_2)
	v_log_f32_e32 v10, v10
	s_waitcnt_depctr 0xfff
	v_mul_f32_e32 v12, 0x3f317217, v10
	v_cmp_gt_f32_e64 s2, 0x7f800000, |v10|
	v_fma_f32 v13, 0x3f317217, v10, -v12
	s_delay_alu instid0(VALU_DEP_1) | instskip(NEXT) | instid1(VALU_DEP_1)
	v_fmac_f32_e32 v13, 0x3377d1cf, v10
	v_add_f32_e32 v12, v12, v13
	v_fma_f32 v13, |v9|, v14, 0x3f528d33
	s_delay_alu instid0(VALU_DEP_2) | instskip(SKIP_1) | instid1(VALU_DEP_3)
	v_cndmask_b32_e64 v10, v10, v12, s2
	v_cndmask_b32_e64 v12, 0, 0x41b17218, s4
	v_fma_f32 v13, |v9|, v13, 0xbf13c468
	s_delay_alu instid0(VALU_DEP_2) | instskip(NEXT) | instid1(VALU_DEP_1)
	v_sub_f32_e32 v10, v10, v12
	v_fma_f32 v10, |v9|, v13, -v10
.LBB10_74:                              ;   in Loop: Header=BB10_4 Depth=1
	s_or_b32 exec_lo, exec_lo, s3
	v_cmp_le_f16_e64 s2, 0, v8
	s_mov_b32 s4, exec_lo
	v_cmpx_nle_f16_e32 0, v8
	s_xor_b32 s5, exec_lo, s4
	s_cbranch_execz .LBB10_78
; %bb.75:                               ;   in Loop: Header=BB10_4 Depth=1
	v_cmp_gt_f32_e64 s3, 0x4b000000, |v9|
	v_cmp_lt_f32_e64 s4, 0x35000000, |v9|
	s_delay_alu instid0(VALU_DEP_1) | instskip(NEXT) | instid1(SALU_CYCLE_1)
	s_and_b32 s3, s3, s4
	s_and_saveexec_b32 s6, s3
	s_cbranch_execz .LBB10_77
; %bb.76:                               ;   in Loop: Header=BB10_4 Depth=1
	v_mul_f32_e64 v12, |v9|, 0.5
	v_xor_b32_e32 v11, v11, v9
	s_delay_alu instid0(VALU_DEP_2) | instskip(SKIP_1) | instid1(VALU_DEP_2)
	v_floor_f32_e32 v13, v12
	v_cmp_neq_f32_e64 s3, 0x7f800000, v12
	v_sub_f32_e32 v13, v12, v13
	s_delay_alu instid0(VALU_DEP_1) | instskip(NEXT) | instid1(VALU_DEP_1)
	v_min_f32_e32 v13, 0x3f7fffff, v13
	v_add_f32_e32 v13, v13, v13
	s_delay_alu instid0(VALU_DEP_1) | instskip(SKIP_1) | instid1(VALU_DEP_1)
	v_cndmask_b32_e64 v12, 0, v13, s3
	v_cmp_gt_f32_e64 s3, |v9|, 1.0
	v_cndmask_b32_e64 v12, |v9|, v12, s3
	s_delay_alu instid0(VALU_DEP_1) | instskip(NEXT) | instid1(VALU_DEP_1)
	v_add_f32_e32 v13, v12, v12
	v_rndne_f32_e32 v13, v13
	s_delay_alu instid0(VALU_DEP_1) | instskip(SKIP_1) | instid1(VALU_DEP_2)
	v_fmac_f32_e32 v12, -0.5, v13
	v_cvt_i32_f32_e32 v13, v13
	v_mul_f32_e32 v14, v12, v12
	s_delay_alu instid0(VALU_DEP_1) | instskip(SKIP_1) | instid1(VALU_DEP_2)
	v_fmaak_f32 v15, s35, v14, 0xbf1f24be
	v_fmaak_f32 v16, s36, v14, 0x3e642e9d
	;; [unrolled: 1-line block ×3, first 2 shown]
	s_delay_alu instid0(VALU_DEP_2) | instskip(NEXT) | instid1(VALU_DEP_2)
	v_dual_fmaak_f32 v16, v14, v16, 0xbfaad1da :: v_dual_mul_f32 v17, v12, v14
	v_fmaak_f32 v15, v14, v15, 0xc0a55e0e
	s_delay_alu instid0(VALU_DEP_1) | instskip(NEXT) | instid1(VALU_DEP_1)
	v_dual_fmaak_f32 v16, v14, v16, 0x4081e0d3 :: v_dual_mul_f32 v15, v17, v15
	v_dual_fmaak_f32 v16, v14, v16, 0xc09de9e6 :: v_dual_and_b32 v17, 1, v13
	v_lshlrev_b32_e32 v13, 30, v13
	s_delay_alu instid0(VALU_DEP_3) | instskip(NEXT) | instid1(VALU_DEP_3)
	v_fmac_f32_e32 v15, 0x40490fdb, v12
	v_fma_f32 v12, v14, v16, 1.0
	s_delay_alu instid0(VALU_DEP_4) | instskip(NEXT) | instid1(VALU_DEP_4)
	v_cmp_eq_u32_e64 s3, 0, v17
	v_and_b32_e32 v13, 0x80000000, v13
	s_delay_alu instid0(VALU_DEP_2) | instskip(NEXT) | instid1(VALU_DEP_1)
	v_cndmask_b32_e64 v12, v12, v15, s3
	v_xor3_b32 v11, v11, v13, v12
	s_delay_alu instid0(VALU_DEP_1) | instskip(NEXT) | instid1(VALU_DEP_1)
	v_mul_f32_e32 v11, v9, v11
	v_frexp_mant_f32_e64 v12, |v11|
	v_frexp_exp_i32_f32_e32 v11, v11
	s_delay_alu instid0(VALU_DEP_2) | instskip(NEXT) | instid1(VALU_DEP_1)
	v_rcp_f32_e32 v12, v12
	v_sub_nc_u32_e32 v11, 2, v11
	s_waitcnt_depctr 0xfff
	v_mul_f32_e32 v12, 0x3f490fdb, v12
	s_delay_alu instid0(VALU_DEP_1) | instskip(NEXT) | instid1(VALU_DEP_1)
	v_ldexp_f32 v11, v12, v11
	v_cmp_gt_f32_e64 s3, 0x800000, v11
	s_delay_alu instid0(VALU_DEP_1) | instskip(NEXT) | instid1(VALU_DEP_1)
	v_cndmask_b32_e64 v12, 1.0, 0x4f800000, s3
	v_mul_f32_e32 v11, v11, v12
	s_delay_alu instid0(VALU_DEP_1) | instskip(SKIP_3) | instid1(VALU_DEP_2)
	v_log_f32_e32 v11, v11
	s_waitcnt_depctr 0xfff
	v_mul_f32_e32 v12, 0x3f317217, v11
	v_cmp_gt_f32_e64 s4, 0x7f800000, |v11|
	v_fma_f32 v13, 0x3f317217, v11, -v12
	s_delay_alu instid0(VALU_DEP_1) | instskip(NEXT) | instid1(VALU_DEP_1)
	v_fmac_f32_e32 v13, 0x3377d1cf, v11
	v_add_f32_e32 v12, v12, v13
	v_floor_f32_e32 v13, v9
	s_delay_alu instid0(VALU_DEP_2) | instskip(SKIP_1) | instid1(VALU_DEP_3)
	v_cndmask_b32_e64 v11, v11, v12, s4
	v_cndmask_b32_e64 v12, 0, 0x41b17218, s3
	v_sub_f32_e32 v13, v9, v13
	s_delay_alu instid0(VALU_DEP_1) | instskip(NEXT) | instid1(VALU_DEP_1)
	v_dual_sub_f32 v11, v11, v12 :: v_dual_min_f32 v12, 0x3f7fffff, v13
	v_sub_f32_e32 v10, v11, v10
	s_delay_alu instid0(VALU_DEP_2) | instskip(NEXT) | instid1(VALU_DEP_1)
	v_cmp_neq_f32_e64 s3, 0, v12
	v_cndmask_b32_e64 v10, 0x7f800000, v10, s3
.LBB10_77:                              ;   in Loop: Header=BB10_4 Depth=1
	s_or_b32 exec_lo, exec_lo, s6
.LBB10_78:                              ;   in Loop: Header=BB10_4 Depth=1
	s_and_not1_saveexec_b32 s5, s5
; %bb.79:                               ;   in Loop: Header=BB10_4 Depth=1
	v_cmp_eq_f16_e64 s3, 1.0, v8
	v_cmp_eq_f16_e64 s4, 2.0, v8
	s_delay_alu instid0(VALU_DEP_1) | instskip(NEXT) | instid1(SALU_CYCLE_1)
	s_or_b32 s3, s3, s4
	v_cndmask_b32_e64 v10, v10, 0, s3
; %bb.80:                               ;   in Loop: Header=BB10_4 Depth=1
	s_or_b32 exec_lo, exec_lo, s5
	v_cvt_f32_f16_e32 v11, v4
                                        ; implicit-def: $vgpr12
	s_mov_b32 s4, exec_lo
	s_delay_alu instid0(VALU_DEP_1)
	v_and_b32_e32 v13, 0x7fffffff, v11
	v_cmpx_ngt_f32_e64 0x3c800000, |v11|
	s_xor_b32 s5, exec_lo, s4
	s_cbranch_execz .LBB10_110
; %bb.81:                               ;   in Loop: Header=BB10_4 Depth=1
                                        ; implicit-def: $vgpr12
	s_mov_b32 s4, exec_lo
	v_cmpx_nlt_f32_e64 |v11|, 2.0
	s_xor_b32 s6, exec_lo, s4
	s_cbranch_execz .LBB10_91
; %bb.82:                               ;   in Loop: Header=BB10_4 Depth=1
	s_mov_b32 s4, exec_lo
                                        ; implicit-def: $vgpr12
	v_cmpx_ngt_f32_e64 0x41000000, |v11|
	s_xor_b32 s4, exec_lo, s4
	s_cbranch_execz .LBB10_88
; %bb.83:                               ;   in Loop: Header=BB10_4 Depth=1
	s_mov_b32 s37, exec_lo
                                        ; implicit-def: $vgpr12
	v_cmpx_ngt_f32_e64 0x5c800000, |v11|
	s_xor_b32 s37, exec_lo, s37
	s_cbranch_execz .LBB10_85
; %bb.84:                               ;   in Loop: Header=BB10_4 Depth=1
	v_cmp_gt_f32_e64 s38, 0x800000, |v11|
	s_delay_alu instid0(VALU_DEP_1) | instskip(NEXT) | instid1(VALU_DEP_1)
	v_cndmask_b32_e64 v12, 1.0, 0x4f800000, s38
	v_mul_f32_e64 v12, |v11|, v12
	s_delay_alu instid0(VALU_DEP_1) | instskip(SKIP_3) | instid1(VALU_DEP_2)
	v_log_f32_e32 v12, v12
	s_waitcnt_depctr 0xfff
	v_mul_f32_e32 v14, 0x3f317217, v12
	v_cmp_gt_f32_e64 s3, 0x7f800000, |v12|
	v_fma_f32 v15, 0x3f317217, v12, -v14
	s_delay_alu instid0(VALU_DEP_1) | instskip(NEXT) | instid1(VALU_DEP_1)
	v_fmac_f32_e32 v15, 0x3377d1cf, v12
	v_add_f32_e32 v14, v14, v15
	s_delay_alu instid0(VALU_DEP_1) | instskip(SKIP_1) | instid1(VALU_DEP_1)
	v_cndmask_b32_e64 v12, v12, v14, s3
	v_cndmask_b32_e64 v14, 0, 0x41b17218, s38
	v_sub_f32_e32 v12, v12, v14
	s_delay_alu instid0(VALU_DEP_1)
	v_fma_f32 v12, |v11|, v12, -|v11|
.LBB10_85:                              ;   in Loop: Header=BB10_4 Depth=1
	s_and_not1_saveexec_b32 s37, s37
	s_cbranch_execz .LBB10_87
; %bb.86:                               ;   in Loop: Header=BB10_4 Depth=1
	v_cmp_gt_f32_e64 s38, 0x800000, |v11|
	v_rcp_f32_e64 v14, |v11|
	s_delay_alu instid0(VALU_DEP_1) | instskip(NEXT) | instid1(VALU_DEP_1)
	v_cndmask_b32_e64 v12, 1.0, 0x4f800000, s38
	v_mul_f32_e64 v12, |v11|, v12
	s_delay_alu instid0(VALU_DEP_1) | instskip(SKIP_3) | instid1(VALU_DEP_2)
	v_log_f32_e32 v12, v12
	s_waitcnt_depctr 0xfff
	v_dual_mul_f32 v15, v14, v14 :: v_dual_mul_f32 v16, 0x3f317217, v12
	v_cmp_gt_f32_e64 s3, 0x7f800000, |v12|
	v_fma_f32 v18, 0x3f317217, v12, -v16
	s_delay_alu instid0(VALU_DEP_1) | instskip(NEXT) | instid1(VALU_DEP_1)
	v_fmac_f32_e32 v18, 0x3377d1cf, v12
	v_dual_fmaak_f32 v17, s21, v15, 0x3a5b3dd2 :: v_dual_add_f32 v16, v16, v18
	s_delay_alu instid0(VALU_DEP_1) | instskip(SKIP_1) | instid1(VALU_DEP_1)
	v_cndmask_b32_e64 v12, v12, v16, s3
	v_cndmask_b32_e64 v16, 0, 0x41b17218, s38
	v_dual_fmaak_f32 v17, v15, v17, 0xba1c065c :: v_dual_sub_f32 v16, v12, v16
	s_delay_alu instid0(VALU_DEP_1) | instskip(NEXT) | instid1(VALU_DEP_1)
	v_fmaak_f32 v17, v15, v17, 0x3a500cfd
	v_fmaak_f32 v17, v15, v17, 0xbb360b61
	s_delay_alu instid0(VALU_DEP_1) | instskip(NEXT) | instid1(VALU_DEP_1)
	v_fmaak_f32 v15, v15, v17, 0x3daaaaab
	v_dual_fmaak_f32 v12, v14, v15, 0x3ed67f1d :: v_dual_add_f32 v15, -1.0, v16
	v_add_f32_e64 v14, |v11|, -0.5
	s_delay_alu instid0(VALU_DEP_1)
	v_fmac_f32_e32 v12, v14, v15
.LBB10_87:                              ;   in Loop: Header=BB10_4 Depth=1
	s_or_b32 exec_lo, exec_lo, s37
.LBB10_88:                              ;   in Loop: Header=BB10_4 Depth=1
	s_and_not1_saveexec_b32 s37, s4
	s_cbranch_execz .LBB10_90
; %bb.89:                               ;   in Loop: Header=BB10_4 Depth=1
	v_cvt_i32_f32_e32 v12, v13
	s_delay_alu instid0(VALU_DEP_1) | instskip(SKIP_1) | instid1(VALU_DEP_2)
	v_cvt_f32_i32_e32 v14, v12
	v_cmp_lt_i32_e64 s3, 2, v12
	v_sub_f32_e64 v14, |v11|, v14
	s_delay_alu instid0(VALU_DEP_1) | instskip(SKIP_2) | instid1(VALU_DEP_3)
	v_add_f32_e32 v15, 2.0, v14
	v_add_f32_e32 v16, 0x40400000, v14
	v_add_f32_e32 v17, 4.0, v14
	v_cndmask_b32_e64 v15, 1.0, v15, s3
	v_cmp_lt_i32_e64 s3, 3, v12
	s_delay_alu instid0(VALU_DEP_1) | instskip(SKIP_1) | instid1(VALU_DEP_2)
	v_cndmask_b32_e64 v16, 1.0, v16, s3
	v_cmp_lt_i32_e64 s3, 4, v12
	v_dual_add_f32 v18, 0x40a00000, v14 :: v_dual_mul_f32 v15, v15, v16
	s_delay_alu instid0(VALU_DEP_2) | instskip(SKIP_1) | instid1(VALU_DEP_2)
	v_cndmask_b32_e64 v17, 1.0, v17, s3
	v_cmp_lt_i32_e64 s3, 5, v12
	v_mul_f32_e32 v15, v17, v15
	s_delay_alu instid0(VALU_DEP_2) | instskip(SKIP_3) | instid1(VALU_DEP_4)
	v_cndmask_b32_e64 v18, 1.0, v18, s3
	v_add_f32_e32 v16, 0x40c00000, v14
	v_cmp_lt_i32_e64 s3, 6, v12
	v_fmaak_f32 v17, s22, v14, 0x3af135b4
	v_mul_f32_e32 v15, v18, v15
	s_delay_alu instid0(VALU_DEP_3) | instskip(NEXT) | instid1(VALU_DEP_1)
	v_cndmask_b32_e64 v12, 1.0, v16, s3
	v_mul_f32_e32 v12, v12, v15
	s_delay_alu instid0(VALU_DEP_1) | instskip(NEXT) | instid1(VALU_DEP_1)
	v_cmp_gt_f32_e64 s3, 0x800000, v12
	v_cndmask_b32_e64 v16, 1.0, 0x4f800000, s3
	s_delay_alu instid0(VALU_DEP_1) | instskip(SKIP_1) | instid1(VALU_DEP_2)
	v_mul_f32_e32 v12, v12, v16
	v_fmaak_f32 v16, v14, v17, 0x3cda40e4
	v_log_f32_e32 v12, v12
	s_waitcnt_depctr 0xfff
	v_mul_f32_e32 v17, 0x3f317217, v12
	v_cmp_gt_f32_e64 s4, 0x7f800000, |v12|
	s_delay_alu instid0(VALU_DEP_2) | instskip(NEXT) | instid1(VALU_DEP_1)
	v_fma_f32 v18, 0x3f317217, v12, -v17
	v_fmac_f32_e32 v18, 0x3377d1cf, v12
	s_delay_alu instid0(VALU_DEP_1) | instskip(NEXT) | instid1(VALU_DEP_1)
	v_dual_add_f32 v17, v17, v18 :: v_dual_fmaak_f32 v16, v14, v16, 0x3e15dce6
	v_cndmask_b32_e64 v12, v12, v17, s4
	s_delay_alu instid0(VALU_DEP_2) | instskip(NEXT) | instid1(VALU_DEP_1)
	v_fmaak_f32 v16, v14, v16, 0x3ea6cc7a
	v_fmaak_f32 v16, v14, v16, 0x3e5c245a
	s_delay_alu instid0(VALU_DEP_1) | instskip(NEXT) | instid1(VALU_DEP_1)
	v_fmaak_f32 v16, v14, v16, 0xbd9e233f
	v_dual_fmaak_f32 v15, s23, v14, 0x3a4beed6 :: v_dual_mul_f32 v16, v14, v16
	s_delay_alu instid0(VALU_DEP_1) | instskip(NEXT) | instid1(VALU_DEP_1)
	v_fmaak_f32 v15, v14, v15, 0x3c98bf54
	v_fmaak_f32 v15, v14, v15, 0x3e300f6e
	s_delay_alu instid0(VALU_DEP_1) | instskip(NEXT) | instid1(VALU_DEP_1)
	v_fmaak_f32 v15, v14, v15, 0x3f38d0c5
	v_fmaak_f32 v15, v14, v15, 0x3fb22d3b
	s_delay_alu instid0(VALU_DEP_1) | instskip(NEXT) | instid1(VALU_DEP_1)
	v_fma_f32 v15, v14, v15, 1.0
	v_rcp_f32_e32 v15, v15
	s_waitcnt_depctr 0xfff
	v_mul_f32_e32 v15, v16, v15
	v_cndmask_b32_e64 v16, 0, 0x41b17218, s3
	s_delay_alu instid0(VALU_DEP_1) | instskip(NEXT) | instid1(VALU_DEP_1)
	v_dual_fmac_f32 v15, 0.5, v14 :: v_dual_sub_f32 v12, v12, v16
	v_add_f32_e32 v12, v12, v15
.LBB10_90:                              ;   in Loop: Header=BB10_4 Depth=1
	s_or_b32 exec_lo, exec_lo, s37
.LBB10_91:                              ;   in Loop: Header=BB10_4 Depth=1
	s_and_not1_saveexec_b32 s6, s6
	s_cbranch_execz .LBB10_109
; %bb.92:                               ;   in Loop: Header=BB10_4 Depth=1
                                        ; implicit-def: $vgpr12
                                        ; implicit-def: $vgpr15
                                        ; implicit-def: $vgpr14
	s_mov_b32 s4, exec_lo
	v_cmpx_ge_f32_e64 0x3f666666, |v11|
	s_xor_b32 s37, exec_lo, s4
	s_cbranch_execz .LBB10_94
; %bb.93:                               ;   in Loop: Header=BB10_4 Depth=1
	v_cmp_gt_f32_e64 s4, 0x800000, |v11|
	v_sub_f32_e64 v16, 1.0, |v11|
	v_cmp_gt_f32_e64 s3, 0x3f3b4a23, |v11|
	s_delay_alu instid0(VALU_DEP_3) | instskip(SKIP_1) | instid1(VALU_DEP_2)
	v_cndmask_b32_e64 v12, 1.0, 0x4f800000, s4
	v_cndmask_b32_e64 v17, 0, 0x41b17218, s4
	v_mul_f32_e64 v12, |v11|, v12
	s_delay_alu instid0(VALU_DEP_1) | instskip(SKIP_3) | instid1(VALU_DEP_2)
	v_log_f32_e32 v12, v12
	s_waitcnt_depctr 0xfff
	v_mul_f32_e32 v14, 0x3f317217, v12
	v_cmp_gt_f32_e64 s4, 0x7f800000, |v12|
	v_fma_f32 v15, 0x3f317217, v12, -v14
	s_delay_alu instid0(VALU_DEP_1) | instskip(NEXT) | instid1(VALU_DEP_1)
	v_fmac_f32_e32 v15, 0x3377d1cf, v12
	v_add_f32_e32 v14, v14, v15
	v_add_f32_e64 v15, 0xbeec5b0c, |v11|
	s_delay_alu instid0(VALU_DEP_2) | instskip(NEXT) | instid1(VALU_DEP_2)
	v_cndmask_b32_e64 v12, v12, v14, s4
	v_cndmask_b32_e64 v14, v16, v15, s3
	;; [unrolled: 1-line block ×3, first 2 shown]
	v_cmp_gt_f32_e64 s3, 0x3e6d3309, |v11|
	s_delay_alu instid0(VALU_DEP_4) | instskip(NEXT) | instid1(VALU_DEP_2)
	v_sub_f32_e32 v12, v12, v17
	v_cndmask_b32_e64 v14, v14, |v11|, s3
	s_delay_alu instid0(VALU_DEP_4) | instskip(NEXT) | instid1(VALU_DEP_3)
	v_cndmask_b32_e64 v15, v15, 2, s3
	v_xor_b32_e32 v12, 0x80000000, v12
.LBB10_94:                              ;   in Loop: Header=BB10_4 Depth=1
	s_and_not1_saveexec_b32 s4, s37
; %bb.95:                               ;   in Loop: Header=BB10_4 Depth=1
	v_sub_f32_e64 v12, 2.0, |v11|
	v_add_f32_e64 v14, 0xbfbb16c3, |v11|
	v_cmp_gt_f32_e64 s3, 0x3fdda512, |v11|
	v_add_f32_e64 v15, |v11|, -1.0
	s_delay_alu instid0(VALU_DEP_2) | instskip(SKIP_2) | instid1(VALU_DEP_2)
	v_cndmask_b32_e64 v14, v12, v14, s3
	v_cndmask_b32_e64 v12, v12, 1.0, s3
	v_cmp_gt_f32_e64 s3, 0x3f9d70a4, |v11|
	v_cvt_i32_f32_e32 v12, v12
	s_delay_alu instid0(VALU_DEP_2) | instskip(NEXT) | instid1(VALU_DEP_2)
	v_cndmask_b32_e64 v14, v14, v15, s3
	v_cndmask_b32_e64 v15, v12, 2, s3
	v_mov_b32_e32 v12, 0
; %bb.96:                               ;   in Loop: Header=BB10_4 Depth=1
	s_or_b32 exec_lo, exec_lo, s4
	s_delay_alu instid0(SALU_CYCLE_1) | instskip(NEXT) | instid1(VALU_DEP_2)
	s_mov_b32 s4, exec_lo
	v_cmpx_lt_i32_e32 0, v15
	s_xor_b32 s4, exec_lo, s4
	s_cbranch_execz .LBB10_104
; %bb.97:                               ;   in Loop: Header=BB10_4 Depth=1
	s_mov_b32 s37, exec_lo
	v_cmpx_lt_i32_e32 1, v15
	s_xor_b32 s37, exec_lo, s37
	s_cbranch_execz .LBB10_101
; %bb.98:                               ;   in Loop: Header=BB10_4 Depth=1
	s_mov_b32 s38, exec_lo
	v_cmpx_eq_u32_e32 2, v15
	s_cbranch_execz .LBB10_100
; %bb.99:                               ;   in Loop: Header=BB10_4 Depth=1
	v_fmaak_f32 v16, s24, v14, 0x3e6a7578
	s_delay_alu instid0(VALU_DEP_1) | instskip(NEXT) | instid1(VALU_DEP_1)
	v_fmaak_f32 v16, v14, v16, 0x3f7a4bb2
	v_fmaak_f32 v16, v14, v16, 0x3fba3ae7
	s_delay_alu instid0(VALU_DEP_1) | instskip(NEXT) | instid1(VALU_DEP_1)
	v_fmaak_f32 v16, v14, v16, 0x3f2200f4
	v_fmaak_f32 v16, v14, v16, 0xbd9e233f
	s_delay_alu instid0(VALU_DEP_1) | instskip(NEXT) | instid1(VALU_DEP_1)
	v_dual_fmaak_f32 v15, s25, v14, 0x3dd572af :: v_dual_mul_f32 v16, v14, v16
	v_fmaak_f32 v15, v14, v15, 0x3f44efdf
	s_delay_alu instid0(VALU_DEP_1) | instskip(NEXT) | instid1(VALU_DEP_1)
	v_fmaak_f32 v15, v14, v15, 0x4008392d
	v_fmaak_f32 v15, v14, v15, 0x401d2ebe
	s_delay_alu instid0(VALU_DEP_1) | instskip(NEXT) | instid1(VALU_DEP_1)
	v_fma_f32 v15, v14, v15, 1.0
	v_rcp_f32_e32 v15, v15
	s_waitcnt_depctr 0xfff
	v_mul_f32_e32 v15, v16, v15
	s_delay_alu instid0(VALU_DEP_1) | instskip(NEXT) | instid1(VALU_DEP_1)
	v_fmac_f32_e32 v15, -0.5, v14
	v_add_f32_e32 v12, v12, v15
.LBB10_100:                             ;   in Loop: Header=BB10_4 Depth=1
	s_or_b32 exec_lo, exec_lo, s38
                                        ; implicit-def: $vgpr14
.LBB10_101:                             ;   in Loop: Header=BB10_4 Depth=1
	s_and_not1_saveexec_b32 s3, s37
	s_cbranch_execz .LBB10_103
; %bb.102:                              ;   in Loop: Header=BB10_4 Depth=1
	v_mul_f32_e32 v15, v14, v14
	s_delay_alu instid0(VALU_DEP_1) | instskip(NEXT) | instid1(VALU_DEP_1)
	v_mul_f32_e32 v16, v14, v15
	v_fmaak_f32 v18, s28, v16, 0xba0d3085
	v_fmaak_f32 v17, s27, v16, 0x3a66f867
	;; [unrolled: 1-line block ×3, first 2 shown]
	s_delay_alu instid0(VALU_DEP_3) | instskip(NEXT) | instid1(VALU_DEP_3)
	v_fmaak_f32 v18, v16, v18, 0x3b141699
	v_fmaak_f32 v17, v16, v17, 0xbb7177fe
	s_delay_alu instid0(VALU_DEP_3) | instskip(NEXT) | instid1(VALU_DEP_3)
	v_fmaak_f32 v19, v16, v19, 0x3bc7e707
	v_fmaak_f32 v18, v16, v18, 0xbc28fcfe
	;; [unrolled: 3-line block ×4, first 2 shown]
	s_delay_alu instid0(VALU_DEP_1) | instskip(NEXT) | instid1(VALU_DEP_1)
	v_dual_fmac_f32 v17, v14, v18 :: v_dual_fmaak_f32 v14, v16, v19, 0x3ef7b95e
	v_fma_f32 v16, v16, -v17, 0xa2863e55
	s_delay_alu instid0(VALU_DEP_1) | instskip(NEXT) | instid1(VALU_DEP_1)
	v_fma_f32 v14, v15, v14, -v16
	v_add_f32_e32 v14, 0xbdf8cdce, v14
	s_delay_alu instid0(VALU_DEP_1)
	v_add_f32_e32 v12, v12, v14
.LBB10_103:                             ;   in Loop: Header=BB10_4 Depth=1
	s_or_b32 exec_lo, exec_lo, s3
                                        ; implicit-def: $vgpr15
                                        ; implicit-def: $vgpr14
.LBB10_104:                             ;   in Loop: Header=BB10_4 Depth=1
	s_and_not1_saveexec_b32 s4, s4
	s_cbranch_execz .LBB10_108
; %bb.105:                              ;   in Loop: Header=BB10_4 Depth=1
	s_mov_b32 s37, exec_lo
	v_cmpx_eq_u32_e32 0, v15
	s_cbranch_execz .LBB10_107
; %bb.106:                              ;   in Loop: Header=BB10_4 Depth=1
	v_mul_f32_e32 v15, v14, v14
	s_delay_alu instid0(VALU_DEP_1) | instskip(NEXT) | instid1(VALU_DEP_1)
	v_fmaak_f32 v17, s29, v15, 0x39679767
	v_fmaak_f32 v17, v15, v17, 0x3a9c54a1
	s_delay_alu instid0(VALU_DEP_1) | instskip(NEXT) | instid1(VALU_DEP_1)
	v_fmaak_f32 v17, v15, v17, 0x3bf2027e
	v_fmaak_f32 v17, v15, v17, 0x3d89f001
	s_delay_alu instid0(VALU_DEP_1) | instskip(SKIP_1) | instid1(VALU_DEP_1)
	v_fmaak_f32 v17, v15, v17, 0x3d9e233f
	v_fmaak_f32 v16, s33, v15, 0x38e28445
	;; [unrolled: 1-line block ×3, first 2 shown]
	s_delay_alu instid0(VALU_DEP_1) | instskip(NEXT) | instid1(VALU_DEP_1)
	v_fmaak_f32 v16, v15, v16, 0x3b3d6ec6
	v_fmaak_f32 v16, v15, v16, 0x3ca89915
	s_delay_alu instid0(VALU_DEP_1) | instskip(NEXT) | instid1(VALU_DEP_1)
	v_fmaak_f32 v16, v15, v16, 0x3ea51a66
	v_mul_f32_e32 v15, v15, v16
	s_delay_alu instid0(VALU_DEP_1) | instskip(NEXT) | instid1(VALU_DEP_1)
	v_fmac_f32_e32 v15, v14, v17
	v_fmac_f32_e32 v15, -0.5, v14
	s_delay_alu instid0(VALU_DEP_1)
	v_add_f32_e32 v12, v12, v15
.LBB10_107:                             ;   in Loop: Header=BB10_4 Depth=1
	s_or_b32 exec_lo, exec_lo, s37
.LBB10_108:                             ;   in Loop: Header=BB10_4 Depth=1
	s_delay_alu instid0(SALU_CYCLE_1)
	s_or_b32 exec_lo, exec_lo, s4
.LBB10_109:                             ;   in Loop: Header=BB10_4 Depth=1
	s_delay_alu instid0(SALU_CYCLE_1)
	s_or_b32 exec_lo, exec_lo, s6
.LBB10_110:                             ;   in Loop: Header=BB10_4 Depth=1
	s_and_not1_saveexec_b32 s4, s5
	s_cbranch_execz .LBB10_112
; %bb.111:                              ;   in Loop: Header=BB10_4 Depth=1
	v_cmp_gt_f32_e64 s5, 0x800000, |v11|
	v_fma_f32 v16, |v11|, s34, 0xbecd26ab
	s_delay_alu instid0(VALU_DEP_2) | instskip(NEXT) | instid1(VALU_DEP_1)
	v_cndmask_b32_e64 v12, 1.0, 0x4f800000, s5
	v_mul_f32_e64 v12, |v11|, v12
	s_delay_alu instid0(VALU_DEP_1) | instskip(SKIP_3) | instid1(VALU_DEP_2)
	v_log_f32_e32 v12, v12
	s_waitcnt_depctr 0xfff
	v_mul_f32_e32 v14, 0x3f317217, v12
	v_cmp_gt_f32_e64 s3, 0x7f800000, |v12|
	v_fma_f32 v15, 0x3f317217, v12, -v14
	s_delay_alu instid0(VALU_DEP_1) | instskip(NEXT) | instid1(VALU_DEP_1)
	v_fmac_f32_e32 v15, 0x3377d1cf, v12
	v_add_f32_e32 v14, v14, v15
	v_fma_f32 v15, |v11|, v16, 0x3f528d33
	s_delay_alu instid0(VALU_DEP_2) | instskip(SKIP_1) | instid1(VALU_DEP_3)
	v_cndmask_b32_e64 v12, v12, v14, s3
	v_cndmask_b32_e64 v14, 0, 0x41b17218, s5
	v_fma_f32 v15, |v11|, v15, 0xbf13c468
	s_delay_alu instid0(VALU_DEP_2) | instskip(NEXT) | instid1(VALU_DEP_1)
	v_sub_f32_e32 v12, v12, v14
	v_fma_f32 v12, |v11|, v15, -v12
.LBB10_112:                             ;   in Loop: Header=BB10_4 Depth=1
	s_or_b32 exec_lo, exec_lo, s4
	v_cmp_le_f16_e64 s3, 0, v4
	s_mov_b32 s5, exec_lo
	v_cmpx_nle_f16_e32 0, v4
	s_xor_b32 s6, exec_lo, s5
	s_cbranch_execz .LBB10_116
; %bb.113:                              ;   in Loop: Header=BB10_4 Depth=1
	v_cmp_gt_f32_e64 s4, 0x4b000000, |v11|
	v_cmp_lt_f32_e64 s5, 0x35000000, |v11|
	s_delay_alu instid0(VALU_DEP_1) | instskip(NEXT) | instid1(SALU_CYCLE_1)
	s_and_b32 s4, s4, s5
	s_and_saveexec_b32 s37, s4
	s_cbranch_execz .LBB10_115
; %bb.114:                              ;   in Loop: Header=BB10_4 Depth=1
	v_mul_f32_e64 v14, |v11|, 0.5
	v_xor_b32_e32 v13, v13, v11
	s_delay_alu instid0(VALU_DEP_2) | instskip(SKIP_1) | instid1(VALU_DEP_2)
	v_floor_f32_e32 v15, v14
	v_cmp_neq_f32_e64 s4, 0x7f800000, v14
	v_sub_f32_e32 v15, v14, v15
	s_delay_alu instid0(VALU_DEP_1) | instskip(NEXT) | instid1(VALU_DEP_1)
	v_min_f32_e32 v15, 0x3f7fffff, v15
	v_add_f32_e32 v15, v15, v15
	s_delay_alu instid0(VALU_DEP_1) | instskip(SKIP_1) | instid1(VALU_DEP_1)
	v_cndmask_b32_e64 v14, 0, v15, s4
	v_cmp_gt_f32_e64 s4, |v11|, 1.0
	v_cndmask_b32_e64 v14, |v11|, v14, s4
	s_delay_alu instid0(VALU_DEP_1) | instskip(NEXT) | instid1(VALU_DEP_1)
	v_add_f32_e32 v15, v14, v14
	v_rndne_f32_e32 v15, v15
	s_delay_alu instid0(VALU_DEP_1) | instskip(SKIP_1) | instid1(VALU_DEP_2)
	v_fmac_f32_e32 v14, -0.5, v15
	v_cvt_i32_f32_e32 v15, v15
	v_mul_f32_e32 v16, v14, v14
	s_delay_alu instid0(VALU_DEP_1) | instskip(SKIP_1) | instid1(VALU_DEP_2)
	v_fmaak_f32 v17, s35, v16, 0xbf1f24be
	v_fmaak_f32 v18, s36, v16, 0x3e642e9d
	;; [unrolled: 1-line block ×3, first 2 shown]
	s_delay_alu instid0(VALU_DEP_2) | instskip(NEXT) | instid1(VALU_DEP_2)
	v_dual_fmaak_f32 v18, v16, v18, 0xbfaad1da :: v_dual_mul_f32 v19, v14, v16
	v_fmaak_f32 v17, v16, v17, 0xc0a55e0e
	s_delay_alu instid0(VALU_DEP_1) | instskip(NEXT) | instid1(VALU_DEP_1)
	v_dual_fmaak_f32 v18, v16, v18, 0x4081e0d3 :: v_dual_mul_f32 v17, v19, v17
	v_dual_fmaak_f32 v18, v16, v18, 0xc09de9e6 :: v_dual_and_b32 v19, 1, v15
	v_lshlrev_b32_e32 v15, 30, v15
	s_delay_alu instid0(VALU_DEP_3) | instskip(NEXT) | instid1(VALU_DEP_3)
	v_fmac_f32_e32 v17, 0x40490fdb, v14
	v_fma_f32 v14, v16, v18, 1.0
	s_delay_alu instid0(VALU_DEP_4) | instskip(NEXT) | instid1(VALU_DEP_4)
	v_cmp_eq_u32_e64 s4, 0, v19
	v_and_b32_e32 v15, 0x80000000, v15
	s_delay_alu instid0(VALU_DEP_2) | instskip(NEXT) | instid1(VALU_DEP_1)
	v_cndmask_b32_e64 v14, v14, v17, s4
	v_xor3_b32 v13, v13, v15, v14
	s_delay_alu instid0(VALU_DEP_1) | instskip(NEXT) | instid1(VALU_DEP_1)
	v_mul_f32_e32 v13, v11, v13
	v_frexp_mant_f32_e64 v14, |v13|
	v_frexp_exp_i32_f32_e32 v13, v13
	s_delay_alu instid0(VALU_DEP_2) | instskip(NEXT) | instid1(VALU_DEP_1)
	v_rcp_f32_e32 v14, v14
	v_sub_nc_u32_e32 v13, 2, v13
	s_waitcnt_depctr 0xfff
	v_mul_f32_e32 v14, 0x3f490fdb, v14
	s_delay_alu instid0(VALU_DEP_1) | instskip(NEXT) | instid1(VALU_DEP_1)
	v_ldexp_f32 v13, v14, v13
	v_cmp_gt_f32_e64 s4, 0x800000, v13
	s_delay_alu instid0(VALU_DEP_1) | instskip(NEXT) | instid1(VALU_DEP_1)
	v_cndmask_b32_e64 v14, 1.0, 0x4f800000, s4
	v_mul_f32_e32 v13, v13, v14
	s_delay_alu instid0(VALU_DEP_1) | instskip(SKIP_3) | instid1(VALU_DEP_2)
	v_log_f32_e32 v13, v13
	s_waitcnt_depctr 0xfff
	v_mul_f32_e32 v14, 0x3f317217, v13
	v_cmp_gt_f32_e64 s5, 0x7f800000, |v13|
	v_fma_f32 v15, 0x3f317217, v13, -v14
	s_delay_alu instid0(VALU_DEP_1) | instskip(NEXT) | instid1(VALU_DEP_1)
	v_fmac_f32_e32 v15, 0x3377d1cf, v13
	v_add_f32_e32 v14, v14, v15
	v_floor_f32_e32 v15, v11
	s_delay_alu instid0(VALU_DEP_2) | instskip(SKIP_1) | instid1(VALU_DEP_3)
	v_cndmask_b32_e64 v13, v13, v14, s5
	v_cndmask_b32_e64 v14, 0, 0x41b17218, s4
	v_sub_f32_e32 v15, v11, v15
	s_delay_alu instid0(VALU_DEP_1) | instskip(NEXT) | instid1(VALU_DEP_1)
	v_dual_sub_f32 v13, v13, v14 :: v_dual_min_f32 v14, 0x3f7fffff, v15
	v_sub_f32_e32 v12, v13, v12
	s_delay_alu instid0(VALU_DEP_2) | instskip(NEXT) | instid1(VALU_DEP_1)
	v_cmp_neq_f32_e64 s4, 0, v14
	v_cndmask_b32_e64 v12, 0x7f800000, v12, s4
.LBB10_115:                             ;   in Loop: Header=BB10_4 Depth=1
	s_or_b32 exec_lo, exec_lo, s37
.LBB10_116:                             ;   in Loop: Header=BB10_4 Depth=1
	s_and_not1_saveexec_b32 s6, s6
; %bb.117:                              ;   in Loop: Header=BB10_4 Depth=1
	v_cmp_eq_f16_e64 s4, 1.0, v4
	v_cmp_eq_f16_e64 s5, 2.0, v4
	s_delay_alu instid0(VALU_DEP_1) | instskip(NEXT) | instid1(SALU_CYCLE_1)
	s_or_b32 s4, s4, s5
	v_cndmask_b32_e64 v12, v12, 0, s4
; %bb.118:                              ;   in Loop: Header=BB10_4 Depth=1
	s_or_b32 exec_lo, exec_lo, s6
	v_lshrrev_b32_e32 v13, 16, v4
                                        ; implicit-def: $vgpr16
	s_mov_b32 s5, exec_lo
	s_delay_alu instid0(VALU_DEP_1) | instskip(NEXT) | instid1(VALU_DEP_1)
	v_cvt_f32_f16_e32 v14, v13
	v_and_b32_e32 v15, 0x7fffffff, v14
	v_cmpx_ngt_f32_e64 0x3c800000, |v14|
	s_xor_b32 s6, exec_lo, s5
	s_cbranch_execz .LBB10_148
; %bb.119:                              ;   in Loop: Header=BB10_4 Depth=1
                                        ; implicit-def: $vgpr16
	s_mov_b32 s5, exec_lo
	v_cmpx_nlt_f32_e64 |v14|, 2.0
	s_xor_b32 s37, exec_lo, s5
	s_cbranch_execz .LBB10_129
; %bb.120:                              ;   in Loop: Header=BB10_4 Depth=1
	s_mov_b32 s5, exec_lo
                                        ; implicit-def: $vgpr16
	v_cmpx_ngt_f32_e64 0x41000000, |v14|
	s_xor_b32 s5, exec_lo, s5
	s_cbranch_execz .LBB10_126
; %bb.121:                              ;   in Loop: Header=BB10_4 Depth=1
	s_mov_b32 s38, exec_lo
                                        ; implicit-def: $vgpr16
	v_cmpx_ngt_f32_e64 0x5c800000, |v14|
	s_xor_b32 s38, exec_lo, s38
	s_cbranch_execz .LBB10_123
; %bb.122:                              ;   in Loop: Header=BB10_4 Depth=1
	v_cmp_gt_f32_e64 s39, 0x800000, |v14|
	s_delay_alu instid0(VALU_DEP_1) | instskip(NEXT) | instid1(VALU_DEP_1)
	v_cndmask_b32_e64 v16, 1.0, 0x4f800000, s39
	v_mul_f32_e64 v16, |v14|, v16
	s_delay_alu instid0(VALU_DEP_1) | instskip(SKIP_3) | instid1(VALU_DEP_2)
	v_log_f32_e32 v16, v16
	s_waitcnt_depctr 0xfff
	v_mul_f32_e32 v17, 0x3f317217, v16
	v_cmp_gt_f32_e64 s4, 0x7f800000, |v16|
	v_fma_f32 v18, 0x3f317217, v16, -v17
	s_delay_alu instid0(VALU_DEP_1) | instskip(NEXT) | instid1(VALU_DEP_1)
	v_fmac_f32_e32 v18, 0x3377d1cf, v16
	v_add_f32_e32 v17, v17, v18
	s_delay_alu instid0(VALU_DEP_1) | instskip(SKIP_1) | instid1(VALU_DEP_1)
	v_cndmask_b32_e64 v16, v16, v17, s4
	v_cndmask_b32_e64 v17, 0, 0x41b17218, s39
	v_sub_f32_e32 v16, v16, v17
	s_delay_alu instid0(VALU_DEP_1)
	v_fma_f32 v16, |v14|, v16, -|v14|
.LBB10_123:                             ;   in Loop: Header=BB10_4 Depth=1
	s_and_not1_saveexec_b32 s38, s38
	s_cbranch_execz .LBB10_125
; %bb.124:                              ;   in Loop: Header=BB10_4 Depth=1
	v_cmp_gt_f32_e64 s39, 0x800000, |v14|
	v_rcp_f32_e64 v17, |v14|
	s_delay_alu instid0(VALU_DEP_1) | instskip(NEXT) | instid1(VALU_DEP_1)
	v_cndmask_b32_e64 v16, 1.0, 0x4f800000, s39
	v_mul_f32_e64 v16, |v14|, v16
	s_delay_alu instid0(VALU_DEP_1) | instskip(SKIP_3) | instid1(VALU_DEP_2)
	v_log_f32_e32 v16, v16
	s_waitcnt_depctr 0xfff
	v_dual_mul_f32 v18, v17, v17 :: v_dual_mul_f32 v19, 0x3f317217, v16
	v_cmp_gt_f32_e64 s4, 0x7f800000, |v16|
	v_fma_f32 v21, 0x3f317217, v16, -v19
	s_delay_alu instid0(VALU_DEP_1) | instskip(NEXT) | instid1(VALU_DEP_1)
	v_fmac_f32_e32 v21, 0x3377d1cf, v16
	v_dual_fmaak_f32 v20, s21, v18, 0x3a5b3dd2 :: v_dual_add_f32 v19, v19, v21
	s_delay_alu instid0(VALU_DEP_1) | instskip(SKIP_1) | instid1(VALU_DEP_1)
	v_cndmask_b32_e64 v16, v16, v19, s4
	v_cndmask_b32_e64 v19, 0, 0x41b17218, s39
	v_dual_fmaak_f32 v20, v18, v20, 0xba1c065c :: v_dual_sub_f32 v19, v16, v19
	s_delay_alu instid0(VALU_DEP_1) | instskip(NEXT) | instid1(VALU_DEP_1)
	v_fmaak_f32 v20, v18, v20, 0x3a500cfd
	v_fmaak_f32 v20, v18, v20, 0xbb360b61
	s_delay_alu instid0(VALU_DEP_1) | instskip(NEXT) | instid1(VALU_DEP_1)
	v_fmaak_f32 v18, v18, v20, 0x3daaaaab
	v_fmaak_f32 v16, v17, v18, 0x3ed67f1d
	v_add_f32_e64 v17, |v14|, -0.5
	v_add_f32_e32 v18, -1.0, v19
	s_delay_alu instid0(VALU_DEP_1)
	v_fmac_f32_e32 v16, v17, v18
.LBB10_125:                             ;   in Loop: Header=BB10_4 Depth=1
	s_or_b32 exec_lo, exec_lo, s38
.LBB10_126:                             ;   in Loop: Header=BB10_4 Depth=1
	s_and_not1_saveexec_b32 s38, s5
	s_cbranch_execz .LBB10_128
; %bb.127:                              ;   in Loop: Header=BB10_4 Depth=1
	v_cvt_i32_f32_e32 v16, v15
	s_delay_alu instid0(VALU_DEP_1) | instskip(SKIP_1) | instid1(VALU_DEP_2)
	v_cvt_f32_i32_e32 v17, v16
	v_cmp_lt_i32_e64 s4, 2, v16
	v_sub_f32_e64 v17, |v14|, v17
	s_delay_alu instid0(VALU_DEP_1) | instskip(SKIP_2) | instid1(VALU_DEP_3)
	v_add_f32_e32 v18, 2.0, v17
	v_add_f32_e32 v19, 0x40400000, v17
	v_add_f32_e32 v20, 4.0, v17
	v_cndmask_b32_e64 v18, 1.0, v18, s4
	v_cmp_lt_i32_e64 s4, 3, v16
	s_delay_alu instid0(VALU_DEP_1) | instskip(SKIP_1) | instid1(VALU_DEP_2)
	v_cndmask_b32_e64 v19, 1.0, v19, s4
	v_cmp_lt_i32_e64 s4, 4, v16
	v_dual_add_f32 v21, 0x40a00000, v17 :: v_dual_mul_f32 v18, v18, v19
	s_delay_alu instid0(VALU_DEP_2) | instskip(SKIP_1) | instid1(VALU_DEP_2)
	v_cndmask_b32_e64 v20, 1.0, v20, s4
	v_cmp_lt_i32_e64 s4, 5, v16
	v_mul_f32_e32 v18, v20, v18
	s_delay_alu instid0(VALU_DEP_2) | instskip(SKIP_3) | instid1(VALU_DEP_4)
	v_cndmask_b32_e64 v21, 1.0, v21, s4
	v_add_f32_e32 v19, 0x40c00000, v17
	v_cmp_lt_i32_e64 s4, 6, v16
	v_fmaak_f32 v20, s22, v17, 0x3af135b4
	v_mul_f32_e32 v18, v21, v18
	s_delay_alu instid0(VALU_DEP_3) | instskip(NEXT) | instid1(VALU_DEP_1)
	v_cndmask_b32_e64 v16, 1.0, v19, s4
	v_mul_f32_e32 v16, v16, v18
	s_delay_alu instid0(VALU_DEP_1) | instskip(NEXT) | instid1(VALU_DEP_1)
	v_cmp_gt_f32_e64 s4, 0x800000, v16
	v_cndmask_b32_e64 v19, 1.0, 0x4f800000, s4
	s_delay_alu instid0(VALU_DEP_1) | instskip(NEXT) | instid1(VALU_DEP_1)
	v_dual_mul_f32 v16, v16, v19 :: v_dual_fmaak_f32 v19, v17, v20, 0x3cda40e4
	v_log_f32_e32 v16, v16
	s_delay_alu instid0(VALU_DEP_1) | instskip(NEXT) | instid1(VALU_DEP_1)
	v_fmaak_f32 v19, v17, v19, 0x3e15dce6
	v_fmaak_f32 v19, v17, v19, 0x3ea6cc7a
	s_waitcnt_depctr 0xfff
	v_mul_f32_e32 v20, 0x3f317217, v16
	v_cmp_gt_f32_e64 s5, 0x7f800000, |v16|
	s_delay_alu instid0(VALU_DEP_2) | instskip(NEXT) | instid1(VALU_DEP_1)
	v_fma_f32 v21, 0x3f317217, v16, -v20
	v_fmac_f32_e32 v21, 0x3377d1cf, v16
	s_delay_alu instid0(VALU_DEP_1) | instskip(NEXT) | instid1(VALU_DEP_1)
	v_dual_fmaak_f32 v19, v17, v19, 0x3e5c245a :: v_dual_add_f32 v20, v20, v21
	v_fmaak_f32 v19, v17, v19, 0xbd9e233f
	v_fmaak_f32 v18, s23, v17, 0x3a4beed6
	s_delay_alu instid0(VALU_DEP_3) | instskip(NEXT) | instid1(VALU_DEP_3)
	v_cndmask_b32_e64 v16, v16, v20, s5
	v_mul_f32_e32 v19, v17, v19
	s_delay_alu instid0(VALU_DEP_3) | instskip(NEXT) | instid1(VALU_DEP_1)
	v_fmaak_f32 v18, v17, v18, 0x3c98bf54
	v_fmaak_f32 v18, v17, v18, 0x3e300f6e
	s_delay_alu instid0(VALU_DEP_1) | instskip(NEXT) | instid1(VALU_DEP_1)
	v_fmaak_f32 v18, v17, v18, 0x3f38d0c5
	v_fmaak_f32 v18, v17, v18, 0x3fb22d3b
	s_delay_alu instid0(VALU_DEP_1) | instskip(NEXT) | instid1(VALU_DEP_1)
	v_fma_f32 v18, v17, v18, 1.0
	v_rcp_f32_e32 v18, v18
	s_waitcnt_depctr 0xfff
	v_mul_f32_e32 v18, v19, v18
	v_cndmask_b32_e64 v19, 0, 0x41b17218, s4
	s_delay_alu instid0(VALU_DEP_2) | instskip(NEXT) | instid1(VALU_DEP_2)
	v_fmac_f32_e32 v18, 0.5, v17
	v_sub_f32_e32 v16, v16, v19
	s_delay_alu instid0(VALU_DEP_1)
	v_add_f32_e32 v16, v16, v18
.LBB10_128:                             ;   in Loop: Header=BB10_4 Depth=1
	s_or_b32 exec_lo, exec_lo, s38
.LBB10_129:                             ;   in Loop: Header=BB10_4 Depth=1
	s_and_not1_saveexec_b32 s37, s37
	s_cbranch_execz .LBB10_147
; %bb.130:                              ;   in Loop: Header=BB10_4 Depth=1
                                        ; implicit-def: $vgpr16
                                        ; implicit-def: $vgpr18
                                        ; implicit-def: $vgpr17
	s_mov_b32 s5, exec_lo
	v_cmpx_ge_f32_e64 0x3f666666, |v14|
	s_xor_b32 s38, exec_lo, s5
	s_cbranch_execz .LBB10_132
; %bb.131:                              ;   in Loop: Header=BB10_4 Depth=1
	v_cmp_gt_f32_e64 s5, 0x800000, |v14|
	v_sub_f32_e64 v19, 1.0, |v14|
	v_cmp_gt_f32_e64 s4, 0x3f3b4a23, |v14|
	s_delay_alu instid0(VALU_DEP_3) | instskip(SKIP_1) | instid1(VALU_DEP_2)
	v_cndmask_b32_e64 v16, 1.0, 0x4f800000, s5
	v_cndmask_b32_e64 v20, 0, 0x41b17218, s5
	v_mul_f32_e64 v16, |v14|, v16
	s_delay_alu instid0(VALU_DEP_1) | instskip(SKIP_3) | instid1(VALU_DEP_2)
	v_log_f32_e32 v16, v16
	s_waitcnt_depctr 0xfff
	v_mul_f32_e32 v17, 0x3f317217, v16
	v_cmp_gt_f32_e64 s5, 0x7f800000, |v16|
	v_fma_f32 v18, 0x3f317217, v16, -v17
	s_delay_alu instid0(VALU_DEP_1) | instskip(NEXT) | instid1(VALU_DEP_1)
	v_fmac_f32_e32 v18, 0x3377d1cf, v16
	v_add_f32_e32 v17, v17, v18
	v_add_f32_e64 v18, 0xbeec5b0c, |v14|
	s_delay_alu instid0(VALU_DEP_2) | instskip(NEXT) | instid1(VALU_DEP_2)
	v_cndmask_b32_e64 v16, v16, v17, s5
	v_cndmask_b32_e64 v17, v19, v18, s4
	v_cndmask_b32_e64 v18, 0, 1, s4
	v_cmp_gt_f32_e64 s4, 0x3e6d3309, |v14|
	s_delay_alu instid0(VALU_DEP_4) | instskip(NEXT) | instid1(VALU_DEP_2)
	v_sub_f32_e32 v16, v16, v20
	v_cndmask_b32_e64 v17, v17, |v14|, s4
	s_delay_alu instid0(VALU_DEP_4) | instskip(NEXT) | instid1(VALU_DEP_3)
	v_cndmask_b32_e64 v18, v18, 2, s4
	v_xor_b32_e32 v16, 0x80000000, v16
.LBB10_132:                             ;   in Loop: Header=BB10_4 Depth=1
	s_and_not1_saveexec_b32 s5, s38
; %bb.133:                              ;   in Loop: Header=BB10_4 Depth=1
	v_sub_f32_e64 v16, 2.0, |v14|
	v_add_f32_e64 v17, 0xbfbb16c3, |v14|
	v_cmp_gt_f32_e64 s4, 0x3fdda512, |v14|
	v_add_f32_e64 v18, |v14|, -1.0
	s_delay_alu instid0(VALU_DEP_2) | instskip(SKIP_2) | instid1(VALU_DEP_2)
	v_cndmask_b32_e64 v17, v16, v17, s4
	v_cndmask_b32_e64 v16, v16, 1.0, s4
	v_cmp_gt_f32_e64 s4, 0x3f9d70a4, |v14|
	v_cvt_i32_f32_e32 v16, v16
	s_delay_alu instid0(VALU_DEP_2) | instskip(NEXT) | instid1(VALU_DEP_2)
	v_cndmask_b32_e64 v17, v17, v18, s4
	v_cndmask_b32_e64 v18, v16, 2, s4
	v_mov_b32_e32 v16, 0
; %bb.134:                              ;   in Loop: Header=BB10_4 Depth=1
	s_or_b32 exec_lo, exec_lo, s5
	s_delay_alu instid0(SALU_CYCLE_1) | instskip(NEXT) | instid1(VALU_DEP_2)
	s_mov_b32 s5, exec_lo
	v_cmpx_lt_i32_e32 0, v18
	s_xor_b32 s5, exec_lo, s5
	s_cbranch_execz .LBB10_142
; %bb.135:                              ;   in Loop: Header=BB10_4 Depth=1
	s_mov_b32 s38, exec_lo
	v_cmpx_lt_i32_e32 1, v18
	s_xor_b32 s38, exec_lo, s38
	s_cbranch_execz .LBB10_139
; %bb.136:                              ;   in Loop: Header=BB10_4 Depth=1
	s_mov_b32 s39, exec_lo
	v_cmpx_eq_u32_e32 2, v18
	s_cbranch_execz .LBB10_138
; %bb.137:                              ;   in Loop: Header=BB10_4 Depth=1
	v_fmaak_f32 v19, s24, v17, 0x3e6a7578
	s_delay_alu instid0(VALU_DEP_1) | instskip(NEXT) | instid1(VALU_DEP_1)
	v_fmaak_f32 v19, v17, v19, 0x3f7a4bb2
	v_fmaak_f32 v19, v17, v19, 0x3fba3ae7
	s_delay_alu instid0(VALU_DEP_1) | instskip(NEXT) | instid1(VALU_DEP_1)
	v_fmaak_f32 v19, v17, v19, 0x3f2200f4
	v_fmaak_f32 v19, v17, v19, 0xbd9e233f
	s_delay_alu instid0(VALU_DEP_1) | instskip(NEXT) | instid1(VALU_DEP_1)
	v_dual_fmaak_f32 v18, s25, v17, 0x3dd572af :: v_dual_mul_f32 v19, v17, v19
	v_fmaak_f32 v18, v17, v18, 0x3f44efdf
	s_delay_alu instid0(VALU_DEP_1) | instskip(NEXT) | instid1(VALU_DEP_1)
	v_fmaak_f32 v18, v17, v18, 0x4008392d
	v_fmaak_f32 v18, v17, v18, 0x401d2ebe
	s_delay_alu instid0(VALU_DEP_1) | instskip(NEXT) | instid1(VALU_DEP_1)
	v_fma_f32 v18, v17, v18, 1.0
	v_rcp_f32_e32 v18, v18
	s_waitcnt_depctr 0xfff
	v_mul_f32_e32 v18, v19, v18
	s_delay_alu instid0(VALU_DEP_1) | instskip(NEXT) | instid1(VALU_DEP_1)
	v_fmac_f32_e32 v18, -0.5, v17
	v_add_f32_e32 v16, v16, v18
.LBB10_138:                             ;   in Loop: Header=BB10_4 Depth=1
	s_or_b32 exec_lo, exec_lo, s39
                                        ; implicit-def: $vgpr17
.LBB10_139:                             ;   in Loop: Header=BB10_4 Depth=1
	s_and_not1_saveexec_b32 s4, s38
	s_cbranch_execz .LBB10_141
; %bb.140:                              ;   in Loop: Header=BB10_4 Depth=1
	v_mul_f32_e32 v18, v17, v17
	s_delay_alu instid0(VALU_DEP_1) | instskip(NEXT) | instid1(VALU_DEP_1)
	v_mul_f32_e32 v19, v17, v18
	v_fmaak_f32 v20, s27, v19, 0x3a66f867
	v_fmaak_f32 v21, s28, v19, 0xba0d3085
	;; [unrolled: 1-line block ×3, first 2 shown]
	s_delay_alu instid0(VALU_DEP_3) | instskip(NEXT) | instid1(VALU_DEP_3)
	v_fmaak_f32 v20, v19, v20, 0xbb7177fe
	v_fmaak_f32 v21, v19, v21, 0x3b141699
	s_delay_alu instid0(VALU_DEP_3) | instskip(NEXT) | instid1(VALU_DEP_3)
	v_fmaak_f32 v22, v19, v22, 0x3bc7e707
	v_fmaak_f32 v20, v19, v20, 0x3c93373d
	;; [unrolled: 3-line block ×4, first 2 shown]
	s_delay_alu instid0(VALU_DEP_1) | instskip(NEXT) | instid1(VALU_DEP_1)
	v_dual_fmac_f32 v20, v17, v21 :: v_dual_fmaak_f32 v17, v19, v22, 0x3ef7b95e
	v_fma_f32 v19, v19, -v20, 0xa2863e55
	s_delay_alu instid0(VALU_DEP_1) | instskip(NEXT) | instid1(VALU_DEP_1)
	v_fma_f32 v17, v18, v17, -v19
	v_add_f32_e32 v17, 0xbdf8cdce, v17
	s_delay_alu instid0(VALU_DEP_1)
	v_add_f32_e32 v16, v16, v17
.LBB10_141:                             ;   in Loop: Header=BB10_4 Depth=1
	s_or_b32 exec_lo, exec_lo, s4
                                        ; implicit-def: $vgpr18
                                        ; implicit-def: $vgpr17
.LBB10_142:                             ;   in Loop: Header=BB10_4 Depth=1
	s_and_not1_saveexec_b32 s5, s5
	s_cbranch_execz .LBB10_146
; %bb.143:                              ;   in Loop: Header=BB10_4 Depth=1
	s_mov_b32 s38, exec_lo
	v_cmpx_eq_u32_e32 0, v18
	s_cbranch_execz .LBB10_145
; %bb.144:                              ;   in Loop: Header=BB10_4 Depth=1
	v_mul_f32_e32 v18, v17, v17
	s_delay_alu instid0(VALU_DEP_1) | instskip(NEXT) | instid1(VALU_DEP_1)
	v_fmaak_f32 v20, s29, v18, 0x39679767
	v_fmaak_f32 v20, v18, v20, 0x3a9c54a1
	s_delay_alu instid0(VALU_DEP_1) | instskip(NEXT) | instid1(VALU_DEP_1)
	v_fmaak_f32 v20, v18, v20, 0x3bf2027e
	v_fmaak_f32 v20, v18, v20, 0x3d89f001
	s_delay_alu instid0(VALU_DEP_1) | instskip(SKIP_1) | instid1(VALU_DEP_1)
	v_fmaak_f32 v20, v18, v20, 0x3d9e233f
	v_fmaak_f32 v19, s33, v18, 0x38e28445
	;; [unrolled: 1-line block ×3, first 2 shown]
	s_delay_alu instid0(VALU_DEP_1) | instskip(NEXT) | instid1(VALU_DEP_1)
	v_fmaak_f32 v19, v18, v19, 0x3b3d6ec6
	v_fmaak_f32 v19, v18, v19, 0x3ca89915
	s_delay_alu instid0(VALU_DEP_1) | instskip(NEXT) | instid1(VALU_DEP_1)
	v_fmaak_f32 v19, v18, v19, 0x3ea51a66
	v_mul_f32_e32 v18, v18, v19
	s_delay_alu instid0(VALU_DEP_1) | instskip(NEXT) | instid1(VALU_DEP_1)
	v_fmac_f32_e32 v18, v17, v20
	v_fmac_f32_e32 v18, -0.5, v17
	s_delay_alu instid0(VALU_DEP_1)
	v_add_f32_e32 v16, v16, v18
.LBB10_145:                             ;   in Loop: Header=BB10_4 Depth=1
	s_or_b32 exec_lo, exec_lo, s38
.LBB10_146:                             ;   in Loop: Header=BB10_4 Depth=1
	s_delay_alu instid0(SALU_CYCLE_1)
	s_or_b32 exec_lo, exec_lo, s5
.LBB10_147:                             ;   in Loop: Header=BB10_4 Depth=1
	s_delay_alu instid0(SALU_CYCLE_1)
	s_or_b32 exec_lo, exec_lo, s37
.LBB10_148:                             ;   in Loop: Header=BB10_4 Depth=1
	s_and_not1_saveexec_b32 s5, s6
	s_cbranch_execz .LBB10_150
; %bb.149:                              ;   in Loop: Header=BB10_4 Depth=1
	v_cmp_gt_f32_e64 s6, 0x800000, |v14|
	v_fma_f32 v19, |v14|, s34, 0xbecd26ab
	s_delay_alu instid0(VALU_DEP_2) | instskip(NEXT) | instid1(VALU_DEP_1)
	v_cndmask_b32_e64 v16, 1.0, 0x4f800000, s6
	v_mul_f32_e64 v16, |v14|, v16
	s_delay_alu instid0(VALU_DEP_1) | instskip(SKIP_3) | instid1(VALU_DEP_2)
	v_log_f32_e32 v16, v16
	s_waitcnt_depctr 0xfff
	v_mul_f32_e32 v17, 0x3f317217, v16
	v_cmp_gt_f32_e64 s4, 0x7f800000, |v16|
	v_fma_f32 v18, 0x3f317217, v16, -v17
	s_delay_alu instid0(VALU_DEP_1) | instskip(NEXT) | instid1(VALU_DEP_1)
	v_fmac_f32_e32 v18, 0x3377d1cf, v16
	v_add_f32_e32 v17, v17, v18
	v_fma_f32 v18, |v14|, v19, 0x3f528d33
	s_delay_alu instid0(VALU_DEP_2) | instskip(SKIP_1) | instid1(VALU_DEP_3)
	v_cndmask_b32_e64 v16, v16, v17, s4
	v_cndmask_b32_e64 v17, 0, 0x41b17218, s6
	v_fma_f32 v18, |v14|, v18, 0xbf13c468
	s_delay_alu instid0(VALU_DEP_2) | instskip(NEXT) | instid1(VALU_DEP_1)
	v_sub_f32_e32 v16, v16, v17
	v_fma_f32 v16, |v14|, v18, -v16
.LBB10_150:                             ;   in Loop: Header=BB10_4 Depth=1
	s_or_b32 exec_lo, exec_lo, s5
	v_cmp_le_f16_e64 s4, 0, v13
	s_mov_b32 s6, exec_lo
	v_cmpx_nle_f16_e32 0, v13
	s_xor_b32 s37, exec_lo, s6
	s_cbranch_execz .LBB10_154
; %bb.151:                              ;   in Loop: Header=BB10_4 Depth=1
	v_cmp_gt_f32_e64 s5, 0x4b000000, |v14|
	v_cmp_lt_f32_e64 s6, 0x35000000, |v14|
	s_delay_alu instid0(VALU_DEP_1) | instskip(NEXT) | instid1(SALU_CYCLE_1)
	s_and_b32 s5, s5, s6
	s_and_saveexec_b32 s38, s5
	s_cbranch_execz .LBB10_153
; %bb.152:                              ;   in Loop: Header=BB10_4 Depth=1
	v_mul_f32_e64 v17, |v14|, 0.5
	v_xor_b32_e32 v15, v15, v14
	s_delay_alu instid0(VALU_DEP_2) | instskip(SKIP_1) | instid1(VALU_DEP_2)
	v_floor_f32_e32 v18, v17
	v_cmp_neq_f32_e64 s5, 0x7f800000, v17
	v_sub_f32_e32 v18, v17, v18
	s_delay_alu instid0(VALU_DEP_1) | instskip(NEXT) | instid1(VALU_DEP_1)
	v_min_f32_e32 v18, 0x3f7fffff, v18
	v_add_f32_e32 v18, v18, v18
	s_delay_alu instid0(VALU_DEP_1) | instskip(SKIP_1) | instid1(VALU_DEP_1)
	v_cndmask_b32_e64 v17, 0, v18, s5
	v_cmp_gt_f32_e64 s5, |v14|, 1.0
	v_cndmask_b32_e64 v17, |v14|, v17, s5
	s_delay_alu instid0(VALU_DEP_1) | instskip(NEXT) | instid1(VALU_DEP_1)
	v_add_f32_e32 v18, v17, v17
	v_rndne_f32_e32 v18, v18
	s_delay_alu instid0(VALU_DEP_1) | instskip(SKIP_1) | instid1(VALU_DEP_2)
	v_fmac_f32_e32 v17, -0.5, v18
	v_cvt_i32_f32_e32 v18, v18
	v_mul_f32_e32 v19, v17, v17
	s_delay_alu instid0(VALU_DEP_1) | instskip(SKIP_1) | instid1(VALU_DEP_2)
	v_fmaak_f32 v20, s35, v19, 0xbf1f24be
	v_fmaak_f32 v21, s36, v19, 0x3e642e9d
	;; [unrolled: 1-line block ×3, first 2 shown]
	s_delay_alu instid0(VALU_DEP_2) | instskip(NEXT) | instid1(VALU_DEP_2)
	v_dual_fmaak_f32 v21, v19, v21, 0xbfaad1da :: v_dual_mul_f32 v22, v17, v19
	v_fmaak_f32 v20, v19, v20, 0xc0a55e0e
	s_delay_alu instid0(VALU_DEP_1) | instskip(NEXT) | instid1(VALU_DEP_1)
	v_dual_fmaak_f32 v21, v19, v21, 0x4081e0d3 :: v_dual_mul_f32 v20, v22, v20
	v_dual_fmaak_f32 v21, v19, v21, 0xc09de9e6 :: v_dual_and_b32 v22, 1, v18
	v_lshlrev_b32_e32 v18, 30, v18
	s_delay_alu instid0(VALU_DEP_3) | instskip(NEXT) | instid1(VALU_DEP_3)
	v_fmac_f32_e32 v20, 0x40490fdb, v17
	v_fma_f32 v17, v19, v21, 1.0
	s_delay_alu instid0(VALU_DEP_4) | instskip(NEXT) | instid1(VALU_DEP_4)
	v_cmp_eq_u32_e64 s5, 0, v22
	v_and_b32_e32 v18, 0x80000000, v18
	s_delay_alu instid0(VALU_DEP_2) | instskip(NEXT) | instid1(VALU_DEP_1)
	v_cndmask_b32_e64 v17, v17, v20, s5
	v_xor3_b32 v15, v15, v18, v17
	s_delay_alu instid0(VALU_DEP_1) | instskip(NEXT) | instid1(VALU_DEP_1)
	v_mul_f32_e32 v15, v14, v15
	v_frexp_mant_f32_e64 v17, |v15|
	v_frexp_exp_i32_f32_e32 v15, v15
	s_delay_alu instid0(VALU_DEP_2) | instskip(NEXT) | instid1(VALU_DEP_1)
	v_rcp_f32_e32 v17, v17
	v_sub_nc_u32_e32 v15, 2, v15
	s_waitcnt_depctr 0xfff
	v_mul_f32_e32 v17, 0x3f490fdb, v17
	s_delay_alu instid0(VALU_DEP_1) | instskip(NEXT) | instid1(VALU_DEP_1)
	v_ldexp_f32 v15, v17, v15
	v_cmp_gt_f32_e64 s5, 0x800000, v15
	s_delay_alu instid0(VALU_DEP_1) | instskip(NEXT) | instid1(VALU_DEP_1)
	v_cndmask_b32_e64 v17, 1.0, 0x4f800000, s5
	v_mul_f32_e32 v15, v15, v17
	s_delay_alu instid0(VALU_DEP_1) | instskip(SKIP_3) | instid1(VALU_DEP_2)
	v_log_f32_e32 v15, v15
	s_waitcnt_depctr 0xfff
	v_mul_f32_e32 v17, 0x3f317217, v15
	v_cmp_gt_f32_e64 s6, 0x7f800000, |v15|
	v_fma_f32 v18, 0x3f317217, v15, -v17
	s_delay_alu instid0(VALU_DEP_1) | instskip(NEXT) | instid1(VALU_DEP_1)
	v_fmac_f32_e32 v18, 0x3377d1cf, v15
	v_add_f32_e32 v17, v17, v18
	v_floor_f32_e32 v18, v14
	s_delay_alu instid0(VALU_DEP_2) | instskip(NEXT) | instid1(VALU_DEP_2)
	v_cndmask_b32_e64 v15, v15, v17, s6
	v_sub_f32_e32 v18, v14, v18
	v_cndmask_b32_e64 v17, 0, 0x41b17218, s5
	s_delay_alu instid0(VALU_DEP_1) | instskip(NEXT) | instid1(VALU_DEP_3)
	v_sub_f32_e32 v15, v15, v17
	v_min_f32_e32 v17, 0x3f7fffff, v18
	s_delay_alu instid0(VALU_DEP_2) | instskip(NEXT) | instid1(VALU_DEP_2)
	v_sub_f32_e32 v15, v15, v16
	v_cmp_neq_f32_e64 s5, 0, v17
	s_delay_alu instid0(VALU_DEP_1)
	v_cndmask_b32_e64 v16, 0x7f800000, v15, s5
.LBB10_153:                             ;   in Loop: Header=BB10_4 Depth=1
	s_or_b32 exec_lo, exec_lo, s38
.LBB10_154:                             ;   in Loop: Header=BB10_4 Depth=1
	s_and_not1_saveexec_b32 s37, s37
	s_cbranch_execz .LBB10_3
; %bb.155:                              ;   in Loop: Header=BB10_4 Depth=1
	v_cmp_eq_f16_e64 s5, 1.0, v13
	v_cmp_eq_f16_e64 s6, 2.0, v13
	s_delay_alu instid0(VALU_DEP_1) | instskip(NEXT) | instid1(SALU_CYCLE_1)
	s_or_b32 s5, s5, s6
	v_cndmask_b32_e64 v16, v16, 0, s5
	s_branch .LBB10_3
.LBB10_156:
	s_or_b32 exec_lo, exec_lo, s19
	s_mov_b32 s2, 0
.LBB10_157:
	s_delay_alu instid0(SALU_CYCLE_1)
	s_and_not1_b32 vcc_lo, exec_lo, s2
	s_cbranch_vccnz .LBB10_329
; %bb.158:
	v_cmp_lt_i64_e64 s2, s[12:13], 1
	s_delay_alu instid0(VALU_DEP_1)
	s_and_b32 vcc_lo, exec_lo, s2
	s_cbranch_vccnz .LBB10_329
; %bb.159:
	s_load_b32 s0, s[0:1], 0xc5c
	v_dual_mov_b32 v10, 0 :: v_dual_lshlrev_b32 v9, 1, v0
	v_cmp_gt_u64_e64 s1, 0x10000, s[12:13]
	s_mov_b32 s20, 0x3805ff67
	s_mov_b32 s21, 0x36f5d7bd
	s_delay_alu instid0(VALU_DEP_2) | instskip(NEXT) | instid1(VALU_DEP_1)
	v_add_co_u32 v1, s2, s8, v9
	v_add_co_ci_u32_e64 v2, null, s9, 0, s2
	v_add_co_u32 v3, s2, s16, v9
	s_delay_alu instid0(VALU_DEP_1)
	v_add_co_ci_u32_e64 v4, null, s17, 0, s2
	s_mov_b32 s22, 0x3c5b3c5e
	s_mov_b32 s23, 0x3b52d5db
	;; [unrolled: 1-line block ×6, first 2 shown]
	s_waitcnt lgkmcnt(0)
	s_and_b32 s0, s0, 0xffff
	s_and_b32 s1, s1, exec_lo
	v_mad_u64_u32 v[7:8], null, s0, 6, v[9:10]
	s_cselect_b32 s15, s13, 0
	s_cselect_b32 s14, s12, 0x10000
	s_lshl_b32 s1, s0, 1
	s_mul_i32 s2, s0, 3
	s_lshl_b32 s18, s0, 2
	s_lshl_b32 s19, s0, 3
	v_add_co_u32 v13, s0, v0, s0
	v_add_co_u32 v5, vcc_lo, s8, v7
	v_add_co_u32 v14, s3, s18, v9
	v_add_co_ci_u32_e32 v6, vcc_lo, s9, v8, vcc_lo
	s_delay_alu instid0(VALU_DEP_4)
	v_lshlrev_b32_e32 v21, 1, v13
	v_add_co_u32 v7, vcc_lo, s16, v7
	v_add_co_ci_u32_e64 v15, null, 0, 0, s3
	v_add_co_ci_u32_e32 v8, vcc_lo, s17, v8, vcc_lo
	v_add_co_ci_u32_e64 v16, null, 0, 0, s0
	v_add_co_u32 v17, s0, s1, v0
	v_add_co_u32 v11, vcc_lo, s8, v14
	v_add_co_ci_u32_e64 v18, null, 0, 0, s0
	v_add_co_u32 v19, s0, s8, v21
	v_add_co_ci_u32_e32 v12, vcc_lo, s9, v15, vcc_lo
	v_add_co_u32 v9, s2, s2, v0
	v_add_co_u32 v14, vcc_lo, s16, v14
	v_add_co_ci_u32_e64 v20, null, s9, 0, s0
	v_add_co_u32 v21, s0, s16, v21
	v_add_co_ci_u32_e64 v10, null, 0, 0, s2
	v_add_co_ci_u32_e32 v15, vcc_lo, s17, v15, vcc_lo
	v_add_co_ci_u32_e64 v22, null, s17, 0, s0
	s_mov_b64 s[16:17], 0
	s_mov_b32 s9, 0xbad5c4e8
	s_mov_b32 s28, 0x383c2c75
	;; [unrolled: 1-line block ×5, first 2 shown]
	s_branch .LBB10_161
.LBB10_160:                             ;   in Loop: Header=BB10_161 Depth=1
	s_or_b32 exec_lo, exec_lo, s0
	v_add_co_u32 v1, vcc_lo, v1, s19
	v_add_co_ci_u32_e32 v2, vcc_lo, 0, v2, vcc_lo
	v_add_co_u32 v3, vcc_lo, v3, s19
	v_add_co_ci_u32_e32 v4, vcc_lo, 0, v4, vcc_lo
	v_add_co_u32 v5, vcc_lo, v5, s19
	v_add_co_ci_u32_e32 v6, vcc_lo, 0, v6, vcc_lo
	v_add_co_u32 v7, vcc_lo, v7, s19
	v_add_co_ci_u32_e32 v8, vcc_lo, 0, v8, vcc_lo
	v_add_co_u32 v11, vcc_lo, v11, s19
	v_add_co_ci_u32_e32 v12, vcc_lo, 0, v12, vcc_lo
	s_add_u32 s16, s16, s18
	v_add_co_u32 v14, vcc_lo, v14, s19
	s_addc_u32 s17, s17, 0
	v_add_co_ci_u32_e32 v15, vcc_lo, 0, v15, vcc_lo
	v_cmp_ge_i64_e64 s0, s[16:17], s[12:13]
	v_cmp_lt_u64_e64 s1, 0xffff, s[16:17]
	v_add_co_u32 v19, vcc_lo, v19, s19
	v_add_co_ci_u32_e32 v20, vcc_lo, 0, v20, vcc_lo
	v_add_co_u32 v21, vcc_lo, v21, s19
	v_add_co_ci_u32_e32 v22, vcc_lo, 0, v22, vcc_lo
	s_or_b32 s0, s0, s1
	s_delay_alu instid0(SALU_CYCLE_1)
	s_and_b32 vcc_lo, exec_lo, s0
	s_cbranch_vccnz .LBB10_329
.LBB10_161:                             ; =>This Inner Loop Header: Depth=1
	v_add_co_u32 v23, s0, v0, s16
	s_delay_alu instid0(VALU_DEP_1) | instskip(SKIP_1) | instid1(VALU_DEP_2)
	v_add_co_ci_u32_e64 v24, null, 0, s17, s0
	v_mov_b32_e32 v26, 0
	v_cmp_gt_u64_e64 s2, s[14:15], v[23:24]
	s_delay_alu instid0(VALU_DEP_1)
	s_and_saveexec_b32 s0, s2
	s_cbranch_execz .LBB10_163
; %bb.162:                              ;   in Loop: Header=BB10_161 Depth=1
	v_add_co_u32 v23, vcc_lo, v1, s10
	v_add_co_ci_u32_e32 v24, vcc_lo, s11, v2, vcc_lo
	global_load_u16 v26, v[23:24], off
.LBB10_163:                             ;   in Loop: Header=BB10_161 Depth=1
	s_or_b32 exec_lo, exec_lo, s0
	v_add_co_u32 v23, vcc_lo, v13, s16
	v_add_co_ci_u32_e32 v24, vcc_lo, s17, v16, vcc_lo
	v_mov_b32_e32 v25, 0
	s_delay_alu instid0(VALU_DEP_2) | instskip(NEXT) | instid1(VALU_DEP_1)
	v_cmp_gt_u64_e64 s1, s[14:15], v[23:24]
	s_and_saveexec_b32 s0, s1
	s_cbranch_execz .LBB10_165
; %bb.164:                              ;   in Loop: Header=BB10_161 Depth=1
	v_add_co_u32 v23, vcc_lo, v19, s10
	v_add_co_ci_u32_e32 v24, vcc_lo, s11, v20, vcc_lo
	global_load_u16 v25, v[23:24], off
.LBB10_165:                             ;   in Loop: Header=BB10_161 Depth=1
	s_or_b32 exec_lo, exec_lo, s0
	v_add_co_u32 v23, vcc_lo, v17, s16
	v_add_co_ci_u32_e32 v24, vcc_lo, s17, v18, vcc_lo
	s_delay_alu instid0(VALU_DEP_1) | instskip(SKIP_1) | instid1(VALU_DEP_2)
	v_cmp_gt_u64_e64 s0, s[14:15], v[23:24]
	v_dual_mov_b32 v23, 0 :: v_dual_mov_b32 v24, 0
	s_and_saveexec_b32 s3, s0
	s_cbranch_execz .LBB10_167
; %bb.166:                              ;   in Loop: Header=BB10_161 Depth=1
	v_add_co_u32 v27, vcc_lo, v11, s10
	v_add_co_ci_u32_e32 v28, vcc_lo, s11, v12, vcc_lo
	global_load_u16 v24, v[27:28], off
.LBB10_167:                             ;   in Loop: Header=BB10_161 Depth=1
	s_or_b32 exec_lo, exec_lo, s3
	v_add_co_u32 v27, vcc_lo, v9, s16
	v_add_co_ci_u32_e32 v28, vcc_lo, s17, v10, vcc_lo
	s_delay_alu instid0(VALU_DEP_1)
	v_cmp_gt_u64_e32 vcc_lo, s[14:15], v[27:28]
	s_and_saveexec_b32 s4, vcc_lo
	s_cbranch_execz .LBB10_169
; %bb.168:                              ;   in Loop: Header=BB10_161 Depth=1
	v_add_co_u32 v27, s3, v5, s10
	s_delay_alu instid0(VALU_DEP_1)
	v_add_co_ci_u32_e64 v28, s3, s11, v6, s3
	global_load_u16 v23, v[27:28], off
.LBB10_169:                             ;   in Loop: Header=BB10_161 Depth=1
	s_or_b32 exec_lo, exec_lo, s4
	s_waitcnt vmcnt(0)
	v_cvt_f32_f16_e32 v27, v26
                                        ; implicit-def: $vgpr28
	s_mov_b32 s4, exec_lo
	s_delay_alu instid0(VALU_DEP_1)
	v_and_b32_e32 v29, 0x7fffffff, v27
	v_cmpx_ngt_f32_e64 0x3c800000, |v27|
	s_xor_b32 s5, exec_lo, s4
	s_cbranch_execz .LBB10_199
; %bb.170:                              ;   in Loop: Header=BB10_161 Depth=1
                                        ; implicit-def: $vgpr28
	s_mov_b32 s4, exec_lo
	v_cmpx_nlt_f32_e64 |v27|, 2.0
	s_xor_b32 s6, exec_lo, s4
	s_cbranch_execz .LBB10_180
; %bb.171:                              ;   in Loop: Header=BB10_161 Depth=1
	s_mov_b32 s4, exec_lo
                                        ; implicit-def: $vgpr28
	v_cmpx_ngt_f32_e64 0x41000000, |v27|
	s_xor_b32 s4, exec_lo, s4
	s_cbranch_execz .LBB10_177
; %bb.172:                              ;   in Loop: Header=BB10_161 Depth=1
	s_mov_b32 s7, exec_lo
                                        ; implicit-def: $vgpr28
	v_cmpx_ngt_f32_e64 0x5c800000, |v27|
	s_xor_b32 s7, exec_lo, s7
	s_cbranch_execz .LBB10_174
; %bb.173:                              ;   in Loop: Header=BB10_161 Depth=1
	v_cmp_gt_f32_e64 s8, 0x800000, |v27|
	s_delay_alu instid0(VALU_DEP_1) | instskip(NEXT) | instid1(VALU_DEP_1)
	v_cndmask_b32_e64 v28, 1.0, 0x4f800000, s8
	v_mul_f32_e64 v28, |v27|, v28
	s_delay_alu instid0(VALU_DEP_1) | instskip(SKIP_3) | instid1(VALU_DEP_2)
	v_log_f32_e32 v28, v28
	s_waitcnt_depctr 0xfff
	v_mul_f32_e32 v30, 0x3f317217, v28
	v_cmp_gt_f32_e64 s3, 0x7f800000, |v28|
	v_fma_f32 v31, 0x3f317217, v28, -v30
	s_delay_alu instid0(VALU_DEP_1) | instskip(NEXT) | instid1(VALU_DEP_1)
	v_fmac_f32_e32 v31, 0x3377d1cf, v28
	v_add_f32_e32 v30, v30, v31
	s_delay_alu instid0(VALU_DEP_1) | instskip(SKIP_1) | instid1(VALU_DEP_1)
	v_cndmask_b32_e64 v28, v28, v30, s3
	v_cndmask_b32_e64 v30, 0, 0x41b17218, s8
	v_sub_f32_e32 v28, v28, v30
	s_delay_alu instid0(VALU_DEP_1)
	v_fma_f32 v28, |v27|, v28, -|v27|
.LBB10_174:                             ;   in Loop: Header=BB10_161 Depth=1
	s_and_not1_saveexec_b32 s7, s7
	s_cbranch_execz .LBB10_176
; %bb.175:                              ;   in Loop: Header=BB10_161 Depth=1
	v_cmp_gt_f32_e64 s8, 0x800000, |v27|
	v_rcp_f32_e64 v30, |v27|
	s_delay_alu instid0(VALU_DEP_1) | instskip(NEXT) | instid1(VALU_DEP_1)
	v_cndmask_b32_e64 v28, 1.0, 0x4f800000, s8
	v_mul_f32_e64 v28, |v27|, v28
	s_delay_alu instid0(VALU_DEP_1) | instskip(SKIP_3) | instid1(VALU_DEP_2)
	v_log_f32_e32 v28, v28
	s_waitcnt_depctr 0xfff
	v_dual_mul_f32 v31, v30, v30 :: v_dual_mul_f32 v32, 0x3f317217, v28
	v_cmp_gt_f32_e64 s3, 0x7f800000, |v28|
	v_fma_f32 v34, 0x3f317217, v28, -v32
	s_delay_alu instid0(VALU_DEP_1) | instskip(NEXT) | instid1(VALU_DEP_1)
	v_fmac_f32_e32 v34, 0x3377d1cf, v28
	v_dual_fmaak_f32 v33, s9, v31, 0x3a5b3dd2 :: v_dual_add_f32 v32, v32, v34
	s_delay_alu instid0(VALU_DEP_1) | instskip(SKIP_1) | instid1(VALU_DEP_1)
	v_cndmask_b32_e64 v28, v28, v32, s3
	v_cndmask_b32_e64 v32, 0, 0x41b17218, s8
	v_dual_fmaak_f32 v33, v31, v33, 0xba1c065c :: v_dual_sub_f32 v32, v28, v32
	s_delay_alu instid0(VALU_DEP_1) | instskip(NEXT) | instid1(VALU_DEP_1)
	v_fmaak_f32 v33, v31, v33, 0x3a500cfd
	v_fmaak_f32 v33, v31, v33, 0xbb360b61
	s_delay_alu instid0(VALU_DEP_1) | instskip(NEXT) | instid1(VALU_DEP_1)
	v_fmaak_f32 v31, v31, v33, 0x3daaaaab
	v_dual_fmaak_f32 v28, v30, v31, 0x3ed67f1d :: v_dual_add_f32 v31, -1.0, v32
	v_add_f32_e64 v30, |v27|, -0.5
	s_delay_alu instid0(VALU_DEP_1)
	v_fmac_f32_e32 v28, v30, v31
.LBB10_176:                             ;   in Loop: Header=BB10_161 Depth=1
	s_or_b32 exec_lo, exec_lo, s7
.LBB10_177:                             ;   in Loop: Header=BB10_161 Depth=1
	s_and_not1_saveexec_b32 s7, s4
	s_cbranch_execz .LBB10_179
; %bb.178:                              ;   in Loop: Header=BB10_161 Depth=1
	v_cvt_i32_f32_e32 v28, v29
	s_delay_alu instid0(VALU_DEP_1) | instskip(SKIP_1) | instid1(VALU_DEP_2)
	v_cvt_f32_i32_e32 v30, v28
	v_cmp_lt_i32_e64 s3, 2, v28
	v_sub_f32_e64 v30, |v27|, v30
	s_delay_alu instid0(VALU_DEP_1) | instskip(SKIP_2) | instid1(VALU_DEP_3)
	v_add_f32_e32 v31, 2.0, v30
	v_add_f32_e32 v32, 0x40400000, v30
	v_add_f32_e32 v33, 4.0, v30
	v_cndmask_b32_e64 v31, 1.0, v31, s3
	v_cmp_lt_i32_e64 s3, 3, v28
	s_delay_alu instid0(VALU_DEP_1) | instskip(SKIP_1) | instid1(VALU_DEP_2)
	v_cndmask_b32_e64 v32, 1.0, v32, s3
	v_cmp_lt_i32_e64 s3, 4, v28
	v_dual_add_f32 v34, 0x40a00000, v30 :: v_dual_mul_f32 v31, v31, v32
	s_delay_alu instid0(VALU_DEP_2) | instskip(SKIP_1) | instid1(VALU_DEP_2)
	v_cndmask_b32_e64 v33, 1.0, v33, s3
	v_cmp_lt_i32_e64 s3, 5, v28
	v_mul_f32_e32 v31, v33, v31
	s_delay_alu instid0(VALU_DEP_2) | instskip(SKIP_3) | instid1(VALU_DEP_4)
	v_cndmask_b32_e64 v34, 1.0, v34, s3
	v_add_f32_e32 v32, 0x40c00000, v30
	v_cmp_lt_i32_e64 s3, 6, v28
	v_fmaak_f32 v33, s20, v30, 0x3af135b4
	v_mul_f32_e32 v31, v34, v31
	s_delay_alu instid0(VALU_DEP_3) | instskip(NEXT) | instid1(VALU_DEP_1)
	v_cndmask_b32_e64 v28, 1.0, v32, s3
	v_mul_f32_e32 v28, v28, v31
	s_delay_alu instid0(VALU_DEP_1) | instskip(NEXT) | instid1(VALU_DEP_1)
	v_cmp_gt_f32_e64 s3, 0x800000, v28
	v_cndmask_b32_e64 v32, 1.0, 0x4f800000, s3
	s_delay_alu instid0(VALU_DEP_1) | instskip(SKIP_1) | instid1(VALU_DEP_2)
	v_mul_f32_e32 v28, v28, v32
	v_fmaak_f32 v32, v30, v33, 0x3cda40e4
	v_log_f32_e32 v28, v28
	s_waitcnt_depctr 0xfff
	v_mul_f32_e32 v33, 0x3f317217, v28
	v_cmp_gt_f32_e64 s4, 0x7f800000, |v28|
	s_delay_alu instid0(VALU_DEP_2) | instskip(NEXT) | instid1(VALU_DEP_1)
	v_fma_f32 v34, 0x3f317217, v28, -v33
	v_fmac_f32_e32 v34, 0x3377d1cf, v28
	s_delay_alu instid0(VALU_DEP_1) | instskip(NEXT) | instid1(VALU_DEP_1)
	v_dual_add_f32 v33, v33, v34 :: v_dual_fmaak_f32 v32, v30, v32, 0x3e15dce6
	v_cndmask_b32_e64 v28, v28, v33, s4
	s_delay_alu instid0(VALU_DEP_2) | instskip(NEXT) | instid1(VALU_DEP_1)
	v_fmaak_f32 v32, v30, v32, 0x3ea6cc7a
	v_fmaak_f32 v32, v30, v32, 0x3e5c245a
	s_delay_alu instid0(VALU_DEP_1) | instskip(NEXT) | instid1(VALU_DEP_1)
	v_fmaak_f32 v32, v30, v32, 0xbd9e233f
	v_dual_fmaak_f32 v31, s21, v30, 0x3a4beed6 :: v_dual_mul_f32 v32, v30, v32
	s_delay_alu instid0(VALU_DEP_1) | instskip(NEXT) | instid1(VALU_DEP_1)
	v_fmaak_f32 v31, v30, v31, 0x3c98bf54
	v_fmaak_f32 v31, v30, v31, 0x3e300f6e
	s_delay_alu instid0(VALU_DEP_1) | instskip(NEXT) | instid1(VALU_DEP_1)
	v_fmaak_f32 v31, v30, v31, 0x3f38d0c5
	v_fmaak_f32 v31, v30, v31, 0x3fb22d3b
	s_delay_alu instid0(VALU_DEP_1) | instskip(NEXT) | instid1(VALU_DEP_1)
	v_fma_f32 v31, v30, v31, 1.0
	v_rcp_f32_e32 v31, v31
	s_waitcnt_depctr 0xfff
	v_mul_f32_e32 v31, v32, v31
	v_cndmask_b32_e64 v32, 0, 0x41b17218, s3
	s_delay_alu instid0(VALU_DEP_1) | instskip(NEXT) | instid1(VALU_DEP_1)
	v_dual_fmac_f32 v31, 0.5, v30 :: v_dual_sub_f32 v28, v28, v32
	v_add_f32_e32 v28, v28, v31
.LBB10_179:                             ;   in Loop: Header=BB10_161 Depth=1
	s_or_b32 exec_lo, exec_lo, s7
.LBB10_180:                             ;   in Loop: Header=BB10_161 Depth=1
	s_and_not1_saveexec_b32 s6, s6
	s_cbranch_execz .LBB10_198
; %bb.181:                              ;   in Loop: Header=BB10_161 Depth=1
                                        ; implicit-def: $vgpr28
                                        ; implicit-def: $vgpr31
                                        ; implicit-def: $vgpr30
	s_mov_b32 s4, exec_lo
	v_cmpx_ge_f32_e64 0x3f666666, |v27|
	s_xor_b32 s7, exec_lo, s4
	s_cbranch_execz .LBB10_183
; %bb.182:                              ;   in Loop: Header=BB10_161 Depth=1
	v_cmp_gt_f32_e64 s4, 0x800000, |v27|
	v_sub_f32_e64 v32, 1.0, |v27|
	v_cmp_gt_f32_e64 s3, 0x3f3b4a23, |v27|
	s_delay_alu instid0(VALU_DEP_3) | instskip(SKIP_1) | instid1(VALU_DEP_2)
	v_cndmask_b32_e64 v28, 1.0, 0x4f800000, s4
	v_cndmask_b32_e64 v33, 0, 0x41b17218, s4
	v_mul_f32_e64 v28, |v27|, v28
	s_delay_alu instid0(VALU_DEP_1) | instskip(SKIP_3) | instid1(VALU_DEP_2)
	v_log_f32_e32 v28, v28
	s_waitcnt_depctr 0xfff
	v_mul_f32_e32 v30, 0x3f317217, v28
	v_cmp_gt_f32_e64 s4, 0x7f800000, |v28|
	v_fma_f32 v31, 0x3f317217, v28, -v30
	s_delay_alu instid0(VALU_DEP_1) | instskip(NEXT) | instid1(VALU_DEP_1)
	v_fmac_f32_e32 v31, 0x3377d1cf, v28
	v_add_f32_e32 v30, v30, v31
	v_add_f32_e64 v31, 0xbeec5b0c, |v27|
	s_delay_alu instid0(VALU_DEP_2) | instskip(NEXT) | instid1(VALU_DEP_2)
	v_cndmask_b32_e64 v28, v28, v30, s4
	v_cndmask_b32_e64 v30, v32, v31, s3
	;; [unrolled: 1-line block ×3, first 2 shown]
	v_cmp_gt_f32_e64 s3, 0x3e6d3309, |v27|
	s_delay_alu instid0(VALU_DEP_4) | instskip(NEXT) | instid1(VALU_DEP_2)
	v_sub_f32_e32 v28, v28, v33
	v_cndmask_b32_e64 v30, v30, |v27|, s3
	s_delay_alu instid0(VALU_DEP_4) | instskip(NEXT) | instid1(VALU_DEP_3)
	v_cndmask_b32_e64 v31, v31, 2, s3
	v_xor_b32_e32 v28, 0x80000000, v28
.LBB10_183:                             ;   in Loop: Header=BB10_161 Depth=1
	s_and_not1_saveexec_b32 s4, s7
; %bb.184:                              ;   in Loop: Header=BB10_161 Depth=1
	v_sub_f32_e64 v28, 2.0, |v27|
	v_add_f32_e64 v30, 0xbfbb16c3, |v27|
	v_cmp_gt_f32_e64 s3, 0x3fdda512, |v27|
	v_add_f32_e64 v31, |v27|, -1.0
	s_delay_alu instid0(VALU_DEP_2) | instskip(SKIP_2) | instid1(VALU_DEP_2)
	v_cndmask_b32_e64 v30, v28, v30, s3
	v_cndmask_b32_e64 v28, v28, 1.0, s3
	v_cmp_gt_f32_e64 s3, 0x3f9d70a4, |v27|
	v_cvt_i32_f32_e32 v28, v28
	s_delay_alu instid0(VALU_DEP_2) | instskip(NEXT) | instid1(VALU_DEP_2)
	v_cndmask_b32_e64 v30, v30, v31, s3
	v_cndmask_b32_e64 v31, v28, 2, s3
	v_mov_b32_e32 v28, 0
; %bb.185:                              ;   in Loop: Header=BB10_161 Depth=1
	s_or_b32 exec_lo, exec_lo, s4
	s_delay_alu instid0(SALU_CYCLE_1) | instskip(NEXT) | instid1(VALU_DEP_2)
	s_mov_b32 s4, exec_lo
	v_cmpx_lt_i32_e32 0, v31
	s_xor_b32 s4, exec_lo, s4
	s_cbranch_execz .LBB10_193
; %bb.186:                              ;   in Loop: Header=BB10_161 Depth=1
	s_mov_b32 s7, exec_lo
	v_cmpx_lt_i32_e32 1, v31
	s_xor_b32 s7, exec_lo, s7
	s_cbranch_execz .LBB10_190
; %bb.187:                              ;   in Loop: Header=BB10_161 Depth=1
	s_mov_b32 s8, exec_lo
	v_cmpx_eq_u32_e32 2, v31
	s_cbranch_execz .LBB10_189
; %bb.188:                              ;   in Loop: Header=BB10_161 Depth=1
	v_fmaak_f32 v32, s22, v30, 0x3e6a7578
	s_delay_alu instid0(VALU_DEP_1) | instskip(NEXT) | instid1(VALU_DEP_1)
	v_fmaak_f32 v32, v30, v32, 0x3f7a4bb2
	v_fmaak_f32 v32, v30, v32, 0x3fba3ae7
	s_delay_alu instid0(VALU_DEP_1) | instskip(NEXT) | instid1(VALU_DEP_1)
	v_fmaak_f32 v32, v30, v32, 0x3f2200f4
	v_fmaak_f32 v32, v30, v32, 0xbd9e233f
	s_delay_alu instid0(VALU_DEP_1) | instskip(NEXT) | instid1(VALU_DEP_1)
	v_dual_fmaak_f32 v31, s23, v30, 0x3dd572af :: v_dual_mul_f32 v32, v30, v32
	v_fmaak_f32 v31, v30, v31, 0x3f44efdf
	s_delay_alu instid0(VALU_DEP_1) | instskip(NEXT) | instid1(VALU_DEP_1)
	v_fmaak_f32 v31, v30, v31, 0x4008392d
	v_fmaak_f32 v31, v30, v31, 0x401d2ebe
	s_delay_alu instid0(VALU_DEP_1) | instskip(NEXT) | instid1(VALU_DEP_1)
	v_fma_f32 v31, v30, v31, 1.0
	v_rcp_f32_e32 v31, v31
	s_waitcnt_depctr 0xfff
	v_mul_f32_e32 v31, v32, v31
	s_delay_alu instid0(VALU_DEP_1) | instskip(NEXT) | instid1(VALU_DEP_1)
	v_fmac_f32_e32 v31, -0.5, v30
	v_add_f32_e32 v28, v28, v31
.LBB10_189:                             ;   in Loop: Header=BB10_161 Depth=1
	s_or_b32 exec_lo, exec_lo, s8
                                        ; implicit-def: $vgpr30
.LBB10_190:                             ;   in Loop: Header=BB10_161 Depth=1
	s_and_not1_saveexec_b32 s3, s7
	s_cbranch_execz .LBB10_192
; %bb.191:                              ;   in Loop: Header=BB10_161 Depth=1
	v_mul_f32_e32 v31, v30, v30
	s_delay_alu instid0(VALU_DEP_1) | instskip(NEXT) | instid1(VALU_DEP_1)
	v_mul_f32_e32 v32, v30, v31
	v_fmaak_f32 v34, s26, v32, 0xba0d3085
	v_fmaak_f32 v33, s25, v32, 0x3a66f867
	;; [unrolled: 1-line block ×3, first 2 shown]
	s_delay_alu instid0(VALU_DEP_3) | instskip(NEXT) | instid1(VALU_DEP_3)
	v_fmaak_f32 v34, v32, v34, 0x3b141699
	v_fmaak_f32 v33, v32, v33, 0xbb7177fe
	s_delay_alu instid0(VALU_DEP_3) | instskip(NEXT) | instid1(VALU_DEP_3)
	v_fmaak_f32 v35, v32, v35, 0x3bc7e707
	v_fmaak_f32 v34, v32, v34, 0xbc28fcfe
	;; [unrolled: 3-line block ×4, first 2 shown]
	s_delay_alu instid0(VALU_DEP_1) | instskip(NEXT) | instid1(VALU_DEP_1)
	v_dual_fmac_f32 v33, v30, v34 :: v_dual_fmaak_f32 v30, v32, v35, 0x3ef7b95e
	v_fma_f32 v32, v32, -v33, 0xa2863e55
	s_delay_alu instid0(VALU_DEP_1) | instskip(NEXT) | instid1(VALU_DEP_1)
	v_fma_f32 v30, v31, v30, -v32
	v_add_f32_e32 v30, 0xbdf8cdce, v30
	s_delay_alu instid0(VALU_DEP_1)
	v_add_f32_e32 v28, v28, v30
.LBB10_192:                             ;   in Loop: Header=BB10_161 Depth=1
	s_or_b32 exec_lo, exec_lo, s3
                                        ; implicit-def: $vgpr31
                                        ; implicit-def: $vgpr30
.LBB10_193:                             ;   in Loop: Header=BB10_161 Depth=1
	s_and_not1_saveexec_b32 s4, s4
	s_cbranch_execz .LBB10_197
; %bb.194:                              ;   in Loop: Header=BB10_161 Depth=1
	s_mov_b32 s7, exec_lo
	v_cmpx_eq_u32_e32 0, v31
	s_cbranch_execz .LBB10_196
; %bb.195:                              ;   in Loop: Header=BB10_161 Depth=1
	v_mul_f32_e32 v31, v30, v30
	s_delay_alu instid0(VALU_DEP_1) | instskip(NEXT) | instid1(VALU_DEP_1)
	v_fmaak_f32 v33, s27, v31, 0x39679767
	v_fmaak_f32 v33, v31, v33, 0x3a9c54a1
	s_delay_alu instid0(VALU_DEP_1) | instskip(NEXT) | instid1(VALU_DEP_1)
	v_fmaak_f32 v33, v31, v33, 0x3bf2027e
	v_fmaak_f32 v33, v31, v33, 0x3d89f001
	s_delay_alu instid0(VALU_DEP_1) | instskip(SKIP_1) | instid1(VALU_DEP_1)
	v_fmaak_f32 v33, v31, v33, 0x3d9e233f
	v_fmaak_f32 v32, s28, v31, 0x38e28445
	;; [unrolled: 1-line block ×3, first 2 shown]
	s_delay_alu instid0(VALU_DEP_1) | instskip(NEXT) | instid1(VALU_DEP_1)
	v_fmaak_f32 v32, v31, v32, 0x3b3d6ec6
	v_fmaak_f32 v32, v31, v32, 0x3ca89915
	s_delay_alu instid0(VALU_DEP_1) | instskip(NEXT) | instid1(VALU_DEP_1)
	v_fmaak_f32 v32, v31, v32, 0x3ea51a66
	v_mul_f32_e32 v31, v31, v32
	s_delay_alu instid0(VALU_DEP_1) | instskip(NEXT) | instid1(VALU_DEP_1)
	v_fmac_f32_e32 v31, v30, v33
	v_fmac_f32_e32 v31, -0.5, v30
	s_delay_alu instid0(VALU_DEP_1)
	v_add_f32_e32 v28, v28, v31
.LBB10_196:                             ;   in Loop: Header=BB10_161 Depth=1
	s_or_b32 exec_lo, exec_lo, s7
.LBB10_197:                             ;   in Loop: Header=BB10_161 Depth=1
	s_delay_alu instid0(SALU_CYCLE_1)
	s_or_b32 exec_lo, exec_lo, s4
.LBB10_198:                             ;   in Loop: Header=BB10_161 Depth=1
	s_delay_alu instid0(SALU_CYCLE_1)
	s_or_b32 exec_lo, exec_lo, s6
.LBB10_199:                             ;   in Loop: Header=BB10_161 Depth=1
	s_and_not1_saveexec_b32 s4, s5
	s_cbranch_execz .LBB10_201
; %bb.200:                              ;   in Loop: Header=BB10_161 Depth=1
	v_cmp_gt_f32_e64 s5, 0x800000, |v27|
	v_fma_f32 v32, |v27|, s29, 0xbecd26ab
	s_delay_alu instid0(VALU_DEP_2) | instskip(NEXT) | instid1(VALU_DEP_1)
	v_cndmask_b32_e64 v28, 1.0, 0x4f800000, s5
	v_mul_f32_e64 v28, |v27|, v28
	s_delay_alu instid0(VALU_DEP_1) | instskip(SKIP_3) | instid1(VALU_DEP_2)
	v_log_f32_e32 v28, v28
	s_waitcnt_depctr 0xfff
	v_mul_f32_e32 v30, 0x3f317217, v28
	v_cmp_gt_f32_e64 s3, 0x7f800000, |v28|
	v_fma_f32 v31, 0x3f317217, v28, -v30
	s_delay_alu instid0(VALU_DEP_1) | instskip(NEXT) | instid1(VALU_DEP_1)
	v_fmac_f32_e32 v31, 0x3377d1cf, v28
	v_add_f32_e32 v30, v30, v31
	v_fma_f32 v31, |v27|, v32, 0x3f528d33
	s_delay_alu instid0(VALU_DEP_2) | instskip(SKIP_1) | instid1(VALU_DEP_3)
	v_cndmask_b32_e64 v28, v28, v30, s3
	v_cndmask_b32_e64 v30, 0, 0x41b17218, s5
	v_fma_f32 v31, |v27|, v31, 0xbf13c468
	s_delay_alu instid0(VALU_DEP_2) | instskip(NEXT) | instid1(VALU_DEP_1)
	v_sub_f32_e32 v28, v28, v30
	v_fma_f32 v28, |v27|, v31, -v28
.LBB10_201:                             ;   in Loop: Header=BB10_161 Depth=1
	s_or_b32 exec_lo, exec_lo, s4
	v_cmp_le_f16_e64 s3, 0, v26
	s_mov_b32 s5, exec_lo
	v_cmpx_nle_f16_e32 0, v26
	s_xor_b32 s6, exec_lo, s5
	s_cbranch_execz .LBB10_205
; %bb.202:                              ;   in Loop: Header=BB10_161 Depth=1
	v_cmp_gt_f32_e64 s4, 0x4b000000, |v27|
	v_cmp_lt_f32_e64 s5, 0x35000000, |v27|
	s_delay_alu instid0(VALU_DEP_1) | instskip(NEXT) | instid1(SALU_CYCLE_1)
	s_and_b32 s4, s4, s5
	s_and_saveexec_b32 s7, s4
	s_cbranch_execz .LBB10_204
; %bb.203:                              ;   in Loop: Header=BB10_161 Depth=1
	v_mul_f32_e64 v30, |v27|, 0.5
	v_xor_b32_e32 v29, v29, v27
	s_delay_alu instid0(VALU_DEP_2) | instskip(SKIP_1) | instid1(VALU_DEP_2)
	v_floor_f32_e32 v31, v30
	v_cmp_neq_f32_e64 s4, 0x7f800000, v30
	v_sub_f32_e32 v31, v30, v31
	s_delay_alu instid0(VALU_DEP_1) | instskip(NEXT) | instid1(VALU_DEP_1)
	v_min_f32_e32 v31, 0x3f7fffff, v31
	v_add_f32_e32 v31, v31, v31
	s_delay_alu instid0(VALU_DEP_1) | instskip(SKIP_1) | instid1(VALU_DEP_1)
	v_cndmask_b32_e64 v30, 0, v31, s4
	v_cmp_gt_f32_e64 s4, |v27|, 1.0
	v_cndmask_b32_e64 v30, |v27|, v30, s4
	s_delay_alu instid0(VALU_DEP_1) | instskip(NEXT) | instid1(VALU_DEP_1)
	v_add_f32_e32 v31, v30, v30
	v_rndne_f32_e32 v31, v31
	s_delay_alu instid0(VALU_DEP_1) | instskip(SKIP_1) | instid1(VALU_DEP_2)
	v_fmac_f32_e32 v30, -0.5, v31
	v_cvt_i32_f32_e32 v31, v31
	v_mul_f32_e32 v32, v30, v30
	s_delay_alu instid0(VALU_DEP_1) | instskip(SKIP_1) | instid1(VALU_DEP_2)
	v_fmaak_f32 v33, s30, v32, 0xbf1f24be
	v_fmaak_f32 v34, s31, v32, 0x3e642e9d
	;; [unrolled: 1-line block ×3, first 2 shown]
	s_delay_alu instid0(VALU_DEP_2) | instskip(NEXT) | instid1(VALU_DEP_2)
	v_dual_fmaak_f32 v34, v32, v34, 0xbfaad1da :: v_dual_mul_f32 v35, v30, v32
	v_fmaak_f32 v33, v32, v33, 0xc0a55e0e
	s_delay_alu instid0(VALU_DEP_1) | instskip(NEXT) | instid1(VALU_DEP_1)
	v_dual_fmaak_f32 v34, v32, v34, 0x4081e0d3 :: v_dual_mul_f32 v33, v35, v33
	v_dual_fmaak_f32 v34, v32, v34, 0xc09de9e6 :: v_dual_and_b32 v35, 1, v31
	v_lshlrev_b32_e32 v31, 30, v31
	s_delay_alu instid0(VALU_DEP_3) | instskip(NEXT) | instid1(VALU_DEP_3)
	v_fmac_f32_e32 v33, 0x40490fdb, v30
	v_fma_f32 v30, v32, v34, 1.0
	s_delay_alu instid0(VALU_DEP_4) | instskip(NEXT) | instid1(VALU_DEP_4)
	v_cmp_eq_u32_e64 s4, 0, v35
	v_and_b32_e32 v31, 0x80000000, v31
	s_delay_alu instid0(VALU_DEP_2) | instskip(NEXT) | instid1(VALU_DEP_1)
	v_cndmask_b32_e64 v30, v30, v33, s4
	v_xor3_b32 v29, v29, v31, v30
	s_delay_alu instid0(VALU_DEP_1) | instskip(NEXT) | instid1(VALU_DEP_1)
	v_mul_f32_e32 v29, v27, v29
	v_frexp_mant_f32_e64 v30, |v29|
	v_frexp_exp_i32_f32_e32 v29, v29
	s_delay_alu instid0(VALU_DEP_2) | instskip(NEXT) | instid1(VALU_DEP_1)
	v_rcp_f32_e32 v30, v30
	v_sub_nc_u32_e32 v29, 2, v29
	s_waitcnt_depctr 0xfff
	v_mul_f32_e32 v30, 0x3f490fdb, v30
	s_delay_alu instid0(VALU_DEP_1) | instskip(NEXT) | instid1(VALU_DEP_1)
	v_ldexp_f32 v29, v30, v29
	v_cmp_gt_f32_e64 s4, 0x800000, v29
	s_delay_alu instid0(VALU_DEP_1) | instskip(NEXT) | instid1(VALU_DEP_1)
	v_cndmask_b32_e64 v30, 1.0, 0x4f800000, s4
	v_mul_f32_e32 v29, v29, v30
	s_delay_alu instid0(VALU_DEP_1) | instskip(SKIP_3) | instid1(VALU_DEP_2)
	v_log_f32_e32 v29, v29
	s_waitcnt_depctr 0xfff
	v_mul_f32_e32 v30, 0x3f317217, v29
	v_cmp_gt_f32_e64 s5, 0x7f800000, |v29|
	v_fma_f32 v31, 0x3f317217, v29, -v30
	s_delay_alu instid0(VALU_DEP_1) | instskip(NEXT) | instid1(VALU_DEP_1)
	v_fmac_f32_e32 v31, 0x3377d1cf, v29
	v_add_f32_e32 v30, v30, v31
	v_floor_f32_e32 v31, v27
	s_delay_alu instid0(VALU_DEP_2) | instskip(SKIP_1) | instid1(VALU_DEP_3)
	v_cndmask_b32_e64 v29, v29, v30, s5
	v_cndmask_b32_e64 v30, 0, 0x41b17218, s4
	v_sub_f32_e32 v31, v27, v31
	s_delay_alu instid0(VALU_DEP_1) | instskip(NEXT) | instid1(VALU_DEP_1)
	v_dual_sub_f32 v29, v29, v30 :: v_dual_min_f32 v30, 0x3f7fffff, v31
	v_sub_f32_e32 v28, v29, v28
	s_delay_alu instid0(VALU_DEP_2) | instskip(NEXT) | instid1(VALU_DEP_1)
	v_cmp_neq_f32_e64 s4, 0, v30
	v_cndmask_b32_e64 v28, 0x7f800000, v28, s4
.LBB10_204:                             ;   in Loop: Header=BB10_161 Depth=1
	s_or_b32 exec_lo, exec_lo, s7
.LBB10_205:                             ;   in Loop: Header=BB10_161 Depth=1
	s_and_not1_saveexec_b32 s6, s6
; %bb.206:                              ;   in Loop: Header=BB10_161 Depth=1
	v_cmp_eq_f16_e64 s4, 1.0, v26
	v_cmp_eq_f16_e64 s5, 2.0, v26
	s_delay_alu instid0(VALU_DEP_1) | instskip(NEXT) | instid1(SALU_CYCLE_1)
	s_or_b32 s4, s4, s5
	v_cndmask_b32_e64 v28, v28, 0, s4
; %bb.207:                              ;   in Loop: Header=BB10_161 Depth=1
	s_or_b32 exec_lo, exec_lo, s6
	v_cvt_f32_f16_e32 v29, v25
                                        ; implicit-def: $vgpr30
	s_mov_b32 s5, exec_lo
	s_delay_alu instid0(VALU_DEP_1)
	v_and_b32_e32 v31, 0x7fffffff, v29
	v_cmpx_ngt_f32_e64 0x3c800000, |v29|
	s_xor_b32 s6, exec_lo, s5
	s_cbranch_execz .LBB10_237
; %bb.208:                              ;   in Loop: Header=BB10_161 Depth=1
                                        ; implicit-def: $vgpr30
	s_mov_b32 s5, exec_lo
	v_cmpx_nlt_f32_e64 |v29|, 2.0
	s_xor_b32 s7, exec_lo, s5
	s_cbranch_execz .LBB10_218
; %bb.209:                              ;   in Loop: Header=BB10_161 Depth=1
	s_mov_b32 s5, exec_lo
                                        ; implicit-def: $vgpr30
	v_cmpx_ngt_f32_e64 0x41000000, |v29|
	s_xor_b32 s5, exec_lo, s5
	s_cbranch_execz .LBB10_215
; %bb.210:                              ;   in Loop: Header=BB10_161 Depth=1
	s_mov_b32 s8, exec_lo
                                        ; implicit-def: $vgpr30
	v_cmpx_ngt_f32_e64 0x5c800000, |v29|
	s_xor_b32 s8, exec_lo, s8
	s_cbranch_execz .LBB10_212
; %bb.211:                              ;   in Loop: Header=BB10_161 Depth=1
	v_cmp_gt_f32_e64 s33, 0x800000, |v29|
	s_delay_alu instid0(VALU_DEP_1) | instskip(NEXT) | instid1(VALU_DEP_1)
	v_cndmask_b32_e64 v30, 1.0, 0x4f800000, s33
	v_mul_f32_e64 v30, |v29|, v30
	s_delay_alu instid0(VALU_DEP_1) | instskip(SKIP_3) | instid1(VALU_DEP_2)
	v_log_f32_e32 v30, v30
	s_waitcnt_depctr 0xfff
	v_mul_f32_e32 v32, 0x3f317217, v30
	v_cmp_gt_f32_e64 s4, 0x7f800000, |v30|
	v_fma_f32 v33, 0x3f317217, v30, -v32
	s_delay_alu instid0(VALU_DEP_1) | instskip(NEXT) | instid1(VALU_DEP_1)
	v_fmac_f32_e32 v33, 0x3377d1cf, v30
	v_add_f32_e32 v32, v32, v33
	s_delay_alu instid0(VALU_DEP_1) | instskip(SKIP_1) | instid1(VALU_DEP_1)
	v_cndmask_b32_e64 v30, v30, v32, s4
	v_cndmask_b32_e64 v32, 0, 0x41b17218, s33
	v_sub_f32_e32 v30, v30, v32
	s_delay_alu instid0(VALU_DEP_1)
	v_fma_f32 v30, |v29|, v30, -|v29|
.LBB10_212:                             ;   in Loop: Header=BB10_161 Depth=1
	s_and_not1_saveexec_b32 s8, s8
	s_cbranch_execz .LBB10_214
; %bb.213:                              ;   in Loop: Header=BB10_161 Depth=1
	v_cmp_gt_f32_e64 s33, 0x800000, |v29|
	v_rcp_f32_e64 v32, |v29|
	s_delay_alu instid0(VALU_DEP_1) | instskip(NEXT) | instid1(VALU_DEP_1)
	v_cndmask_b32_e64 v30, 1.0, 0x4f800000, s33
	v_mul_f32_e64 v30, |v29|, v30
	s_delay_alu instid0(VALU_DEP_1) | instskip(SKIP_3) | instid1(VALU_DEP_2)
	v_log_f32_e32 v30, v30
	s_waitcnt_depctr 0xfff
	v_dual_mul_f32 v33, v32, v32 :: v_dual_mul_f32 v34, 0x3f317217, v30
	v_cmp_gt_f32_e64 s4, 0x7f800000, |v30|
	v_fma_f32 v36, 0x3f317217, v30, -v34
	s_delay_alu instid0(VALU_DEP_1) | instskip(NEXT) | instid1(VALU_DEP_1)
	v_fmac_f32_e32 v36, 0x3377d1cf, v30
	v_dual_fmaak_f32 v35, s9, v33, 0x3a5b3dd2 :: v_dual_add_f32 v34, v34, v36
	s_delay_alu instid0(VALU_DEP_1) | instskip(SKIP_1) | instid1(VALU_DEP_1)
	v_cndmask_b32_e64 v30, v30, v34, s4
	v_cndmask_b32_e64 v34, 0, 0x41b17218, s33
	v_dual_fmaak_f32 v35, v33, v35, 0xba1c065c :: v_dual_sub_f32 v34, v30, v34
	s_delay_alu instid0(VALU_DEP_1) | instskip(NEXT) | instid1(VALU_DEP_1)
	v_fmaak_f32 v35, v33, v35, 0x3a500cfd
	v_fmaak_f32 v35, v33, v35, 0xbb360b61
	s_delay_alu instid0(VALU_DEP_1) | instskip(NEXT) | instid1(VALU_DEP_1)
	v_fmaak_f32 v33, v33, v35, 0x3daaaaab
	v_dual_fmaak_f32 v30, v32, v33, 0x3ed67f1d :: v_dual_add_f32 v33, -1.0, v34
	v_add_f32_e64 v32, |v29|, -0.5
	s_delay_alu instid0(VALU_DEP_1)
	v_fmac_f32_e32 v30, v32, v33
.LBB10_214:                             ;   in Loop: Header=BB10_161 Depth=1
	s_or_b32 exec_lo, exec_lo, s8
.LBB10_215:                             ;   in Loop: Header=BB10_161 Depth=1
	s_and_not1_saveexec_b32 s8, s5
	s_cbranch_execz .LBB10_217
; %bb.216:                              ;   in Loop: Header=BB10_161 Depth=1
	v_cvt_i32_f32_e32 v30, v31
	s_delay_alu instid0(VALU_DEP_1) | instskip(SKIP_1) | instid1(VALU_DEP_2)
	v_cvt_f32_i32_e32 v32, v30
	v_cmp_lt_i32_e64 s4, 2, v30
	v_sub_f32_e64 v32, |v29|, v32
	s_delay_alu instid0(VALU_DEP_1) | instskip(SKIP_2) | instid1(VALU_DEP_3)
	v_add_f32_e32 v33, 2.0, v32
	v_add_f32_e32 v34, 0x40400000, v32
	v_add_f32_e32 v35, 4.0, v32
	v_cndmask_b32_e64 v33, 1.0, v33, s4
	v_cmp_lt_i32_e64 s4, 3, v30
	s_delay_alu instid0(VALU_DEP_1) | instskip(SKIP_1) | instid1(VALU_DEP_2)
	v_cndmask_b32_e64 v34, 1.0, v34, s4
	v_cmp_lt_i32_e64 s4, 4, v30
	v_dual_add_f32 v36, 0x40a00000, v32 :: v_dual_mul_f32 v33, v33, v34
	s_delay_alu instid0(VALU_DEP_2) | instskip(SKIP_1) | instid1(VALU_DEP_2)
	v_cndmask_b32_e64 v35, 1.0, v35, s4
	v_cmp_lt_i32_e64 s4, 5, v30
	v_mul_f32_e32 v33, v35, v33
	s_delay_alu instid0(VALU_DEP_2) | instskip(SKIP_3) | instid1(VALU_DEP_4)
	v_cndmask_b32_e64 v36, 1.0, v36, s4
	v_add_f32_e32 v34, 0x40c00000, v32
	v_cmp_lt_i32_e64 s4, 6, v30
	v_fmaak_f32 v35, s20, v32, 0x3af135b4
	v_mul_f32_e32 v33, v36, v33
	s_delay_alu instid0(VALU_DEP_3) | instskip(NEXT) | instid1(VALU_DEP_1)
	v_cndmask_b32_e64 v30, 1.0, v34, s4
	v_mul_f32_e32 v30, v30, v33
	s_delay_alu instid0(VALU_DEP_1) | instskip(NEXT) | instid1(VALU_DEP_1)
	v_cmp_gt_f32_e64 s4, 0x800000, v30
	v_cndmask_b32_e64 v34, 1.0, 0x4f800000, s4
	s_delay_alu instid0(VALU_DEP_1) | instskip(SKIP_1) | instid1(VALU_DEP_2)
	v_mul_f32_e32 v30, v30, v34
	v_fmaak_f32 v34, v32, v35, 0x3cda40e4
	v_log_f32_e32 v30, v30
	s_waitcnt_depctr 0xfff
	v_mul_f32_e32 v35, 0x3f317217, v30
	v_cmp_gt_f32_e64 s5, 0x7f800000, |v30|
	s_delay_alu instid0(VALU_DEP_2) | instskip(NEXT) | instid1(VALU_DEP_1)
	v_fma_f32 v36, 0x3f317217, v30, -v35
	v_fmac_f32_e32 v36, 0x3377d1cf, v30
	s_delay_alu instid0(VALU_DEP_1) | instskip(NEXT) | instid1(VALU_DEP_1)
	v_dual_add_f32 v35, v35, v36 :: v_dual_fmaak_f32 v34, v32, v34, 0x3e15dce6
	v_cndmask_b32_e64 v30, v30, v35, s5
	s_delay_alu instid0(VALU_DEP_2) | instskip(NEXT) | instid1(VALU_DEP_1)
	v_fmaak_f32 v34, v32, v34, 0x3ea6cc7a
	v_fmaak_f32 v34, v32, v34, 0x3e5c245a
	s_delay_alu instid0(VALU_DEP_1) | instskip(NEXT) | instid1(VALU_DEP_1)
	v_fmaak_f32 v34, v32, v34, 0xbd9e233f
	v_dual_fmaak_f32 v33, s21, v32, 0x3a4beed6 :: v_dual_mul_f32 v34, v32, v34
	s_delay_alu instid0(VALU_DEP_1) | instskip(NEXT) | instid1(VALU_DEP_1)
	v_fmaak_f32 v33, v32, v33, 0x3c98bf54
	v_fmaak_f32 v33, v32, v33, 0x3e300f6e
	s_delay_alu instid0(VALU_DEP_1) | instskip(NEXT) | instid1(VALU_DEP_1)
	v_fmaak_f32 v33, v32, v33, 0x3f38d0c5
	v_fmaak_f32 v33, v32, v33, 0x3fb22d3b
	s_delay_alu instid0(VALU_DEP_1) | instskip(NEXT) | instid1(VALU_DEP_1)
	v_fma_f32 v33, v32, v33, 1.0
	v_rcp_f32_e32 v33, v33
	s_waitcnt_depctr 0xfff
	v_mul_f32_e32 v33, v34, v33
	v_cndmask_b32_e64 v34, 0, 0x41b17218, s4
	s_delay_alu instid0(VALU_DEP_1) | instskip(NEXT) | instid1(VALU_DEP_1)
	v_dual_fmac_f32 v33, 0.5, v32 :: v_dual_sub_f32 v30, v30, v34
	v_add_f32_e32 v30, v30, v33
.LBB10_217:                             ;   in Loop: Header=BB10_161 Depth=1
	s_or_b32 exec_lo, exec_lo, s8
.LBB10_218:                             ;   in Loop: Header=BB10_161 Depth=1
	s_and_not1_saveexec_b32 s7, s7
	s_cbranch_execz .LBB10_236
; %bb.219:                              ;   in Loop: Header=BB10_161 Depth=1
                                        ; implicit-def: $vgpr30
                                        ; implicit-def: $vgpr33
                                        ; implicit-def: $vgpr32
	s_mov_b32 s5, exec_lo
	v_cmpx_ge_f32_e64 0x3f666666, |v29|
	s_xor_b32 s8, exec_lo, s5
	s_cbranch_execz .LBB10_221
; %bb.220:                              ;   in Loop: Header=BB10_161 Depth=1
	v_cmp_gt_f32_e64 s5, 0x800000, |v29|
	v_sub_f32_e64 v34, 1.0, |v29|
	v_cmp_gt_f32_e64 s4, 0x3f3b4a23, |v29|
	s_delay_alu instid0(VALU_DEP_3) | instskip(SKIP_1) | instid1(VALU_DEP_2)
	v_cndmask_b32_e64 v30, 1.0, 0x4f800000, s5
	v_cndmask_b32_e64 v35, 0, 0x41b17218, s5
	v_mul_f32_e64 v30, |v29|, v30
	s_delay_alu instid0(VALU_DEP_1) | instskip(SKIP_3) | instid1(VALU_DEP_2)
	v_log_f32_e32 v30, v30
	s_waitcnt_depctr 0xfff
	v_mul_f32_e32 v32, 0x3f317217, v30
	v_cmp_gt_f32_e64 s5, 0x7f800000, |v30|
	v_fma_f32 v33, 0x3f317217, v30, -v32
	s_delay_alu instid0(VALU_DEP_1) | instskip(NEXT) | instid1(VALU_DEP_1)
	v_fmac_f32_e32 v33, 0x3377d1cf, v30
	v_add_f32_e32 v32, v32, v33
	v_add_f32_e64 v33, 0xbeec5b0c, |v29|
	s_delay_alu instid0(VALU_DEP_2) | instskip(NEXT) | instid1(VALU_DEP_2)
	v_cndmask_b32_e64 v30, v30, v32, s5
	v_cndmask_b32_e64 v32, v34, v33, s4
	;; [unrolled: 1-line block ×3, first 2 shown]
	v_cmp_gt_f32_e64 s4, 0x3e6d3309, |v29|
	s_delay_alu instid0(VALU_DEP_4) | instskip(NEXT) | instid1(VALU_DEP_2)
	v_sub_f32_e32 v30, v30, v35
	v_cndmask_b32_e64 v32, v32, |v29|, s4
	s_delay_alu instid0(VALU_DEP_4) | instskip(NEXT) | instid1(VALU_DEP_3)
	v_cndmask_b32_e64 v33, v33, 2, s4
	v_xor_b32_e32 v30, 0x80000000, v30
.LBB10_221:                             ;   in Loop: Header=BB10_161 Depth=1
	s_and_not1_saveexec_b32 s5, s8
; %bb.222:                              ;   in Loop: Header=BB10_161 Depth=1
	v_sub_f32_e64 v30, 2.0, |v29|
	v_add_f32_e64 v32, 0xbfbb16c3, |v29|
	v_cmp_gt_f32_e64 s4, 0x3fdda512, |v29|
	v_add_f32_e64 v33, |v29|, -1.0
	s_delay_alu instid0(VALU_DEP_2) | instskip(SKIP_2) | instid1(VALU_DEP_2)
	v_cndmask_b32_e64 v32, v30, v32, s4
	v_cndmask_b32_e64 v30, v30, 1.0, s4
	v_cmp_gt_f32_e64 s4, 0x3f9d70a4, |v29|
	v_cvt_i32_f32_e32 v30, v30
	s_delay_alu instid0(VALU_DEP_2) | instskip(NEXT) | instid1(VALU_DEP_2)
	v_cndmask_b32_e64 v32, v32, v33, s4
	v_cndmask_b32_e64 v33, v30, 2, s4
	v_mov_b32_e32 v30, 0
; %bb.223:                              ;   in Loop: Header=BB10_161 Depth=1
	s_or_b32 exec_lo, exec_lo, s5
	s_delay_alu instid0(SALU_CYCLE_1) | instskip(NEXT) | instid1(VALU_DEP_2)
	s_mov_b32 s5, exec_lo
	v_cmpx_lt_i32_e32 0, v33
	s_xor_b32 s5, exec_lo, s5
	s_cbranch_execz .LBB10_231
; %bb.224:                              ;   in Loop: Header=BB10_161 Depth=1
	s_mov_b32 s8, exec_lo
	v_cmpx_lt_i32_e32 1, v33
	s_xor_b32 s8, exec_lo, s8
	s_cbranch_execz .LBB10_228
; %bb.225:                              ;   in Loop: Header=BB10_161 Depth=1
	s_mov_b32 s33, exec_lo
	v_cmpx_eq_u32_e32 2, v33
	s_cbranch_execz .LBB10_227
; %bb.226:                              ;   in Loop: Header=BB10_161 Depth=1
	v_fmaak_f32 v34, s22, v32, 0x3e6a7578
	s_delay_alu instid0(VALU_DEP_1) | instskip(NEXT) | instid1(VALU_DEP_1)
	v_fmaak_f32 v34, v32, v34, 0x3f7a4bb2
	v_fmaak_f32 v34, v32, v34, 0x3fba3ae7
	s_delay_alu instid0(VALU_DEP_1) | instskip(NEXT) | instid1(VALU_DEP_1)
	v_fmaak_f32 v34, v32, v34, 0x3f2200f4
	v_fmaak_f32 v34, v32, v34, 0xbd9e233f
	s_delay_alu instid0(VALU_DEP_1) | instskip(NEXT) | instid1(VALU_DEP_1)
	v_dual_fmaak_f32 v33, s23, v32, 0x3dd572af :: v_dual_mul_f32 v34, v32, v34
	v_fmaak_f32 v33, v32, v33, 0x3f44efdf
	s_delay_alu instid0(VALU_DEP_1) | instskip(NEXT) | instid1(VALU_DEP_1)
	v_fmaak_f32 v33, v32, v33, 0x4008392d
	v_fmaak_f32 v33, v32, v33, 0x401d2ebe
	s_delay_alu instid0(VALU_DEP_1) | instskip(NEXT) | instid1(VALU_DEP_1)
	v_fma_f32 v33, v32, v33, 1.0
	v_rcp_f32_e32 v33, v33
	s_waitcnt_depctr 0xfff
	v_mul_f32_e32 v33, v34, v33
	s_delay_alu instid0(VALU_DEP_1) | instskip(NEXT) | instid1(VALU_DEP_1)
	v_fmac_f32_e32 v33, -0.5, v32
	v_add_f32_e32 v30, v30, v33
.LBB10_227:                             ;   in Loop: Header=BB10_161 Depth=1
	s_or_b32 exec_lo, exec_lo, s33
                                        ; implicit-def: $vgpr32
.LBB10_228:                             ;   in Loop: Header=BB10_161 Depth=1
	s_and_not1_saveexec_b32 s4, s8
	s_cbranch_execz .LBB10_230
; %bb.229:                              ;   in Loop: Header=BB10_161 Depth=1
	v_mul_f32_e32 v33, v32, v32
	s_delay_alu instid0(VALU_DEP_1) | instskip(NEXT) | instid1(VALU_DEP_1)
	v_mul_f32_e32 v34, v32, v33
	v_fmaak_f32 v36, s26, v34, 0xba0d3085
	v_fmaak_f32 v35, s25, v34, 0x3a66f867
	;; [unrolled: 1-line block ×3, first 2 shown]
	s_delay_alu instid0(VALU_DEP_3) | instskip(NEXT) | instid1(VALU_DEP_3)
	v_fmaak_f32 v36, v34, v36, 0x3b141699
	v_fmaak_f32 v35, v34, v35, 0xbb7177fe
	s_delay_alu instid0(VALU_DEP_3) | instskip(NEXT) | instid1(VALU_DEP_3)
	v_fmaak_f32 v37, v34, v37, 0x3bc7e707
	v_fmaak_f32 v36, v34, v36, 0xbc28fcfe
	;; [unrolled: 3-line block ×4, first 2 shown]
	s_delay_alu instid0(VALU_DEP_1) | instskip(NEXT) | instid1(VALU_DEP_1)
	v_dual_fmac_f32 v35, v32, v36 :: v_dual_fmaak_f32 v32, v34, v37, 0x3ef7b95e
	v_fma_f32 v34, v34, -v35, 0xa2863e55
	s_delay_alu instid0(VALU_DEP_1) | instskip(NEXT) | instid1(VALU_DEP_1)
	v_fma_f32 v32, v33, v32, -v34
	v_add_f32_e32 v32, 0xbdf8cdce, v32
	s_delay_alu instid0(VALU_DEP_1)
	v_add_f32_e32 v30, v30, v32
.LBB10_230:                             ;   in Loop: Header=BB10_161 Depth=1
	s_or_b32 exec_lo, exec_lo, s4
                                        ; implicit-def: $vgpr33
                                        ; implicit-def: $vgpr32
.LBB10_231:                             ;   in Loop: Header=BB10_161 Depth=1
	s_and_not1_saveexec_b32 s5, s5
	s_cbranch_execz .LBB10_235
; %bb.232:                              ;   in Loop: Header=BB10_161 Depth=1
	s_mov_b32 s8, exec_lo
	v_cmpx_eq_u32_e32 0, v33
	s_cbranch_execz .LBB10_234
; %bb.233:                              ;   in Loop: Header=BB10_161 Depth=1
	v_mul_f32_e32 v33, v32, v32
	s_delay_alu instid0(VALU_DEP_1) | instskip(NEXT) | instid1(VALU_DEP_1)
	v_fmaak_f32 v35, s27, v33, 0x39679767
	v_fmaak_f32 v35, v33, v35, 0x3a9c54a1
	s_delay_alu instid0(VALU_DEP_1) | instskip(NEXT) | instid1(VALU_DEP_1)
	v_fmaak_f32 v35, v33, v35, 0x3bf2027e
	v_fmaak_f32 v35, v33, v35, 0x3d89f001
	s_delay_alu instid0(VALU_DEP_1) | instskip(SKIP_1) | instid1(VALU_DEP_1)
	v_fmaak_f32 v35, v33, v35, 0x3d9e233f
	v_fmaak_f32 v34, s28, v33, 0x38e28445
	;; [unrolled: 1-line block ×3, first 2 shown]
	s_delay_alu instid0(VALU_DEP_1) | instskip(NEXT) | instid1(VALU_DEP_1)
	v_fmaak_f32 v34, v33, v34, 0x3b3d6ec6
	v_fmaak_f32 v34, v33, v34, 0x3ca89915
	s_delay_alu instid0(VALU_DEP_1) | instskip(NEXT) | instid1(VALU_DEP_1)
	v_fmaak_f32 v34, v33, v34, 0x3ea51a66
	v_mul_f32_e32 v33, v33, v34
	s_delay_alu instid0(VALU_DEP_1) | instskip(NEXT) | instid1(VALU_DEP_1)
	v_fmac_f32_e32 v33, v32, v35
	v_fmac_f32_e32 v33, -0.5, v32
	s_delay_alu instid0(VALU_DEP_1)
	v_add_f32_e32 v30, v30, v33
.LBB10_234:                             ;   in Loop: Header=BB10_161 Depth=1
	s_or_b32 exec_lo, exec_lo, s8
.LBB10_235:                             ;   in Loop: Header=BB10_161 Depth=1
	s_delay_alu instid0(SALU_CYCLE_1)
	s_or_b32 exec_lo, exec_lo, s5
.LBB10_236:                             ;   in Loop: Header=BB10_161 Depth=1
	s_delay_alu instid0(SALU_CYCLE_1)
	s_or_b32 exec_lo, exec_lo, s7
.LBB10_237:                             ;   in Loop: Header=BB10_161 Depth=1
	s_and_not1_saveexec_b32 s5, s6
	s_cbranch_execz .LBB10_239
; %bb.238:                              ;   in Loop: Header=BB10_161 Depth=1
	v_cmp_gt_f32_e64 s6, 0x800000, |v29|
	v_fma_f32 v34, |v29|, s29, 0xbecd26ab
	s_delay_alu instid0(VALU_DEP_2) | instskip(NEXT) | instid1(VALU_DEP_1)
	v_cndmask_b32_e64 v30, 1.0, 0x4f800000, s6
	v_mul_f32_e64 v30, |v29|, v30
	s_delay_alu instid0(VALU_DEP_1) | instskip(SKIP_3) | instid1(VALU_DEP_2)
	v_log_f32_e32 v30, v30
	s_waitcnt_depctr 0xfff
	v_mul_f32_e32 v32, 0x3f317217, v30
	v_cmp_gt_f32_e64 s4, 0x7f800000, |v30|
	v_fma_f32 v33, 0x3f317217, v30, -v32
	s_delay_alu instid0(VALU_DEP_1) | instskip(NEXT) | instid1(VALU_DEP_1)
	v_fmac_f32_e32 v33, 0x3377d1cf, v30
	v_add_f32_e32 v32, v32, v33
	v_fma_f32 v33, |v29|, v34, 0x3f528d33
	s_delay_alu instid0(VALU_DEP_2) | instskip(SKIP_1) | instid1(VALU_DEP_3)
	v_cndmask_b32_e64 v30, v30, v32, s4
	v_cndmask_b32_e64 v32, 0, 0x41b17218, s6
	v_fma_f32 v33, |v29|, v33, 0xbf13c468
	s_delay_alu instid0(VALU_DEP_2) | instskip(NEXT) | instid1(VALU_DEP_1)
	v_sub_f32_e32 v30, v30, v32
	v_fma_f32 v30, |v29|, v33, -v30
.LBB10_239:                             ;   in Loop: Header=BB10_161 Depth=1
	s_or_b32 exec_lo, exec_lo, s5
	v_cmp_le_f16_e64 s4, 0, v25
	s_mov_b32 s6, exec_lo
	v_cmpx_nle_f16_e32 0, v25
	s_xor_b32 s7, exec_lo, s6
	s_cbranch_execz .LBB10_243
; %bb.240:                              ;   in Loop: Header=BB10_161 Depth=1
	v_cmp_gt_f32_e64 s5, 0x4b000000, |v29|
	v_cmp_lt_f32_e64 s6, 0x35000000, |v29|
	s_delay_alu instid0(VALU_DEP_1) | instskip(NEXT) | instid1(SALU_CYCLE_1)
	s_and_b32 s5, s5, s6
	s_and_saveexec_b32 s8, s5
	s_cbranch_execz .LBB10_242
; %bb.241:                              ;   in Loop: Header=BB10_161 Depth=1
	v_mul_f32_e64 v32, |v29|, 0.5
	v_xor_b32_e32 v31, v31, v29
	s_delay_alu instid0(VALU_DEP_2) | instskip(SKIP_1) | instid1(VALU_DEP_2)
	v_floor_f32_e32 v33, v32
	v_cmp_neq_f32_e64 s5, 0x7f800000, v32
	v_sub_f32_e32 v33, v32, v33
	s_delay_alu instid0(VALU_DEP_1) | instskip(NEXT) | instid1(VALU_DEP_1)
	v_min_f32_e32 v33, 0x3f7fffff, v33
	v_add_f32_e32 v33, v33, v33
	s_delay_alu instid0(VALU_DEP_1) | instskip(SKIP_1) | instid1(VALU_DEP_1)
	v_cndmask_b32_e64 v32, 0, v33, s5
	v_cmp_gt_f32_e64 s5, |v29|, 1.0
	v_cndmask_b32_e64 v32, |v29|, v32, s5
	s_delay_alu instid0(VALU_DEP_1) | instskip(NEXT) | instid1(VALU_DEP_1)
	v_add_f32_e32 v33, v32, v32
	v_rndne_f32_e32 v33, v33
	s_delay_alu instid0(VALU_DEP_1) | instskip(SKIP_1) | instid1(VALU_DEP_2)
	v_fmac_f32_e32 v32, -0.5, v33
	v_cvt_i32_f32_e32 v33, v33
	v_mul_f32_e32 v34, v32, v32
	s_delay_alu instid0(VALU_DEP_1) | instskip(SKIP_1) | instid1(VALU_DEP_2)
	v_fmaak_f32 v35, s30, v34, 0xbf1f24be
	v_fmaak_f32 v36, s31, v34, 0x3e642e9d
	;; [unrolled: 1-line block ×3, first 2 shown]
	s_delay_alu instid0(VALU_DEP_2) | instskip(NEXT) | instid1(VALU_DEP_2)
	v_dual_fmaak_f32 v36, v34, v36, 0xbfaad1da :: v_dual_mul_f32 v37, v32, v34
	v_fmaak_f32 v35, v34, v35, 0xc0a55e0e
	s_delay_alu instid0(VALU_DEP_1) | instskip(NEXT) | instid1(VALU_DEP_1)
	v_dual_fmaak_f32 v36, v34, v36, 0x4081e0d3 :: v_dual_mul_f32 v35, v37, v35
	v_dual_fmaak_f32 v36, v34, v36, 0xc09de9e6 :: v_dual_and_b32 v37, 1, v33
	v_lshlrev_b32_e32 v33, 30, v33
	s_delay_alu instid0(VALU_DEP_3) | instskip(NEXT) | instid1(VALU_DEP_3)
	v_fmac_f32_e32 v35, 0x40490fdb, v32
	v_fma_f32 v32, v34, v36, 1.0
	s_delay_alu instid0(VALU_DEP_4) | instskip(NEXT) | instid1(VALU_DEP_4)
	v_cmp_eq_u32_e64 s5, 0, v37
	v_and_b32_e32 v33, 0x80000000, v33
	s_delay_alu instid0(VALU_DEP_2) | instskip(NEXT) | instid1(VALU_DEP_1)
	v_cndmask_b32_e64 v32, v32, v35, s5
	v_xor3_b32 v31, v31, v33, v32
	s_delay_alu instid0(VALU_DEP_1) | instskip(NEXT) | instid1(VALU_DEP_1)
	v_mul_f32_e32 v31, v29, v31
	v_frexp_mant_f32_e64 v32, |v31|
	v_frexp_exp_i32_f32_e32 v31, v31
	s_delay_alu instid0(VALU_DEP_2) | instskip(NEXT) | instid1(VALU_DEP_1)
	v_rcp_f32_e32 v32, v32
	v_sub_nc_u32_e32 v31, 2, v31
	s_waitcnt_depctr 0xfff
	v_mul_f32_e32 v32, 0x3f490fdb, v32
	s_delay_alu instid0(VALU_DEP_1) | instskip(NEXT) | instid1(VALU_DEP_1)
	v_ldexp_f32 v31, v32, v31
	v_cmp_gt_f32_e64 s5, 0x800000, v31
	s_delay_alu instid0(VALU_DEP_1) | instskip(NEXT) | instid1(VALU_DEP_1)
	v_cndmask_b32_e64 v32, 1.0, 0x4f800000, s5
	v_mul_f32_e32 v31, v31, v32
	s_delay_alu instid0(VALU_DEP_1) | instskip(SKIP_3) | instid1(VALU_DEP_2)
	v_log_f32_e32 v31, v31
	s_waitcnt_depctr 0xfff
	v_mul_f32_e32 v32, 0x3f317217, v31
	v_cmp_gt_f32_e64 s6, 0x7f800000, |v31|
	v_fma_f32 v33, 0x3f317217, v31, -v32
	s_delay_alu instid0(VALU_DEP_1) | instskip(NEXT) | instid1(VALU_DEP_1)
	v_fmac_f32_e32 v33, 0x3377d1cf, v31
	v_add_f32_e32 v32, v32, v33
	v_floor_f32_e32 v33, v29
	s_delay_alu instid0(VALU_DEP_2) | instskip(SKIP_1) | instid1(VALU_DEP_3)
	v_cndmask_b32_e64 v31, v31, v32, s6
	v_cndmask_b32_e64 v32, 0, 0x41b17218, s5
	v_sub_f32_e32 v33, v29, v33
	s_delay_alu instid0(VALU_DEP_1) | instskip(NEXT) | instid1(VALU_DEP_1)
	v_dual_sub_f32 v31, v31, v32 :: v_dual_min_f32 v32, 0x3f7fffff, v33
	v_sub_f32_e32 v30, v31, v30
	s_delay_alu instid0(VALU_DEP_2) | instskip(NEXT) | instid1(VALU_DEP_1)
	v_cmp_neq_f32_e64 s5, 0, v32
	v_cndmask_b32_e64 v30, 0x7f800000, v30, s5
.LBB10_242:                             ;   in Loop: Header=BB10_161 Depth=1
	s_or_b32 exec_lo, exec_lo, s8
.LBB10_243:                             ;   in Loop: Header=BB10_161 Depth=1
	s_and_not1_saveexec_b32 s7, s7
; %bb.244:                              ;   in Loop: Header=BB10_161 Depth=1
	v_cmp_eq_f16_e64 s5, 1.0, v25
	v_cmp_eq_f16_e64 s6, 2.0, v25
	s_delay_alu instid0(VALU_DEP_1) | instskip(NEXT) | instid1(SALU_CYCLE_1)
	s_or_b32 s5, s5, s6
	v_cndmask_b32_e64 v30, v30, 0, s5
; %bb.245:                              ;   in Loop: Header=BB10_161 Depth=1
	s_or_b32 exec_lo, exec_lo, s7
	v_cvt_f32_f16_e32 v31, v24
                                        ; implicit-def: $vgpr32
	s_mov_b32 s6, exec_lo
	s_delay_alu instid0(VALU_DEP_1)
	v_and_b32_e32 v33, 0x7fffffff, v31
	v_cmpx_ngt_f32_e64 0x3c800000, |v31|
	s_xor_b32 s7, exec_lo, s6
	s_cbranch_execz .LBB10_275
; %bb.246:                              ;   in Loop: Header=BB10_161 Depth=1
                                        ; implicit-def: $vgpr32
	s_mov_b32 s6, exec_lo
	v_cmpx_nlt_f32_e64 |v31|, 2.0
	s_xor_b32 s8, exec_lo, s6
	s_cbranch_execz .LBB10_256
; %bb.247:                              ;   in Loop: Header=BB10_161 Depth=1
	s_mov_b32 s6, exec_lo
                                        ; implicit-def: $vgpr32
	v_cmpx_ngt_f32_e64 0x41000000, |v31|
	s_xor_b32 s6, exec_lo, s6
	s_cbranch_execz .LBB10_253
; %bb.248:                              ;   in Loop: Header=BB10_161 Depth=1
	s_mov_b32 s33, exec_lo
                                        ; implicit-def: $vgpr32
	v_cmpx_ngt_f32_e64 0x5c800000, |v31|
	s_xor_b32 s33, exec_lo, s33
	s_cbranch_execz .LBB10_250
; %bb.249:                              ;   in Loop: Header=BB10_161 Depth=1
	v_cmp_gt_f32_e64 s34, 0x800000, |v31|
	s_delay_alu instid0(VALU_DEP_1) | instskip(NEXT) | instid1(VALU_DEP_1)
	v_cndmask_b32_e64 v32, 1.0, 0x4f800000, s34
	v_mul_f32_e64 v32, |v31|, v32
	s_delay_alu instid0(VALU_DEP_1) | instskip(SKIP_3) | instid1(VALU_DEP_2)
	v_log_f32_e32 v32, v32
	s_waitcnt_depctr 0xfff
	v_mul_f32_e32 v34, 0x3f317217, v32
	v_cmp_gt_f32_e64 s5, 0x7f800000, |v32|
	v_fma_f32 v35, 0x3f317217, v32, -v34
	s_delay_alu instid0(VALU_DEP_1) | instskip(NEXT) | instid1(VALU_DEP_1)
	v_fmac_f32_e32 v35, 0x3377d1cf, v32
	v_add_f32_e32 v34, v34, v35
	s_delay_alu instid0(VALU_DEP_1) | instskip(SKIP_1) | instid1(VALU_DEP_1)
	v_cndmask_b32_e64 v32, v32, v34, s5
	v_cndmask_b32_e64 v34, 0, 0x41b17218, s34
	v_sub_f32_e32 v32, v32, v34
	s_delay_alu instid0(VALU_DEP_1)
	v_fma_f32 v32, |v31|, v32, -|v31|
.LBB10_250:                             ;   in Loop: Header=BB10_161 Depth=1
	s_and_not1_saveexec_b32 s33, s33
	s_cbranch_execz .LBB10_252
; %bb.251:                              ;   in Loop: Header=BB10_161 Depth=1
	v_cmp_gt_f32_e64 s34, 0x800000, |v31|
	v_rcp_f32_e64 v34, |v31|
	s_delay_alu instid0(VALU_DEP_1) | instskip(NEXT) | instid1(VALU_DEP_1)
	v_cndmask_b32_e64 v32, 1.0, 0x4f800000, s34
	v_mul_f32_e64 v32, |v31|, v32
	s_delay_alu instid0(VALU_DEP_1) | instskip(SKIP_3) | instid1(VALU_DEP_2)
	v_log_f32_e32 v32, v32
	s_waitcnt_depctr 0xfff
	v_dual_mul_f32 v35, v34, v34 :: v_dual_mul_f32 v36, 0x3f317217, v32
	v_cmp_gt_f32_e64 s5, 0x7f800000, |v32|
	v_fma_f32 v38, 0x3f317217, v32, -v36
	s_delay_alu instid0(VALU_DEP_1) | instskip(NEXT) | instid1(VALU_DEP_1)
	v_fmac_f32_e32 v38, 0x3377d1cf, v32
	v_dual_fmaak_f32 v37, s9, v35, 0x3a5b3dd2 :: v_dual_add_f32 v36, v36, v38
	s_delay_alu instid0(VALU_DEP_1) | instskip(SKIP_1) | instid1(VALU_DEP_1)
	v_cndmask_b32_e64 v32, v32, v36, s5
	v_cndmask_b32_e64 v36, 0, 0x41b17218, s34
	v_dual_fmaak_f32 v37, v35, v37, 0xba1c065c :: v_dual_sub_f32 v36, v32, v36
	s_delay_alu instid0(VALU_DEP_1) | instskip(NEXT) | instid1(VALU_DEP_1)
	v_fmaak_f32 v37, v35, v37, 0x3a500cfd
	v_fmaak_f32 v37, v35, v37, 0xbb360b61
	s_delay_alu instid0(VALU_DEP_1) | instskip(NEXT) | instid1(VALU_DEP_1)
	v_fmaak_f32 v35, v35, v37, 0x3daaaaab
	v_dual_fmaak_f32 v32, v34, v35, 0x3ed67f1d :: v_dual_add_f32 v35, -1.0, v36
	v_add_f32_e64 v34, |v31|, -0.5
	s_delay_alu instid0(VALU_DEP_1)
	v_fmac_f32_e32 v32, v34, v35
.LBB10_252:                             ;   in Loop: Header=BB10_161 Depth=1
	s_or_b32 exec_lo, exec_lo, s33
.LBB10_253:                             ;   in Loop: Header=BB10_161 Depth=1
	s_and_not1_saveexec_b32 s33, s6
	s_cbranch_execz .LBB10_255
; %bb.254:                              ;   in Loop: Header=BB10_161 Depth=1
	v_cvt_i32_f32_e32 v32, v33
	s_delay_alu instid0(VALU_DEP_1) | instskip(SKIP_1) | instid1(VALU_DEP_2)
	v_cvt_f32_i32_e32 v34, v32
	v_cmp_lt_i32_e64 s5, 2, v32
	v_sub_f32_e64 v34, |v31|, v34
	s_delay_alu instid0(VALU_DEP_1) | instskip(SKIP_2) | instid1(VALU_DEP_3)
	v_add_f32_e32 v35, 2.0, v34
	v_add_f32_e32 v36, 0x40400000, v34
	v_add_f32_e32 v37, 4.0, v34
	v_cndmask_b32_e64 v35, 1.0, v35, s5
	v_cmp_lt_i32_e64 s5, 3, v32
	s_delay_alu instid0(VALU_DEP_1) | instskip(SKIP_1) | instid1(VALU_DEP_2)
	v_cndmask_b32_e64 v36, 1.0, v36, s5
	v_cmp_lt_i32_e64 s5, 4, v32
	v_dual_add_f32 v38, 0x40a00000, v34 :: v_dual_mul_f32 v35, v35, v36
	s_delay_alu instid0(VALU_DEP_2) | instskip(SKIP_1) | instid1(VALU_DEP_2)
	v_cndmask_b32_e64 v37, 1.0, v37, s5
	v_cmp_lt_i32_e64 s5, 5, v32
	v_mul_f32_e32 v35, v37, v35
	s_delay_alu instid0(VALU_DEP_2) | instskip(SKIP_3) | instid1(VALU_DEP_4)
	v_cndmask_b32_e64 v38, 1.0, v38, s5
	v_add_f32_e32 v36, 0x40c00000, v34
	v_cmp_lt_i32_e64 s5, 6, v32
	v_fmaak_f32 v37, s20, v34, 0x3af135b4
	v_mul_f32_e32 v35, v38, v35
	s_delay_alu instid0(VALU_DEP_3) | instskip(NEXT) | instid1(VALU_DEP_1)
	v_cndmask_b32_e64 v32, 1.0, v36, s5
	v_mul_f32_e32 v32, v32, v35
	s_delay_alu instid0(VALU_DEP_1) | instskip(NEXT) | instid1(VALU_DEP_1)
	v_cmp_gt_f32_e64 s5, 0x800000, v32
	v_cndmask_b32_e64 v36, 1.0, 0x4f800000, s5
	s_delay_alu instid0(VALU_DEP_1) | instskip(SKIP_1) | instid1(VALU_DEP_2)
	v_mul_f32_e32 v32, v32, v36
	v_fmaak_f32 v36, v34, v37, 0x3cda40e4
	v_log_f32_e32 v32, v32
	s_waitcnt_depctr 0xfff
	v_mul_f32_e32 v37, 0x3f317217, v32
	v_cmp_gt_f32_e64 s6, 0x7f800000, |v32|
	s_delay_alu instid0(VALU_DEP_2) | instskip(NEXT) | instid1(VALU_DEP_1)
	v_fma_f32 v38, 0x3f317217, v32, -v37
	v_fmac_f32_e32 v38, 0x3377d1cf, v32
	s_delay_alu instid0(VALU_DEP_1) | instskip(NEXT) | instid1(VALU_DEP_1)
	v_dual_add_f32 v37, v37, v38 :: v_dual_fmaak_f32 v36, v34, v36, 0x3e15dce6
	v_cndmask_b32_e64 v32, v32, v37, s6
	s_delay_alu instid0(VALU_DEP_2) | instskip(NEXT) | instid1(VALU_DEP_1)
	v_fmaak_f32 v36, v34, v36, 0x3ea6cc7a
	v_fmaak_f32 v36, v34, v36, 0x3e5c245a
	s_delay_alu instid0(VALU_DEP_1) | instskip(NEXT) | instid1(VALU_DEP_1)
	v_fmaak_f32 v36, v34, v36, 0xbd9e233f
	v_dual_fmaak_f32 v35, s21, v34, 0x3a4beed6 :: v_dual_mul_f32 v36, v34, v36
	s_delay_alu instid0(VALU_DEP_1) | instskip(NEXT) | instid1(VALU_DEP_1)
	v_fmaak_f32 v35, v34, v35, 0x3c98bf54
	v_fmaak_f32 v35, v34, v35, 0x3e300f6e
	s_delay_alu instid0(VALU_DEP_1) | instskip(NEXT) | instid1(VALU_DEP_1)
	v_fmaak_f32 v35, v34, v35, 0x3f38d0c5
	v_fmaak_f32 v35, v34, v35, 0x3fb22d3b
	s_delay_alu instid0(VALU_DEP_1) | instskip(NEXT) | instid1(VALU_DEP_1)
	v_fma_f32 v35, v34, v35, 1.0
	v_rcp_f32_e32 v35, v35
	s_waitcnt_depctr 0xfff
	v_mul_f32_e32 v35, v36, v35
	v_cndmask_b32_e64 v36, 0, 0x41b17218, s5
	s_delay_alu instid0(VALU_DEP_1) | instskip(NEXT) | instid1(VALU_DEP_1)
	v_dual_fmac_f32 v35, 0.5, v34 :: v_dual_sub_f32 v32, v32, v36
	v_add_f32_e32 v32, v32, v35
.LBB10_255:                             ;   in Loop: Header=BB10_161 Depth=1
	s_or_b32 exec_lo, exec_lo, s33
.LBB10_256:                             ;   in Loop: Header=BB10_161 Depth=1
	s_and_not1_saveexec_b32 s8, s8
	s_cbranch_execz .LBB10_274
; %bb.257:                              ;   in Loop: Header=BB10_161 Depth=1
                                        ; implicit-def: $vgpr32
                                        ; implicit-def: $vgpr35
                                        ; implicit-def: $vgpr34
	s_mov_b32 s6, exec_lo
	v_cmpx_ge_f32_e64 0x3f666666, |v31|
	s_xor_b32 s33, exec_lo, s6
	s_cbranch_execz .LBB10_259
; %bb.258:                              ;   in Loop: Header=BB10_161 Depth=1
	v_cmp_gt_f32_e64 s6, 0x800000, |v31|
	v_sub_f32_e64 v36, 1.0, |v31|
	v_cmp_gt_f32_e64 s5, 0x3f3b4a23, |v31|
	s_delay_alu instid0(VALU_DEP_3) | instskip(SKIP_1) | instid1(VALU_DEP_2)
	v_cndmask_b32_e64 v32, 1.0, 0x4f800000, s6
	v_cndmask_b32_e64 v37, 0, 0x41b17218, s6
	v_mul_f32_e64 v32, |v31|, v32
	s_delay_alu instid0(VALU_DEP_1) | instskip(SKIP_3) | instid1(VALU_DEP_2)
	v_log_f32_e32 v32, v32
	s_waitcnt_depctr 0xfff
	v_mul_f32_e32 v34, 0x3f317217, v32
	v_cmp_gt_f32_e64 s6, 0x7f800000, |v32|
	v_fma_f32 v35, 0x3f317217, v32, -v34
	s_delay_alu instid0(VALU_DEP_1) | instskip(NEXT) | instid1(VALU_DEP_1)
	v_fmac_f32_e32 v35, 0x3377d1cf, v32
	v_add_f32_e32 v34, v34, v35
	v_add_f32_e64 v35, 0xbeec5b0c, |v31|
	s_delay_alu instid0(VALU_DEP_2) | instskip(NEXT) | instid1(VALU_DEP_2)
	v_cndmask_b32_e64 v32, v32, v34, s6
	v_cndmask_b32_e64 v34, v36, v35, s5
	;; [unrolled: 1-line block ×3, first 2 shown]
	v_cmp_gt_f32_e64 s5, 0x3e6d3309, |v31|
	s_delay_alu instid0(VALU_DEP_4) | instskip(NEXT) | instid1(VALU_DEP_2)
	v_sub_f32_e32 v32, v32, v37
	v_cndmask_b32_e64 v34, v34, |v31|, s5
	s_delay_alu instid0(VALU_DEP_4) | instskip(NEXT) | instid1(VALU_DEP_3)
	v_cndmask_b32_e64 v35, v35, 2, s5
	v_xor_b32_e32 v32, 0x80000000, v32
.LBB10_259:                             ;   in Loop: Header=BB10_161 Depth=1
	s_and_not1_saveexec_b32 s6, s33
; %bb.260:                              ;   in Loop: Header=BB10_161 Depth=1
	v_sub_f32_e64 v32, 2.0, |v31|
	v_add_f32_e64 v34, 0xbfbb16c3, |v31|
	v_cmp_gt_f32_e64 s5, 0x3fdda512, |v31|
	v_add_f32_e64 v35, |v31|, -1.0
	s_delay_alu instid0(VALU_DEP_2) | instskip(SKIP_2) | instid1(VALU_DEP_2)
	v_cndmask_b32_e64 v34, v32, v34, s5
	v_cndmask_b32_e64 v32, v32, 1.0, s5
	v_cmp_gt_f32_e64 s5, 0x3f9d70a4, |v31|
	v_cvt_i32_f32_e32 v32, v32
	s_delay_alu instid0(VALU_DEP_2) | instskip(NEXT) | instid1(VALU_DEP_2)
	v_cndmask_b32_e64 v34, v34, v35, s5
	v_cndmask_b32_e64 v35, v32, 2, s5
	v_mov_b32_e32 v32, 0
; %bb.261:                              ;   in Loop: Header=BB10_161 Depth=1
	s_or_b32 exec_lo, exec_lo, s6
	s_delay_alu instid0(SALU_CYCLE_1) | instskip(NEXT) | instid1(VALU_DEP_2)
	s_mov_b32 s6, exec_lo
	v_cmpx_lt_i32_e32 0, v35
	s_xor_b32 s6, exec_lo, s6
	s_cbranch_execz .LBB10_269
; %bb.262:                              ;   in Loop: Header=BB10_161 Depth=1
	s_mov_b32 s33, exec_lo
	v_cmpx_lt_i32_e32 1, v35
	s_xor_b32 s33, exec_lo, s33
	s_cbranch_execz .LBB10_266
; %bb.263:                              ;   in Loop: Header=BB10_161 Depth=1
	s_mov_b32 s34, exec_lo
	v_cmpx_eq_u32_e32 2, v35
	s_cbranch_execz .LBB10_265
; %bb.264:                              ;   in Loop: Header=BB10_161 Depth=1
	v_fmaak_f32 v36, s22, v34, 0x3e6a7578
	s_delay_alu instid0(VALU_DEP_1) | instskip(NEXT) | instid1(VALU_DEP_1)
	v_fmaak_f32 v36, v34, v36, 0x3f7a4bb2
	v_fmaak_f32 v36, v34, v36, 0x3fba3ae7
	s_delay_alu instid0(VALU_DEP_1) | instskip(NEXT) | instid1(VALU_DEP_1)
	v_fmaak_f32 v36, v34, v36, 0x3f2200f4
	v_fmaak_f32 v36, v34, v36, 0xbd9e233f
	s_delay_alu instid0(VALU_DEP_1) | instskip(NEXT) | instid1(VALU_DEP_1)
	v_dual_fmaak_f32 v35, s23, v34, 0x3dd572af :: v_dual_mul_f32 v36, v34, v36
	v_fmaak_f32 v35, v34, v35, 0x3f44efdf
	s_delay_alu instid0(VALU_DEP_1) | instskip(NEXT) | instid1(VALU_DEP_1)
	v_fmaak_f32 v35, v34, v35, 0x4008392d
	v_fmaak_f32 v35, v34, v35, 0x401d2ebe
	s_delay_alu instid0(VALU_DEP_1) | instskip(NEXT) | instid1(VALU_DEP_1)
	v_fma_f32 v35, v34, v35, 1.0
	v_rcp_f32_e32 v35, v35
	s_waitcnt_depctr 0xfff
	v_mul_f32_e32 v35, v36, v35
	s_delay_alu instid0(VALU_DEP_1) | instskip(NEXT) | instid1(VALU_DEP_1)
	v_fmac_f32_e32 v35, -0.5, v34
	v_add_f32_e32 v32, v32, v35
.LBB10_265:                             ;   in Loop: Header=BB10_161 Depth=1
	s_or_b32 exec_lo, exec_lo, s34
                                        ; implicit-def: $vgpr34
.LBB10_266:                             ;   in Loop: Header=BB10_161 Depth=1
	s_and_not1_saveexec_b32 s5, s33
	s_cbranch_execz .LBB10_268
; %bb.267:                              ;   in Loop: Header=BB10_161 Depth=1
	v_mul_f32_e32 v35, v34, v34
	s_delay_alu instid0(VALU_DEP_1) | instskip(NEXT) | instid1(VALU_DEP_1)
	v_mul_f32_e32 v36, v34, v35
	v_fmaak_f32 v38, s26, v36, 0xba0d3085
	v_fmaak_f32 v37, s25, v36, 0x3a66f867
	;; [unrolled: 1-line block ×3, first 2 shown]
	s_delay_alu instid0(VALU_DEP_3) | instskip(NEXT) | instid1(VALU_DEP_3)
	v_fmaak_f32 v38, v36, v38, 0x3b141699
	v_fmaak_f32 v37, v36, v37, 0xbb7177fe
	s_delay_alu instid0(VALU_DEP_3) | instskip(NEXT) | instid1(VALU_DEP_3)
	v_fmaak_f32 v39, v36, v39, 0x3bc7e707
	v_fmaak_f32 v38, v36, v38, 0xbc28fcfe
	s_delay_alu instid0(VALU_DEP_3) | instskip(NEXT) | instid1(VALU_DEP_3)
	v_fmaak_f32 v37, v36, v37, 0x3c93373d
	v_fmaak_f32 v39, v36, v39, 0xbd064d47
	s_delay_alu instid0(VALU_DEP_3) | instskip(NEXT) | instid1(VALU_DEP_3)
	v_fmaak_f32 v38, v36, v38, 0x3d845a15
	v_fmaak_f32 v37, v36, v37, 0xbe17213c
	s_delay_alu instid0(VALU_DEP_1) | instskip(NEXT) | instid1(VALU_DEP_1)
	v_dual_fmac_f32 v37, v34, v38 :: v_dual_fmaak_f32 v34, v36, v39, 0x3ef7b95e
	v_fma_f32 v36, v36, -v37, 0xa2863e55
	s_delay_alu instid0(VALU_DEP_1) | instskip(NEXT) | instid1(VALU_DEP_1)
	v_fma_f32 v34, v35, v34, -v36
	v_add_f32_e32 v34, 0xbdf8cdce, v34
	s_delay_alu instid0(VALU_DEP_1)
	v_add_f32_e32 v32, v32, v34
.LBB10_268:                             ;   in Loop: Header=BB10_161 Depth=1
	s_or_b32 exec_lo, exec_lo, s5
                                        ; implicit-def: $vgpr35
                                        ; implicit-def: $vgpr34
.LBB10_269:                             ;   in Loop: Header=BB10_161 Depth=1
	s_and_not1_saveexec_b32 s6, s6
	s_cbranch_execz .LBB10_273
; %bb.270:                              ;   in Loop: Header=BB10_161 Depth=1
	s_mov_b32 s33, exec_lo
	v_cmpx_eq_u32_e32 0, v35
	s_cbranch_execz .LBB10_272
; %bb.271:                              ;   in Loop: Header=BB10_161 Depth=1
	v_mul_f32_e32 v35, v34, v34
	s_delay_alu instid0(VALU_DEP_1) | instskip(NEXT) | instid1(VALU_DEP_1)
	v_fmaak_f32 v37, s27, v35, 0x39679767
	v_fmaak_f32 v37, v35, v37, 0x3a9c54a1
	s_delay_alu instid0(VALU_DEP_1) | instskip(NEXT) | instid1(VALU_DEP_1)
	v_fmaak_f32 v37, v35, v37, 0x3bf2027e
	v_fmaak_f32 v37, v35, v37, 0x3d89f001
	s_delay_alu instid0(VALU_DEP_1) | instskip(SKIP_1) | instid1(VALU_DEP_1)
	v_fmaak_f32 v37, v35, v37, 0x3d9e233f
	v_fmaak_f32 v36, s28, v35, 0x38e28445
	;; [unrolled: 1-line block ×3, first 2 shown]
	s_delay_alu instid0(VALU_DEP_1) | instskip(NEXT) | instid1(VALU_DEP_1)
	v_fmaak_f32 v36, v35, v36, 0x3b3d6ec6
	v_fmaak_f32 v36, v35, v36, 0x3ca89915
	s_delay_alu instid0(VALU_DEP_1) | instskip(NEXT) | instid1(VALU_DEP_1)
	v_fmaak_f32 v36, v35, v36, 0x3ea51a66
	v_mul_f32_e32 v35, v35, v36
	s_delay_alu instid0(VALU_DEP_1) | instskip(NEXT) | instid1(VALU_DEP_1)
	v_fmac_f32_e32 v35, v34, v37
	v_fmac_f32_e32 v35, -0.5, v34
	s_delay_alu instid0(VALU_DEP_1)
	v_add_f32_e32 v32, v32, v35
.LBB10_272:                             ;   in Loop: Header=BB10_161 Depth=1
	s_or_b32 exec_lo, exec_lo, s33
.LBB10_273:                             ;   in Loop: Header=BB10_161 Depth=1
	s_delay_alu instid0(SALU_CYCLE_1)
	s_or_b32 exec_lo, exec_lo, s6
.LBB10_274:                             ;   in Loop: Header=BB10_161 Depth=1
	s_delay_alu instid0(SALU_CYCLE_1)
	s_or_b32 exec_lo, exec_lo, s8
.LBB10_275:                             ;   in Loop: Header=BB10_161 Depth=1
	s_and_not1_saveexec_b32 s6, s7
	s_cbranch_execz .LBB10_277
; %bb.276:                              ;   in Loop: Header=BB10_161 Depth=1
	v_cmp_gt_f32_e64 s7, 0x800000, |v31|
	v_fma_f32 v36, |v31|, s29, 0xbecd26ab
	s_delay_alu instid0(VALU_DEP_2) | instskip(NEXT) | instid1(VALU_DEP_1)
	v_cndmask_b32_e64 v32, 1.0, 0x4f800000, s7
	v_mul_f32_e64 v32, |v31|, v32
	s_delay_alu instid0(VALU_DEP_1) | instskip(SKIP_3) | instid1(VALU_DEP_2)
	v_log_f32_e32 v32, v32
	s_waitcnt_depctr 0xfff
	v_mul_f32_e32 v34, 0x3f317217, v32
	v_cmp_gt_f32_e64 s5, 0x7f800000, |v32|
	v_fma_f32 v35, 0x3f317217, v32, -v34
	s_delay_alu instid0(VALU_DEP_1) | instskip(NEXT) | instid1(VALU_DEP_1)
	v_fmac_f32_e32 v35, 0x3377d1cf, v32
	v_add_f32_e32 v34, v34, v35
	v_fma_f32 v35, |v31|, v36, 0x3f528d33
	s_delay_alu instid0(VALU_DEP_2) | instskip(SKIP_1) | instid1(VALU_DEP_3)
	v_cndmask_b32_e64 v32, v32, v34, s5
	v_cndmask_b32_e64 v34, 0, 0x41b17218, s7
	v_fma_f32 v35, |v31|, v35, 0xbf13c468
	s_delay_alu instid0(VALU_DEP_2) | instskip(NEXT) | instid1(VALU_DEP_1)
	v_sub_f32_e32 v32, v32, v34
	v_fma_f32 v32, |v31|, v35, -v32
.LBB10_277:                             ;   in Loop: Header=BB10_161 Depth=1
	s_or_b32 exec_lo, exec_lo, s6
	v_cmp_le_f16_e64 s5, 0, v24
	s_mov_b32 s7, exec_lo
	v_cmpx_nle_f16_e32 0, v24
	s_xor_b32 s8, exec_lo, s7
	s_cbranch_execz .LBB10_281
; %bb.278:                              ;   in Loop: Header=BB10_161 Depth=1
	v_cmp_gt_f32_e64 s6, 0x4b000000, |v31|
	v_cmp_lt_f32_e64 s7, 0x35000000, |v31|
	s_delay_alu instid0(VALU_DEP_1) | instskip(NEXT) | instid1(SALU_CYCLE_1)
	s_and_b32 s6, s6, s7
	s_and_saveexec_b32 s33, s6
	s_cbranch_execz .LBB10_280
; %bb.279:                              ;   in Loop: Header=BB10_161 Depth=1
	v_mul_f32_e64 v34, |v31|, 0.5
	v_xor_b32_e32 v33, v33, v31
	s_delay_alu instid0(VALU_DEP_2) | instskip(SKIP_1) | instid1(VALU_DEP_2)
	v_floor_f32_e32 v35, v34
	v_cmp_neq_f32_e64 s6, 0x7f800000, v34
	v_sub_f32_e32 v35, v34, v35
	s_delay_alu instid0(VALU_DEP_1) | instskip(NEXT) | instid1(VALU_DEP_1)
	v_min_f32_e32 v35, 0x3f7fffff, v35
	v_add_f32_e32 v35, v35, v35
	s_delay_alu instid0(VALU_DEP_1) | instskip(SKIP_1) | instid1(VALU_DEP_1)
	v_cndmask_b32_e64 v34, 0, v35, s6
	v_cmp_gt_f32_e64 s6, |v31|, 1.0
	v_cndmask_b32_e64 v34, |v31|, v34, s6
	s_delay_alu instid0(VALU_DEP_1) | instskip(NEXT) | instid1(VALU_DEP_1)
	v_add_f32_e32 v35, v34, v34
	v_rndne_f32_e32 v35, v35
	s_delay_alu instid0(VALU_DEP_1) | instskip(SKIP_1) | instid1(VALU_DEP_2)
	v_fmac_f32_e32 v34, -0.5, v35
	v_cvt_i32_f32_e32 v35, v35
	v_mul_f32_e32 v36, v34, v34
	s_delay_alu instid0(VALU_DEP_1) | instskip(SKIP_1) | instid1(VALU_DEP_2)
	v_fmaak_f32 v37, s30, v36, 0xbf1f24be
	v_fmaak_f32 v38, s31, v36, 0x3e642e9d
	;; [unrolled: 1-line block ×3, first 2 shown]
	s_delay_alu instid0(VALU_DEP_2) | instskip(NEXT) | instid1(VALU_DEP_2)
	v_dual_fmaak_f32 v38, v36, v38, 0xbfaad1da :: v_dual_mul_f32 v39, v34, v36
	v_fmaak_f32 v37, v36, v37, 0xc0a55e0e
	s_delay_alu instid0(VALU_DEP_1) | instskip(NEXT) | instid1(VALU_DEP_1)
	v_dual_fmaak_f32 v38, v36, v38, 0x4081e0d3 :: v_dual_mul_f32 v37, v39, v37
	v_dual_fmaak_f32 v38, v36, v38, 0xc09de9e6 :: v_dual_and_b32 v39, 1, v35
	v_lshlrev_b32_e32 v35, 30, v35
	s_delay_alu instid0(VALU_DEP_3) | instskip(NEXT) | instid1(VALU_DEP_3)
	v_fmac_f32_e32 v37, 0x40490fdb, v34
	v_fma_f32 v34, v36, v38, 1.0
	s_delay_alu instid0(VALU_DEP_4) | instskip(NEXT) | instid1(VALU_DEP_4)
	v_cmp_eq_u32_e64 s6, 0, v39
	v_and_b32_e32 v35, 0x80000000, v35
	s_delay_alu instid0(VALU_DEP_2) | instskip(NEXT) | instid1(VALU_DEP_1)
	v_cndmask_b32_e64 v34, v34, v37, s6
	v_xor3_b32 v33, v33, v35, v34
	s_delay_alu instid0(VALU_DEP_1) | instskip(NEXT) | instid1(VALU_DEP_1)
	v_mul_f32_e32 v33, v31, v33
	v_frexp_mant_f32_e64 v34, |v33|
	v_frexp_exp_i32_f32_e32 v33, v33
	s_delay_alu instid0(VALU_DEP_2) | instskip(NEXT) | instid1(VALU_DEP_1)
	v_rcp_f32_e32 v34, v34
	v_sub_nc_u32_e32 v33, 2, v33
	s_waitcnt_depctr 0xfff
	v_mul_f32_e32 v34, 0x3f490fdb, v34
	s_delay_alu instid0(VALU_DEP_1) | instskip(NEXT) | instid1(VALU_DEP_1)
	v_ldexp_f32 v33, v34, v33
	v_cmp_gt_f32_e64 s6, 0x800000, v33
	s_delay_alu instid0(VALU_DEP_1) | instskip(NEXT) | instid1(VALU_DEP_1)
	v_cndmask_b32_e64 v34, 1.0, 0x4f800000, s6
	v_mul_f32_e32 v33, v33, v34
	s_delay_alu instid0(VALU_DEP_1) | instskip(SKIP_3) | instid1(VALU_DEP_2)
	v_log_f32_e32 v33, v33
	s_waitcnt_depctr 0xfff
	v_mul_f32_e32 v34, 0x3f317217, v33
	v_cmp_gt_f32_e64 s7, 0x7f800000, |v33|
	v_fma_f32 v35, 0x3f317217, v33, -v34
	s_delay_alu instid0(VALU_DEP_1) | instskip(NEXT) | instid1(VALU_DEP_1)
	v_fmac_f32_e32 v35, 0x3377d1cf, v33
	v_add_f32_e32 v34, v34, v35
	v_floor_f32_e32 v35, v31
	s_delay_alu instid0(VALU_DEP_2) | instskip(SKIP_1) | instid1(VALU_DEP_3)
	v_cndmask_b32_e64 v33, v33, v34, s7
	v_cndmask_b32_e64 v34, 0, 0x41b17218, s6
	v_sub_f32_e32 v35, v31, v35
	s_delay_alu instid0(VALU_DEP_1) | instskip(NEXT) | instid1(VALU_DEP_1)
	v_dual_sub_f32 v33, v33, v34 :: v_dual_min_f32 v34, 0x3f7fffff, v35
	v_sub_f32_e32 v32, v33, v32
	s_delay_alu instid0(VALU_DEP_2) | instskip(NEXT) | instid1(VALU_DEP_1)
	v_cmp_neq_f32_e64 s6, 0, v34
	v_cndmask_b32_e64 v32, 0x7f800000, v32, s6
.LBB10_280:                             ;   in Loop: Header=BB10_161 Depth=1
	s_or_b32 exec_lo, exec_lo, s33
.LBB10_281:                             ;   in Loop: Header=BB10_161 Depth=1
	s_and_not1_saveexec_b32 s8, s8
; %bb.282:                              ;   in Loop: Header=BB10_161 Depth=1
	v_cmp_eq_f16_e64 s6, 1.0, v24
	v_cmp_eq_f16_e64 s7, 2.0, v24
	s_delay_alu instid0(VALU_DEP_1) | instskip(NEXT) | instid1(SALU_CYCLE_1)
	s_or_b32 s6, s6, s7
	v_cndmask_b32_e64 v32, v32, 0, s6
; %bb.283:                              ;   in Loop: Header=BB10_161 Depth=1
	s_or_b32 exec_lo, exec_lo, s8
	v_cvt_f32_f16_e32 v33, v23
                                        ; implicit-def: $vgpr35
	s_mov_b32 s7, exec_lo
	s_delay_alu instid0(VALU_DEP_1)
	v_and_b32_e32 v34, 0x7fffffff, v33
	v_cmpx_ngt_f32_e64 0x3c800000, |v33|
	s_xor_b32 s8, exec_lo, s7
	s_cbranch_execz .LBB10_313
; %bb.284:                              ;   in Loop: Header=BB10_161 Depth=1
                                        ; implicit-def: $vgpr35
	s_mov_b32 s7, exec_lo
	v_cmpx_nlt_f32_e64 |v33|, 2.0
	s_xor_b32 s33, exec_lo, s7
	s_cbranch_execz .LBB10_294
; %bb.285:                              ;   in Loop: Header=BB10_161 Depth=1
	s_mov_b32 s7, exec_lo
                                        ; implicit-def: $vgpr35
	v_cmpx_ngt_f32_e64 0x41000000, |v33|
	s_xor_b32 s7, exec_lo, s7
	s_cbranch_execz .LBB10_291
; %bb.286:                              ;   in Loop: Header=BB10_161 Depth=1
	s_mov_b32 s34, exec_lo
                                        ; implicit-def: $vgpr35
	v_cmpx_ngt_f32_e64 0x5c800000, |v33|
	s_xor_b32 s34, exec_lo, s34
	s_cbranch_execz .LBB10_288
; %bb.287:                              ;   in Loop: Header=BB10_161 Depth=1
	v_cmp_gt_f32_e64 s35, 0x800000, |v33|
	s_delay_alu instid0(VALU_DEP_1) | instskip(NEXT) | instid1(VALU_DEP_1)
	v_cndmask_b32_e64 v35, 1.0, 0x4f800000, s35
	v_mul_f32_e64 v35, |v33|, v35
	s_delay_alu instid0(VALU_DEP_1) | instskip(SKIP_3) | instid1(VALU_DEP_2)
	v_log_f32_e32 v35, v35
	s_waitcnt_depctr 0xfff
	v_mul_f32_e32 v36, 0x3f317217, v35
	v_cmp_gt_f32_e64 s6, 0x7f800000, |v35|
	v_fma_f32 v37, 0x3f317217, v35, -v36
	s_delay_alu instid0(VALU_DEP_1) | instskip(NEXT) | instid1(VALU_DEP_1)
	v_fmac_f32_e32 v37, 0x3377d1cf, v35
	v_add_f32_e32 v36, v36, v37
	s_delay_alu instid0(VALU_DEP_1) | instskip(SKIP_1) | instid1(VALU_DEP_1)
	v_cndmask_b32_e64 v35, v35, v36, s6
	v_cndmask_b32_e64 v36, 0, 0x41b17218, s35
	v_sub_f32_e32 v35, v35, v36
	s_delay_alu instid0(VALU_DEP_1)
	v_fma_f32 v35, |v33|, v35, -|v33|
.LBB10_288:                             ;   in Loop: Header=BB10_161 Depth=1
	s_and_not1_saveexec_b32 s34, s34
	s_cbranch_execz .LBB10_290
; %bb.289:                              ;   in Loop: Header=BB10_161 Depth=1
	v_cmp_gt_f32_e64 s35, 0x800000, |v33|
	v_rcp_f32_e64 v36, |v33|
	s_delay_alu instid0(VALU_DEP_1) | instskip(NEXT) | instid1(VALU_DEP_1)
	v_cndmask_b32_e64 v35, 1.0, 0x4f800000, s35
	v_mul_f32_e64 v35, |v33|, v35
	s_delay_alu instid0(VALU_DEP_1) | instskip(SKIP_3) | instid1(VALU_DEP_2)
	v_log_f32_e32 v35, v35
	s_waitcnt_depctr 0xfff
	v_dual_mul_f32 v37, v36, v36 :: v_dual_mul_f32 v38, 0x3f317217, v35
	v_cmp_gt_f32_e64 s6, 0x7f800000, |v35|
	v_fma_f32 v40, 0x3f317217, v35, -v38
	s_delay_alu instid0(VALU_DEP_1) | instskip(NEXT) | instid1(VALU_DEP_1)
	v_fmac_f32_e32 v40, 0x3377d1cf, v35
	v_dual_fmaak_f32 v39, s9, v37, 0x3a5b3dd2 :: v_dual_add_f32 v38, v38, v40
	s_delay_alu instid0(VALU_DEP_1) | instskip(SKIP_1) | instid1(VALU_DEP_1)
	v_cndmask_b32_e64 v35, v35, v38, s6
	v_cndmask_b32_e64 v38, 0, 0x41b17218, s35
	v_dual_fmaak_f32 v39, v37, v39, 0xba1c065c :: v_dual_sub_f32 v38, v35, v38
	s_delay_alu instid0(VALU_DEP_1) | instskip(NEXT) | instid1(VALU_DEP_1)
	v_fmaak_f32 v39, v37, v39, 0x3a500cfd
	v_fmaak_f32 v39, v37, v39, 0xbb360b61
	s_delay_alu instid0(VALU_DEP_1) | instskip(NEXT) | instid1(VALU_DEP_1)
	v_fmaak_f32 v37, v37, v39, 0x3daaaaab
	v_fmaak_f32 v35, v36, v37, 0x3ed67f1d
	v_add_f32_e64 v36, |v33|, -0.5
	v_add_f32_e32 v37, -1.0, v38
	s_delay_alu instid0(VALU_DEP_1)
	v_fmac_f32_e32 v35, v36, v37
.LBB10_290:                             ;   in Loop: Header=BB10_161 Depth=1
	s_or_b32 exec_lo, exec_lo, s34
.LBB10_291:                             ;   in Loop: Header=BB10_161 Depth=1
	s_and_not1_saveexec_b32 s34, s7
	s_cbranch_execz .LBB10_293
; %bb.292:                              ;   in Loop: Header=BB10_161 Depth=1
	v_cvt_i32_f32_e32 v35, v34
	s_delay_alu instid0(VALU_DEP_1) | instskip(SKIP_1) | instid1(VALU_DEP_2)
	v_cvt_f32_i32_e32 v36, v35
	v_cmp_lt_i32_e64 s6, 2, v35
	v_sub_f32_e64 v36, |v33|, v36
	s_delay_alu instid0(VALU_DEP_1) | instskip(SKIP_2) | instid1(VALU_DEP_3)
	v_add_f32_e32 v37, 2.0, v36
	v_add_f32_e32 v38, 0x40400000, v36
	v_add_f32_e32 v39, 4.0, v36
	v_cndmask_b32_e64 v37, 1.0, v37, s6
	v_cmp_lt_i32_e64 s6, 3, v35
	s_delay_alu instid0(VALU_DEP_1) | instskip(SKIP_1) | instid1(VALU_DEP_2)
	v_cndmask_b32_e64 v38, 1.0, v38, s6
	v_cmp_lt_i32_e64 s6, 4, v35
	v_dual_add_f32 v40, 0x40a00000, v36 :: v_dual_mul_f32 v37, v37, v38
	s_delay_alu instid0(VALU_DEP_2) | instskip(SKIP_1) | instid1(VALU_DEP_2)
	v_cndmask_b32_e64 v39, 1.0, v39, s6
	v_cmp_lt_i32_e64 s6, 5, v35
	v_mul_f32_e32 v37, v39, v37
	s_delay_alu instid0(VALU_DEP_2) | instskip(SKIP_3) | instid1(VALU_DEP_4)
	v_cndmask_b32_e64 v40, 1.0, v40, s6
	v_add_f32_e32 v38, 0x40c00000, v36
	v_cmp_lt_i32_e64 s6, 6, v35
	v_fmaak_f32 v39, s20, v36, 0x3af135b4
	v_mul_f32_e32 v37, v40, v37
	s_delay_alu instid0(VALU_DEP_3) | instskip(NEXT) | instid1(VALU_DEP_1)
	v_cndmask_b32_e64 v35, 1.0, v38, s6
	v_mul_f32_e32 v35, v35, v37
	s_delay_alu instid0(VALU_DEP_1) | instskip(NEXT) | instid1(VALU_DEP_1)
	v_cmp_gt_f32_e64 s6, 0x800000, v35
	v_cndmask_b32_e64 v38, 1.0, 0x4f800000, s6
	s_delay_alu instid0(VALU_DEP_1) | instskip(NEXT) | instid1(VALU_DEP_1)
	v_dual_mul_f32 v35, v35, v38 :: v_dual_fmaak_f32 v38, v36, v39, 0x3cda40e4
	v_log_f32_e32 v35, v35
	s_delay_alu instid0(VALU_DEP_1) | instskip(NEXT) | instid1(VALU_DEP_1)
	v_fmaak_f32 v38, v36, v38, 0x3e15dce6
	v_fmaak_f32 v38, v36, v38, 0x3ea6cc7a
	s_waitcnt_depctr 0xfff
	v_mul_f32_e32 v39, 0x3f317217, v35
	v_cmp_gt_f32_e64 s7, 0x7f800000, |v35|
	s_delay_alu instid0(VALU_DEP_2) | instskip(NEXT) | instid1(VALU_DEP_1)
	v_fma_f32 v40, 0x3f317217, v35, -v39
	v_fmac_f32_e32 v40, 0x3377d1cf, v35
	s_delay_alu instid0(VALU_DEP_1) | instskip(NEXT) | instid1(VALU_DEP_1)
	v_dual_fmaak_f32 v38, v36, v38, 0x3e5c245a :: v_dual_add_f32 v39, v39, v40
	v_fmaak_f32 v38, v36, v38, 0xbd9e233f
	v_fmaak_f32 v37, s21, v36, 0x3a4beed6
	s_delay_alu instid0(VALU_DEP_3) | instskip(NEXT) | instid1(VALU_DEP_3)
	v_cndmask_b32_e64 v35, v35, v39, s7
	v_mul_f32_e32 v38, v36, v38
	s_delay_alu instid0(VALU_DEP_3) | instskip(NEXT) | instid1(VALU_DEP_1)
	v_fmaak_f32 v37, v36, v37, 0x3c98bf54
	v_fmaak_f32 v37, v36, v37, 0x3e300f6e
	s_delay_alu instid0(VALU_DEP_1) | instskip(NEXT) | instid1(VALU_DEP_1)
	v_fmaak_f32 v37, v36, v37, 0x3f38d0c5
	v_fmaak_f32 v37, v36, v37, 0x3fb22d3b
	s_delay_alu instid0(VALU_DEP_1) | instskip(NEXT) | instid1(VALU_DEP_1)
	v_fma_f32 v37, v36, v37, 1.0
	v_rcp_f32_e32 v37, v37
	s_waitcnt_depctr 0xfff
	v_mul_f32_e32 v37, v38, v37
	v_cndmask_b32_e64 v38, 0, 0x41b17218, s6
	s_delay_alu instid0(VALU_DEP_2) | instskip(NEXT) | instid1(VALU_DEP_2)
	v_fmac_f32_e32 v37, 0.5, v36
	v_sub_f32_e32 v35, v35, v38
	s_delay_alu instid0(VALU_DEP_1)
	v_add_f32_e32 v35, v35, v37
.LBB10_293:                             ;   in Loop: Header=BB10_161 Depth=1
	s_or_b32 exec_lo, exec_lo, s34
.LBB10_294:                             ;   in Loop: Header=BB10_161 Depth=1
	s_and_not1_saveexec_b32 s33, s33
	s_cbranch_execz .LBB10_312
; %bb.295:                              ;   in Loop: Header=BB10_161 Depth=1
                                        ; implicit-def: $vgpr35
                                        ; implicit-def: $vgpr37
                                        ; implicit-def: $vgpr36
	s_mov_b32 s7, exec_lo
	v_cmpx_ge_f32_e64 0x3f666666, |v33|
	s_xor_b32 s34, exec_lo, s7
	s_cbranch_execz .LBB10_297
; %bb.296:                              ;   in Loop: Header=BB10_161 Depth=1
	v_cmp_gt_f32_e64 s7, 0x800000, |v33|
	v_sub_f32_e64 v38, 1.0, |v33|
	v_cmp_gt_f32_e64 s6, 0x3f3b4a23, |v33|
	s_delay_alu instid0(VALU_DEP_3) | instskip(SKIP_1) | instid1(VALU_DEP_2)
	v_cndmask_b32_e64 v35, 1.0, 0x4f800000, s7
	v_cndmask_b32_e64 v39, 0, 0x41b17218, s7
	v_mul_f32_e64 v35, |v33|, v35
	s_delay_alu instid0(VALU_DEP_1) | instskip(SKIP_3) | instid1(VALU_DEP_2)
	v_log_f32_e32 v35, v35
	s_waitcnt_depctr 0xfff
	v_mul_f32_e32 v36, 0x3f317217, v35
	v_cmp_gt_f32_e64 s7, 0x7f800000, |v35|
	v_fma_f32 v37, 0x3f317217, v35, -v36
	s_delay_alu instid0(VALU_DEP_1) | instskip(NEXT) | instid1(VALU_DEP_1)
	v_fmac_f32_e32 v37, 0x3377d1cf, v35
	v_add_f32_e32 v36, v36, v37
	v_add_f32_e64 v37, 0xbeec5b0c, |v33|
	s_delay_alu instid0(VALU_DEP_2) | instskip(NEXT) | instid1(VALU_DEP_2)
	v_cndmask_b32_e64 v35, v35, v36, s7
	v_cndmask_b32_e64 v36, v38, v37, s6
	v_cndmask_b32_e64 v37, 0, 1, s6
	v_cmp_gt_f32_e64 s6, 0x3e6d3309, |v33|
	s_delay_alu instid0(VALU_DEP_4) | instskip(NEXT) | instid1(VALU_DEP_2)
	v_sub_f32_e32 v35, v35, v39
	v_cndmask_b32_e64 v36, v36, |v33|, s6
	s_delay_alu instid0(VALU_DEP_4) | instskip(NEXT) | instid1(VALU_DEP_3)
	v_cndmask_b32_e64 v37, v37, 2, s6
	v_xor_b32_e32 v35, 0x80000000, v35
.LBB10_297:                             ;   in Loop: Header=BB10_161 Depth=1
	s_and_not1_saveexec_b32 s7, s34
; %bb.298:                              ;   in Loop: Header=BB10_161 Depth=1
	v_sub_f32_e64 v35, 2.0, |v33|
	v_add_f32_e64 v36, 0xbfbb16c3, |v33|
	v_cmp_gt_f32_e64 s6, 0x3fdda512, |v33|
	v_add_f32_e64 v37, |v33|, -1.0
	s_delay_alu instid0(VALU_DEP_2) | instskip(SKIP_2) | instid1(VALU_DEP_2)
	v_cndmask_b32_e64 v36, v35, v36, s6
	v_cndmask_b32_e64 v35, v35, 1.0, s6
	v_cmp_gt_f32_e64 s6, 0x3f9d70a4, |v33|
	v_cvt_i32_f32_e32 v35, v35
	s_delay_alu instid0(VALU_DEP_2) | instskip(NEXT) | instid1(VALU_DEP_2)
	v_cndmask_b32_e64 v36, v36, v37, s6
	v_cndmask_b32_e64 v37, v35, 2, s6
	v_mov_b32_e32 v35, 0
; %bb.299:                              ;   in Loop: Header=BB10_161 Depth=1
	s_or_b32 exec_lo, exec_lo, s7
	s_delay_alu instid0(SALU_CYCLE_1) | instskip(NEXT) | instid1(VALU_DEP_2)
	s_mov_b32 s7, exec_lo
	v_cmpx_lt_i32_e32 0, v37
	s_xor_b32 s7, exec_lo, s7
	s_cbranch_execz .LBB10_307
; %bb.300:                              ;   in Loop: Header=BB10_161 Depth=1
	s_mov_b32 s34, exec_lo
	v_cmpx_lt_i32_e32 1, v37
	s_xor_b32 s34, exec_lo, s34
	s_cbranch_execz .LBB10_304
; %bb.301:                              ;   in Loop: Header=BB10_161 Depth=1
	s_mov_b32 s35, exec_lo
	v_cmpx_eq_u32_e32 2, v37
	s_cbranch_execz .LBB10_303
; %bb.302:                              ;   in Loop: Header=BB10_161 Depth=1
	v_fmaak_f32 v38, s22, v36, 0x3e6a7578
	s_delay_alu instid0(VALU_DEP_1) | instskip(NEXT) | instid1(VALU_DEP_1)
	v_fmaak_f32 v38, v36, v38, 0x3f7a4bb2
	v_fmaak_f32 v38, v36, v38, 0x3fba3ae7
	s_delay_alu instid0(VALU_DEP_1) | instskip(NEXT) | instid1(VALU_DEP_1)
	v_fmaak_f32 v38, v36, v38, 0x3f2200f4
	v_fmaak_f32 v38, v36, v38, 0xbd9e233f
	s_delay_alu instid0(VALU_DEP_1) | instskip(NEXT) | instid1(VALU_DEP_1)
	v_dual_fmaak_f32 v37, s23, v36, 0x3dd572af :: v_dual_mul_f32 v38, v36, v38
	v_fmaak_f32 v37, v36, v37, 0x3f44efdf
	s_delay_alu instid0(VALU_DEP_1) | instskip(NEXT) | instid1(VALU_DEP_1)
	v_fmaak_f32 v37, v36, v37, 0x4008392d
	v_fmaak_f32 v37, v36, v37, 0x401d2ebe
	s_delay_alu instid0(VALU_DEP_1) | instskip(NEXT) | instid1(VALU_DEP_1)
	v_fma_f32 v37, v36, v37, 1.0
	v_rcp_f32_e32 v37, v37
	s_waitcnt_depctr 0xfff
	v_mul_f32_e32 v37, v38, v37
	s_delay_alu instid0(VALU_DEP_1) | instskip(NEXT) | instid1(VALU_DEP_1)
	v_fmac_f32_e32 v37, -0.5, v36
	v_add_f32_e32 v35, v35, v37
.LBB10_303:                             ;   in Loop: Header=BB10_161 Depth=1
	s_or_b32 exec_lo, exec_lo, s35
                                        ; implicit-def: $vgpr36
.LBB10_304:                             ;   in Loop: Header=BB10_161 Depth=1
	s_and_not1_saveexec_b32 s6, s34
	s_cbranch_execz .LBB10_306
; %bb.305:                              ;   in Loop: Header=BB10_161 Depth=1
	v_mul_f32_e32 v37, v36, v36
	s_delay_alu instid0(VALU_DEP_1) | instskip(NEXT) | instid1(VALU_DEP_1)
	v_mul_f32_e32 v38, v36, v37
	v_fmaak_f32 v39, s25, v38, 0x3a66f867
	v_fmaak_f32 v40, s26, v38, 0xba0d3085
	;; [unrolled: 1-line block ×3, first 2 shown]
	s_delay_alu instid0(VALU_DEP_3) | instskip(NEXT) | instid1(VALU_DEP_3)
	v_fmaak_f32 v39, v38, v39, 0xbb7177fe
	v_fmaak_f32 v40, v38, v40, 0x3b141699
	s_delay_alu instid0(VALU_DEP_3) | instskip(NEXT) | instid1(VALU_DEP_3)
	v_fmaak_f32 v41, v38, v41, 0x3bc7e707
	v_fmaak_f32 v39, v38, v39, 0x3c93373d
	;; [unrolled: 3-line block ×4, first 2 shown]
	s_delay_alu instid0(VALU_DEP_1) | instskip(NEXT) | instid1(VALU_DEP_1)
	v_dual_fmac_f32 v39, v36, v40 :: v_dual_fmaak_f32 v36, v38, v41, 0x3ef7b95e
	v_fma_f32 v38, v38, -v39, 0xa2863e55
	s_delay_alu instid0(VALU_DEP_1) | instskip(NEXT) | instid1(VALU_DEP_1)
	v_fma_f32 v36, v37, v36, -v38
	v_add_f32_e32 v36, 0xbdf8cdce, v36
	s_delay_alu instid0(VALU_DEP_1)
	v_add_f32_e32 v35, v35, v36
.LBB10_306:                             ;   in Loop: Header=BB10_161 Depth=1
	s_or_b32 exec_lo, exec_lo, s6
                                        ; implicit-def: $vgpr37
                                        ; implicit-def: $vgpr36
.LBB10_307:                             ;   in Loop: Header=BB10_161 Depth=1
	s_and_not1_saveexec_b32 s7, s7
	s_cbranch_execz .LBB10_311
; %bb.308:                              ;   in Loop: Header=BB10_161 Depth=1
	s_mov_b32 s34, exec_lo
	v_cmpx_eq_u32_e32 0, v37
	s_cbranch_execz .LBB10_310
; %bb.309:                              ;   in Loop: Header=BB10_161 Depth=1
	v_mul_f32_e32 v37, v36, v36
	s_delay_alu instid0(VALU_DEP_1) | instskip(NEXT) | instid1(VALU_DEP_1)
	v_fmaak_f32 v39, s27, v37, 0x39679767
	v_fmaak_f32 v39, v37, v39, 0x3a9c54a1
	s_delay_alu instid0(VALU_DEP_1) | instskip(NEXT) | instid1(VALU_DEP_1)
	v_fmaak_f32 v39, v37, v39, 0x3bf2027e
	v_fmaak_f32 v39, v37, v39, 0x3d89f001
	s_delay_alu instid0(VALU_DEP_1) | instskip(SKIP_1) | instid1(VALU_DEP_1)
	v_fmaak_f32 v39, v37, v39, 0x3d9e233f
	v_fmaak_f32 v38, s28, v37, 0x38e28445
	;; [unrolled: 1-line block ×3, first 2 shown]
	s_delay_alu instid0(VALU_DEP_1) | instskip(NEXT) | instid1(VALU_DEP_1)
	v_fmaak_f32 v38, v37, v38, 0x3b3d6ec6
	v_fmaak_f32 v38, v37, v38, 0x3ca89915
	s_delay_alu instid0(VALU_DEP_1) | instskip(NEXT) | instid1(VALU_DEP_1)
	v_fmaak_f32 v38, v37, v38, 0x3ea51a66
	v_mul_f32_e32 v37, v37, v38
	s_delay_alu instid0(VALU_DEP_1) | instskip(NEXT) | instid1(VALU_DEP_1)
	v_fmac_f32_e32 v37, v36, v39
	v_fmac_f32_e32 v37, -0.5, v36
	s_delay_alu instid0(VALU_DEP_1)
	v_add_f32_e32 v35, v35, v37
.LBB10_310:                             ;   in Loop: Header=BB10_161 Depth=1
	s_or_b32 exec_lo, exec_lo, s34
.LBB10_311:                             ;   in Loop: Header=BB10_161 Depth=1
	s_delay_alu instid0(SALU_CYCLE_1)
	s_or_b32 exec_lo, exec_lo, s7
.LBB10_312:                             ;   in Loop: Header=BB10_161 Depth=1
	s_delay_alu instid0(SALU_CYCLE_1)
	s_or_b32 exec_lo, exec_lo, s33
.LBB10_313:                             ;   in Loop: Header=BB10_161 Depth=1
	s_and_not1_saveexec_b32 s7, s8
	s_cbranch_execz .LBB10_315
; %bb.314:                              ;   in Loop: Header=BB10_161 Depth=1
	v_cmp_gt_f32_e64 s8, 0x800000, |v33|
	v_fma_f32 v38, |v33|, s29, 0xbecd26ab
	s_delay_alu instid0(VALU_DEP_2) | instskip(NEXT) | instid1(VALU_DEP_1)
	v_cndmask_b32_e64 v35, 1.0, 0x4f800000, s8
	v_mul_f32_e64 v35, |v33|, v35
	s_delay_alu instid0(VALU_DEP_1) | instskip(SKIP_3) | instid1(VALU_DEP_2)
	v_log_f32_e32 v35, v35
	s_waitcnt_depctr 0xfff
	v_mul_f32_e32 v36, 0x3f317217, v35
	v_cmp_gt_f32_e64 s6, 0x7f800000, |v35|
	v_fma_f32 v37, 0x3f317217, v35, -v36
	s_delay_alu instid0(VALU_DEP_1) | instskip(NEXT) | instid1(VALU_DEP_1)
	v_fmac_f32_e32 v37, 0x3377d1cf, v35
	v_add_f32_e32 v36, v36, v37
	v_fma_f32 v37, |v33|, v38, 0x3f528d33
	s_delay_alu instid0(VALU_DEP_2) | instskip(SKIP_1) | instid1(VALU_DEP_3)
	v_cndmask_b32_e64 v35, v35, v36, s6
	v_cndmask_b32_e64 v36, 0, 0x41b17218, s8
	v_fma_f32 v37, |v33|, v37, 0xbf13c468
	s_delay_alu instid0(VALU_DEP_2) | instskip(NEXT) | instid1(VALU_DEP_1)
	v_sub_f32_e32 v35, v35, v36
	v_fma_f32 v35, |v33|, v37, -v35
.LBB10_315:                             ;   in Loop: Header=BB10_161 Depth=1
	s_or_b32 exec_lo, exec_lo, s7
	v_cmp_le_f16_e64 s6, 0, v23
	s_mov_b32 s8, exec_lo
	v_cmpx_nle_f16_e32 0, v23
	s_xor_b32 s33, exec_lo, s8
	s_cbranch_execnz .LBB10_321
; %bb.316:                              ;   in Loop: Header=BB10_161 Depth=1
	s_and_not1_saveexec_b32 s33, s33
	s_cbranch_execnz .LBB10_324
.LBB10_317:                             ;   in Loop: Header=BB10_161 Depth=1
	s_or_b32 exec_lo, exec_lo, s33
	s_and_saveexec_b32 s7, s2
	s_delay_alu instid0(SALU_CYCLE_1)
	s_xor_b32 s7, exec_lo, s7
	s_cbranch_execnz .LBB10_325
.LBB10_318:                             ;   in Loop: Header=BB10_161 Depth=1
	s_or_b32 exec_lo, exec_lo, s7
	s_and_saveexec_b32 s2, s1
	s_cbranch_execnz .LBB10_326
.LBB10_319:                             ;   in Loop: Header=BB10_161 Depth=1
	s_or_b32 exec_lo, exec_lo, s2
	s_and_saveexec_b32 s1, s0
	s_cbranch_execnz .LBB10_327
.LBB10_320:                             ;   in Loop: Header=BB10_161 Depth=1
	s_or_b32 exec_lo, exec_lo, s1
	s_and_saveexec_b32 s0, vcc_lo
	s_cbranch_execz .LBB10_160
	s_branch .LBB10_328
.LBB10_321:                             ;   in Loop: Header=BB10_161 Depth=1
	v_cmp_gt_f32_e64 s7, 0x4b000000, |v33|
	v_cmp_lt_f32_e64 s8, 0x35000000, |v33|
	s_delay_alu instid0(VALU_DEP_1) | instskip(NEXT) | instid1(SALU_CYCLE_1)
	s_and_b32 s7, s7, s8
	s_and_saveexec_b32 s34, s7
	s_cbranch_execz .LBB10_323
; %bb.322:                              ;   in Loop: Header=BB10_161 Depth=1
	v_mul_f32_e64 v36, |v33|, 0.5
	v_xor_b32_e32 v34, v34, v33
	s_delay_alu instid0(VALU_DEP_2) | instskip(SKIP_1) | instid1(VALU_DEP_2)
	v_floor_f32_e32 v37, v36
	v_cmp_neq_f32_e64 s7, 0x7f800000, v36
	v_sub_f32_e32 v37, v36, v37
	s_delay_alu instid0(VALU_DEP_1) | instskip(NEXT) | instid1(VALU_DEP_1)
	v_min_f32_e32 v37, 0x3f7fffff, v37
	v_add_f32_e32 v37, v37, v37
	s_delay_alu instid0(VALU_DEP_1) | instskip(SKIP_1) | instid1(VALU_DEP_1)
	v_cndmask_b32_e64 v36, 0, v37, s7
	v_cmp_gt_f32_e64 s7, |v33|, 1.0
	v_cndmask_b32_e64 v36, |v33|, v36, s7
	s_delay_alu instid0(VALU_DEP_1) | instskip(NEXT) | instid1(VALU_DEP_1)
	v_add_f32_e32 v37, v36, v36
	v_rndne_f32_e32 v37, v37
	s_delay_alu instid0(VALU_DEP_1) | instskip(SKIP_1) | instid1(VALU_DEP_2)
	v_fmac_f32_e32 v36, -0.5, v37
	v_cvt_i32_f32_e32 v37, v37
	v_mul_f32_e32 v38, v36, v36
	s_delay_alu instid0(VALU_DEP_1) | instskip(SKIP_1) | instid1(VALU_DEP_2)
	v_fmaak_f32 v39, s30, v38, 0xbf1f24be
	v_fmaak_f32 v40, s31, v38, 0x3e642e9d
	;; [unrolled: 1-line block ×3, first 2 shown]
	s_delay_alu instid0(VALU_DEP_2) | instskip(NEXT) | instid1(VALU_DEP_2)
	v_dual_fmaak_f32 v40, v38, v40, 0xbfaad1da :: v_dual_mul_f32 v41, v36, v38
	v_fmaak_f32 v39, v38, v39, 0xc0a55e0e
	s_delay_alu instid0(VALU_DEP_1) | instskip(NEXT) | instid1(VALU_DEP_1)
	v_dual_fmaak_f32 v40, v38, v40, 0x4081e0d3 :: v_dual_mul_f32 v39, v41, v39
	v_dual_fmaak_f32 v40, v38, v40, 0xc09de9e6 :: v_dual_and_b32 v41, 1, v37
	v_lshlrev_b32_e32 v37, 30, v37
	s_delay_alu instid0(VALU_DEP_3) | instskip(NEXT) | instid1(VALU_DEP_3)
	v_fmac_f32_e32 v39, 0x40490fdb, v36
	v_fma_f32 v36, v38, v40, 1.0
	s_delay_alu instid0(VALU_DEP_4) | instskip(NEXT) | instid1(VALU_DEP_4)
	v_cmp_eq_u32_e64 s7, 0, v41
	v_and_b32_e32 v37, 0x80000000, v37
	s_delay_alu instid0(VALU_DEP_2) | instskip(NEXT) | instid1(VALU_DEP_1)
	v_cndmask_b32_e64 v36, v36, v39, s7
	v_xor3_b32 v34, v34, v37, v36
	s_delay_alu instid0(VALU_DEP_1) | instskip(NEXT) | instid1(VALU_DEP_1)
	v_mul_f32_e32 v34, v33, v34
	v_frexp_mant_f32_e64 v36, |v34|
	v_frexp_exp_i32_f32_e32 v34, v34
	s_delay_alu instid0(VALU_DEP_2) | instskip(NEXT) | instid1(VALU_DEP_1)
	v_rcp_f32_e32 v36, v36
	v_sub_nc_u32_e32 v34, 2, v34
	s_waitcnt_depctr 0xfff
	v_mul_f32_e32 v36, 0x3f490fdb, v36
	s_delay_alu instid0(VALU_DEP_1) | instskip(NEXT) | instid1(VALU_DEP_1)
	v_ldexp_f32 v34, v36, v34
	v_cmp_gt_f32_e64 s7, 0x800000, v34
	s_delay_alu instid0(VALU_DEP_1) | instskip(NEXT) | instid1(VALU_DEP_1)
	v_cndmask_b32_e64 v36, 1.0, 0x4f800000, s7
	v_mul_f32_e32 v34, v34, v36
	s_delay_alu instid0(VALU_DEP_1) | instskip(SKIP_3) | instid1(VALU_DEP_2)
	v_log_f32_e32 v34, v34
	s_waitcnt_depctr 0xfff
	v_mul_f32_e32 v36, 0x3f317217, v34
	v_cmp_gt_f32_e64 s8, 0x7f800000, |v34|
	v_fma_f32 v37, 0x3f317217, v34, -v36
	s_delay_alu instid0(VALU_DEP_1) | instskip(NEXT) | instid1(VALU_DEP_1)
	v_fmac_f32_e32 v37, 0x3377d1cf, v34
	v_add_f32_e32 v36, v36, v37
	v_floor_f32_e32 v37, v33
	s_delay_alu instid0(VALU_DEP_2) | instskip(NEXT) | instid1(VALU_DEP_2)
	v_cndmask_b32_e64 v34, v34, v36, s8
	v_sub_f32_e32 v37, v33, v37
	v_cndmask_b32_e64 v36, 0, 0x41b17218, s7
	s_delay_alu instid0(VALU_DEP_1) | instskip(NEXT) | instid1(VALU_DEP_3)
	v_sub_f32_e32 v34, v34, v36
	v_min_f32_e32 v36, 0x3f7fffff, v37
	s_delay_alu instid0(VALU_DEP_2) | instskip(NEXT) | instid1(VALU_DEP_2)
	v_sub_f32_e32 v34, v34, v35
	v_cmp_neq_f32_e64 s7, 0, v36
	s_delay_alu instid0(VALU_DEP_1)
	v_cndmask_b32_e64 v35, 0x7f800000, v34, s7
.LBB10_323:                             ;   in Loop: Header=BB10_161 Depth=1
	s_or_b32 exec_lo, exec_lo, s34
	s_and_not1_saveexec_b32 s33, s33
	s_cbranch_execz .LBB10_317
.LBB10_324:                             ;   in Loop: Header=BB10_161 Depth=1
	v_cmp_eq_f16_e64 s7, 1.0, v23
	v_cmp_eq_f16_e64 s8, 2.0, v23
	s_delay_alu instid0(VALU_DEP_1) | instskip(NEXT) | instid1(SALU_CYCLE_1)
	s_or_b32 s7, s7, s8
	v_cndmask_b32_e64 v35, v35, 0, s7
	s_or_b32 exec_lo, exec_lo, s33
	s_and_saveexec_b32 s7, s2
	s_delay_alu instid0(SALU_CYCLE_1)
	s_xor_b32 s7, exec_lo, s7
	s_cbranch_execz .LBB10_318
.LBB10_325:                             ;   in Loop: Header=BB10_161 Depth=1
	v_cmp_gt_f32_e64 s2, 0x4b000000, |v27|
	v_cvt_f16_f32_e32 v28, v28
	s_delay_alu instid0(VALU_DEP_2)
	s_or_b32 s2, s3, s2
	s_delay_alu instid0(VALU_DEP_1) | instid1(SALU_CYCLE_1)
	v_cndmask_b32_e64 v28, 0x7c00, v28, s2
	v_cmp_class_f32_e64 s2, v27, 0x264
	s_delay_alu instid0(VALU_DEP_1) | instskip(SKIP_1) | instid1(VALU_DEP_1)
	v_cndmask_b32_e64 v27, v28, 0x7c00, s2
	v_cmp_u_f16_e64 s2, v26, v26
	v_cndmask_b32_e64 v28, v27, v26, s2
	v_add_co_u32 v26, s2, v3, s10
	s_delay_alu instid0(VALU_DEP_1)
	v_add_co_ci_u32_e64 v27, s2, s11, v4, s2
	global_store_b16 v[26:27], v28, off
	s_or_b32 exec_lo, exec_lo, s7
	s_and_saveexec_b32 s2, s1
	s_cbranch_execz .LBB10_319
.LBB10_326:                             ;   in Loop: Header=BB10_161 Depth=1
	v_cmp_gt_f32_e64 s1, 0x4b000000, |v29|
	v_cvt_f16_f32_e32 v26, v30
	s_delay_alu instid0(VALU_DEP_2)
	s_or_b32 s1, s4, s1
	s_delay_alu instid0(VALU_DEP_1) | instid1(SALU_CYCLE_1)
	v_cndmask_b32_e64 v26, 0x7c00, v26, s1
	v_cmp_class_f32_e64 s1, v29, 0x264
	s_delay_alu instid0(VALU_DEP_1) | instskip(SKIP_1) | instid1(VALU_DEP_1)
	v_cndmask_b32_e64 v26, v26, 0x7c00, s1
	v_cmp_u_f16_e64 s1, v25, v25
	v_cndmask_b32_e64 v27, v26, v25, s1
	v_add_co_u32 v25, s1, v21, s10
	s_delay_alu instid0(VALU_DEP_1)
	v_add_co_ci_u32_e64 v26, s1, s11, v22, s1
	global_store_b16 v[25:26], v27, off
	s_or_b32 exec_lo, exec_lo, s2
	s_and_saveexec_b32 s1, s0
	s_cbranch_execz .LBB10_320
.LBB10_327:                             ;   in Loop: Header=BB10_161 Depth=1
	v_cmp_gt_f32_e64 s0, 0x4b000000, |v31|
	v_cvt_f16_f32_e32 v25, v32
	s_delay_alu instid0(VALU_DEP_2)
	s_or_b32 s0, s5, s0
	s_delay_alu instid0(VALU_DEP_1) | instid1(SALU_CYCLE_1)
	v_cndmask_b32_e64 v25, 0x7c00, v25, s0
	v_cmp_class_f32_e64 s0, v31, 0x264
	s_delay_alu instid0(VALU_DEP_1) | instskip(SKIP_1) | instid1(VALU_DEP_1)
	v_cndmask_b32_e64 v25, v25, 0x7c00, s0
	v_cmp_u_f16_e64 s0, v24, v24
	v_cndmask_b32_e64 v26, v25, v24, s0
	v_add_co_u32 v24, s0, v14, s10
	s_delay_alu instid0(VALU_DEP_1)
	v_add_co_ci_u32_e64 v25, s0, s11, v15, s0
	global_store_b16 v[24:25], v26, off
	s_or_b32 exec_lo, exec_lo, s1
	s_and_saveexec_b32 s0, vcc_lo
	s_cbranch_execz .LBB10_160
.LBB10_328:                             ;   in Loop: Header=BB10_161 Depth=1
	v_cmp_gt_f32_e64 s1, 0x4b000000, |v33|
	v_cvt_f16_f32_e32 v24, v35
	s_delay_alu instid0(VALU_DEP_2) | instskip(SKIP_1) | instid1(VALU_DEP_2)
	s_or_b32 vcc_lo, s6, s1
	v_cmp_class_f32_e64 s1, v33, 0x264
	v_cndmask_b32_e32 v24, 0x7c00, v24, vcc_lo
	v_cmp_u_f16_e32 vcc_lo, v23, v23
	s_delay_alu instid0(VALU_DEP_2) | instskip(NEXT) | instid1(VALU_DEP_1)
	v_cndmask_b32_e64 v24, v24, 0x7c00, s1
	v_cndmask_b32_e32 v25, v24, v23, vcc_lo
	v_add_co_u32 v23, vcc_lo, v7, s10
	v_add_co_ci_u32_e32 v24, vcc_lo, s11, v8, vcc_lo
	global_store_b16 v[23:24], v25, off
	s_branch .LBB10_160
.LBB10_329:
	s_nop 0
	s_sendmsg sendmsg(MSG_DEALLOC_VGPRS)
	s_endpgm
	.section	.rodata,"a",@progbits
	.p2align	6, 0x0
	.amdhsa_kernel _ZN2at6native12_GLOBAL__N_125multi_tensor_apply_kernelINS1_18TensorListMetadataILi2EEENS1_14UnaryOpFunctorIN3c104HalfELi2ELi1ELi1EEEJNS0_6LgammaIfEEEEEvT_T0_DpT1_
		.amdhsa_group_segment_fixed_size 0
		.amdhsa_private_segment_fixed_size 0
		.amdhsa_kernarg_size 3408
		.amdhsa_user_sgpr_count 15
		.amdhsa_user_sgpr_dispatch_ptr 0
		.amdhsa_user_sgpr_queue_ptr 0
		.amdhsa_user_sgpr_kernarg_segment_ptr 1
		.amdhsa_user_sgpr_dispatch_id 0
		.amdhsa_user_sgpr_private_segment_size 0
		.amdhsa_wavefront_size32 1
		.amdhsa_uses_dynamic_stack 0
		.amdhsa_enable_private_segment 0
		.amdhsa_system_sgpr_workgroup_id_x 1
		.amdhsa_system_sgpr_workgroup_id_y 0
		.amdhsa_system_sgpr_workgroup_id_z 0
		.amdhsa_system_sgpr_workgroup_info 0
		.amdhsa_system_vgpr_workitem_id 0
		.amdhsa_next_free_vgpr 42
		.amdhsa_next_free_sgpr 40
		.amdhsa_reserve_vcc 1
		.amdhsa_float_round_mode_32 0
		.amdhsa_float_round_mode_16_64 0
		.amdhsa_float_denorm_mode_32 3
		.amdhsa_float_denorm_mode_16_64 3
		.amdhsa_dx10_clamp 1
		.amdhsa_ieee_mode 1
		.amdhsa_fp16_overflow 0
		.amdhsa_workgroup_processor_mode 1
		.amdhsa_memory_ordered 1
		.amdhsa_forward_progress 0
		.amdhsa_shared_vgpr_count 0
		.amdhsa_exception_fp_ieee_invalid_op 0
		.amdhsa_exception_fp_denorm_src 0
		.amdhsa_exception_fp_ieee_div_zero 0
		.amdhsa_exception_fp_ieee_overflow 0
		.amdhsa_exception_fp_ieee_underflow 0
		.amdhsa_exception_fp_ieee_inexact 0
		.amdhsa_exception_int_div_zero 0
	.end_amdhsa_kernel
	.section	.text._ZN2at6native12_GLOBAL__N_125multi_tensor_apply_kernelINS1_18TensorListMetadataILi2EEENS1_14UnaryOpFunctorIN3c104HalfELi2ELi1ELi1EEEJNS0_6LgammaIfEEEEEvT_T0_DpT1_,"axG",@progbits,_ZN2at6native12_GLOBAL__N_125multi_tensor_apply_kernelINS1_18TensorListMetadataILi2EEENS1_14UnaryOpFunctorIN3c104HalfELi2ELi1ELi1EEEJNS0_6LgammaIfEEEEEvT_T0_DpT1_,comdat
.Lfunc_end10:
	.size	_ZN2at6native12_GLOBAL__N_125multi_tensor_apply_kernelINS1_18TensorListMetadataILi2EEENS1_14UnaryOpFunctorIN3c104HalfELi2ELi1ELi1EEEJNS0_6LgammaIfEEEEEvT_T0_DpT1_, .Lfunc_end10-_ZN2at6native12_GLOBAL__N_125multi_tensor_apply_kernelINS1_18TensorListMetadataILi2EEENS1_14UnaryOpFunctorIN3c104HalfELi2ELi1ELi1EEEJNS0_6LgammaIfEEEEEvT_T0_DpT1_
                                        ; -- End function
	.section	.AMDGPU.csdata,"",@progbits
; Kernel info:
; codeLenInByte = 22664
; NumSgprs: 42
; NumVgprs: 42
; ScratchSize: 0
; MemoryBound: 0
; FloatMode: 240
; IeeeMode: 1
; LDSByteSize: 0 bytes/workgroup (compile time only)
; SGPRBlocks: 5
; VGPRBlocks: 5
; NumSGPRsForWavesPerEU: 42
; NumVGPRsForWavesPerEU: 42
; Occupancy: 16
; WaveLimiterHint : 0
; COMPUTE_PGM_RSRC2:SCRATCH_EN: 0
; COMPUTE_PGM_RSRC2:USER_SGPR: 15
; COMPUTE_PGM_RSRC2:TRAP_HANDLER: 0
; COMPUTE_PGM_RSRC2:TGID_X_EN: 1
; COMPUTE_PGM_RSRC2:TGID_Y_EN: 0
; COMPUTE_PGM_RSRC2:TGID_Z_EN: 0
; COMPUTE_PGM_RSRC2:TIDIG_COMP_CNT: 0
	.section	.text._ZN2at6native12_GLOBAL__N_125multi_tensor_apply_kernelINS1_18TensorListMetadataILi2EEENS1_14UnaryOpFunctorIN3c108BFloat16ELi2ELi1ELi1EEEJNS0_6LgammaIfEEEEEvT_T0_DpT1_,"axG",@progbits,_ZN2at6native12_GLOBAL__N_125multi_tensor_apply_kernelINS1_18TensorListMetadataILi2EEENS1_14UnaryOpFunctorIN3c108BFloat16ELi2ELi1ELi1EEEJNS0_6LgammaIfEEEEEvT_T0_DpT1_,comdat
	.globl	_ZN2at6native12_GLOBAL__N_125multi_tensor_apply_kernelINS1_18TensorListMetadataILi2EEENS1_14UnaryOpFunctorIN3c108BFloat16ELi2ELi1ELi1EEEJNS0_6LgammaIfEEEEEvT_T0_DpT1_ ; -- Begin function _ZN2at6native12_GLOBAL__N_125multi_tensor_apply_kernelINS1_18TensorListMetadataILi2EEENS1_14UnaryOpFunctorIN3c108BFloat16ELi2ELi1ELi1EEEJNS0_6LgammaIfEEEEEvT_T0_DpT1_
	.p2align	8
	.type	_ZN2at6native12_GLOBAL__N_125multi_tensor_apply_kernelINS1_18TensorListMetadataILi2EEENS1_14UnaryOpFunctorIN3c108BFloat16ELi2ELi1ELi1EEEJNS0_6LgammaIfEEEEEvT_T0_DpT1_,@function
_ZN2at6native12_GLOBAL__N_125multi_tensor_apply_kernelINS1_18TensorListMetadataILi2EEENS1_14UnaryOpFunctorIN3c108BFloat16ELi2ELi1ELi1EEEJNS0_6LgammaIfEEEEEvT_T0_DpT1_: ; @_ZN2at6native12_GLOBAL__N_125multi_tensor_apply_kernelINS1_18TensorListMetadataILi2EEENS1_14UnaryOpFunctorIN3c108BFloat16ELi2ELi1ELi1EEEJNS0_6LgammaIfEEEEEvT_T0_DpT1_
; %bb.0:
	v_mov_b32_e32 v1, s15
	s_add_u32 s2, s0, s15
	s_mul_hi_u32 s3, s15, 3
	s_mul_i32 s15, s15, 3
	s_addc_u32 s4, s1, 0
	global_load_u8 v1, v1, s[0:1] offset:1536
	s_add_u32 s2, s2, s15
	s_addc_u32 s3, s4, s3
	s_mov_b32 s7, 0
	s_load_b32 s2, s[2:3], 0x740
	s_mov_b32 s15, s7
	s_mov_b32 s13, s7
	s_waitcnt vmcnt(0)
	v_readfirstlane_b32 s5, v1
	s_delay_alu instid0(VALU_DEP_1)
	s_lshl_b32 s3, s5, 3
	s_clause 0x2
	s_load_b64 s[8:9], s[0:1], s3 offset:0x0
	s_load_b64 s[16:17], s[0:1], s3 offset:0x200
	;; [unrolled: 1-line block ×3, first 2 shown]
	s_waitcnt lgkmcnt(0)
	s_ashr_i32 s3, s2, 31
	s_delay_alu instid0(SALU_CYCLE_1) | instskip(SKIP_4) | instid1(SALU_CYCLE_1)
	s_lshl_b64 s[10:11], s[2:3], 17
	s_lshl_b64 s[2:3], s[2:3], 16
	s_and_b32 s6, s8, 7
	s_and_b32 s12, s16, 7
	;; [unrolled: 1-line block ×3, first 2 shown]
	s_or_b64 s[6:7], s[6:7], s[14:15]
	s_delay_alu instid0(SALU_CYCLE_1)
	s_or_b64 s[6:7], s[12:13], s[6:7]
	s_sub_u32 s12, s4, s2
	s_subb_u32 s13, s5, s3
	s_cmp_eq_u64 s[6:7], 0
	s_mov_b32 s2, -1
	s_cbranch_scc0 .LBB11_157
; %bb.1:
	v_dual_mov_b32 v2, 0 :: v_dual_lshlrev_b32 v1, 2, v0
	s_mov_b32 s7, exec_lo
	s_delay_alu instid0(VALU_DEP_1)
	v_cmpx_gt_i64_e64 s[12:13], v[1:2]
	s_cbranch_execz .LBB11_156
; %bb.2:
	s_load_b32 s2, s[0:1], 0xc5c
	v_lshlrev_b32_e32 v1, 3, v0
	s_mov_b32 s14, 0
	s_mov_b32 s15, 0xbad5c4e8
	s_mov_b32 s18, 0x3805ff67
	s_mov_b32 s19, 0x36f5d7bd
	v_add_co_u32 v5, s3, s10, v1
	s_delay_alu instid0(VALU_DEP_1)
	v_add_co_ci_u32_e64 v6, null, s11, 0, s3
	s_mov_b32 s20, 0x3c5b3c5e
	s_mov_b32 s21, 0x3b52d5db
	;; [unrolled: 1-line block ×10, first 2 shown]
	s_waitcnt lgkmcnt(0)
	s_and_b32 s2, s2, 0xffff
	s_delay_alu instid0(SALU_CYCLE_1)
	v_add_lshl_u32 v1, v0, s2, 2
	s_lshl_b32 s26, s2, 3
	s_lshl_b32 s27, s2, 2
	s_branch .LBB11_4
.LBB11_3:                               ;   in Loop: Header=BB11_4 Depth=1
	s_or_b32 exec_lo, exec_lo, s33
	v_cmp_gt_f32_e64 s5, 0x4b000000, |v3|
	v_cmp_gt_f32_e64 s6, 0x4b000000, |v9|
	v_cmp_gt_f32_e64 s33, 0x4b000000, |v7|
	s_delay_alu instid0(VALU_DEP_3) | instskip(NEXT) | instid1(VALU_DEP_2)
	s_or_b32 s3, s3, s5
	s_or_b32 s2, s2, s6
	v_cndmask_b32_e64 v11, 0x7f800000, v11, s3
	v_cndmask_b32_e64 v10, 0x7f800000, v10, s2
	v_cmp_class_f32_e64 s2, v3, 0x264
	v_cmp_gt_f32_e64 s3, 0x4b000000, |v4|
	s_or_b32 vcc_lo, vcc_lo, s33
	v_cndmask_b32_e32 v8, 0x7f800000, v8, vcc_lo
	s_delay_alu instid0(VALU_DEP_3) | instskip(SKIP_4) | instid1(VALU_DEP_3)
	v_cndmask_b32_e64 v11, v11, 0x7f800000, s2
	v_cmp_class_f32_e64 s2, v9, 0x264
	s_or_b32 vcc_lo, s4, s3
	v_cndmask_b32_e32 v12, 0x7f800000, v13, vcc_lo
	v_cmp_u_f32_e32 vcc_lo, v3, v3
	v_cndmask_b32_e64 v10, v10, 0x7f800000, s2
	v_cmp_class_f32_e64 s2, v7, 0x264
	v_cndmask_b32_e32 v3, v11, v3, vcc_lo
	v_cmp_u_f32_e32 vcc_lo, v9, v9
	s_delay_alu instid0(VALU_DEP_3) | instskip(SKIP_1) | instid1(VALU_DEP_1)
	v_cndmask_b32_e64 v8, v8, 0x7f800000, s2
	v_cmp_class_f32_e64 s2, v4, 0x264
	v_cndmask_b32_e64 v11, v12, 0x7f800000, s2
	v_cndmask_b32_e32 v9, v10, v9, vcc_lo
	v_cmp_u_f32_e32 vcc_lo, v7, v7
	v_cmp_lt_u64_e64 s2, 0xffff, v[1:2]
	v_cndmask_b32_e32 v7, v8, v7, vcc_lo
	v_cmp_u_f32_e32 vcc_lo, v4, v4
	v_cndmask_b32_e32 v4, v11, v4, vcc_lo
	v_bfe_u32 v8, v9, 16, 1
	v_cmp_o_f32_e32 vcc_lo, v9, v9
	s_delay_alu instid0(VALU_DEP_3) | instskip(NEXT) | instid1(VALU_DEP_3)
	v_bfe_u32 v12, v4, 16, 1
	v_add3_u32 v8, v9, v8, 0x7fff
	s_delay_alu instid0(VALU_DEP_2) | instskip(NEXT) | instid1(VALU_DEP_2)
	v_add3_u32 v12, v4, v12, 0x7fff
	v_and_b32_e32 v8, 0xffff0000, v8
	v_bfe_u32 v10, v3, 16, 1
	s_delay_alu instid0(VALU_DEP_3) | instskip(SKIP_1) | instid1(VALU_DEP_4)
	v_and_b32_e32 v12, 0xffff0000, v12
	v_bfe_u32 v11, v7, 16, 1
	v_cndmask_b32_e32 v8, 0x7fc00000, v8, vcc_lo
	v_cmp_o_f32_e32 vcc_lo, v7, v7
	v_add3_u32 v10, v3, v10, 0x7fff
	s_delay_alu instid0(VALU_DEP_4) | instskip(NEXT) | instid1(VALU_DEP_2)
	v_add3_u32 v11, v7, v11, 0x7fff
	v_lshrrev_b32_e32 v10, 16, v10
	s_delay_alu instid0(VALU_DEP_2) | instskip(NEXT) | instid1(VALU_DEP_1)
	v_lshrrev_b32_e32 v11, 16, v11
	v_cndmask_b32_e32 v7, 0x7fc0, v11, vcc_lo
	v_cmp_o_f32_e32 vcc_lo, v4, v4
	s_delay_alu instid0(VALU_DEP_2) | instskip(SKIP_3) | instid1(VALU_DEP_1)
	v_or_b32_e32 v7, v8, v7
	v_cndmask_b32_e32 v9, 0x7fc00000, v12, vcc_lo
	v_cmp_o_f32_e32 vcc_lo, v3, v3
	v_add_co_u32 v3, s3, s16, v5
	v_add_co_ci_u32_e64 v4, s3, s17, v6, s3
	v_cndmask_b32_e32 v10, 0x7fc0, v10, vcc_lo
	v_cmp_le_i64_e32 vcc_lo, s[12:13], v[1:2]
	v_or3_b32 v7, v7, 0, 0
	s_delay_alu instid0(VALU_DEP_3)
	v_or3_b32 v8, 0, v10, v9
	s_or_b32 s2, vcc_lo, s2
	v_add_co_u32 v5, vcc_lo, v5, s26
	v_add_co_ci_u32_e32 v6, vcc_lo, 0, v6, vcc_lo
	v_add_co_u32 v1, vcc_lo, v1, s27
	v_add_co_ci_u32_e32 v2, vcc_lo, 0, v2, vcc_lo
	s_and_b32 s2, exec_lo, s2
	global_store_b64 v[3:4], v[7:8], off
	s_or_b32 s14, s2, s14
	s_delay_alu instid0(SALU_CYCLE_1)
	s_and_not1_b32 exec_lo, exec_lo, s14
	s_cbranch_execz .LBB11_156
.LBB11_4:                               ; =>This Inner Loop Header: Depth=1
	v_add_co_u32 v3, vcc_lo, s8, v5
	v_add_co_ci_u32_e32 v4, vcc_lo, s9, v6, vcc_lo
	s_mov_b32 s3, exec_lo
                                        ; implicit-def: $vgpr8
	global_load_b64 v[3:4], v[3:4], off
	s_waitcnt vmcnt(0)
	v_lshlrev_b32_e32 v7, 16, v3
	s_delay_alu instid0(VALU_DEP_1)
	v_and_b32_e32 v9, 0x7fffffff, v7
	v_cmpx_ngt_f32_e64 0x3c800000, |v7|
	s_xor_b32 s3, exec_lo, s3
	s_cbranch_execz .LBB11_34
; %bb.5:                                ;   in Loop: Header=BB11_4 Depth=1
	s_mov_b32 s4, exec_lo
                                        ; implicit-def: $vgpr8
	v_cmpx_nlt_f32_e64 |v7|, 2.0
	s_xor_b32 s4, exec_lo, s4
	s_cbranch_execz .LBB11_15
; %bb.6:                                ;   in Loop: Header=BB11_4 Depth=1
	v_cmp_ngt_f32_e64 s2, 0x41000000, |v7|
                                        ; implicit-def: $vgpr8
	s_delay_alu instid0(VALU_DEP_1) | instskip(NEXT) | instid1(SALU_CYCLE_1)
	s_and_saveexec_b32 s5, s2
	s_xor_b32 s2, exec_lo, s5
	s_cbranch_execz .LBB11_12
; %bb.7:                                ;   in Loop: Header=BB11_4 Depth=1
	v_cmp_ngt_f32_e64 s5, 0x5c800000, |v7|
                                        ; implicit-def: $vgpr8
	s_delay_alu instid0(VALU_DEP_1) | instskip(NEXT) | instid1(SALU_CYCLE_1)
	s_and_saveexec_b32 s6, s5
	s_xor_b32 s5, exec_lo, s6
	s_cbranch_execz .LBB11_9
; %bb.8:                                ;   in Loop: Header=BB11_4 Depth=1
	v_cmp_gt_f32_e64 s6, 0x800000, |v7|
	s_delay_alu instid0(VALU_DEP_1) | instskip(NEXT) | instid1(VALU_DEP_1)
	v_cndmask_b32_e64 v8, 1.0, 0x4f800000, s6
	v_mul_f32_e64 v8, |v7|, v8
	s_delay_alu instid0(VALU_DEP_1) | instskip(SKIP_3) | instid1(VALU_DEP_2)
	v_log_f32_e32 v8, v8
	s_waitcnt_depctr 0xfff
	v_mul_f32_e32 v10, 0x3f317217, v8
	v_cmp_gt_f32_e64 vcc_lo, 0x7f800000, |v8|
	v_fma_f32 v11, 0x3f317217, v8, -v10
	s_delay_alu instid0(VALU_DEP_1) | instskip(NEXT) | instid1(VALU_DEP_1)
	v_fmac_f32_e32 v11, 0x3377d1cf, v8
	v_add_f32_e32 v10, v10, v11
	s_delay_alu instid0(VALU_DEP_1) | instskip(SKIP_1) | instid1(VALU_DEP_1)
	v_cndmask_b32_e32 v8, v8, v10, vcc_lo
	v_cndmask_b32_e64 v10, 0, 0x41b17218, s6
	v_sub_f32_e32 v8, v8, v10
	s_delay_alu instid0(VALU_DEP_1)
	v_fma_f32 v8, |v7|, v8, -|v7|
.LBB11_9:                               ;   in Loop: Header=BB11_4 Depth=1
	s_and_not1_saveexec_b32 s5, s5
	s_cbranch_execz .LBB11_11
; %bb.10:                               ;   in Loop: Header=BB11_4 Depth=1
	v_cmp_gt_f32_e64 s6, 0x800000, |v7|
	v_rcp_f32_e64 v10, |v7|
	s_delay_alu instid0(VALU_DEP_1) | instskip(NEXT) | instid1(VALU_DEP_1)
	v_cndmask_b32_e64 v8, 1.0, 0x4f800000, s6
	v_mul_f32_e64 v8, |v7|, v8
	s_delay_alu instid0(VALU_DEP_1) | instskip(SKIP_3) | instid1(VALU_DEP_2)
	v_log_f32_e32 v8, v8
	s_waitcnt_depctr 0xfff
	v_dual_mul_f32 v11, v10, v10 :: v_dual_mul_f32 v12, 0x3f317217, v8
	v_cmp_gt_f32_e64 vcc_lo, 0x7f800000, |v8|
	v_fma_f32 v14, 0x3f317217, v8, -v12
	s_delay_alu instid0(VALU_DEP_1) | instskip(NEXT) | instid1(VALU_DEP_1)
	v_fmac_f32_e32 v14, 0x3377d1cf, v8
	v_dual_fmaak_f32 v13, s15, v11, 0x3a5b3dd2 :: v_dual_add_f32 v12, v12, v14
	s_delay_alu instid0(VALU_DEP_1) | instskip(SKIP_1) | instid1(VALU_DEP_1)
	v_dual_fmaak_f32 v13, v11, v13, 0xba1c065c :: v_dual_cndmask_b32 v8, v8, v12
	v_cndmask_b32_e64 v12, 0, 0x41b17218, s6
	v_dual_fmaak_f32 v13, v11, v13, 0x3a500cfd :: v_dual_sub_f32 v12, v8, v12
	s_delay_alu instid0(VALU_DEP_1) | instskip(NEXT) | instid1(VALU_DEP_1)
	v_fmaak_f32 v13, v11, v13, 0xbb360b61
	v_fmaak_f32 v11, v11, v13, 0x3daaaaab
	s_delay_alu instid0(VALU_DEP_1) | instskip(SKIP_1) | instid1(VALU_DEP_1)
	v_dual_fmaak_f32 v8, v10, v11, 0x3ed67f1d :: v_dual_add_f32 v11, -1.0, v12
	v_add_f32_e64 v10, |v7|, -0.5
	v_fmac_f32_e32 v8, v10, v11
.LBB11_11:                              ;   in Loop: Header=BB11_4 Depth=1
	s_or_b32 exec_lo, exec_lo, s5
.LBB11_12:                              ;   in Loop: Header=BB11_4 Depth=1
	s_and_not1_saveexec_b32 s5, s2
	s_cbranch_execz .LBB11_14
; %bb.13:                               ;   in Loop: Header=BB11_4 Depth=1
	v_cvt_i32_f32_e32 v8, v9
	s_delay_alu instid0(VALU_DEP_1) | instskip(SKIP_1) | instid1(VALU_DEP_2)
	v_cvt_f32_i32_e32 v10, v8
	v_cmp_lt_i32_e32 vcc_lo, 2, v8
	v_sub_f32_e64 v10, |v7|, v10
	s_delay_alu instid0(VALU_DEP_1) | instskip(SKIP_1) | instid1(VALU_DEP_1)
	v_add_f32_e32 v12, 0x40400000, v10
	v_add_f32_e32 v11, 2.0, v10
	v_cndmask_b32_e32 v11, 1.0, v11, vcc_lo
	v_cmp_lt_i32_e32 vcc_lo, 3, v8
	s_delay_alu instid0(VALU_DEP_4) | instskip(SKIP_1) | instid1(VALU_DEP_2)
	v_cndmask_b32_e32 v12, 1.0, v12, vcc_lo
	v_cmp_lt_i32_e32 vcc_lo, 4, v8
	v_dual_mul_f32 v11, v11, v12 :: v_dual_add_f32 v12, 0x40c00000, v10
	v_add_f32_e32 v13, 4.0, v10
	s_delay_alu instid0(VALU_DEP_1) | instskip(SKIP_1) | instid1(VALU_DEP_2)
	v_dual_add_f32 v14, 0x40a00000, v10 :: v_dual_cndmask_b32 v13, 1.0, v13
	v_cmp_lt_i32_e32 vcc_lo, 5, v8
	v_dual_mul_f32 v11, v13, v11 :: v_dual_cndmask_b32 v14, 1.0, v14
	v_cmp_lt_i32_e32 vcc_lo, 6, v8
	v_fmaak_f32 v13, s18, v10, 0x3af135b4
	s_delay_alu instid0(VALU_DEP_3) | instskip(NEXT) | instid1(VALU_DEP_1)
	v_dual_mul_f32 v11, v14, v11 :: v_dual_cndmask_b32 v8, 1.0, v12
	v_dual_mul_f32 v8, v8, v11 :: v_dual_fmaak_f32 v11, s19, v10, 0x3a4beed6
	s_delay_alu instid0(VALU_DEP_1) | instskip(SKIP_1) | instid1(VALU_DEP_1)
	v_cmp_gt_f32_e32 vcc_lo, 0x800000, v8
	v_cndmask_b32_e64 v12, 1.0, 0x4f800000, vcc_lo
	v_mul_f32_e32 v8, v8, v12
	v_fmaak_f32 v12, v10, v13, 0x3cda40e4
	s_delay_alu instid0(VALU_DEP_2) | instskip(SKIP_3) | instid1(VALU_DEP_2)
	v_log_f32_e32 v8, v8
	s_waitcnt_depctr 0xfff
	v_mul_f32_e32 v13, 0x3f317217, v8
	v_cmp_gt_f32_e64 s2, 0x7f800000, |v8|
	v_fma_f32 v14, 0x3f317217, v8, -v13
	s_delay_alu instid0(VALU_DEP_1) | instskip(NEXT) | instid1(VALU_DEP_1)
	v_fmac_f32_e32 v14, 0x3377d1cf, v8
	v_dual_add_f32 v13, v13, v14 :: v_dual_fmaak_f32 v12, v10, v12, 0x3e15dce6
	s_delay_alu instid0(VALU_DEP_1) | instskip(SKIP_1) | instid1(VALU_DEP_3)
	v_cndmask_b32_e64 v8, v8, v13, s2
	v_fmaak_f32 v11, v10, v11, 0x3c98bf54
	v_fmaak_f32 v12, v10, v12, 0x3ea6cc7a
	s_delay_alu instid0(VALU_DEP_2) | instskip(NEXT) | instid1(VALU_DEP_2)
	v_fmaak_f32 v11, v10, v11, 0x3e300f6e
	v_fmaak_f32 v12, v10, v12, 0x3e5c245a
	s_delay_alu instid0(VALU_DEP_2) | instskip(NEXT) | instid1(VALU_DEP_2)
	;; [unrolled: 3-line block ×3, first 2 shown]
	v_fmaak_f32 v11, v10, v11, 0x3fb22d3b
	v_mul_f32_e32 v12, v10, v12
	s_delay_alu instid0(VALU_DEP_2) | instskip(NEXT) | instid1(VALU_DEP_1)
	v_fma_f32 v11, v10, v11, 1.0
	v_rcp_f32_e32 v11, v11
	s_waitcnt_depctr 0xfff
	v_mul_f32_e32 v11, v12, v11
	v_cndmask_b32_e64 v12, 0, 0x41b17218, vcc_lo
	s_delay_alu instid0(VALU_DEP_1) | instskip(NEXT) | instid1(VALU_DEP_1)
	v_dual_fmac_f32 v11, 0.5, v10 :: v_dual_sub_f32 v8, v8, v12
	v_add_f32_e32 v8, v8, v11
.LBB11_14:                              ;   in Loop: Header=BB11_4 Depth=1
	s_or_b32 exec_lo, exec_lo, s5
.LBB11_15:                              ;   in Loop: Header=BB11_4 Depth=1
	s_and_not1_saveexec_b32 s4, s4
	s_cbranch_execz .LBB11_33
; %bb.16:                               ;   in Loop: Header=BB11_4 Depth=1
	s_mov_b32 s5, exec_lo
                                        ; implicit-def: $vgpr8
                                        ; implicit-def: $vgpr11
                                        ; implicit-def: $vgpr10
	v_cmpx_ge_f32_e64 0x3f666666, |v7|
	s_xor_b32 s5, exec_lo, s5
	s_cbranch_execz .LBB11_18
; %bb.17:                               ;   in Loop: Header=BB11_4 Depth=1
	v_cmp_gt_f32_e64 s2, 0x800000, |v7|
	v_sub_f32_e64 v12, 1.0, |v7|
	v_cmp_gt_f32_e64 vcc_lo, 0x3f3b4a23, |v7|
	s_delay_alu instid0(VALU_DEP_3) | instskip(SKIP_1) | instid1(VALU_DEP_2)
	v_cndmask_b32_e64 v8, 1.0, 0x4f800000, s2
	v_cndmask_b32_e64 v13, 0, 0x41b17218, s2
	v_mul_f32_e64 v8, |v7|, v8
	s_delay_alu instid0(VALU_DEP_1) | instskip(SKIP_3) | instid1(VALU_DEP_2)
	v_log_f32_e32 v8, v8
	s_waitcnt_depctr 0xfff
	v_mul_f32_e32 v10, 0x3f317217, v8
	v_cmp_gt_f32_e64 s2, 0x7f800000, |v8|
	v_fma_f32 v11, 0x3f317217, v8, -v10
	s_delay_alu instid0(VALU_DEP_1) | instskip(NEXT) | instid1(VALU_DEP_1)
	v_fmac_f32_e32 v11, 0x3377d1cf, v8
	v_add_f32_e32 v10, v10, v11
	v_add_f32_e64 v11, 0xbeec5b0c, |v7|
	s_delay_alu instid0(VALU_DEP_2) | instskip(NEXT) | instid1(VALU_DEP_2)
	v_cndmask_b32_e64 v8, v8, v10, s2
	v_cndmask_b32_e32 v10, v12, v11, vcc_lo
	v_cndmask_b32_e64 v11, 0, 1, vcc_lo
	v_cmp_gt_f32_e64 s2, 0x3e6d3309, |v7|
	s_delay_alu instid0(VALU_DEP_4) | instskip(NEXT) | instid1(VALU_DEP_2)
	v_sub_f32_e32 v8, v8, v13
	v_cndmask_b32_e64 v10, v10, |v7|, s2
	s_delay_alu instid0(VALU_DEP_4) | instskip(NEXT) | instid1(VALU_DEP_3)
	v_cndmask_b32_e64 v11, v11, 2, s2
	v_xor_b32_e32 v8, 0x80000000, v8
.LBB11_18:                              ;   in Loop: Header=BB11_4 Depth=1
	s_and_not1_saveexec_b32 s2, s5
; %bb.19:                               ;   in Loop: Header=BB11_4 Depth=1
	v_sub_f32_e64 v8, 2.0, |v7|
	v_add_f32_e64 v10, 0xbfbb16c3, |v7|
	v_cmp_gt_f32_e64 vcc_lo, 0x3fdda512, |v7|
	v_add_f32_e64 v11, |v7|, -1.0
	s_delay_alu instid0(VALU_DEP_3) | instskip(NEXT) | instid1(VALU_DEP_3)
	v_cndmask_b32_e32 v10, v8, v10, vcc_lo
	v_cndmask_b32_e64 v8, v8, 1.0, vcc_lo
	v_cmp_gt_f32_e64 vcc_lo, 0x3f9d70a4, |v7|
	s_delay_alu instid0(VALU_DEP_2) | instskip(NEXT) | instid1(VALU_DEP_4)
	v_cvt_i32_f32_e32 v8, v8
	v_cndmask_b32_e32 v10, v10, v11, vcc_lo
	s_delay_alu instid0(VALU_DEP_2)
	v_cndmask_b32_e64 v11, v8, 2, vcc_lo
	v_mov_b32_e32 v8, 0
; %bb.20:                               ;   in Loop: Header=BB11_4 Depth=1
	s_or_b32 exec_lo, exec_lo, s2
	s_delay_alu instid0(SALU_CYCLE_1) | instskip(NEXT) | instid1(VALU_DEP_2)
	s_mov_b32 s2, exec_lo
	v_cmpx_lt_i32_e32 0, v11
	s_xor_b32 s2, exec_lo, s2
	s_cbranch_execz .LBB11_28
; %bb.21:                               ;   in Loop: Header=BB11_4 Depth=1
	s_mov_b32 s5, exec_lo
	v_cmpx_lt_i32_e32 1, v11
	s_xor_b32 s5, exec_lo, s5
	s_cbranch_execz .LBB11_25
; %bb.22:                               ;   in Loop: Header=BB11_4 Depth=1
	s_mov_b32 s6, exec_lo
	v_cmpx_eq_u32_e32 2, v11
	s_cbranch_execz .LBB11_24
; %bb.23:                               ;   in Loop: Header=BB11_4 Depth=1
	v_fmaak_f32 v12, s20, v10, 0x3e6a7578
	s_delay_alu instid0(VALU_DEP_1) | instskip(NEXT) | instid1(VALU_DEP_1)
	v_fmaak_f32 v12, v10, v12, 0x3f7a4bb2
	v_fmaak_f32 v12, v10, v12, 0x3fba3ae7
	s_delay_alu instid0(VALU_DEP_1) | instskip(NEXT) | instid1(VALU_DEP_1)
	v_fmaak_f32 v12, v10, v12, 0x3f2200f4
	v_fmaak_f32 v12, v10, v12, 0xbd9e233f
	s_delay_alu instid0(VALU_DEP_1) | instskip(NEXT) | instid1(VALU_DEP_1)
	v_dual_fmaak_f32 v11, s21, v10, 0x3dd572af :: v_dual_mul_f32 v12, v10, v12
	v_fmaak_f32 v11, v10, v11, 0x3f44efdf
	s_delay_alu instid0(VALU_DEP_1) | instskip(NEXT) | instid1(VALU_DEP_1)
	v_fmaak_f32 v11, v10, v11, 0x4008392d
	v_fmaak_f32 v11, v10, v11, 0x401d2ebe
	s_delay_alu instid0(VALU_DEP_1) | instskip(NEXT) | instid1(VALU_DEP_1)
	v_fma_f32 v11, v10, v11, 1.0
	v_rcp_f32_e32 v11, v11
	s_waitcnt_depctr 0xfff
	v_mul_f32_e32 v11, v12, v11
	s_delay_alu instid0(VALU_DEP_1) | instskip(NEXT) | instid1(VALU_DEP_1)
	v_fmac_f32_e32 v11, -0.5, v10
	v_add_f32_e32 v8, v8, v11
.LBB11_24:                              ;   in Loop: Header=BB11_4 Depth=1
	s_or_b32 exec_lo, exec_lo, s6
                                        ; implicit-def: $vgpr10
.LBB11_25:                              ;   in Loop: Header=BB11_4 Depth=1
	s_and_not1_saveexec_b32 s5, s5
	s_cbranch_execz .LBB11_27
; %bb.26:                               ;   in Loop: Header=BB11_4 Depth=1
	v_mul_f32_e32 v11, v10, v10
	s_delay_alu instid0(VALU_DEP_1) | instskip(NEXT) | instid1(VALU_DEP_1)
	v_mul_f32_e32 v12, v10, v11
	v_fmaak_f32 v14, s24, v12, 0xba0d3085
	v_fmaak_f32 v13, s23, v12, 0x3a66f867
	;; [unrolled: 1-line block ×3, first 2 shown]
	s_delay_alu instid0(VALU_DEP_3) | instskip(NEXT) | instid1(VALU_DEP_3)
	v_fmaak_f32 v14, v12, v14, 0x3b141699
	v_fmaak_f32 v13, v12, v13, 0xbb7177fe
	s_delay_alu instid0(VALU_DEP_3) | instskip(NEXT) | instid1(VALU_DEP_3)
	v_fmaak_f32 v15, v12, v15, 0x3bc7e707
	v_fmaak_f32 v14, v12, v14, 0xbc28fcfe
	;; [unrolled: 3-line block ×4, first 2 shown]
	s_delay_alu instid0(VALU_DEP_1) | instskip(NEXT) | instid1(VALU_DEP_1)
	v_dual_fmac_f32 v13, v10, v14 :: v_dual_fmaak_f32 v10, v12, v15, 0x3ef7b95e
	v_fma_f32 v12, v12, -v13, 0xa2863e55
	s_delay_alu instid0(VALU_DEP_1) | instskip(NEXT) | instid1(VALU_DEP_1)
	v_fma_f32 v10, v11, v10, -v12
	v_add_f32_e32 v10, 0xbdf8cdce, v10
	s_delay_alu instid0(VALU_DEP_1)
	v_add_f32_e32 v8, v8, v10
.LBB11_27:                              ;   in Loop: Header=BB11_4 Depth=1
	s_or_b32 exec_lo, exec_lo, s5
                                        ; implicit-def: $vgpr11
                                        ; implicit-def: $vgpr10
.LBB11_28:                              ;   in Loop: Header=BB11_4 Depth=1
	s_and_not1_saveexec_b32 s2, s2
	s_cbranch_execz .LBB11_32
; %bb.29:                               ;   in Loop: Header=BB11_4 Depth=1
	s_mov_b32 s5, exec_lo
	v_cmpx_eq_u32_e32 0, v11
	s_cbranch_execz .LBB11_31
; %bb.30:                               ;   in Loop: Header=BB11_4 Depth=1
	v_mul_f32_e32 v11, v10, v10
	s_delay_alu instid0(VALU_DEP_1) | instskip(NEXT) | instid1(VALU_DEP_1)
	v_fmaak_f32 v13, s25, v11, 0x39679767
	v_fmaak_f32 v13, v11, v13, 0x3a9c54a1
	s_delay_alu instid0(VALU_DEP_1) | instskip(NEXT) | instid1(VALU_DEP_1)
	v_fmaak_f32 v13, v11, v13, 0x3bf2027e
	v_fmaak_f32 v13, v11, v13, 0x3d89f001
	s_delay_alu instid0(VALU_DEP_1) | instskip(SKIP_1) | instid1(VALU_DEP_1)
	v_fmaak_f32 v13, v11, v13, 0x3d9e233f
	v_fmaak_f32 v12, s28, v11, 0x38e28445
	;; [unrolled: 1-line block ×3, first 2 shown]
	s_delay_alu instid0(VALU_DEP_1) | instskip(NEXT) | instid1(VALU_DEP_1)
	v_fmaak_f32 v12, v11, v12, 0x3b3d6ec6
	v_fmaak_f32 v12, v11, v12, 0x3ca89915
	s_delay_alu instid0(VALU_DEP_1) | instskip(NEXT) | instid1(VALU_DEP_1)
	v_fmaak_f32 v12, v11, v12, 0x3ea51a66
	v_mul_f32_e32 v11, v11, v12
	s_delay_alu instid0(VALU_DEP_1) | instskip(NEXT) | instid1(VALU_DEP_1)
	v_fmac_f32_e32 v11, v10, v13
	v_fmac_f32_e32 v11, -0.5, v10
	s_delay_alu instid0(VALU_DEP_1)
	v_add_f32_e32 v8, v8, v11
.LBB11_31:                              ;   in Loop: Header=BB11_4 Depth=1
	s_or_b32 exec_lo, exec_lo, s5
.LBB11_32:                              ;   in Loop: Header=BB11_4 Depth=1
	s_delay_alu instid0(SALU_CYCLE_1)
	s_or_b32 exec_lo, exec_lo, s2
.LBB11_33:                              ;   in Loop: Header=BB11_4 Depth=1
	s_delay_alu instid0(SALU_CYCLE_1)
	s_or_b32 exec_lo, exec_lo, s4
.LBB11_34:                              ;   in Loop: Header=BB11_4 Depth=1
	s_and_not1_saveexec_b32 s2, s3
	s_cbranch_execz .LBB11_36
; %bb.35:                               ;   in Loop: Header=BB11_4 Depth=1
	v_cmp_gt_f32_e64 s3, 0x800000, |v7|
	v_fma_f32 v12, |v7|, s29, 0xbecd26ab
	s_delay_alu instid0(VALU_DEP_2) | instskip(NEXT) | instid1(VALU_DEP_1)
	v_cndmask_b32_e64 v8, 1.0, 0x4f800000, s3
	v_mul_f32_e64 v8, |v7|, v8
	s_delay_alu instid0(VALU_DEP_1) | instskip(SKIP_3) | instid1(VALU_DEP_2)
	v_log_f32_e32 v8, v8
	s_waitcnt_depctr 0xfff
	v_mul_f32_e32 v10, 0x3f317217, v8
	v_cmp_gt_f32_e64 vcc_lo, 0x7f800000, |v8|
	v_fma_f32 v11, 0x3f317217, v8, -v10
	s_delay_alu instid0(VALU_DEP_1) | instskip(NEXT) | instid1(VALU_DEP_1)
	v_fmac_f32_e32 v11, 0x3377d1cf, v8
	v_add_f32_e32 v10, v10, v11
	v_fma_f32 v11, |v7|, v12, 0x3f528d33
	s_delay_alu instid0(VALU_DEP_2) | instskip(SKIP_1) | instid1(VALU_DEP_3)
	v_cndmask_b32_e32 v8, v8, v10, vcc_lo
	v_cndmask_b32_e64 v10, 0, 0x41b17218, s3
	v_fma_f32 v11, |v7|, v11, 0xbf13c468
	s_delay_alu instid0(VALU_DEP_2) | instskip(NEXT) | instid1(VALU_DEP_1)
	v_sub_f32_e32 v8, v8, v10
	v_fma_f32 v8, |v7|, v11, -v8
.LBB11_36:                              ;   in Loop: Header=BB11_4 Depth=1
	s_or_b32 exec_lo, exec_lo, s2
	v_cmp_le_f32_e32 vcc_lo, 0, v7
	s_mov_b32 s3, exec_lo
	v_cmpx_nle_f32_e32 0, v7
	s_xor_b32 s4, exec_lo, s3
	s_cbranch_execz .LBB11_40
; %bb.37:                               ;   in Loop: Header=BB11_4 Depth=1
	v_cmp_gt_f32_e64 s2, 0x4b000000, |v7|
	v_cmp_lt_f32_e64 s3, 0x35000000, |v7|
	s_delay_alu instid0(VALU_DEP_1) | instskip(NEXT) | instid1(SALU_CYCLE_1)
	s_and_b32 s2, s2, s3
	s_and_saveexec_b32 s5, s2
	s_cbranch_execz .LBB11_39
; %bb.38:                               ;   in Loop: Header=BB11_4 Depth=1
	v_mul_f32_e64 v10, |v7|, 0.5
	s_delay_alu instid0(VALU_DEP_1) | instskip(SKIP_1) | instid1(VALU_DEP_2)
	v_floor_f32_e32 v11, v10
	v_cmp_neq_f32_e64 s2, 0x7f800000, v10
	v_sub_f32_e32 v11, v10, v11
	s_delay_alu instid0(VALU_DEP_1) | instskip(NEXT) | instid1(VALU_DEP_1)
	v_min_f32_e32 v11, 0x3f7fffff, v11
	v_add_f32_e32 v11, v11, v11
	s_delay_alu instid0(VALU_DEP_1) | instskip(SKIP_1) | instid1(VALU_DEP_1)
	v_cndmask_b32_e64 v10, 0, v11, s2
	v_cmp_gt_f32_e64 s2, |v7|, 1.0
	v_cndmask_b32_e64 v10, |v7|, v10, s2
	s_delay_alu instid0(VALU_DEP_1) | instskip(NEXT) | instid1(VALU_DEP_1)
	v_add_f32_e32 v11, v10, v10
	v_rndne_f32_e32 v11, v11
	s_delay_alu instid0(VALU_DEP_1) | instskip(SKIP_1) | instid1(VALU_DEP_2)
	v_fmac_f32_e32 v10, -0.5, v11
	v_cvt_i32_f32_e32 v11, v11
	v_mul_f32_e32 v12, v10, v10
	s_delay_alu instid0(VALU_DEP_1) | instskip(SKIP_1) | instid1(VALU_DEP_2)
	v_fmaak_f32 v13, s30, v12, 0xbf1f24be
	v_fmaak_f32 v14, s31, v12, 0x3e642e9d
	;; [unrolled: 1-line block ×3, first 2 shown]
	s_delay_alu instid0(VALU_DEP_2) | instskip(NEXT) | instid1(VALU_DEP_2)
	v_dual_fmaak_f32 v14, v12, v14, 0xbfaad1da :: v_dual_mul_f32 v15, v10, v12
	v_fmaak_f32 v13, v12, v13, 0xc0a55e0e
	s_delay_alu instid0(VALU_DEP_1) | instskip(NEXT) | instid1(VALU_DEP_1)
	v_dual_fmaak_f32 v14, v12, v14, 0x4081e0d3 :: v_dual_mul_f32 v13, v15, v13
	v_dual_fmaak_f32 v14, v12, v14, 0xc09de9e6 :: v_dual_and_b32 v15, 1, v11
	v_lshlrev_b32_e32 v11, 30, v11
	s_delay_alu instid0(VALU_DEP_3) | instskip(NEXT) | instid1(VALU_DEP_3)
	v_fmac_f32_e32 v13, 0x40490fdb, v10
	v_fma_f32 v10, v12, v14, 1.0
	s_delay_alu instid0(VALU_DEP_4) | instskip(NEXT) | instid1(VALU_DEP_4)
	v_cmp_eq_u32_e64 s2, 0, v15
	v_and_or_b32 v9, 0x80000000, v11, v9
	s_delay_alu instid0(VALU_DEP_2) | instskip(NEXT) | instid1(VALU_DEP_1)
	v_cndmask_b32_e64 v10, v10, v13, s2
	v_xor3_b32 v9, v9, v10, v7
	s_delay_alu instid0(VALU_DEP_1) | instskip(NEXT) | instid1(VALU_DEP_1)
	v_mul_f32_e32 v9, v7, v9
	v_frexp_mant_f32_e64 v10, |v9|
	v_frexp_exp_i32_f32_e32 v9, v9
	s_delay_alu instid0(VALU_DEP_2) | instskip(NEXT) | instid1(VALU_DEP_1)
	v_rcp_f32_e32 v10, v10
	v_sub_nc_u32_e32 v9, 2, v9
	s_waitcnt_depctr 0xfff
	v_mul_f32_e32 v10, 0x3f490fdb, v10
	s_delay_alu instid0(VALU_DEP_1) | instskip(NEXT) | instid1(VALU_DEP_1)
	v_ldexp_f32 v9, v10, v9
	v_cmp_gt_f32_e64 s2, 0x800000, v9
	s_delay_alu instid0(VALU_DEP_1) | instskip(NEXT) | instid1(VALU_DEP_1)
	v_cndmask_b32_e64 v10, 1.0, 0x4f800000, s2
	v_mul_f32_e32 v9, v9, v10
	s_delay_alu instid0(VALU_DEP_1) | instskip(SKIP_3) | instid1(VALU_DEP_2)
	v_log_f32_e32 v9, v9
	s_waitcnt_depctr 0xfff
	v_mul_f32_e32 v10, 0x3f317217, v9
	v_cmp_gt_f32_e64 s3, 0x7f800000, |v9|
	v_fma_f32 v11, 0x3f317217, v9, -v10
	s_delay_alu instid0(VALU_DEP_1) | instskip(NEXT) | instid1(VALU_DEP_1)
	v_fmac_f32_e32 v11, 0x3377d1cf, v9
	v_add_f32_e32 v10, v10, v11
	v_floor_f32_e32 v11, v7
	s_delay_alu instid0(VALU_DEP_2) | instskip(SKIP_1) | instid1(VALU_DEP_3)
	v_cndmask_b32_e64 v9, v9, v10, s3
	v_cndmask_b32_e64 v10, 0, 0x41b17218, s2
	v_sub_f32_e32 v11, v7, v11
	s_delay_alu instid0(VALU_DEP_1) | instskip(NEXT) | instid1(VALU_DEP_1)
	v_dual_sub_f32 v9, v9, v10 :: v_dual_min_f32 v10, 0x3f7fffff, v11
	v_sub_f32_e32 v8, v9, v8
	s_delay_alu instid0(VALU_DEP_2) | instskip(NEXT) | instid1(VALU_DEP_1)
	v_cmp_neq_f32_e64 s2, 0, v10
	v_cndmask_b32_e64 v8, 0x7f800000, v8, s2
.LBB11_39:                              ;   in Loop: Header=BB11_4 Depth=1
	s_or_b32 exec_lo, exec_lo, s5
.LBB11_40:                              ;   in Loop: Header=BB11_4 Depth=1
	s_and_not1_saveexec_b32 s4, s4
; %bb.41:                               ;   in Loop: Header=BB11_4 Depth=1
	v_cmp_eq_f32_e64 s2, 1.0, v7
	v_cmp_eq_f32_e64 s3, 2.0, v7
	s_delay_alu instid0(VALU_DEP_1) | instskip(NEXT) | instid1(SALU_CYCLE_1)
	s_or_b32 s2, s2, s3
	v_cndmask_b32_e64 v8, v8, 0, s2
; %bb.42:                               ;   in Loop: Header=BB11_4 Depth=1
	s_or_b32 exec_lo, exec_lo, s4
	v_and_b32_e32 v9, 0xffff0000, v3
                                        ; implicit-def: $vgpr10
	s_mov_b32 s3, exec_lo
	s_delay_alu instid0(VALU_DEP_1)
	v_and_b32_e32 v11, 0x7fffffff, v9
	v_cmpx_ngt_f32_e64 0x3c800000, |v9|
	s_xor_b32 s4, exec_lo, s3
	s_cbranch_execz .LBB11_72
; %bb.43:                               ;   in Loop: Header=BB11_4 Depth=1
                                        ; implicit-def: $vgpr10
	s_mov_b32 s3, exec_lo
	v_cmpx_nlt_f32_e64 |v9|, 2.0
	s_xor_b32 s5, exec_lo, s3
	s_cbranch_execz .LBB11_53
; %bb.44:                               ;   in Loop: Header=BB11_4 Depth=1
	s_mov_b32 s3, exec_lo
                                        ; implicit-def: $vgpr10
	v_cmpx_ngt_f32_e64 0x41000000, |v9|
	s_xor_b32 s3, exec_lo, s3
	s_cbranch_execz .LBB11_50
; %bb.45:                               ;   in Loop: Header=BB11_4 Depth=1
	s_mov_b32 s6, exec_lo
                                        ; implicit-def: $vgpr10
	v_cmpx_ngt_f32_e64 0x5c800000, |v9|
	s_xor_b32 s6, exec_lo, s6
	s_cbranch_execz .LBB11_47
; %bb.46:                               ;   in Loop: Header=BB11_4 Depth=1
	v_cmp_gt_f32_e64 s33, 0x800000, |v9|
	s_delay_alu instid0(VALU_DEP_1) | instskip(NEXT) | instid1(VALU_DEP_1)
	v_cndmask_b32_e64 v10, 1.0, 0x4f800000, s33
	v_mul_f32_e64 v10, |v9|, v10
	s_delay_alu instid0(VALU_DEP_1) | instskip(SKIP_3) | instid1(VALU_DEP_2)
	v_log_f32_e32 v10, v10
	s_waitcnt_depctr 0xfff
	v_mul_f32_e32 v12, 0x3f317217, v10
	v_cmp_gt_f32_e64 s2, 0x7f800000, |v10|
	v_fma_f32 v13, 0x3f317217, v10, -v12
	s_delay_alu instid0(VALU_DEP_1) | instskip(NEXT) | instid1(VALU_DEP_1)
	v_fmac_f32_e32 v13, 0x3377d1cf, v10
	v_add_f32_e32 v12, v12, v13
	s_delay_alu instid0(VALU_DEP_1) | instskip(SKIP_1) | instid1(VALU_DEP_1)
	v_cndmask_b32_e64 v10, v10, v12, s2
	v_cndmask_b32_e64 v12, 0, 0x41b17218, s33
	v_sub_f32_e32 v10, v10, v12
	s_delay_alu instid0(VALU_DEP_1)
	v_fma_f32 v10, |v9|, v10, -|v9|
.LBB11_47:                              ;   in Loop: Header=BB11_4 Depth=1
	s_and_not1_saveexec_b32 s6, s6
	s_cbranch_execz .LBB11_49
; %bb.48:                               ;   in Loop: Header=BB11_4 Depth=1
	v_cmp_gt_f32_e64 s33, 0x800000, |v9|
	v_rcp_f32_e64 v12, |v9|
	s_delay_alu instid0(VALU_DEP_1) | instskip(NEXT) | instid1(VALU_DEP_1)
	v_cndmask_b32_e64 v10, 1.0, 0x4f800000, s33
	v_mul_f32_e64 v10, |v9|, v10
	s_delay_alu instid0(VALU_DEP_1) | instskip(SKIP_3) | instid1(VALU_DEP_2)
	v_log_f32_e32 v10, v10
	s_waitcnt_depctr 0xfff
	v_dual_mul_f32 v13, v12, v12 :: v_dual_mul_f32 v14, 0x3f317217, v10
	v_cmp_gt_f32_e64 s2, 0x7f800000, |v10|
	v_fma_f32 v16, 0x3f317217, v10, -v14
	s_delay_alu instid0(VALU_DEP_1) | instskip(NEXT) | instid1(VALU_DEP_1)
	v_fmac_f32_e32 v16, 0x3377d1cf, v10
	v_dual_fmaak_f32 v15, s15, v13, 0x3a5b3dd2 :: v_dual_add_f32 v14, v14, v16
	s_delay_alu instid0(VALU_DEP_1) | instskip(SKIP_1) | instid1(VALU_DEP_1)
	v_cndmask_b32_e64 v10, v10, v14, s2
	v_cndmask_b32_e64 v14, 0, 0x41b17218, s33
	v_dual_fmaak_f32 v15, v13, v15, 0xba1c065c :: v_dual_sub_f32 v14, v10, v14
	s_delay_alu instid0(VALU_DEP_1) | instskip(NEXT) | instid1(VALU_DEP_1)
	v_fmaak_f32 v15, v13, v15, 0x3a500cfd
	v_fmaak_f32 v15, v13, v15, 0xbb360b61
	s_delay_alu instid0(VALU_DEP_1) | instskip(NEXT) | instid1(VALU_DEP_1)
	v_fmaak_f32 v13, v13, v15, 0x3daaaaab
	v_dual_fmaak_f32 v10, v12, v13, 0x3ed67f1d :: v_dual_add_f32 v13, -1.0, v14
	v_add_f32_e64 v12, |v9|, -0.5
	s_delay_alu instid0(VALU_DEP_1)
	v_fmac_f32_e32 v10, v12, v13
.LBB11_49:                              ;   in Loop: Header=BB11_4 Depth=1
	s_or_b32 exec_lo, exec_lo, s6
.LBB11_50:                              ;   in Loop: Header=BB11_4 Depth=1
	s_and_not1_saveexec_b32 s6, s3
	s_cbranch_execz .LBB11_52
; %bb.51:                               ;   in Loop: Header=BB11_4 Depth=1
	v_cvt_i32_f32_e32 v10, v11
	s_delay_alu instid0(VALU_DEP_1) | instskip(SKIP_1) | instid1(VALU_DEP_2)
	v_cvt_f32_i32_e32 v12, v10
	v_cmp_lt_i32_e64 s2, 2, v10
	v_sub_f32_e64 v12, |v9|, v12
	s_delay_alu instid0(VALU_DEP_1) | instskip(SKIP_2) | instid1(VALU_DEP_3)
	v_add_f32_e32 v13, 2.0, v12
	v_add_f32_e32 v14, 0x40400000, v12
	v_add_f32_e32 v15, 4.0, v12
	v_cndmask_b32_e64 v13, 1.0, v13, s2
	v_cmp_lt_i32_e64 s2, 3, v10
	s_delay_alu instid0(VALU_DEP_1) | instskip(SKIP_1) | instid1(VALU_DEP_2)
	v_cndmask_b32_e64 v14, 1.0, v14, s2
	v_cmp_lt_i32_e64 s2, 4, v10
	v_dual_add_f32 v16, 0x40a00000, v12 :: v_dual_mul_f32 v13, v13, v14
	s_delay_alu instid0(VALU_DEP_2) | instskip(SKIP_1) | instid1(VALU_DEP_2)
	v_cndmask_b32_e64 v15, 1.0, v15, s2
	v_cmp_lt_i32_e64 s2, 5, v10
	v_mul_f32_e32 v13, v15, v13
	s_delay_alu instid0(VALU_DEP_2) | instskip(SKIP_3) | instid1(VALU_DEP_4)
	v_cndmask_b32_e64 v16, 1.0, v16, s2
	v_add_f32_e32 v14, 0x40c00000, v12
	v_cmp_lt_i32_e64 s2, 6, v10
	v_fmaak_f32 v15, s18, v12, 0x3af135b4
	v_mul_f32_e32 v13, v16, v13
	s_delay_alu instid0(VALU_DEP_3) | instskip(NEXT) | instid1(VALU_DEP_1)
	v_cndmask_b32_e64 v10, 1.0, v14, s2
	v_mul_f32_e32 v10, v10, v13
	s_delay_alu instid0(VALU_DEP_1) | instskip(NEXT) | instid1(VALU_DEP_1)
	v_cmp_gt_f32_e64 s2, 0x800000, v10
	v_cndmask_b32_e64 v14, 1.0, 0x4f800000, s2
	s_delay_alu instid0(VALU_DEP_1) | instskip(SKIP_1) | instid1(VALU_DEP_2)
	v_mul_f32_e32 v10, v10, v14
	v_fmaak_f32 v14, v12, v15, 0x3cda40e4
	v_log_f32_e32 v10, v10
	s_waitcnt_depctr 0xfff
	v_mul_f32_e32 v15, 0x3f317217, v10
	v_cmp_gt_f32_e64 s3, 0x7f800000, |v10|
	s_delay_alu instid0(VALU_DEP_2) | instskip(NEXT) | instid1(VALU_DEP_1)
	v_fma_f32 v16, 0x3f317217, v10, -v15
	v_fmac_f32_e32 v16, 0x3377d1cf, v10
	s_delay_alu instid0(VALU_DEP_1) | instskip(NEXT) | instid1(VALU_DEP_1)
	v_dual_add_f32 v15, v15, v16 :: v_dual_fmaak_f32 v14, v12, v14, 0x3e15dce6
	v_cndmask_b32_e64 v10, v10, v15, s3
	s_delay_alu instid0(VALU_DEP_2) | instskip(NEXT) | instid1(VALU_DEP_1)
	v_fmaak_f32 v14, v12, v14, 0x3ea6cc7a
	v_fmaak_f32 v14, v12, v14, 0x3e5c245a
	s_delay_alu instid0(VALU_DEP_1) | instskip(NEXT) | instid1(VALU_DEP_1)
	v_fmaak_f32 v14, v12, v14, 0xbd9e233f
	v_dual_fmaak_f32 v13, s19, v12, 0x3a4beed6 :: v_dual_mul_f32 v14, v12, v14
	s_delay_alu instid0(VALU_DEP_1) | instskip(NEXT) | instid1(VALU_DEP_1)
	v_fmaak_f32 v13, v12, v13, 0x3c98bf54
	v_fmaak_f32 v13, v12, v13, 0x3e300f6e
	s_delay_alu instid0(VALU_DEP_1) | instskip(NEXT) | instid1(VALU_DEP_1)
	v_fmaak_f32 v13, v12, v13, 0x3f38d0c5
	v_fmaak_f32 v13, v12, v13, 0x3fb22d3b
	s_delay_alu instid0(VALU_DEP_1) | instskip(NEXT) | instid1(VALU_DEP_1)
	v_fma_f32 v13, v12, v13, 1.0
	v_rcp_f32_e32 v13, v13
	s_waitcnt_depctr 0xfff
	v_mul_f32_e32 v13, v14, v13
	v_cndmask_b32_e64 v14, 0, 0x41b17218, s2
	s_delay_alu instid0(VALU_DEP_1) | instskip(NEXT) | instid1(VALU_DEP_1)
	v_dual_fmac_f32 v13, 0.5, v12 :: v_dual_sub_f32 v10, v10, v14
	v_add_f32_e32 v10, v10, v13
.LBB11_52:                              ;   in Loop: Header=BB11_4 Depth=1
	s_or_b32 exec_lo, exec_lo, s6
.LBB11_53:                              ;   in Loop: Header=BB11_4 Depth=1
	s_and_not1_saveexec_b32 s5, s5
	s_cbranch_execz .LBB11_71
; %bb.54:                               ;   in Loop: Header=BB11_4 Depth=1
                                        ; implicit-def: $vgpr10
                                        ; implicit-def: $vgpr13
                                        ; implicit-def: $vgpr12
	s_mov_b32 s3, exec_lo
	v_cmpx_ge_f32_e64 0x3f666666, |v9|
	s_xor_b32 s6, exec_lo, s3
	s_cbranch_execz .LBB11_56
; %bb.55:                               ;   in Loop: Header=BB11_4 Depth=1
	v_cmp_gt_f32_e64 s3, 0x800000, |v9|
	v_sub_f32_e64 v14, 1.0, |v9|
	v_cmp_gt_f32_e64 s2, 0x3f3b4a23, |v9|
	s_delay_alu instid0(VALU_DEP_3) | instskip(SKIP_1) | instid1(VALU_DEP_2)
	v_cndmask_b32_e64 v10, 1.0, 0x4f800000, s3
	v_cndmask_b32_e64 v15, 0, 0x41b17218, s3
	v_mul_f32_e64 v10, |v9|, v10
	s_delay_alu instid0(VALU_DEP_1) | instskip(SKIP_3) | instid1(VALU_DEP_2)
	v_log_f32_e32 v10, v10
	s_waitcnt_depctr 0xfff
	v_mul_f32_e32 v12, 0x3f317217, v10
	v_cmp_gt_f32_e64 s3, 0x7f800000, |v10|
	v_fma_f32 v13, 0x3f317217, v10, -v12
	s_delay_alu instid0(VALU_DEP_1) | instskip(NEXT) | instid1(VALU_DEP_1)
	v_fmac_f32_e32 v13, 0x3377d1cf, v10
	v_add_f32_e32 v12, v12, v13
	v_add_f32_e64 v13, 0xbeec5b0c, |v9|
	s_delay_alu instid0(VALU_DEP_2) | instskip(NEXT) | instid1(VALU_DEP_2)
	v_cndmask_b32_e64 v10, v10, v12, s3
	v_cndmask_b32_e64 v12, v14, v13, s2
	;; [unrolled: 1-line block ×3, first 2 shown]
	v_cmp_gt_f32_e64 s2, 0x3e6d3309, |v9|
	s_delay_alu instid0(VALU_DEP_4) | instskip(NEXT) | instid1(VALU_DEP_2)
	v_sub_f32_e32 v10, v10, v15
	v_cndmask_b32_e64 v12, v12, |v9|, s2
	s_delay_alu instid0(VALU_DEP_4) | instskip(NEXT) | instid1(VALU_DEP_3)
	v_cndmask_b32_e64 v13, v13, 2, s2
	v_xor_b32_e32 v10, 0x80000000, v10
.LBB11_56:                              ;   in Loop: Header=BB11_4 Depth=1
	s_and_not1_saveexec_b32 s3, s6
; %bb.57:                               ;   in Loop: Header=BB11_4 Depth=1
	v_sub_f32_e64 v10, 2.0, |v9|
	v_add_f32_e64 v12, 0xbfbb16c3, |v9|
	v_cmp_gt_f32_e64 s2, 0x3fdda512, |v9|
	v_add_f32_e64 v13, |v9|, -1.0
	s_delay_alu instid0(VALU_DEP_2) | instskip(SKIP_2) | instid1(VALU_DEP_2)
	v_cndmask_b32_e64 v12, v10, v12, s2
	v_cndmask_b32_e64 v10, v10, 1.0, s2
	v_cmp_gt_f32_e64 s2, 0x3f9d70a4, |v9|
	v_cvt_i32_f32_e32 v10, v10
	s_delay_alu instid0(VALU_DEP_2) | instskip(NEXT) | instid1(VALU_DEP_2)
	v_cndmask_b32_e64 v12, v12, v13, s2
	v_cndmask_b32_e64 v13, v10, 2, s2
	v_mov_b32_e32 v10, 0
; %bb.58:                               ;   in Loop: Header=BB11_4 Depth=1
	s_or_b32 exec_lo, exec_lo, s3
	s_delay_alu instid0(SALU_CYCLE_1) | instskip(NEXT) | instid1(VALU_DEP_2)
	s_mov_b32 s3, exec_lo
	v_cmpx_lt_i32_e32 0, v13
	s_xor_b32 s3, exec_lo, s3
	s_cbranch_execz .LBB11_66
; %bb.59:                               ;   in Loop: Header=BB11_4 Depth=1
	s_mov_b32 s6, exec_lo
	v_cmpx_lt_i32_e32 1, v13
	s_xor_b32 s6, exec_lo, s6
	s_cbranch_execz .LBB11_63
; %bb.60:                               ;   in Loop: Header=BB11_4 Depth=1
	s_mov_b32 s33, exec_lo
	v_cmpx_eq_u32_e32 2, v13
	s_cbranch_execz .LBB11_62
; %bb.61:                               ;   in Loop: Header=BB11_4 Depth=1
	v_fmaak_f32 v14, s20, v12, 0x3e6a7578
	s_delay_alu instid0(VALU_DEP_1) | instskip(NEXT) | instid1(VALU_DEP_1)
	v_fmaak_f32 v14, v12, v14, 0x3f7a4bb2
	v_fmaak_f32 v14, v12, v14, 0x3fba3ae7
	s_delay_alu instid0(VALU_DEP_1) | instskip(NEXT) | instid1(VALU_DEP_1)
	v_fmaak_f32 v14, v12, v14, 0x3f2200f4
	v_fmaak_f32 v14, v12, v14, 0xbd9e233f
	s_delay_alu instid0(VALU_DEP_1) | instskip(NEXT) | instid1(VALU_DEP_1)
	v_dual_fmaak_f32 v13, s21, v12, 0x3dd572af :: v_dual_mul_f32 v14, v12, v14
	v_fmaak_f32 v13, v12, v13, 0x3f44efdf
	s_delay_alu instid0(VALU_DEP_1) | instskip(NEXT) | instid1(VALU_DEP_1)
	v_fmaak_f32 v13, v12, v13, 0x4008392d
	v_fmaak_f32 v13, v12, v13, 0x401d2ebe
	s_delay_alu instid0(VALU_DEP_1) | instskip(NEXT) | instid1(VALU_DEP_1)
	v_fma_f32 v13, v12, v13, 1.0
	v_rcp_f32_e32 v13, v13
	s_waitcnt_depctr 0xfff
	v_mul_f32_e32 v13, v14, v13
	s_delay_alu instid0(VALU_DEP_1) | instskip(NEXT) | instid1(VALU_DEP_1)
	v_fmac_f32_e32 v13, -0.5, v12
	v_add_f32_e32 v10, v10, v13
.LBB11_62:                              ;   in Loop: Header=BB11_4 Depth=1
	s_or_b32 exec_lo, exec_lo, s33
                                        ; implicit-def: $vgpr12
.LBB11_63:                              ;   in Loop: Header=BB11_4 Depth=1
	s_and_not1_saveexec_b32 s2, s6
	s_cbranch_execz .LBB11_65
; %bb.64:                               ;   in Loop: Header=BB11_4 Depth=1
	v_mul_f32_e32 v13, v12, v12
	s_delay_alu instid0(VALU_DEP_1) | instskip(NEXT) | instid1(VALU_DEP_1)
	v_mul_f32_e32 v14, v12, v13
	v_fmaak_f32 v16, s24, v14, 0xba0d3085
	v_fmaak_f32 v15, s23, v14, 0x3a66f867
	;; [unrolled: 1-line block ×3, first 2 shown]
	s_delay_alu instid0(VALU_DEP_3) | instskip(NEXT) | instid1(VALU_DEP_3)
	v_fmaak_f32 v16, v14, v16, 0x3b141699
	v_fmaak_f32 v15, v14, v15, 0xbb7177fe
	s_delay_alu instid0(VALU_DEP_3) | instskip(NEXT) | instid1(VALU_DEP_3)
	v_fmaak_f32 v17, v14, v17, 0x3bc7e707
	v_fmaak_f32 v16, v14, v16, 0xbc28fcfe
	;; [unrolled: 3-line block ×4, first 2 shown]
	s_delay_alu instid0(VALU_DEP_1) | instskip(NEXT) | instid1(VALU_DEP_1)
	v_dual_fmac_f32 v15, v12, v16 :: v_dual_fmaak_f32 v12, v14, v17, 0x3ef7b95e
	v_fma_f32 v14, v14, -v15, 0xa2863e55
	s_delay_alu instid0(VALU_DEP_1) | instskip(NEXT) | instid1(VALU_DEP_1)
	v_fma_f32 v12, v13, v12, -v14
	v_add_f32_e32 v12, 0xbdf8cdce, v12
	s_delay_alu instid0(VALU_DEP_1)
	v_add_f32_e32 v10, v10, v12
.LBB11_65:                              ;   in Loop: Header=BB11_4 Depth=1
	s_or_b32 exec_lo, exec_lo, s2
                                        ; implicit-def: $vgpr13
                                        ; implicit-def: $vgpr12
.LBB11_66:                              ;   in Loop: Header=BB11_4 Depth=1
	s_and_not1_saveexec_b32 s3, s3
	s_cbranch_execz .LBB11_70
; %bb.67:                               ;   in Loop: Header=BB11_4 Depth=1
	s_mov_b32 s6, exec_lo
	v_cmpx_eq_u32_e32 0, v13
	s_cbranch_execz .LBB11_69
; %bb.68:                               ;   in Loop: Header=BB11_4 Depth=1
	v_mul_f32_e32 v13, v12, v12
	s_delay_alu instid0(VALU_DEP_1) | instskip(NEXT) | instid1(VALU_DEP_1)
	v_fmaak_f32 v15, s25, v13, 0x39679767
	v_fmaak_f32 v15, v13, v15, 0x3a9c54a1
	s_delay_alu instid0(VALU_DEP_1) | instskip(NEXT) | instid1(VALU_DEP_1)
	v_fmaak_f32 v15, v13, v15, 0x3bf2027e
	v_fmaak_f32 v15, v13, v15, 0x3d89f001
	s_delay_alu instid0(VALU_DEP_1) | instskip(SKIP_1) | instid1(VALU_DEP_1)
	v_fmaak_f32 v15, v13, v15, 0x3d9e233f
	v_fmaak_f32 v14, s28, v13, 0x38e28445
	v_fmaak_f32 v14, v13, v14, 0x3a05b634
	s_delay_alu instid0(VALU_DEP_1) | instskip(NEXT) | instid1(VALU_DEP_1)
	v_fmaak_f32 v14, v13, v14, 0x3b3d6ec6
	v_fmaak_f32 v14, v13, v14, 0x3ca89915
	s_delay_alu instid0(VALU_DEP_1) | instskip(NEXT) | instid1(VALU_DEP_1)
	v_fmaak_f32 v14, v13, v14, 0x3ea51a66
	v_mul_f32_e32 v13, v13, v14
	s_delay_alu instid0(VALU_DEP_1) | instskip(NEXT) | instid1(VALU_DEP_1)
	v_fmac_f32_e32 v13, v12, v15
	v_fmac_f32_e32 v13, -0.5, v12
	s_delay_alu instid0(VALU_DEP_1)
	v_add_f32_e32 v10, v10, v13
.LBB11_69:                              ;   in Loop: Header=BB11_4 Depth=1
	s_or_b32 exec_lo, exec_lo, s6
.LBB11_70:                              ;   in Loop: Header=BB11_4 Depth=1
	s_delay_alu instid0(SALU_CYCLE_1)
	s_or_b32 exec_lo, exec_lo, s3
.LBB11_71:                              ;   in Loop: Header=BB11_4 Depth=1
	s_delay_alu instid0(SALU_CYCLE_1)
	s_or_b32 exec_lo, exec_lo, s5
.LBB11_72:                              ;   in Loop: Header=BB11_4 Depth=1
	s_and_not1_saveexec_b32 s3, s4
	s_cbranch_execz .LBB11_74
; %bb.73:                               ;   in Loop: Header=BB11_4 Depth=1
	v_cmp_gt_f32_e64 s4, 0x800000, |v9|
	v_fma_f32 v14, |v9|, s29, 0xbecd26ab
	s_delay_alu instid0(VALU_DEP_2) | instskip(NEXT) | instid1(VALU_DEP_1)
	v_cndmask_b32_e64 v10, 1.0, 0x4f800000, s4
	v_mul_f32_e64 v10, |v9|, v10
	s_delay_alu instid0(VALU_DEP_1) | instskip(SKIP_3) | instid1(VALU_DEP_2)
	v_log_f32_e32 v10, v10
	s_waitcnt_depctr 0xfff
	v_mul_f32_e32 v12, 0x3f317217, v10
	v_cmp_gt_f32_e64 s2, 0x7f800000, |v10|
	v_fma_f32 v13, 0x3f317217, v10, -v12
	s_delay_alu instid0(VALU_DEP_1) | instskip(NEXT) | instid1(VALU_DEP_1)
	v_fmac_f32_e32 v13, 0x3377d1cf, v10
	v_add_f32_e32 v12, v12, v13
	v_fma_f32 v13, |v9|, v14, 0x3f528d33
	s_delay_alu instid0(VALU_DEP_2) | instskip(SKIP_1) | instid1(VALU_DEP_3)
	v_cndmask_b32_e64 v10, v10, v12, s2
	v_cndmask_b32_e64 v12, 0, 0x41b17218, s4
	v_fma_f32 v13, |v9|, v13, 0xbf13c468
	s_delay_alu instid0(VALU_DEP_2) | instskip(NEXT) | instid1(VALU_DEP_1)
	v_sub_f32_e32 v10, v10, v12
	v_fma_f32 v10, |v9|, v13, -v10
.LBB11_74:                              ;   in Loop: Header=BB11_4 Depth=1
	s_or_b32 exec_lo, exec_lo, s3
	v_cmp_le_f32_e64 s2, 0, v9
	s_mov_b32 s4, exec_lo
	v_cmpx_nle_f32_e32 0, v9
	s_xor_b32 s5, exec_lo, s4
	s_cbranch_execz .LBB11_78
; %bb.75:                               ;   in Loop: Header=BB11_4 Depth=1
	v_cmp_gt_f32_e64 s3, 0x4b000000, |v9|
	v_cmp_lt_f32_e64 s4, 0x35000000, |v9|
	s_delay_alu instid0(VALU_DEP_1) | instskip(NEXT) | instid1(SALU_CYCLE_1)
	s_and_b32 s3, s3, s4
	s_and_saveexec_b32 s6, s3
	s_cbranch_execz .LBB11_77
; %bb.76:                               ;   in Loop: Header=BB11_4 Depth=1
	v_mul_f32_e64 v12, |v9|, 0.5
	s_delay_alu instid0(VALU_DEP_1) | instskip(SKIP_1) | instid1(VALU_DEP_2)
	v_floor_f32_e32 v13, v12
	v_cmp_neq_f32_e64 s3, 0x7f800000, v12
	v_sub_f32_e32 v13, v12, v13
	s_delay_alu instid0(VALU_DEP_1) | instskip(NEXT) | instid1(VALU_DEP_1)
	v_min_f32_e32 v13, 0x3f7fffff, v13
	v_add_f32_e32 v13, v13, v13
	s_delay_alu instid0(VALU_DEP_1) | instskip(SKIP_1) | instid1(VALU_DEP_1)
	v_cndmask_b32_e64 v12, 0, v13, s3
	v_cmp_gt_f32_e64 s3, |v9|, 1.0
	v_cndmask_b32_e64 v12, |v9|, v12, s3
	s_delay_alu instid0(VALU_DEP_1) | instskip(NEXT) | instid1(VALU_DEP_1)
	v_add_f32_e32 v13, v12, v12
	v_rndne_f32_e32 v13, v13
	s_delay_alu instid0(VALU_DEP_1) | instskip(SKIP_1) | instid1(VALU_DEP_2)
	v_fmac_f32_e32 v12, -0.5, v13
	v_cvt_i32_f32_e32 v13, v13
	v_mul_f32_e32 v14, v12, v12
	s_delay_alu instid0(VALU_DEP_1) | instskip(SKIP_1) | instid1(VALU_DEP_2)
	v_fmaak_f32 v15, s30, v14, 0xbf1f24be
	v_fmaak_f32 v16, s31, v14, 0x3e642e9d
	;; [unrolled: 1-line block ×3, first 2 shown]
	s_delay_alu instid0(VALU_DEP_2) | instskip(NEXT) | instid1(VALU_DEP_2)
	v_dual_fmaak_f32 v16, v14, v16, 0xbfaad1da :: v_dual_mul_f32 v17, v12, v14
	v_fmaak_f32 v15, v14, v15, 0xc0a55e0e
	s_delay_alu instid0(VALU_DEP_1) | instskip(NEXT) | instid1(VALU_DEP_1)
	v_dual_fmaak_f32 v16, v14, v16, 0x4081e0d3 :: v_dual_mul_f32 v15, v17, v15
	v_dual_fmaak_f32 v16, v14, v16, 0xc09de9e6 :: v_dual_and_b32 v17, 1, v13
	v_lshlrev_b32_e32 v13, 30, v13
	s_delay_alu instid0(VALU_DEP_3) | instskip(NEXT) | instid1(VALU_DEP_3)
	v_fmac_f32_e32 v15, 0x40490fdb, v12
	v_fma_f32 v12, v14, v16, 1.0
	s_delay_alu instid0(VALU_DEP_4) | instskip(NEXT) | instid1(VALU_DEP_4)
	v_cmp_eq_u32_e64 s3, 0, v17
	v_and_or_b32 v11, 0x80000000, v13, v11
	s_delay_alu instid0(VALU_DEP_2) | instskip(NEXT) | instid1(VALU_DEP_1)
	v_cndmask_b32_e64 v12, v12, v15, s3
	v_xor3_b32 v11, v11, v12, v9
	s_delay_alu instid0(VALU_DEP_1) | instskip(NEXT) | instid1(VALU_DEP_1)
	v_mul_f32_e32 v11, v9, v11
	v_frexp_mant_f32_e64 v12, |v11|
	v_frexp_exp_i32_f32_e32 v11, v11
	s_delay_alu instid0(VALU_DEP_2) | instskip(NEXT) | instid1(VALU_DEP_1)
	v_rcp_f32_e32 v12, v12
	v_sub_nc_u32_e32 v11, 2, v11
	s_waitcnt_depctr 0xfff
	v_mul_f32_e32 v12, 0x3f490fdb, v12
	s_delay_alu instid0(VALU_DEP_1) | instskip(NEXT) | instid1(VALU_DEP_1)
	v_ldexp_f32 v11, v12, v11
	v_cmp_gt_f32_e64 s3, 0x800000, v11
	s_delay_alu instid0(VALU_DEP_1) | instskip(NEXT) | instid1(VALU_DEP_1)
	v_cndmask_b32_e64 v12, 1.0, 0x4f800000, s3
	v_mul_f32_e32 v11, v11, v12
	s_delay_alu instid0(VALU_DEP_1) | instskip(SKIP_3) | instid1(VALU_DEP_2)
	v_log_f32_e32 v11, v11
	s_waitcnt_depctr 0xfff
	v_mul_f32_e32 v12, 0x3f317217, v11
	v_cmp_gt_f32_e64 s4, 0x7f800000, |v11|
	v_fma_f32 v13, 0x3f317217, v11, -v12
	s_delay_alu instid0(VALU_DEP_1) | instskip(NEXT) | instid1(VALU_DEP_1)
	v_fmac_f32_e32 v13, 0x3377d1cf, v11
	v_add_f32_e32 v12, v12, v13
	v_floor_f32_e32 v13, v9
	s_delay_alu instid0(VALU_DEP_2) | instskip(SKIP_1) | instid1(VALU_DEP_3)
	v_cndmask_b32_e64 v11, v11, v12, s4
	v_cndmask_b32_e64 v12, 0, 0x41b17218, s3
	v_sub_f32_e32 v13, v9, v13
	s_delay_alu instid0(VALU_DEP_1) | instskip(NEXT) | instid1(VALU_DEP_1)
	v_dual_sub_f32 v11, v11, v12 :: v_dual_min_f32 v12, 0x3f7fffff, v13
	v_sub_f32_e32 v10, v11, v10
	s_delay_alu instid0(VALU_DEP_2) | instskip(NEXT) | instid1(VALU_DEP_1)
	v_cmp_neq_f32_e64 s3, 0, v12
	v_cndmask_b32_e64 v10, 0x7f800000, v10, s3
.LBB11_77:                              ;   in Loop: Header=BB11_4 Depth=1
	s_or_b32 exec_lo, exec_lo, s6
.LBB11_78:                              ;   in Loop: Header=BB11_4 Depth=1
	s_and_not1_saveexec_b32 s5, s5
; %bb.79:                               ;   in Loop: Header=BB11_4 Depth=1
	v_cmp_eq_f32_e64 s3, 1.0, v9
	v_cmp_eq_f32_e64 s4, 2.0, v9
	s_delay_alu instid0(VALU_DEP_1) | instskip(NEXT) | instid1(SALU_CYCLE_1)
	s_or_b32 s3, s3, s4
	v_cndmask_b32_e64 v10, v10, 0, s3
; %bb.80:                               ;   in Loop: Header=BB11_4 Depth=1
	s_or_b32 exec_lo, exec_lo, s5
	v_alignbit_b32 v3, v4, v3, 16
                                        ; implicit-def: $vgpr11
	s_mov_b32 s4, exec_lo
	s_delay_alu instid0(VALU_DEP_1) | instskip(NEXT) | instid1(VALU_DEP_1)
	v_and_b32_e32 v3, 0xffff0000, v3
	v_and_b32_e32 v12, 0x7fffffff, v3
	v_cmpx_ngt_f32_e64 0x3c800000, |v3|
	s_xor_b32 s5, exec_lo, s4
	s_cbranch_execz .LBB11_110
; %bb.81:                               ;   in Loop: Header=BB11_4 Depth=1
                                        ; implicit-def: $vgpr11
	s_mov_b32 s4, exec_lo
	v_cmpx_nlt_f32_e64 |v3|, 2.0
	s_xor_b32 s6, exec_lo, s4
	s_cbranch_execz .LBB11_91
; %bb.82:                               ;   in Loop: Header=BB11_4 Depth=1
	s_mov_b32 s4, exec_lo
                                        ; implicit-def: $vgpr11
	v_cmpx_ngt_f32_e64 0x41000000, |v3|
	s_xor_b32 s4, exec_lo, s4
	s_cbranch_execz .LBB11_88
; %bb.83:                               ;   in Loop: Header=BB11_4 Depth=1
	s_mov_b32 s33, exec_lo
                                        ; implicit-def: $vgpr11
	v_cmpx_ngt_f32_e64 0x5c800000, |v3|
	s_xor_b32 s33, exec_lo, s33
	s_cbranch_execz .LBB11_85
; %bb.84:                               ;   in Loop: Header=BB11_4 Depth=1
	v_cmp_gt_f32_e64 s34, 0x800000, |v3|
	s_delay_alu instid0(VALU_DEP_1) | instskip(NEXT) | instid1(VALU_DEP_1)
	v_cndmask_b32_e64 v11, 1.0, 0x4f800000, s34
	v_mul_f32_e64 v11, |v3|, v11
	s_delay_alu instid0(VALU_DEP_1) | instskip(SKIP_3) | instid1(VALU_DEP_2)
	v_log_f32_e32 v11, v11
	s_waitcnt_depctr 0xfff
	v_mul_f32_e32 v13, 0x3f317217, v11
	v_cmp_gt_f32_e64 s3, 0x7f800000, |v11|
	v_fma_f32 v14, 0x3f317217, v11, -v13
	s_delay_alu instid0(VALU_DEP_1) | instskip(NEXT) | instid1(VALU_DEP_1)
	v_fmac_f32_e32 v14, 0x3377d1cf, v11
	v_add_f32_e32 v13, v13, v14
	s_delay_alu instid0(VALU_DEP_1) | instskip(SKIP_1) | instid1(VALU_DEP_1)
	v_cndmask_b32_e64 v11, v11, v13, s3
	v_cndmask_b32_e64 v13, 0, 0x41b17218, s34
	v_sub_f32_e32 v11, v11, v13
	s_delay_alu instid0(VALU_DEP_1)
	v_fma_f32 v11, |v3|, v11, -|v3|
.LBB11_85:                              ;   in Loop: Header=BB11_4 Depth=1
	s_and_not1_saveexec_b32 s33, s33
	s_cbranch_execz .LBB11_87
; %bb.86:                               ;   in Loop: Header=BB11_4 Depth=1
	v_cmp_gt_f32_e64 s34, 0x800000, |v3|
	v_rcp_f32_e64 v13, |v3|
	s_delay_alu instid0(VALU_DEP_1) | instskip(NEXT) | instid1(VALU_DEP_1)
	v_cndmask_b32_e64 v11, 1.0, 0x4f800000, s34
	v_mul_f32_e64 v11, |v3|, v11
	s_delay_alu instid0(VALU_DEP_1) | instskip(SKIP_3) | instid1(VALU_DEP_2)
	v_log_f32_e32 v11, v11
	s_waitcnt_depctr 0xfff
	v_dual_mul_f32 v14, v13, v13 :: v_dual_mul_f32 v15, 0x3f317217, v11
	v_cmp_gt_f32_e64 s3, 0x7f800000, |v11|
	v_fma_f32 v17, 0x3f317217, v11, -v15
	s_delay_alu instid0(VALU_DEP_1) | instskip(NEXT) | instid1(VALU_DEP_1)
	v_fmac_f32_e32 v17, 0x3377d1cf, v11
	v_dual_fmaak_f32 v16, s15, v14, 0x3a5b3dd2 :: v_dual_add_f32 v15, v15, v17
	s_delay_alu instid0(VALU_DEP_1) | instskip(SKIP_1) | instid1(VALU_DEP_1)
	v_cndmask_b32_e64 v11, v11, v15, s3
	v_cndmask_b32_e64 v15, 0, 0x41b17218, s34
	v_dual_fmaak_f32 v16, v14, v16, 0xba1c065c :: v_dual_sub_f32 v15, v11, v15
	s_delay_alu instid0(VALU_DEP_1) | instskip(NEXT) | instid1(VALU_DEP_1)
	v_fmaak_f32 v16, v14, v16, 0x3a500cfd
	v_fmaak_f32 v16, v14, v16, 0xbb360b61
	s_delay_alu instid0(VALU_DEP_1) | instskip(NEXT) | instid1(VALU_DEP_1)
	v_fmaak_f32 v14, v14, v16, 0x3daaaaab
	v_dual_fmaak_f32 v11, v13, v14, 0x3ed67f1d :: v_dual_add_f32 v14, -1.0, v15
	v_add_f32_e64 v13, |v3|, -0.5
	s_delay_alu instid0(VALU_DEP_1)
	v_fmac_f32_e32 v11, v13, v14
.LBB11_87:                              ;   in Loop: Header=BB11_4 Depth=1
	s_or_b32 exec_lo, exec_lo, s33
.LBB11_88:                              ;   in Loop: Header=BB11_4 Depth=1
	s_and_not1_saveexec_b32 s33, s4
	s_cbranch_execz .LBB11_90
; %bb.89:                               ;   in Loop: Header=BB11_4 Depth=1
	v_cvt_i32_f32_e32 v11, v12
	s_delay_alu instid0(VALU_DEP_1) | instskip(SKIP_1) | instid1(VALU_DEP_2)
	v_cvt_f32_i32_e32 v13, v11
	v_cmp_lt_i32_e64 s3, 2, v11
	v_sub_f32_e64 v13, |v3|, v13
	s_delay_alu instid0(VALU_DEP_1) | instskip(SKIP_2) | instid1(VALU_DEP_3)
	v_add_f32_e32 v14, 2.0, v13
	v_add_f32_e32 v15, 0x40400000, v13
	v_add_f32_e32 v16, 4.0, v13
	v_cndmask_b32_e64 v14, 1.0, v14, s3
	v_cmp_lt_i32_e64 s3, 3, v11
	s_delay_alu instid0(VALU_DEP_1) | instskip(SKIP_1) | instid1(VALU_DEP_2)
	v_cndmask_b32_e64 v15, 1.0, v15, s3
	v_cmp_lt_i32_e64 s3, 4, v11
	v_dual_add_f32 v17, 0x40a00000, v13 :: v_dual_mul_f32 v14, v14, v15
	s_delay_alu instid0(VALU_DEP_2) | instskip(SKIP_1) | instid1(VALU_DEP_2)
	v_cndmask_b32_e64 v16, 1.0, v16, s3
	v_cmp_lt_i32_e64 s3, 5, v11
	v_mul_f32_e32 v14, v16, v14
	s_delay_alu instid0(VALU_DEP_2) | instskip(SKIP_3) | instid1(VALU_DEP_4)
	v_cndmask_b32_e64 v17, 1.0, v17, s3
	v_add_f32_e32 v15, 0x40c00000, v13
	v_cmp_lt_i32_e64 s3, 6, v11
	v_fmaak_f32 v16, s18, v13, 0x3af135b4
	v_mul_f32_e32 v14, v17, v14
	s_delay_alu instid0(VALU_DEP_3) | instskip(NEXT) | instid1(VALU_DEP_1)
	v_cndmask_b32_e64 v11, 1.0, v15, s3
	v_mul_f32_e32 v11, v11, v14
	s_delay_alu instid0(VALU_DEP_1) | instskip(NEXT) | instid1(VALU_DEP_1)
	v_cmp_gt_f32_e64 s3, 0x800000, v11
	v_cndmask_b32_e64 v15, 1.0, 0x4f800000, s3
	s_delay_alu instid0(VALU_DEP_1) | instskip(SKIP_1) | instid1(VALU_DEP_2)
	v_mul_f32_e32 v11, v11, v15
	v_fmaak_f32 v15, v13, v16, 0x3cda40e4
	v_log_f32_e32 v11, v11
	s_waitcnt_depctr 0xfff
	v_mul_f32_e32 v16, 0x3f317217, v11
	v_cmp_gt_f32_e64 s4, 0x7f800000, |v11|
	s_delay_alu instid0(VALU_DEP_2) | instskip(NEXT) | instid1(VALU_DEP_1)
	v_fma_f32 v17, 0x3f317217, v11, -v16
	v_fmac_f32_e32 v17, 0x3377d1cf, v11
	s_delay_alu instid0(VALU_DEP_1) | instskip(NEXT) | instid1(VALU_DEP_1)
	v_dual_add_f32 v16, v16, v17 :: v_dual_fmaak_f32 v15, v13, v15, 0x3e15dce6
	v_cndmask_b32_e64 v11, v11, v16, s4
	s_delay_alu instid0(VALU_DEP_2) | instskip(NEXT) | instid1(VALU_DEP_1)
	v_fmaak_f32 v15, v13, v15, 0x3ea6cc7a
	v_fmaak_f32 v15, v13, v15, 0x3e5c245a
	s_delay_alu instid0(VALU_DEP_1) | instskip(NEXT) | instid1(VALU_DEP_1)
	v_fmaak_f32 v15, v13, v15, 0xbd9e233f
	v_dual_fmaak_f32 v14, s19, v13, 0x3a4beed6 :: v_dual_mul_f32 v15, v13, v15
	s_delay_alu instid0(VALU_DEP_1) | instskip(NEXT) | instid1(VALU_DEP_1)
	v_fmaak_f32 v14, v13, v14, 0x3c98bf54
	v_fmaak_f32 v14, v13, v14, 0x3e300f6e
	s_delay_alu instid0(VALU_DEP_1) | instskip(NEXT) | instid1(VALU_DEP_1)
	v_fmaak_f32 v14, v13, v14, 0x3f38d0c5
	v_fmaak_f32 v14, v13, v14, 0x3fb22d3b
	s_delay_alu instid0(VALU_DEP_1) | instskip(NEXT) | instid1(VALU_DEP_1)
	v_fma_f32 v14, v13, v14, 1.0
	v_rcp_f32_e32 v14, v14
	s_waitcnt_depctr 0xfff
	v_mul_f32_e32 v14, v15, v14
	v_cndmask_b32_e64 v15, 0, 0x41b17218, s3
	s_delay_alu instid0(VALU_DEP_1) | instskip(NEXT) | instid1(VALU_DEP_1)
	v_dual_fmac_f32 v14, 0.5, v13 :: v_dual_sub_f32 v11, v11, v15
	v_add_f32_e32 v11, v11, v14
.LBB11_90:                              ;   in Loop: Header=BB11_4 Depth=1
	s_or_b32 exec_lo, exec_lo, s33
.LBB11_91:                              ;   in Loop: Header=BB11_4 Depth=1
	s_and_not1_saveexec_b32 s6, s6
	s_cbranch_execz .LBB11_109
; %bb.92:                               ;   in Loop: Header=BB11_4 Depth=1
                                        ; implicit-def: $vgpr11
                                        ; implicit-def: $vgpr14
                                        ; implicit-def: $vgpr13
	s_mov_b32 s4, exec_lo
	v_cmpx_ge_f32_e64 0x3f666666, |v3|
	s_xor_b32 s33, exec_lo, s4
	s_cbranch_execz .LBB11_94
; %bb.93:                               ;   in Loop: Header=BB11_4 Depth=1
	v_cmp_gt_f32_e64 s4, 0x800000, |v3|
	v_sub_f32_e64 v15, 1.0, |v3|
	v_cmp_gt_f32_e64 s3, 0x3f3b4a23, |v3|
	s_delay_alu instid0(VALU_DEP_3) | instskip(SKIP_1) | instid1(VALU_DEP_2)
	v_cndmask_b32_e64 v11, 1.0, 0x4f800000, s4
	v_cndmask_b32_e64 v16, 0, 0x41b17218, s4
	v_mul_f32_e64 v11, |v3|, v11
	s_delay_alu instid0(VALU_DEP_1) | instskip(SKIP_3) | instid1(VALU_DEP_2)
	v_log_f32_e32 v11, v11
	s_waitcnt_depctr 0xfff
	v_mul_f32_e32 v13, 0x3f317217, v11
	v_cmp_gt_f32_e64 s4, 0x7f800000, |v11|
	v_fma_f32 v14, 0x3f317217, v11, -v13
	s_delay_alu instid0(VALU_DEP_1) | instskip(NEXT) | instid1(VALU_DEP_1)
	v_fmac_f32_e32 v14, 0x3377d1cf, v11
	v_add_f32_e32 v13, v13, v14
	v_add_f32_e64 v14, 0xbeec5b0c, |v3|
	s_delay_alu instid0(VALU_DEP_2) | instskip(NEXT) | instid1(VALU_DEP_2)
	v_cndmask_b32_e64 v11, v11, v13, s4
	v_cndmask_b32_e64 v13, v15, v14, s3
	;; [unrolled: 1-line block ×3, first 2 shown]
	v_cmp_gt_f32_e64 s3, 0x3e6d3309, |v3|
	s_delay_alu instid0(VALU_DEP_4) | instskip(NEXT) | instid1(VALU_DEP_2)
	v_sub_f32_e32 v11, v11, v16
	v_cndmask_b32_e64 v13, v13, |v3|, s3
	s_delay_alu instid0(VALU_DEP_4) | instskip(NEXT) | instid1(VALU_DEP_3)
	v_cndmask_b32_e64 v14, v14, 2, s3
	v_xor_b32_e32 v11, 0x80000000, v11
.LBB11_94:                              ;   in Loop: Header=BB11_4 Depth=1
	s_and_not1_saveexec_b32 s4, s33
; %bb.95:                               ;   in Loop: Header=BB11_4 Depth=1
	v_sub_f32_e64 v11, 2.0, |v3|
	v_add_f32_e64 v13, 0xbfbb16c3, |v3|
	v_cmp_gt_f32_e64 s3, 0x3fdda512, |v3|
	v_add_f32_e64 v14, |v3|, -1.0
	s_delay_alu instid0(VALU_DEP_2) | instskip(SKIP_2) | instid1(VALU_DEP_2)
	v_cndmask_b32_e64 v13, v11, v13, s3
	v_cndmask_b32_e64 v11, v11, 1.0, s3
	v_cmp_gt_f32_e64 s3, 0x3f9d70a4, |v3|
	v_cvt_i32_f32_e32 v11, v11
	s_delay_alu instid0(VALU_DEP_2) | instskip(NEXT) | instid1(VALU_DEP_2)
	v_cndmask_b32_e64 v13, v13, v14, s3
	v_cndmask_b32_e64 v14, v11, 2, s3
	v_mov_b32_e32 v11, 0
; %bb.96:                               ;   in Loop: Header=BB11_4 Depth=1
	s_or_b32 exec_lo, exec_lo, s4
	s_delay_alu instid0(SALU_CYCLE_1) | instskip(NEXT) | instid1(VALU_DEP_2)
	s_mov_b32 s4, exec_lo
	v_cmpx_lt_i32_e32 0, v14
	s_xor_b32 s4, exec_lo, s4
	s_cbranch_execz .LBB11_104
; %bb.97:                               ;   in Loop: Header=BB11_4 Depth=1
	s_mov_b32 s33, exec_lo
	v_cmpx_lt_i32_e32 1, v14
	s_xor_b32 s33, exec_lo, s33
	s_cbranch_execz .LBB11_101
; %bb.98:                               ;   in Loop: Header=BB11_4 Depth=1
	s_mov_b32 s34, exec_lo
	v_cmpx_eq_u32_e32 2, v14
	s_cbranch_execz .LBB11_100
; %bb.99:                               ;   in Loop: Header=BB11_4 Depth=1
	v_fmaak_f32 v15, s20, v13, 0x3e6a7578
	s_delay_alu instid0(VALU_DEP_1) | instskip(NEXT) | instid1(VALU_DEP_1)
	v_fmaak_f32 v15, v13, v15, 0x3f7a4bb2
	v_fmaak_f32 v15, v13, v15, 0x3fba3ae7
	s_delay_alu instid0(VALU_DEP_1) | instskip(NEXT) | instid1(VALU_DEP_1)
	v_fmaak_f32 v15, v13, v15, 0x3f2200f4
	v_fmaak_f32 v15, v13, v15, 0xbd9e233f
	s_delay_alu instid0(VALU_DEP_1) | instskip(NEXT) | instid1(VALU_DEP_1)
	v_dual_fmaak_f32 v14, s21, v13, 0x3dd572af :: v_dual_mul_f32 v15, v13, v15
	v_fmaak_f32 v14, v13, v14, 0x3f44efdf
	s_delay_alu instid0(VALU_DEP_1) | instskip(NEXT) | instid1(VALU_DEP_1)
	v_fmaak_f32 v14, v13, v14, 0x4008392d
	v_fmaak_f32 v14, v13, v14, 0x401d2ebe
	s_delay_alu instid0(VALU_DEP_1) | instskip(NEXT) | instid1(VALU_DEP_1)
	v_fma_f32 v14, v13, v14, 1.0
	v_rcp_f32_e32 v14, v14
	s_waitcnt_depctr 0xfff
	v_mul_f32_e32 v14, v15, v14
	s_delay_alu instid0(VALU_DEP_1) | instskip(NEXT) | instid1(VALU_DEP_1)
	v_fmac_f32_e32 v14, -0.5, v13
	v_add_f32_e32 v11, v11, v14
.LBB11_100:                             ;   in Loop: Header=BB11_4 Depth=1
	s_or_b32 exec_lo, exec_lo, s34
                                        ; implicit-def: $vgpr13
.LBB11_101:                             ;   in Loop: Header=BB11_4 Depth=1
	s_and_not1_saveexec_b32 s3, s33
	s_cbranch_execz .LBB11_103
; %bb.102:                              ;   in Loop: Header=BB11_4 Depth=1
	v_mul_f32_e32 v14, v13, v13
	s_delay_alu instid0(VALU_DEP_1) | instskip(NEXT) | instid1(VALU_DEP_1)
	v_mul_f32_e32 v15, v13, v14
	v_fmaak_f32 v17, s24, v15, 0xba0d3085
	v_fmaak_f32 v16, s23, v15, 0x3a66f867
	;; [unrolled: 1-line block ×3, first 2 shown]
	s_delay_alu instid0(VALU_DEP_3) | instskip(NEXT) | instid1(VALU_DEP_3)
	v_fmaak_f32 v17, v15, v17, 0x3b141699
	v_fmaak_f32 v16, v15, v16, 0xbb7177fe
	s_delay_alu instid0(VALU_DEP_3) | instskip(NEXT) | instid1(VALU_DEP_3)
	v_fmaak_f32 v18, v15, v18, 0x3bc7e707
	v_fmaak_f32 v17, v15, v17, 0xbc28fcfe
	;; [unrolled: 3-line block ×4, first 2 shown]
	s_delay_alu instid0(VALU_DEP_1) | instskip(NEXT) | instid1(VALU_DEP_1)
	v_dual_fmac_f32 v16, v13, v17 :: v_dual_fmaak_f32 v13, v15, v18, 0x3ef7b95e
	v_fma_f32 v15, v15, -v16, 0xa2863e55
	s_delay_alu instid0(VALU_DEP_1) | instskip(NEXT) | instid1(VALU_DEP_1)
	v_fma_f32 v13, v14, v13, -v15
	v_add_f32_e32 v13, 0xbdf8cdce, v13
	s_delay_alu instid0(VALU_DEP_1)
	v_add_f32_e32 v11, v11, v13
.LBB11_103:                             ;   in Loop: Header=BB11_4 Depth=1
	s_or_b32 exec_lo, exec_lo, s3
                                        ; implicit-def: $vgpr14
                                        ; implicit-def: $vgpr13
.LBB11_104:                             ;   in Loop: Header=BB11_4 Depth=1
	s_and_not1_saveexec_b32 s4, s4
	s_cbranch_execz .LBB11_108
; %bb.105:                              ;   in Loop: Header=BB11_4 Depth=1
	s_mov_b32 s33, exec_lo
	v_cmpx_eq_u32_e32 0, v14
	s_cbranch_execz .LBB11_107
; %bb.106:                              ;   in Loop: Header=BB11_4 Depth=1
	v_mul_f32_e32 v14, v13, v13
	s_delay_alu instid0(VALU_DEP_1) | instskip(NEXT) | instid1(VALU_DEP_1)
	v_fmaak_f32 v16, s25, v14, 0x39679767
	v_fmaak_f32 v16, v14, v16, 0x3a9c54a1
	s_delay_alu instid0(VALU_DEP_1) | instskip(NEXT) | instid1(VALU_DEP_1)
	v_fmaak_f32 v16, v14, v16, 0x3bf2027e
	v_fmaak_f32 v16, v14, v16, 0x3d89f001
	s_delay_alu instid0(VALU_DEP_1) | instskip(SKIP_1) | instid1(VALU_DEP_1)
	v_fmaak_f32 v16, v14, v16, 0x3d9e233f
	v_fmaak_f32 v15, s28, v14, 0x38e28445
	;; [unrolled: 1-line block ×3, first 2 shown]
	s_delay_alu instid0(VALU_DEP_1) | instskip(NEXT) | instid1(VALU_DEP_1)
	v_fmaak_f32 v15, v14, v15, 0x3b3d6ec6
	v_fmaak_f32 v15, v14, v15, 0x3ca89915
	s_delay_alu instid0(VALU_DEP_1) | instskip(NEXT) | instid1(VALU_DEP_1)
	v_fmaak_f32 v15, v14, v15, 0x3ea51a66
	v_mul_f32_e32 v14, v14, v15
	s_delay_alu instid0(VALU_DEP_1) | instskip(NEXT) | instid1(VALU_DEP_1)
	v_fmac_f32_e32 v14, v13, v16
	v_fmac_f32_e32 v14, -0.5, v13
	s_delay_alu instid0(VALU_DEP_1)
	v_add_f32_e32 v11, v11, v14
.LBB11_107:                             ;   in Loop: Header=BB11_4 Depth=1
	s_or_b32 exec_lo, exec_lo, s33
.LBB11_108:                             ;   in Loop: Header=BB11_4 Depth=1
	s_delay_alu instid0(SALU_CYCLE_1)
	s_or_b32 exec_lo, exec_lo, s4
.LBB11_109:                             ;   in Loop: Header=BB11_4 Depth=1
	s_delay_alu instid0(SALU_CYCLE_1)
	s_or_b32 exec_lo, exec_lo, s6
.LBB11_110:                             ;   in Loop: Header=BB11_4 Depth=1
	s_and_not1_saveexec_b32 s4, s5
	s_cbranch_execz .LBB11_112
; %bb.111:                              ;   in Loop: Header=BB11_4 Depth=1
	v_cmp_gt_f32_e64 s5, 0x800000, |v3|
	v_fma_f32 v15, |v3|, s29, 0xbecd26ab
	s_delay_alu instid0(VALU_DEP_2) | instskip(NEXT) | instid1(VALU_DEP_1)
	v_cndmask_b32_e64 v11, 1.0, 0x4f800000, s5
	v_mul_f32_e64 v11, |v3|, v11
	s_delay_alu instid0(VALU_DEP_1) | instskip(SKIP_3) | instid1(VALU_DEP_2)
	v_log_f32_e32 v11, v11
	s_waitcnt_depctr 0xfff
	v_mul_f32_e32 v13, 0x3f317217, v11
	v_cmp_gt_f32_e64 s3, 0x7f800000, |v11|
	v_fma_f32 v14, 0x3f317217, v11, -v13
	s_delay_alu instid0(VALU_DEP_1) | instskip(NEXT) | instid1(VALU_DEP_1)
	v_fmac_f32_e32 v14, 0x3377d1cf, v11
	v_add_f32_e32 v13, v13, v14
	v_fma_f32 v14, |v3|, v15, 0x3f528d33
	s_delay_alu instid0(VALU_DEP_2) | instskip(SKIP_1) | instid1(VALU_DEP_3)
	v_cndmask_b32_e64 v11, v11, v13, s3
	v_cndmask_b32_e64 v13, 0, 0x41b17218, s5
	v_fma_f32 v14, |v3|, v14, 0xbf13c468
	s_delay_alu instid0(VALU_DEP_2) | instskip(NEXT) | instid1(VALU_DEP_1)
	v_sub_f32_e32 v11, v11, v13
	v_fma_f32 v11, |v3|, v14, -v11
.LBB11_112:                             ;   in Loop: Header=BB11_4 Depth=1
	s_or_b32 exec_lo, exec_lo, s4
	v_cmp_le_f32_e64 s3, 0, v3
	s_mov_b32 s5, exec_lo
	v_cmpx_nle_f32_e32 0, v3
	s_xor_b32 s6, exec_lo, s5
	s_cbranch_execz .LBB11_116
; %bb.113:                              ;   in Loop: Header=BB11_4 Depth=1
	v_cmp_gt_f32_e64 s4, 0x4b000000, |v3|
	v_cmp_lt_f32_e64 s5, 0x35000000, |v3|
	s_delay_alu instid0(VALU_DEP_1) | instskip(NEXT) | instid1(SALU_CYCLE_1)
	s_and_b32 s4, s4, s5
	s_and_saveexec_b32 s33, s4
	s_cbranch_execz .LBB11_115
; %bb.114:                              ;   in Loop: Header=BB11_4 Depth=1
	v_mul_f32_e64 v13, |v3|, 0.5
	s_delay_alu instid0(VALU_DEP_1) | instskip(SKIP_1) | instid1(VALU_DEP_2)
	v_floor_f32_e32 v14, v13
	v_cmp_neq_f32_e64 s4, 0x7f800000, v13
	v_sub_f32_e32 v14, v13, v14
	s_delay_alu instid0(VALU_DEP_1) | instskip(NEXT) | instid1(VALU_DEP_1)
	v_min_f32_e32 v14, 0x3f7fffff, v14
	v_add_f32_e32 v14, v14, v14
	s_delay_alu instid0(VALU_DEP_1) | instskip(SKIP_1) | instid1(VALU_DEP_1)
	v_cndmask_b32_e64 v13, 0, v14, s4
	v_cmp_gt_f32_e64 s4, |v3|, 1.0
	v_cndmask_b32_e64 v13, |v3|, v13, s4
	s_delay_alu instid0(VALU_DEP_1) | instskip(NEXT) | instid1(VALU_DEP_1)
	v_add_f32_e32 v14, v13, v13
	v_rndne_f32_e32 v14, v14
	s_delay_alu instid0(VALU_DEP_1) | instskip(SKIP_1) | instid1(VALU_DEP_2)
	v_fmac_f32_e32 v13, -0.5, v14
	v_cvt_i32_f32_e32 v14, v14
	v_mul_f32_e32 v15, v13, v13
	s_delay_alu instid0(VALU_DEP_1) | instskip(SKIP_1) | instid1(VALU_DEP_2)
	v_fmaak_f32 v16, s30, v15, 0xbf1f24be
	v_fmaak_f32 v17, s31, v15, 0x3e642e9d
	;; [unrolled: 1-line block ×3, first 2 shown]
	s_delay_alu instid0(VALU_DEP_2) | instskip(NEXT) | instid1(VALU_DEP_2)
	v_dual_fmaak_f32 v17, v15, v17, 0xbfaad1da :: v_dual_mul_f32 v18, v13, v15
	v_fmaak_f32 v16, v15, v16, 0xc0a55e0e
	s_delay_alu instid0(VALU_DEP_1) | instskip(NEXT) | instid1(VALU_DEP_1)
	v_dual_fmaak_f32 v17, v15, v17, 0x4081e0d3 :: v_dual_mul_f32 v16, v18, v16
	v_dual_fmaak_f32 v17, v15, v17, 0xc09de9e6 :: v_dual_and_b32 v18, 1, v14
	v_lshlrev_b32_e32 v14, 30, v14
	s_delay_alu instid0(VALU_DEP_3) | instskip(NEXT) | instid1(VALU_DEP_3)
	v_fmac_f32_e32 v16, 0x40490fdb, v13
	v_fma_f32 v13, v15, v17, 1.0
	s_delay_alu instid0(VALU_DEP_4) | instskip(NEXT) | instid1(VALU_DEP_4)
	v_cmp_eq_u32_e64 s4, 0, v18
	v_and_or_b32 v12, 0x80000000, v14, v12
	s_delay_alu instid0(VALU_DEP_2) | instskip(NEXT) | instid1(VALU_DEP_1)
	v_cndmask_b32_e64 v13, v13, v16, s4
	v_xor3_b32 v12, v12, v13, v3
	s_delay_alu instid0(VALU_DEP_1) | instskip(NEXT) | instid1(VALU_DEP_1)
	v_mul_f32_e32 v12, v3, v12
	v_frexp_mant_f32_e64 v13, |v12|
	v_frexp_exp_i32_f32_e32 v12, v12
	s_delay_alu instid0(VALU_DEP_2) | instskip(NEXT) | instid1(VALU_DEP_1)
	v_rcp_f32_e32 v13, v13
	v_sub_nc_u32_e32 v12, 2, v12
	s_waitcnt_depctr 0xfff
	v_mul_f32_e32 v13, 0x3f490fdb, v13
	s_delay_alu instid0(VALU_DEP_1) | instskip(NEXT) | instid1(VALU_DEP_1)
	v_ldexp_f32 v12, v13, v12
	v_cmp_gt_f32_e64 s4, 0x800000, v12
	s_delay_alu instid0(VALU_DEP_1) | instskip(NEXT) | instid1(VALU_DEP_1)
	v_cndmask_b32_e64 v13, 1.0, 0x4f800000, s4
	v_mul_f32_e32 v12, v12, v13
	s_delay_alu instid0(VALU_DEP_1) | instskip(SKIP_3) | instid1(VALU_DEP_2)
	v_log_f32_e32 v12, v12
	s_waitcnt_depctr 0xfff
	v_mul_f32_e32 v13, 0x3f317217, v12
	v_cmp_gt_f32_e64 s5, 0x7f800000, |v12|
	v_fma_f32 v14, 0x3f317217, v12, -v13
	s_delay_alu instid0(VALU_DEP_1) | instskip(NEXT) | instid1(VALU_DEP_1)
	v_fmac_f32_e32 v14, 0x3377d1cf, v12
	v_add_f32_e32 v13, v13, v14
	v_floor_f32_e32 v14, v3
	s_delay_alu instid0(VALU_DEP_2) | instskip(SKIP_1) | instid1(VALU_DEP_3)
	v_cndmask_b32_e64 v12, v12, v13, s5
	v_cndmask_b32_e64 v13, 0, 0x41b17218, s4
	v_sub_f32_e32 v14, v3, v14
	s_delay_alu instid0(VALU_DEP_1) | instskip(NEXT) | instid1(VALU_DEP_1)
	v_dual_sub_f32 v12, v12, v13 :: v_dual_min_f32 v13, 0x3f7fffff, v14
	v_sub_f32_e32 v11, v12, v11
	s_delay_alu instid0(VALU_DEP_2) | instskip(NEXT) | instid1(VALU_DEP_1)
	v_cmp_neq_f32_e64 s4, 0, v13
	v_cndmask_b32_e64 v11, 0x7f800000, v11, s4
.LBB11_115:                             ;   in Loop: Header=BB11_4 Depth=1
	s_or_b32 exec_lo, exec_lo, s33
.LBB11_116:                             ;   in Loop: Header=BB11_4 Depth=1
	s_and_not1_saveexec_b32 s6, s6
; %bb.117:                              ;   in Loop: Header=BB11_4 Depth=1
	v_cmp_eq_f32_e64 s4, 1.0, v3
	v_cmp_eq_f32_e64 s5, 2.0, v3
	s_delay_alu instid0(VALU_DEP_1) | instskip(NEXT) | instid1(SALU_CYCLE_1)
	s_or_b32 s4, s4, s5
	v_cndmask_b32_e64 v11, v11, 0, s4
; %bb.118:                              ;   in Loop: Header=BB11_4 Depth=1
	s_or_b32 exec_lo, exec_lo, s6
	v_and_b32_e32 v4, 0xffff0000, v4
                                        ; implicit-def: $vgpr13
	s_mov_b32 s5, exec_lo
	s_delay_alu instid0(VALU_DEP_1)
	v_and_b32_e32 v12, 0x7fffffff, v4
	v_cmpx_ngt_f32_e64 0x3c800000, |v4|
	s_xor_b32 s6, exec_lo, s5
	s_cbranch_execz .LBB11_148
; %bb.119:                              ;   in Loop: Header=BB11_4 Depth=1
                                        ; implicit-def: $vgpr13
	s_mov_b32 s5, exec_lo
	v_cmpx_nlt_f32_e64 |v4|, 2.0
	s_xor_b32 s33, exec_lo, s5
	s_cbranch_execz .LBB11_129
; %bb.120:                              ;   in Loop: Header=BB11_4 Depth=1
	s_mov_b32 s5, exec_lo
                                        ; implicit-def: $vgpr13
	v_cmpx_ngt_f32_e64 0x41000000, |v4|
	s_xor_b32 s5, exec_lo, s5
	s_cbranch_execz .LBB11_126
; %bb.121:                              ;   in Loop: Header=BB11_4 Depth=1
	s_mov_b32 s34, exec_lo
                                        ; implicit-def: $vgpr13
	v_cmpx_ngt_f32_e64 0x5c800000, |v4|
	s_xor_b32 s34, exec_lo, s34
	s_cbranch_execz .LBB11_123
; %bb.122:                              ;   in Loop: Header=BB11_4 Depth=1
	v_cmp_gt_f32_e64 s35, 0x800000, |v4|
	s_delay_alu instid0(VALU_DEP_1) | instskip(NEXT) | instid1(VALU_DEP_1)
	v_cndmask_b32_e64 v13, 1.0, 0x4f800000, s35
	v_mul_f32_e64 v13, |v4|, v13
	s_delay_alu instid0(VALU_DEP_1) | instskip(SKIP_3) | instid1(VALU_DEP_2)
	v_log_f32_e32 v13, v13
	s_waitcnt_depctr 0xfff
	v_mul_f32_e32 v14, 0x3f317217, v13
	v_cmp_gt_f32_e64 s4, 0x7f800000, |v13|
	v_fma_f32 v15, 0x3f317217, v13, -v14
	s_delay_alu instid0(VALU_DEP_1) | instskip(NEXT) | instid1(VALU_DEP_1)
	v_fmac_f32_e32 v15, 0x3377d1cf, v13
	v_add_f32_e32 v14, v14, v15
	s_delay_alu instid0(VALU_DEP_1) | instskip(SKIP_1) | instid1(VALU_DEP_1)
	v_cndmask_b32_e64 v13, v13, v14, s4
	v_cndmask_b32_e64 v14, 0, 0x41b17218, s35
	v_sub_f32_e32 v13, v13, v14
	s_delay_alu instid0(VALU_DEP_1)
	v_fma_f32 v13, |v4|, v13, -|v4|
.LBB11_123:                             ;   in Loop: Header=BB11_4 Depth=1
	s_and_not1_saveexec_b32 s34, s34
	s_cbranch_execz .LBB11_125
; %bb.124:                              ;   in Loop: Header=BB11_4 Depth=1
	v_cmp_gt_f32_e64 s35, 0x800000, |v4|
	v_rcp_f32_e64 v14, |v4|
	s_delay_alu instid0(VALU_DEP_1) | instskip(NEXT) | instid1(VALU_DEP_1)
	v_cndmask_b32_e64 v13, 1.0, 0x4f800000, s35
	v_mul_f32_e64 v13, |v4|, v13
	s_delay_alu instid0(VALU_DEP_1) | instskip(SKIP_3) | instid1(VALU_DEP_2)
	v_log_f32_e32 v13, v13
	s_waitcnt_depctr 0xfff
	v_dual_mul_f32 v15, v14, v14 :: v_dual_mul_f32 v16, 0x3f317217, v13
	v_cmp_gt_f32_e64 s4, 0x7f800000, |v13|
	v_fma_f32 v18, 0x3f317217, v13, -v16
	s_delay_alu instid0(VALU_DEP_1) | instskip(NEXT) | instid1(VALU_DEP_1)
	v_fmac_f32_e32 v18, 0x3377d1cf, v13
	v_dual_fmaak_f32 v17, s15, v15, 0x3a5b3dd2 :: v_dual_add_f32 v16, v16, v18
	s_delay_alu instid0(VALU_DEP_1) | instskip(SKIP_1) | instid1(VALU_DEP_1)
	v_cndmask_b32_e64 v13, v13, v16, s4
	v_cndmask_b32_e64 v16, 0, 0x41b17218, s35
	v_dual_fmaak_f32 v17, v15, v17, 0xba1c065c :: v_dual_sub_f32 v16, v13, v16
	s_delay_alu instid0(VALU_DEP_1) | instskip(NEXT) | instid1(VALU_DEP_1)
	v_fmaak_f32 v17, v15, v17, 0x3a500cfd
	v_fmaak_f32 v17, v15, v17, 0xbb360b61
	s_delay_alu instid0(VALU_DEP_1) | instskip(NEXT) | instid1(VALU_DEP_1)
	v_fmaak_f32 v15, v15, v17, 0x3daaaaab
	v_fmaak_f32 v13, v14, v15, 0x3ed67f1d
	v_add_f32_e64 v14, |v4|, -0.5
	v_add_f32_e32 v15, -1.0, v16
	s_delay_alu instid0(VALU_DEP_1)
	v_fmac_f32_e32 v13, v14, v15
.LBB11_125:                             ;   in Loop: Header=BB11_4 Depth=1
	s_or_b32 exec_lo, exec_lo, s34
.LBB11_126:                             ;   in Loop: Header=BB11_4 Depth=1
	s_and_not1_saveexec_b32 s34, s5
	s_cbranch_execz .LBB11_128
; %bb.127:                              ;   in Loop: Header=BB11_4 Depth=1
	v_cvt_i32_f32_e32 v13, v12
	s_delay_alu instid0(VALU_DEP_1) | instskip(SKIP_1) | instid1(VALU_DEP_2)
	v_cvt_f32_i32_e32 v14, v13
	v_cmp_lt_i32_e64 s4, 2, v13
	v_sub_f32_e64 v14, |v4|, v14
	s_delay_alu instid0(VALU_DEP_1) | instskip(SKIP_2) | instid1(VALU_DEP_3)
	v_add_f32_e32 v15, 2.0, v14
	v_add_f32_e32 v16, 0x40400000, v14
	v_add_f32_e32 v17, 4.0, v14
	v_cndmask_b32_e64 v15, 1.0, v15, s4
	v_cmp_lt_i32_e64 s4, 3, v13
	s_delay_alu instid0(VALU_DEP_1) | instskip(SKIP_1) | instid1(VALU_DEP_2)
	v_cndmask_b32_e64 v16, 1.0, v16, s4
	v_cmp_lt_i32_e64 s4, 4, v13
	v_dual_add_f32 v18, 0x40a00000, v14 :: v_dual_mul_f32 v15, v15, v16
	s_delay_alu instid0(VALU_DEP_2) | instskip(SKIP_1) | instid1(VALU_DEP_2)
	v_cndmask_b32_e64 v17, 1.0, v17, s4
	v_cmp_lt_i32_e64 s4, 5, v13
	v_mul_f32_e32 v15, v17, v15
	s_delay_alu instid0(VALU_DEP_2) | instskip(SKIP_3) | instid1(VALU_DEP_4)
	v_cndmask_b32_e64 v18, 1.0, v18, s4
	v_add_f32_e32 v16, 0x40c00000, v14
	v_cmp_lt_i32_e64 s4, 6, v13
	v_fmaak_f32 v17, s18, v14, 0x3af135b4
	v_mul_f32_e32 v15, v18, v15
	s_delay_alu instid0(VALU_DEP_3) | instskip(NEXT) | instid1(VALU_DEP_1)
	v_cndmask_b32_e64 v13, 1.0, v16, s4
	v_mul_f32_e32 v13, v13, v15
	s_delay_alu instid0(VALU_DEP_1) | instskip(NEXT) | instid1(VALU_DEP_1)
	v_cmp_gt_f32_e64 s4, 0x800000, v13
	v_cndmask_b32_e64 v16, 1.0, 0x4f800000, s4
	s_delay_alu instid0(VALU_DEP_1) | instskip(NEXT) | instid1(VALU_DEP_1)
	v_dual_mul_f32 v13, v13, v16 :: v_dual_fmaak_f32 v16, v14, v17, 0x3cda40e4
	v_log_f32_e32 v13, v13
	s_delay_alu instid0(VALU_DEP_1) | instskip(NEXT) | instid1(VALU_DEP_1)
	v_fmaak_f32 v16, v14, v16, 0x3e15dce6
	v_fmaak_f32 v16, v14, v16, 0x3ea6cc7a
	s_waitcnt_depctr 0xfff
	v_mul_f32_e32 v17, 0x3f317217, v13
	v_cmp_gt_f32_e64 s5, 0x7f800000, |v13|
	s_delay_alu instid0(VALU_DEP_2) | instskip(NEXT) | instid1(VALU_DEP_1)
	v_fma_f32 v18, 0x3f317217, v13, -v17
	v_fmac_f32_e32 v18, 0x3377d1cf, v13
	s_delay_alu instid0(VALU_DEP_1) | instskip(NEXT) | instid1(VALU_DEP_1)
	v_dual_fmaak_f32 v16, v14, v16, 0x3e5c245a :: v_dual_add_f32 v17, v17, v18
	v_fmaak_f32 v16, v14, v16, 0xbd9e233f
	v_fmaak_f32 v15, s19, v14, 0x3a4beed6
	s_delay_alu instid0(VALU_DEP_3) | instskip(NEXT) | instid1(VALU_DEP_3)
	v_cndmask_b32_e64 v13, v13, v17, s5
	v_mul_f32_e32 v16, v14, v16
	s_delay_alu instid0(VALU_DEP_3) | instskip(NEXT) | instid1(VALU_DEP_1)
	v_fmaak_f32 v15, v14, v15, 0x3c98bf54
	v_fmaak_f32 v15, v14, v15, 0x3e300f6e
	s_delay_alu instid0(VALU_DEP_1) | instskip(NEXT) | instid1(VALU_DEP_1)
	v_fmaak_f32 v15, v14, v15, 0x3f38d0c5
	v_fmaak_f32 v15, v14, v15, 0x3fb22d3b
	s_delay_alu instid0(VALU_DEP_1) | instskip(NEXT) | instid1(VALU_DEP_1)
	v_fma_f32 v15, v14, v15, 1.0
	v_rcp_f32_e32 v15, v15
	s_waitcnt_depctr 0xfff
	v_mul_f32_e32 v15, v16, v15
	v_cndmask_b32_e64 v16, 0, 0x41b17218, s4
	s_delay_alu instid0(VALU_DEP_2) | instskip(NEXT) | instid1(VALU_DEP_2)
	v_fmac_f32_e32 v15, 0.5, v14
	v_sub_f32_e32 v13, v13, v16
	s_delay_alu instid0(VALU_DEP_1)
	v_add_f32_e32 v13, v13, v15
.LBB11_128:                             ;   in Loop: Header=BB11_4 Depth=1
	s_or_b32 exec_lo, exec_lo, s34
.LBB11_129:                             ;   in Loop: Header=BB11_4 Depth=1
	s_and_not1_saveexec_b32 s33, s33
	s_cbranch_execz .LBB11_147
; %bb.130:                              ;   in Loop: Header=BB11_4 Depth=1
                                        ; implicit-def: $vgpr13
                                        ; implicit-def: $vgpr15
                                        ; implicit-def: $vgpr14
	s_mov_b32 s5, exec_lo
	v_cmpx_ge_f32_e64 0x3f666666, |v4|
	s_xor_b32 s34, exec_lo, s5
	s_cbranch_execz .LBB11_132
; %bb.131:                              ;   in Loop: Header=BB11_4 Depth=1
	v_cmp_gt_f32_e64 s5, 0x800000, |v4|
	v_sub_f32_e64 v16, 1.0, |v4|
	v_cmp_gt_f32_e64 s4, 0x3f3b4a23, |v4|
	s_delay_alu instid0(VALU_DEP_3) | instskip(SKIP_1) | instid1(VALU_DEP_2)
	v_cndmask_b32_e64 v13, 1.0, 0x4f800000, s5
	v_cndmask_b32_e64 v17, 0, 0x41b17218, s5
	v_mul_f32_e64 v13, |v4|, v13
	s_delay_alu instid0(VALU_DEP_1) | instskip(SKIP_3) | instid1(VALU_DEP_2)
	v_log_f32_e32 v13, v13
	s_waitcnt_depctr 0xfff
	v_mul_f32_e32 v14, 0x3f317217, v13
	v_cmp_gt_f32_e64 s5, 0x7f800000, |v13|
	v_fma_f32 v15, 0x3f317217, v13, -v14
	s_delay_alu instid0(VALU_DEP_1) | instskip(NEXT) | instid1(VALU_DEP_1)
	v_fmac_f32_e32 v15, 0x3377d1cf, v13
	v_add_f32_e32 v14, v14, v15
	v_add_f32_e64 v15, 0xbeec5b0c, |v4|
	s_delay_alu instid0(VALU_DEP_2) | instskip(NEXT) | instid1(VALU_DEP_2)
	v_cndmask_b32_e64 v13, v13, v14, s5
	v_cndmask_b32_e64 v14, v16, v15, s4
	;; [unrolled: 1-line block ×3, first 2 shown]
	v_cmp_gt_f32_e64 s4, 0x3e6d3309, |v4|
	s_delay_alu instid0(VALU_DEP_4) | instskip(NEXT) | instid1(VALU_DEP_2)
	v_sub_f32_e32 v13, v13, v17
	v_cndmask_b32_e64 v14, v14, |v4|, s4
	s_delay_alu instid0(VALU_DEP_4) | instskip(NEXT) | instid1(VALU_DEP_3)
	v_cndmask_b32_e64 v15, v15, 2, s4
	v_xor_b32_e32 v13, 0x80000000, v13
.LBB11_132:                             ;   in Loop: Header=BB11_4 Depth=1
	s_and_not1_saveexec_b32 s5, s34
; %bb.133:                              ;   in Loop: Header=BB11_4 Depth=1
	v_sub_f32_e64 v13, 2.0, |v4|
	v_add_f32_e64 v14, 0xbfbb16c3, |v4|
	v_cmp_gt_f32_e64 s4, 0x3fdda512, |v4|
	v_add_f32_e64 v15, |v4|, -1.0
	s_delay_alu instid0(VALU_DEP_2) | instskip(SKIP_2) | instid1(VALU_DEP_2)
	v_cndmask_b32_e64 v14, v13, v14, s4
	v_cndmask_b32_e64 v13, v13, 1.0, s4
	v_cmp_gt_f32_e64 s4, 0x3f9d70a4, |v4|
	v_cvt_i32_f32_e32 v13, v13
	s_delay_alu instid0(VALU_DEP_2) | instskip(NEXT) | instid1(VALU_DEP_2)
	v_cndmask_b32_e64 v14, v14, v15, s4
	v_cndmask_b32_e64 v15, v13, 2, s4
	v_mov_b32_e32 v13, 0
; %bb.134:                              ;   in Loop: Header=BB11_4 Depth=1
	s_or_b32 exec_lo, exec_lo, s5
	s_delay_alu instid0(SALU_CYCLE_1) | instskip(NEXT) | instid1(VALU_DEP_2)
	s_mov_b32 s5, exec_lo
	v_cmpx_lt_i32_e32 0, v15
	s_xor_b32 s5, exec_lo, s5
	s_cbranch_execz .LBB11_142
; %bb.135:                              ;   in Loop: Header=BB11_4 Depth=1
	s_mov_b32 s34, exec_lo
	v_cmpx_lt_i32_e32 1, v15
	s_xor_b32 s34, exec_lo, s34
	s_cbranch_execz .LBB11_139
; %bb.136:                              ;   in Loop: Header=BB11_4 Depth=1
	s_mov_b32 s35, exec_lo
	v_cmpx_eq_u32_e32 2, v15
	s_cbranch_execz .LBB11_138
; %bb.137:                              ;   in Loop: Header=BB11_4 Depth=1
	v_fmaak_f32 v16, s20, v14, 0x3e6a7578
	s_delay_alu instid0(VALU_DEP_1) | instskip(NEXT) | instid1(VALU_DEP_1)
	v_fmaak_f32 v16, v14, v16, 0x3f7a4bb2
	v_fmaak_f32 v16, v14, v16, 0x3fba3ae7
	s_delay_alu instid0(VALU_DEP_1) | instskip(NEXT) | instid1(VALU_DEP_1)
	v_fmaak_f32 v16, v14, v16, 0x3f2200f4
	v_fmaak_f32 v16, v14, v16, 0xbd9e233f
	s_delay_alu instid0(VALU_DEP_1) | instskip(NEXT) | instid1(VALU_DEP_1)
	v_dual_fmaak_f32 v15, s21, v14, 0x3dd572af :: v_dual_mul_f32 v16, v14, v16
	v_fmaak_f32 v15, v14, v15, 0x3f44efdf
	s_delay_alu instid0(VALU_DEP_1) | instskip(NEXT) | instid1(VALU_DEP_1)
	v_fmaak_f32 v15, v14, v15, 0x4008392d
	v_fmaak_f32 v15, v14, v15, 0x401d2ebe
	s_delay_alu instid0(VALU_DEP_1) | instskip(NEXT) | instid1(VALU_DEP_1)
	v_fma_f32 v15, v14, v15, 1.0
	v_rcp_f32_e32 v15, v15
	s_waitcnt_depctr 0xfff
	v_mul_f32_e32 v15, v16, v15
	s_delay_alu instid0(VALU_DEP_1) | instskip(NEXT) | instid1(VALU_DEP_1)
	v_fmac_f32_e32 v15, -0.5, v14
	v_add_f32_e32 v13, v13, v15
.LBB11_138:                             ;   in Loop: Header=BB11_4 Depth=1
	s_or_b32 exec_lo, exec_lo, s35
                                        ; implicit-def: $vgpr14
.LBB11_139:                             ;   in Loop: Header=BB11_4 Depth=1
	s_and_not1_saveexec_b32 s4, s34
	s_cbranch_execz .LBB11_141
; %bb.140:                              ;   in Loop: Header=BB11_4 Depth=1
	v_mul_f32_e32 v15, v14, v14
	s_delay_alu instid0(VALU_DEP_1) | instskip(NEXT) | instid1(VALU_DEP_1)
	v_mul_f32_e32 v16, v14, v15
	v_fmaak_f32 v17, s23, v16, 0x3a66f867
	v_fmaak_f32 v18, s24, v16, 0xba0d3085
	;; [unrolled: 1-line block ×3, first 2 shown]
	s_delay_alu instid0(VALU_DEP_3) | instskip(NEXT) | instid1(VALU_DEP_3)
	v_fmaak_f32 v17, v16, v17, 0xbb7177fe
	v_fmaak_f32 v18, v16, v18, 0x3b141699
	s_delay_alu instid0(VALU_DEP_3) | instskip(NEXT) | instid1(VALU_DEP_3)
	v_fmaak_f32 v19, v16, v19, 0x3bc7e707
	v_fmaak_f32 v17, v16, v17, 0x3c93373d
	;; [unrolled: 3-line block ×4, first 2 shown]
	s_delay_alu instid0(VALU_DEP_1) | instskip(NEXT) | instid1(VALU_DEP_1)
	v_dual_fmac_f32 v17, v14, v18 :: v_dual_fmaak_f32 v14, v16, v19, 0x3ef7b95e
	v_fma_f32 v16, v16, -v17, 0xa2863e55
	s_delay_alu instid0(VALU_DEP_1) | instskip(NEXT) | instid1(VALU_DEP_1)
	v_fma_f32 v14, v15, v14, -v16
	v_add_f32_e32 v14, 0xbdf8cdce, v14
	s_delay_alu instid0(VALU_DEP_1)
	v_add_f32_e32 v13, v13, v14
.LBB11_141:                             ;   in Loop: Header=BB11_4 Depth=1
	s_or_b32 exec_lo, exec_lo, s4
                                        ; implicit-def: $vgpr15
                                        ; implicit-def: $vgpr14
.LBB11_142:                             ;   in Loop: Header=BB11_4 Depth=1
	s_and_not1_saveexec_b32 s5, s5
	s_cbranch_execz .LBB11_146
; %bb.143:                              ;   in Loop: Header=BB11_4 Depth=1
	s_mov_b32 s34, exec_lo
	v_cmpx_eq_u32_e32 0, v15
	s_cbranch_execz .LBB11_145
; %bb.144:                              ;   in Loop: Header=BB11_4 Depth=1
	v_mul_f32_e32 v15, v14, v14
	s_delay_alu instid0(VALU_DEP_1) | instskip(NEXT) | instid1(VALU_DEP_1)
	v_fmaak_f32 v17, s25, v15, 0x39679767
	v_fmaak_f32 v17, v15, v17, 0x3a9c54a1
	s_delay_alu instid0(VALU_DEP_1) | instskip(NEXT) | instid1(VALU_DEP_1)
	v_fmaak_f32 v17, v15, v17, 0x3bf2027e
	v_fmaak_f32 v17, v15, v17, 0x3d89f001
	s_delay_alu instid0(VALU_DEP_1) | instskip(SKIP_1) | instid1(VALU_DEP_1)
	v_fmaak_f32 v17, v15, v17, 0x3d9e233f
	v_fmaak_f32 v16, s28, v15, 0x38e28445
	;; [unrolled: 1-line block ×3, first 2 shown]
	s_delay_alu instid0(VALU_DEP_1) | instskip(NEXT) | instid1(VALU_DEP_1)
	v_fmaak_f32 v16, v15, v16, 0x3b3d6ec6
	v_fmaak_f32 v16, v15, v16, 0x3ca89915
	s_delay_alu instid0(VALU_DEP_1) | instskip(NEXT) | instid1(VALU_DEP_1)
	v_fmaak_f32 v16, v15, v16, 0x3ea51a66
	v_mul_f32_e32 v15, v15, v16
	s_delay_alu instid0(VALU_DEP_1) | instskip(NEXT) | instid1(VALU_DEP_1)
	v_fmac_f32_e32 v15, v14, v17
	v_fmac_f32_e32 v15, -0.5, v14
	s_delay_alu instid0(VALU_DEP_1)
	v_add_f32_e32 v13, v13, v15
.LBB11_145:                             ;   in Loop: Header=BB11_4 Depth=1
	s_or_b32 exec_lo, exec_lo, s34
.LBB11_146:                             ;   in Loop: Header=BB11_4 Depth=1
	s_delay_alu instid0(SALU_CYCLE_1)
	s_or_b32 exec_lo, exec_lo, s5
.LBB11_147:                             ;   in Loop: Header=BB11_4 Depth=1
	s_delay_alu instid0(SALU_CYCLE_1)
	s_or_b32 exec_lo, exec_lo, s33
.LBB11_148:                             ;   in Loop: Header=BB11_4 Depth=1
	s_and_not1_saveexec_b32 s5, s6
	s_cbranch_execz .LBB11_150
; %bb.149:                              ;   in Loop: Header=BB11_4 Depth=1
	v_cmp_gt_f32_e64 s6, 0x800000, |v4|
	v_fma_f32 v16, |v4|, s29, 0xbecd26ab
	s_delay_alu instid0(VALU_DEP_2) | instskip(NEXT) | instid1(VALU_DEP_1)
	v_cndmask_b32_e64 v13, 1.0, 0x4f800000, s6
	v_mul_f32_e64 v13, |v4|, v13
	s_delay_alu instid0(VALU_DEP_1) | instskip(SKIP_3) | instid1(VALU_DEP_2)
	v_log_f32_e32 v13, v13
	s_waitcnt_depctr 0xfff
	v_mul_f32_e32 v14, 0x3f317217, v13
	v_cmp_gt_f32_e64 s4, 0x7f800000, |v13|
	v_fma_f32 v15, 0x3f317217, v13, -v14
	s_delay_alu instid0(VALU_DEP_1) | instskip(NEXT) | instid1(VALU_DEP_1)
	v_fmac_f32_e32 v15, 0x3377d1cf, v13
	v_add_f32_e32 v14, v14, v15
	v_fma_f32 v15, |v4|, v16, 0x3f528d33
	s_delay_alu instid0(VALU_DEP_2) | instskip(SKIP_1) | instid1(VALU_DEP_3)
	v_cndmask_b32_e64 v13, v13, v14, s4
	v_cndmask_b32_e64 v14, 0, 0x41b17218, s6
	v_fma_f32 v15, |v4|, v15, 0xbf13c468
	s_delay_alu instid0(VALU_DEP_2) | instskip(NEXT) | instid1(VALU_DEP_1)
	v_sub_f32_e32 v13, v13, v14
	v_fma_f32 v13, |v4|, v15, -v13
.LBB11_150:                             ;   in Loop: Header=BB11_4 Depth=1
	s_or_b32 exec_lo, exec_lo, s5
	v_cmp_le_f32_e64 s4, 0, v4
	s_mov_b32 s6, exec_lo
	v_cmpx_nle_f32_e32 0, v4
	s_xor_b32 s33, exec_lo, s6
	s_cbranch_execz .LBB11_154
; %bb.151:                              ;   in Loop: Header=BB11_4 Depth=1
	v_cmp_gt_f32_e64 s5, 0x4b000000, |v4|
	v_cmp_lt_f32_e64 s6, 0x35000000, |v4|
	s_delay_alu instid0(VALU_DEP_1) | instskip(NEXT) | instid1(SALU_CYCLE_1)
	s_and_b32 s5, s5, s6
	s_and_saveexec_b32 s34, s5
	s_cbranch_execz .LBB11_153
; %bb.152:                              ;   in Loop: Header=BB11_4 Depth=1
	v_mul_f32_e64 v14, |v4|, 0.5
	s_delay_alu instid0(VALU_DEP_1) | instskip(SKIP_1) | instid1(VALU_DEP_2)
	v_floor_f32_e32 v15, v14
	v_cmp_neq_f32_e64 s5, 0x7f800000, v14
	v_sub_f32_e32 v15, v14, v15
	s_delay_alu instid0(VALU_DEP_1) | instskip(NEXT) | instid1(VALU_DEP_1)
	v_min_f32_e32 v15, 0x3f7fffff, v15
	v_add_f32_e32 v15, v15, v15
	s_delay_alu instid0(VALU_DEP_1) | instskip(SKIP_1) | instid1(VALU_DEP_1)
	v_cndmask_b32_e64 v14, 0, v15, s5
	v_cmp_gt_f32_e64 s5, |v4|, 1.0
	v_cndmask_b32_e64 v14, |v4|, v14, s5
	s_delay_alu instid0(VALU_DEP_1) | instskip(NEXT) | instid1(VALU_DEP_1)
	v_add_f32_e32 v15, v14, v14
	v_rndne_f32_e32 v15, v15
	s_delay_alu instid0(VALU_DEP_1) | instskip(SKIP_1) | instid1(VALU_DEP_2)
	v_fmac_f32_e32 v14, -0.5, v15
	v_cvt_i32_f32_e32 v15, v15
	v_mul_f32_e32 v16, v14, v14
	s_delay_alu instid0(VALU_DEP_1) | instskip(SKIP_1) | instid1(VALU_DEP_2)
	v_fmaak_f32 v17, s30, v16, 0xbf1f24be
	v_fmaak_f32 v18, s31, v16, 0x3e642e9d
	;; [unrolled: 1-line block ×3, first 2 shown]
	s_delay_alu instid0(VALU_DEP_2) | instskip(NEXT) | instid1(VALU_DEP_2)
	v_dual_fmaak_f32 v18, v16, v18, 0xbfaad1da :: v_dual_mul_f32 v19, v14, v16
	v_fmaak_f32 v17, v16, v17, 0xc0a55e0e
	s_delay_alu instid0(VALU_DEP_1) | instskip(NEXT) | instid1(VALU_DEP_1)
	v_dual_fmaak_f32 v18, v16, v18, 0x4081e0d3 :: v_dual_mul_f32 v17, v19, v17
	v_dual_fmaak_f32 v18, v16, v18, 0xc09de9e6 :: v_dual_and_b32 v19, 1, v15
	v_lshlrev_b32_e32 v15, 30, v15
	s_delay_alu instid0(VALU_DEP_3) | instskip(NEXT) | instid1(VALU_DEP_3)
	v_fmac_f32_e32 v17, 0x40490fdb, v14
	v_fma_f32 v14, v16, v18, 1.0
	s_delay_alu instid0(VALU_DEP_4) | instskip(NEXT) | instid1(VALU_DEP_4)
	v_cmp_eq_u32_e64 s5, 0, v19
	v_and_or_b32 v12, 0x80000000, v15, v12
	s_delay_alu instid0(VALU_DEP_2) | instskip(NEXT) | instid1(VALU_DEP_1)
	v_cndmask_b32_e64 v14, v14, v17, s5
	v_xor3_b32 v12, v12, v14, v4
	s_delay_alu instid0(VALU_DEP_1) | instskip(NEXT) | instid1(VALU_DEP_1)
	v_mul_f32_e32 v12, v4, v12
	v_frexp_mant_f32_e64 v14, |v12|
	v_frexp_exp_i32_f32_e32 v12, v12
	s_delay_alu instid0(VALU_DEP_2) | instskip(NEXT) | instid1(VALU_DEP_1)
	v_rcp_f32_e32 v14, v14
	v_sub_nc_u32_e32 v12, 2, v12
	s_waitcnt_depctr 0xfff
	v_mul_f32_e32 v14, 0x3f490fdb, v14
	s_delay_alu instid0(VALU_DEP_1) | instskip(NEXT) | instid1(VALU_DEP_1)
	v_ldexp_f32 v12, v14, v12
	v_cmp_gt_f32_e64 s5, 0x800000, v12
	s_delay_alu instid0(VALU_DEP_1) | instskip(NEXT) | instid1(VALU_DEP_1)
	v_cndmask_b32_e64 v14, 1.0, 0x4f800000, s5
	v_mul_f32_e32 v12, v12, v14
	s_delay_alu instid0(VALU_DEP_1) | instskip(SKIP_3) | instid1(VALU_DEP_2)
	v_log_f32_e32 v12, v12
	s_waitcnt_depctr 0xfff
	v_mul_f32_e32 v14, 0x3f317217, v12
	v_cmp_gt_f32_e64 s6, 0x7f800000, |v12|
	v_fma_f32 v15, 0x3f317217, v12, -v14
	s_delay_alu instid0(VALU_DEP_1) | instskip(NEXT) | instid1(VALU_DEP_1)
	v_fmac_f32_e32 v15, 0x3377d1cf, v12
	v_add_f32_e32 v14, v14, v15
	v_floor_f32_e32 v15, v4
	s_delay_alu instid0(VALU_DEP_2) | instskip(SKIP_1) | instid1(VALU_DEP_3)
	v_cndmask_b32_e64 v12, v12, v14, s6
	v_cndmask_b32_e64 v14, 0, 0x41b17218, s5
	v_sub_f32_e32 v15, v4, v15
	s_delay_alu instid0(VALU_DEP_2) | instskip(NEXT) | instid1(VALU_DEP_2)
	v_sub_f32_e32 v12, v12, v14
	v_min_f32_e32 v14, 0x3f7fffff, v15
	s_delay_alu instid0(VALU_DEP_2) | instskip(NEXT) | instid1(VALU_DEP_2)
	v_sub_f32_e32 v12, v12, v13
	v_cmp_neq_f32_e64 s5, 0, v14
	s_delay_alu instid0(VALU_DEP_1)
	v_cndmask_b32_e64 v13, 0x7f800000, v12, s5
.LBB11_153:                             ;   in Loop: Header=BB11_4 Depth=1
	s_or_b32 exec_lo, exec_lo, s34
.LBB11_154:                             ;   in Loop: Header=BB11_4 Depth=1
	s_and_not1_saveexec_b32 s33, s33
	s_cbranch_execz .LBB11_3
; %bb.155:                              ;   in Loop: Header=BB11_4 Depth=1
	v_cmp_eq_f32_e64 s5, 1.0, v4
	v_cmp_eq_f32_e64 s6, 2.0, v4
	s_delay_alu instid0(VALU_DEP_1) | instskip(NEXT) | instid1(SALU_CYCLE_1)
	s_or_b32 s5, s5, s6
	v_cndmask_b32_e64 v13, v13, 0, s5
	s_branch .LBB11_3
.LBB11_156:
	s_or_b32 exec_lo, exec_lo, s7
	s_mov_b32 s2, 0
.LBB11_157:
	s_delay_alu instid0(SALU_CYCLE_1)
	s_and_not1_b32 vcc_lo, exec_lo, s2
	s_cbranch_vccnz .LBB11_329
; %bb.158:
	v_cmp_lt_i64_e64 s2, s[12:13], 1
	s_delay_alu instid0(VALU_DEP_1)
	s_and_b32 vcc_lo, exec_lo, s2
	s_cbranch_vccnz .LBB11_329
; %bb.159:
	s_load_b32 s0, s[0:1], 0xc5c
	v_dual_mov_b32 v10, 0 :: v_dual_lshlrev_b32 v9, 1, v0
	v_cmp_gt_u64_e64 s1, 0x10000, s[12:13]
	s_mov_b32 s20, 0x3805ff67
	s_mov_b32 s21, 0x36f5d7bd
	s_delay_alu instid0(VALU_DEP_2) | instskip(NEXT) | instid1(VALU_DEP_1)
	v_add_co_u32 v1, s2, s8, v9
	v_add_co_ci_u32_e64 v2, null, s9, 0, s2
	v_add_co_u32 v3, s2, s16, v9
	s_delay_alu instid0(VALU_DEP_1)
	v_add_co_ci_u32_e64 v4, null, s17, 0, s2
	s_mov_b32 s22, 0x3c5b3c5e
	s_mov_b32 s23, 0x3b52d5db
	s_mov_b32 s24, 0x39a57b6b
	s_mov_b32 s25, 0xb9a3f927
	s_mov_b32 s26, 0x39afe9f7
	s_mov_b32 s27, 0x37d383a2
	s_waitcnt lgkmcnt(0)
	s_and_b32 s0, s0, 0xffff
	s_and_b32 s1, s1, exec_lo
	v_mad_u64_u32 v[7:8], null, s0, 6, v[9:10]
	s_cselect_b32 s15, s13, 0
	s_cselect_b32 s14, s12, 0x10000
	s_lshl_b32 s1, s0, 1
	s_mul_i32 s2, s0, 3
	s_lshl_b32 s18, s0, 2
	s_lshl_b32 s19, s0, 3
	v_add_co_u32 v13, s0, v0, s0
	v_add_co_u32 v5, vcc_lo, s8, v7
	v_add_co_u32 v14, s3, s18, v9
	v_add_co_ci_u32_e32 v6, vcc_lo, s9, v8, vcc_lo
	s_delay_alu instid0(VALU_DEP_4)
	v_lshlrev_b32_e32 v21, 1, v13
	v_add_co_u32 v7, vcc_lo, s16, v7
	v_add_co_ci_u32_e64 v15, null, 0, 0, s3
	v_add_co_ci_u32_e32 v8, vcc_lo, s17, v8, vcc_lo
	v_add_co_ci_u32_e64 v16, null, 0, 0, s0
	v_add_co_u32 v17, s0, s1, v0
	v_add_co_u32 v11, vcc_lo, s8, v14
	v_add_co_ci_u32_e64 v18, null, 0, 0, s0
	v_add_co_u32 v19, s0, s8, v21
	v_add_co_ci_u32_e32 v12, vcc_lo, s9, v15, vcc_lo
	v_add_co_u32 v9, s2, s2, v0
	v_add_co_u32 v14, vcc_lo, s16, v14
	v_add_co_ci_u32_e64 v20, null, s9, 0, s0
	v_add_co_u32 v21, s0, s16, v21
	v_add_co_ci_u32_e64 v10, null, 0, 0, s2
	v_add_co_ci_u32_e32 v15, vcc_lo, s17, v15, vcc_lo
	v_add_co_ci_u32_e64 v22, null, s17, 0, s0
	s_mov_b64 s[16:17], 0
	s_mov_b32 s9, 0xbad5c4e8
	s_mov_b32 s28, 0x383c2c75
	;; [unrolled: 1-line block ×5, first 2 shown]
	s_branch .LBB11_161
.LBB11_160:                             ;   in Loop: Header=BB11_161 Depth=1
	s_or_b32 exec_lo, exec_lo, s0
	v_add_co_u32 v1, vcc_lo, v1, s19
	v_add_co_ci_u32_e32 v2, vcc_lo, 0, v2, vcc_lo
	v_add_co_u32 v3, vcc_lo, v3, s19
	v_add_co_ci_u32_e32 v4, vcc_lo, 0, v4, vcc_lo
	;; [unrolled: 2-line block ×5, first 2 shown]
	s_add_u32 s16, s16, s18
	v_add_co_u32 v14, vcc_lo, v14, s19
	s_addc_u32 s17, s17, 0
	v_add_co_ci_u32_e32 v15, vcc_lo, 0, v15, vcc_lo
	v_cmp_ge_i64_e64 s0, s[16:17], s[12:13]
	v_cmp_lt_u64_e64 s1, 0xffff, s[16:17]
	v_add_co_u32 v19, vcc_lo, v19, s19
	v_add_co_ci_u32_e32 v20, vcc_lo, 0, v20, vcc_lo
	v_add_co_u32 v21, vcc_lo, v21, s19
	v_add_co_ci_u32_e32 v22, vcc_lo, 0, v22, vcc_lo
	s_or_b32 s0, s0, s1
	s_delay_alu instid0(SALU_CYCLE_1)
	s_and_b32 vcc_lo, exec_lo, s0
	s_cbranch_vccnz .LBB11_329
.LBB11_161:                             ; =>This Inner Loop Header: Depth=1
	v_add_co_u32 v23, s0, v0, s16
	s_delay_alu instid0(VALU_DEP_1) | instskip(NEXT) | instid1(VALU_DEP_1)
	v_add_co_ci_u32_e64 v24, null, 0, s17, s0
	v_cmp_gt_u64_e64 s2, s[14:15], v[23:24]
	v_mov_b32_e32 v23, 0
	s_delay_alu instid0(VALU_DEP_2)
	s_and_saveexec_b32 s0, s2
	s_cbranch_execz .LBB11_163
; %bb.162:                              ;   in Loop: Header=BB11_161 Depth=1
	v_add_co_u32 v23, vcc_lo, v1, s10
	v_add_co_ci_u32_e32 v24, vcc_lo, s11, v2, vcc_lo
	global_load_u16 v23, v[23:24], off
.LBB11_163:                             ;   in Loop: Header=BB11_161 Depth=1
	s_or_b32 exec_lo, exec_lo, s0
	v_add_co_u32 v24, vcc_lo, v13, s16
	v_add_co_ci_u32_e32 v25, vcc_lo, s17, v16, vcc_lo
	s_delay_alu instid0(VALU_DEP_1) | instskip(SKIP_1) | instid1(VALU_DEP_2)
	v_cmp_gt_u64_e64 s1, s[14:15], v[24:25]
	v_mov_b32_e32 v25, 0
	s_and_saveexec_b32 s0, s1
	s_cbranch_execz .LBB11_165
; %bb.164:                              ;   in Loop: Header=BB11_161 Depth=1
	v_add_co_u32 v24, vcc_lo, v19, s10
	v_add_co_ci_u32_e32 v25, vcc_lo, s11, v20, vcc_lo
	global_load_u16 v25, v[24:25], off
.LBB11_165:                             ;   in Loop: Header=BB11_161 Depth=1
	s_or_b32 exec_lo, exec_lo, s0
	v_add_co_u32 v26, vcc_lo, v17, s16
	v_add_co_ci_u32_e32 v27, vcc_lo, s17, v18, vcc_lo
	v_mov_b32_e32 v28, 0
	s_delay_alu instid0(VALU_DEP_2) | instskip(SKIP_1) | instid1(VALU_DEP_2)
	v_cmp_gt_u64_e64 s0, s[14:15], v[26:27]
	v_mov_b32_e32 v26, 0
	s_and_saveexec_b32 s3, s0
	s_cbranch_execz .LBB11_167
; %bb.166:                              ;   in Loop: Header=BB11_161 Depth=1
	v_add_co_u32 v27, vcc_lo, v11, s10
	v_add_co_ci_u32_e32 v28, vcc_lo, s11, v12, vcc_lo
	global_load_u16 v28, v[27:28], off
.LBB11_167:                             ;   in Loop: Header=BB11_161 Depth=1
	s_or_b32 exec_lo, exec_lo, s3
	v_add_co_u32 v29, vcc_lo, v9, s16
	v_add_co_ci_u32_e32 v30, vcc_lo, s17, v10, vcc_lo
	s_delay_alu instid0(VALU_DEP_1)
	v_cmp_gt_u64_e32 vcc_lo, s[14:15], v[29:30]
	s_and_saveexec_b32 s4, vcc_lo
	s_cbranch_execz .LBB11_169
; %bb.168:                              ;   in Loop: Header=BB11_161 Depth=1
	v_add_co_u32 v26, s3, v5, s10
	s_delay_alu instid0(VALU_DEP_1)
	v_add_co_ci_u32_e64 v27, s3, s11, v6, s3
	global_load_u16 v26, v[26:27], off
.LBB11_169:                             ;   in Loop: Header=BB11_161 Depth=1
	s_or_b32 exec_lo, exec_lo, s4
	s_waitcnt vmcnt(0)
	v_lshlrev_b32_e32 v23, 16, v23
                                        ; implicit-def: $vgpr24
	s_mov_b32 s4, exec_lo
	s_delay_alu instid0(VALU_DEP_1)
	v_and_b32_e32 v27, 0x7fffffff, v23
	v_cmpx_ngt_f32_e64 0x3c800000, |v23|
	s_xor_b32 s5, exec_lo, s4
	s_cbranch_execz .LBB11_199
; %bb.170:                              ;   in Loop: Header=BB11_161 Depth=1
                                        ; implicit-def: $vgpr24
	s_mov_b32 s4, exec_lo
	v_cmpx_nlt_f32_e64 |v23|, 2.0
	s_xor_b32 s6, exec_lo, s4
	s_cbranch_execz .LBB11_180
; %bb.171:                              ;   in Loop: Header=BB11_161 Depth=1
	s_mov_b32 s4, exec_lo
                                        ; implicit-def: $vgpr24
	v_cmpx_ngt_f32_e64 0x41000000, |v23|
	s_xor_b32 s4, exec_lo, s4
	s_cbranch_execz .LBB11_177
; %bb.172:                              ;   in Loop: Header=BB11_161 Depth=1
	s_mov_b32 s7, exec_lo
                                        ; implicit-def: $vgpr24
	v_cmpx_ngt_f32_e64 0x5c800000, |v23|
	s_xor_b32 s7, exec_lo, s7
	s_cbranch_execz .LBB11_174
; %bb.173:                              ;   in Loop: Header=BB11_161 Depth=1
	v_cmp_gt_f32_e64 s8, 0x800000, |v23|
	s_delay_alu instid0(VALU_DEP_1) | instskip(NEXT) | instid1(VALU_DEP_1)
	v_cndmask_b32_e64 v24, 1.0, 0x4f800000, s8
	v_mul_f32_e64 v24, |v23|, v24
	s_delay_alu instid0(VALU_DEP_1) | instskip(SKIP_3) | instid1(VALU_DEP_2)
	v_log_f32_e32 v24, v24
	s_waitcnt_depctr 0xfff
	v_mul_f32_e32 v29, 0x3f317217, v24
	v_cmp_gt_f32_e64 s3, 0x7f800000, |v24|
	v_fma_f32 v30, 0x3f317217, v24, -v29
	s_delay_alu instid0(VALU_DEP_1) | instskip(NEXT) | instid1(VALU_DEP_1)
	v_fmac_f32_e32 v30, 0x3377d1cf, v24
	v_add_f32_e32 v29, v29, v30
	s_delay_alu instid0(VALU_DEP_1) | instskip(SKIP_1) | instid1(VALU_DEP_1)
	v_cndmask_b32_e64 v24, v24, v29, s3
	v_cndmask_b32_e64 v29, 0, 0x41b17218, s8
	v_sub_f32_e32 v24, v24, v29
	s_delay_alu instid0(VALU_DEP_1)
	v_fma_f32 v24, |v23|, v24, -|v23|
.LBB11_174:                             ;   in Loop: Header=BB11_161 Depth=1
	s_and_not1_saveexec_b32 s7, s7
	s_cbranch_execz .LBB11_176
; %bb.175:                              ;   in Loop: Header=BB11_161 Depth=1
	v_cmp_gt_f32_e64 s8, 0x800000, |v23|
	v_rcp_f32_e64 v29, |v23|
	s_delay_alu instid0(VALU_DEP_1) | instskip(NEXT) | instid1(VALU_DEP_1)
	v_cndmask_b32_e64 v24, 1.0, 0x4f800000, s8
	v_mul_f32_e64 v24, |v23|, v24
	s_delay_alu instid0(VALU_DEP_1) | instskip(SKIP_3) | instid1(VALU_DEP_2)
	v_log_f32_e32 v24, v24
	s_waitcnt_depctr 0xfff
	v_dual_mul_f32 v30, v29, v29 :: v_dual_mul_f32 v31, 0x3f317217, v24
	v_cmp_gt_f32_e64 s3, 0x7f800000, |v24|
	v_fma_f32 v33, 0x3f317217, v24, -v31
	s_delay_alu instid0(VALU_DEP_1) | instskip(NEXT) | instid1(VALU_DEP_1)
	v_fmac_f32_e32 v33, 0x3377d1cf, v24
	v_dual_fmaak_f32 v32, s9, v30, 0x3a5b3dd2 :: v_dual_add_f32 v31, v31, v33
	s_delay_alu instid0(VALU_DEP_1) | instskip(SKIP_1) | instid1(VALU_DEP_1)
	v_cndmask_b32_e64 v24, v24, v31, s3
	v_cndmask_b32_e64 v31, 0, 0x41b17218, s8
	v_dual_fmaak_f32 v32, v30, v32, 0xba1c065c :: v_dual_sub_f32 v31, v24, v31
	s_delay_alu instid0(VALU_DEP_1) | instskip(NEXT) | instid1(VALU_DEP_1)
	v_fmaak_f32 v32, v30, v32, 0x3a500cfd
	v_fmaak_f32 v32, v30, v32, 0xbb360b61
	s_delay_alu instid0(VALU_DEP_1) | instskip(NEXT) | instid1(VALU_DEP_1)
	v_fmaak_f32 v30, v30, v32, 0x3daaaaab
	v_fmaak_f32 v24, v29, v30, 0x3ed67f1d
	v_add_f32_e64 v29, |v23|, -0.5
	v_add_f32_e32 v30, -1.0, v31
	s_delay_alu instid0(VALU_DEP_1)
	v_fmac_f32_e32 v24, v29, v30
.LBB11_176:                             ;   in Loop: Header=BB11_161 Depth=1
	s_or_b32 exec_lo, exec_lo, s7
.LBB11_177:                             ;   in Loop: Header=BB11_161 Depth=1
	s_and_not1_saveexec_b32 s7, s4
	s_cbranch_execz .LBB11_179
; %bb.178:                              ;   in Loop: Header=BB11_161 Depth=1
	v_cvt_i32_f32_e32 v24, v27
	s_delay_alu instid0(VALU_DEP_1) | instskip(SKIP_1) | instid1(VALU_DEP_2)
	v_cvt_f32_i32_e32 v29, v24
	v_cmp_lt_i32_e64 s3, 2, v24
	v_sub_f32_e64 v29, |v23|, v29
	s_delay_alu instid0(VALU_DEP_1) | instskip(SKIP_2) | instid1(VALU_DEP_3)
	v_add_f32_e32 v30, 2.0, v29
	v_add_f32_e32 v31, 0x40400000, v29
	v_add_f32_e32 v32, 4.0, v29
	v_cndmask_b32_e64 v30, 1.0, v30, s3
	v_cmp_lt_i32_e64 s3, 3, v24
	s_delay_alu instid0(VALU_DEP_1) | instskip(SKIP_1) | instid1(VALU_DEP_2)
	v_cndmask_b32_e64 v31, 1.0, v31, s3
	v_cmp_lt_i32_e64 s3, 4, v24
	v_dual_add_f32 v33, 0x40a00000, v29 :: v_dual_mul_f32 v30, v30, v31
	s_delay_alu instid0(VALU_DEP_2) | instskip(SKIP_1) | instid1(VALU_DEP_2)
	v_cndmask_b32_e64 v32, 1.0, v32, s3
	v_cmp_lt_i32_e64 s3, 5, v24
	v_mul_f32_e32 v30, v32, v30
	s_delay_alu instid0(VALU_DEP_2) | instskip(SKIP_3) | instid1(VALU_DEP_4)
	v_cndmask_b32_e64 v33, 1.0, v33, s3
	v_add_f32_e32 v31, 0x40c00000, v29
	v_cmp_lt_i32_e64 s3, 6, v24
	v_fmaak_f32 v32, s20, v29, 0x3af135b4
	v_mul_f32_e32 v30, v33, v30
	s_delay_alu instid0(VALU_DEP_3) | instskip(NEXT) | instid1(VALU_DEP_1)
	v_cndmask_b32_e64 v24, 1.0, v31, s3
	v_mul_f32_e32 v24, v24, v30
	s_delay_alu instid0(VALU_DEP_1) | instskip(NEXT) | instid1(VALU_DEP_1)
	v_cmp_gt_f32_e64 s3, 0x800000, v24
	v_cndmask_b32_e64 v31, 1.0, 0x4f800000, s3
	s_delay_alu instid0(VALU_DEP_1) | instskip(NEXT) | instid1(VALU_DEP_1)
	v_dual_mul_f32 v24, v24, v31 :: v_dual_fmaak_f32 v31, v29, v32, 0x3cda40e4
	v_log_f32_e32 v24, v24
	s_delay_alu instid0(VALU_DEP_1) | instskip(NEXT) | instid1(VALU_DEP_1)
	v_fmaak_f32 v31, v29, v31, 0x3e15dce6
	v_fmaak_f32 v31, v29, v31, 0x3ea6cc7a
	s_waitcnt_depctr 0xfff
	v_mul_f32_e32 v32, 0x3f317217, v24
	v_cmp_gt_f32_e64 s4, 0x7f800000, |v24|
	s_delay_alu instid0(VALU_DEP_2) | instskip(NEXT) | instid1(VALU_DEP_1)
	v_fma_f32 v33, 0x3f317217, v24, -v32
	v_fmac_f32_e32 v33, 0x3377d1cf, v24
	s_delay_alu instid0(VALU_DEP_1) | instskip(NEXT) | instid1(VALU_DEP_1)
	v_dual_fmaak_f32 v31, v29, v31, 0x3e5c245a :: v_dual_add_f32 v32, v32, v33
	v_fmaak_f32 v31, v29, v31, 0xbd9e233f
	v_fmaak_f32 v30, s21, v29, 0x3a4beed6
	s_delay_alu instid0(VALU_DEP_3) | instskip(NEXT) | instid1(VALU_DEP_3)
	v_cndmask_b32_e64 v24, v24, v32, s4
	v_mul_f32_e32 v31, v29, v31
	s_delay_alu instid0(VALU_DEP_3) | instskip(NEXT) | instid1(VALU_DEP_1)
	v_fmaak_f32 v30, v29, v30, 0x3c98bf54
	v_fmaak_f32 v30, v29, v30, 0x3e300f6e
	s_delay_alu instid0(VALU_DEP_1) | instskip(NEXT) | instid1(VALU_DEP_1)
	v_fmaak_f32 v30, v29, v30, 0x3f38d0c5
	v_fmaak_f32 v30, v29, v30, 0x3fb22d3b
	s_delay_alu instid0(VALU_DEP_1) | instskip(NEXT) | instid1(VALU_DEP_1)
	v_fma_f32 v30, v29, v30, 1.0
	v_rcp_f32_e32 v30, v30
	s_waitcnt_depctr 0xfff
	v_mul_f32_e32 v30, v31, v30
	v_cndmask_b32_e64 v31, 0, 0x41b17218, s3
	s_delay_alu instid0(VALU_DEP_2) | instskip(NEXT) | instid1(VALU_DEP_2)
	v_fmac_f32_e32 v30, 0.5, v29
	v_sub_f32_e32 v24, v24, v31
	s_delay_alu instid0(VALU_DEP_1)
	v_add_f32_e32 v24, v24, v30
.LBB11_179:                             ;   in Loop: Header=BB11_161 Depth=1
	s_or_b32 exec_lo, exec_lo, s7
.LBB11_180:                             ;   in Loop: Header=BB11_161 Depth=1
	s_and_not1_saveexec_b32 s6, s6
	s_cbranch_execz .LBB11_198
; %bb.181:                              ;   in Loop: Header=BB11_161 Depth=1
                                        ; implicit-def: $vgpr24
                                        ; implicit-def: $vgpr30
                                        ; implicit-def: $vgpr29
	s_mov_b32 s4, exec_lo
	v_cmpx_ge_f32_e64 0x3f666666, |v23|
	s_xor_b32 s7, exec_lo, s4
	s_cbranch_execz .LBB11_183
; %bb.182:                              ;   in Loop: Header=BB11_161 Depth=1
	v_cmp_gt_f32_e64 s4, 0x800000, |v23|
	v_sub_f32_e64 v31, 1.0, |v23|
	v_cmp_gt_f32_e64 s3, 0x3f3b4a23, |v23|
	s_delay_alu instid0(VALU_DEP_3) | instskip(SKIP_1) | instid1(VALU_DEP_2)
	v_cndmask_b32_e64 v24, 1.0, 0x4f800000, s4
	v_cndmask_b32_e64 v32, 0, 0x41b17218, s4
	v_mul_f32_e64 v24, |v23|, v24
	s_delay_alu instid0(VALU_DEP_1) | instskip(SKIP_3) | instid1(VALU_DEP_2)
	v_log_f32_e32 v24, v24
	s_waitcnt_depctr 0xfff
	v_mul_f32_e32 v29, 0x3f317217, v24
	v_cmp_gt_f32_e64 s4, 0x7f800000, |v24|
	v_fma_f32 v30, 0x3f317217, v24, -v29
	s_delay_alu instid0(VALU_DEP_1) | instskip(NEXT) | instid1(VALU_DEP_1)
	v_fmac_f32_e32 v30, 0x3377d1cf, v24
	v_add_f32_e32 v29, v29, v30
	v_add_f32_e64 v30, 0xbeec5b0c, |v23|
	s_delay_alu instid0(VALU_DEP_2) | instskip(NEXT) | instid1(VALU_DEP_2)
	v_cndmask_b32_e64 v24, v24, v29, s4
	v_cndmask_b32_e64 v29, v31, v30, s3
	;; [unrolled: 1-line block ×3, first 2 shown]
	v_cmp_gt_f32_e64 s3, 0x3e6d3309, |v23|
	s_delay_alu instid0(VALU_DEP_4) | instskip(NEXT) | instid1(VALU_DEP_2)
	v_sub_f32_e32 v24, v24, v32
	v_cndmask_b32_e64 v29, v29, |v23|, s3
	s_delay_alu instid0(VALU_DEP_4) | instskip(NEXT) | instid1(VALU_DEP_3)
	v_cndmask_b32_e64 v30, v30, 2, s3
	v_xor_b32_e32 v24, 0x80000000, v24
.LBB11_183:                             ;   in Loop: Header=BB11_161 Depth=1
	s_and_not1_saveexec_b32 s4, s7
; %bb.184:                              ;   in Loop: Header=BB11_161 Depth=1
	v_sub_f32_e64 v24, 2.0, |v23|
	v_add_f32_e64 v29, 0xbfbb16c3, |v23|
	v_cmp_gt_f32_e64 s3, 0x3fdda512, |v23|
	v_add_f32_e64 v30, |v23|, -1.0
	s_delay_alu instid0(VALU_DEP_2) | instskip(SKIP_2) | instid1(VALU_DEP_2)
	v_cndmask_b32_e64 v29, v24, v29, s3
	v_cndmask_b32_e64 v24, v24, 1.0, s3
	v_cmp_gt_f32_e64 s3, 0x3f9d70a4, |v23|
	v_cvt_i32_f32_e32 v24, v24
	s_delay_alu instid0(VALU_DEP_2) | instskip(NEXT) | instid1(VALU_DEP_2)
	v_cndmask_b32_e64 v29, v29, v30, s3
	v_cndmask_b32_e64 v30, v24, 2, s3
	v_mov_b32_e32 v24, 0
; %bb.185:                              ;   in Loop: Header=BB11_161 Depth=1
	s_or_b32 exec_lo, exec_lo, s4
	s_delay_alu instid0(SALU_CYCLE_1) | instskip(NEXT) | instid1(VALU_DEP_2)
	s_mov_b32 s4, exec_lo
	v_cmpx_lt_i32_e32 0, v30
	s_xor_b32 s4, exec_lo, s4
	s_cbranch_execz .LBB11_193
; %bb.186:                              ;   in Loop: Header=BB11_161 Depth=1
	s_mov_b32 s7, exec_lo
	v_cmpx_lt_i32_e32 1, v30
	s_xor_b32 s7, exec_lo, s7
	s_cbranch_execz .LBB11_190
; %bb.187:                              ;   in Loop: Header=BB11_161 Depth=1
	s_mov_b32 s8, exec_lo
	v_cmpx_eq_u32_e32 2, v30
	s_cbranch_execz .LBB11_189
; %bb.188:                              ;   in Loop: Header=BB11_161 Depth=1
	v_fmaak_f32 v31, s22, v29, 0x3e6a7578
	s_delay_alu instid0(VALU_DEP_1) | instskip(NEXT) | instid1(VALU_DEP_1)
	v_fmaak_f32 v31, v29, v31, 0x3f7a4bb2
	v_fmaak_f32 v31, v29, v31, 0x3fba3ae7
	s_delay_alu instid0(VALU_DEP_1) | instskip(NEXT) | instid1(VALU_DEP_1)
	v_fmaak_f32 v31, v29, v31, 0x3f2200f4
	v_fmaak_f32 v31, v29, v31, 0xbd9e233f
	s_delay_alu instid0(VALU_DEP_1) | instskip(NEXT) | instid1(VALU_DEP_1)
	v_dual_fmaak_f32 v30, s23, v29, 0x3dd572af :: v_dual_mul_f32 v31, v29, v31
	v_fmaak_f32 v30, v29, v30, 0x3f44efdf
	s_delay_alu instid0(VALU_DEP_1) | instskip(NEXT) | instid1(VALU_DEP_1)
	v_fmaak_f32 v30, v29, v30, 0x4008392d
	v_fmaak_f32 v30, v29, v30, 0x401d2ebe
	s_delay_alu instid0(VALU_DEP_1) | instskip(NEXT) | instid1(VALU_DEP_1)
	v_fma_f32 v30, v29, v30, 1.0
	v_rcp_f32_e32 v30, v30
	s_waitcnt_depctr 0xfff
	v_mul_f32_e32 v30, v31, v30
	s_delay_alu instid0(VALU_DEP_1) | instskip(NEXT) | instid1(VALU_DEP_1)
	v_fmac_f32_e32 v30, -0.5, v29
	v_add_f32_e32 v24, v24, v30
.LBB11_189:                             ;   in Loop: Header=BB11_161 Depth=1
	s_or_b32 exec_lo, exec_lo, s8
                                        ; implicit-def: $vgpr29
.LBB11_190:                             ;   in Loop: Header=BB11_161 Depth=1
	s_and_not1_saveexec_b32 s3, s7
	s_cbranch_execz .LBB11_192
; %bb.191:                              ;   in Loop: Header=BB11_161 Depth=1
	v_mul_f32_e32 v30, v29, v29
	s_delay_alu instid0(VALU_DEP_1) | instskip(NEXT) | instid1(VALU_DEP_1)
	v_mul_f32_e32 v31, v29, v30
	v_fmaak_f32 v32, s25, v31, 0x3a66f867
	v_fmaak_f32 v33, s26, v31, 0xba0d3085
	v_fmaak_f32 v34, s24, v31, 0xbab7f476
	s_delay_alu instid0(VALU_DEP_3) | instskip(NEXT) | instid1(VALU_DEP_3)
	v_fmaak_f32 v32, v31, v32, 0xbb7177fe
	v_fmaak_f32 v33, v31, v33, 0x3b141699
	s_delay_alu instid0(VALU_DEP_3) | instskip(NEXT) | instid1(VALU_DEP_3)
	v_fmaak_f32 v34, v31, v34, 0x3bc7e707
	v_fmaak_f32 v32, v31, v32, 0x3c93373d
	;; [unrolled: 3-line block ×4, first 2 shown]
	s_delay_alu instid0(VALU_DEP_1) | instskip(NEXT) | instid1(VALU_DEP_1)
	v_dual_fmac_f32 v32, v29, v33 :: v_dual_fmaak_f32 v29, v31, v34, 0x3ef7b95e
	v_fma_f32 v31, v31, -v32, 0xa2863e55
	s_delay_alu instid0(VALU_DEP_1) | instskip(NEXT) | instid1(VALU_DEP_1)
	v_fma_f32 v29, v30, v29, -v31
	v_add_f32_e32 v29, 0xbdf8cdce, v29
	s_delay_alu instid0(VALU_DEP_1)
	v_add_f32_e32 v24, v24, v29
.LBB11_192:                             ;   in Loop: Header=BB11_161 Depth=1
	s_or_b32 exec_lo, exec_lo, s3
                                        ; implicit-def: $vgpr30
                                        ; implicit-def: $vgpr29
.LBB11_193:                             ;   in Loop: Header=BB11_161 Depth=1
	s_and_not1_saveexec_b32 s4, s4
	s_cbranch_execz .LBB11_197
; %bb.194:                              ;   in Loop: Header=BB11_161 Depth=1
	s_mov_b32 s7, exec_lo
	v_cmpx_eq_u32_e32 0, v30
	s_cbranch_execz .LBB11_196
; %bb.195:                              ;   in Loop: Header=BB11_161 Depth=1
	v_mul_f32_e32 v30, v29, v29
	s_delay_alu instid0(VALU_DEP_1) | instskip(NEXT) | instid1(VALU_DEP_1)
	v_fmaak_f32 v32, s27, v30, 0x39679767
	v_fmaak_f32 v32, v30, v32, 0x3a9c54a1
	s_delay_alu instid0(VALU_DEP_1) | instskip(NEXT) | instid1(VALU_DEP_1)
	v_fmaak_f32 v32, v30, v32, 0x3bf2027e
	v_fmaak_f32 v32, v30, v32, 0x3d89f001
	s_delay_alu instid0(VALU_DEP_1) | instskip(SKIP_1) | instid1(VALU_DEP_1)
	v_fmaak_f32 v32, v30, v32, 0x3d9e233f
	v_fmaak_f32 v31, s28, v30, 0x38e28445
	;; [unrolled: 1-line block ×3, first 2 shown]
	s_delay_alu instid0(VALU_DEP_1) | instskip(NEXT) | instid1(VALU_DEP_1)
	v_fmaak_f32 v31, v30, v31, 0x3b3d6ec6
	v_fmaak_f32 v31, v30, v31, 0x3ca89915
	s_delay_alu instid0(VALU_DEP_1) | instskip(NEXT) | instid1(VALU_DEP_1)
	v_fmaak_f32 v31, v30, v31, 0x3ea51a66
	v_mul_f32_e32 v30, v30, v31
	s_delay_alu instid0(VALU_DEP_1) | instskip(NEXT) | instid1(VALU_DEP_1)
	v_fmac_f32_e32 v30, v29, v32
	v_fmac_f32_e32 v30, -0.5, v29
	s_delay_alu instid0(VALU_DEP_1)
	v_add_f32_e32 v24, v24, v30
.LBB11_196:                             ;   in Loop: Header=BB11_161 Depth=1
	s_or_b32 exec_lo, exec_lo, s7
.LBB11_197:                             ;   in Loop: Header=BB11_161 Depth=1
	s_delay_alu instid0(SALU_CYCLE_1)
	s_or_b32 exec_lo, exec_lo, s4
.LBB11_198:                             ;   in Loop: Header=BB11_161 Depth=1
	s_delay_alu instid0(SALU_CYCLE_1)
	s_or_b32 exec_lo, exec_lo, s6
.LBB11_199:                             ;   in Loop: Header=BB11_161 Depth=1
	s_and_not1_saveexec_b32 s4, s5
	s_cbranch_execz .LBB11_201
; %bb.200:                              ;   in Loop: Header=BB11_161 Depth=1
	v_cmp_gt_f32_e64 s5, 0x800000, |v23|
	v_fma_f32 v31, |v23|, s29, 0xbecd26ab
	s_delay_alu instid0(VALU_DEP_2) | instskip(NEXT) | instid1(VALU_DEP_1)
	v_cndmask_b32_e64 v24, 1.0, 0x4f800000, s5
	v_mul_f32_e64 v24, |v23|, v24
	s_delay_alu instid0(VALU_DEP_1) | instskip(SKIP_3) | instid1(VALU_DEP_2)
	v_log_f32_e32 v24, v24
	s_waitcnt_depctr 0xfff
	v_mul_f32_e32 v29, 0x3f317217, v24
	v_cmp_gt_f32_e64 s3, 0x7f800000, |v24|
	v_fma_f32 v30, 0x3f317217, v24, -v29
	s_delay_alu instid0(VALU_DEP_1) | instskip(NEXT) | instid1(VALU_DEP_1)
	v_fmac_f32_e32 v30, 0x3377d1cf, v24
	v_add_f32_e32 v29, v29, v30
	v_fma_f32 v30, |v23|, v31, 0x3f528d33
	s_delay_alu instid0(VALU_DEP_2) | instskip(SKIP_1) | instid1(VALU_DEP_3)
	v_cndmask_b32_e64 v24, v24, v29, s3
	v_cndmask_b32_e64 v29, 0, 0x41b17218, s5
	v_fma_f32 v30, |v23|, v30, 0xbf13c468
	s_delay_alu instid0(VALU_DEP_2) | instskip(NEXT) | instid1(VALU_DEP_1)
	v_sub_f32_e32 v24, v24, v29
	v_fma_f32 v24, |v23|, v30, -v24
.LBB11_201:                             ;   in Loop: Header=BB11_161 Depth=1
	s_or_b32 exec_lo, exec_lo, s4
	v_cmp_le_f32_e64 s3, 0, v23
	s_mov_b32 s5, exec_lo
	v_cmpx_nle_f32_e32 0, v23
	s_xor_b32 s6, exec_lo, s5
	s_cbranch_execz .LBB11_205
; %bb.202:                              ;   in Loop: Header=BB11_161 Depth=1
	v_cmp_gt_f32_e64 s4, 0x4b000000, |v23|
	v_cmp_lt_f32_e64 s5, 0x35000000, |v23|
	s_delay_alu instid0(VALU_DEP_1) | instskip(NEXT) | instid1(SALU_CYCLE_1)
	s_and_b32 s4, s4, s5
	s_and_saveexec_b32 s7, s4
	s_cbranch_execz .LBB11_204
; %bb.203:                              ;   in Loop: Header=BB11_161 Depth=1
	v_mul_f32_e64 v29, |v23|, 0.5
	s_delay_alu instid0(VALU_DEP_1) | instskip(SKIP_1) | instid1(VALU_DEP_2)
	v_floor_f32_e32 v30, v29
	v_cmp_neq_f32_e64 s4, 0x7f800000, v29
	v_sub_f32_e32 v30, v29, v30
	s_delay_alu instid0(VALU_DEP_1) | instskip(NEXT) | instid1(VALU_DEP_1)
	v_min_f32_e32 v30, 0x3f7fffff, v30
	v_add_f32_e32 v30, v30, v30
	s_delay_alu instid0(VALU_DEP_1) | instskip(SKIP_1) | instid1(VALU_DEP_1)
	v_cndmask_b32_e64 v29, 0, v30, s4
	v_cmp_gt_f32_e64 s4, |v23|, 1.0
	v_cndmask_b32_e64 v29, |v23|, v29, s4
	s_delay_alu instid0(VALU_DEP_1) | instskip(NEXT) | instid1(VALU_DEP_1)
	v_add_f32_e32 v30, v29, v29
	v_rndne_f32_e32 v30, v30
	s_delay_alu instid0(VALU_DEP_1) | instskip(SKIP_1) | instid1(VALU_DEP_2)
	v_fmac_f32_e32 v29, -0.5, v30
	v_cvt_i32_f32_e32 v30, v30
	v_mul_f32_e32 v31, v29, v29
	s_delay_alu instid0(VALU_DEP_1) | instskip(SKIP_1) | instid1(VALU_DEP_2)
	v_fmaak_f32 v32, s30, v31, 0xbf1f24be
	v_fmaak_f32 v33, s31, v31, 0x3e642e9d
	;; [unrolled: 1-line block ×3, first 2 shown]
	s_delay_alu instid0(VALU_DEP_2) | instskip(NEXT) | instid1(VALU_DEP_2)
	v_dual_fmaak_f32 v33, v31, v33, 0xbfaad1da :: v_dual_mul_f32 v34, v29, v31
	v_fmaak_f32 v32, v31, v32, 0xc0a55e0e
	s_delay_alu instid0(VALU_DEP_1) | instskip(NEXT) | instid1(VALU_DEP_1)
	v_dual_fmaak_f32 v33, v31, v33, 0x4081e0d3 :: v_dual_mul_f32 v32, v34, v32
	v_dual_fmaak_f32 v33, v31, v33, 0xc09de9e6 :: v_dual_and_b32 v34, 1, v30
	v_lshlrev_b32_e32 v30, 30, v30
	s_delay_alu instid0(VALU_DEP_3) | instskip(NEXT) | instid1(VALU_DEP_3)
	v_fmac_f32_e32 v32, 0x40490fdb, v29
	v_fma_f32 v29, v31, v33, 1.0
	s_delay_alu instid0(VALU_DEP_4) | instskip(NEXT) | instid1(VALU_DEP_4)
	v_cmp_eq_u32_e64 s4, 0, v34
	v_and_or_b32 v27, 0x80000000, v30, v27
	s_delay_alu instid0(VALU_DEP_2) | instskip(NEXT) | instid1(VALU_DEP_1)
	v_cndmask_b32_e64 v29, v29, v32, s4
	v_xor3_b32 v27, v27, v29, v23
	s_delay_alu instid0(VALU_DEP_1) | instskip(NEXT) | instid1(VALU_DEP_1)
	v_mul_f32_e32 v27, v23, v27
	v_frexp_mant_f32_e64 v29, |v27|
	v_frexp_exp_i32_f32_e32 v27, v27
	s_delay_alu instid0(VALU_DEP_2) | instskip(NEXT) | instid1(VALU_DEP_1)
	v_rcp_f32_e32 v29, v29
	v_sub_nc_u32_e32 v27, 2, v27
	s_waitcnt_depctr 0xfff
	v_mul_f32_e32 v29, 0x3f490fdb, v29
	s_delay_alu instid0(VALU_DEP_1) | instskip(NEXT) | instid1(VALU_DEP_1)
	v_ldexp_f32 v27, v29, v27
	v_cmp_gt_f32_e64 s4, 0x800000, v27
	s_delay_alu instid0(VALU_DEP_1) | instskip(NEXT) | instid1(VALU_DEP_1)
	v_cndmask_b32_e64 v29, 1.0, 0x4f800000, s4
	v_mul_f32_e32 v27, v27, v29
	s_delay_alu instid0(VALU_DEP_1) | instskip(SKIP_3) | instid1(VALU_DEP_2)
	v_log_f32_e32 v27, v27
	s_waitcnt_depctr 0xfff
	v_mul_f32_e32 v29, 0x3f317217, v27
	v_cmp_gt_f32_e64 s5, 0x7f800000, |v27|
	v_fma_f32 v30, 0x3f317217, v27, -v29
	s_delay_alu instid0(VALU_DEP_1) | instskip(NEXT) | instid1(VALU_DEP_1)
	v_fmac_f32_e32 v30, 0x3377d1cf, v27
	v_add_f32_e32 v29, v29, v30
	v_floor_f32_e32 v30, v23
	s_delay_alu instid0(VALU_DEP_2) | instskip(SKIP_1) | instid1(VALU_DEP_3)
	v_cndmask_b32_e64 v27, v27, v29, s5
	v_cndmask_b32_e64 v29, 0, 0x41b17218, s4
	v_sub_f32_e32 v30, v23, v30
	s_delay_alu instid0(VALU_DEP_2) | instskip(NEXT) | instid1(VALU_DEP_1)
	v_sub_f32_e32 v27, v27, v29
	v_dual_min_f32 v29, 0x3f7fffff, v30 :: v_dual_sub_f32 v24, v27, v24
	s_delay_alu instid0(VALU_DEP_1) | instskip(NEXT) | instid1(VALU_DEP_1)
	v_cmp_neq_f32_e64 s4, 0, v29
	v_cndmask_b32_e64 v24, 0x7f800000, v24, s4
.LBB11_204:                             ;   in Loop: Header=BB11_161 Depth=1
	s_or_b32 exec_lo, exec_lo, s7
.LBB11_205:                             ;   in Loop: Header=BB11_161 Depth=1
	s_and_not1_saveexec_b32 s6, s6
; %bb.206:                              ;   in Loop: Header=BB11_161 Depth=1
	v_cmp_eq_f32_e64 s4, 1.0, v23
	v_cmp_eq_f32_e64 s5, 2.0, v23
	s_delay_alu instid0(VALU_DEP_1) | instskip(NEXT) | instid1(SALU_CYCLE_1)
	s_or_b32 s4, s4, s5
	v_cndmask_b32_e64 v24, v24, 0, s4
; %bb.207:                              ;   in Loop: Header=BB11_161 Depth=1
	s_or_b32 exec_lo, exec_lo, s6
	v_lshlrev_b32_e32 v25, 16, v25
                                        ; implicit-def: $vgpr27
	s_mov_b32 s5, exec_lo
	s_delay_alu instid0(VALU_DEP_1)
	v_and_b32_e32 v29, 0x7fffffff, v25
	v_cmpx_ngt_f32_e64 0x3c800000, |v25|
	s_xor_b32 s6, exec_lo, s5
	s_cbranch_execz .LBB11_237
; %bb.208:                              ;   in Loop: Header=BB11_161 Depth=1
                                        ; implicit-def: $vgpr27
	s_mov_b32 s5, exec_lo
	v_cmpx_nlt_f32_e64 |v25|, 2.0
	s_xor_b32 s7, exec_lo, s5
	s_cbranch_execz .LBB11_218
; %bb.209:                              ;   in Loop: Header=BB11_161 Depth=1
	s_mov_b32 s5, exec_lo
                                        ; implicit-def: $vgpr27
	v_cmpx_ngt_f32_e64 0x41000000, |v25|
	s_xor_b32 s5, exec_lo, s5
	s_cbranch_execz .LBB11_215
; %bb.210:                              ;   in Loop: Header=BB11_161 Depth=1
	s_mov_b32 s8, exec_lo
                                        ; implicit-def: $vgpr27
	v_cmpx_ngt_f32_e64 0x5c800000, |v25|
	s_xor_b32 s8, exec_lo, s8
	s_cbranch_execz .LBB11_212
; %bb.211:                              ;   in Loop: Header=BB11_161 Depth=1
	v_cmp_gt_f32_e64 s33, 0x800000, |v25|
	s_delay_alu instid0(VALU_DEP_1) | instskip(NEXT) | instid1(VALU_DEP_1)
	v_cndmask_b32_e64 v27, 1.0, 0x4f800000, s33
	v_mul_f32_e64 v27, |v25|, v27
	s_delay_alu instid0(VALU_DEP_1) | instskip(SKIP_3) | instid1(VALU_DEP_2)
	v_log_f32_e32 v27, v27
	s_waitcnt_depctr 0xfff
	v_mul_f32_e32 v30, 0x3f317217, v27
	v_cmp_gt_f32_e64 s4, 0x7f800000, |v27|
	v_fma_f32 v31, 0x3f317217, v27, -v30
	s_delay_alu instid0(VALU_DEP_1) | instskip(NEXT) | instid1(VALU_DEP_1)
	v_fmac_f32_e32 v31, 0x3377d1cf, v27
	v_add_f32_e32 v30, v30, v31
	s_delay_alu instid0(VALU_DEP_1) | instskip(SKIP_1) | instid1(VALU_DEP_1)
	v_cndmask_b32_e64 v27, v27, v30, s4
	v_cndmask_b32_e64 v30, 0, 0x41b17218, s33
	v_sub_f32_e32 v27, v27, v30
	s_delay_alu instid0(VALU_DEP_1)
	v_fma_f32 v27, |v25|, v27, -|v25|
.LBB11_212:                             ;   in Loop: Header=BB11_161 Depth=1
	s_and_not1_saveexec_b32 s8, s8
	s_cbranch_execz .LBB11_214
; %bb.213:                              ;   in Loop: Header=BB11_161 Depth=1
	v_cmp_gt_f32_e64 s33, 0x800000, |v25|
	v_rcp_f32_e64 v30, |v25|
	s_delay_alu instid0(VALU_DEP_1) | instskip(NEXT) | instid1(VALU_DEP_1)
	v_cndmask_b32_e64 v27, 1.0, 0x4f800000, s33
	v_mul_f32_e64 v27, |v25|, v27
	s_delay_alu instid0(VALU_DEP_1) | instskip(SKIP_3) | instid1(VALU_DEP_2)
	v_log_f32_e32 v27, v27
	s_waitcnt_depctr 0xfff
	v_dual_mul_f32 v31, v30, v30 :: v_dual_mul_f32 v32, 0x3f317217, v27
	v_cmp_gt_f32_e64 s4, 0x7f800000, |v27|
	v_fma_f32 v34, 0x3f317217, v27, -v32
	s_delay_alu instid0(VALU_DEP_1) | instskip(NEXT) | instid1(VALU_DEP_1)
	v_fmac_f32_e32 v34, 0x3377d1cf, v27
	v_dual_fmaak_f32 v33, s9, v31, 0x3a5b3dd2 :: v_dual_add_f32 v32, v32, v34
	s_delay_alu instid0(VALU_DEP_1) | instskip(NEXT) | instid1(VALU_DEP_2)
	v_fmaak_f32 v33, v31, v33, 0xba1c065c
	v_cndmask_b32_e64 v27, v27, v32, s4
	s_delay_alu instid0(VALU_DEP_2) | instskip(SKIP_1) | instid1(VALU_DEP_2)
	v_fmaak_f32 v33, v31, v33, 0x3a500cfd
	v_cndmask_b32_e64 v32, 0, 0x41b17218, s33
	v_fmaak_f32 v33, v31, v33, 0xbb360b61
	s_delay_alu instid0(VALU_DEP_1) | instskip(NEXT) | instid1(VALU_DEP_1)
	v_fmaak_f32 v31, v31, v33, 0x3daaaaab
	v_dual_sub_f32 v32, v27, v32 :: v_dual_fmaak_f32 v27, v30, v31, 0x3ed67f1d
	v_add_f32_e64 v30, |v25|, -0.5
	s_delay_alu instid0(VALU_DEP_2) | instskip(NEXT) | instid1(VALU_DEP_1)
	v_add_f32_e32 v31, -1.0, v32
	v_fmac_f32_e32 v27, v30, v31
.LBB11_214:                             ;   in Loop: Header=BB11_161 Depth=1
	s_or_b32 exec_lo, exec_lo, s8
.LBB11_215:                             ;   in Loop: Header=BB11_161 Depth=1
	s_and_not1_saveexec_b32 s8, s5
	s_cbranch_execz .LBB11_217
; %bb.216:                              ;   in Loop: Header=BB11_161 Depth=1
	v_cvt_i32_f32_e32 v27, v29
	s_delay_alu instid0(VALU_DEP_1) | instskip(SKIP_1) | instid1(VALU_DEP_2)
	v_cvt_f32_i32_e32 v30, v27
	v_cmp_lt_i32_e64 s4, 2, v27
	v_sub_f32_e64 v30, |v25|, v30
	s_delay_alu instid0(VALU_DEP_1) | instskip(SKIP_2) | instid1(VALU_DEP_3)
	v_add_f32_e32 v31, 2.0, v30
	v_add_f32_e32 v32, 0x40400000, v30
	v_add_f32_e32 v33, 4.0, v30
	v_cndmask_b32_e64 v31, 1.0, v31, s4
	v_cmp_lt_i32_e64 s4, 3, v27
	s_delay_alu instid0(VALU_DEP_1) | instskip(SKIP_1) | instid1(VALU_DEP_2)
	v_cndmask_b32_e64 v32, 1.0, v32, s4
	v_cmp_lt_i32_e64 s4, 4, v27
	v_dual_add_f32 v34, 0x40a00000, v30 :: v_dual_mul_f32 v31, v31, v32
	s_delay_alu instid0(VALU_DEP_2) | instskip(SKIP_1) | instid1(VALU_DEP_2)
	v_cndmask_b32_e64 v33, 1.0, v33, s4
	v_cmp_lt_i32_e64 s4, 5, v27
	v_mul_f32_e32 v31, v33, v31
	s_delay_alu instid0(VALU_DEP_2) | instskip(SKIP_3) | instid1(VALU_DEP_4)
	v_cndmask_b32_e64 v34, 1.0, v34, s4
	v_add_f32_e32 v32, 0x40c00000, v30
	v_cmp_lt_i32_e64 s4, 6, v27
	v_fmaak_f32 v33, s20, v30, 0x3af135b4
	v_mul_f32_e32 v31, v34, v31
	s_delay_alu instid0(VALU_DEP_3) | instskip(NEXT) | instid1(VALU_DEP_1)
	v_cndmask_b32_e64 v27, 1.0, v32, s4
	v_mul_f32_e32 v27, v27, v31
	s_delay_alu instid0(VALU_DEP_1) | instskip(NEXT) | instid1(VALU_DEP_1)
	v_cmp_gt_f32_e64 s4, 0x800000, v27
	v_cndmask_b32_e64 v32, 1.0, 0x4f800000, s4
	s_delay_alu instid0(VALU_DEP_1) | instskip(NEXT) | instid1(VALU_DEP_1)
	v_dual_mul_f32 v27, v27, v32 :: v_dual_fmaak_f32 v32, v30, v33, 0x3cda40e4
	v_log_f32_e32 v27, v27
	s_delay_alu instid0(VALU_DEP_1) | instskip(NEXT) | instid1(VALU_DEP_1)
	v_fmaak_f32 v32, v30, v32, 0x3e15dce6
	v_fmaak_f32 v32, v30, v32, 0x3ea6cc7a
	s_waitcnt_depctr 0xfff
	v_mul_f32_e32 v33, 0x3f317217, v27
	v_cmp_gt_f32_e64 s5, 0x7f800000, |v27|
	s_delay_alu instid0(VALU_DEP_2) | instskip(NEXT) | instid1(VALU_DEP_1)
	v_fma_f32 v34, 0x3f317217, v27, -v33
	v_fmac_f32_e32 v34, 0x3377d1cf, v27
	s_delay_alu instid0(VALU_DEP_1) | instskip(NEXT) | instid1(VALU_DEP_1)
	v_dual_fmaak_f32 v32, v30, v32, 0x3e5c245a :: v_dual_add_f32 v33, v33, v34
	v_fmaak_f32 v32, v30, v32, 0xbd9e233f
	v_fmaak_f32 v31, s21, v30, 0x3a4beed6
	s_delay_alu instid0(VALU_DEP_3) | instskip(NEXT) | instid1(VALU_DEP_3)
	v_cndmask_b32_e64 v27, v27, v33, s5
	v_mul_f32_e32 v32, v30, v32
	s_delay_alu instid0(VALU_DEP_3) | instskip(NEXT) | instid1(VALU_DEP_1)
	v_fmaak_f32 v31, v30, v31, 0x3c98bf54
	v_fmaak_f32 v31, v30, v31, 0x3e300f6e
	s_delay_alu instid0(VALU_DEP_1) | instskip(NEXT) | instid1(VALU_DEP_1)
	v_fmaak_f32 v31, v30, v31, 0x3f38d0c5
	v_fmaak_f32 v31, v30, v31, 0x3fb22d3b
	s_delay_alu instid0(VALU_DEP_1) | instskip(NEXT) | instid1(VALU_DEP_1)
	v_fma_f32 v31, v30, v31, 1.0
	v_rcp_f32_e32 v31, v31
	s_waitcnt_depctr 0xfff
	v_mul_f32_e32 v31, v32, v31
	v_cndmask_b32_e64 v32, 0, 0x41b17218, s4
	s_delay_alu instid0(VALU_DEP_2) | instskip(NEXT) | instid1(VALU_DEP_2)
	v_fmac_f32_e32 v31, 0.5, v30
	v_sub_f32_e32 v27, v27, v32
	s_delay_alu instid0(VALU_DEP_1)
	v_add_f32_e32 v27, v27, v31
.LBB11_217:                             ;   in Loop: Header=BB11_161 Depth=1
	s_or_b32 exec_lo, exec_lo, s8
.LBB11_218:                             ;   in Loop: Header=BB11_161 Depth=1
	s_and_not1_saveexec_b32 s7, s7
	s_cbranch_execz .LBB11_236
; %bb.219:                              ;   in Loop: Header=BB11_161 Depth=1
                                        ; implicit-def: $vgpr27
                                        ; implicit-def: $vgpr31
                                        ; implicit-def: $vgpr30
	s_mov_b32 s5, exec_lo
	v_cmpx_ge_f32_e64 0x3f666666, |v25|
	s_xor_b32 s8, exec_lo, s5
	s_cbranch_execz .LBB11_221
; %bb.220:                              ;   in Loop: Header=BB11_161 Depth=1
	v_cmp_gt_f32_e64 s5, 0x800000, |v25|
	v_sub_f32_e64 v32, 1.0, |v25|
	v_cmp_gt_f32_e64 s4, 0x3f3b4a23, |v25|
	s_delay_alu instid0(VALU_DEP_3) | instskip(SKIP_1) | instid1(VALU_DEP_2)
	v_cndmask_b32_e64 v27, 1.0, 0x4f800000, s5
	v_cndmask_b32_e64 v33, 0, 0x41b17218, s5
	v_mul_f32_e64 v27, |v25|, v27
	s_delay_alu instid0(VALU_DEP_1) | instskip(SKIP_3) | instid1(VALU_DEP_2)
	v_log_f32_e32 v27, v27
	s_waitcnt_depctr 0xfff
	v_mul_f32_e32 v30, 0x3f317217, v27
	v_cmp_gt_f32_e64 s5, 0x7f800000, |v27|
	v_fma_f32 v31, 0x3f317217, v27, -v30
	s_delay_alu instid0(VALU_DEP_1) | instskip(NEXT) | instid1(VALU_DEP_1)
	v_fmac_f32_e32 v31, 0x3377d1cf, v27
	v_add_f32_e32 v30, v30, v31
	v_add_f32_e64 v31, 0xbeec5b0c, |v25|
	s_delay_alu instid0(VALU_DEP_2) | instskip(NEXT) | instid1(VALU_DEP_2)
	v_cndmask_b32_e64 v27, v27, v30, s5
	v_cndmask_b32_e64 v30, v32, v31, s4
	;; [unrolled: 1-line block ×3, first 2 shown]
	v_cmp_gt_f32_e64 s4, 0x3e6d3309, |v25|
	s_delay_alu instid0(VALU_DEP_4) | instskip(NEXT) | instid1(VALU_DEP_2)
	v_sub_f32_e32 v27, v27, v33
	v_cndmask_b32_e64 v30, v30, |v25|, s4
	s_delay_alu instid0(VALU_DEP_4) | instskip(NEXT) | instid1(VALU_DEP_3)
	v_cndmask_b32_e64 v31, v31, 2, s4
	v_xor_b32_e32 v27, 0x80000000, v27
.LBB11_221:                             ;   in Loop: Header=BB11_161 Depth=1
	s_and_not1_saveexec_b32 s5, s8
; %bb.222:                              ;   in Loop: Header=BB11_161 Depth=1
	v_sub_f32_e64 v27, 2.0, |v25|
	v_add_f32_e64 v30, 0xbfbb16c3, |v25|
	v_cmp_gt_f32_e64 s4, 0x3fdda512, |v25|
	v_add_f32_e64 v31, |v25|, -1.0
	s_delay_alu instid0(VALU_DEP_2) | instskip(SKIP_2) | instid1(VALU_DEP_2)
	v_cndmask_b32_e64 v30, v27, v30, s4
	v_cndmask_b32_e64 v27, v27, 1.0, s4
	v_cmp_gt_f32_e64 s4, 0x3f9d70a4, |v25|
	v_cvt_i32_f32_e32 v27, v27
	s_delay_alu instid0(VALU_DEP_2) | instskip(NEXT) | instid1(VALU_DEP_2)
	v_cndmask_b32_e64 v30, v30, v31, s4
	v_cndmask_b32_e64 v31, v27, 2, s4
	v_mov_b32_e32 v27, 0
; %bb.223:                              ;   in Loop: Header=BB11_161 Depth=1
	s_or_b32 exec_lo, exec_lo, s5
	s_delay_alu instid0(SALU_CYCLE_1) | instskip(NEXT) | instid1(VALU_DEP_2)
	s_mov_b32 s5, exec_lo
	v_cmpx_lt_i32_e32 0, v31
	s_xor_b32 s5, exec_lo, s5
	s_cbranch_execz .LBB11_231
; %bb.224:                              ;   in Loop: Header=BB11_161 Depth=1
	s_mov_b32 s8, exec_lo
	v_cmpx_lt_i32_e32 1, v31
	s_xor_b32 s8, exec_lo, s8
	s_cbranch_execz .LBB11_228
; %bb.225:                              ;   in Loop: Header=BB11_161 Depth=1
	s_mov_b32 s33, exec_lo
	v_cmpx_eq_u32_e32 2, v31
	s_cbranch_execz .LBB11_227
; %bb.226:                              ;   in Loop: Header=BB11_161 Depth=1
	v_fmaak_f32 v32, s22, v30, 0x3e6a7578
	s_delay_alu instid0(VALU_DEP_1) | instskip(NEXT) | instid1(VALU_DEP_1)
	v_fmaak_f32 v32, v30, v32, 0x3f7a4bb2
	v_fmaak_f32 v32, v30, v32, 0x3fba3ae7
	s_delay_alu instid0(VALU_DEP_1) | instskip(NEXT) | instid1(VALU_DEP_1)
	v_fmaak_f32 v32, v30, v32, 0x3f2200f4
	v_fmaak_f32 v32, v30, v32, 0xbd9e233f
	s_delay_alu instid0(VALU_DEP_1) | instskip(NEXT) | instid1(VALU_DEP_1)
	v_dual_fmaak_f32 v31, s23, v30, 0x3dd572af :: v_dual_mul_f32 v32, v30, v32
	v_fmaak_f32 v31, v30, v31, 0x3f44efdf
	s_delay_alu instid0(VALU_DEP_1) | instskip(NEXT) | instid1(VALU_DEP_1)
	v_fmaak_f32 v31, v30, v31, 0x4008392d
	v_fmaak_f32 v31, v30, v31, 0x401d2ebe
	s_delay_alu instid0(VALU_DEP_1) | instskip(NEXT) | instid1(VALU_DEP_1)
	v_fma_f32 v31, v30, v31, 1.0
	v_rcp_f32_e32 v31, v31
	s_waitcnt_depctr 0xfff
	v_mul_f32_e32 v31, v32, v31
	s_delay_alu instid0(VALU_DEP_1) | instskip(NEXT) | instid1(VALU_DEP_1)
	v_fmac_f32_e32 v31, -0.5, v30
	v_add_f32_e32 v27, v27, v31
.LBB11_227:                             ;   in Loop: Header=BB11_161 Depth=1
	s_or_b32 exec_lo, exec_lo, s33
                                        ; implicit-def: $vgpr30
.LBB11_228:                             ;   in Loop: Header=BB11_161 Depth=1
	s_and_not1_saveexec_b32 s4, s8
	s_cbranch_execz .LBB11_230
; %bb.229:                              ;   in Loop: Header=BB11_161 Depth=1
	v_mul_f32_e32 v31, v30, v30
	s_delay_alu instid0(VALU_DEP_1) | instskip(NEXT) | instid1(VALU_DEP_1)
	v_mul_f32_e32 v32, v30, v31
	v_fmaak_f32 v33, s25, v32, 0x3a66f867
	v_fmaak_f32 v34, s26, v32, 0xba0d3085
	;; [unrolled: 1-line block ×3, first 2 shown]
	s_delay_alu instid0(VALU_DEP_3) | instskip(NEXT) | instid1(VALU_DEP_3)
	v_fmaak_f32 v33, v32, v33, 0xbb7177fe
	v_fmaak_f32 v34, v32, v34, 0x3b141699
	s_delay_alu instid0(VALU_DEP_3) | instskip(NEXT) | instid1(VALU_DEP_3)
	v_fmaak_f32 v35, v32, v35, 0x3bc7e707
	v_fmaak_f32 v33, v32, v33, 0x3c93373d
	;; [unrolled: 3-line block ×4, first 2 shown]
	s_delay_alu instid0(VALU_DEP_1) | instskip(NEXT) | instid1(VALU_DEP_1)
	v_dual_fmac_f32 v33, v30, v34 :: v_dual_fmaak_f32 v30, v32, v35, 0x3ef7b95e
	v_fma_f32 v32, v32, -v33, 0xa2863e55
	s_delay_alu instid0(VALU_DEP_1) | instskip(NEXT) | instid1(VALU_DEP_1)
	v_fma_f32 v30, v31, v30, -v32
	v_add_f32_e32 v30, 0xbdf8cdce, v30
	s_delay_alu instid0(VALU_DEP_1)
	v_add_f32_e32 v27, v27, v30
.LBB11_230:                             ;   in Loop: Header=BB11_161 Depth=1
	s_or_b32 exec_lo, exec_lo, s4
                                        ; implicit-def: $vgpr31
                                        ; implicit-def: $vgpr30
.LBB11_231:                             ;   in Loop: Header=BB11_161 Depth=1
	s_and_not1_saveexec_b32 s5, s5
	s_cbranch_execz .LBB11_235
; %bb.232:                              ;   in Loop: Header=BB11_161 Depth=1
	s_mov_b32 s8, exec_lo
	v_cmpx_eq_u32_e32 0, v31
	s_cbranch_execz .LBB11_234
; %bb.233:                              ;   in Loop: Header=BB11_161 Depth=1
	v_mul_f32_e32 v31, v30, v30
	s_delay_alu instid0(VALU_DEP_1) | instskip(NEXT) | instid1(VALU_DEP_1)
	v_fmaak_f32 v33, s27, v31, 0x39679767
	v_fmaak_f32 v33, v31, v33, 0x3a9c54a1
	s_delay_alu instid0(VALU_DEP_1) | instskip(NEXT) | instid1(VALU_DEP_1)
	v_fmaak_f32 v33, v31, v33, 0x3bf2027e
	v_fmaak_f32 v33, v31, v33, 0x3d89f001
	s_delay_alu instid0(VALU_DEP_1) | instskip(SKIP_1) | instid1(VALU_DEP_1)
	v_fmaak_f32 v33, v31, v33, 0x3d9e233f
	v_fmaak_f32 v32, s28, v31, 0x38e28445
	;; [unrolled: 1-line block ×3, first 2 shown]
	s_delay_alu instid0(VALU_DEP_1) | instskip(NEXT) | instid1(VALU_DEP_1)
	v_fmaak_f32 v32, v31, v32, 0x3b3d6ec6
	v_fmaak_f32 v32, v31, v32, 0x3ca89915
	s_delay_alu instid0(VALU_DEP_1) | instskip(NEXT) | instid1(VALU_DEP_1)
	v_fmaak_f32 v32, v31, v32, 0x3ea51a66
	v_mul_f32_e32 v31, v31, v32
	s_delay_alu instid0(VALU_DEP_1) | instskip(NEXT) | instid1(VALU_DEP_1)
	v_fmac_f32_e32 v31, v30, v33
	v_fmac_f32_e32 v31, -0.5, v30
	s_delay_alu instid0(VALU_DEP_1)
	v_add_f32_e32 v27, v27, v31
.LBB11_234:                             ;   in Loop: Header=BB11_161 Depth=1
	s_or_b32 exec_lo, exec_lo, s8
.LBB11_235:                             ;   in Loop: Header=BB11_161 Depth=1
	s_delay_alu instid0(SALU_CYCLE_1)
	s_or_b32 exec_lo, exec_lo, s5
.LBB11_236:                             ;   in Loop: Header=BB11_161 Depth=1
	s_delay_alu instid0(SALU_CYCLE_1)
	s_or_b32 exec_lo, exec_lo, s7
.LBB11_237:                             ;   in Loop: Header=BB11_161 Depth=1
	s_and_not1_saveexec_b32 s5, s6
	s_cbranch_execz .LBB11_239
; %bb.238:                              ;   in Loop: Header=BB11_161 Depth=1
	v_cmp_gt_f32_e64 s6, 0x800000, |v25|
	v_fma_f32 v32, |v25|, s29, 0xbecd26ab
	s_delay_alu instid0(VALU_DEP_2) | instskip(NEXT) | instid1(VALU_DEP_1)
	v_cndmask_b32_e64 v27, 1.0, 0x4f800000, s6
	v_mul_f32_e64 v27, |v25|, v27
	s_delay_alu instid0(VALU_DEP_1) | instskip(SKIP_3) | instid1(VALU_DEP_2)
	v_log_f32_e32 v27, v27
	s_waitcnt_depctr 0xfff
	v_mul_f32_e32 v30, 0x3f317217, v27
	v_cmp_gt_f32_e64 s4, 0x7f800000, |v27|
	v_fma_f32 v31, 0x3f317217, v27, -v30
	s_delay_alu instid0(VALU_DEP_1) | instskip(NEXT) | instid1(VALU_DEP_1)
	v_fmac_f32_e32 v31, 0x3377d1cf, v27
	v_add_f32_e32 v30, v30, v31
	v_fma_f32 v31, |v25|, v32, 0x3f528d33
	s_delay_alu instid0(VALU_DEP_2) | instskip(SKIP_1) | instid1(VALU_DEP_3)
	v_cndmask_b32_e64 v27, v27, v30, s4
	v_cndmask_b32_e64 v30, 0, 0x41b17218, s6
	v_fma_f32 v31, |v25|, v31, 0xbf13c468
	s_delay_alu instid0(VALU_DEP_2) | instskip(NEXT) | instid1(VALU_DEP_1)
	v_sub_f32_e32 v27, v27, v30
	v_fma_f32 v27, |v25|, v31, -v27
.LBB11_239:                             ;   in Loop: Header=BB11_161 Depth=1
	s_or_b32 exec_lo, exec_lo, s5
	v_cmp_le_f32_e64 s4, 0, v25
	s_mov_b32 s6, exec_lo
	v_cmpx_nle_f32_e32 0, v25
	s_xor_b32 s7, exec_lo, s6
	s_cbranch_execz .LBB11_243
; %bb.240:                              ;   in Loop: Header=BB11_161 Depth=1
	v_cmp_gt_f32_e64 s5, 0x4b000000, |v25|
	v_cmp_lt_f32_e64 s6, 0x35000000, |v25|
	s_delay_alu instid0(VALU_DEP_1) | instskip(NEXT) | instid1(SALU_CYCLE_1)
	s_and_b32 s5, s5, s6
	s_and_saveexec_b32 s8, s5
	s_cbranch_execz .LBB11_242
; %bb.241:                              ;   in Loop: Header=BB11_161 Depth=1
	v_mul_f32_e64 v30, |v25|, 0.5
	s_delay_alu instid0(VALU_DEP_1) | instskip(SKIP_1) | instid1(VALU_DEP_2)
	v_floor_f32_e32 v31, v30
	v_cmp_neq_f32_e64 s5, 0x7f800000, v30
	v_sub_f32_e32 v31, v30, v31
	s_delay_alu instid0(VALU_DEP_1) | instskip(NEXT) | instid1(VALU_DEP_1)
	v_min_f32_e32 v31, 0x3f7fffff, v31
	v_add_f32_e32 v31, v31, v31
	s_delay_alu instid0(VALU_DEP_1) | instskip(SKIP_1) | instid1(VALU_DEP_1)
	v_cndmask_b32_e64 v30, 0, v31, s5
	v_cmp_gt_f32_e64 s5, |v25|, 1.0
	v_cndmask_b32_e64 v30, |v25|, v30, s5
	s_delay_alu instid0(VALU_DEP_1) | instskip(NEXT) | instid1(VALU_DEP_1)
	v_add_f32_e32 v31, v30, v30
	v_rndne_f32_e32 v31, v31
	s_delay_alu instid0(VALU_DEP_1) | instskip(SKIP_1) | instid1(VALU_DEP_2)
	v_fmac_f32_e32 v30, -0.5, v31
	v_cvt_i32_f32_e32 v31, v31
	v_mul_f32_e32 v32, v30, v30
	s_delay_alu instid0(VALU_DEP_1) | instskip(SKIP_1) | instid1(VALU_DEP_2)
	v_fmaak_f32 v33, s30, v32, 0xbf1f24be
	v_fmaak_f32 v34, s31, v32, 0x3e642e9d
	v_fmaak_f32 v33, v32, v33, 0x40234736
	s_delay_alu instid0(VALU_DEP_2) | instskip(NEXT) | instid1(VALU_DEP_2)
	v_dual_fmaak_f32 v34, v32, v34, 0xbfaad1da :: v_dual_mul_f32 v35, v30, v32
	v_fmaak_f32 v33, v32, v33, 0xc0a55e0e
	s_delay_alu instid0(VALU_DEP_1) | instskip(NEXT) | instid1(VALU_DEP_1)
	v_dual_fmaak_f32 v34, v32, v34, 0x4081e0d3 :: v_dual_mul_f32 v33, v35, v33
	v_dual_fmaak_f32 v34, v32, v34, 0xc09de9e6 :: v_dual_and_b32 v35, 1, v31
	v_lshlrev_b32_e32 v31, 30, v31
	s_delay_alu instid0(VALU_DEP_3) | instskip(NEXT) | instid1(VALU_DEP_3)
	v_fmac_f32_e32 v33, 0x40490fdb, v30
	v_fma_f32 v30, v32, v34, 1.0
	s_delay_alu instid0(VALU_DEP_4) | instskip(NEXT) | instid1(VALU_DEP_4)
	v_cmp_eq_u32_e64 s5, 0, v35
	v_and_or_b32 v29, 0x80000000, v31, v29
	s_delay_alu instid0(VALU_DEP_2) | instskip(NEXT) | instid1(VALU_DEP_1)
	v_cndmask_b32_e64 v30, v30, v33, s5
	v_xor3_b32 v29, v29, v30, v25
	s_delay_alu instid0(VALU_DEP_1) | instskip(NEXT) | instid1(VALU_DEP_1)
	v_mul_f32_e32 v29, v25, v29
	v_frexp_mant_f32_e64 v30, |v29|
	v_frexp_exp_i32_f32_e32 v29, v29
	s_delay_alu instid0(VALU_DEP_2) | instskip(NEXT) | instid1(VALU_DEP_1)
	v_rcp_f32_e32 v30, v30
	v_sub_nc_u32_e32 v29, 2, v29
	s_waitcnt_depctr 0xfff
	v_mul_f32_e32 v30, 0x3f490fdb, v30
	s_delay_alu instid0(VALU_DEP_1) | instskip(NEXT) | instid1(VALU_DEP_1)
	v_ldexp_f32 v29, v30, v29
	v_cmp_gt_f32_e64 s5, 0x800000, v29
	s_delay_alu instid0(VALU_DEP_1) | instskip(NEXT) | instid1(VALU_DEP_1)
	v_cndmask_b32_e64 v30, 1.0, 0x4f800000, s5
	v_mul_f32_e32 v29, v29, v30
	s_delay_alu instid0(VALU_DEP_1) | instskip(SKIP_3) | instid1(VALU_DEP_2)
	v_log_f32_e32 v29, v29
	s_waitcnt_depctr 0xfff
	v_mul_f32_e32 v30, 0x3f317217, v29
	v_cmp_gt_f32_e64 s6, 0x7f800000, |v29|
	v_fma_f32 v31, 0x3f317217, v29, -v30
	s_delay_alu instid0(VALU_DEP_1) | instskip(NEXT) | instid1(VALU_DEP_1)
	v_fmac_f32_e32 v31, 0x3377d1cf, v29
	v_add_f32_e32 v30, v30, v31
	v_floor_f32_e32 v31, v25
	s_delay_alu instid0(VALU_DEP_2) | instskip(SKIP_1) | instid1(VALU_DEP_3)
	v_cndmask_b32_e64 v29, v29, v30, s6
	v_cndmask_b32_e64 v30, 0, 0x41b17218, s5
	v_sub_f32_e32 v31, v25, v31
	s_delay_alu instid0(VALU_DEP_1) | instskip(NEXT) | instid1(VALU_DEP_1)
	v_dual_sub_f32 v29, v29, v30 :: v_dual_min_f32 v30, 0x3f7fffff, v31
	v_sub_f32_e32 v27, v29, v27
	s_delay_alu instid0(VALU_DEP_2) | instskip(NEXT) | instid1(VALU_DEP_1)
	v_cmp_neq_f32_e64 s5, 0, v30
	v_cndmask_b32_e64 v27, 0x7f800000, v27, s5
.LBB11_242:                             ;   in Loop: Header=BB11_161 Depth=1
	s_or_b32 exec_lo, exec_lo, s8
.LBB11_243:                             ;   in Loop: Header=BB11_161 Depth=1
	s_and_not1_saveexec_b32 s7, s7
; %bb.244:                              ;   in Loop: Header=BB11_161 Depth=1
	v_cmp_eq_f32_e64 s5, 1.0, v25
	v_cmp_eq_f32_e64 s6, 2.0, v25
	s_delay_alu instid0(VALU_DEP_1) | instskip(NEXT) | instid1(SALU_CYCLE_1)
	s_or_b32 s5, s5, s6
	v_cndmask_b32_e64 v27, v27, 0, s5
; %bb.245:                              ;   in Loop: Header=BB11_161 Depth=1
	s_or_b32 exec_lo, exec_lo, s7
	v_lshlrev_b32_e32 v28, 16, v28
                                        ; implicit-def: $vgpr29
	s_mov_b32 s6, exec_lo
	s_delay_alu instid0(VALU_DEP_1)
	v_and_b32_e32 v30, 0x7fffffff, v28
	v_cmpx_ngt_f32_e64 0x3c800000, |v28|
	s_xor_b32 s7, exec_lo, s6
	s_cbranch_execz .LBB11_275
; %bb.246:                              ;   in Loop: Header=BB11_161 Depth=1
                                        ; implicit-def: $vgpr29
	s_mov_b32 s6, exec_lo
	v_cmpx_nlt_f32_e64 |v28|, 2.0
	s_xor_b32 s8, exec_lo, s6
	s_cbranch_execz .LBB11_256
; %bb.247:                              ;   in Loop: Header=BB11_161 Depth=1
	s_mov_b32 s6, exec_lo
                                        ; implicit-def: $vgpr29
	v_cmpx_ngt_f32_e64 0x41000000, |v28|
	s_xor_b32 s6, exec_lo, s6
	s_cbranch_execz .LBB11_253
; %bb.248:                              ;   in Loop: Header=BB11_161 Depth=1
	s_mov_b32 s33, exec_lo
                                        ; implicit-def: $vgpr29
	v_cmpx_ngt_f32_e64 0x5c800000, |v28|
	s_xor_b32 s33, exec_lo, s33
	s_cbranch_execz .LBB11_250
; %bb.249:                              ;   in Loop: Header=BB11_161 Depth=1
	v_cmp_gt_f32_e64 s34, 0x800000, |v28|
	s_delay_alu instid0(VALU_DEP_1) | instskip(NEXT) | instid1(VALU_DEP_1)
	v_cndmask_b32_e64 v29, 1.0, 0x4f800000, s34
	v_mul_f32_e64 v29, |v28|, v29
	s_delay_alu instid0(VALU_DEP_1) | instskip(SKIP_3) | instid1(VALU_DEP_2)
	v_log_f32_e32 v29, v29
	s_waitcnt_depctr 0xfff
	v_mul_f32_e32 v31, 0x3f317217, v29
	v_cmp_gt_f32_e64 s5, 0x7f800000, |v29|
	v_fma_f32 v32, 0x3f317217, v29, -v31
	s_delay_alu instid0(VALU_DEP_1) | instskip(NEXT) | instid1(VALU_DEP_1)
	v_fmac_f32_e32 v32, 0x3377d1cf, v29
	v_add_f32_e32 v31, v31, v32
	s_delay_alu instid0(VALU_DEP_1) | instskip(SKIP_1) | instid1(VALU_DEP_1)
	v_cndmask_b32_e64 v29, v29, v31, s5
	v_cndmask_b32_e64 v31, 0, 0x41b17218, s34
	v_sub_f32_e32 v29, v29, v31
	s_delay_alu instid0(VALU_DEP_1)
	v_fma_f32 v29, |v28|, v29, -|v28|
.LBB11_250:                             ;   in Loop: Header=BB11_161 Depth=1
	s_and_not1_saveexec_b32 s33, s33
	s_cbranch_execz .LBB11_252
; %bb.251:                              ;   in Loop: Header=BB11_161 Depth=1
	v_cmp_gt_f32_e64 s34, 0x800000, |v28|
	v_rcp_f32_e64 v31, |v28|
	s_delay_alu instid0(VALU_DEP_1) | instskip(NEXT) | instid1(VALU_DEP_1)
	v_cndmask_b32_e64 v29, 1.0, 0x4f800000, s34
	v_mul_f32_e64 v29, |v28|, v29
	s_delay_alu instid0(VALU_DEP_1) | instskip(SKIP_3) | instid1(VALU_DEP_2)
	v_log_f32_e32 v29, v29
	s_waitcnt_depctr 0xfff
	v_dual_mul_f32 v32, v31, v31 :: v_dual_mul_f32 v33, 0x3f317217, v29
	v_cmp_gt_f32_e64 s5, 0x7f800000, |v29|
	v_fma_f32 v35, 0x3f317217, v29, -v33
	s_delay_alu instid0(VALU_DEP_1) | instskip(NEXT) | instid1(VALU_DEP_1)
	v_fmac_f32_e32 v35, 0x3377d1cf, v29
	v_dual_fmaak_f32 v34, s9, v32, 0x3a5b3dd2 :: v_dual_add_f32 v33, v33, v35
	s_delay_alu instid0(VALU_DEP_1) | instskip(SKIP_1) | instid1(VALU_DEP_1)
	v_cndmask_b32_e64 v29, v29, v33, s5
	v_cndmask_b32_e64 v33, 0, 0x41b17218, s34
	v_dual_fmaak_f32 v34, v32, v34, 0xba1c065c :: v_dual_sub_f32 v33, v29, v33
	s_delay_alu instid0(VALU_DEP_1) | instskip(NEXT) | instid1(VALU_DEP_1)
	v_fmaak_f32 v34, v32, v34, 0x3a500cfd
	v_fmaak_f32 v34, v32, v34, 0xbb360b61
	s_delay_alu instid0(VALU_DEP_1) | instskip(NEXT) | instid1(VALU_DEP_1)
	v_fmaak_f32 v32, v32, v34, 0x3daaaaab
	v_dual_fmaak_f32 v29, v31, v32, 0x3ed67f1d :: v_dual_add_f32 v32, -1.0, v33
	v_add_f32_e64 v31, |v28|, -0.5
	s_delay_alu instid0(VALU_DEP_1)
	v_fmac_f32_e32 v29, v31, v32
.LBB11_252:                             ;   in Loop: Header=BB11_161 Depth=1
	s_or_b32 exec_lo, exec_lo, s33
.LBB11_253:                             ;   in Loop: Header=BB11_161 Depth=1
	s_and_not1_saveexec_b32 s33, s6
	s_cbranch_execz .LBB11_255
; %bb.254:                              ;   in Loop: Header=BB11_161 Depth=1
	v_cvt_i32_f32_e32 v29, v30
	s_delay_alu instid0(VALU_DEP_1) | instskip(SKIP_1) | instid1(VALU_DEP_2)
	v_cvt_f32_i32_e32 v31, v29
	v_cmp_lt_i32_e64 s5, 2, v29
	v_sub_f32_e64 v31, |v28|, v31
	s_delay_alu instid0(VALU_DEP_1) | instskip(SKIP_2) | instid1(VALU_DEP_3)
	v_add_f32_e32 v32, 2.0, v31
	v_add_f32_e32 v33, 0x40400000, v31
	v_add_f32_e32 v34, 4.0, v31
	v_cndmask_b32_e64 v32, 1.0, v32, s5
	v_cmp_lt_i32_e64 s5, 3, v29
	s_delay_alu instid0(VALU_DEP_1) | instskip(SKIP_1) | instid1(VALU_DEP_2)
	v_cndmask_b32_e64 v33, 1.0, v33, s5
	v_cmp_lt_i32_e64 s5, 4, v29
	v_dual_add_f32 v35, 0x40a00000, v31 :: v_dual_mul_f32 v32, v32, v33
	s_delay_alu instid0(VALU_DEP_2) | instskip(SKIP_1) | instid1(VALU_DEP_2)
	v_cndmask_b32_e64 v34, 1.0, v34, s5
	v_cmp_lt_i32_e64 s5, 5, v29
	v_mul_f32_e32 v32, v34, v32
	s_delay_alu instid0(VALU_DEP_2) | instskip(SKIP_3) | instid1(VALU_DEP_4)
	v_cndmask_b32_e64 v35, 1.0, v35, s5
	v_add_f32_e32 v33, 0x40c00000, v31
	v_cmp_lt_i32_e64 s5, 6, v29
	v_fmaak_f32 v34, s20, v31, 0x3af135b4
	v_mul_f32_e32 v32, v35, v32
	s_delay_alu instid0(VALU_DEP_3) | instskip(NEXT) | instid1(VALU_DEP_1)
	v_cndmask_b32_e64 v29, 1.0, v33, s5
	v_mul_f32_e32 v29, v29, v32
	s_delay_alu instid0(VALU_DEP_1) | instskip(NEXT) | instid1(VALU_DEP_1)
	v_cmp_gt_f32_e64 s5, 0x800000, v29
	v_cndmask_b32_e64 v33, 1.0, 0x4f800000, s5
	s_delay_alu instid0(VALU_DEP_1) | instskip(SKIP_1) | instid1(VALU_DEP_2)
	v_mul_f32_e32 v29, v29, v33
	v_fmaak_f32 v33, v31, v34, 0x3cda40e4
	v_log_f32_e32 v29, v29
	s_waitcnt_depctr 0xfff
	v_mul_f32_e32 v34, 0x3f317217, v29
	v_cmp_gt_f32_e64 s6, 0x7f800000, |v29|
	s_delay_alu instid0(VALU_DEP_2) | instskip(NEXT) | instid1(VALU_DEP_1)
	v_fma_f32 v35, 0x3f317217, v29, -v34
	v_fmac_f32_e32 v35, 0x3377d1cf, v29
	s_delay_alu instid0(VALU_DEP_1) | instskip(NEXT) | instid1(VALU_DEP_1)
	v_dual_add_f32 v34, v34, v35 :: v_dual_fmaak_f32 v33, v31, v33, 0x3e15dce6
	v_cndmask_b32_e64 v29, v29, v34, s6
	s_delay_alu instid0(VALU_DEP_2) | instskip(NEXT) | instid1(VALU_DEP_1)
	v_fmaak_f32 v33, v31, v33, 0x3ea6cc7a
	v_fmaak_f32 v33, v31, v33, 0x3e5c245a
	s_delay_alu instid0(VALU_DEP_1) | instskip(NEXT) | instid1(VALU_DEP_1)
	v_fmaak_f32 v33, v31, v33, 0xbd9e233f
	v_dual_fmaak_f32 v32, s21, v31, 0x3a4beed6 :: v_dual_mul_f32 v33, v31, v33
	s_delay_alu instid0(VALU_DEP_1) | instskip(NEXT) | instid1(VALU_DEP_1)
	v_fmaak_f32 v32, v31, v32, 0x3c98bf54
	v_fmaak_f32 v32, v31, v32, 0x3e300f6e
	s_delay_alu instid0(VALU_DEP_1) | instskip(NEXT) | instid1(VALU_DEP_1)
	v_fmaak_f32 v32, v31, v32, 0x3f38d0c5
	v_fmaak_f32 v32, v31, v32, 0x3fb22d3b
	s_delay_alu instid0(VALU_DEP_1) | instskip(NEXT) | instid1(VALU_DEP_1)
	v_fma_f32 v32, v31, v32, 1.0
	v_rcp_f32_e32 v32, v32
	s_waitcnt_depctr 0xfff
	v_mul_f32_e32 v32, v33, v32
	v_cndmask_b32_e64 v33, 0, 0x41b17218, s5
	s_delay_alu instid0(VALU_DEP_1) | instskip(NEXT) | instid1(VALU_DEP_1)
	v_dual_fmac_f32 v32, 0.5, v31 :: v_dual_sub_f32 v29, v29, v33
	v_add_f32_e32 v29, v29, v32
.LBB11_255:                             ;   in Loop: Header=BB11_161 Depth=1
	s_or_b32 exec_lo, exec_lo, s33
.LBB11_256:                             ;   in Loop: Header=BB11_161 Depth=1
	s_and_not1_saveexec_b32 s8, s8
	s_cbranch_execz .LBB11_274
; %bb.257:                              ;   in Loop: Header=BB11_161 Depth=1
                                        ; implicit-def: $vgpr29
                                        ; implicit-def: $vgpr32
                                        ; implicit-def: $vgpr31
	s_mov_b32 s6, exec_lo
	v_cmpx_ge_f32_e64 0x3f666666, |v28|
	s_xor_b32 s33, exec_lo, s6
	s_cbranch_execz .LBB11_259
; %bb.258:                              ;   in Loop: Header=BB11_161 Depth=1
	v_cmp_gt_f32_e64 s6, 0x800000, |v28|
	v_sub_f32_e64 v33, 1.0, |v28|
	v_cmp_gt_f32_e64 s5, 0x3f3b4a23, |v28|
	s_delay_alu instid0(VALU_DEP_3) | instskip(SKIP_1) | instid1(VALU_DEP_2)
	v_cndmask_b32_e64 v29, 1.0, 0x4f800000, s6
	v_cndmask_b32_e64 v34, 0, 0x41b17218, s6
	v_mul_f32_e64 v29, |v28|, v29
	s_delay_alu instid0(VALU_DEP_1) | instskip(SKIP_3) | instid1(VALU_DEP_2)
	v_log_f32_e32 v29, v29
	s_waitcnt_depctr 0xfff
	v_mul_f32_e32 v31, 0x3f317217, v29
	v_cmp_gt_f32_e64 s6, 0x7f800000, |v29|
	v_fma_f32 v32, 0x3f317217, v29, -v31
	s_delay_alu instid0(VALU_DEP_1) | instskip(NEXT) | instid1(VALU_DEP_1)
	v_fmac_f32_e32 v32, 0x3377d1cf, v29
	v_add_f32_e32 v31, v31, v32
	v_add_f32_e64 v32, 0xbeec5b0c, |v28|
	s_delay_alu instid0(VALU_DEP_2) | instskip(NEXT) | instid1(VALU_DEP_2)
	v_cndmask_b32_e64 v29, v29, v31, s6
	v_cndmask_b32_e64 v31, v33, v32, s5
	;; [unrolled: 1-line block ×3, first 2 shown]
	v_cmp_gt_f32_e64 s5, 0x3e6d3309, |v28|
	s_delay_alu instid0(VALU_DEP_4) | instskip(NEXT) | instid1(VALU_DEP_2)
	v_sub_f32_e32 v29, v29, v34
	v_cndmask_b32_e64 v31, v31, |v28|, s5
	s_delay_alu instid0(VALU_DEP_4) | instskip(NEXT) | instid1(VALU_DEP_3)
	v_cndmask_b32_e64 v32, v32, 2, s5
	v_xor_b32_e32 v29, 0x80000000, v29
.LBB11_259:                             ;   in Loop: Header=BB11_161 Depth=1
	s_and_not1_saveexec_b32 s6, s33
; %bb.260:                              ;   in Loop: Header=BB11_161 Depth=1
	v_sub_f32_e64 v29, 2.0, |v28|
	v_add_f32_e64 v31, 0xbfbb16c3, |v28|
	v_cmp_gt_f32_e64 s5, 0x3fdda512, |v28|
	v_add_f32_e64 v32, |v28|, -1.0
	s_delay_alu instid0(VALU_DEP_2) | instskip(SKIP_2) | instid1(VALU_DEP_2)
	v_cndmask_b32_e64 v31, v29, v31, s5
	v_cndmask_b32_e64 v29, v29, 1.0, s5
	v_cmp_gt_f32_e64 s5, 0x3f9d70a4, |v28|
	v_cvt_i32_f32_e32 v29, v29
	s_delay_alu instid0(VALU_DEP_2) | instskip(NEXT) | instid1(VALU_DEP_2)
	v_cndmask_b32_e64 v31, v31, v32, s5
	v_cndmask_b32_e64 v32, v29, 2, s5
	v_mov_b32_e32 v29, 0
; %bb.261:                              ;   in Loop: Header=BB11_161 Depth=1
	s_or_b32 exec_lo, exec_lo, s6
	s_delay_alu instid0(SALU_CYCLE_1) | instskip(NEXT) | instid1(VALU_DEP_2)
	s_mov_b32 s6, exec_lo
	v_cmpx_lt_i32_e32 0, v32
	s_xor_b32 s6, exec_lo, s6
	s_cbranch_execz .LBB11_269
; %bb.262:                              ;   in Loop: Header=BB11_161 Depth=1
	s_mov_b32 s33, exec_lo
	v_cmpx_lt_i32_e32 1, v32
	s_xor_b32 s33, exec_lo, s33
	s_cbranch_execz .LBB11_266
; %bb.263:                              ;   in Loop: Header=BB11_161 Depth=1
	s_mov_b32 s34, exec_lo
	v_cmpx_eq_u32_e32 2, v32
	s_cbranch_execz .LBB11_265
; %bb.264:                              ;   in Loop: Header=BB11_161 Depth=1
	v_fmaak_f32 v33, s22, v31, 0x3e6a7578
	s_delay_alu instid0(VALU_DEP_1) | instskip(NEXT) | instid1(VALU_DEP_1)
	v_fmaak_f32 v33, v31, v33, 0x3f7a4bb2
	v_fmaak_f32 v33, v31, v33, 0x3fba3ae7
	s_delay_alu instid0(VALU_DEP_1) | instskip(NEXT) | instid1(VALU_DEP_1)
	v_fmaak_f32 v33, v31, v33, 0x3f2200f4
	v_fmaak_f32 v33, v31, v33, 0xbd9e233f
	s_delay_alu instid0(VALU_DEP_1) | instskip(NEXT) | instid1(VALU_DEP_1)
	v_dual_fmaak_f32 v32, s23, v31, 0x3dd572af :: v_dual_mul_f32 v33, v31, v33
	v_fmaak_f32 v32, v31, v32, 0x3f44efdf
	s_delay_alu instid0(VALU_DEP_1) | instskip(NEXT) | instid1(VALU_DEP_1)
	v_fmaak_f32 v32, v31, v32, 0x4008392d
	v_fmaak_f32 v32, v31, v32, 0x401d2ebe
	s_delay_alu instid0(VALU_DEP_1) | instskip(NEXT) | instid1(VALU_DEP_1)
	v_fma_f32 v32, v31, v32, 1.0
	v_rcp_f32_e32 v32, v32
	s_waitcnt_depctr 0xfff
	v_mul_f32_e32 v32, v33, v32
	s_delay_alu instid0(VALU_DEP_1) | instskip(NEXT) | instid1(VALU_DEP_1)
	v_fmac_f32_e32 v32, -0.5, v31
	v_add_f32_e32 v29, v29, v32
.LBB11_265:                             ;   in Loop: Header=BB11_161 Depth=1
	s_or_b32 exec_lo, exec_lo, s34
                                        ; implicit-def: $vgpr31
.LBB11_266:                             ;   in Loop: Header=BB11_161 Depth=1
	s_and_not1_saveexec_b32 s5, s33
	s_cbranch_execz .LBB11_268
; %bb.267:                              ;   in Loop: Header=BB11_161 Depth=1
	v_mul_f32_e32 v32, v31, v31
	s_delay_alu instid0(VALU_DEP_1) | instskip(NEXT) | instid1(VALU_DEP_1)
	v_mul_f32_e32 v33, v31, v32
	v_fmaak_f32 v35, s26, v33, 0xba0d3085
	v_fmaak_f32 v34, s25, v33, 0x3a66f867
	;; [unrolled: 1-line block ×3, first 2 shown]
	s_delay_alu instid0(VALU_DEP_3) | instskip(NEXT) | instid1(VALU_DEP_3)
	v_fmaak_f32 v35, v33, v35, 0x3b141699
	v_fmaak_f32 v34, v33, v34, 0xbb7177fe
	s_delay_alu instid0(VALU_DEP_3) | instskip(NEXT) | instid1(VALU_DEP_3)
	v_fmaak_f32 v36, v33, v36, 0x3bc7e707
	v_fmaak_f32 v35, v33, v35, 0xbc28fcfe
	;; [unrolled: 3-line block ×4, first 2 shown]
	s_delay_alu instid0(VALU_DEP_1) | instskip(NEXT) | instid1(VALU_DEP_1)
	v_dual_fmac_f32 v34, v31, v35 :: v_dual_fmaak_f32 v31, v33, v36, 0x3ef7b95e
	v_fma_f32 v33, v33, -v34, 0xa2863e55
	s_delay_alu instid0(VALU_DEP_1) | instskip(NEXT) | instid1(VALU_DEP_1)
	v_fma_f32 v31, v32, v31, -v33
	v_add_f32_e32 v31, 0xbdf8cdce, v31
	s_delay_alu instid0(VALU_DEP_1)
	v_add_f32_e32 v29, v29, v31
.LBB11_268:                             ;   in Loop: Header=BB11_161 Depth=1
	s_or_b32 exec_lo, exec_lo, s5
                                        ; implicit-def: $vgpr32
                                        ; implicit-def: $vgpr31
.LBB11_269:                             ;   in Loop: Header=BB11_161 Depth=1
	s_and_not1_saveexec_b32 s6, s6
	s_cbranch_execz .LBB11_273
; %bb.270:                              ;   in Loop: Header=BB11_161 Depth=1
	s_mov_b32 s33, exec_lo
	v_cmpx_eq_u32_e32 0, v32
	s_cbranch_execz .LBB11_272
; %bb.271:                              ;   in Loop: Header=BB11_161 Depth=1
	v_mul_f32_e32 v32, v31, v31
	s_delay_alu instid0(VALU_DEP_1) | instskip(NEXT) | instid1(VALU_DEP_1)
	v_fmaak_f32 v34, s27, v32, 0x39679767
	v_fmaak_f32 v34, v32, v34, 0x3a9c54a1
	s_delay_alu instid0(VALU_DEP_1) | instskip(NEXT) | instid1(VALU_DEP_1)
	v_fmaak_f32 v34, v32, v34, 0x3bf2027e
	v_fmaak_f32 v34, v32, v34, 0x3d89f001
	s_delay_alu instid0(VALU_DEP_1) | instskip(SKIP_1) | instid1(VALU_DEP_1)
	v_fmaak_f32 v34, v32, v34, 0x3d9e233f
	v_fmaak_f32 v33, s28, v32, 0x38e28445
	;; [unrolled: 1-line block ×3, first 2 shown]
	s_delay_alu instid0(VALU_DEP_1) | instskip(NEXT) | instid1(VALU_DEP_1)
	v_fmaak_f32 v33, v32, v33, 0x3b3d6ec6
	v_fmaak_f32 v33, v32, v33, 0x3ca89915
	s_delay_alu instid0(VALU_DEP_1) | instskip(NEXT) | instid1(VALU_DEP_1)
	v_fmaak_f32 v33, v32, v33, 0x3ea51a66
	v_mul_f32_e32 v32, v32, v33
	s_delay_alu instid0(VALU_DEP_1) | instskip(NEXT) | instid1(VALU_DEP_1)
	v_fmac_f32_e32 v32, v31, v34
	v_fmac_f32_e32 v32, -0.5, v31
	s_delay_alu instid0(VALU_DEP_1)
	v_add_f32_e32 v29, v29, v32
.LBB11_272:                             ;   in Loop: Header=BB11_161 Depth=1
	s_or_b32 exec_lo, exec_lo, s33
.LBB11_273:                             ;   in Loop: Header=BB11_161 Depth=1
	s_delay_alu instid0(SALU_CYCLE_1)
	s_or_b32 exec_lo, exec_lo, s6
.LBB11_274:                             ;   in Loop: Header=BB11_161 Depth=1
	s_delay_alu instid0(SALU_CYCLE_1)
	s_or_b32 exec_lo, exec_lo, s8
.LBB11_275:                             ;   in Loop: Header=BB11_161 Depth=1
	s_and_not1_saveexec_b32 s6, s7
	s_cbranch_execz .LBB11_277
; %bb.276:                              ;   in Loop: Header=BB11_161 Depth=1
	v_cmp_gt_f32_e64 s7, 0x800000, |v28|
	v_fma_f32 v33, |v28|, s29, 0xbecd26ab
	s_delay_alu instid0(VALU_DEP_2) | instskip(NEXT) | instid1(VALU_DEP_1)
	v_cndmask_b32_e64 v29, 1.0, 0x4f800000, s7
	v_mul_f32_e64 v29, |v28|, v29
	s_delay_alu instid0(VALU_DEP_1) | instskip(SKIP_3) | instid1(VALU_DEP_2)
	v_log_f32_e32 v29, v29
	s_waitcnt_depctr 0xfff
	v_mul_f32_e32 v31, 0x3f317217, v29
	v_cmp_gt_f32_e64 s5, 0x7f800000, |v29|
	v_fma_f32 v32, 0x3f317217, v29, -v31
	s_delay_alu instid0(VALU_DEP_1) | instskip(NEXT) | instid1(VALU_DEP_1)
	v_fmac_f32_e32 v32, 0x3377d1cf, v29
	v_add_f32_e32 v31, v31, v32
	v_fma_f32 v32, |v28|, v33, 0x3f528d33
	s_delay_alu instid0(VALU_DEP_2) | instskip(SKIP_1) | instid1(VALU_DEP_3)
	v_cndmask_b32_e64 v29, v29, v31, s5
	v_cndmask_b32_e64 v31, 0, 0x41b17218, s7
	v_fma_f32 v32, |v28|, v32, 0xbf13c468
	s_delay_alu instid0(VALU_DEP_2) | instskip(NEXT) | instid1(VALU_DEP_1)
	v_sub_f32_e32 v29, v29, v31
	v_fma_f32 v29, |v28|, v32, -v29
.LBB11_277:                             ;   in Loop: Header=BB11_161 Depth=1
	s_or_b32 exec_lo, exec_lo, s6
	v_cmp_le_f32_e64 s5, 0, v28
	s_mov_b32 s7, exec_lo
	v_cmpx_nle_f32_e32 0, v28
	s_xor_b32 s8, exec_lo, s7
	s_cbranch_execz .LBB11_281
; %bb.278:                              ;   in Loop: Header=BB11_161 Depth=1
	v_cmp_gt_f32_e64 s6, 0x4b000000, |v28|
	v_cmp_lt_f32_e64 s7, 0x35000000, |v28|
	s_delay_alu instid0(VALU_DEP_1) | instskip(NEXT) | instid1(SALU_CYCLE_1)
	s_and_b32 s6, s6, s7
	s_and_saveexec_b32 s33, s6
	s_cbranch_execz .LBB11_280
; %bb.279:                              ;   in Loop: Header=BB11_161 Depth=1
	v_mul_f32_e64 v31, |v28|, 0.5
	s_delay_alu instid0(VALU_DEP_1) | instskip(SKIP_1) | instid1(VALU_DEP_2)
	v_floor_f32_e32 v32, v31
	v_cmp_neq_f32_e64 s6, 0x7f800000, v31
	v_sub_f32_e32 v32, v31, v32
	s_delay_alu instid0(VALU_DEP_1) | instskip(NEXT) | instid1(VALU_DEP_1)
	v_min_f32_e32 v32, 0x3f7fffff, v32
	v_add_f32_e32 v32, v32, v32
	s_delay_alu instid0(VALU_DEP_1) | instskip(SKIP_1) | instid1(VALU_DEP_1)
	v_cndmask_b32_e64 v31, 0, v32, s6
	v_cmp_gt_f32_e64 s6, |v28|, 1.0
	v_cndmask_b32_e64 v31, |v28|, v31, s6
	s_delay_alu instid0(VALU_DEP_1) | instskip(NEXT) | instid1(VALU_DEP_1)
	v_add_f32_e32 v32, v31, v31
	v_rndne_f32_e32 v32, v32
	s_delay_alu instid0(VALU_DEP_1) | instskip(SKIP_1) | instid1(VALU_DEP_2)
	v_fmac_f32_e32 v31, -0.5, v32
	v_cvt_i32_f32_e32 v32, v32
	v_mul_f32_e32 v33, v31, v31
	s_delay_alu instid0(VALU_DEP_1) | instskip(SKIP_1) | instid1(VALU_DEP_2)
	v_fmaak_f32 v34, s30, v33, 0xbf1f24be
	v_fmaak_f32 v35, s31, v33, 0x3e642e9d
	v_fmaak_f32 v34, v33, v34, 0x40234736
	s_delay_alu instid0(VALU_DEP_2) | instskip(NEXT) | instid1(VALU_DEP_2)
	v_dual_fmaak_f32 v35, v33, v35, 0xbfaad1da :: v_dual_mul_f32 v36, v31, v33
	v_fmaak_f32 v34, v33, v34, 0xc0a55e0e
	s_delay_alu instid0(VALU_DEP_1) | instskip(NEXT) | instid1(VALU_DEP_1)
	v_dual_fmaak_f32 v35, v33, v35, 0x4081e0d3 :: v_dual_mul_f32 v34, v36, v34
	v_dual_fmaak_f32 v35, v33, v35, 0xc09de9e6 :: v_dual_and_b32 v36, 1, v32
	v_lshlrev_b32_e32 v32, 30, v32
	s_delay_alu instid0(VALU_DEP_3) | instskip(NEXT) | instid1(VALU_DEP_3)
	v_fmac_f32_e32 v34, 0x40490fdb, v31
	v_fma_f32 v31, v33, v35, 1.0
	s_delay_alu instid0(VALU_DEP_4) | instskip(NEXT) | instid1(VALU_DEP_4)
	v_cmp_eq_u32_e64 s6, 0, v36
	v_and_or_b32 v30, 0x80000000, v32, v30
	s_delay_alu instid0(VALU_DEP_2) | instskip(NEXT) | instid1(VALU_DEP_1)
	v_cndmask_b32_e64 v31, v31, v34, s6
	v_xor3_b32 v30, v30, v31, v28
	s_delay_alu instid0(VALU_DEP_1) | instskip(NEXT) | instid1(VALU_DEP_1)
	v_mul_f32_e32 v30, v28, v30
	v_frexp_mant_f32_e64 v31, |v30|
	v_frexp_exp_i32_f32_e32 v30, v30
	s_delay_alu instid0(VALU_DEP_2) | instskip(NEXT) | instid1(VALU_DEP_1)
	v_rcp_f32_e32 v31, v31
	v_sub_nc_u32_e32 v30, 2, v30
	s_waitcnt_depctr 0xfff
	v_mul_f32_e32 v31, 0x3f490fdb, v31
	s_delay_alu instid0(VALU_DEP_1) | instskip(NEXT) | instid1(VALU_DEP_1)
	v_ldexp_f32 v30, v31, v30
	v_cmp_gt_f32_e64 s6, 0x800000, v30
	s_delay_alu instid0(VALU_DEP_1) | instskip(NEXT) | instid1(VALU_DEP_1)
	v_cndmask_b32_e64 v31, 1.0, 0x4f800000, s6
	v_mul_f32_e32 v30, v30, v31
	s_delay_alu instid0(VALU_DEP_1) | instskip(SKIP_3) | instid1(VALU_DEP_2)
	v_log_f32_e32 v30, v30
	s_waitcnt_depctr 0xfff
	v_mul_f32_e32 v31, 0x3f317217, v30
	v_cmp_gt_f32_e64 s7, 0x7f800000, |v30|
	v_fma_f32 v32, 0x3f317217, v30, -v31
	s_delay_alu instid0(VALU_DEP_1) | instskip(NEXT) | instid1(VALU_DEP_1)
	v_fmac_f32_e32 v32, 0x3377d1cf, v30
	v_add_f32_e32 v31, v31, v32
	v_floor_f32_e32 v32, v28
	s_delay_alu instid0(VALU_DEP_2) | instskip(SKIP_1) | instid1(VALU_DEP_3)
	v_cndmask_b32_e64 v30, v30, v31, s7
	v_cndmask_b32_e64 v31, 0, 0x41b17218, s6
	v_sub_f32_e32 v32, v28, v32
	s_delay_alu instid0(VALU_DEP_1) | instskip(NEXT) | instid1(VALU_DEP_1)
	v_dual_sub_f32 v30, v30, v31 :: v_dual_min_f32 v31, 0x3f7fffff, v32
	v_sub_f32_e32 v29, v30, v29
	s_delay_alu instid0(VALU_DEP_2) | instskip(NEXT) | instid1(VALU_DEP_1)
	v_cmp_neq_f32_e64 s6, 0, v31
	v_cndmask_b32_e64 v29, 0x7f800000, v29, s6
.LBB11_280:                             ;   in Loop: Header=BB11_161 Depth=1
	s_or_b32 exec_lo, exec_lo, s33
.LBB11_281:                             ;   in Loop: Header=BB11_161 Depth=1
	s_and_not1_saveexec_b32 s8, s8
; %bb.282:                              ;   in Loop: Header=BB11_161 Depth=1
	v_cmp_eq_f32_e64 s6, 1.0, v28
	v_cmp_eq_f32_e64 s7, 2.0, v28
	s_delay_alu instid0(VALU_DEP_1) | instskip(NEXT) | instid1(SALU_CYCLE_1)
	s_or_b32 s6, s6, s7
	v_cndmask_b32_e64 v29, v29, 0, s6
; %bb.283:                              ;   in Loop: Header=BB11_161 Depth=1
	s_or_b32 exec_lo, exec_lo, s8
	v_lshlrev_b32_e32 v26, 16, v26
                                        ; implicit-def: $vgpr31
	s_mov_b32 s7, exec_lo
	s_delay_alu instid0(VALU_DEP_1)
	v_and_b32_e32 v30, 0x7fffffff, v26
	v_cmpx_ngt_f32_e64 0x3c800000, |v26|
	s_xor_b32 s8, exec_lo, s7
	s_cbranch_execz .LBB11_313
; %bb.284:                              ;   in Loop: Header=BB11_161 Depth=1
                                        ; implicit-def: $vgpr31
	s_mov_b32 s7, exec_lo
	v_cmpx_nlt_f32_e64 |v26|, 2.0
	s_xor_b32 s33, exec_lo, s7
	s_cbranch_execz .LBB11_294
; %bb.285:                              ;   in Loop: Header=BB11_161 Depth=1
	s_mov_b32 s7, exec_lo
                                        ; implicit-def: $vgpr31
	v_cmpx_ngt_f32_e64 0x41000000, |v26|
	s_xor_b32 s7, exec_lo, s7
	s_cbranch_execz .LBB11_291
; %bb.286:                              ;   in Loop: Header=BB11_161 Depth=1
	s_mov_b32 s34, exec_lo
                                        ; implicit-def: $vgpr31
	v_cmpx_ngt_f32_e64 0x5c800000, |v26|
	s_xor_b32 s34, exec_lo, s34
	s_cbranch_execz .LBB11_288
; %bb.287:                              ;   in Loop: Header=BB11_161 Depth=1
	v_cmp_gt_f32_e64 s35, 0x800000, |v26|
	s_delay_alu instid0(VALU_DEP_1) | instskip(NEXT) | instid1(VALU_DEP_1)
	v_cndmask_b32_e64 v31, 1.0, 0x4f800000, s35
	v_mul_f32_e64 v31, |v26|, v31
	s_delay_alu instid0(VALU_DEP_1) | instskip(SKIP_3) | instid1(VALU_DEP_2)
	v_log_f32_e32 v31, v31
	s_waitcnt_depctr 0xfff
	v_mul_f32_e32 v32, 0x3f317217, v31
	v_cmp_gt_f32_e64 s6, 0x7f800000, |v31|
	v_fma_f32 v33, 0x3f317217, v31, -v32
	s_delay_alu instid0(VALU_DEP_1) | instskip(NEXT) | instid1(VALU_DEP_1)
	v_fmac_f32_e32 v33, 0x3377d1cf, v31
	v_add_f32_e32 v32, v32, v33
	s_delay_alu instid0(VALU_DEP_1) | instskip(SKIP_1) | instid1(VALU_DEP_1)
	v_cndmask_b32_e64 v31, v31, v32, s6
	v_cndmask_b32_e64 v32, 0, 0x41b17218, s35
	v_sub_f32_e32 v31, v31, v32
	s_delay_alu instid0(VALU_DEP_1)
	v_fma_f32 v31, |v26|, v31, -|v26|
.LBB11_288:                             ;   in Loop: Header=BB11_161 Depth=1
	s_and_not1_saveexec_b32 s34, s34
	s_cbranch_execz .LBB11_290
; %bb.289:                              ;   in Loop: Header=BB11_161 Depth=1
	v_cmp_gt_f32_e64 s35, 0x800000, |v26|
	v_rcp_f32_e64 v32, |v26|
	s_delay_alu instid0(VALU_DEP_1) | instskip(NEXT) | instid1(VALU_DEP_1)
	v_cndmask_b32_e64 v31, 1.0, 0x4f800000, s35
	v_mul_f32_e64 v31, |v26|, v31
	s_delay_alu instid0(VALU_DEP_1) | instskip(SKIP_3) | instid1(VALU_DEP_2)
	v_log_f32_e32 v31, v31
	s_waitcnt_depctr 0xfff
	v_dual_mul_f32 v33, v32, v32 :: v_dual_mul_f32 v34, 0x3f317217, v31
	v_cmp_gt_f32_e64 s6, 0x7f800000, |v31|
	v_fma_f32 v36, 0x3f317217, v31, -v34
	s_delay_alu instid0(VALU_DEP_1) | instskip(NEXT) | instid1(VALU_DEP_1)
	v_fmac_f32_e32 v36, 0x3377d1cf, v31
	v_dual_fmaak_f32 v35, s9, v33, 0x3a5b3dd2 :: v_dual_add_f32 v34, v34, v36
	s_delay_alu instid0(VALU_DEP_1) | instskip(SKIP_1) | instid1(VALU_DEP_1)
	v_cndmask_b32_e64 v31, v31, v34, s6
	v_cndmask_b32_e64 v34, 0, 0x41b17218, s35
	v_dual_fmaak_f32 v35, v33, v35, 0xba1c065c :: v_dual_sub_f32 v34, v31, v34
	s_delay_alu instid0(VALU_DEP_1) | instskip(NEXT) | instid1(VALU_DEP_1)
	v_fmaak_f32 v35, v33, v35, 0x3a500cfd
	v_fmaak_f32 v35, v33, v35, 0xbb360b61
	s_delay_alu instid0(VALU_DEP_1) | instskip(NEXT) | instid1(VALU_DEP_1)
	v_fmaak_f32 v33, v33, v35, 0x3daaaaab
	v_fmaak_f32 v31, v32, v33, 0x3ed67f1d
	v_add_f32_e64 v32, |v26|, -0.5
	v_add_f32_e32 v33, -1.0, v34
	s_delay_alu instid0(VALU_DEP_1)
	v_fmac_f32_e32 v31, v32, v33
.LBB11_290:                             ;   in Loop: Header=BB11_161 Depth=1
	s_or_b32 exec_lo, exec_lo, s34
.LBB11_291:                             ;   in Loop: Header=BB11_161 Depth=1
	s_and_not1_saveexec_b32 s34, s7
	s_cbranch_execz .LBB11_293
; %bb.292:                              ;   in Loop: Header=BB11_161 Depth=1
	v_cvt_i32_f32_e32 v31, v30
	s_delay_alu instid0(VALU_DEP_1) | instskip(SKIP_1) | instid1(VALU_DEP_2)
	v_cvt_f32_i32_e32 v32, v31
	v_cmp_lt_i32_e64 s6, 2, v31
	v_sub_f32_e64 v32, |v26|, v32
	s_delay_alu instid0(VALU_DEP_1) | instskip(SKIP_2) | instid1(VALU_DEP_3)
	v_add_f32_e32 v33, 2.0, v32
	v_add_f32_e32 v34, 0x40400000, v32
	v_add_f32_e32 v35, 4.0, v32
	v_cndmask_b32_e64 v33, 1.0, v33, s6
	v_cmp_lt_i32_e64 s6, 3, v31
	s_delay_alu instid0(VALU_DEP_1) | instskip(SKIP_1) | instid1(VALU_DEP_2)
	v_cndmask_b32_e64 v34, 1.0, v34, s6
	v_cmp_lt_i32_e64 s6, 4, v31
	v_dual_add_f32 v36, 0x40a00000, v32 :: v_dual_mul_f32 v33, v33, v34
	s_delay_alu instid0(VALU_DEP_2) | instskip(SKIP_1) | instid1(VALU_DEP_2)
	v_cndmask_b32_e64 v35, 1.0, v35, s6
	v_cmp_lt_i32_e64 s6, 5, v31
	v_mul_f32_e32 v33, v35, v33
	s_delay_alu instid0(VALU_DEP_2) | instskip(SKIP_3) | instid1(VALU_DEP_4)
	v_cndmask_b32_e64 v36, 1.0, v36, s6
	v_add_f32_e32 v34, 0x40c00000, v32
	v_cmp_lt_i32_e64 s6, 6, v31
	v_fmaak_f32 v35, s20, v32, 0x3af135b4
	v_mul_f32_e32 v33, v36, v33
	s_delay_alu instid0(VALU_DEP_3) | instskip(NEXT) | instid1(VALU_DEP_1)
	v_cndmask_b32_e64 v31, 1.0, v34, s6
	v_mul_f32_e32 v31, v31, v33
	s_delay_alu instid0(VALU_DEP_1) | instskip(NEXT) | instid1(VALU_DEP_1)
	v_cmp_gt_f32_e64 s6, 0x800000, v31
	v_cndmask_b32_e64 v34, 1.0, 0x4f800000, s6
	s_delay_alu instid0(VALU_DEP_1) | instskip(NEXT) | instid1(VALU_DEP_1)
	v_dual_mul_f32 v31, v31, v34 :: v_dual_fmaak_f32 v34, v32, v35, 0x3cda40e4
	v_log_f32_e32 v31, v31
	s_delay_alu instid0(VALU_DEP_1) | instskip(NEXT) | instid1(VALU_DEP_1)
	v_fmaak_f32 v34, v32, v34, 0x3e15dce6
	v_fmaak_f32 v34, v32, v34, 0x3ea6cc7a
	s_waitcnt_depctr 0xfff
	v_mul_f32_e32 v35, 0x3f317217, v31
	v_cmp_gt_f32_e64 s7, 0x7f800000, |v31|
	s_delay_alu instid0(VALU_DEP_2) | instskip(NEXT) | instid1(VALU_DEP_1)
	v_fma_f32 v36, 0x3f317217, v31, -v35
	v_fmac_f32_e32 v36, 0x3377d1cf, v31
	s_delay_alu instid0(VALU_DEP_1) | instskip(NEXT) | instid1(VALU_DEP_1)
	v_dual_fmaak_f32 v34, v32, v34, 0x3e5c245a :: v_dual_add_f32 v35, v35, v36
	v_fmaak_f32 v34, v32, v34, 0xbd9e233f
	v_fmaak_f32 v33, s21, v32, 0x3a4beed6
	s_delay_alu instid0(VALU_DEP_3) | instskip(NEXT) | instid1(VALU_DEP_3)
	v_cndmask_b32_e64 v31, v31, v35, s7
	v_mul_f32_e32 v34, v32, v34
	s_delay_alu instid0(VALU_DEP_3) | instskip(NEXT) | instid1(VALU_DEP_1)
	v_fmaak_f32 v33, v32, v33, 0x3c98bf54
	v_fmaak_f32 v33, v32, v33, 0x3e300f6e
	s_delay_alu instid0(VALU_DEP_1) | instskip(NEXT) | instid1(VALU_DEP_1)
	v_fmaak_f32 v33, v32, v33, 0x3f38d0c5
	v_fmaak_f32 v33, v32, v33, 0x3fb22d3b
	s_delay_alu instid0(VALU_DEP_1) | instskip(NEXT) | instid1(VALU_DEP_1)
	v_fma_f32 v33, v32, v33, 1.0
	v_rcp_f32_e32 v33, v33
	s_waitcnt_depctr 0xfff
	v_mul_f32_e32 v33, v34, v33
	v_cndmask_b32_e64 v34, 0, 0x41b17218, s6
	s_delay_alu instid0(VALU_DEP_2) | instskip(NEXT) | instid1(VALU_DEP_2)
	v_fmac_f32_e32 v33, 0.5, v32
	v_sub_f32_e32 v31, v31, v34
	s_delay_alu instid0(VALU_DEP_1)
	v_add_f32_e32 v31, v31, v33
.LBB11_293:                             ;   in Loop: Header=BB11_161 Depth=1
	s_or_b32 exec_lo, exec_lo, s34
.LBB11_294:                             ;   in Loop: Header=BB11_161 Depth=1
	s_and_not1_saveexec_b32 s33, s33
	s_cbranch_execz .LBB11_312
; %bb.295:                              ;   in Loop: Header=BB11_161 Depth=1
                                        ; implicit-def: $vgpr31
                                        ; implicit-def: $vgpr33
                                        ; implicit-def: $vgpr32
	s_mov_b32 s7, exec_lo
	v_cmpx_ge_f32_e64 0x3f666666, |v26|
	s_xor_b32 s34, exec_lo, s7
	s_cbranch_execz .LBB11_297
; %bb.296:                              ;   in Loop: Header=BB11_161 Depth=1
	v_cmp_gt_f32_e64 s7, 0x800000, |v26|
	v_sub_f32_e64 v34, 1.0, |v26|
	v_cmp_gt_f32_e64 s6, 0x3f3b4a23, |v26|
	s_delay_alu instid0(VALU_DEP_3) | instskip(SKIP_1) | instid1(VALU_DEP_2)
	v_cndmask_b32_e64 v31, 1.0, 0x4f800000, s7
	v_cndmask_b32_e64 v35, 0, 0x41b17218, s7
	v_mul_f32_e64 v31, |v26|, v31
	s_delay_alu instid0(VALU_DEP_1) | instskip(SKIP_3) | instid1(VALU_DEP_2)
	v_log_f32_e32 v31, v31
	s_waitcnt_depctr 0xfff
	v_mul_f32_e32 v32, 0x3f317217, v31
	v_cmp_gt_f32_e64 s7, 0x7f800000, |v31|
	v_fma_f32 v33, 0x3f317217, v31, -v32
	s_delay_alu instid0(VALU_DEP_1) | instskip(NEXT) | instid1(VALU_DEP_1)
	v_fmac_f32_e32 v33, 0x3377d1cf, v31
	v_add_f32_e32 v32, v32, v33
	v_add_f32_e64 v33, 0xbeec5b0c, |v26|
	s_delay_alu instid0(VALU_DEP_2) | instskip(NEXT) | instid1(VALU_DEP_2)
	v_cndmask_b32_e64 v31, v31, v32, s7
	v_cndmask_b32_e64 v32, v34, v33, s6
	;; [unrolled: 1-line block ×3, first 2 shown]
	v_cmp_gt_f32_e64 s6, 0x3e6d3309, |v26|
	s_delay_alu instid0(VALU_DEP_4) | instskip(NEXT) | instid1(VALU_DEP_2)
	v_sub_f32_e32 v31, v31, v35
	v_cndmask_b32_e64 v32, v32, |v26|, s6
	s_delay_alu instid0(VALU_DEP_4) | instskip(NEXT) | instid1(VALU_DEP_3)
	v_cndmask_b32_e64 v33, v33, 2, s6
	v_xor_b32_e32 v31, 0x80000000, v31
.LBB11_297:                             ;   in Loop: Header=BB11_161 Depth=1
	s_and_not1_saveexec_b32 s7, s34
; %bb.298:                              ;   in Loop: Header=BB11_161 Depth=1
	v_sub_f32_e64 v31, 2.0, |v26|
	v_add_f32_e64 v32, 0xbfbb16c3, |v26|
	v_cmp_gt_f32_e64 s6, 0x3fdda512, |v26|
	v_add_f32_e64 v33, |v26|, -1.0
	s_delay_alu instid0(VALU_DEP_2) | instskip(SKIP_2) | instid1(VALU_DEP_2)
	v_cndmask_b32_e64 v32, v31, v32, s6
	v_cndmask_b32_e64 v31, v31, 1.0, s6
	v_cmp_gt_f32_e64 s6, 0x3f9d70a4, |v26|
	v_cvt_i32_f32_e32 v31, v31
	s_delay_alu instid0(VALU_DEP_2) | instskip(NEXT) | instid1(VALU_DEP_2)
	v_cndmask_b32_e64 v32, v32, v33, s6
	v_cndmask_b32_e64 v33, v31, 2, s6
	v_mov_b32_e32 v31, 0
; %bb.299:                              ;   in Loop: Header=BB11_161 Depth=1
	s_or_b32 exec_lo, exec_lo, s7
	s_delay_alu instid0(SALU_CYCLE_1) | instskip(NEXT) | instid1(VALU_DEP_2)
	s_mov_b32 s7, exec_lo
	v_cmpx_lt_i32_e32 0, v33
	s_xor_b32 s7, exec_lo, s7
	s_cbranch_execz .LBB11_307
; %bb.300:                              ;   in Loop: Header=BB11_161 Depth=1
	s_mov_b32 s34, exec_lo
	v_cmpx_lt_i32_e32 1, v33
	s_xor_b32 s34, exec_lo, s34
	s_cbranch_execz .LBB11_304
; %bb.301:                              ;   in Loop: Header=BB11_161 Depth=1
	s_mov_b32 s35, exec_lo
	v_cmpx_eq_u32_e32 2, v33
	s_cbranch_execz .LBB11_303
; %bb.302:                              ;   in Loop: Header=BB11_161 Depth=1
	v_fmaak_f32 v34, s22, v32, 0x3e6a7578
	s_delay_alu instid0(VALU_DEP_1) | instskip(NEXT) | instid1(VALU_DEP_1)
	v_fmaak_f32 v34, v32, v34, 0x3f7a4bb2
	v_fmaak_f32 v34, v32, v34, 0x3fba3ae7
	s_delay_alu instid0(VALU_DEP_1) | instskip(NEXT) | instid1(VALU_DEP_1)
	v_fmaak_f32 v34, v32, v34, 0x3f2200f4
	v_fmaak_f32 v34, v32, v34, 0xbd9e233f
	s_delay_alu instid0(VALU_DEP_1) | instskip(NEXT) | instid1(VALU_DEP_1)
	v_dual_fmaak_f32 v33, s23, v32, 0x3dd572af :: v_dual_mul_f32 v34, v32, v34
	v_fmaak_f32 v33, v32, v33, 0x3f44efdf
	s_delay_alu instid0(VALU_DEP_1) | instskip(NEXT) | instid1(VALU_DEP_1)
	v_fmaak_f32 v33, v32, v33, 0x4008392d
	v_fmaak_f32 v33, v32, v33, 0x401d2ebe
	s_delay_alu instid0(VALU_DEP_1) | instskip(NEXT) | instid1(VALU_DEP_1)
	v_fma_f32 v33, v32, v33, 1.0
	v_rcp_f32_e32 v33, v33
	s_waitcnt_depctr 0xfff
	v_mul_f32_e32 v33, v34, v33
	s_delay_alu instid0(VALU_DEP_1) | instskip(NEXT) | instid1(VALU_DEP_1)
	v_fmac_f32_e32 v33, -0.5, v32
	v_add_f32_e32 v31, v31, v33
.LBB11_303:                             ;   in Loop: Header=BB11_161 Depth=1
	s_or_b32 exec_lo, exec_lo, s35
                                        ; implicit-def: $vgpr32
.LBB11_304:                             ;   in Loop: Header=BB11_161 Depth=1
	s_and_not1_saveexec_b32 s6, s34
	s_cbranch_execz .LBB11_306
; %bb.305:                              ;   in Loop: Header=BB11_161 Depth=1
	v_mul_f32_e32 v33, v32, v32
	s_delay_alu instid0(VALU_DEP_1) | instskip(NEXT) | instid1(VALU_DEP_1)
	v_mul_f32_e32 v34, v32, v33
	v_fmaak_f32 v35, s25, v34, 0x3a66f867
	v_fmaak_f32 v36, s26, v34, 0xba0d3085
	;; [unrolled: 1-line block ×3, first 2 shown]
	s_delay_alu instid0(VALU_DEP_3) | instskip(NEXT) | instid1(VALU_DEP_3)
	v_fmaak_f32 v35, v34, v35, 0xbb7177fe
	v_fmaak_f32 v36, v34, v36, 0x3b141699
	s_delay_alu instid0(VALU_DEP_3) | instskip(NEXT) | instid1(VALU_DEP_3)
	v_fmaak_f32 v37, v34, v37, 0x3bc7e707
	v_fmaak_f32 v35, v34, v35, 0x3c93373d
	;; [unrolled: 3-line block ×4, first 2 shown]
	s_delay_alu instid0(VALU_DEP_1) | instskip(NEXT) | instid1(VALU_DEP_1)
	v_dual_fmac_f32 v35, v32, v36 :: v_dual_fmaak_f32 v32, v34, v37, 0x3ef7b95e
	v_fma_f32 v34, v34, -v35, 0xa2863e55
	s_delay_alu instid0(VALU_DEP_1) | instskip(NEXT) | instid1(VALU_DEP_1)
	v_fma_f32 v32, v33, v32, -v34
	v_add_f32_e32 v32, 0xbdf8cdce, v32
	s_delay_alu instid0(VALU_DEP_1)
	v_add_f32_e32 v31, v31, v32
.LBB11_306:                             ;   in Loop: Header=BB11_161 Depth=1
	s_or_b32 exec_lo, exec_lo, s6
                                        ; implicit-def: $vgpr33
                                        ; implicit-def: $vgpr32
.LBB11_307:                             ;   in Loop: Header=BB11_161 Depth=1
	s_and_not1_saveexec_b32 s7, s7
	s_cbranch_execz .LBB11_311
; %bb.308:                              ;   in Loop: Header=BB11_161 Depth=1
	s_mov_b32 s34, exec_lo
	v_cmpx_eq_u32_e32 0, v33
	s_cbranch_execz .LBB11_310
; %bb.309:                              ;   in Loop: Header=BB11_161 Depth=1
	v_mul_f32_e32 v33, v32, v32
	s_delay_alu instid0(VALU_DEP_1) | instskip(NEXT) | instid1(VALU_DEP_1)
	v_fmaak_f32 v35, s27, v33, 0x39679767
	v_fmaak_f32 v35, v33, v35, 0x3a9c54a1
	s_delay_alu instid0(VALU_DEP_1) | instskip(NEXT) | instid1(VALU_DEP_1)
	v_fmaak_f32 v35, v33, v35, 0x3bf2027e
	v_fmaak_f32 v35, v33, v35, 0x3d89f001
	s_delay_alu instid0(VALU_DEP_1) | instskip(SKIP_1) | instid1(VALU_DEP_1)
	v_fmaak_f32 v35, v33, v35, 0x3d9e233f
	v_fmaak_f32 v34, s28, v33, 0x38e28445
	;; [unrolled: 1-line block ×3, first 2 shown]
	s_delay_alu instid0(VALU_DEP_1) | instskip(NEXT) | instid1(VALU_DEP_1)
	v_fmaak_f32 v34, v33, v34, 0x3b3d6ec6
	v_fmaak_f32 v34, v33, v34, 0x3ca89915
	s_delay_alu instid0(VALU_DEP_1) | instskip(NEXT) | instid1(VALU_DEP_1)
	v_fmaak_f32 v34, v33, v34, 0x3ea51a66
	v_mul_f32_e32 v33, v33, v34
	s_delay_alu instid0(VALU_DEP_1) | instskip(NEXT) | instid1(VALU_DEP_1)
	v_fmac_f32_e32 v33, v32, v35
	v_fmac_f32_e32 v33, -0.5, v32
	s_delay_alu instid0(VALU_DEP_1)
	v_add_f32_e32 v31, v31, v33
.LBB11_310:                             ;   in Loop: Header=BB11_161 Depth=1
	s_or_b32 exec_lo, exec_lo, s34
.LBB11_311:                             ;   in Loop: Header=BB11_161 Depth=1
	s_delay_alu instid0(SALU_CYCLE_1)
	s_or_b32 exec_lo, exec_lo, s7
.LBB11_312:                             ;   in Loop: Header=BB11_161 Depth=1
	s_delay_alu instid0(SALU_CYCLE_1)
	s_or_b32 exec_lo, exec_lo, s33
.LBB11_313:                             ;   in Loop: Header=BB11_161 Depth=1
	s_and_not1_saveexec_b32 s7, s8
	s_cbranch_execz .LBB11_315
; %bb.314:                              ;   in Loop: Header=BB11_161 Depth=1
	v_cmp_gt_f32_e64 s8, 0x800000, |v26|
	v_fma_f32 v34, |v26|, s29, 0xbecd26ab
	s_delay_alu instid0(VALU_DEP_2) | instskip(NEXT) | instid1(VALU_DEP_1)
	v_cndmask_b32_e64 v31, 1.0, 0x4f800000, s8
	v_mul_f32_e64 v31, |v26|, v31
	s_delay_alu instid0(VALU_DEP_1) | instskip(SKIP_3) | instid1(VALU_DEP_2)
	v_log_f32_e32 v31, v31
	s_waitcnt_depctr 0xfff
	v_mul_f32_e32 v32, 0x3f317217, v31
	v_cmp_gt_f32_e64 s6, 0x7f800000, |v31|
	v_fma_f32 v33, 0x3f317217, v31, -v32
	s_delay_alu instid0(VALU_DEP_1) | instskip(NEXT) | instid1(VALU_DEP_1)
	v_fmac_f32_e32 v33, 0x3377d1cf, v31
	v_add_f32_e32 v32, v32, v33
	v_fma_f32 v33, |v26|, v34, 0x3f528d33
	s_delay_alu instid0(VALU_DEP_2) | instskip(SKIP_1) | instid1(VALU_DEP_3)
	v_cndmask_b32_e64 v31, v31, v32, s6
	v_cndmask_b32_e64 v32, 0, 0x41b17218, s8
	v_fma_f32 v33, |v26|, v33, 0xbf13c468
	s_delay_alu instid0(VALU_DEP_2) | instskip(NEXT) | instid1(VALU_DEP_1)
	v_sub_f32_e32 v31, v31, v32
	v_fma_f32 v31, |v26|, v33, -v31
.LBB11_315:                             ;   in Loop: Header=BB11_161 Depth=1
	s_or_b32 exec_lo, exec_lo, s7
	v_cmp_le_f32_e64 s6, 0, v26
	s_mov_b32 s8, exec_lo
	v_cmpx_nle_f32_e32 0, v26
	s_xor_b32 s33, exec_lo, s8
	s_cbranch_execnz .LBB11_321
; %bb.316:                              ;   in Loop: Header=BB11_161 Depth=1
	s_and_not1_saveexec_b32 s33, s33
	s_cbranch_execnz .LBB11_324
.LBB11_317:                             ;   in Loop: Header=BB11_161 Depth=1
	s_or_b32 exec_lo, exec_lo, s33
	s_and_saveexec_b32 s7, s2
	s_delay_alu instid0(SALU_CYCLE_1)
	s_xor_b32 s7, exec_lo, s7
	s_cbranch_execnz .LBB11_325
.LBB11_318:                             ;   in Loop: Header=BB11_161 Depth=1
	s_or_b32 exec_lo, exec_lo, s7
	s_and_saveexec_b32 s2, s1
	s_cbranch_execnz .LBB11_326
.LBB11_319:                             ;   in Loop: Header=BB11_161 Depth=1
	s_or_b32 exec_lo, exec_lo, s2
	s_and_saveexec_b32 s1, s0
	s_cbranch_execnz .LBB11_327
.LBB11_320:                             ;   in Loop: Header=BB11_161 Depth=1
	s_or_b32 exec_lo, exec_lo, s1
	s_and_saveexec_b32 s0, vcc_lo
	s_cbranch_execz .LBB11_160
	s_branch .LBB11_328
.LBB11_321:                             ;   in Loop: Header=BB11_161 Depth=1
	v_cmp_gt_f32_e64 s7, 0x4b000000, |v26|
	v_cmp_lt_f32_e64 s8, 0x35000000, |v26|
	s_delay_alu instid0(VALU_DEP_1) | instskip(NEXT) | instid1(SALU_CYCLE_1)
	s_and_b32 s7, s7, s8
	s_and_saveexec_b32 s34, s7
	s_cbranch_execz .LBB11_323
; %bb.322:                              ;   in Loop: Header=BB11_161 Depth=1
	v_mul_f32_e64 v32, |v26|, 0.5
	s_delay_alu instid0(VALU_DEP_1) | instskip(SKIP_1) | instid1(VALU_DEP_2)
	v_floor_f32_e32 v33, v32
	v_cmp_neq_f32_e64 s7, 0x7f800000, v32
	v_sub_f32_e32 v33, v32, v33
	s_delay_alu instid0(VALU_DEP_1) | instskip(NEXT) | instid1(VALU_DEP_1)
	v_min_f32_e32 v33, 0x3f7fffff, v33
	v_add_f32_e32 v33, v33, v33
	s_delay_alu instid0(VALU_DEP_1) | instskip(SKIP_1) | instid1(VALU_DEP_1)
	v_cndmask_b32_e64 v32, 0, v33, s7
	v_cmp_gt_f32_e64 s7, |v26|, 1.0
	v_cndmask_b32_e64 v32, |v26|, v32, s7
	s_delay_alu instid0(VALU_DEP_1) | instskip(NEXT) | instid1(VALU_DEP_1)
	v_add_f32_e32 v33, v32, v32
	v_rndne_f32_e32 v33, v33
	s_delay_alu instid0(VALU_DEP_1) | instskip(SKIP_1) | instid1(VALU_DEP_2)
	v_fmac_f32_e32 v32, -0.5, v33
	v_cvt_i32_f32_e32 v33, v33
	v_mul_f32_e32 v34, v32, v32
	s_delay_alu instid0(VALU_DEP_1) | instskip(SKIP_1) | instid1(VALU_DEP_2)
	v_fmaak_f32 v35, s30, v34, 0xbf1f24be
	v_fmaak_f32 v36, s31, v34, 0x3e642e9d
	;; [unrolled: 1-line block ×3, first 2 shown]
	s_delay_alu instid0(VALU_DEP_2) | instskip(NEXT) | instid1(VALU_DEP_2)
	v_dual_fmaak_f32 v36, v34, v36, 0xbfaad1da :: v_dual_mul_f32 v37, v32, v34
	v_fmaak_f32 v35, v34, v35, 0xc0a55e0e
	s_delay_alu instid0(VALU_DEP_1) | instskip(NEXT) | instid1(VALU_DEP_1)
	v_dual_fmaak_f32 v36, v34, v36, 0x4081e0d3 :: v_dual_mul_f32 v35, v37, v35
	v_dual_fmaak_f32 v36, v34, v36, 0xc09de9e6 :: v_dual_and_b32 v37, 1, v33
	v_lshlrev_b32_e32 v33, 30, v33
	s_delay_alu instid0(VALU_DEP_3) | instskip(NEXT) | instid1(VALU_DEP_3)
	v_fmac_f32_e32 v35, 0x40490fdb, v32
	v_fma_f32 v32, v34, v36, 1.0
	s_delay_alu instid0(VALU_DEP_4) | instskip(NEXT) | instid1(VALU_DEP_4)
	v_cmp_eq_u32_e64 s7, 0, v37
	v_and_or_b32 v30, 0x80000000, v33, v30
	s_delay_alu instid0(VALU_DEP_2) | instskip(NEXT) | instid1(VALU_DEP_1)
	v_cndmask_b32_e64 v32, v32, v35, s7
	v_xor3_b32 v30, v30, v32, v26
	s_delay_alu instid0(VALU_DEP_1) | instskip(NEXT) | instid1(VALU_DEP_1)
	v_mul_f32_e32 v30, v26, v30
	v_frexp_mant_f32_e64 v32, |v30|
	v_frexp_exp_i32_f32_e32 v30, v30
	s_delay_alu instid0(VALU_DEP_2) | instskip(NEXT) | instid1(VALU_DEP_1)
	v_rcp_f32_e32 v32, v32
	v_sub_nc_u32_e32 v30, 2, v30
	s_waitcnt_depctr 0xfff
	v_mul_f32_e32 v32, 0x3f490fdb, v32
	s_delay_alu instid0(VALU_DEP_1) | instskip(NEXT) | instid1(VALU_DEP_1)
	v_ldexp_f32 v30, v32, v30
	v_cmp_gt_f32_e64 s7, 0x800000, v30
	s_delay_alu instid0(VALU_DEP_1) | instskip(NEXT) | instid1(VALU_DEP_1)
	v_cndmask_b32_e64 v32, 1.0, 0x4f800000, s7
	v_mul_f32_e32 v30, v30, v32
	s_delay_alu instid0(VALU_DEP_1) | instskip(SKIP_3) | instid1(VALU_DEP_2)
	v_log_f32_e32 v30, v30
	s_waitcnt_depctr 0xfff
	v_mul_f32_e32 v32, 0x3f317217, v30
	v_cmp_gt_f32_e64 s8, 0x7f800000, |v30|
	v_fma_f32 v33, 0x3f317217, v30, -v32
	s_delay_alu instid0(VALU_DEP_1) | instskip(NEXT) | instid1(VALU_DEP_1)
	v_fmac_f32_e32 v33, 0x3377d1cf, v30
	v_add_f32_e32 v32, v32, v33
	v_floor_f32_e32 v33, v26
	s_delay_alu instid0(VALU_DEP_2) | instskip(SKIP_1) | instid1(VALU_DEP_3)
	v_cndmask_b32_e64 v30, v30, v32, s8
	v_cndmask_b32_e64 v32, 0, 0x41b17218, s7
	v_sub_f32_e32 v33, v26, v33
	s_delay_alu instid0(VALU_DEP_2) | instskip(NEXT) | instid1(VALU_DEP_2)
	v_sub_f32_e32 v30, v30, v32
	v_min_f32_e32 v32, 0x3f7fffff, v33
	s_delay_alu instid0(VALU_DEP_2) | instskip(NEXT) | instid1(VALU_DEP_2)
	v_sub_f32_e32 v30, v30, v31
	v_cmp_neq_f32_e64 s7, 0, v32
	s_delay_alu instid0(VALU_DEP_1)
	v_cndmask_b32_e64 v31, 0x7f800000, v30, s7
.LBB11_323:                             ;   in Loop: Header=BB11_161 Depth=1
	s_or_b32 exec_lo, exec_lo, s34
	s_and_not1_saveexec_b32 s33, s33
	s_cbranch_execz .LBB11_317
.LBB11_324:                             ;   in Loop: Header=BB11_161 Depth=1
	v_cmp_eq_f32_e64 s7, 1.0, v26
	v_cmp_eq_f32_e64 s8, 2.0, v26
	s_delay_alu instid0(VALU_DEP_1) | instskip(NEXT) | instid1(SALU_CYCLE_1)
	s_or_b32 s7, s7, s8
	v_cndmask_b32_e64 v31, v31, 0, s7
	s_or_b32 exec_lo, exec_lo, s33
	s_and_saveexec_b32 s7, s2
	s_delay_alu instid0(SALU_CYCLE_1)
	s_xor_b32 s7, exec_lo, s7
	s_cbranch_execz .LBB11_318
.LBB11_325:                             ;   in Loop: Header=BB11_161 Depth=1
	v_cmp_gt_f32_e64 s2, 0x4b000000, |v23|
	s_delay_alu instid0(VALU_DEP_1) | instskip(NEXT) | instid1(SALU_CYCLE_1)
	s_or_b32 s2, s3, s2
	v_cndmask_b32_e64 v24, 0x7f800000, v24, s2
	v_cmp_class_f32_e64 s2, v23, 0x264
	s_delay_alu instid0(VALU_DEP_1) | instskip(SKIP_1) | instid1(VALU_DEP_1)
	v_cndmask_b32_e64 v24, v24, 0x7f800000, s2
	v_cmp_u_f32_e64 s2, v23, v23
	v_cndmask_b32_e64 v23, v24, v23, s2
	s_delay_alu instid0(VALU_DEP_1) | instskip(SKIP_1) | instid1(VALU_DEP_2)
	v_bfe_u32 v24, v23, 16, 1
	v_cmp_o_f32_e64 s2, v23, v23
	v_add3_u32 v24, v23, v24, 0x7fff
	s_delay_alu instid0(VALU_DEP_1) | instskip(NEXT) | instid1(VALU_DEP_1)
	v_lshrrev_b32_e32 v24, 16, v24
	v_cndmask_b32_e64 v30, 0x7fc0, v24, s2
	v_add_co_u32 v23, s2, v3, s10
	s_delay_alu instid0(VALU_DEP_1)
	v_add_co_ci_u32_e64 v24, s2, s11, v4, s2
	global_store_b16 v[23:24], v30, off
	s_or_b32 exec_lo, exec_lo, s7
	s_and_saveexec_b32 s2, s1
	s_cbranch_execz .LBB11_319
.LBB11_326:                             ;   in Loop: Header=BB11_161 Depth=1
	v_cmp_gt_f32_e64 s1, 0x4b000000, |v25|
	s_delay_alu instid0(VALU_DEP_1) | instskip(NEXT) | instid1(SALU_CYCLE_1)
	s_or_b32 s1, s4, s1
	v_cndmask_b32_e64 v23, 0x7f800000, v27, s1
	v_cmp_class_f32_e64 s1, v25, 0x264
	s_delay_alu instid0(VALU_DEP_1) | instskip(SKIP_1) | instid1(VALU_DEP_1)
	v_cndmask_b32_e64 v23, v23, 0x7f800000, s1
	v_cmp_u_f32_e64 s1, v25, v25
	v_cndmask_b32_e64 v23, v23, v25, s1
	s_delay_alu instid0(VALU_DEP_1) | instskip(SKIP_1) | instid1(VALU_DEP_2)
	v_bfe_u32 v24, v23, 16, 1
	v_cmp_o_f32_e64 s1, v23, v23
	v_add3_u32 v24, v23, v24, 0x7fff
	s_delay_alu instid0(VALU_DEP_1) | instskip(NEXT) | instid1(VALU_DEP_1)
	v_lshrrev_b32_e32 v24, 16, v24
	v_cndmask_b32_e64 v25, 0x7fc0, v24, s1
	v_add_co_u32 v23, s1, v21, s10
	s_delay_alu instid0(VALU_DEP_1)
	v_add_co_ci_u32_e64 v24, s1, s11, v22, s1
	global_store_b16 v[23:24], v25, off
	s_or_b32 exec_lo, exec_lo, s2
	s_and_saveexec_b32 s1, s0
	s_cbranch_execz .LBB11_320
.LBB11_327:                             ;   in Loop: Header=BB11_161 Depth=1
	v_cmp_gt_f32_e64 s0, 0x4b000000, |v28|
	s_delay_alu instid0(VALU_DEP_1) | instskip(NEXT) | instid1(SALU_CYCLE_1)
	s_or_b32 s0, s5, s0
	v_cndmask_b32_e64 v23, 0x7f800000, v29, s0
	v_cmp_class_f32_e64 s0, v28, 0x264
	s_delay_alu instid0(VALU_DEP_1) | instskip(SKIP_1) | instid1(VALU_DEP_1)
	v_cndmask_b32_e64 v23, v23, 0x7f800000, s0
	v_cmp_u_f32_e64 s0, v28, v28
	v_cndmask_b32_e64 v23, v23, v28, s0
	s_delay_alu instid0(VALU_DEP_1) | instskip(SKIP_1) | instid1(VALU_DEP_2)
	v_bfe_u32 v24, v23, 16, 1
	v_cmp_o_f32_e64 s0, v23, v23
	v_add3_u32 v24, v23, v24, 0x7fff
	s_delay_alu instid0(VALU_DEP_1) | instskip(NEXT) | instid1(VALU_DEP_1)
	v_lshrrev_b32_e32 v24, 16, v24
	v_cndmask_b32_e64 v25, 0x7fc0, v24, s0
	v_add_co_u32 v23, s0, v14, s10
	s_delay_alu instid0(VALU_DEP_1)
	v_add_co_ci_u32_e64 v24, s0, s11, v15, s0
	global_store_b16 v[23:24], v25, off
	s_or_b32 exec_lo, exec_lo, s1
	s_and_saveexec_b32 s0, vcc_lo
	s_cbranch_execz .LBB11_160
.LBB11_328:                             ;   in Loop: Header=BB11_161 Depth=1
	v_cmp_gt_f32_e64 s1, 0x4b000000, |v26|
	s_delay_alu instid0(VALU_DEP_1) | instskip(SKIP_3) | instid1(VALU_DEP_2)
	s_or_b32 vcc_lo, s6, s1
	v_cmp_class_f32_e64 s1, v26, 0x264
	v_cndmask_b32_e32 v23, 0x7f800000, v31, vcc_lo
	v_cmp_u_f32_e32 vcc_lo, v26, v26
	v_cndmask_b32_e64 v23, v23, 0x7f800000, s1
	s_delay_alu instid0(VALU_DEP_1) | instskip(NEXT) | instid1(VALU_DEP_1)
	v_cndmask_b32_e32 v23, v23, v26, vcc_lo
	v_bfe_u32 v24, v23, 16, 1
	v_cmp_o_f32_e32 vcc_lo, v23, v23
	s_delay_alu instid0(VALU_DEP_2) | instskip(NEXT) | instid1(VALU_DEP_1)
	v_add3_u32 v24, v23, v24, 0x7fff
	v_lshrrev_b32_e32 v24, 16, v24
	s_delay_alu instid0(VALU_DEP_1)
	v_cndmask_b32_e32 v25, 0x7fc0, v24, vcc_lo
	v_add_co_u32 v23, vcc_lo, v7, s10
	v_add_co_ci_u32_e32 v24, vcc_lo, s11, v8, vcc_lo
	global_store_b16 v[23:24], v25, off
	s_branch .LBB11_160
.LBB11_329:
	s_nop 0
	s_sendmsg sendmsg(MSG_DEALLOC_VGPRS)
	s_endpgm
	.section	.rodata,"a",@progbits
	.p2align	6, 0x0
	.amdhsa_kernel _ZN2at6native12_GLOBAL__N_125multi_tensor_apply_kernelINS1_18TensorListMetadataILi2EEENS1_14UnaryOpFunctorIN3c108BFloat16ELi2ELi1ELi1EEEJNS0_6LgammaIfEEEEEvT_T0_DpT1_
		.amdhsa_group_segment_fixed_size 0
		.amdhsa_private_segment_fixed_size 0
		.amdhsa_kernarg_size 3408
		.amdhsa_user_sgpr_count 15
		.amdhsa_user_sgpr_dispatch_ptr 0
		.amdhsa_user_sgpr_queue_ptr 0
		.amdhsa_user_sgpr_kernarg_segment_ptr 1
		.amdhsa_user_sgpr_dispatch_id 0
		.amdhsa_user_sgpr_private_segment_size 0
		.amdhsa_wavefront_size32 1
		.amdhsa_uses_dynamic_stack 0
		.amdhsa_enable_private_segment 0
		.amdhsa_system_sgpr_workgroup_id_x 1
		.amdhsa_system_sgpr_workgroup_id_y 0
		.amdhsa_system_sgpr_workgroup_id_z 0
		.amdhsa_system_sgpr_workgroup_info 0
		.amdhsa_system_vgpr_workitem_id 0
		.amdhsa_next_free_vgpr 38
		.amdhsa_next_free_sgpr 36
		.amdhsa_reserve_vcc 1
		.amdhsa_float_round_mode_32 0
		.amdhsa_float_round_mode_16_64 0
		.amdhsa_float_denorm_mode_32 3
		.amdhsa_float_denorm_mode_16_64 3
		.amdhsa_dx10_clamp 1
		.amdhsa_ieee_mode 1
		.amdhsa_fp16_overflow 0
		.amdhsa_workgroup_processor_mode 1
		.amdhsa_memory_ordered 1
		.amdhsa_forward_progress 0
		.amdhsa_shared_vgpr_count 0
		.amdhsa_exception_fp_ieee_invalid_op 0
		.amdhsa_exception_fp_denorm_src 0
		.amdhsa_exception_fp_ieee_div_zero 0
		.amdhsa_exception_fp_ieee_overflow 0
		.amdhsa_exception_fp_ieee_underflow 0
		.amdhsa_exception_fp_ieee_inexact 0
		.amdhsa_exception_int_div_zero 0
	.end_amdhsa_kernel
	.section	.text._ZN2at6native12_GLOBAL__N_125multi_tensor_apply_kernelINS1_18TensorListMetadataILi2EEENS1_14UnaryOpFunctorIN3c108BFloat16ELi2ELi1ELi1EEEJNS0_6LgammaIfEEEEEvT_T0_DpT1_,"axG",@progbits,_ZN2at6native12_GLOBAL__N_125multi_tensor_apply_kernelINS1_18TensorListMetadataILi2EEENS1_14UnaryOpFunctorIN3c108BFloat16ELi2ELi1ELi1EEEJNS0_6LgammaIfEEEEEvT_T0_DpT1_,comdat
.Lfunc_end11:
	.size	_ZN2at6native12_GLOBAL__N_125multi_tensor_apply_kernelINS1_18TensorListMetadataILi2EEENS1_14UnaryOpFunctorIN3c108BFloat16ELi2ELi1ELi1EEEJNS0_6LgammaIfEEEEEvT_T0_DpT1_, .Lfunc_end11-_ZN2at6native12_GLOBAL__N_125multi_tensor_apply_kernelINS1_18TensorListMetadataILi2EEENS1_14UnaryOpFunctorIN3c108BFloat16ELi2ELi1ELi1EEEJNS0_6LgammaIfEEEEEvT_T0_DpT1_
                                        ; -- End function
	.section	.AMDGPU.csdata,"",@progbits
; Kernel info:
; codeLenInByte = 23008
; NumSgprs: 38
; NumVgprs: 38
; ScratchSize: 0
; MemoryBound: 0
; FloatMode: 240
; IeeeMode: 1
; LDSByteSize: 0 bytes/workgroup (compile time only)
; SGPRBlocks: 4
; VGPRBlocks: 4
; NumSGPRsForWavesPerEU: 38
; NumVGPRsForWavesPerEU: 38
; Occupancy: 16
; WaveLimiterHint : 0
; COMPUTE_PGM_RSRC2:SCRATCH_EN: 0
; COMPUTE_PGM_RSRC2:USER_SGPR: 15
; COMPUTE_PGM_RSRC2:TRAP_HANDLER: 0
; COMPUTE_PGM_RSRC2:TGID_X_EN: 1
; COMPUTE_PGM_RSRC2:TGID_Y_EN: 0
; COMPUTE_PGM_RSRC2:TGID_Z_EN: 0
; COMPUTE_PGM_RSRC2:TIDIG_COMP_CNT: 0
	.section	.text._ZN2at6native12_GLOBAL__N_125multi_tensor_apply_kernelINS1_18TensorListMetadataILi1EEENS1_14UnaryOpFunctorIdLi1ELi1ELi0EEEJNS0_6LgammaIdEEEEEvT_T0_DpT1_,"axG",@progbits,_ZN2at6native12_GLOBAL__N_125multi_tensor_apply_kernelINS1_18TensorListMetadataILi1EEENS1_14UnaryOpFunctorIdLi1ELi1ELi0EEEJNS0_6LgammaIdEEEEEvT_T0_DpT1_,comdat
	.globl	_ZN2at6native12_GLOBAL__N_125multi_tensor_apply_kernelINS1_18TensorListMetadataILi1EEENS1_14UnaryOpFunctorIdLi1ELi1ELi0EEEJNS0_6LgammaIdEEEEEvT_T0_DpT1_ ; -- Begin function _ZN2at6native12_GLOBAL__N_125multi_tensor_apply_kernelINS1_18TensorListMetadataILi1EEENS1_14UnaryOpFunctorIdLi1ELi1ELi0EEEJNS0_6LgammaIdEEEEEvT_T0_DpT1_
	.p2align	8
	.type	_ZN2at6native12_GLOBAL__N_125multi_tensor_apply_kernelINS1_18TensorListMetadataILi1EEENS1_14UnaryOpFunctorIdLi1ELi1ELi0EEEJNS0_6LgammaIdEEEEEvT_T0_DpT1_,@function
_ZN2at6native12_GLOBAL__N_125multi_tensor_apply_kernelINS1_18TensorListMetadataILi1EEENS1_14UnaryOpFunctorIdLi1ELi1ELi0EEEJNS0_6LgammaIdEEEEEvT_T0_DpT1_: ; @_ZN2at6native12_GLOBAL__N_125multi_tensor_apply_kernelINS1_18TensorListMetadataILi1EEENS1_14UnaryOpFunctorIdLi1ELi1ELi0EEEJNS0_6LgammaIdEEEEEvT_T0_DpT1_
; %bb.0:
	v_mov_b32_e32 v1, s15
	s_add_u32 s2, s0, s15
	s_mul_hi_u32 s3, s15, 3
	s_mul_i32 s15, s15, 3
	s_addc_u32 s4, s1, 0
	global_load_u8 v1, v1, s[0:1] offset:1760
	s_add_u32 s2, s2, s15
	s_addc_u32 s3, s4, s3
	s_mov_b32 s13, 0
	s_load_b32 s6, s[2:3], 0x820
	s_waitcnt lgkmcnt(0)
	s_ashr_i32 s7, s6, 31
	s_waitcnt vmcnt(0)
	v_readfirstlane_b32 s5, v1
	s_delay_alu instid0(VALU_DEP_1)
	s_lshl_b32 s4, s5, 3
	s_clause 0x1
	s_load_b64 s[2:3], s[0:1], s4 offset:0x0
	s_load_b64 s[8:9], s[0:1], s4 offset:0x370
	s_lshl_b64 s[4:5], s[6:7], 19
	s_waitcnt lgkmcnt(0)
	s_add_u32 s33, s2, s4
	s_addc_u32 s104, s3, s5
	s_lshl_b64 s[6:7], s[6:7], 16
	s_and_b32 s12, s33, 31
	s_sub_u32 s10, s8, s6
	s_subb_u32 s11, s9, s7
	s_and_b32 s6, s8, 3
	s_mov_b32 s7, s13
	s_delay_alu instid0(SALU_CYCLE_1) | instskip(NEXT) | instid1(SALU_CYCLE_1)
	s_or_b64 s[6:7], s[12:13], s[6:7]
	s_cmp_eq_u64 s[6:7], 0
	s_cbranch_scc1 .LBB12_157
; %bb.1:
	v_cmp_lt_i64_e64 s6, s[10:11], 1
	s_delay_alu instid0(VALU_DEP_1)
	s_and_b32 vcc_lo, exec_lo, s6
	s_cbranch_vccnz .LBB12_156
; %bb.2:
	s_load_b32 s6, s[0:1], 0xd3c
	v_cmp_gt_u64_e64 s7, 0x10000, s[10:11]
	v_dual_mov_b32 v1, 0 :: v_dual_lshlrev_b32 v2, 3, v0
	s_mov_b32 s70, 0x55555555
	s_mov_b32 s16, 0x6b47b09a
	;; [unrolled: 1-line block ×16, first 2 shown]
	s_waitcnt lgkmcnt(0)
	s_and_b32 s6, s6, 0xffff
	s_and_b32 s7, s7, exec_lo
	v_add_co_u32 v37, s9, v0, s6
	s_cselect_b32 s13, s11, 0
	s_cselect_b32 s12, s10, 0x10000
	s_lshl_b32 s7, s6, 1
	s_lshl_b32 vcc_hi, s6, 2
	s_add_u32 s2, s2, s4
	s_mul_i32 s8, s6, 3
	s_mul_i32 s72, s6, 24
	s_addc_u32 s3, s3, s5
	s_lshl_b32 s73, s6, 5
	s_lshl_b32 s74, s6, 4
	v_add_co_u32 v3, s6, s2, v2
	v_lshlrev_b32_e32 v2, 3, v37
	v_add_co_u32 v38, s4, s8, v0
	v_add_co_u32 v40, s5, s7, v0
	s_delay_alu instid0(VALU_DEP_3)
	v_add_co_u32 v5, s2, s2, v2
	v_add_co_ci_u32_e64 v39, null, 0, 0, s9
	v_add_co_ci_u32_e64 v41, null, 0, 0, s4
	;; [unrolled: 1-line block ×5, first 2 shown]
	s_mov_b32 s94, 0xa42b18f5
	s_mov_b32 s96, 0xc2bd619c
	;; [unrolled: 1-line block ×58, first 2 shown]
	s_mov_b64 s[68:69], 0
	s_mov_b32 s14, 0x55555780
	s_mov_b32 s9, 0xbfb3c467
	s_branch .LBB12_4
.LBB12_3:                               ;   in Loop: Header=BB12_4 Depth=1
	s_or_b32 exec_lo, exec_lo, s4
	s_add_u32 s68, s68, vcc_hi
	s_addc_u32 s69, s69, 0
	v_add_co_u32 v3, vcc_lo, v3, s73
	v_cmp_ge_i64_e64 s2, s[68:69], s[10:11]
	v_cmp_lt_u64_e64 s3, 0xffff, s[68:69]
	v_add_co_ci_u32_e32 v4, vcc_lo, 0, v4, vcc_lo
	v_add_co_u32 v5, vcc_lo, v5, s73
	v_add_co_ci_u32_e32 v6, vcc_lo, 0, v6, vcc_lo
	s_delay_alu instid0(VALU_DEP_4) | instskip(NEXT) | instid1(SALU_CYCLE_1)
	s_or_b32 s2, s2, s3
	s_and_b32 vcc_lo, exec_lo, s2
	s_cbranch_vccnz .LBB12_156
.LBB12_4:                               ; =>This Inner Loop Header: Depth=1
	v_add_co_u32 v7, s2, v0, s68
	s_delay_alu instid0(VALU_DEP_1) | instskip(SKIP_2) | instid1(VALU_DEP_3)
	v_add_co_ci_u32_e64 v8, null, 0, s69, s2
	v_mov_b32_e32 v9, 0
	v_mov_b32_e32 v10, 0
	v_cmp_gt_u64_e64 s5, s[12:13], v[7:8]
	s_delay_alu instid0(VALU_DEP_2) | instskip(NEXT) | instid1(VALU_DEP_2)
	v_dual_mov_b32 v14, v10 :: v_dual_mov_b32 v13, v9
	s_and_saveexec_b32 s2, s5
	s_cbranch_execz .LBB12_6
; %bb.5:                                ;   in Loop: Header=BB12_4 Depth=1
	global_load_b64 v[13:14], v[3:4], off
.LBB12_6:                               ;   in Loop: Header=BB12_4 Depth=1
	s_or_b32 exec_lo, exec_lo, s2
	v_add_co_u32 v7, vcc_lo, v37, s68
	v_add_co_ci_u32_e32 v8, vcc_lo, s69, v39, vcc_lo
	s_delay_alu instid0(VALU_DEP_1) | instskip(NEXT) | instid1(VALU_DEP_1)
	v_cmp_gt_u64_e64 s4, s[12:13], v[7:8]
	s_and_saveexec_b32 s2, s4
	s_cbranch_execz .LBB12_8
; %bb.7:                                ;   in Loop: Header=BB12_4 Depth=1
	global_load_b64 v[9:10], v[5:6], off
.LBB12_8:                               ;   in Loop: Header=BB12_4 Depth=1
	s_or_b32 exec_lo, exec_lo, s2
	v_add_co_u32 v11, vcc_lo, v40, s68
	v_add_co_ci_u32_e32 v12, vcc_lo, s69, v42, vcc_lo
	v_mov_b32_e32 v7, 0
	v_mov_b32_e32 v8, 0
	s_delay_alu instid0(VALU_DEP_3) | instskip(NEXT) | instid1(VALU_DEP_2)
	v_cmp_gt_u64_e64 s3, s[12:13], v[11:12]
	v_dual_mov_b32 v12, v8 :: v_dual_mov_b32 v11, v7
	s_delay_alu instid0(VALU_DEP_2)
	s_and_saveexec_b32 s2, s3
	s_cbranch_execz .LBB12_10
; %bb.9:                                ;   in Loop: Header=BB12_4 Depth=1
	v_add_co_u32 v11, vcc_lo, v3, s74
	v_add_co_ci_u32_e32 v12, vcc_lo, 0, v4, vcc_lo
	global_load_b64 v[11:12], v[11:12], off
.LBB12_10:                              ;   in Loop: Header=BB12_4 Depth=1
	s_or_b32 exec_lo, exec_lo, s2
	v_add_co_u32 v15, vcc_lo, v38, s68
	v_add_co_ci_u32_e32 v16, vcc_lo, s69, v41, vcc_lo
	s_delay_alu instid0(VALU_DEP_1) | instskip(NEXT) | instid1(VALU_DEP_1)
	v_cmp_gt_u64_e64 s2, s[12:13], v[15:16]
	s_and_saveexec_b32 s6, s2
	s_cbranch_execz .LBB12_12
; %bb.11:                               ;   in Loop: Header=BB12_4 Depth=1
	v_add_co_u32 v7, vcc_lo, v3, s72
	v_add_co_ci_u32_e32 v8, vcc_lo, 0, v4, vcc_lo
	global_load_b64 v[7:8], v[7:8], off
.LBB12_12:                              ;   in Loop: Header=BB12_4 Depth=1
	s_or_b32 exec_lo, exec_lo, s6
	s_waitcnt vmcnt(0)
	v_dual_mov_b32 v15, v13 :: v_dual_and_b32 v16, 0x7fffffff, v14
                                        ; implicit-def: $vgpr17_vgpr18
	s_mov_b32 s6, exec_lo
	s_delay_alu instid0(VALU_DEP_1)
	v_cmpx_lt_u32_e32 0x3f6fffff, v16
	s_xor_b32 s75, exec_lo, s6
	s_cbranch_execz .LBB12_38
; %bb.13:                               ;   in Loop: Header=BB12_4 Depth=1
                                        ; implicit-def: $vgpr17_vgpr18
	s_mov_b32 s6, exec_lo
	v_cmpx_lt_u32_e32 0x3fffffff, v16
	s_xor_b32 s76, exec_lo, s6
	s_cbranch_execz .LBB12_23
; %bb.14:                               ;   in Loop: Header=BB12_4 Depth=1
                                        ; implicit-def: $vgpr17_vgpr18
	s_mov_b32 s6, exec_lo
	;; [unrolled: 6-line block ×3, first 2 shown]
	v_cmpx_lt_u32_e32 0x438fffff, v16
	s_xor_b32 s8, exec_lo, s6
	s_cbranch_execz .LBB12_17
; %bb.16:                               ;   in Loop: Header=BB12_4 Depth=1
	v_frexp_mant_f64_e64 v[17:18], |v[13:14]|
	s_mov_b32 s15, s71
	v_cmp_neq_f64_e64 s6, 0, v[13:14]
	s_delay_alu instid0(VALU_DEP_2) | instskip(SKIP_1) | instid1(VALU_DEP_1)
	v_cmp_gt_f64_e32 vcc_lo, s[70:71], v[17:18]
	v_cndmask_b32_e64 v2, 0x3ff00000, 2.0, vcc_lo
	v_mul_f64 v[17:18], v[17:18], v[1:2]
	v_frexp_exp_i32_f64_e32 v2, v[13:14]
	s_delay_alu instid0(VALU_DEP_2) | instskip(NEXT) | instid1(VALU_DEP_2)
	v_add_f64 v[19:20], v[17:18], 1.0
	v_subrev_co_ci_u32_e32 v2, vcc_lo, 0, v2, vcc_lo
	v_cmp_class_f64_e64 vcc_lo, v[13:14], 0x204
	s_delay_alu instid0(VALU_DEP_3) | instskip(SKIP_2) | instid1(VALU_DEP_1)
	v_rcp_f64_e32 v[21:22], v[19:20]
	s_waitcnt_depctr 0xfff
	v_fma_f64 v[23:24], -v[19:20], v[21:22], 1.0
	v_fma_f64 v[21:22], v[23:24], v[21:22], v[21:22]
	s_delay_alu instid0(VALU_DEP_1) | instskip(NEXT) | instid1(VALU_DEP_1)
	v_fma_f64 v[23:24], -v[19:20], v[21:22], 1.0
	v_fma_f64 v[21:22], v[23:24], v[21:22], v[21:22]
	v_add_f64 v[23:24], v[19:20], -1.0
	s_delay_alu instid0(VALU_DEP_1) | instskip(SKIP_1) | instid1(VALU_DEP_1)
	v_add_f64 v[23:24], v[17:18], -v[23:24]
	v_add_f64 v[17:18], v[17:18], -1.0
	v_mul_f64 v[25:26], v[17:18], v[21:22]
	s_delay_alu instid0(VALU_DEP_1) | instskip(NEXT) | instid1(VALU_DEP_1)
	v_mul_f64 v[27:28], v[19:20], v[25:26]
	v_fma_f64 v[19:20], v[25:26], v[19:20], -v[27:28]
	s_delay_alu instid0(VALU_DEP_1) | instskip(NEXT) | instid1(VALU_DEP_1)
	v_fma_f64 v[19:20], v[25:26], v[23:24], v[19:20]
	v_add_f64 v[23:24], v[27:28], v[19:20]
	s_delay_alu instid0(VALU_DEP_1) | instskip(NEXT) | instid1(VALU_DEP_1)
	v_add_f64 v[27:28], v[23:24], -v[27:28]
	v_add_f64 v[19:20], v[27:28], -v[19:20]
	;; [unrolled: 1-line block ×3, first 2 shown]
	s_delay_alu instid0(VALU_DEP_1) | instskip(NEXT) | instid1(VALU_DEP_1)
	v_add_f64 v[17:18], v[17:18], -v[27:28]
	v_add_f64 v[17:18], v[17:18], -v[23:24]
	s_delay_alu instid0(VALU_DEP_1) | instskip(SKIP_1) | instid1(VALU_DEP_2)
	v_add_f64 v[17:18], v[19:20], v[17:18]
	v_cvt_f64_i32_e32 v[19:20], v2
	v_add_f64 v[17:18], v[27:28], v[17:18]
	s_delay_alu instid0(VALU_DEP_1) | instskip(NEXT) | instid1(VALU_DEP_3)
	v_mul_f64 v[17:18], v[21:22], v[17:18]
	v_mul_f64 v[21:22], v[19:20], s[28:29]
	s_delay_alu instid0(VALU_DEP_1) | instskip(NEXT) | instid1(VALU_DEP_1)
	v_fma_f64 v[23:24], v[19:20], s[28:29], -v[21:22]
	v_fma_f64 v[19:20], v[19:20], s[30:31], v[23:24]
	s_delay_alu instid0(VALU_DEP_4) | instskip(NEXT) | instid1(VALU_DEP_1)
	v_add_f64 v[23:24], v[25:26], v[17:18]
	v_add_f64 v[25:26], v[23:24], -v[25:26]
	s_delay_alu instid0(VALU_DEP_1) | instskip(SKIP_1) | instid1(VALU_DEP_2)
	v_add_f64 v[17:18], v[17:18], -v[25:26]
	v_mul_f64 v[25:26], v[23:24], v[23:24]
	v_ldexp_f64 v[17:18], v[17:18], 1
	s_delay_alu instid0(VALU_DEP_2) | instskip(NEXT) | instid1(VALU_DEP_1)
	v_fma_f64 v[27:28], v[25:26], s[18:19], s[16:17]
	v_fma_f64 v[27:28], v[25:26], v[27:28], s[20:21]
	s_delay_alu instid0(VALU_DEP_1) | instskip(NEXT) | instid1(VALU_DEP_1)
	v_fma_f64 v[27:28], v[25:26], v[27:28], s[22:23]
	v_fma_f64 v[27:28], v[25:26], v[27:28], s[24:25]
	s_delay_alu instid0(VALU_DEP_1) | instskip(NEXT) | instid1(VALU_DEP_1)
	v_fma_f64 v[27:28], v[25:26], v[27:28], s[26:27]
	v_fma_f64 v[27:28], v[25:26], v[27:28], s[14:15]
	v_mul_f64 v[25:26], v[23:24], v[25:26]
	v_ldexp_f64 v[23:24], v[23:24], 1
	s_delay_alu instid0(VALU_DEP_2) | instskip(NEXT) | instid1(VALU_DEP_1)
	v_mul_f64 v[25:26], v[25:26], v[27:28]
	v_add_f64 v[27:28], v[23:24], v[25:26]
	s_delay_alu instid0(VALU_DEP_1) | instskip(NEXT) | instid1(VALU_DEP_1)
	v_add_f64 v[23:24], v[27:28], -v[23:24]
	v_add_f64 v[23:24], v[25:26], -v[23:24]
	s_delay_alu instid0(VALU_DEP_1) | instskip(SKIP_1) | instid1(VALU_DEP_1)
	v_add_f64 v[17:18], v[17:18], v[23:24]
	v_add_f64 v[23:24], v[21:22], v[19:20]
	v_add_f64 v[21:22], v[23:24], -v[21:22]
	s_delay_alu instid0(VALU_DEP_1) | instskip(NEXT) | instid1(VALU_DEP_4)
	v_add_f64 v[19:20], v[19:20], -v[21:22]
	v_add_f64 v[21:22], v[27:28], v[17:18]
	s_delay_alu instid0(VALU_DEP_1) | instskip(SKIP_1) | instid1(VALU_DEP_2)
	v_add_f64 v[25:26], v[21:22], -v[27:28]
	v_add_f64 v[27:28], v[23:24], v[21:22]
	v_add_f64 v[17:18], v[17:18], -v[25:26]
	s_delay_alu instid0(VALU_DEP_2) | instskip(NEXT) | instid1(VALU_DEP_1)
	v_add_f64 v[29:30], v[27:28], -v[23:24]
	v_add_f64 v[21:22], v[21:22], -v[29:30]
	;; [unrolled: 1-line block ×3, first 2 shown]
	s_delay_alu instid0(VALU_DEP_1) | instskip(NEXT) | instid1(VALU_DEP_1)
	v_add_f64 v[23:24], v[23:24], -v[29:30]
	v_add_f64 v[21:22], v[21:22], v[23:24]
	v_add_f64 v[23:24], v[19:20], v[17:18]
	s_delay_alu instid0(VALU_DEP_1) | instskip(NEXT) | instid1(VALU_DEP_3)
	v_add_f64 v[25:26], v[23:24], -v[19:20]
	v_add_f64 v[21:22], v[23:24], v[21:22]
	s_delay_alu instid0(VALU_DEP_2) | instskip(SKIP_1) | instid1(VALU_DEP_1)
	v_add_f64 v[17:18], v[17:18], -v[25:26]
	v_add_f64 v[25:26], v[23:24], -v[25:26]
	;; [unrolled: 1-line block ×3, first 2 shown]
	s_delay_alu instid0(VALU_DEP_1) | instskip(SKIP_1) | instid1(VALU_DEP_1)
	v_add_f64 v[17:18], v[17:18], v[19:20]
	v_add_f64 v[19:20], v[27:28], v[21:22]
	v_add_f64 v[23:24], v[19:20], -v[27:28]
	s_delay_alu instid0(VALU_DEP_1) | instskip(NEXT) | instid1(VALU_DEP_1)
	v_add_f64 v[21:22], v[21:22], -v[23:24]
	v_add_f64 v[17:18], v[17:18], v[21:22]
	s_delay_alu instid0(VALU_DEP_1) | instskip(NEXT) | instid1(VALU_DEP_1)
	v_add_f64 v[17:18], v[19:20], v[17:18]
	v_dual_cndmask_b32 v2, v18, v16 :: v_dual_cndmask_b32 v15, v17, v13
	s_delay_alu instid0(VALU_DEP_1) | instskip(NEXT) | instid1(VALU_DEP_2)
	v_cndmask_b32_e64 v18, 0xfff00000, v2, s6
	v_cndmask_b32_e64 v17, 0, v15, s6
	s_delay_alu instid0(VALU_DEP_1)
	v_fma_f64 v[17:18], |v[13:14]|, v[17:18], -|v[13:14]|
.LBB12_17:                              ;   in Loop: Header=BB12_4 Depth=1
	s_and_not1_saveexec_b32 s6, s8
	s_cbranch_execz .LBB12_19
; %bb.18:                               ;   in Loop: Header=BB12_4 Depth=1
	v_mov_b32_e32 v15, v13
	s_mov_b32 s15, s71
	s_mov_b32 s78, 0x4cdad5d1
	;; [unrolled: 1-line block ×4, first 2 shown]
	v_div_scale_f64 v[17:18], null, v[15:16], v[15:16], 1.0
	s_mov_b32 s81, 0xbf5ab89d
	s_delay_alu instid0(VALU_DEP_1) | instskip(SKIP_2) | instid1(VALU_DEP_1)
	v_rcp_f64_e32 v[19:20], v[17:18]
	s_waitcnt_depctr 0xfff
	v_fma_f64 v[21:22], -v[17:18], v[19:20], 1.0
	v_fma_f64 v[19:20], v[19:20], v[21:22], v[19:20]
	s_delay_alu instid0(VALU_DEP_1) | instskip(NEXT) | instid1(VALU_DEP_1)
	v_fma_f64 v[21:22], -v[17:18], v[19:20], 1.0
	v_fma_f64 v[19:20], v[19:20], v[21:22], v[19:20]
	v_div_scale_f64 v[21:22], vcc_lo, 1.0, v[15:16], 1.0
	s_delay_alu instid0(VALU_DEP_1) | instskip(NEXT) | instid1(VALU_DEP_1)
	v_mul_f64 v[23:24], v[21:22], v[19:20]
	v_fma_f64 v[17:18], -v[17:18], v[23:24], v[21:22]
	s_delay_alu instid0(VALU_DEP_1) | instskip(SKIP_1) | instid1(VALU_DEP_2)
	v_div_fmas_f64 v[17:18], v[17:18], v[19:20], v[23:24]
	v_frexp_mant_f64_e64 v[19:20], |v[13:14]|
	v_div_fixup_f64 v[17:18], v[17:18], |v[13:14]|, 1.0
	s_delay_alu instid0(VALU_DEP_2) | instskip(SKIP_1) | instid1(VALU_DEP_1)
	v_cmp_gt_f64_e32 vcc_lo, s[70:71], v[19:20]
	v_cndmask_b32_e64 v2, 0x3ff00000, 2.0, vcc_lo
	v_mul_f64 v[19:20], v[19:20], v[1:2]
	v_frexp_exp_i32_f64_e32 v2, v[13:14]
	s_delay_alu instid0(VALU_DEP_2) | instskip(NEXT) | instid1(VALU_DEP_2)
	v_add_f64 v[21:22], v[19:20], 1.0
	v_subrev_co_ci_u32_e32 v2, vcc_lo, 0, v2, vcc_lo
	v_cmp_class_f64_e64 vcc_lo, v[13:14], 0x204
	s_delay_alu instid0(VALU_DEP_3) | instskip(SKIP_2) | instid1(VALU_DEP_1)
	v_rcp_f64_e32 v[23:24], v[21:22]
	s_waitcnt_depctr 0xfff
	v_fma_f64 v[25:26], -v[21:22], v[23:24], 1.0
	v_fma_f64 v[23:24], v[25:26], v[23:24], v[23:24]
	s_delay_alu instid0(VALU_DEP_1) | instskip(NEXT) | instid1(VALU_DEP_1)
	v_fma_f64 v[25:26], -v[21:22], v[23:24], 1.0
	v_fma_f64 v[23:24], v[25:26], v[23:24], v[23:24]
	v_add_f64 v[25:26], v[21:22], -1.0
	s_delay_alu instid0(VALU_DEP_1) | instskip(SKIP_1) | instid1(VALU_DEP_1)
	v_add_f64 v[25:26], v[19:20], -v[25:26]
	v_add_f64 v[19:20], v[19:20], -1.0
	v_mul_f64 v[27:28], v[19:20], v[23:24]
	s_delay_alu instid0(VALU_DEP_1) | instskip(NEXT) | instid1(VALU_DEP_1)
	v_mul_f64 v[29:30], v[21:22], v[27:28]
	v_fma_f64 v[21:22], v[27:28], v[21:22], -v[29:30]
	s_delay_alu instid0(VALU_DEP_1) | instskip(NEXT) | instid1(VALU_DEP_1)
	v_fma_f64 v[21:22], v[27:28], v[25:26], v[21:22]
	v_add_f64 v[25:26], v[29:30], v[21:22]
	s_delay_alu instid0(VALU_DEP_1) | instskip(NEXT) | instid1(VALU_DEP_1)
	v_add_f64 v[29:30], v[25:26], -v[29:30]
	v_add_f64 v[21:22], v[29:30], -v[21:22]
	;; [unrolled: 1-line block ×3, first 2 shown]
	s_delay_alu instid0(VALU_DEP_1) | instskip(NEXT) | instid1(VALU_DEP_1)
	v_add_f64 v[19:20], v[19:20], -v[29:30]
	v_add_f64 v[19:20], v[19:20], -v[25:26]
	s_delay_alu instid0(VALU_DEP_1) | instskip(SKIP_1) | instid1(VALU_DEP_2)
	v_add_f64 v[19:20], v[21:22], v[19:20]
	v_cvt_f64_i32_e32 v[21:22], v2
	v_add_f64 v[19:20], v[29:30], v[19:20]
	s_delay_alu instid0(VALU_DEP_1) | instskip(NEXT) | instid1(VALU_DEP_3)
	v_mul_f64 v[19:20], v[23:24], v[19:20]
	v_mul_f64 v[23:24], v[21:22], s[28:29]
	s_delay_alu instid0(VALU_DEP_1) | instskip(NEXT) | instid1(VALU_DEP_1)
	v_fma_f64 v[25:26], v[21:22], s[28:29], -v[23:24]
	v_fma_f64 v[21:22], v[21:22], s[30:31], v[25:26]
	s_delay_alu instid0(VALU_DEP_4) | instskip(NEXT) | instid1(VALU_DEP_1)
	v_add_f64 v[25:26], v[27:28], v[19:20]
	v_add_f64 v[27:28], v[25:26], -v[27:28]
	s_delay_alu instid0(VALU_DEP_1) | instskip(SKIP_1) | instid1(VALU_DEP_2)
	v_add_f64 v[19:20], v[19:20], -v[27:28]
	v_mul_f64 v[27:28], v[25:26], v[25:26]
	v_ldexp_f64 v[19:20], v[19:20], 1
	s_delay_alu instid0(VALU_DEP_2) | instskip(NEXT) | instid1(VALU_DEP_1)
	v_fma_f64 v[29:30], v[27:28], s[18:19], s[16:17]
	v_fma_f64 v[29:30], v[27:28], v[29:30], s[20:21]
	s_delay_alu instid0(VALU_DEP_1) | instskip(NEXT) | instid1(VALU_DEP_1)
	v_fma_f64 v[29:30], v[27:28], v[29:30], s[22:23]
	v_fma_f64 v[29:30], v[27:28], v[29:30], s[24:25]
	s_delay_alu instid0(VALU_DEP_1) | instskip(NEXT) | instid1(VALU_DEP_1)
	v_fma_f64 v[29:30], v[27:28], v[29:30], s[26:27]
	v_fma_f64 v[29:30], v[27:28], v[29:30], s[14:15]
	v_mul_f64 v[27:28], v[25:26], v[27:28]
	v_ldexp_f64 v[25:26], v[25:26], 1
	s_delay_alu instid0(VALU_DEP_2) | instskip(NEXT) | instid1(VALU_DEP_1)
	v_mul_f64 v[27:28], v[27:28], v[29:30]
	v_add_f64 v[29:30], v[25:26], v[27:28]
	s_delay_alu instid0(VALU_DEP_1) | instskip(NEXT) | instid1(VALU_DEP_1)
	v_add_f64 v[25:26], v[29:30], -v[25:26]
	v_add_f64 v[25:26], v[27:28], -v[25:26]
	s_delay_alu instid0(VALU_DEP_1) | instskip(SKIP_1) | instid1(VALU_DEP_1)
	v_add_f64 v[19:20], v[19:20], v[25:26]
	v_add_f64 v[25:26], v[23:24], v[21:22]
	v_add_f64 v[23:24], v[25:26], -v[23:24]
	s_delay_alu instid0(VALU_DEP_1) | instskip(NEXT) | instid1(VALU_DEP_4)
	v_add_f64 v[21:22], v[21:22], -v[23:24]
	v_add_f64 v[23:24], v[29:30], v[19:20]
	s_delay_alu instid0(VALU_DEP_1) | instskip(SKIP_1) | instid1(VALU_DEP_2)
	v_add_f64 v[27:28], v[23:24], -v[29:30]
	v_add_f64 v[29:30], v[25:26], v[23:24]
	v_add_f64 v[19:20], v[19:20], -v[27:28]
	s_delay_alu instid0(VALU_DEP_2) | instskip(NEXT) | instid1(VALU_DEP_1)
	v_add_f64 v[31:32], v[29:30], -v[25:26]
	v_add_f64 v[23:24], v[23:24], -v[31:32]
	;; [unrolled: 1-line block ×3, first 2 shown]
	s_delay_alu instid0(VALU_DEP_1) | instskip(NEXT) | instid1(VALU_DEP_1)
	v_add_f64 v[25:26], v[25:26], -v[31:32]
	v_add_f64 v[23:24], v[23:24], v[25:26]
	v_add_f64 v[25:26], v[21:22], v[19:20]
	s_delay_alu instid0(VALU_DEP_1) | instskip(NEXT) | instid1(VALU_DEP_3)
	v_add_f64 v[27:28], v[25:26], -v[21:22]
	v_add_f64 v[23:24], v[25:26], v[23:24]
	s_delay_alu instid0(VALU_DEP_2) | instskip(SKIP_1) | instid1(VALU_DEP_1)
	v_add_f64 v[19:20], v[19:20], -v[27:28]
	v_add_f64 v[27:28], v[25:26], -v[27:28]
	v_add_f64 v[21:22], v[21:22], -v[27:28]
	s_delay_alu instid0(VALU_DEP_1) | instskip(SKIP_1) | instid1(VALU_DEP_1)
	v_add_f64 v[19:20], v[19:20], v[21:22]
	v_add_f64 v[21:22], v[29:30], v[23:24]
	v_add_f64 v[25:26], v[21:22], -v[29:30]
	s_delay_alu instid0(VALU_DEP_1) | instskip(NEXT) | instid1(VALU_DEP_1)
	v_add_f64 v[23:24], v[23:24], -v[25:26]
	v_add_f64 v[19:20], v[19:20], v[23:24]
	s_delay_alu instid0(VALU_DEP_1) | instskip(SKIP_1) | instid1(VALU_DEP_2)
	v_add_f64 v[19:20], v[21:22], v[19:20]
	v_mul_f64 v[21:22], v[17:18], v[17:18]
	v_cndmask_b32_e32 v20, v20, v16, vcc_lo
	s_delay_alu instid0(VALU_DEP_2) | instskip(SKIP_2) | instid1(VALU_DEP_4)
	v_fma_f64 v[23:24], v[21:22], s[80:81], s[78:79]
	s_mov_b32 s78, 0x8c0fe741
	s_mov_b32 s79, 0xbf4380cb
	v_cndmask_b32_e32 v19, v19, v15, vcc_lo
	v_cmp_neq_f64_e32 vcc_lo, 0, v[13:14]
	s_mov_b32 s80, 0xdd17e945
	s_mov_b32 s81, 0x3f00bfec
	s_delay_alu instid0(VALU_DEP_2) | instskip(NEXT) | instid1(VALU_DEP_4)
	v_add_f64 v[19:20], v[19:20], -1.0
	v_fma_f64 v[23:24], v[21:22], v[23:24], s[78:79]
	s_mov_b32 s78, 0x98cf38b6
	s_mov_b32 s79, 0x3f4a019f
	s_delay_alu instid0(VALU_DEP_2) | instskip(NEXT) | instid1(VALU_DEP_3)
	v_cndmask_b32_e32 v20, 0xfff00000, v20, vcc_lo
	v_cndmask_b32_e32 v19, 0, v19, vcc_lo
	s_delay_alu instid0(VALU_DEP_3)
	v_fma_f64 v[23:24], v[21:22], v[23:24], s[78:79]
	s_mov_b32 s78, 0x16b02e5c
	s_mov_b32 s79, 0xbf66c16c
	s_delay_alu instid0(VALU_DEP_1) | instid1(SALU_CYCLE_1)
	v_fma_f64 v[23:24], v[21:22], v[23:24], s[78:79]
	s_mov_b32 s78, 0x5555553b
	s_mov_b32 s79, 0x3fb55555
	s_delay_alu instid0(VALU_DEP_1) | instid1(SALU_CYCLE_1)
	;; [unrolled: 4-line block ×3, first 2 shown]
	v_fma_f64 v[17:18], v[17:18], v[21:22], s[78:79]
	v_add_f64 v[21:22], |v[13:14]|, -0.5
	s_mov_b32 s78, 0x7368f239
	s_mov_b32 s79, 0x3f5e26b6
	s_delay_alu instid0(VALU_DEP_1)
	v_fma_f64 v[17:18], v[21:22], v[19:20], v[17:18]
.LBB12_19:                              ;   in Loop: Header=BB12_4 Depth=1
	s_or_b32 exec_lo, exec_lo, s6
.LBB12_20:                              ;   in Loop: Header=BB12_4 Depth=1
	s_and_not1_saveexec_b32 s77, s7
	s_cbranch_execz .LBB12_22
; %bb.21:                               ;   in Loop: Header=BB12_4 Depth=1
	v_cvt_i32_f64_e32 v2, v[15:16]
	s_mov_b32 s6, 0xca41a95b
	s_mov_b32 s82, 0xa5b38140
	;; [unrolled: 1-line block ×6, first 2 shown]
	s_delay_alu instid0(VALU_DEP_1) | instskip(NEXT) | instid1(VALU_DEP_1)
	v_cvt_f64_i32_e32 v[17:18], v2
	v_add_f64 v[17:18], |v[13:14]|, -v[17:18]
	s_delay_alu instid0(VALU_DEP_1)
	v_fma_f64 v[19:20], v[17:18], s[80:81], s[78:79]
	v_fma_f64 v[21:22], v[17:18], s[82:83], s[6:7]
	s_mov_b32 s6, 0x7e939961
	s_mov_b32 s7, 0x3f9b481c
	s_delay_alu instid0(VALU_DEP_2) | instid1(SALU_CYCLE_1)
	v_fma_f64 v[19:20], v[17:18], v[19:20], s[6:7]
	s_mov_b32 s6, 0x742ed475
	s_mov_b32 s7, 0x3f9317ea
	s_delay_alu instid0(VALU_DEP_2) | instid1(SALU_CYCLE_1)
	;; [unrolled: 4-line block ×8, first 2 shown]
	v_fma_f64 v[21:22], v[17:18], v[21:22], s[6:7]
	s_delay_alu instid0(VALU_DEP_2) | instskip(NEXT) | instid1(VALU_DEP_2)
	v_fma_f64 v[19:20], v[17:18], v[19:20], s[8:9]
	v_fma_f64 v[21:22], v[17:18], v[21:22], 1.0
	s_delay_alu instid0(VALU_DEP_2) | instskip(NEXT) | instid1(VALU_DEP_1)
	v_mul_f64 v[19:20], v[17:18], v[19:20]
	v_div_scale_f64 v[23:24], null, v[21:22], v[21:22], v[19:20]
	s_delay_alu instid0(VALU_DEP_1) | instskip(SKIP_2) | instid1(VALU_DEP_1)
	v_rcp_f64_e32 v[25:26], v[23:24]
	s_waitcnt_depctr 0xfff
	v_fma_f64 v[27:28], -v[23:24], v[25:26], 1.0
	v_fma_f64 v[25:26], v[25:26], v[27:28], v[25:26]
	s_delay_alu instid0(VALU_DEP_1) | instskip(NEXT) | instid1(VALU_DEP_1)
	v_fma_f64 v[27:28], -v[23:24], v[25:26], 1.0
	v_fma_f64 v[25:26], v[25:26], v[27:28], v[25:26]
	v_div_scale_f64 v[27:28], vcc_lo, v[19:20], v[21:22], v[19:20]
	s_delay_alu instid0(VALU_DEP_1) | instskip(NEXT) | instid1(VALU_DEP_1)
	v_mul_f64 v[29:30], v[27:28], v[25:26]
	v_fma_f64 v[23:24], -v[23:24], v[29:30], v[27:28]
	s_delay_alu instid0(VALU_DEP_1) | instskip(SKIP_1) | instid1(VALU_DEP_2)
	v_div_fmas_f64 v[23:24], v[23:24], v[25:26], v[29:30]
	v_cmp_lt_i32_e32 vcc_lo, 2, v2
	v_div_fixup_f64 v[19:20], v[23:24], v[21:22], v[19:20]
	v_add_f64 v[21:22], v[17:18], 2.0
	v_add_f64 v[23:24], 0x40080000, v[17:18]
	s_delay_alu instid0(VALU_DEP_2) | instskip(NEXT) | instid1(VALU_DEP_3)
	v_cndmask_b32_e32 v22, 0x3ff00000, v22, vcc_lo
	v_cndmask_b32_e32 v21, 0, v21, vcc_lo
	v_cmp_lt_i32_e32 vcc_lo, 3, v2
	s_delay_alu instid0(VALU_DEP_4) | instskip(SKIP_2) | instid1(VALU_DEP_2)
	v_cndmask_b32_e32 v24, 0x3ff00000, v24, vcc_lo
	v_cndmask_b32_e32 v23, 0, v23, vcc_lo
	v_cmp_lt_i32_e32 vcc_lo, 4, v2
	v_mul_f64 v[21:22], v[21:22], v[23:24]
	v_add_f64 v[23:24], v[17:18], 4.0
	s_delay_alu instid0(VALU_DEP_1) | instskip(NEXT) | instid1(VALU_DEP_2)
	v_cndmask_b32_e32 v24, 0x3ff00000, v24, vcc_lo
	v_cndmask_b32_e32 v23, 0, v23, vcc_lo
	v_cmp_lt_i32_e32 vcc_lo, 5, v2
	s_delay_alu instid0(VALU_DEP_2) | instskip(SKIP_1) | instid1(VALU_DEP_1)
	v_mul_f64 v[21:22], v[23:24], v[21:22]
	v_add_f64 v[23:24], 0x40140000, v[17:18]
	v_cndmask_b32_e32 v24, 0x3ff00000, v24, vcc_lo
	s_delay_alu instid0(VALU_DEP_2) | instskip(SKIP_1) | instid1(VALU_DEP_2)
	v_cndmask_b32_e32 v23, 0, v23, vcc_lo
	v_cmp_lt_i32_e32 vcc_lo, 6, v2
	v_mul_f64 v[21:22], v[23:24], v[21:22]
	v_add_f64 v[23:24], 0x40180000, v[17:18]
	v_fma_f64 v[17:18], v[17:18], 0.5, v[19:20]
	s_delay_alu instid0(VALU_DEP_2) | instskip(NEXT) | instid1(VALU_DEP_3)
	v_cndmask_b32_e32 v24, 0x3ff00000, v24, vcc_lo
	v_cndmask_b32_e32 v23, 0, v23, vcc_lo
	s_delay_alu instid0(VALU_DEP_1) | instskip(NEXT) | instid1(VALU_DEP_1)
	v_mul_f64 v[21:22], v[23:24], v[21:22]
	v_frexp_mant_f64_e32 v[23:24], v[21:22]
	v_cmp_ngt_f64_e64 s6, 0, v[21:22]
	v_cmp_nge_f64_e64 s7, 0, v[21:22]
	v_cmp_neq_f64_e64 s8, 0, v[21:22]
	s_delay_alu instid0(VALU_DEP_4) | instskip(SKIP_1) | instid1(VALU_DEP_1)
	v_cmp_gt_f64_e32 vcc_lo, s[70:71], v[23:24]
	v_cndmask_b32_e64 v2, 0x3ff00000, 2.0, vcc_lo
	v_mul_f64 v[23:24], v[23:24], v[1:2]
	v_frexp_exp_i32_f64_e32 v2, v[21:22]
	s_delay_alu instid0(VALU_DEP_2) | instskip(NEXT) | instid1(VALU_DEP_2)
	v_add_f64 v[25:26], v[23:24], 1.0
	v_subrev_co_ci_u32_e32 v2, vcc_lo, 0, v2, vcc_lo
	v_cmp_class_f64_e64 vcc_lo, v[21:22], 0x204
	s_delay_alu instid0(VALU_DEP_3) | instskip(SKIP_2) | instid1(VALU_DEP_1)
	v_rcp_f64_e32 v[27:28], v[25:26]
	s_waitcnt_depctr 0xfff
	v_fma_f64 v[29:30], -v[25:26], v[27:28], 1.0
	v_fma_f64 v[27:28], v[29:30], v[27:28], v[27:28]
	s_delay_alu instid0(VALU_DEP_1) | instskip(NEXT) | instid1(VALU_DEP_1)
	v_fma_f64 v[29:30], -v[25:26], v[27:28], 1.0
	v_fma_f64 v[27:28], v[29:30], v[27:28], v[27:28]
	v_add_f64 v[29:30], v[25:26], -1.0
	s_delay_alu instid0(VALU_DEP_1) | instskip(SKIP_1) | instid1(VALU_DEP_1)
	v_add_f64 v[29:30], v[23:24], -v[29:30]
	v_add_f64 v[23:24], v[23:24], -1.0
	v_mul_f64 v[31:32], v[23:24], v[27:28]
	s_delay_alu instid0(VALU_DEP_1) | instskip(NEXT) | instid1(VALU_DEP_1)
	v_mul_f64 v[33:34], v[25:26], v[31:32]
	v_fma_f64 v[25:26], v[31:32], v[25:26], -v[33:34]
	s_delay_alu instid0(VALU_DEP_1) | instskip(NEXT) | instid1(VALU_DEP_1)
	v_fma_f64 v[25:26], v[31:32], v[29:30], v[25:26]
	v_add_f64 v[29:30], v[33:34], v[25:26]
	s_delay_alu instid0(VALU_DEP_1) | instskip(NEXT) | instid1(VALU_DEP_1)
	v_add_f64 v[33:34], v[29:30], -v[33:34]
	v_add_f64 v[25:26], v[33:34], -v[25:26]
	;; [unrolled: 1-line block ×3, first 2 shown]
	s_delay_alu instid0(VALU_DEP_1) | instskip(NEXT) | instid1(VALU_DEP_1)
	v_add_f64 v[23:24], v[23:24], -v[33:34]
	v_add_f64 v[23:24], v[23:24], -v[29:30]
	s_delay_alu instid0(VALU_DEP_1) | instskip(SKIP_1) | instid1(VALU_DEP_2)
	v_add_f64 v[23:24], v[25:26], v[23:24]
	v_cvt_f64_i32_e32 v[25:26], v2
	v_add_f64 v[23:24], v[33:34], v[23:24]
	s_delay_alu instid0(VALU_DEP_1) | instskip(NEXT) | instid1(VALU_DEP_3)
	v_mul_f64 v[23:24], v[27:28], v[23:24]
	v_mul_f64 v[27:28], v[25:26], s[28:29]
	s_delay_alu instid0(VALU_DEP_1) | instskip(NEXT) | instid1(VALU_DEP_1)
	v_fma_f64 v[29:30], v[25:26], s[28:29], -v[27:28]
	v_fma_f64 v[25:26], v[25:26], s[30:31], v[29:30]
	s_delay_alu instid0(VALU_DEP_4) | instskip(NEXT) | instid1(VALU_DEP_1)
	v_add_f64 v[29:30], v[31:32], v[23:24]
	v_add_f64 v[31:32], v[29:30], -v[31:32]
	s_delay_alu instid0(VALU_DEP_1) | instskip(SKIP_1) | instid1(VALU_DEP_2)
	v_add_f64 v[23:24], v[23:24], -v[31:32]
	v_mul_f64 v[31:32], v[29:30], v[29:30]
	v_ldexp_f64 v[23:24], v[23:24], 1
	s_delay_alu instid0(VALU_DEP_2) | instskip(NEXT) | instid1(VALU_DEP_1)
	v_fma_f64 v[33:34], v[31:32], s[18:19], s[16:17]
	v_fma_f64 v[33:34], v[31:32], v[33:34], s[20:21]
	s_delay_alu instid0(VALU_DEP_1) | instskip(NEXT) | instid1(VALU_DEP_1)
	v_fma_f64 v[33:34], v[31:32], v[33:34], s[22:23]
	v_fma_f64 v[33:34], v[31:32], v[33:34], s[24:25]
	s_delay_alu instid0(VALU_DEP_1) | instskip(NEXT) | instid1(VALU_DEP_1)
	v_fma_f64 v[33:34], v[31:32], v[33:34], s[26:27]
	v_fma_f64 v[33:34], v[31:32], v[33:34], s[14:15]
	v_mul_f64 v[31:32], v[29:30], v[31:32]
	v_ldexp_f64 v[29:30], v[29:30], 1
	s_delay_alu instid0(VALU_DEP_2) | instskip(NEXT) | instid1(VALU_DEP_1)
	v_mul_f64 v[31:32], v[31:32], v[33:34]
	v_add_f64 v[33:34], v[29:30], v[31:32]
	s_delay_alu instid0(VALU_DEP_1) | instskip(NEXT) | instid1(VALU_DEP_1)
	v_add_f64 v[29:30], v[33:34], -v[29:30]
	v_add_f64 v[29:30], v[31:32], -v[29:30]
	s_delay_alu instid0(VALU_DEP_1) | instskip(SKIP_1) | instid1(VALU_DEP_1)
	v_add_f64 v[23:24], v[23:24], v[29:30]
	v_add_f64 v[29:30], v[27:28], v[25:26]
	v_add_f64 v[27:28], v[29:30], -v[27:28]
	s_delay_alu instid0(VALU_DEP_1) | instskip(NEXT) | instid1(VALU_DEP_4)
	v_add_f64 v[25:26], v[25:26], -v[27:28]
	v_add_f64 v[27:28], v[33:34], v[23:24]
	s_delay_alu instid0(VALU_DEP_1) | instskip(SKIP_1) | instid1(VALU_DEP_2)
	v_add_f64 v[31:32], v[27:28], -v[33:34]
	v_add_f64 v[33:34], v[29:30], v[27:28]
	v_add_f64 v[23:24], v[23:24], -v[31:32]
	s_delay_alu instid0(VALU_DEP_2) | instskip(NEXT) | instid1(VALU_DEP_1)
	v_add_f64 v[35:36], v[33:34], -v[29:30]
	v_add_f64 v[27:28], v[27:28], -v[35:36]
	;; [unrolled: 1-line block ×3, first 2 shown]
	s_delay_alu instid0(VALU_DEP_1) | instskip(NEXT) | instid1(VALU_DEP_1)
	v_add_f64 v[29:30], v[29:30], -v[35:36]
	v_add_f64 v[27:28], v[27:28], v[29:30]
	v_add_f64 v[29:30], v[25:26], v[23:24]
	s_delay_alu instid0(VALU_DEP_1) | instskip(NEXT) | instid1(VALU_DEP_3)
	v_add_f64 v[31:32], v[29:30], -v[25:26]
	v_add_f64 v[27:28], v[29:30], v[27:28]
	s_delay_alu instid0(VALU_DEP_2) | instskip(SKIP_1) | instid1(VALU_DEP_1)
	v_add_f64 v[23:24], v[23:24], -v[31:32]
	v_add_f64 v[31:32], v[29:30], -v[31:32]
	;; [unrolled: 1-line block ×3, first 2 shown]
	s_delay_alu instid0(VALU_DEP_1) | instskip(SKIP_1) | instid1(VALU_DEP_1)
	v_add_f64 v[23:24], v[23:24], v[25:26]
	v_add_f64 v[25:26], v[33:34], v[27:28]
	v_add_f64 v[29:30], v[25:26], -v[33:34]
	s_delay_alu instid0(VALU_DEP_1) | instskip(NEXT) | instid1(VALU_DEP_1)
	v_add_f64 v[27:28], v[27:28], -v[29:30]
	v_add_f64 v[23:24], v[23:24], v[27:28]
	s_delay_alu instid0(VALU_DEP_1) | instskip(NEXT) | instid1(VALU_DEP_1)
	v_add_f64 v[19:20], v[25:26], v[23:24]
	v_dual_cndmask_b32 v2, v20, v22 :: v_dual_cndmask_b32 v15, v19, v21
	s_delay_alu instid0(VALU_DEP_1) | instskip(NEXT) | instid1(VALU_DEP_2)
	v_cndmask_b32_e64 v2, 0x7ff80000, v2, s6
	v_cndmask_b32_e64 v19, 0, v15, s7
	s_delay_alu instid0(VALU_DEP_2) | instskip(NEXT) | instid1(VALU_DEP_1)
	v_cndmask_b32_e64 v20, 0xfff00000, v2, s8
	v_add_f64 v[17:18], v[17:18], v[19:20]
.LBB12_22:                              ;   in Loop: Header=BB12_4 Depth=1
	s_or_b32 exec_lo, exec_lo, s77
.LBB12_23:                              ;   in Loop: Header=BB12_4 Depth=1
	s_and_not1_saveexec_b32 s76, s76
	s_cbranch_execz .LBB12_37
; %bb.24:                               ;   in Loop: Header=BB12_4 Depth=1
	s_mov_b32 s8, exec_lo
                                        ; implicit-def: $sgpr6_sgpr7
                                        ; implicit-def: $vgpr2
                                        ; implicit-def: $vgpr19_vgpr20
	v_cmpx_lt_u32_e32 0x3feccccc, v16
	s_xor_b32 s8, exec_lo, s8
	s_cbranch_execz .LBB12_26
; %bb.25:                               ;   in Loop: Header=BB12_4 Depth=1
	s_mov_b32 s6, 0x6356be3f
	s_mov_b32 s7, 0xbff762d8
	v_add_f64 v[17:18], -|v[13:14]|, 2.0
	v_add_f64 v[19:20], |v[13:14]|, s[6:7]
	v_add_f64 v[21:22], |v[13:14]|, -1.0
	v_cmp_gt_u32_e32 vcc_lo, 0x3ffbb4c3, v16
	v_cmp_gt_u32_e64 s6, 0x3ff3b4c4, v16
	s_delay_alu instid0(VALU_DEP_4) | instskip(SKIP_1) | instid1(VALU_DEP_2)
	v_dual_cndmask_b32 v2, v18, v20 :: v_dual_cndmask_b32 v15, v17, v19
	v_cndmask_b32_e64 v17, 0, 1, vcc_lo
	v_cndmask_b32_e64 v20, v2, v22, s6
	s_delay_alu instid0(VALU_DEP_3) | instskip(NEXT) | instid1(VALU_DEP_3)
	v_cndmask_b32_e64 v19, v15, v21, s6
	v_cndmask_b32_e64 v2, v17, 2, s6
	s_mov_b64 s[6:7], 0
.LBB12_26:                              ;   in Loop: Header=BB12_4 Depth=1
	s_or_saveexec_b32 s77, s8
	v_dual_mov_b32 v18, s7 :: v_dual_mov_b32 v17, s6
	s_xor_b32 exec_lo, exec_lo, s77
	s_cbranch_execz .LBB12_28
; %bb.27:                               ;   in Loop: Header=BB12_4 Depth=1
	v_frexp_mant_f64_e64 v[17:18], |v[13:14]|
	s_mov_b32 s15, s71
	s_mov_b32 s6, 0x8d5af8fc
	;; [unrolled: 1-line block ×3, first 2 shown]
	v_cmp_gt_u32_e64 s8, 0x3fcda661, v16
	s_delay_alu instid0(VALU_DEP_2) | instskip(SKIP_1) | instid1(VALU_DEP_1)
	v_cmp_gt_f64_e32 vcc_lo, s[70:71], v[17:18]
	v_cndmask_b32_e64 v2, 0x3ff00000, 2.0, vcc_lo
	v_mul_f64 v[17:18], v[17:18], v[1:2]
	v_frexp_exp_i32_f64_e32 v2, v[13:14]
	s_delay_alu instid0(VALU_DEP_2) | instskip(NEXT) | instid1(VALU_DEP_2)
	v_add_f64 v[19:20], v[17:18], 1.0
	v_subrev_co_ci_u32_e32 v2, vcc_lo, 0, v2, vcc_lo
	v_cmp_class_f64_e64 vcc_lo, v[13:14], 0x204
	s_delay_alu instid0(VALU_DEP_3) | instskip(SKIP_2) | instid1(VALU_DEP_1)
	v_rcp_f64_e32 v[21:22], v[19:20]
	s_waitcnt_depctr 0xfff
	v_fma_f64 v[23:24], -v[19:20], v[21:22], 1.0
	v_fma_f64 v[21:22], v[23:24], v[21:22], v[21:22]
	s_delay_alu instid0(VALU_DEP_1) | instskip(NEXT) | instid1(VALU_DEP_1)
	v_fma_f64 v[23:24], -v[19:20], v[21:22], 1.0
	v_fma_f64 v[21:22], v[23:24], v[21:22], v[21:22]
	v_add_f64 v[23:24], v[19:20], -1.0
	s_delay_alu instid0(VALU_DEP_1) | instskip(SKIP_1) | instid1(VALU_DEP_1)
	v_add_f64 v[23:24], v[17:18], -v[23:24]
	v_add_f64 v[17:18], v[17:18], -1.0
	v_mul_f64 v[25:26], v[17:18], v[21:22]
	s_delay_alu instid0(VALU_DEP_1) | instskip(NEXT) | instid1(VALU_DEP_1)
	v_mul_f64 v[27:28], v[19:20], v[25:26]
	v_fma_f64 v[19:20], v[25:26], v[19:20], -v[27:28]
	s_delay_alu instid0(VALU_DEP_1) | instskip(NEXT) | instid1(VALU_DEP_1)
	v_fma_f64 v[19:20], v[25:26], v[23:24], v[19:20]
	v_add_f64 v[23:24], v[27:28], v[19:20]
	s_delay_alu instid0(VALU_DEP_1) | instskip(NEXT) | instid1(VALU_DEP_1)
	v_add_f64 v[27:28], v[23:24], -v[27:28]
	v_add_f64 v[19:20], v[27:28], -v[19:20]
	;; [unrolled: 1-line block ×3, first 2 shown]
	s_delay_alu instid0(VALU_DEP_1) | instskip(NEXT) | instid1(VALU_DEP_1)
	v_add_f64 v[17:18], v[17:18], -v[27:28]
	v_add_f64 v[17:18], v[17:18], -v[23:24]
	s_delay_alu instid0(VALU_DEP_1) | instskip(SKIP_1) | instid1(VALU_DEP_2)
	v_add_f64 v[17:18], v[19:20], v[17:18]
	v_cvt_f64_i32_e32 v[19:20], v2
	v_add_f64 v[17:18], v[27:28], v[17:18]
	s_delay_alu instid0(VALU_DEP_1) | instskip(NEXT) | instid1(VALU_DEP_3)
	v_mul_f64 v[17:18], v[21:22], v[17:18]
	v_mul_f64 v[21:22], v[19:20], s[28:29]
	s_delay_alu instid0(VALU_DEP_1) | instskip(NEXT) | instid1(VALU_DEP_1)
	v_fma_f64 v[23:24], v[19:20], s[28:29], -v[21:22]
	v_fma_f64 v[19:20], v[19:20], s[30:31], v[23:24]
	s_delay_alu instid0(VALU_DEP_4) | instskip(NEXT) | instid1(VALU_DEP_1)
	v_add_f64 v[23:24], v[25:26], v[17:18]
	v_add_f64 v[25:26], v[23:24], -v[25:26]
	s_delay_alu instid0(VALU_DEP_1) | instskip(SKIP_1) | instid1(VALU_DEP_2)
	v_add_f64 v[17:18], v[17:18], -v[25:26]
	v_mul_f64 v[25:26], v[23:24], v[23:24]
	v_ldexp_f64 v[17:18], v[17:18], 1
	s_delay_alu instid0(VALU_DEP_2) | instskip(NEXT) | instid1(VALU_DEP_1)
	v_fma_f64 v[27:28], v[25:26], s[18:19], s[16:17]
	v_fma_f64 v[27:28], v[25:26], v[27:28], s[20:21]
	s_delay_alu instid0(VALU_DEP_1) | instskip(NEXT) | instid1(VALU_DEP_1)
	v_fma_f64 v[27:28], v[25:26], v[27:28], s[22:23]
	v_fma_f64 v[27:28], v[25:26], v[27:28], s[24:25]
	s_delay_alu instid0(VALU_DEP_1) | instskip(NEXT) | instid1(VALU_DEP_1)
	v_fma_f64 v[27:28], v[25:26], v[27:28], s[26:27]
	v_fma_f64 v[27:28], v[25:26], v[27:28], s[14:15]
	v_mul_f64 v[25:26], v[23:24], v[25:26]
	v_ldexp_f64 v[23:24], v[23:24], 1
	s_delay_alu instid0(VALU_DEP_2) | instskip(NEXT) | instid1(VALU_DEP_1)
	v_mul_f64 v[25:26], v[25:26], v[27:28]
	v_add_f64 v[27:28], v[23:24], v[25:26]
	s_delay_alu instid0(VALU_DEP_1) | instskip(NEXT) | instid1(VALU_DEP_1)
	v_add_f64 v[23:24], v[27:28], -v[23:24]
	v_add_f64 v[23:24], v[25:26], -v[23:24]
	s_delay_alu instid0(VALU_DEP_1) | instskip(SKIP_1) | instid1(VALU_DEP_1)
	v_add_f64 v[17:18], v[17:18], v[23:24]
	v_add_f64 v[23:24], v[21:22], v[19:20]
	v_add_f64 v[21:22], v[23:24], -v[21:22]
	s_delay_alu instid0(VALU_DEP_1) | instskip(NEXT) | instid1(VALU_DEP_4)
	v_add_f64 v[19:20], v[19:20], -v[21:22]
	v_add_f64 v[21:22], v[27:28], v[17:18]
	s_delay_alu instid0(VALU_DEP_1) | instskip(SKIP_1) | instid1(VALU_DEP_2)
	v_add_f64 v[25:26], v[21:22], -v[27:28]
	v_add_f64 v[27:28], v[23:24], v[21:22]
	v_add_f64 v[17:18], v[17:18], -v[25:26]
	s_delay_alu instid0(VALU_DEP_2) | instskip(NEXT) | instid1(VALU_DEP_1)
	v_add_f64 v[29:30], v[27:28], -v[23:24]
	v_add_f64 v[21:22], v[21:22], -v[29:30]
	;; [unrolled: 1-line block ×3, first 2 shown]
	s_delay_alu instid0(VALU_DEP_1) | instskip(NEXT) | instid1(VALU_DEP_1)
	v_add_f64 v[23:24], v[23:24], -v[29:30]
	v_add_f64 v[21:22], v[21:22], v[23:24]
	v_add_f64 v[23:24], v[19:20], v[17:18]
	s_delay_alu instid0(VALU_DEP_1) | instskip(NEXT) | instid1(VALU_DEP_3)
	v_add_f64 v[25:26], v[23:24], -v[19:20]
	v_add_f64 v[21:22], v[23:24], v[21:22]
	s_delay_alu instid0(VALU_DEP_2) | instskip(SKIP_1) | instid1(VALU_DEP_1)
	v_add_f64 v[17:18], v[17:18], -v[25:26]
	v_add_f64 v[25:26], v[23:24], -v[25:26]
	;; [unrolled: 1-line block ×3, first 2 shown]
	s_delay_alu instid0(VALU_DEP_1) | instskip(SKIP_1) | instid1(VALU_DEP_1)
	v_add_f64 v[17:18], v[17:18], v[19:20]
	v_add_f64 v[19:20], v[27:28], v[21:22]
	v_add_f64 v[23:24], v[19:20], -v[27:28]
	s_delay_alu instid0(VALU_DEP_1) | instskip(NEXT) | instid1(VALU_DEP_1)
	v_add_f64 v[21:22], v[21:22], -v[23:24]
	v_add_f64 v[17:18], v[17:18], v[21:22]
	v_add_f64 v[21:22], -|v[13:14]|, 1.0
	s_delay_alu instid0(VALU_DEP_2) | instskip(SKIP_3) | instid1(VALU_DEP_4)
	v_add_f64 v[17:18], v[19:20], v[17:18]
	v_add_f64 v[19:20], |v[13:14]|, s[6:7]
	v_cmp_neq_f64_e64 s6, 0, v[13:14]
	v_cmp_gt_u32_e64 s7, 0x3fe76944, v16
	v_cndmask_b32_e64 v18, -v18, -v16, vcc_lo
	s_delay_alu instid0(VALU_DEP_2)
	v_cndmask_b32_e64 v2, v22, v20, s7
	v_cndmask_b32_e64 v15, v21, v19, s7
	v_cndmask_b32_e32 v17, v17, v13, vcc_lo
	v_cndmask_b32_e64 v21, 0, 1, s7
	v_cndmask_b32_e64 v18, 0x7ff00000, v18, s6
	;; [unrolled: 1-line block ×6, first 2 shown]
.LBB12_28:                              ;   in Loop: Header=BB12_4 Depth=1
	s_or_b32 exec_lo, exec_lo, s77
	s_delay_alu instid0(SALU_CYCLE_1) | instskip(NEXT) | instid1(VALU_DEP_1)
	s_mov_b32 s6, exec_lo
                                        ; implicit-def: $vgpr23_vgpr24
	v_cmpx_lt_i32_e32 1, v2
	s_xor_b32 s6, exec_lo, s6
	s_cbranch_execz .LBB12_30
; %bb.29:                               ;   in Loop: Header=BB12_4 Depth=1
	s_mov_b32 s82, 0xf6010924
	s_mov_b32 s84, 0xbf2bab09
	;; [unrolled: 1-line block ×4, first 2 shown]
	v_fma_f64 v[23:24], v[19:20], s[90:91], s[88:89]
	v_fma_f64 v[21:22], v[19:20], s[84:85], s[82:83]
	s_mov_b32 s82, 0x44ea8450
	s_mov_b32 s83, 0x3fef4976
	;; [unrolled: 1-line block ×3, first 2 shown]
                                        ; implicit-def: $vgpr2
	s_delay_alu instid0(VALU_DEP_2) | instskip(NEXT) | instid1(VALU_DEP_2)
	v_fma_f64 v[23:24], v[19:20], v[23:24], s[92:93]
	v_fma_f64 v[21:22], v[19:20], v[21:22], s[82:83]
	s_mov_b32 s82, 0xd119bd6f
	s_mov_b32 s83, 0x3ff7475c
	s_delay_alu instid0(VALU_DEP_2) | instskip(NEXT) | instid1(VALU_DEP_2)
	v_fma_f64 v[23:24], v[19:20], v[23:24], s[94:95]
	v_fma_f64 v[21:22], v[19:20], v[21:22], s[82:83]
	s_delay_alu instid0(VALU_DEP_2) | instskip(NEXT) | instid1(VALU_DEP_2)
	v_fma_f64 v[23:24], v[19:20], v[23:24], s[96:97]
	v_fma_f64 v[21:22], v[19:20], v[21:22], s[86:87]
	s_delay_alu instid0(VALU_DEP_2) | instskip(NEXT) | instid1(VALU_DEP_2)
	v_fma_f64 v[23:24], v[19:20], v[23:24], 1.0
	v_fma_f64 v[21:22], v[19:20], v[21:22], s[8:9]
	s_delay_alu instid0(VALU_DEP_1) | instskip(NEXT) | instid1(VALU_DEP_1)
	v_mul_f64 v[21:22], v[19:20], v[21:22]
	v_div_scale_f64 v[25:26], null, v[23:24], v[23:24], v[21:22]
	s_delay_alu instid0(VALU_DEP_1) | instskip(SKIP_2) | instid1(VALU_DEP_1)
	v_rcp_f64_e32 v[27:28], v[25:26]
	s_waitcnt_depctr 0xfff
	v_fma_f64 v[29:30], -v[25:26], v[27:28], 1.0
	v_fma_f64 v[27:28], v[27:28], v[29:30], v[27:28]
	s_delay_alu instid0(VALU_DEP_1) | instskip(NEXT) | instid1(VALU_DEP_1)
	v_fma_f64 v[29:30], -v[25:26], v[27:28], 1.0
	v_fma_f64 v[27:28], v[27:28], v[29:30], v[27:28]
	v_div_scale_f64 v[29:30], vcc_lo, v[21:22], v[23:24], v[21:22]
	s_delay_alu instid0(VALU_DEP_1) | instskip(NEXT) | instid1(VALU_DEP_1)
	v_mul_f64 v[31:32], v[29:30], v[27:28]
	v_fma_f64 v[25:26], -v[25:26], v[31:32], v[29:30]
	s_delay_alu instid0(VALU_DEP_1) | instskip(NEXT) | instid1(VALU_DEP_1)
	v_div_fmas_f64 v[25:26], v[25:26], v[27:28], v[31:32]
	v_div_fixup_f64 v[21:22], v[25:26], v[23:24], v[21:22]
	s_delay_alu instid0(VALU_DEP_1)
	v_fma_f64 v[23:24], v[19:20], -0.5, v[21:22]
                                        ; implicit-def: $vgpr19_vgpr20
.LBB12_30:                              ;   in Loop: Header=BB12_4 Depth=1
	s_and_not1_saveexec_b32 s6, s6
	s_cbranch_execz .LBB12_36
; %bb.31:                               ;   in Loop: Header=BB12_4 Depth=1
	v_mul_f64 v[21:22], v[19:20], v[19:20]
	s_mov_b32 s7, exec_lo
                                        ; implicit-def: $vgpr23_vgpr24
	v_cmpx_ne_u32_e32 1, v2
	s_xor_b32 s7, exec_lo, s7
	s_cbranch_execz .LBB12_33
; %bb.32:                               ;   in Loop: Header=BB12_4 Depth=1
	s_mov_b32 s82, 0x987dfb07
	s_mov_b32 s84, 0x90a45837
	;; [unrolled: 1-line block ×4, first 2 shown]
	s_delay_alu instid0(VALU_DEP_2) | instid1(SALU_CYCLE_1)
	v_fma_f64 v[23:24], v[21:22], s[84:85], s[82:83]
	s_mov_b32 s82, 0xed10e54d
	s_mov_b32 s84, 0x428cfa52
	;; [unrolled: 1-line block ×4, first 2 shown]
	s_delay_alu instid0(SALU_CYCLE_1)
	v_fma_f64 v[25:26], v[21:22], s[84:85], s[82:83]
	s_mov_b32 s82, 0x89b99c00
	s_mov_b32 s83, 0x3f40b6c6
	s_delay_alu instid0(VALU_DEP_2) | instid1(SALU_CYCLE_1)
	v_fma_f64 v[23:24], v[21:22], v[23:24], s[82:83]
	s_mov_b32 s82, 0x116f3f5d
	s_mov_b32 s83, 0x3f538a94
	s_delay_alu instid0(VALU_DEP_2) | instid1(SALU_CYCLE_1)
	v_fma_f64 v[25:26], v[21:22], v[25:26], s[82:83]
	s_mov_b32 s82, 0xccb7926b
	s_mov_b32 s83, 0x3f67add8
	s_delay_alu instid0(VALU_DEP_2) | instid1(SALU_CYCLE_1)
	v_fma_f64 v[23:24], v[21:22], v[23:24], s[82:83]
	s_mov_b32 s82, 0xb68fefe8
	s_mov_b32 s83, 0x3f7e404f
	s_delay_alu instid0(VALU_DEP_2) | instid1(SALU_CYCLE_1)
	v_fma_f64 v[25:26], v[21:22], v[25:26], s[82:83]
	s_mov_b32 s82, 0xac92547b
	s_mov_b32 s83, 0x3f951322
	s_delay_alu instid0(VALU_DEP_2) | instid1(SALU_CYCLE_1)
	v_fma_f64 v[23:24], v[21:22], v[23:24], s[82:83]
	s_mov_b32 s82, 0x1a5562a7
	s_mov_b32 s83, 0x3fb13e00
	s_delay_alu instid0(VALU_DEP_2) | instid1(SALU_CYCLE_1)
	v_fma_f64 v[25:26], v[21:22], v[25:26], s[82:83]
	s_mov_b32 s82, 0xc4a60fad
	s_mov_b32 s83, 0x3fd4a34c
	s_delay_alu instid0(VALU_DEP_2) | instid1(SALU_CYCLE_1)
	v_fma_f64 v[23:24], v[21:22], v[23:24], s[82:83]
	s_delay_alu instid0(VALU_DEP_2) | instskip(NEXT) | instid1(VALU_DEP_2)
	v_fma_f64 v[25:26], v[21:22], v[25:26], s[60:61]
	v_mul_f64 v[21:22], v[21:22], v[23:24]
	s_delay_alu instid0(VALU_DEP_1) | instskip(NEXT) | instid1(VALU_DEP_1)
	v_fma_f64 v[21:22], v[19:20], v[25:26], v[21:22]
	v_fma_f64 v[23:24], v[19:20], -0.5, v[21:22]
                                        ; implicit-def: $vgpr19_vgpr20
                                        ; implicit-def: $vgpr21_vgpr22
.LBB12_33:                              ;   in Loop: Header=BB12_4 Depth=1
	s_and_not1_saveexec_b32 s7, s7
	s_cbranch_execz .LBB12_35
; %bb.34:                               ;   in Loop: Header=BB12_4 Depth=1
	s_delay_alu instid0(VALU_DEP_2)
	v_mul_f64 v[23:24], v[19:20], v[21:22]
	s_mov_b32 s82, 0xef61a8e9
	s_mov_b32 s84, 0xecc38c38
	;; [unrolled: 1-line block ×4, first 2 shown]
	s_delay_alu instid0(VALU_DEP_1) | instid1(SALU_CYCLE_1)
	v_fma_f64 v[25:26], v[23:24], s[84:85], s[82:83]
	s_mov_b32 s82, 0x9c73e0ec
	s_mov_b32 s84, 0xe8c2d3f4
	;; [unrolled: 1-line block ×4, first 2 shown]
	s_delay_alu instid0(SALU_CYCLE_1) | instskip(SKIP_4) | instid1(VALU_DEP_2)
	v_fma_f64 v[27:28], v[23:24], s[84:85], s[82:83]
	s_mov_b32 s82, 0xb3e914d7
	s_mov_b32 s83, 0xbf6e2eff
	;; [unrolled: 1-line block ×4, first 2 shown]
	v_fma_f64 v[25:26], v[23:24], v[25:26], s[82:83]
	s_mov_b32 s82, 0x2e15c915
	s_mov_b32 s83, 0x3f6282d3
	s_delay_alu instid0(VALU_DEP_2) | instid1(SALU_CYCLE_1)
	v_fma_f64 v[27:28], v[23:24], v[27:28], s[82:83]
	s_mov_b32 s82, 0xbf2d1af1
	s_mov_b32 s83, 0xbf56fe8e
	s_delay_alu instid0(SALU_CYCLE_1)
	v_fma_f64 v[29:30], v[23:24], s[84:85], s[82:83]
	s_mov_b32 s82, 0x970af9ec
	s_mov_b32 s83, 0x3f9266e7
	s_delay_alu instid0(VALU_DEP_3) | instid1(SALU_CYCLE_1)
	v_fma_f64 v[25:26], v[23:24], v[25:26], s[82:83]
	s_mov_b32 s82, 0xba91ec6a
	s_mov_b32 s83, 0xbf851f9f
	s_delay_alu instid0(VALU_DEP_3) | instid1(SALU_CYCLE_1)
	v_fma_f64 v[27:28], v[23:24], v[27:28], s[82:83]
	s_mov_b32 s82, 0xe370e344
	s_mov_b32 s83, 0x3f78fce0
	s_delay_alu instid0(VALU_DEP_3) | instid1(SALU_CYCLE_1)
	v_fma_f64 v[29:30], v[23:24], v[29:30], s[82:83]
	s_mov_b32 s82, 0x8dc6c509
	s_mov_b32 s83, 0xbfc2e427
	s_delay_alu instid0(VALU_DEP_3) | instid1(SALU_CYCLE_1)
	v_fma_f64 v[25:26], v[23:24], v[25:26], s[82:83]
	s_mov_b32 s82, 0x94d5419b
	s_mov_b32 s83, 0x3fb08b42
	s_delay_alu instid0(VALU_DEP_3) | instid1(SALU_CYCLE_1)
	v_fma_f64 v[27:28], v[23:24], v[27:28], s[82:83]
	s_mov_b32 s82, 0xdf35b713
	s_mov_b32 s83, 0xbfa0c9a8
	s_delay_alu instid0(VALU_DEP_3) | instid1(SALU_CYCLE_1)
	v_fma_f64 v[29:30], v[23:24], v[29:30], s[82:83]
	s_mov_b32 s82, 0xc8ee38a2
	s_mov_b32 s83, 0x3fdef72b
	s_delay_alu instid0(VALU_DEP_2) | instskip(NEXT) | instid1(VALU_DEP_2)
	v_fma_f64 v[19:20], v[19:20], v[27:28], v[25:26]
	v_fma_f64 v[25:26], v[23:24], v[29:30], s[82:83]
	s_mov_b32 s82, 0xa48a971f
	s_mov_b32 s83, 0xbc50c7ca
	s_delay_alu instid0(VALU_DEP_2) | instid1(SALU_CYCLE_1)
	v_fma_f64 v[19:20], v[23:24], -v[19:20], s[82:83]
	s_mov_b32 s82, 0xbcc38a42
	s_mov_b32 s83, 0xbfbf19b9
	s_delay_alu instid0(VALU_DEP_1) | instskip(NEXT) | instid1(VALU_DEP_1)
	v_fma_f64 v[19:20], v[21:22], v[25:26], -v[19:20]
	v_add_f64 v[23:24], v[19:20], s[82:83]
.LBB12_35:                              ;   in Loop: Header=BB12_4 Depth=1
	s_or_b32 exec_lo, exec_lo, s7
.LBB12_36:                              ;   in Loop: Header=BB12_4 Depth=1
	s_delay_alu instid0(SALU_CYCLE_1) | instskip(NEXT) | instid1(VALU_DEP_1)
	s_or_b32 exec_lo, exec_lo, s6
	v_add_f64 v[17:18], v[17:18], v[23:24]
.LBB12_37:                              ;   in Loop: Header=BB12_4 Depth=1
	s_or_b32 exec_lo, exec_lo, s76
.LBB12_38:                              ;   in Loop: Header=BB12_4 Depth=1
	s_and_not1_saveexec_b32 s7, s75
	s_cbranch_execz .LBB12_40
; %bb.39:                               ;   in Loop: Header=BB12_4 Depth=1
	v_frexp_mant_f64_e64 v[17:18], |v[13:14]|
	s_mov_b32 s15, s71
	v_cmp_neq_f64_e64 s6, 0, v[13:14]
	s_delay_alu instid0(VALU_DEP_2) | instskip(SKIP_1) | instid1(VALU_DEP_1)
	v_cmp_gt_f64_e32 vcc_lo, s[70:71], v[17:18]
	v_cndmask_b32_e64 v2, 0x3ff00000, 2.0, vcc_lo
	v_mul_f64 v[17:18], v[17:18], v[1:2]
	v_frexp_exp_i32_f64_e32 v2, v[13:14]
	s_delay_alu instid0(VALU_DEP_2) | instskip(NEXT) | instid1(VALU_DEP_2)
	v_add_f64 v[19:20], v[17:18], 1.0
	v_subrev_co_ci_u32_e32 v2, vcc_lo, 0, v2, vcc_lo
	v_cmp_class_f64_e64 vcc_lo, v[13:14], 0x204
	s_delay_alu instid0(VALU_DEP_3) | instskip(SKIP_2) | instid1(VALU_DEP_1)
	v_rcp_f64_e32 v[21:22], v[19:20]
	s_waitcnt_depctr 0xfff
	v_fma_f64 v[23:24], -v[19:20], v[21:22], 1.0
	v_fma_f64 v[21:22], v[23:24], v[21:22], v[21:22]
	s_delay_alu instid0(VALU_DEP_1) | instskip(NEXT) | instid1(VALU_DEP_1)
	v_fma_f64 v[23:24], -v[19:20], v[21:22], 1.0
	v_fma_f64 v[21:22], v[23:24], v[21:22], v[21:22]
	v_add_f64 v[23:24], v[19:20], -1.0
	s_delay_alu instid0(VALU_DEP_1) | instskip(SKIP_1) | instid1(VALU_DEP_1)
	v_add_f64 v[23:24], v[17:18], -v[23:24]
	v_add_f64 v[17:18], v[17:18], -1.0
	v_mul_f64 v[25:26], v[17:18], v[21:22]
	s_delay_alu instid0(VALU_DEP_1) | instskip(NEXT) | instid1(VALU_DEP_1)
	v_mul_f64 v[27:28], v[19:20], v[25:26]
	v_fma_f64 v[19:20], v[25:26], v[19:20], -v[27:28]
	s_delay_alu instid0(VALU_DEP_1) | instskip(NEXT) | instid1(VALU_DEP_1)
	v_fma_f64 v[19:20], v[25:26], v[23:24], v[19:20]
	v_add_f64 v[23:24], v[27:28], v[19:20]
	s_delay_alu instid0(VALU_DEP_1) | instskip(NEXT) | instid1(VALU_DEP_1)
	v_add_f64 v[27:28], v[23:24], -v[27:28]
	v_add_f64 v[19:20], v[27:28], -v[19:20]
	;; [unrolled: 1-line block ×3, first 2 shown]
	s_delay_alu instid0(VALU_DEP_1) | instskip(NEXT) | instid1(VALU_DEP_1)
	v_add_f64 v[17:18], v[17:18], -v[27:28]
	v_add_f64 v[17:18], v[17:18], -v[23:24]
	s_delay_alu instid0(VALU_DEP_1) | instskip(SKIP_1) | instid1(VALU_DEP_2)
	v_add_f64 v[17:18], v[19:20], v[17:18]
	v_cvt_f64_i32_e32 v[19:20], v2
	v_add_f64 v[17:18], v[27:28], v[17:18]
	s_delay_alu instid0(VALU_DEP_1) | instskip(NEXT) | instid1(VALU_DEP_3)
	v_mul_f64 v[17:18], v[21:22], v[17:18]
	v_mul_f64 v[21:22], v[19:20], s[28:29]
	s_delay_alu instid0(VALU_DEP_1) | instskip(NEXT) | instid1(VALU_DEP_1)
	v_fma_f64 v[23:24], v[19:20], s[28:29], -v[21:22]
	v_fma_f64 v[19:20], v[19:20], s[30:31], v[23:24]
	s_delay_alu instid0(VALU_DEP_4) | instskip(NEXT) | instid1(VALU_DEP_1)
	v_add_f64 v[23:24], v[25:26], v[17:18]
	v_add_f64 v[25:26], v[23:24], -v[25:26]
	s_delay_alu instid0(VALU_DEP_1) | instskip(SKIP_1) | instid1(VALU_DEP_2)
	v_add_f64 v[17:18], v[17:18], -v[25:26]
	v_mul_f64 v[25:26], v[23:24], v[23:24]
	v_ldexp_f64 v[17:18], v[17:18], 1
	s_delay_alu instid0(VALU_DEP_2) | instskip(NEXT) | instid1(VALU_DEP_1)
	v_fma_f64 v[27:28], v[25:26], s[18:19], s[16:17]
	v_fma_f64 v[27:28], v[25:26], v[27:28], s[20:21]
	s_delay_alu instid0(VALU_DEP_1) | instskip(NEXT) | instid1(VALU_DEP_1)
	v_fma_f64 v[27:28], v[25:26], v[27:28], s[22:23]
	v_fma_f64 v[27:28], v[25:26], v[27:28], s[24:25]
	s_delay_alu instid0(VALU_DEP_1) | instskip(NEXT) | instid1(VALU_DEP_1)
	v_fma_f64 v[27:28], v[25:26], v[27:28], s[26:27]
	v_fma_f64 v[27:28], v[25:26], v[27:28], s[14:15]
	v_mul_f64 v[25:26], v[23:24], v[25:26]
	v_ldexp_f64 v[23:24], v[23:24], 1
	s_delay_alu instid0(VALU_DEP_2) | instskip(NEXT) | instid1(VALU_DEP_1)
	v_mul_f64 v[25:26], v[25:26], v[27:28]
	v_add_f64 v[27:28], v[23:24], v[25:26]
	s_delay_alu instid0(VALU_DEP_1) | instskip(NEXT) | instid1(VALU_DEP_1)
	v_add_f64 v[23:24], v[27:28], -v[23:24]
	v_add_f64 v[23:24], v[25:26], -v[23:24]
	s_delay_alu instid0(VALU_DEP_1) | instskip(SKIP_1) | instid1(VALU_DEP_1)
	v_add_f64 v[17:18], v[17:18], v[23:24]
	v_add_f64 v[23:24], v[21:22], v[19:20]
	v_add_f64 v[21:22], v[23:24], -v[21:22]
	s_delay_alu instid0(VALU_DEP_1) | instskip(NEXT) | instid1(VALU_DEP_4)
	v_add_f64 v[19:20], v[19:20], -v[21:22]
	v_add_f64 v[21:22], v[27:28], v[17:18]
	s_delay_alu instid0(VALU_DEP_1) | instskip(SKIP_1) | instid1(VALU_DEP_2)
	v_add_f64 v[25:26], v[21:22], -v[27:28]
	v_add_f64 v[27:28], v[23:24], v[21:22]
	v_add_f64 v[17:18], v[17:18], -v[25:26]
	s_delay_alu instid0(VALU_DEP_2) | instskip(NEXT) | instid1(VALU_DEP_1)
	v_add_f64 v[29:30], v[27:28], -v[23:24]
	v_add_f64 v[21:22], v[21:22], -v[29:30]
	v_add_f64 v[29:30], v[27:28], -v[29:30]
	s_delay_alu instid0(VALU_DEP_1) | instskip(NEXT) | instid1(VALU_DEP_1)
	v_add_f64 v[23:24], v[23:24], -v[29:30]
	v_add_f64 v[21:22], v[21:22], v[23:24]
	v_add_f64 v[23:24], v[19:20], v[17:18]
	s_delay_alu instid0(VALU_DEP_1) | instskip(NEXT) | instid1(VALU_DEP_3)
	v_add_f64 v[25:26], v[23:24], -v[19:20]
	v_add_f64 v[21:22], v[23:24], v[21:22]
	s_delay_alu instid0(VALU_DEP_2) | instskip(SKIP_1) | instid1(VALU_DEP_1)
	v_add_f64 v[17:18], v[17:18], -v[25:26]
	v_add_f64 v[25:26], v[23:24], -v[25:26]
	;; [unrolled: 1-line block ×3, first 2 shown]
	s_delay_alu instid0(VALU_DEP_1) | instskip(SKIP_1) | instid1(VALU_DEP_1)
	v_add_f64 v[17:18], v[17:18], v[19:20]
	v_add_f64 v[19:20], v[27:28], v[21:22]
	v_add_f64 v[23:24], v[19:20], -v[27:28]
	s_delay_alu instid0(VALU_DEP_1) | instskip(NEXT) | instid1(VALU_DEP_1)
	v_add_f64 v[21:22], v[21:22], -v[23:24]
	v_add_f64 v[17:18], v[17:18], v[21:22]
	v_fma_f64 v[21:22], |v[13:14]|, s[46:47], s[44:45]
	s_delay_alu instid0(VALU_DEP_2) | instskip(NEXT) | instid1(VALU_DEP_2)
	v_add_f64 v[17:18], v[19:20], v[17:18]
	v_fma_f64 v[21:22], |v[13:14]|, v[21:22], s[98:99]
	s_delay_alu instid0(VALU_DEP_2) | instskip(NEXT) | instid1(VALU_DEP_2)
	v_cndmask_b32_e64 v2, -v18, -v16, vcc_lo
	v_fma_f64 v[21:22], |v[13:14]|, v[21:22], s[100:101]
	s_delay_alu instid0(VALU_DEP_4) | instskip(NEXT) | instid1(VALU_DEP_3)
	v_cndmask_b32_e32 v15, v17, v13, vcc_lo
	v_cndmask_b32_e64 v18, 0x7ff00000, v2, s6
	s_delay_alu instid0(VALU_DEP_2) | instskip(NEXT) | instid1(VALU_DEP_4)
	v_cndmask_b32_e64 v17, 0, v15, s6
	v_fma_f64 v[19:20], |v[13:14]|, v[21:22], s[102:103]
	s_delay_alu instid0(VALU_DEP_1)
	v_fma_f64 v[17:18], |v[13:14]|, v[19:20], v[17:18]
.LBB12_40:                              ;   in Loop: Header=BB12_4 Depth=1
	s_or_b32 exec_lo, exec_lo, s7
	s_delay_alu instid0(SALU_CYCLE_1)
	s_mov_b32 s6, exec_lo
	v_cmpx_le_f64_e32 0, v[13:14]
	s_xor_b32 s7, exec_lo, s6
; %bb.41:                               ;   in Loop: Header=BB12_4 Depth=1
	v_cmp_eq_f64_e32 vcc_lo, 1.0, v[13:14]
	v_cmp_eq_f64_e64 s6, 2.0, v[13:14]
	s_delay_alu instid0(VALU_DEP_1)
	s_or_b32 s6, vcc_lo, s6
	s_delay_alu instid0(VALU_DEP_4) | instid1(SALU_CYCLE_1)
	v_cndmask_b32_e64 v18, v18, 0, s6
	v_cndmask_b32_e64 v17, v17, 0, s6
; %bb.42:                               ;   in Loop: Header=BB12_4 Depth=1
	s_and_not1_saveexec_b32 s7, s7
	s_cbranch_execz .LBB12_46
; %bb.43:                               ;   in Loop: Header=BB12_4 Depth=1
	v_add_nc_u32_e32 v2, 0xc32fffff, v16
	s_mov_b32 s8, exec_lo
	s_delay_alu instid0(VALU_DEP_1)
	v_cmpx_gt_u32_e32 0x65fffff, v2
	s_cbranch_execz .LBB12_45
; %bb.44:                               ;   in Loop: Header=BB12_4 Depth=1
	v_mul_f64 v[19:20], |v[13:14]|, 0.5
	v_cmp_gt_f64_e64 s6, |v[13:14]|, 1.0
	s_mov_b32 s15, s71
	s_delay_alu instid0(VALU_DEP_2) | instskip(SKIP_1) | instid1(VALU_DEP_2)
	v_fract_f64_e32 v[21:22], v[19:20]
	v_cmp_neq_f64_e64 vcc_lo, 0x7ff00000, |v[19:20]|
	v_add_f64 v[19:20], v[21:22], v[21:22]
	s_delay_alu instid0(VALU_DEP_1) | instskip(NEXT) | instid1(VALU_DEP_1)
	v_dual_cndmask_b32 v2, 0, v20 :: v_dual_cndmask_b32 v15, 0, v19
	v_cndmask_b32_e64 v20, v16, v2, s6
	s_delay_alu instid0(VALU_DEP_2) | instskip(NEXT) | instid1(VALU_DEP_1)
	v_cndmask_b32_e64 v19, v13, v15, s6
	v_add_f64 v[21:22], v[19:20], v[19:20]
	s_delay_alu instid0(VALU_DEP_1) | instskip(NEXT) | instid1(VALU_DEP_1)
	v_rndne_f64_e32 v[21:22], v[21:22]
	v_fma_f64 v[19:20], v[21:22], -0.5, v[19:20]
	v_cvt_i32_f64_e32 v2, v[21:22]
	s_delay_alu instid0(VALU_DEP_2) | instskip(NEXT) | instid1(VALU_DEP_2)
	v_mul_f64 v[23:24], v[19:20], v[19:20]
	v_and_b32_e32 v15, 1, v2
	v_lshlrev_b32_e32 v2, 30, v2
	s_delay_alu instid0(VALU_DEP_2) | instskip(NEXT) | instid1(VALU_DEP_2)
	v_cmp_eq_u32_e32 vcc_lo, 0, v15
	v_xor_b32_e32 v2, v2, v14
	s_delay_alu instid0(VALU_DEP_1) | instskip(SKIP_2) | instid1(VALU_DEP_2)
	v_and_b32_e32 v2, 0x80000000, v2
	v_fma_f64 v[25:26], v[23:24], s[36:37], s[34:35]
	v_mul_f64 v[27:28], v[19:20], v[23:24]
	v_fma_f64 v[25:26], v[23:24], v[25:26], s[38:39]
	s_delay_alu instid0(VALU_DEP_1) | instskip(NEXT) | instid1(VALU_DEP_1)
	v_fma_f64 v[25:26], v[23:24], v[25:26], s[40:41]
	v_fma_f64 v[25:26], v[23:24], v[25:26], s[42:43]
	s_delay_alu instid0(VALU_DEP_1) | instskip(NEXT) | instid1(VALU_DEP_1)
	v_fma_f64 v[25:26], v[23:24], v[25:26], s[48:49]
	v_mul_f64 v[25:26], v[27:28], v[25:26]
	s_delay_alu instid0(VALU_DEP_1) | instskip(SKIP_1) | instid1(VALU_DEP_1)
	v_fma_f64 v[19:20], v[19:20], s[50:51], v[25:26]
	v_fma_f64 v[25:26], v[23:24], s[54:55], s[52:53]
	;; [unrolled: 1-line block ×3, first 2 shown]
	s_delay_alu instid0(VALU_DEP_1) | instskip(NEXT) | instid1(VALU_DEP_1)
	v_fma_f64 v[25:26], v[23:24], v[25:26], s[58:59]
	v_fma_f64 v[25:26], v[23:24], v[25:26], s[62:63]
	s_delay_alu instid0(VALU_DEP_1) | instskip(NEXT) | instid1(VALU_DEP_1)
	v_fma_f64 v[25:26], v[23:24], v[25:26], s[64:65]
	v_fma_f64 v[25:26], v[23:24], v[25:26], s[66:67]
	s_delay_alu instid0(VALU_DEP_1) | instskip(NEXT) | instid1(VALU_DEP_1)
	v_fma_f64 v[23:24], v[23:24], v[25:26], 1.0
	v_cndmask_b32_e32 v15, v23, v19, vcc_lo
	s_delay_alu instid0(VALU_DEP_2) | instskip(SKIP_1) | instid1(VALU_DEP_2)
	v_cndmask_b32_e32 v19, v24, v20, vcc_lo
	v_cmp_class_f64_e64 vcc_lo, v[13:14], 0x1f8
	v_xor_b32_e32 v2, v19, v2
	s_delay_alu instid0(VALU_DEP_4) | instskip(NEXT) | instid1(VALU_DEP_2)
	v_cndmask_b32_e32 v19, 0, v15, vcc_lo
	v_cndmask_b32_e32 v20, 0x7ff80000, v2, vcc_lo
	s_delay_alu instid0(VALU_DEP_1) | instskip(NEXT) | instid1(VALU_DEP_1)
	v_mul_f64 v[19:20], v[13:14], v[19:20]
	v_dual_mov_b32 v21, v19 :: v_dual_and_b32 v22, 0x7fffffff, v20
	s_delay_alu instid0(VALU_DEP_1) | instskip(SKIP_1) | instid1(VALU_DEP_2)
	v_div_scale_f64 v[23:24], null, v[21:22], v[21:22], s[50:51]
	v_div_scale_f64 v[21:22], vcc_lo, s[50:51], v[21:22], s[50:51]
	v_rcp_f64_e32 v[25:26], v[23:24]
	s_waitcnt_depctr 0xfff
	v_fma_f64 v[27:28], -v[23:24], v[25:26], 1.0
	s_delay_alu instid0(VALU_DEP_1) | instskip(NEXT) | instid1(VALU_DEP_1)
	v_fma_f64 v[25:26], v[25:26], v[27:28], v[25:26]
	v_fma_f64 v[27:28], -v[23:24], v[25:26], 1.0
	s_delay_alu instid0(VALU_DEP_1) | instskip(NEXT) | instid1(VALU_DEP_1)
	v_fma_f64 v[25:26], v[25:26], v[27:28], v[25:26]
	v_mul_f64 v[27:28], v[21:22], v[25:26]
	s_delay_alu instid0(VALU_DEP_1) | instskip(NEXT) | instid1(VALU_DEP_1)
	v_fma_f64 v[21:22], -v[23:24], v[27:28], v[21:22]
	v_div_fmas_f64 v[21:22], v[21:22], v[25:26], v[27:28]
	s_delay_alu instid0(VALU_DEP_1) | instskip(NEXT) | instid1(VALU_DEP_1)
	v_div_fixup_f64 v[19:20], v[21:22], |v[19:20]|, s[50:51]
	v_frexp_mant_f64_e32 v[21:22], v[19:20]
	v_cmp_neq_f64_e64 s6, 0, v[19:20]
	s_delay_alu instid0(VALU_DEP_2) | instskip(SKIP_1) | instid1(VALU_DEP_1)
	v_cmp_gt_f64_e32 vcc_lo, s[70:71], v[21:22]
	v_cndmask_b32_e64 v2, 0x3ff00000, 2.0, vcc_lo
	v_mul_f64 v[21:22], v[21:22], v[1:2]
	v_frexp_exp_i32_f64_e32 v2, v[19:20]
	s_delay_alu instid0(VALU_DEP_2) | instskip(NEXT) | instid1(VALU_DEP_2)
	v_add_f64 v[23:24], v[21:22], 1.0
	v_subrev_co_ci_u32_e32 v2, vcc_lo, 0, v2, vcc_lo
	v_cmp_class_f64_e64 vcc_lo, v[19:20], 0x204
	s_delay_alu instid0(VALU_DEP_3) | instskip(SKIP_2) | instid1(VALU_DEP_1)
	v_rcp_f64_e32 v[25:26], v[23:24]
	s_waitcnt_depctr 0xfff
	v_fma_f64 v[27:28], -v[23:24], v[25:26], 1.0
	v_fma_f64 v[25:26], v[27:28], v[25:26], v[25:26]
	s_delay_alu instid0(VALU_DEP_1) | instskip(NEXT) | instid1(VALU_DEP_1)
	v_fma_f64 v[27:28], -v[23:24], v[25:26], 1.0
	v_fma_f64 v[25:26], v[27:28], v[25:26], v[25:26]
	v_add_f64 v[27:28], v[23:24], -1.0
	s_delay_alu instid0(VALU_DEP_1) | instskip(SKIP_1) | instid1(VALU_DEP_1)
	v_add_f64 v[27:28], v[21:22], -v[27:28]
	v_add_f64 v[21:22], v[21:22], -1.0
	v_mul_f64 v[29:30], v[21:22], v[25:26]
	s_delay_alu instid0(VALU_DEP_1) | instskip(NEXT) | instid1(VALU_DEP_1)
	v_mul_f64 v[31:32], v[23:24], v[29:30]
	v_fma_f64 v[23:24], v[29:30], v[23:24], -v[31:32]
	s_delay_alu instid0(VALU_DEP_1) | instskip(NEXT) | instid1(VALU_DEP_1)
	v_fma_f64 v[23:24], v[29:30], v[27:28], v[23:24]
	v_add_f64 v[27:28], v[31:32], v[23:24]
	s_delay_alu instid0(VALU_DEP_1) | instskip(NEXT) | instid1(VALU_DEP_1)
	v_add_f64 v[31:32], v[27:28], -v[31:32]
	v_add_f64 v[23:24], v[31:32], -v[23:24]
	;; [unrolled: 1-line block ×3, first 2 shown]
	s_delay_alu instid0(VALU_DEP_1) | instskip(NEXT) | instid1(VALU_DEP_1)
	v_add_f64 v[21:22], v[21:22], -v[31:32]
	v_add_f64 v[21:22], v[21:22], -v[27:28]
	s_delay_alu instid0(VALU_DEP_1) | instskip(SKIP_1) | instid1(VALU_DEP_2)
	v_add_f64 v[21:22], v[23:24], v[21:22]
	v_cvt_f64_i32_e32 v[23:24], v2
	v_add_f64 v[21:22], v[31:32], v[21:22]
	s_delay_alu instid0(VALU_DEP_1) | instskip(NEXT) | instid1(VALU_DEP_3)
	v_mul_f64 v[21:22], v[25:26], v[21:22]
	v_mul_f64 v[25:26], v[23:24], s[28:29]
	s_delay_alu instid0(VALU_DEP_1) | instskip(NEXT) | instid1(VALU_DEP_1)
	v_fma_f64 v[27:28], v[23:24], s[28:29], -v[25:26]
	v_fma_f64 v[23:24], v[23:24], s[30:31], v[27:28]
	s_delay_alu instid0(VALU_DEP_4) | instskip(NEXT) | instid1(VALU_DEP_1)
	v_add_f64 v[27:28], v[29:30], v[21:22]
	v_add_f64 v[29:30], v[27:28], -v[29:30]
	s_delay_alu instid0(VALU_DEP_1) | instskip(SKIP_1) | instid1(VALU_DEP_2)
	v_add_f64 v[21:22], v[21:22], -v[29:30]
	v_mul_f64 v[29:30], v[27:28], v[27:28]
	v_ldexp_f64 v[21:22], v[21:22], 1
	s_delay_alu instid0(VALU_DEP_2) | instskip(NEXT) | instid1(VALU_DEP_1)
	v_fma_f64 v[31:32], v[29:30], s[18:19], s[16:17]
	v_fma_f64 v[31:32], v[29:30], v[31:32], s[20:21]
	s_delay_alu instid0(VALU_DEP_1) | instskip(NEXT) | instid1(VALU_DEP_1)
	v_fma_f64 v[31:32], v[29:30], v[31:32], s[22:23]
	v_fma_f64 v[31:32], v[29:30], v[31:32], s[24:25]
	s_delay_alu instid0(VALU_DEP_1) | instskip(NEXT) | instid1(VALU_DEP_1)
	v_fma_f64 v[31:32], v[29:30], v[31:32], s[26:27]
	v_fma_f64 v[31:32], v[29:30], v[31:32], s[14:15]
	v_mul_f64 v[29:30], v[27:28], v[29:30]
	v_ldexp_f64 v[27:28], v[27:28], 1
	s_delay_alu instid0(VALU_DEP_2) | instskip(NEXT) | instid1(VALU_DEP_1)
	v_mul_f64 v[29:30], v[29:30], v[31:32]
	v_add_f64 v[31:32], v[27:28], v[29:30]
	s_delay_alu instid0(VALU_DEP_1) | instskip(NEXT) | instid1(VALU_DEP_1)
	v_add_f64 v[27:28], v[31:32], -v[27:28]
	v_add_f64 v[27:28], v[29:30], -v[27:28]
	s_delay_alu instid0(VALU_DEP_1) | instskip(SKIP_1) | instid1(VALU_DEP_1)
	v_add_f64 v[21:22], v[21:22], v[27:28]
	v_add_f64 v[27:28], v[25:26], v[23:24]
	v_add_f64 v[25:26], v[27:28], -v[25:26]
	s_delay_alu instid0(VALU_DEP_1) | instskip(NEXT) | instid1(VALU_DEP_4)
	v_add_f64 v[23:24], v[23:24], -v[25:26]
	v_add_f64 v[25:26], v[31:32], v[21:22]
	s_delay_alu instid0(VALU_DEP_1) | instskip(SKIP_1) | instid1(VALU_DEP_2)
	v_add_f64 v[29:30], v[25:26], -v[31:32]
	v_add_f64 v[31:32], v[27:28], v[25:26]
	v_add_f64 v[21:22], v[21:22], -v[29:30]
	s_delay_alu instid0(VALU_DEP_2) | instskip(NEXT) | instid1(VALU_DEP_1)
	v_add_f64 v[33:34], v[31:32], -v[27:28]
	v_add_f64 v[25:26], v[25:26], -v[33:34]
	;; [unrolled: 1-line block ×3, first 2 shown]
	s_delay_alu instid0(VALU_DEP_1) | instskip(NEXT) | instid1(VALU_DEP_1)
	v_add_f64 v[27:28], v[27:28], -v[33:34]
	v_add_f64 v[25:26], v[25:26], v[27:28]
	v_add_f64 v[27:28], v[23:24], v[21:22]
	s_delay_alu instid0(VALU_DEP_1) | instskip(NEXT) | instid1(VALU_DEP_3)
	v_add_f64 v[29:30], v[27:28], -v[23:24]
	v_add_f64 v[25:26], v[27:28], v[25:26]
	s_delay_alu instid0(VALU_DEP_2) | instskip(SKIP_1) | instid1(VALU_DEP_1)
	v_add_f64 v[21:22], v[21:22], -v[29:30]
	v_add_f64 v[29:30], v[27:28], -v[29:30]
	;; [unrolled: 1-line block ×3, first 2 shown]
	s_delay_alu instid0(VALU_DEP_1) | instskip(SKIP_1) | instid1(VALU_DEP_1)
	v_add_f64 v[21:22], v[21:22], v[23:24]
	v_add_f64 v[23:24], v[31:32], v[25:26]
	v_add_f64 v[27:28], v[23:24], -v[31:32]
	s_delay_alu instid0(VALU_DEP_1) | instskip(NEXT) | instid1(VALU_DEP_1)
	v_add_f64 v[25:26], v[25:26], -v[27:28]
	v_add_f64 v[21:22], v[21:22], v[25:26]
	s_delay_alu instid0(VALU_DEP_1) | instskip(NEXT) | instid1(VALU_DEP_1)
	v_add_f64 v[21:22], v[23:24], v[21:22]
	v_dual_cndmask_b32 v2, v21, v19 :: v_dual_cndmask_b32 v15, v22, v20
	v_fract_f64_e32 v[19:20], v[13:14]
	s_delay_alu instid0(VALU_DEP_2) | instskip(NEXT) | instid1(VALU_DEP_3)
	v_cndmask_b32_e64 v21, 0, v2, s6
	v_cndmask_b32_e64 v22, 0xfff00000, v15, s6
	v_cmp_class_f64_e64 s6, v[13:14], 0x204
	s_delay_alu instid0(VALU_DEP_2) | instskip(SKIP_1) | instid1(VALU_DEP_3)
	v_add_f64 v[17:18], v[21:22], -v[17:18]
	v_cmp_eq_f64_e32 vcc_lo, 0, v[19:20]
	s_or_b32 s6, s6, vcc_lo
	s_delay_alu instid0(VALU_DEP_2) | instid1(SALU_CYCLE_1)
	v_cndmask_b32_e64 v18, v18, 0x7ff00000, s6
	s_delay_alu instid0(VALU_DEP_3)
	v_cndmask_b32_e64 v17, v17, 0, s6
.LBB12_45:                              ;   in Loop: Header=BB12_4 Depth=1
	s_or_b32 exec_lo, exec_lo, s8
.LBB12_46:                              ;   in Loop: Header=BB12_4 Depth=1
	s_delay_alu instid0(SALU_CYCLE_1) | instskip(SKIP_2) | instid1(VALU_DEP_1)
	s_or_b32 exec_lo, exec_lo, s7
	v_dual_mov_b32 v19, v9 :: v_dual_and_b32 v20, 0x7fffffff, v10
                                        ; implicit-def: $vgpr21_vgpr22
	s_mov_b32 s6, exec_lo
	v_cmpx_lt_u32_e32 0x3f6fffff, v20
	s_xor_b32 s75, exec_lo, s6
	s_cbranch_execz .LBB12_72
; %bb.47:                               ;   in Loop: Header=BB12_4 Depth=1
                                        ; implicit-def: $vgpr21_vgpr22
	s_mov_b32 s6, exec_lo
	v_cmpx_lt_u32_e32 0x3fffffff, v20
	s_xor_b32 s76, exec_lo, s6
	s_cbranch_execz .LBB12_57
; %bb.48:                               ;   in Loop: Header=BB12_4 Depth=1
	;; [unrolled: 6-line block ×4, first 2 shown]
	v_frexp_mant_f64_e64 v[21:22], |v[9:10]|
	s_mov_b32 s15, s71
	v_cmp_neq_f64_e64 s6, 0, v[9:10]
	s_delay_alu instid0(VALU_DEP_2) | instskip(SKIP_1) | instid1(VALU_DEP_1)
	v_cmp_gt_f64_e32 vcc_lo, s[70:71], v[21:22]
	v_cndmask_b32_e64 v2, 0x3ff00000, 2.0, vcc_lo
	v_mul_f64 v[21:22], v[21:22], v[1:2]
	v_frexp_exp_i32_f64_e32 v2, v[9:10]
	s_delay_alu instid0(VALU_DEP_2) | instskip(NEXT) | instid1(VALU_DEP_2)
	v_add_f64 v[23:24], v[21:22], 1.0
	v_subrev_co_ci_u32_e32 v2, vcc_lo, 0, v2, vcc_lo
	v_cmp_class_f64_e64 vcc_lo, v[9:10], 0x204
	s_delay_alu instid0(VALU_DEP_3) | instskip(SKIP_2) | instid1(VALU_DEP_1)
	v_rcp_f64_e32 v[25:26], v[23:24]
	s_waitcnt_depctr 0xfff
	v_fma_f64 v[27:28], -v[23:24], v[25:26], 1.0
	v_fma_f64 v[25:26], v[27:28], v[25:26], v[25:26]
	s_delay_alu instid0(VALU_DEP_1) | instskip(NEXT) | instid1(VALU_DEP_1)
	v_fma_f64 v[27:28], -v[23:24], v[25:26], 1.0
	v_fma_f64 v[25:26], v[27:28], v[25:26], v[25:26]
	v_add_f64 v[27:28], v[23:24], -1.0
	s_delay_alu instid0(VALU_DEP_1) | instskip(SKIP_1) | instid1(VALU_DEP_1)
	v_add_f64 v[27:28], v[21:22], -v[27:28]
	v_add_f64 v[21:22], v[21:22], -1.0
	v_mul_f64 v[29:30], v[21:22], v[25:26]
	s_delay_alu instid0(VALU_DEP_1) | instskip(NEXT) | instid1(VALU_DEP_1)
	v_mul_f64 v[31:32], v[23:24], v[29:30]
	v_fma_f64 v[23:24], v[29:30], v[23:24], -v[31:32]
	s_delay_alu instid0(VALU_DEP_1) | instskip(NEXT) | instid1(VALU_DEP_1)
	v_fma_f64 v[23:24], v[29:30], v[27:28], v[23:24]
	v_add_f64 v[27:28], v[31:32], v[23:24]
	s_delay_alu instid0(VALU_DEP_1) | instskip(NEXT) | instid1(VALU_DEP_1)
	v_add_f64 v[31:32], v[27:28], -v[31:32]
	v_add_f64 v[23:24], v[31:32], -v[23:24]
	;; [unrolled: 1-line block ×3, first 2 shown]
	s_delay_alu instid0(VALU_DEP_1) | instskip(NEXT) | instid1(VALU_DEP_1)
	v_add_f64 v[21:22], v[21:22], -v[31:32]
	v_add_f64 v[21:22], v[21:22], -v[27:28]
	s_delay_alu instid0(VALU_DEP_1) | instskip(SKIP_1) | instid1(VALU_DEP_2)
	v_add_f64 v[21:22], v[23:24], v[21:22]
	v_cvt_f64_i32_e32 v[23:24], v2
	v_add_f64 v[21:22], v[31:32], v[21:22]
	s_delay_alu instid0(VALU_DEP_1) | instskip(NEXT) | instid1(VALU_DEP_3)
	v_mul_f64 v[21:22], v[25:26], v[21:22]
	v_mul_f64 v[25:26], v[23:24], s[28:29]
	s_delay_alu instid0(VALU_DEP_1) | instskip(NEXT) | instid1(VALU_DEP_1)
	v_fma_f64 v[27:28], v[23:24], s[28:29], -v[25:26]
	v_fma_f64 v[23:24], v[23:24], s[30:31], v[27:28]
	s_delay_alu instid0(VALU_DEP_4) | instskip(NEXT) | instid1(VALU_DEP_1)
	v_add_f64 v[27:28], v[29:30], v[21:22]
	v_add_f64 v[29:30], v[27:28], -v[29:30]
	s_delay_alu instid0(VALU_DEP_1) | instskip(SKIP_1) | instid1(VALU_DEP_2)
	v_add_f64 v[21:22], v[21:22], -v[29:30]
	v_mul_f64 v[29:30], v[27:28], v[27:28]
	v_ldexp_f64 v[21:22], v[21:22], 1
	s_delay_alu instid0(VALU_DEP_2) | instskip(NEXT) | instid1(VALU_DEP_1)
	v_fma_f64 v[31:32], v[29:30], s[18:19], s[16:17]
	v_fma_f64 v[31:32], v[29:30], v[31:32], s[20:21]
	s_delay_alu instid0(VALU_DEP_1) | instskip(NEXT) | instid1(VALU_DEP_1)
	v_fma_f64 v[31:32], v[29:30], v[31:32], s[22:23]
	v_fma_f64 v[31:32], v[29:30], v[31:32], s[24:25]
	s_delay_alu instid0(VALU_DEP_1) | instskip(NEXT) | instid1(VALU_DEP_1)
	v_fma_f64 v[31:32], v[29:30], v[31:32], s[26:27]
	v_fma_f64 v[31:32], v[29:30], v[31:32], s[14:15]
	v_mul_f64 v[29:30], v[27:28], v[29:30]
	v_ldexp_f64 v[27:28], v[27:28], 1
	s_delay_alu instid0(VALU_DEP_2) | instskip(NEXT) | instid1(VALU_DEP_1)
	v_mul_f64 v[29:30], v[29:30], v[31:32]
	v_add_f64 v[31:32], v[27:28], v[29:30]
	s_delay_alu instid0(VALU_DEP_1) | instskip(NEXT) | instid1(VALU_DEP_1)
	v_add_f64 v[27:28], v[31:32], -v[27:28]
	v_add_f64 v[27:28], v[29:30], -v[27:28]
	s_delay_alu instid0(VALU_DEP_1) | instskip(SKIP_1) | instid1(VALU_DEP_1)
	v_add_f64 v[21:22], v[21:22], v[27:28]
	v_add_f64 v[27:28], v[25:26], v[23:24]
	v_add_f64 v[25:26], v[27:28], -v[25:26]
	s_delay_alu instid0(VALU_DEP_1) | instskip(NEXT) | instid1(VALU_DEP_4)
	v_add_f64 v[23:24], v[23:24], -v[25:26]
	v_add_f64 v[25:26], v[31:32], v[21:22]
	s_delay_alu instid0(VALU_DEP_1) | instskip(SKIP_1) | instid1(VALU_DEP_2)
	v_add_f64 v[29:30], v[25:26], -v[31:32]
	v_add_f64 v[31:32], v[27:28], v[25:26]
	v_add_f64 v[21:22], v[21:22], -v[29:30]
	s_delay_alu instid0(VALU_DEP_2) | instskip(NEXT) | instid1(VALU_DEP_1)
	v_add_f64 v[33:34], v[31:32], -v[27:28]
	v_add_f64 v[25:26], v[25:26], -v[33:34]
	;; [unrolled: 1-line block ×3, first 2 shown]
	s_delay_alu instid0(VALU_DEP_1) | instskip(NEXT) | instid1(VALU_DEP_1)
	v_add_f64 v[27:28], v[27:28], -v[33:34]
	v_add_f64 v[25:26], v[25:26], v[27:28]
	v_add_f64 v[27:28], v[23:24], v[21:22]
	s_delay_alu instid0(VALU_DEP_1) | instskip(NEXT) | instid1(VALU_DEP_3)
	v_add_f64 v[29:30], v[27:28], -v[23:24]
	v_add_f64 v[25:26], v[27:28], v[25:26]
	s_delay_alu instid0(VALU_DEP_2) | instskip(SKIP_1) | instid1(VALU_DEP_1)
	v_add_f64 v[21:22], v[21:22], -v[29:30]
	v_add_f64 v[29:30], v[27:28], -v[29:30]
	;; [unrolled: 1-line block ×3, first 2 shown]
	s_delay_alu instid0(VALU_DEP_1) | instskip(SKIP_1) | instid1(VALU_DEP_1)
	v_add_f64 v[21:22], v[21:22], v[23:24]
	v_add_f64 v[23:24], v[31:32], v[25:26]
	v_add_f64 v[27:28], v[23:24], -v[31:32]
	s_delay_alu instid0(VALU_DEP_1) | instskip(NEXT) | instid1(VALU_DEP_1)
	v_add_f64 v[25:26], v[25:26], -v[27:28]
	v_add_f64 v[21:22], v[21:22], v[25:26]
	s_delay_alu instid0(VALU_DEP_1) | instskip(NEXT) | instid1(VALU_DEP_1)
	v_add_f64 v[21:22], v[23:24], v[21:22]
	v_dual_cndmask_b32 v2, v22, v20 :: v_dual_cndmask_b32 v15, v21, v9
	s_delay_alu instid0(VALU_DEP_1) | instskip(NEXT) | instid1(VALU_DEP_2)
	v_cndmask_b32_e64 v22, 0xfff00000, v2, s6
	v_cndmask_b32_e64 v21, 0, v15, s6
	s_delay_alu instid0(VALU_DEP_1)
	v_fma_f64 v[21:22], |v[9:10]|, v[21:22], -|v[9:10]|
.LBB12_51:                              ;   in Loop: Header=BB12_4 Depth=1
	s_and_not1_saveexec_b32 s6, s8
	s_cbranch_execz .LBB12_53
; %bb.52:                               ;   in Loop: Header=BB12_4 Depth=1
	v_mov_b32_e32 v19, v9
	s_mov_b32 s15, s71
	s_mov_b32 s78, 0x4cdad5d1
	;; [unrolled: 1-line block ×4, first 2 shown]
	v_div_scale_f64 v[21:22], null, v[19:20], v[19:20], 1.0
	s_mov_b32 s81, 0xbf5ab89d
	s_delay_alu instid0(VALU_DEP_1) | instskip(SKIP_2) | instid1(VALU_DEP_1)
	v_rcp_f64_e32 v[23:24], v[21:22]
	s_waitcnt_depctr 0xfff
	v_fma_f64 v[25:26], -v[21:22], v[23:24], 1.0
	v_fma_f64 v[23:24], v[23:24], v[25:26], v[23:24]
	s_delay_alu instid0(VALU_DEP_1) | instskip(NEXT) | instid1(VALU_DEP_1)
	v_fma_f64 v[25:26], -v[21:22], v[23:24], 1.0
	v_fma_f64 v[23:24], v[23:24], v[25:26], v[23:24]
	v_div_scale_f64 v[25:26], vcc_lo, 1.0, v[19:20], 1.0
	s_delay_alu instid0(VALU_DEP_1) | instskip(NEXT) | instid1(VALU_DEP_1)
	v_mul_f64 v[27:28], v[25:26], v[23:24]
	v_fma_f64 v[21:22], -v[21:22], v[27:28], v[25:26]
	s_delay_alu instid0(VALU_DEP_1) | instskip(SKIP_1) | instid1(VALU_DEP_2)
	v_div_fmas_f64 v[21:22], v[21:22], v[23:24], v[27:28]
	v_frexp_mant_f64_e64 v[23:24], |v[9:10]|
	v_div_fixup_f64 v[21:22], v[21:22], |v[9:10]|, 1.0
	s_delay_alu instid0(VALU_DEP_2) | instskip(SKIP_1) | instid1(VALU_DEP_1)
	v_cmp_gt_f64_e32 vcc_lo, s[70:71], v[23:24]
	v_cndmask_b32_e64 v2, 0x3ff00000, 2.0, vcc_lo
	v_mul_f64 v[23:24], v[23:24], v[1:2]
	v_frexp_exp_i32_f64_e32 v2, v[9:10]
	s_delay_alu instid0(VALU_DEP_2) | instskip(NEXT) | instid1(VALU_DEP_2)
	v_add_f64 v[25:26], v[23:24], 1.0
	v_subrev_co_ci_u32_e32 v2, vcc_lo, 0, v2, vcc_lo
	v_cmp_class_f64_e64 vcc_lo, v[9:10], 0x204
	s_delay_alu instid0(VALU_DEP_3) | instskip(SKIP_2) | instid1(VALU_DEP_1)
	v_rcp_f64_e32 v[27:28], v[25:26]
	s_waitcnt_depctr 0xfff
	v_fma_f64 v[29:30], -v[25:26], v[27:28], 1.0
	v_fma_f64 v[27:28], v[29:30], v[27:28], v[27:28]
	s_delay_alu instid0(VALU_DEP_1) | instskip(NEXT) | instid1(VALU_DEP_1)
	v_fma_f64 v[29:30], -v[25:26], v[27:28], 1.0
	v_fma_f64 v[27:28], v[29:30], v[27:28], v[27:28]
	v_add_f64 v[29:30], v[25:26], -1.0
	s_delay_alu instid0(VALU_DEP_1) | instskip(SKIP_1) | instid1(VALU_DEP_1)
	v_add_f64 v[29:30], v[23:24], -v[29:30]
	v_add_f64 v[23:24], v[23:24], -1.0
	v_mul_f64 v[31:32], v[23:24], v[27:28]
	s_delay_alu instid0(VALU_DEP_1) | instskip(NEXT) | instid1(VALU_DEP_1)
	v_mul_f64 v[33:34], v[25:26], v[31:32]
	v_fma_f64 v[25:26], v[31:32], v[25:26], -v[33:34]
	s_delay_alu instid0(VALU_DEP_1) | instskip(NEXT) | instid1(VALU_DEP_1)
	v_fma_f64 v[25:26], v[31:32], v[29:30], v[25:26]
	v_add_f64 v[29:30], v[33:34], v[25:26]
	s_delay_alu instid0(VALU_DEP_1) | instskip(NEXT) | instid1(VALU_DEP_1)
	v_add_f64 v[33:34], v[29:30], -v[33:34]
	v_add_f64 v[25:26], v[33:34], -v[25:26]
	;; [unrolled: 1-line block ×3, first 2 shown]
	s_delay_alu instid0(VALU_DEP_1) | instskip(NEXT) | instid1(VALU_DEP_1)
	v_add_f64 v[23:24], v[23:24], -v[33:34]
	v_add_f64 v[23:24], v[23:24], -v[29:30]
	s_delay_alu instid0(VALU_DEP_1) | instskip(SKIP_1) | instid1(VALU_DEP_2)
	v_add_f64 v[23:24], v[25:26], v[23:24]
	v_cvt_f64_i32_e32 v[25:26], v2
	v_add_f64 v[23:24], v[33:34], v[23:24]
	s_delay_alu instid0(VALU_DEP_1) | instskip(NEXT) | instid1(VALU_DEP_3)
	v_mul_f64 v[23:24], v[27:28], v[23:24]
	v_mul_f64 v[27:28], v[25:26], s[28:29]
	s_delay_alu instid0(VALU_DEP_1) | instskip(NEXT) | instid1(VALU_DEP_1)
	v_fma_f64 v[29:30], v[25:26], s[28:29], -v[27:28]
	v_fma_f64 v[25:26], v[25:26], s[30:31], v[29:30]
	s_delay_alu instid0(VALU_DEP_4) | instskip(NEXT) | instid1(VALU_DEP_1)
	v_add_f64 v[29:30], v[31:32], v[23:24]
	v_add_f64 v[31:32], v[29:30], -v[31:32]
	s_delay_alu instid0(VALU_DEP_1) | instskip(SKIP_1) | instid1(VALU_DEP_2)
	v_add_f64 v[23:24], v[23:24], -v[31:32]
	v_mul_f64 v[31:32], v[29:30], v[29:30]
	v_ldexp_f64 v[23:24], v[23:24], 1
	s_delay_alu instid0(VALU_DEP_2) | instskip(NEXT) | instid1(VALU_DEP_1)
	v_fma_f64 v[33:34], v[31:32], s[18:19], s[16:17]
	v_fma_f64 v[33:34], v[31:32], v[33:34], s[20:21]
	s_delay_alu instid0(VALU_DEP_1) | instskip(NEXT) | instid1(VALU_DEP_1)
	v_fma_f64 v[33:34], v[31:32], v[33:34], s[22:23]
	v_fma_f64 v[33:34], v[31:32], v[33:34], s[24:25]
	s_delay_alu instid0(VALU_DEP_1) | instskip(NEXT) | instid1(VALU_DEP_1)
	v_fma_f64 v[33:34], v[31:32], v[33:34], s[26:27]
	v_fma_f64 v[33:34], v[31:32], v[33:34], s[14:15]
	v_mul_f64 v[31:32], v[29:30], v[31:32]
	v_ldexp_f64 v[29:30], v[29:30], 1
	s_delay_alu instid0(VALU_DEP_2) | instskip(NEXT) | instid1(VALU_DEP_1)
	v_mul_f64 v[31:32], v[31:32], v[33:34]
	v_add_f64 v[33:34], v[29:30], v[31:32]
	s_delay_alu instid0(VALU_DEP_1) | instskip(NEXT) | instid1(VALU_DEP_1)
	v_add_f64 v[29:30], v[33:34], -v[29:30]
	v_add_f64 v[29:30], v[31:32], -v[29:30]
	s_delay_alu instid0(VALU_DEP_1) | instskip(SKIP_1) | instid1(VALU_DEP_1)
	v_add_f64 v[23:24], v[23:24], v[29:30]
	v_add_f64 v[29:30], v[27:28], v[25:26]
	v_add_f64 v[27:28], v[29:30], -v[27:28]
	s_delay_alu instid0(VALU_DEP_1) | instskip(NEXT) | instid1(VALU_DEP_4)
	v_add_f64 v[25:26], v[25:26], -v[27:28]
	v_add_f64 v[27:28], v[33:34], v[23:24]
	s_delay_alu instid0(VALU_DEP_1) | instskip(SKIP_1) | instid1(VALU_DEP_2)
	v_add_f64 v[31:32], v[27:28], -v[33:34]
	v_add_f64 v[33:34], v[29:30], v[27:28]
	v_add_f64 v[23:24], v[23:24], -v[31:32]
	s_delay_alu instid0(VALU_DEP_2) | instskip(NEXT) | instid1(VALU_DEP_1)
	v_add_f64 v[35:36], v[33:34], -v[29:30]
	v_add_f64 v[27:28], v[27:28], -v[35:36]
	;; [unrolled: 1-line block ×3, first 2 shown]
	s_delay_alu instid0(VALU_DEP_1) | instskip(NEXT) | instid1(VALU_DEP_1)
	v_add_f64 v[29:30], v[29:30], -v[35:36]
	v_add_f64 v[27:28], v[27:28], v[29:30]
	v_add_f64 v[29:30], v[25:26], v[23:24]
	s_delay_alu instid0(VALU_DEP_1) | instskip(NEXT) | instid1(VALU_DEP_3)
	v_add_f64 v[31:32], v[29:30], -v[25:26]
	v_add_f64 v[27:28], v[29:30], v[27:28]
	s_delay_alu instid0(VALU_DEP_2) | instskip(SKIP_1) | instid1(VALU_DEP_1)
	v_add_f64 v[23:24], v[23:24], -v[31:32]
	v_add_f64 v[31:32], v[29:30], -v[31:32]
	;; [unrolled: 1-line block ×3, first 2 shown]
	s_delay_alu instid0(VALU_DEP_1) | instskip(SKIP_1) | instid1(VALU_DEP_1)
	v_add_f64 v[23:24], v[23:24], v[25:26]
	v_add_f64 v[25:26], v[33:34], v[27:28]
	v_add_f64 v[29:30], v[25:26], -v[33:34]
	s_delay_alu instid0(VALU_DEP_1) | instskip(NEXT) | instid1(VALU_DEP_1)
	v_add_f64 v[27:28], v[27:28], -v[29:30]
	v_add_f64 v[23:24], v[23:24], v[27:28]
	s_delay_alu instid0(VALU_DEP_1) | instskip(SKIP_1) | instid1(VALU_DEP_2)
	v_add_f64 v[23:24], v[25:26], v[23:24]
	v_mul_f64 v[25:26], v[21:22], v[21:22]
	v_cndmask_b32_e32 v24, v24, v20, vcc_lo
	s_delay_alu instid0(VALU_DEP_2) | instskip(SKIP_2) | instid1(VALU_DEP_4)
	v_fma_f64 v[27:28], v[25:26], s[80:81], s[78:79]
	s_mov_b32 s78, 0x8c0fe741
	s_mov_b32 s79, 0xbf4380cb
	v_cndmask_b32_e32 v23, v23, v19, vcc_lo
	v_cmp_neq_f64_e32 vcc_lo, 0, v[9:10]
	s_mov_b32 s80, 0xdd17e945
	s_mov_b32 s81, 0x3f00bfec
	s_delay_alu instid0(VALU_DEP_2) | instskip(NEXT) | instid1(VALU_DEP_4)
	v_add_f64 v[23:24], v[23:24], -1.0
	v_fma_f64 v[27:28], v[25:26], v[27:28], s[78:79]
	s_mov_b32 s78, 0x98cf38b6
	s_mov_b32 s79, 0x3f4a019f
	s_delay_alu instid0(VALU_DEP_2) | instskip(NEXT) | instid1(VALU_DEP_3)
	v_cndmask_b32_e32 v24, 0xfff00000, v24, vcc_lo
	v_cndmask_b32_e32 v23, 0, v23, vcc_lo
	s_delay_alu instid0(VALU_DEP_3)
	v_fma_f64 v[27:28], v[25:26], v[27:28], s[78:79]
	s_mov_b32 s78, 0x16b02e5c
	s_mov_b32 s79, 0xbf66c16c
	s_delay_alu instid0(VALU_DEP_1) | instid1(SALU_CYCLE_1)
	v_fma_f64 v[27:28], v[25:26], v[27:28], s[78:79]
	s_mov_b32 s78, 0x5555553b
	s_mov_b32 s79, 0x3fb55555
	s_delay_alu instid0(VALU_DEP_1) | instid1(SALU_CYCLE_1)
	;; [unrolled: 4-line block ×3, first 2 shown]
	v_fma_f64 v[21:22], v[21:22], v[25:26], s[78:79]
	v_add_f64 v[25:26], |v[9:10]|, -0.5
	s_mov_b32 s78, 0x7368f239
	s_mov_b32 s79, 0x3f5e26b6
	s_delay_alu instid0(VALU_DEP_1)
	v_fma_f64 v[21:22], v[25:26], v[23:24], v[21:22]
.LBB12_53:                              ;   in Loop: Header=BB12_4 Depth=1
	s_or_b32 exec_lo, exec_lo, s6
.LBB12_54:                              ;   in Loop: Header=BB12_4 Depth=1
	s_and_not1_saveexec_b32 s77, s7
	s_cbranch_execz .LBB12_56
; %bb.55:                               ;   in Loop: Header=BB12_4 Depth=1
	v_cvt_i32_f64_e32 v2, v[19:20]
	s_mov_b32 s6, 0xca41a95b
	s_mov_b32 s82, 0xa5b38140
	;; [unrolled: 1-line block ×6, first 2 shown]
	s_delay_alu instid0(VALU_DEP_1) | instskip(NEXT) | instid1(VALU_DEP_1)
	v_cvt_f64_i32_e32 v[21:22], v2
	v_add_f64 v[21:22], |v[9:10]|, -v[21:22]
	s_delay_alu instid0(VALU_DEP_1)
	v_fma_f64 v[23:24], v[21:22], s[80:81], s[78:79]
	v_fma_f64 v[25:26], v[21:22], s[82:83], s[6:7]
	s_mov_b32 s6, 0x7e939961
	s_mov_b32 s7, 0x3f9b481c
	s_delay_alu instid0(VALU_DEP_2) | instid1(SALU_CYCLE_1)
	v_fma_f64 v[23:24], v[21:22], v[23:24], s[6:7]
	s_mov_b32 s6, 0x742ed475
	s_mov_b32 s7, 0x3f9317ea
	s_delay_alu instid0(VALU_DEP_2) | instid1(SALU_CYCLE_1)
	;; [unrolled: 4-line block ×8, first 2 shown]
	v_fma_f64 v[25:26], v[21:22], v[25:26], s[6:7]
	s_delay_alu instid0(VALU_DEP_2) | instskip(NEXT) | instid1(VALU_DEP_2)
	v_fma_f64 v[23:24], v[21:22], v[23:24], s[8:9]
	v_fma_f64 v[25:26], v[21:22], v[25:26], 1.0
	s_delay_alu instid0(VALU_DEP_2) | instskip(NEXT) | instid1(VALU_DEP_1)
	v_mul_f64 v[23:24], v[21:22], v[23:24]
	v_div_scale_f64 v[27:28], null, v[25:26], v[25:26], v[23:24]
	s_delay_alu instid0(VALU_DEP_1) | instskip(SKIP_2) | instid1(VALU_DEP_1)
	v_rcp_f64_e32 v[29:30], v[27:28]
	s_waitcnt_depctr 0xfff
	v_fma_f64 v[31:32], -v[27:28], v[29:30], 1.0
	v_fma_f64 v[29:30], v[29:30], v[31:32], v[29:30]
	s_delay_alu instid0(VALU_DEP_1) | instskip(NEXT) | instid1(VALU_DEP_1)
	v_fma_f64 v[31:32], -v[27:28], v[29:30], 1.0
	v_fma_f64 v[29:30], v[29:30], v[31:32], v[29:30]
	v_div_scale_f64 v[31:32], vcc_lo, v[23:24], v[25:26], v[23:24]
	s_delay_alu instid0(VALU_DEP_1) | instskip(NEXT) | instid1(VALU_DEP_1)
	v_mul_f64 v[33:34], v[31:32], v[29:30]
	v_fma_f64 v[27:28], -v[27:28], v[33:34], v[31:32]
	s_delay_alu instid0(VALU_DEP_1) | instskip(SKIP_1) | instid1(VALU_DEP_2)
	v_div_fmas_f64 v[27:28], v[27:28], v[29:30], v[33:34]
	v_cmp_lt_i32_e32 vcc_lo, 2, v2
	v_div_fixup_f64 v[23:24], v[27:28], v[25:26], v[23:24]
	v_add_f64 v[25:26], v[21:22], 2.0
	v_add_f64 v[27:28], 0x40080000, v[21:22]
	s_delay_alu instid0(VALU_DEP_2) | instskip(NEXT) | instid1(VALU_DEP_3)
	v_cndmask_b32_e32 v26, 0x3ff00000, v26, vcc_lo
	v_cndmask_b32_e32 v25, 0, v25, vcc_lo
	v_cmp_lt_i32_e32 vcc_lo, 3, v2
	s_delay_alu instid0(VALU_DEP_4) | instskip(SKIP_2) | instid1(VALU_DEP_2)
	v_cndmask_b32_e32 v28, 0x3ff00000, v28, vcc_lo
	v_cndmask_b32_e32 v27, 0, v27, vcc_lo
	v_cmp_lt_i32_e32 vcc_lo, 4, v2
	v_mul_f64 v[25:26], v[25:26], v[27:28]
	v_add_f64 v[27:28], v[21:22], 4.0
	s_delay_alu instid0(VALU_DEP_1) | instskip(NEXT) | instid1(VALU_DEP_2)
	v_cndmask_b32_e32 v28, 0x3ff00000, v28, vcc_lo
	v_cndmask_b32_e32 v27, 0, v27, vcc_lo
	v_cmp_lt_i32_e32 vcc_lo, 5, v2
	s_delay_alu instid0(VALU_DEP_2) | instskip(SKIP_1) | instid1(VALU_DEP_1)
	v_mul_f64 v[25:26], v[27:28], v[25:26]
	v_add_f64 v[27:28], 0x40140000, v[21:22]
	v_cndmask_b32_e32 v28, 0x3ff00000, v28, vcc_lo
	s_delay_alu instid0(VALU_DEP_2) | instskip(SKIP_1) | instid1(VALU_DEP_2)
	v_cndmask_b32_e32 v27, 0, v27, vcc_lo
	v_cmp_lt_i32_e32 vcc_lo, 6, v2
	v_mul_f64 v[25:26], v[27:28], v[25:26]
	v_add_f64 v[27:28], 0x40180000, v[21:22]
	v_fma_f64 v[21:22], v[21:22], 0.5, v[23:24]
	s_delay_alu instid0(VALU_DEP_2) | instskip(NEXT) | instid1(VALU_DEP_3)
	v_cndmask_b32_e32 v28, 0x3ff00000, v28, vcc_lo
	v_cndmask_b32_e32 v27, 0, v27, vcc_lo
	s_delay_alu instid0(VALU_DEP_1) | instskip(NEXT) | instid1(VALU_DEP_1)
	v_mul_f64 v[25:26], v[27:28], v[25:26]
	v_frexp_mant_f64_e32 v[27:28], v[25:26]
	v_cmp_ngt_f64_e64 s6, 0, v[25:26]
	v_cmp_nge_f64_e64 s7, 0, v[25:26]
	v_cmp_neq_f64_e64 s8, 0, v[25:26]
	s_delay_alu instid0(VALU_DEP_4) | instskip(SKIP_1) | instid1(VALU_DEP_1)
	v_cmp_gt_f64_e32 vcc_lo, s[70:71], v[27:28]
	v_cndmask_b32_e64 v2, 0x3ff00000, 2.0, vcc_lo
	v_mul_f64 v[27:28], v[27:28], v[1:2]
	v_frexp_exp_i32_f64_e32 v2, v[25:26]
	s_delay_alu instid0(VALU_DEP_2) | instskip(NEXT) | instid1(VALU_DEP_2)
	v_add_f64 v[29:30], v[27:28], 1.0
	v_subrev_co_ci_u32_e32 v2, vcc_lo, 0, v2, vcc_lo
	v_cmp_class_f64_e64 vcc_lo, v[25:26], 0x204
	s_delay_alu instid0(VALU_DEP_3) | instskip(SKIP_2) | instid1(VALU_DEP_1)
	v_rcp_f64_e32 v[31:32], v[29:30]
	s_waitcnt_depctr 0xfff
	v_fma_f64 v[33:34], -v[29:30], v[31:32], 1.0
	v_fma_f64 v[31:32], v[33:34], v[31:32], v[31:32]
	s_delay_alu instid0(VALU_DEP_1) | instskip(NEXT) | instid1(VALU_DEP_1)
	v_fma_f64 v[33:34], -v[29:30], v[31:32], 1.0
	v_fma_f64 v[31:32], v[33:34], v[31:32], v[31:32]
	v_add_f64 v[33:34], v[29:30], -1.0
	s_delay_alu instid0(VALU_DEP_1) | instskip(SKIP_1) | instid1(VALU_DEP_1)
	v_add_f64 v[33:34], v[27:28], -v[33:34]
	v_add_f64 v[27:28], v[27:28], -1.0
	v_mul_f64 v[35:36], v[27:28], v[31:32]
	s_delay_alu instid0(VALU_DEP_1) | instskip(NEXT) | instid1(VALU_DEP_1)
	v_mul_f64 v[43:44], v[29:30], v[35:36]
	v_fma_f64 v[29:30], v[35:36], v[29:30], -v[43:44]
	s_delay_alu instid0(VALU_DEP_1) | instskip(NEXT) | instid1(VALU_DEP_1)
	v_fma_f64 v[29:30], v[35:36], v[33:34], v[29:30]
	v_add_f64 v[33:34], v[43:44], v[29:30]
	s_delay_alu instid0(VALU_DEP_1) | instskip(NEXT) | instid1(VALU_DEP_1)
	v_add_f64 v[43:44], v[33:34], -v[43:44]
	v_add_f64 v[29:30], v[43:44], -v[29:30]
	;; [unrolled: 1-line block ×3, first 2 shown]
	s_delay_alu instid0(VALU_DEP_1) | instskip(NEXT) | instid1(VALU_DEP_1)
	v_add_f64 v[27:28], v[27:28], -v[43:44]
	v_add_f64 v[27:28], v[27:28], -v[33:34]
	s_delay_alu instid0(VALU_DEP_1) | instskip(SKIP_1) | instid1(VALU_DEP_2)
	v_add_f64 v[27:28], v[29:30], v[27:28]
	v_cvt_f64_i32_e32 v[29:30], v2
	v_add_f64 v[27:28], v[43:44], v[27:28]
	s_delay_alu instid0(VALU_DEP_1) | instskip(NEXT) | instid1(VALU_DEP_3)
	v_mul_f64 v[27:28], v[31:32], v[27:28]
	v_mul_f64 v[31:32], v[29:30], s[28:29]
	s_delay_alu instid0(VALU_DEP_1) | instskip(NEXT) | instid1(VALU_DEP_1)
	v_fma_f64 v[33:34], v[29:30], s[28:29], -v[31:32]
	v_fma_f64 v[29:30], v[29:30], s[30:31], v[33:34]
	s_delay_alu instid0(VALU_DEP_4) | instskip(NEXT) | instid1(VALU_DEP_1)
	v_add_f64 v[33:34], v[35:36], v[27:28]
	v_add_f64 v[35:36], v[33:34], -v[35:36]
	s_delay_alu instid0(VALU_DEP_1) | instskip(SKIP_1) | instid1(VALU_DEP_2)
	v_add_f64 v[27:28], v[27:28], -v[35:36]
	v_mul_f64 v[35:36], v[33:34], v[33:34]
	v_ldexp_f64 v[27:28], v[27:28], 1
	s_delay_alu instid0(VALU_DEP_2) | instskip(NEXT) | instid1(VALU_DEP_1)
	v_fma_f64 v[43:44], v[35:36], s[18:19], s[16:17]
	v_fma_f64 v[43:44], v[35:36], v[43:44], s[20:21]
	s_delay_alu instid0(VALU_DEP_1) | instskip(NEXT) | instid1(VALU_DEP_1)
	v_fma_f64 v[43:44], v[35:36], v[43:44], s[22:23]
	v_fma_f64 v[43:44], v[35:36], v[43:44], s[24:25]
	s_delay_alu instid0(VALU_DEP_1) | instskip(NEXT) | instid1(VALU_DEP_1)
	v_fma_f64 v[43:44], v[35:36], v[43:44], s[26:27]
	v_fma_f64 v[43:44], v[35:36], v[43:44], s[14:15]
	v_mul_f64 v[35:36], v[33:34], v[35:36]
	v_ldexp_f64 v[33:34], v[33:34], 1
	s_delay_alu instid0(VALU_DEP_2) | instskip(NEXT) | instid1(VALU_DEP_1)
	v_mul_f64 v[35:36], v[35:36], v[43:44]
	v_add_f64 v[43:44], v[33:34], v[35:36]
	s_delay_alu instid0(VALU_DEP_1) | instskip(NEXT) | instid1(VALU_DEP_1)
	v_add_f64 v[33:34], v[43:44], -v[33:34]
	v_add_f64 v[33:34], v[35:36], -v[33:34]
	s_delay_alu instid0(VALU_DEP_1) | instskip(SKIP_1) | instid1(VALU_DEP_1)
	v_add_f64 v[27:28], v[27:28], v[33:34]
	v_add_f64 v[33:34], v[31:32], v[29:30]
	v_add_f64 v[31:32], v[33:34], -v[31:32]
	s_delay_alu instid0(VALU_DEP_1) | instskip(NEXT) | instid1(VALU_DEP_4)
	v_add_f64 v[29:30], v[29:30], -v[31:32]
	v_add_f64 v[31:32], v[43:44], v[27:28]
	s_delay_alu instid0(VALU_DEP_1) | instskip(SKIP_1) | instid1(VALU_DEP_2)
	v_add_f64 v[35:36], v[31:32], -v[43:44]
	v_add_f64 v[43:44], v[33:34], v[31:32]
	v_add_f64 v[27:28], v[27:28], -v[35:36]
	s_delay_alu instid0(VALU_DEP_2) | instskip(NEXT) | instid1(VALU_DEP_1)
	v_add_f64 v[45:46], v[43:44], -v[33:34]
	v_add_f64 v[31:32], v[31:32], -v[45:46]
	;; [unrolled: 1-line block ×3, first 2 shown]
	s_delay_alu instid0(VALU_DEP_1) | instskip(NEXT) | instid1(VALU_DEP_1)
	v_add_f64 v[33:34], v[33:34], -v[45:46]
	v_add_f64 v[31:32], v[31:32], v[33:34]
	v_add_f64 v[33:34], v[29:30], v[27:28]
	s_delay_alu instid0(VALU_DEP_1) | instskip(NEXT) | instid1(VALU_DEP_3)
	v_add_f64 v[35:36], v[33:34], -v[29:30]
	v_add_f64 v[31:32], v[33:34], v[31:32]
	s_delay_alu instid0(VALU_DEP_2) | instskip(SKIP_1) | instid1(VALU_DEP_1)
	v_add_f64 v[27:28], v[27:28], -v[35:36]
	v_add_f64 v[35:36], v[33:34], -v[35:36]
	;; [unrolled: 1-line block ×3, first 2 shown]
	s_delay_alu instid0(VALU_DEP_1) | instskip(SKIP_1) | instid1(VALU_DEP_1)
	v_add_f64 v[27:28], v[27:28], v[29:30]
	v_add_f64 v[29:30], v[43:44], v[31:32]
	v_add_f64 v[33:34], v[29:30], -v[43:44]
	s_delay_alu instid0(VALU_DEP_1) | instskip(NEXT) | instid1(VALU_DEP_1)
	v_add_f64 v[31:32], v[31:32], -v[33:34]
	v_add_f64 v[27:28], v[27:28], v[31:32]
	s_delay_alu instid0(VALU_DEP_1) | instskip(NEXT) | instid1(VALU_DEP_1)
	v_add_f64 v[23:24], v[29:30], v[27:28]
	v_dual_cndmask_b32 v2, v24, v26 :: v_dual_cndmask_b32 v15, v23, v25
	s_delay_alu instid0(VALU_DEP_1) | instskip(NEXT) | instid1(VALU_DEP_2)
	v_cndmask_b32_e64 v2, 0x7ff80000, v2, s6
	v_cndmask_b32_e64 v23, 0, v15, s7
	s_delay_alu instid0(VALU_DEP_2) | instskip(NEXT) | instid1(VALU_DEP_1)
	v_cndmask_b32_e64 v24, 0xfff00000, v2, s8
	v_add_f64 v[21:22], v[21:22], v[23:24]
.LBB12_56:                              ;   in Loop: Header=BB12_4 Depth=1
	s_or_b32 exec_lo, exec_lo, s77
.LBB12_57:                              ;   in Loop: Header=BB12_4 Depth=1
	s_and_not1_saveexec_b32 s76, s76
	s_cbranch_execz .LBB12_71
; %bb.58:                               ;   in Loop: Header=BB12_4 Depth=1
	s_mov_b32 s8, exec_lo
                                        ; implicit-def: $sgpr6_sgpr7
                                        ; implicit-def: $vgpr2
                                        ; implicit-def: $vgpr23_vgpr24
	v_cmpx_lt_u32_e32 0x3feccccc, v20
	s_xor_b32 s8, exec_lo, s8
	s_cbranch_execz .LBB12_60
; %bb.59:                               ;   in Loop: Header=BB12_4 Depth=1
	s_mov_b32 s6, 0x6356be3f
	s_mov_b32 s7, 0xbff762d8
	v_add_f64 v[21:22], -|v[9:10]|, 2.0
	v_add_f64 v[23:24], |v[9:10]|, s[6:7]
	v_add_f64 v[25:26], |v[9:10]|, -1.0
	v_cmp_gt_u32_e32 vcc_lo, 0x3ffbb4c3, v20
	v_cmp_gt_u32_e64 s6, 0x3ff3b4c4, v20
	v_cndmask_b32_e64 v19, 0, 1, vcc_lo
	v_dual_cndmask_b32 v2, v22, v24 :: v_dual_cndmask_b32 v15, v21, v23
	s_delay_alu instid0(VALU_DEP_1) | instskip(NEXT) | instid1(VALU_DEP_2)
	v_cndmask_b32_e64 v24, v2, v26, s6
	v_cndmask_b32_e64 v23, v15, v25, s6
	s_delay_alu instid0(VALU_DEP_4)
	v_cndmask_b32_e64 v2, v19, 2, s6
	s_mov_b64 s[6:7], 0
.LBB12_60:                              ;   in Loop: Header=BB12_4 Depth=1
	s_or_saveexec_b32 s77, s8
	v_dual_mov_b32 v22, s7 :: v_dual_mov_b32 v21, s6
	s_xor_b32 exec_lo, exec_lo, s77
	s_cbranch_execz .LBB12_62
; %bb.61:                               ;   in Loop: Header=BB12_4 Depth=1
	v_frexp_mant_f64_e64 v[21:22], |v[9:10]|
	s_mov_b32 s15, s71
	s_mov_b32 s6, 0x8d5af8fc
	;; [unrolled: 1-line block ×3, first 2 shown]
	v_cmp_gt_u32_e64 s8, 0x3fcda661, v20
	s_delay_alu instid0(VALU_DEP_2) | instskip(SKIP_1) | instid1(VALU_DEP_1)
	v_cmp_gt_f64_e32 vcc_lo, s[70:71], v[21:22]
	v_cndmask_b32_e64 v2, 0x3ff00000, 2.0, vcc_lo
	v_mul_f64 v[21:22], v[21:22], v[1:2]
	v_frexp_exp_i32_f64_e32 v2, v[9:10]
	s_delay_alu instid0(VALU_DEP_2) | instskip(NEXT) | instid1(VALU_DEP_2)
	v_add_f64 v[23:24], v[21:22], 1.0
	v_subrev_co_ci_u32_e32 v2, vcc_lo, 0, v2, vcc_lo
	v_cmp_class_f64_e64 vcc_lo, v[9:10], 0x204
	s_delay_alu instid0(VALU_DEP_3) | instskip(SKIP_2) | instid1(VALU_DEP_1)
	v_rcp_f64_e32 v[25:26], v[23:24]
	s_waitcnt_depctr 0xfff
	v_fma_f64 v[27:28], -v[23:24], v[25:26], 1.0
	v_fma_f64 v[25:26], v[27:28], v[25:26], v[25:26]
	s_delay_alu instid0(VALU_DEP_1) | instskip(NEXT) | instid1(VALU_DEP_1)
	v_fma_f64 v[27:28], -v[23:24], v[25:26], 1.0
	v_fma_f64 v[25:26], v[27:28], v[25:26], v[25:26]
	v_add_f64 v[27:28], v[23:24], -1.0
	s_delay_alu instid0(VALU_DEP_1) | instskip(SKIP_1) | instid1(VALU_DEP_1)
	v_add_f64 v[27:28], v[21:22], -v[27:28]
	v_add_f64 v[21:22], v[21:22], -1.0
	v_mul_f64 v[29:30], v[21:22], v[25:26]
	s_delay_alu instid0(VALU_DEP_1) | instskip(NEXT) | instid1(VALU_DEP_1)
	v_mul_f64 v[31:32], v[23:24], v[29:30]
	v_fma_f64 v[23:24], v[29:30], v[23:24], -v[31:32]
	s_delay_alu instid0(VALU_DEP_1) | instskip(NEXT) | instid1(VALU_DEP_1)
	v_fma_f64 v[23:24], v[29:30], v[27:28], v[23:24]
	v_add_f64 v[27:28], v[31:32], v[23:24]
	s_delay_alu instid0(VALU_DEP_1) | instskip(NEXT) | instid1(VALU_DEP_1)
	v_add_f64 v[31:32], v[27:28], -v[31:32]
	v_add_f64 v[23:24], v[31:32], -v[23:24]
	;; [unrolled: 1-line block ×3, first 2 shown]
	s_delay_alu instid0(VALU_DEP_1) | instskip(NEXT) | instid1(VALU_DEP_1)
	v_add_f64 v[21:22], v[21:22], -v[31:32]
	v_add_f64 v[21:22], v[21:22], -v[27:28]
	s_delay_alu instid0(VALU_DEP_1) | instskip(SKIP_1) | instid1(VALU_DEP_2)
	v_add_f64 v[21:22], v[23:24], v[21:22]
	v_cvt_f64_i32_e32 v[23:24], v2
	v_add_f64 v[21:22], v[31:32], v[21:22]
	s_delay_alu instid0(VALU_DEP_1) | instskip(NEXT) | instid1(VALU_DEP_3)
	v_mul_f64 v[21:22], v[25:26], v[21:22]
	v_mul_f64 v[25:26], v[23:24], s[28:29]
	s_delay_alu instid0(VALU_DEP_1) | instskip(NEXT) | instid1(VALU_DEP_1)
	v_fma_f64 v[27:28], v[23:24], s[28:29], -v[25:26]
	v_fma_f64 v[23:24], v[23:24], s[30:31], v[27:28]
	s_delay_alu instid0(VALU_DEP_4) | instskip(NEXT) | instid1(VALU_DEP_1)
	v_add_f64 v[27:28], v[29:30], v[21:22]
	v_add_f64 v[29:30], v[27:28], -v[29:30]
	s_delay_alu instid0(VALU_DEP_1) | instskip(SKIP_1) | instid1(VALU_DEP_2)
	v_add_f64 v[21:22], v[21:22], -v[29:30]
	v_mul_f64 v[29:30], v[27:28], v[27:28]
	v_ldexp_f64 v[21:22], v[21:22], 1
	s_delay_alu instid0(VALU_DEP_2) | instskip(NEXT) | instid1(VALU_DEP_1)
	v_fma_f64 v[31:32], v[29:30], s[18:19], s[16:17]
	v_fma_f64 v[31:32], v[29:30], v[31:32], s[20:21]
	s_delay_alu instid0(VALU_DEP_1) | instskip(NEXT) | instid1(VALU_DEP_1)
	v_fma_f64 v[31:32], v[29:30], v[31:32], s[22:23]
	v_fma_f64 v[31:32], v[29:30], v[31:32], s[24:25]
	s_delay_alu instid0(VALU_DEP_1) | instskip(NEXT) | instid1(VALU_DEP_1)
	v_fma_f64 v[31:32], v[29:30], v[31:32], s[26:27]
	v_fma_f64 v[31:32], v[29:30], v[31:32], s[14:15]
	v_mul_f64 v[29:30], v[27:28], v[29:30]
	v_ldexp_f64 v[27:28], v[27:28], 1
	s_delay_alu instid0(VALU_DEP_2) | instskip(NEXT) | instid1(VALU_DEP_1)
	v_mul_f64 v[29:30], v[29:30], v[31:32]
	v_add_f64 v[31:32], v[27:28], v[29:30]
	s_delay_alu instid0(VALU_DEP_1) | instskip(NEXT) | instid1(VALU_DEP_1)
	v_add_f64 v[27:28], v[31:32], -v[27:28]
	v_add_f64 v[27:28], v[29:30], -v[27:28]
	s_delay_alu instid0(VALU_DEP_1) | instskip(SKIP_1) | instid1(VALU_DEP_1)
	v_add_f64 v[21:22], v[21:22], v[27:28]
	v_add_f64 v[27:28], v[25:26], v[23:24]
	v_add_f64 v[25:26], v[27:28], -v[25:26]
	s_delay_alu instid0(VALU_DEP_1) | instskip(NEXT) | instid1(VALU_DEP_4)
	v_add_f64 v[23:24], v[23:24], -v[25:26]
	v_add_f64 v[25:26], v[31:32], v[21:22]
	s_delay_alu instid0(VALU_DEP_1) | instskip(SKIP_1) | instid1(VALU_DEP_2)
	v_add_f64 v[29:30], v[25:26], -v[31:32]
	v_add_f64 v[31:32], v[27:28], v[25:26]
	v_add_f64 v[21:22], v[21:22], -v[29:30]
	s_delay_alu instid0(VALU_DEP_2) | instskip(NEXT) | instid1(VALU_DEP_1)
	v_add_f64 v[33:34], v[31:32], -v[27:28]
	v_add_f64 v[25:26], v[25:26], -v[33:34]
	;; [unrolled: 1-line block ×3, first 2 shown]
	s_delay_alu instid0(VALU_DEP_1) | instskip(NEXT) | instid1(VALU_DEP_1)
	v_add_f64 v[27:28], v[27:28], -v[33:34]
	v_add_f64 v[25:26], v[25:26], v[27:28]
	v_add_f64 v[27:28], v[23:24], v[21:22]
	s_delay_alu instid0(VALU_DEP_1) | instskip(NEXT) | instid1(VALU_DEP_3)
	v_add_f64 v[29:30], v[27:28], -v[23:24]
	v_add_f64 v[25:26], v[27:28], v[25:26]
	s_delay_alu instid0(VALU_DEP_2) | instskip(SKIP_1) | instid1(VALU_DEP_1)
	v_add_f64 v[21:22], v[21:22], -v[29:30]
	v_add_f64 v[29:30], v[27:28], -v[29:30]
	;; [unrolled: 1-line block ×3, first 2 shown]
	s_delay_alu instid0(VALU_DEP_1) | instskip(SKIP_1) | instid1(VALU_DEP_1)
	v_add_f64 v[21:22], v[21:22], v[23:24]
	v_add_f64 v[23:24], v[31:32], v[25:26]
	v_add_f64 v[27:28], v[23:24], -v[31:32]
	s_delay_alu instid0(VALU_DEP_1) | instskip(NEXT) | instid1(VALU_DEP_1)
	v_add_f64 v[25:26], v[25:26], -v[27:28]
	v_add_f64 v[21:22], v[21:22], v[25:26]
	v_add_f64 v[25:26], -|v[9:10]|, 1.0
	s_delay_alu instid0(VALU_DEP_2) | instskip(SKIP_3) | instid1(VALU_DEP_4)
	v_add_f64 v[21:22], v[23:24], v[21:22]
	v_add_f64 v[23:24], |v[9:10]|, s[6:7]
	v_cmp_neq_f64_e64 s6, 0, v[9:10]
	v_cmp_gt_u32_e64 s7, 0x3fe76944, v20
	v_cndmask_b32_e64 v19, -v22, -v20, vcc_lo
	s_delay_alu instid0(VALU_DEP_2)
	v_cndmask_b32_e64 v2, v26, v24, s7
	v_cndmask_b32_e64 v15, v25, v23, s7
	v_cndmask_b32_e32 v21, v21, v9, vcc_lo
	v_cndmask_b32_e64 v25, 0, 1, s7
	v_cndmask_b32_e64 v22, 0x7ff00000, v19, s6
	;; [unrolled: 1-line block ×6, first 2 shown]
.LBB12_62:                              ;   in Loop: Header=BB12_4 Depth=1
	s_or_b32 exec_lo, exec_lo, s77
	s_delay_alu instid0(SALU_CYCLE_1) | instskip(NEXT) | instid1(VALU_DEP_1)
	s_mov_b32 s6, exec_lo
                                        ; implicit-def: $vgpr27_vgpr28
	v_cmpx_lt_i32_e32 1, v2
	s_xor_b32 s6, exec_lo, s6
	s_cbranch_execz .LBB12_64
; %bb.63:                               ;   in Loop: Header=BB12_4 Depth=1
	s_mov_b32 s82, 0xf6010924
	s_mov_b32 s84, 0xbf2bab09
	;; [unrolled: 1-line block ×4, first 2 shown]
	v_fma_f64 v[27:28], v[23:24], s[90:91], s[88:89]
	v_fma_f64 v[25:26], v[23:24], s[84:85], s[82:83]
	s_mov_b32 s82, 0x44ea8450
	s_mov_b32 s83, 0x3fef4976
	;; [unrolled: 1-line block ×3, first 2 shown]
                                        ; implicit-def: $vgpr2
	s_delay_alu instid0(VALU_DEP_2) | instskip(NEXT) | instid1(VALU_DEP_2)
	v_fma_f64 v[27:28], v[23:24], v[27:28], s[92:93]
	v_fma_f64 v[25:26], v[23:24], v[25:26], s[82:83]
	s_mov_b32 s82, 0xd119bd6f
	s_mov_b32 s83, 0x3ff7475c
	s_delay_alu instid0(VALU_DEP_2) | instskip(NEXT) | instid1(VALU_DEP_2)
	v_fma_f64 v[27:28], v[23:24], v[27:28], s[94:95]
	v_fma_f64 v[25:26], v[23:24], v[25:26], s[82:83]
	s_delay_alu instid0(VALU_DEP_2) | instskip(NEXT) | instid1(VALU_DEP_2)
	v_fma_f64 v[27:28], v[23:24], v[27:28], s[96:97]
	v_fma_f64 v[25:26], v[23:24], v[25:26], s[86:87]
	s_delay_alu instid0(VALU_DEP_2) | instskip(NEXT) | instid1(VALU_DEP_2)
	v_fma_f64 v[27:28], v[23:24], v[27:28], 1.0
	v_fma_f64 v[25:26], v[23:24], v[25:26], s[8:9]
	s_delay_alu instid0(VALU_DEP_1) | instskip(NEXT) | instid1(VALU_DEP_1)
	v_mul_f64 v[25:26], v[23:24], v[25:26]
	v_div_scale_f64 v[29:30], null, v[27:28], v[27:28], v[25:26]
	s_delay_alu instid0(VALU_DEP_1) | instskip(SKIP_2) | instid1(VALU_DEP_1)
	v_rcp_f64_e32 v[31:32], v[29:30]
	s_waitcnt_depctr 0xfff
	v_fma_f64 v[33:34], -v[29:30], v[31:32], 1.0
	v_fma_f64 v[31:32], v[31:32], v[33:34], v[31:32]
	s_delay_alu instid0(VALU_DEP_1) | instskip(NEXT) | instid1(VALU_DEP_1)
	v_fma_f64 v[33:34], -v[29:30], v[31:32], 1.0
	v_fma_f64 v[31:32], v[31:32], v[33:34], v[31:32]
	v_div_scale_f64 v[33:34], vcc_lo, v[25:26], v[27:28], v[25:26]
	s_delay_alu instid0(VALU_DEP_1) | instskip(NEXT) | instid1(VALU_DEP_1)
	v_mul_f64 v[35:36], v[33:34], v[31:32]
	v_fma_f64 v[29:30], -v[29:30], v[35:36], v[33:34]
	s_delay_alu instid0(VALU_DEP_1) | instskip(NEXT) | instid1(VALU_DEP_1)
	v_div_fmas_f64 v[29:30], v[29:30], v[31:32], v[35:36]
	v_div_fixup_f64 v[25:26], v[29:30], v[27:28], v[25:26]
	s_delay_alu instid0(VALU_DEP_1)
	v_fma_f64 v[27:28], v[23:24], -0.5, v[25:26]
                                        ; implicit-def: $vgpr23_vgpr24
.LBB12_64:                              ;   in Loop: Header=BB12_4 Depth=1
	s_and_not1_saveexec_b32 s6, s6
	s_cbranch_execz .LBB12_70
; %bb.65:                               ;   in Loop: Header=BB12_4 Depth=1
	v_mul_f64 v[25:26], v[23:24], v[23:24]
	s_mov_b32 s7, exec_lo
                                        ; implicit-def: $vgpr27_vgpr28
	v_cmpx_ne_u32_e32 1, v2
	s_xor_b32 s7, exec_lo, s7
	s_cbranch_execz .LBB12_67
; %bb.66:                               ;   in Loop: Header=BB12_4 Depth=1
	s_mov_b32 s82, 0x987dfb07
	s_mov_b32 s84, 0x90a45837
	;; [unrolled: 1-line block ×4, first 2 shown]
	s_delay_alu instid0(VALU_DEP_2) | instid1(SALU_CYCLE_1)
	v_fma_f64 v[27:28], v[25:26], s[84:85], s[82:83]
	s_mov_b32 s82, 0xed10e54d
	s_mov_b32 s84, 0x428cfa52
	;; [unrolled: 1-line block ×4, first 2 shown]
	s_delay_alu instid0(SALU_CYCLE_1)
	v_fma_f64 v[29:30], v[25:26], s[84:85], s[82:83]
	s_mov_b32 s82, 0x89b99c00
	s_mov_b32 s83, 0x3f40b6c6
	s_delay_alu instid0(VALU_DEP_2) | instid1(SALU_CYCLE_1)
	v_fma_f64 v[27:28], v[25:26], v[27:28], s[82:83]
	s_mov_b32 s82, 0x116f3f5d
	s_mov_b32 s83, 0x3f538a94
	s_delay_alu instid0(VALU_DEP_2) | instid1(SALU_CYCLE_1)
	;; [unrolled: 4-line block ×7, first 2 shown]
	v_fma_f64 v[27:28], v[25:26], v[27:28], s[82:83]
	s_delay_alu instid0(VALU_DEP_2) | instskip(NEXT) | instid1(VALU_DEP_2)
	v_fma_f64 v[29:30], v[25:26], v[29:30], s[60:61]
	v_mul_f64 v[25:26], v[25:26], v[27:28]
	s_delay_alu instid0(VALU_DEP_1) | instskip(NEXT) | instid1(VALU_DEP_1)
	v_fma_f64 v[25:26], v[23:24], v[29:30], v[25:26]
	v_fma_f64 v[27:28], v[23:24], -0.5, v[25:26]
                                        ; implicit-def: $vgpr23_vgpr24
                                        ; implicit-def: $vgpr25_vgpr26
.LBB12_67:                              ;   in Loop: Header=BB12_4 Depth=1
	s_and_not1_saveexec_b32 s7, s7
	s_cbranch_execz .LBB12_69
; %bb.68:                               ;   in Loop: Header=BB12_4 Depth=1
	s_delay_alu instid0(VALU_DEP_2)
	v_mul_f64 v[27:28], v[23:24], v[25:26]
	s_mov_b32 s82, 0xef61a8e9
	s_mov_b32 s84, 0xecc38c38
	;; [unrolled: 1-line block ×4, first 2 shown]
	s_delay_alu instid0(VALU_DEP_1) | instid1(SALU_CYCLE_1)
	v_fma_f64 v[29:30], v[27:28], s[84:85], s[82:83]
	s_mov_b32 s82, 0x9c73e0ec
	s_mov_b32 s84, 0xe8c2d3f4
	;; [unrolled: 1-line block ×4, first 2 shown]
	s_delay_alu instid0(SALU_CYCLE_1) | instskip(SKIP_4) | instid1(VALU_DEP_2)
	v_fma_f64 v[31:32], v[27:28], s[84:85], s[82:83]
	s_mov_b32 s82, 0xb3e914d7
	s_mov_b32 s83, 0xbf6e2eff
	;; [unrolled: 1-line block ×4, first 2 shown]
	v_fma_f64 v[29:30], v[27:28], v[29:30], s[82:83]
	s_mov_b32 s82, 0x2e15c915
	s_mov_b32 s83, 0x3f6282d3
	s_delay_alu instid0(VALU_DEP_2) | instid1(SALU_CYCLE_1)
	v_fma_f64 v[31:32], v[27:28], v[31:32], s[82:83]
	s_mov_b32 s82, 0xbf2d1af1
	s_mov_b32 s83, 0xbf56fe8e
	s_delay_alu instid0(SALU_CYCLE_1)
	v_fma_f64 v[33:34], v[27:28], s[84:85], s[82:83]
	s_mov_b32 s82, 0x970af9ec
	s_mov_b32 s83, 0x3f9266e7
	s_delay_alu instid0(VALU_DEP_3) | instid1(SALU_CYCLE_1)
	v_fma_f64 v[29:30], v[27:28], v[29:30], s[82:83]
	s_mov_b32 s82, 0xba91ec6a
	s_mov_b32 s83, 0xbf851f9f
	s_delay_alu instid0(VALU_DEP_3) | instid1(SALU_CYCLE_1)
	;; [unrolled: 4-line block ×6, first 2 shown]
	v_fma_f64 v[33:34], v[27:28], v[33:34], s[82:83]
	s_mov_b32 s82, 0xc8ee38a2
	s_mov_b32 s83, 0x3fdef72b
	s_delay_alu instid0(VALU_DEP_2) | instskip(NEXT) | instid1(VALU_DEP_2)
	v_fma_f64 v[23:24], v[23:24], v[31:32], v[29:30]
	v_fma_f64 v[29:30], v[27:28], v[33:34], s[82:83]
	s_mov_b32 s82, 0xa48a971f
	s_mov_b32 s83, 0xbc50c7ca
	s_delay_alu instid0(VALU_DEP_2) | instid1(SALU_CYCLE_1)
	v_fma_f64 v[23:24], v[27:28], -v[23:24], s[82:83]
	s_mov_b32 s82, 0xbcc38a42
	s_mov_b32 s83, 0xbfbf19b9
	s_delay_alu instid0(VALU_DEP_1) | instskip(NEXT) | instid1(VALU_DEP_1)
	v_fma_f64 v[23:24], v[25:26], v[29:30], -v[23:24]
	v_add_f64 v[27:28], v[23:24], s[82:83]
.LBB12_69:                              ;   in Loop: Header=BB12_4 Depth=1
	s_or_b32 exec_lo, exec_lo, s7
.LBB12_70:                              ;   in Loop: Header=BB12_4 Depth=1
	s_delay_alu instid0(SALU_CYCLE_1) | instskip(NEXT) | instid1(VALU_DEP_1)
	s_or_b32 exec_lo, exec_lo, s6
	v_add_f64 v[21:22], v[21:22], v[27:28]
.LBB12_71:                              ;   in Loop: Header=BB12_4 Depth=1
	s_or_b32 exec_lo, exec_lo, s76
.LBB12_72:                              ;   in Loop: Header=BB12_4 Depth=1
	s_and_not1_saveexec_b32 s7, s75
	s_cbranch_execz .LBB12_74
; %bb.73:                               ;   in Loop: Header=BB12_4 Depth=1
	v_frexp_mant_f64_e64 v[21:22], |v[9:10]|
	s_mov_b32 s15, s71
	v_cmp_neq_f64_e64 s6, 0, v[9:10]
	s_delay_alu instid0(VALU_DEP_2) | instskip(SKIP_1) | instid1(VALU_DEP_1)
	v_cmp_gt_f64_e32 vcc_lo, s[70:71], v[21:22]
	v_cndmask_b32_e64 v2, 0x3ff00000, 2.0, vcc_lo
	v_mul_f64 v[21:22], v[21:22], v[1:2]
	v_frexp_exp_i32_f64_e32 v2, v[9:10]
	s_delay_alu instid0(VALU_DEP_2) | instskip(NEXT) | instid1(VALU_DEP_2)
	v_add_f64 v[23:24], v[21:22], 1.0
	v_subrev_co_ci_u32_e32 v2, vcc_lo, 0, v2, vcc_lo
	v_cmp_class_f64_e64 vcc_lo, v[9:10], 0x204
	s_delay_alu instid0(VALU_DEP_3) | instskip(SKIP_2) | instid1(VALU_DEP_1)
	v_rcp_f64_e32 v[25:26], v[23:24]
	s_waitcnt_depctr 0xfff
	v_fma_f64 v[27:28], -v[23:24], v[25:26], 1.0
	v_fma_f64 v[25:26], v[27:28], v[25:26], v[25:26]
	s_delay_alu instid0(VALU_DEP_1) | instskip(NEXT) | instid1(VALU_DEP_1)
	v_fma_f64 v[27:28], -v[23:24], v[25:26], 1.0
	v_fma_f64 v[25:26], v[27:28], v[25:26], v[25:26]
	v_add_f64 v[27:28], v[23:24], -1.0
	s_delay_alu instid0(VALU_DEP_1) | instskip(SKIP_1) | instid1(VALU_DEP_1)
	v_add_f64 v[27:28], v[21:22], -v[27:28]
	v_add_f64 v[21:22], v[21:22], -1.0
	v_mul_f64 v[29:30], v[21:22], v[25:26]
	s_delay_alu instid0(VALU_DEP_1) | instskip(NEXT) | instid1(VALU_DEP_1)
	v_mul_f64 v[31:32], v[23:24], v[29:30]
	v_fma_f64 v[23:24], v[29:30], v[23:24], -v[31:32]
	s_delay_alu instid0(VALU_DEP_1) | instskip(NEXT) | instid1(VALU_DEP_1)
	v_fma_f64 v[23:24], v[29:30], v[27:28], v[23:24]
	v_add_f64 v[27:28], v[31:32], v[23:24]
	s_delay_alu instid0(VALU_DEP_1) | instskip(NEXT) | instid1(VALU_DEP_1)
	v_add_f64 v[31:32], v[27:28], -v[31:32]
	v_add_f64 v[23:24], v[31:32], -v[23:24]
	;; [unrolled: 1-line block ×3, first 2 shown]
	s_delay_alu instid0(VALU_DEP_1) | instskip(NEXT) | instid1(VALU_DEP_1)
	v_add_f64 v[21:22], v[21:22], -v[31:32]
	v_add_f64 v[21:22], v[21:22], -v[27:28]
	s_delay_alu instid0(VALU_DEP_1) | instskip(SKIP_1) | instid1(VALU_DEP_2)
	v_add_f64 v[21:22], v[23:24], v[21:22]
	v_cvt_f64_i32_e32 v[23:24], v2
	v_add_f64 v[21:22], v[31:32], v[21:22]
	s_delay_alu instid0(VALU_DEP_1) | instskip(NEXT) | instid1(VALU_DEP_3)
	v_mul_f64 v[21:22], v[25:26], v[21:22]
	v_mul_f64 v[25:26], v[23:24], s[28:29]
	s_delay_alu instid0(VALU_DEP_1) | instskip(NEXT) | instid1(VALU_DEP_1)
	v_fma_f64 v[27:28], v[23:24], s[28:29], -v[25:26]
	v_fma_f64 v[23:24], v[23:24], s[30:31], v[27:28]
	s_delay_alu instid0(VALU_DEP_4) | instskip(NEXT) | instid1(VALU_DEP_1)
	v_add_f64 v[27:28], v[29:30], v[21:22]
	v_add_f64 v[29:30], v[27:28], -v[29:30]
	s_delay_alu instid0(VALU_DEP_1) | instskip(SKIP_1) | instid1(VALU_DEP_2)
	v_add_f64 v[21:22], v[21:22], -v[29:30]
	v_mul_f64 v[29:30], v[27:28], v[27:28]
	v_ldexp_f64 v[21:22], v[21:22], 1
	s_delay_alu instid0(VALU_DEP_2) | instskip(NEXT) | instid1(VALU_DEP_1)
	v_fma_f64 v[31:32], v[29:30], s[18:19], s[16:17]
	v_fma_f64 v[31:32], v[29:30], v[31:32], s[20:21]
	s_delay_alu instid0(VALU_DEP_1) | instskip(NEXT) | instid1(VALU_DEP_1)
	v_fma_f64 v[31:32], v[29:30], v[31:32], s[22:23]
	v_fma_f64 v[31:32], v[29:30], v[31:32], s[24:25]
	s_delay_alu instid0(VALU_DEP_1) | instskip(NEXT) | instid1(VALU_DEP_1)
	v_fma_f64 v[31:32], v[29:30], v[31:32], s[26:27]
	v_fma_f64 v[31:32], v[29:30], v[31:32], s[14:15]
	v_mul_f64 v[29:30], v[27:28], v[29:30]
	v_ldexp_f64 v[27:28], v[27:28], 1
	s_delay_alu instid0(VALU_DEP_2) | instskip(NEXT) | instid1(VALU_DEP_1)
	v_mul_f64 v[29:30], v[29:30], v[31:32]
	v_add_f64 v[31:32], v[27:28], v[29:30]
	s_delay_alu instid0(VALU_DEP_1) | instskip(NEXT) | instid1(VALU_DEP_1)
	v_add_f64 v[27:28], v[31:32], -v[27:28]
	v_add_f64 v[27:28], v[29:30], -v[27:28]
	s_delay_alu instid0(VALU_DEP_1) | instskip(SKIP_1) | instid1(VALU_DEP_1)
	v_add_f64 v[21:22], v[21:22], v[27:28]
	v_add_f64 v[27:28], v[25:26], v[23:24]
	v_add_f64 v[25:26], v[27:28], -v[25:26]
	s_delay_alu instid0(VALU_DEP_1) | instskip(NEXT) | instid1(VALU_DEP_4)
	v_add_f64 v[23:24], v[23:24], -v[25:26]
	v_add_f64 v[25:26], v[31:32], v[21:22]
	s_delay_alu instid0(VALU_DEP_1) | instskip(SKIP_1) | instid1(VALU_DEP_2)
	v_add_f64 v[29:30], v[25:26], -v[31:32]
	v_add_f64 v[31:32], v[27:28], v[25:26]
	v_add_f64 v[21:22], v[21:22], -v[29:30]
	s_delay_alu instid0(VALU_DEP_2) | instskip(NEXT) | instid1(VALU_DEP_1)
	v_add_f64 v[33:34], v[31:32], -v[27:28]
	v_add_f64 v[25:26], v[25:26], -v[33:34]
	;; [unrolled: 1-line block ×3, first 2 shown]
	s_delay_alu instid0(VALU_DEP_1) | instskip(NEXT) | instid1(VALU_DEP_1)
	v_add_f64 v[27:28], v[27:28], -v[33:34]
	v_add_f64 v[25:26], v[25:26], v[27:28]
	v_add_f64 v[27:28], v[23:24], v[21:22]
	s_delay_alu instid0(VALU_DEP_1) | instskip(NEXT) | instid1(VALU_DEP_3)
	v_add_f64 v[29:30], v[27:28], -v[23:24]
	v_add_f64 v[25:26], v[27:28], v[25:26]
	s_delay_alu instid0(VALU_DEP_2) | instskip(SKIP_1) | instid1(VALU_DEP_1)
	v_add_f64 v[21:22], v[21:22], -v[29:30]
	v_add_f64 v[29:30], v[27:28], -v[29:30]
	;; [unrolled: 1-line block ×3, first 2 shown]
	s_delay_alu instid0(VALU_DEP_1) | instskip(SKIP_1) | instid1(VALU_DEP_1)
	v_add_f64 v[21:22], v[21:22], v[23:24]
	v_add_f64 v[23:24], v[31:32], v[25:26]
	v_add_f64 v[27:28], v[23:24], -v[31:32]
	s_delay_alu instid0(VALU_DEP_1) | instskip(NEXT) | instid1(VALU_DEP_1)
	v_add_f64 v[25:26], v[25:26], -v[27:28]
	v_add_f64 v[21:22], v[21:22], v[25:26]
	v_fma_f64 v[25:26], |v[9:10]|, s[46:47], s[44:45]
	s_delay_alu instid0(VALU_DEP_2) | instskip(NEXT) | instid1(VALU_DEP_2)
	v_add_f64 v[21:22], v[23:24], v[21:22]
	v_fma_f64 v[25:26], |v[9:10]|, v[25:26], s[98:99]
	s_delay_alu instid0(VALU_DEP_2) | instskip(NEXT) | instid1(VALU_DEP_2)
	v_cndmask_b32_e64 v2, -v22, -v20, vcc_lo
	v_fma_f64 v[25:26], |v[9:10]|, v[25:26], s[100:101]
	s_delay_alu instid0(VALU_DEP_4) | instskip(NEXT) | instid1(VALU_DEP_3)
	v_cndmask_b32_e32 v15, v21, v9, vcc_lo
	v_cndmask_b32_e64 v22, 0x7ff00000, v2, s6
	s_delay_alu instid0(VALU_DEP_2) | instskip(NEXT) | instid1(VALU_DEP_4)
	v_cndmask_b32_e64 v21, 0, v15, s6
	v_fma_f64 v[23:24], |v[9:10]|, v[25:26], s[102:103]
	s_delay_alu instid0(VALU_DEP_1)
	v_fma_f64 v[21:22], |v[9:10]|, v[23:24], v[21:22]
.LBB12_74:                              ;   in Loop: Header=BB12_4 Depth=1
	s_or_b32 exec_lo, exec_lo, s7
	s_delay_alu instid0(SALU_CYCLE_1)
	s_mov_b32 s6, exec_lo
	v_cmpx_le_f64_e32 0, v[9:10]
	s_xor_b32 s7, exec_lo, s6
; %bb.75:                               ;   in Loop: Header=BB12_4 Depth=1
	v_cmp_eq_f64_e32 vcc_lo, 1.0, v[9:10]
	v_cmp_eq_f64_e64 s6, 2.0, v[9:10]
	s_delay_alu instid0(VALU_DEP_1)
	s_or_b32 s6, vcc_lo, s6
	s_delay_alu instid0(VALU_DEP_4) | instid1(SALU_CYCLE_1)
	v_cndmask_b32_e64 v22, v22, 0, s6
	v_cndmask_b32_e64 v21, v21, 0, s6
; %bb.76:                               ;   in Loop: Header=BB12_4 Depth=1
	s_and_not1_saveexec_b32 s7, s7
	s_cbranch_execz .LBB12_80
; %bb.77:                               ;   in Loop: Header=BB12_4 Depth=1
	v_add_nc_u32_e32 v2, 0xc32fffff, v20
	s_mov_b32 s8, exec_lo
	s_delay_alu instid0(VALU_DEP_1)
	v_cmpx_gt_u32_e32 0x65fffff, v2
	s_cbranch_execz .LBB12_79
; %bb.78:                               ;   in Loop: Header=BB12_4 Depth=1
	v_mul_f64 v[23:24], |v[9:10]|, 0.5
	v_cmp_gt_f64_e64 s6, |v[9:10]|, 1.0
	s_mov_b32 s15, s71
	s_delay_alu instid0(VALU_DEP_2) | instskip(SKIP_1) | instid1(VALU_DEP_2)
	v_fract_f64_e32 v[25:26], v[23:24]
	v_cmp_neq_f64_e64 vcc_lo, 0x7ff00000, |v[23:24]|
	v_add_f64 v[23:24], v[25:26], v[25:26]
	s_delay_alu instid0(VALU_DEP_1) | instskip(NEXT) | instid1(VALU_DEP_1)
	v_dual_cndmask_b32 v2, 0, v24 :: v_dual_cndmask_b32 v15, 0, v23
	v_cndmask_b32_e64 v24, v20, v2, s6
	s_delay_alu instid0(VALU_DEP_2) | instskip(NEXT) | instid1(VALU_DEP_1)
	v_cndmask_b32_e64 v23, v9, v15, s6
	v_add_f64 v[25:26], v[23:24], v[23:24]
	s_delay_alu instid0(VALU_DEP_1) | instskip(NEXT) | instid1(VALU_DEP_1)
	v_rndne_f64_e32 v[25:26], v[25:26]
	v_fma_f64 v[23:24], v[25:26], -0.5, v[23:24]
	v_cvt_i32_f64_e32 v2, v[25:26]
	s_delay_alu instid0(VALU_DEP_2) | instskip(NEXT) | instid1(VALU_DEP_2)
	v_mul_f64 v[27:28], v[23:24], v[23:24]
	v_and_b32_e32 v15, 1, v2
	v_lshlrev_b32_e32 v2, 30, v2
	s_delay_alu instid0(VALU_DEP_2) | instskip(NEXT) | instid1(VALU_DEP_2)
	v_cmp_eq_u32_e32 vcc_lo, 0, v15
	v_xor_b32_e32 v2, v2, v10
	s_delay_alu instid0(VALU_DEP_1) | instskip(SKIP_2) | instid1(VALU_DEP_2)
	v_and_b32_e32 v2, 0x80000000, v2
	v_fma_f64 v[29:30], v[27:28], s[36:37], s[34:35]
	v_mul_f64 v[31:32], v[23:24], v[27:28]
	v_fma_f64 v[29:30], v[27:28], v[29:30], s[38:39]
	s_delay_alu instid0(VALU_DEP_1) | instskip(NEXT) | instid1(VALU_DEP_1)
	v_fma_f64 v[29:30], v[27:28], v[29:30], s[40:41]
	v_fma_f64 v[29:30], v[27:28], v[29:30], s[42:43]
	s_delay_alu instid0(VALU_DEP_1) | instskip(NEXT) | instid1(VALU_DEP_1)
	v_fma_f64 v[29:30], v[27:28], v[29:30], s[48:49]
	v_mul_f64 v[29:30], v[31:32], v[29:30]
	s_delay_alu instid0(VALU_DEP_1) | instskip(SKIP_1) | instid1(VALU_DEP_1)
	v_fma_f64 v[23:24], v[23:24], s[50:51], v[29:30]
	v_fma_f64 v[29:30], v[27:28], s[54:55], s[52:53]
	;; [unrolled: 1-line block ×3, first 2 shown]
	s_delay_alu instid0(VALU_DEP_1) | instskip(NEXT) | instid1(VALU_DEP_1)
	v_fma_f64 v[29:30], v[27:28], v[29:30], s[58:59]
	v_fma_f64 v[29:30], v[27:28], v[29:30], s[62:63]
	s_delay_alu instid0(VALU_DEP_1) | instskip(NEXT) | instid1(VALU_DEP_1)
	v_fma_f64 v[29:30], v[27:28], v[29:30], s[64:65]
	v_fma_f64 v[29:30], v[27:28], v[29:30], s[66:67]
	s_delay_alu instid0(VALU_DEP_1) | instskip(NEXT) | instid1(VALU_DEP_1)
	v_fma_f64 v[27:28], v[27:28], v[29:30], 1.0
	v_cndmask_b32_e32 v15, v27, v23, vcc_lo
	s_delay_alu instid0(VALU_DEP_2) | instskip(SKIP_1) | instid1(VALU_DEP_2)
	v_cndmask_b32_e32 v19, v28, v24, vcc_lo
	v_cmp_class_f64_e64 vcc_lo, v[9:10], 0x1f8
	v_xor_b32_e32 v2, v19, v2
	s_delay_alu instid0(VALU_DEP_4) | instskip(NEXT) | instid1(VALU_DEP_2)
	v_cndmask_b32_e32 v23, 0, v15, vcc_lo
	v_cndmask_b32_e32 v24, 0x7ff80000, v2, vcc_lo
	s_delay_alu instid0(VALU_DEP_1) | instskip(NEXT) | instid1(VALU_DEP_1)
	v_mul_f64 v[23:24], v[9:10], v[23:24]
	v_dual_mov_b32 v25, v23 :: v_dual_and_b32 v26, 0x7fffffff, v24
	s_delay_alu instid0(VALU_DEP_1) | instskip(SKIP_1) | instid1(VALU_DEP_2)
	v_div_scale_f64 v[27:28], null, v[25:26], v[25:26], s[50:51]
	v_div_scale_f64 v[25:26], vcc_lo, s[50:51], v[25:26], s[50:51]
	v_rcp_f64_e32 v[29:30], v[27:28]
	s_waitcnt_depctr 0xfff
	v_fma_f64 v[31:32], -v[27:28], v[29:30], 1.0
	s_delay_alu instid0(VALU_DEP_1) | instskip(NEXT) | instid1(VALU_DEP_1)
	v_fma_f64 v[29:30], v[29:30], v[31:32], v[29:30]
	v_fma_f64 v[31:32], -v[27:28], v[29:30], 1.0
	s_delay_alu instid0(VALU_DEP_1) | instskip(NEXT) | instid1(VALU_DEP_1)
	v_fma_f64 v[29:30], v[29:30], v[31:32], v[29:30]
	v_mul_f64 v[31:32], v[25:26], v[29:30]
	s_delay_alu instid0(VALU_DEP_1) | instskip(NEXT) | instid1(VALU_DEP_1)
	v_fma_f64 v[25:26], -v[27:28], v[31:32], v[25:26]
	v_div_fmas_f64 v[25:26], v[25:26], v[29:30], v[31:32]
	s_delay_alu instid0(VALU_DEP_1) | instskip(NEXT) | instid1(VALU_DEP_1)
	v_div_fixup_f64 v[23:24], v[25:26], |v[23:24]|, s[50:51]
	v_frexp_mant_f64_e32 v[25:26], v[23:24]
	v_cmp_neq_f64_e64 s6, 0, v[23:24]
	s_delay_alu instid0(VALU_DEP_2) | instskip(SKIP_1) | instid1(VALU_DEP_1)
	v_cmp_gt_f64_e32 vcc_lo, s[70:71], v[25:26]
	v_cndmask_b32_e64 v2, 0x3ff00000, 2.0, vcc_lo
	v_mul_f64 v[25:26], v[25:26], v[1:2]
	v_frexp_exp_i32_f64_e32 v2, v[23:24]
	s_delay_alu instid0(VALU_DEP_2) | instskip(NEXT) | instid1(VALU_DEP_2)
	v_add_f64 v[27:28], v[25:26], 1.0
	v_subrev_co_ci_u32_e32 v2, vcc_lo, 0, v2, vcc_lo
	v_cmp_class_f64_e64 vcc_lo, v[23:24], 0x204
	s_delay_alu instid0(VALU_DEP_3) | instskip(SKIP_2) | instid1(VALU_DEP_1)
	v_rcp_f64_e32 v[29:30], v[27:28]
	s_waitcnt_depctr 0xfff
	v_fma_f64 v[31:32], -v[27:28], v[29:30], 1.0
	v_fma_f64 v[29:30], v[31:32], v[29:30], v[29:30]
	s_delay_alu instid0(VALU_DEP_1) | instskip(NEXT) | instid1(VALU_DEP_1)
	v_fma_f64 v[31:32], -v[27:28], v[29:30], 1.0
	v_fma_f64 v[29:30], v[31:32], v[29:30], v[29:30]
	v_add_f64 v[31:32], v[27:28], -1.0
	s_delay_alu instid0(VALU_DEP_1) | instskip(SKIP_1) | instid1(VALU_DEP_1)
	v_add_f64 v[31:32], v[25:26], -v[31:32]
	v_add_f64 v[25:26], v[25:26], -1.0
	v_mul_f64 v[33:34], v[25:26], v[29:30]
	s_delay_alu instid0(VALU_DEP_1) | instskip(NEXT) | instid1(VALU_DEP_1)
	v_mul_f64 v[35:36], v[27:28], v[33:34]
	v_fma_f64 v[27:28], v[33:34], v[27:28], -v[35:36]
	s_delay_alu instid0(VALU_DEP_1) | instskip(NEXT) | instid1(VALU_DEP_1)
	v_fma_f64 v[27:28], v[33:34], v[31:32], v[27:28]
	v_add_f64 v[31:32], v[35:36], v[27:28]
	s_delay_alu instid0(VALU_DEP_1) | instskip(NEXT) | instid1(VALU_DEP_1)
	v_add_f64 v[35:36], v[31:32], -v[35:36]
	v_add_f64 v[27:28], v[35:36], -v[27:28]
	;; [unrolled: 1-line block ×3, first 2 shown]
	s_delay_alu instid0(VALU_DEP_1) | instskip(NEXT) | instid1(VALU_DEP_1)
	v_add_f64 v[25:26], v[25:26], -v[35:36]
	v_add_f64 v[25:26], v[25:26], -v[31:32]
	s_delay_alu instid0(VALU_DEP_1) | instskip(SKIP_1) | instid1(VALU_DEP_2)
	v_add_f64 v[25:26], v[27:28], v[25:26]
	v_cvt_f64_i32_e32 v[27:28], v2
	v_add_f64 v[25:26], v[35:36], v[25:26]
	s_delay_alu instid0(VALU_DEP_1) | instskip(NEXT) | instid1(VALU_DEP_3)
	v_mul_f64 v[25:26], v[29:30], v[25:26]
	v_mul_f64 v[29:30], v[27:28], s[28:29]
	s_delay_alu instid0(VALU_DEP_1) | instskip(NEXT) | instid1(VALU_DEP_1)
	v_fma_f64 v[31:32], v[27:28], s[28:29], -v[29:30]
	v_fma_f64 v[27:28], v[27:28], s[30:31], v[31:32]
	s_delay_alu instid0(VALU_DEP_4) | instskip(NEXT) | instid1(VALU_DEP_1)
	v_add_f64 v[31:32], v[33:34], v[25:26]
	v_add_f64 v[33:34], v[31:32], -v[33:34]
	s_delay_alu instid0(VALU_DEP_1) | instskip(SKIP_1) | instid1(VALU_DEP_2)
	v_add_f64 v[25:26], v[25:26], -v[33:34]
	v_mul_f64 v[33:34], v[31:32], v[31:32]
	v_ldexp_f64 v[25:26], v[25:26], 1
	s_delay_alu instid0(VALU_DEP_2) | instskip(NEXT) | instid1(VALU_DEP_1)
	v_fma_f64 v[35:36], v[33:34], s[18:19], s[16:17]
	v_fma_f64 v[35:36], v[33:34], v[35:36], s[20:21]
	s_delay_alu instid0(VALU_DEP_1) | instskip(NEXT) | instid1(VALU_DEP_1)
	v_fma_f64 v[35:36], v[33:34], v[35:36], s[22:23]
	v_fma_f64 v[35:36], v[33:34], v[35:36], s[24:25]
	s_delay_alu instid0(VALU_DEP_1) | instskip(NEXT) | instid1(VALU_DEP_1)
	v_fma_f64 v[35:36], v[33:34], v[35:36], s[26:27]
	v_fma_f64 v[35:36], v[33:34], v[35:36], s[14:15]
	v_mul_f64 v[33:34], v[31:32], v[33:34]
	v_ldexp_f64 v[31:32], v[31:32], 1
	s_delay_alu instid0(VALU_DEP_2) | instskip(NEXT) | instid1(VALU_DEP_1)
	v_mul_f64 v[33:34], v[33:34], v[35:36]
	v_add_f64 v[35:36], v[31:32], v[33:34]
	s_delay_alu instid0(VALU_DEP_1) | instskip(NEXT) | instid1(VALU_DEP_1)
	v_add_f64 v[31:32], v[35:36], -v[31:32]
	v_add_f64 v[31:32], v[33:34], -v[31:32]
	s_delay_alu instid0(VALU_DEP_1) | instskip(SKIP_1) | instid1(VALU_DEP_1)
	v_add_f64 v[25:26], v[25:26], v[31:32]
	v_add_f64 v[31:32], v[29:30], v[27:28]
	v_add_f64 v[29:30], v[31:32], -v[29:30]
	s_delay_alu instid0(VALU_DEP_1) | instskip(NEXT) | instid1(VALU_DEP_4)
	v_add_f64 v[27:28], v[27:28], -v[29:30]
	v_add_f64 v[29:30], v[35:36], v[25:26]
	s_delay_alu instid0(VALU_DEP_1) | instskip(SKIP_1) | instid1(VALU_DEP_2)
	v_add_f64 v[33:34], v[29:30], -v[35:36]
	v_add_f64 v[35:36], v[31:32], v[29:30]
	v_add_f64 v[25:26], v[25:26], -v[33:34]
	s_delay_alu instid0(VALU_DEP_2) | instskip(NEXT) | instid1(VALU_DEP_1)
	v_add_f64 v[43:44], v[35:36], -v[31:32]
	v_add_f64 v[29:30], v[29:30], -v[43:44]
	;; [unrolled: 1-line block ×3, first 2 shown]
	s_delay_alu instid0(VALU_DEP_1) | instskip(NEXT) | instid1(VALU_DEP_1)
	v_add_f64 v[31:32], v[31:32], -v[43:44]
	v_add_f64 v[29:30], v[29:30], v[31:32]
	v_add_f64 v[31:32], v[27:28], v[25:26]
	s_delay_alu instid0(VALU_DEP_1) | instskip(NEXT) | instid1(VALU_DEP_3)
	v_add_f64 v[33:34], v[31:32], -v[27:28]
	v_add_f64 v[29:30], v[31:32], v[29:30]
	s_delay_alu instid0(VALU_DEP_2) | instskip(SKIP_1) | instid1(VALU_DEP_1)
	v_add_f64 v[25:26], v[25:26], -v[33:34]
	v_add_f64 v[33:34], v[31:32], -v[33:34]
	;; [unrolled: 1-line block ×3, first 2 shown]
	s_delay_alu instid0(VALU_DEP_1) | instskip(SKIP_1) | instid1(VALU_DEP_1)
	v_add_f64 v[25:26], v[25:26], v[27:28]
	v_add_f64 v[27:28], v[35:36], v[29:30]
	v_add_f64 v[31:32], v[27:28], -v[35:36]
	s_delay_alu instid0(VALU_DEP_1) | instskip(NEXT) | instid1(VALU_DEP_1)
	v_add_f64 v[29:30], v[29:30], -v[31:32]
	v_add_f64 v[25:26], v[25:26], v[29:30]
	s_delay_alu instid0(VALU_DEP_1) | instskip(NEXT) | instid1(VALU_DEP_1)
	v_add_f64 v[25:26], v[27:28], v[25:26]
	v_dual_cndmask_b32 v2, v25, v23 :: v_dual_cndmask_b32 v15, v26, v24
	v_fract_f64_e32 v[23:24], v[9:10]
	s_delay_alu instid0(VALU_DEP_2) | instskip(NEXT) | instid1(VALU_DEP_3)
	v_cndmask_b32_e64 v25, 0, v2, s6
	v_cndmask_b32_e64 v26, 0xfff00000, v15, s6
	v_cmp_class_f64_e64 s6, v[9:10], 0x204
	s_delay_alu instid0(VALU_DEP_2) | instskip(SKIP_1) | instid1(VALU_DEP_3)
	v_add_f64 v[21:22], v[25:26], -v[21:22]
	v_cmp_eq_f64_e32 vcc_lo, 0, v[23:24]
	s_or_b32 s6, s6, vcc_lo
	s_delay_alu instid0(VALU_DEP_2) | instid1(SALU_CYCLE_1)
	v_cndmask_b32_e64 v22, v22, 0x7ff00000, s6
	s_delay_alu instid0(VALU_DEP_3)
	v_cndmask_b32_e64 v21, v21, 0, s6
.LBB12_79:                              ;   in Loop: Header=BB12_4 Depth=1
	s_or_b32 exec_lo, exec_lo, s8
.LBB12_80:                              ;   in Loop: Header=BB12_4 Depth=1
	s_delay_alu instid0(SALU_CYCLE_1) | instskip(SKIP_2) | instid1(VALU_DEP_1)
	s_or_b32 exec_lo, exec_lo, s7
	v_dual_mov_b32 v23, v11 :: v_dual_and_b32 v24, 0x7fffffff, v12
                                        ; implicit-def: $vgpr25_vgpr26
	s_mov_b32 s6, exec_lo
	v_cmpx_lt_u32_e32 0x3f6fffff, v24
	s_xor_b32 s75, exec_lo, s6
	s_cbranch_execz .LBB12_106
; %bb.81:                               ;   in Loop: Header=BB12_4 Depth=1
                                        ; implicit-def: $vgpr25_vgpr26
	s_mov_b32 s6, exec_lo
	v_cmpx_lt_u32_e32 0x3fffffff, v24
	s_xor_b32 s76, exec_lo, s6
	s_cbranch_execz .LBB12_91
; %bb.82:                               ;   in Loop: Header=BB12_4 Depth=1
	;; [unrolled: 6-line block ×4, first 2 shown]
	v_frexp_mant_f64_e64 v[25:26], |v[11:12]|
	s_mov_b32 s15, s71
	v_cmp_neq_f64_e64 s6, 0, v[11:12]
	s_delay_alu instid0(VALU_DEP_2) | instskip(SKIP_1) | instid1(VALU_DEP_1)
	v_cmp_gt_f64_e32 vcc_lo, s[70:71], v[25:26]
	v_cndmask_b32_e64 v2, 0x3ff00000, 2.0, vcc_lo
	v_mul_f64 v[25:26], v[25:26], v[1:2]
	v_frexp_exp_i32_f64_e32 v2, v[11:12]
	s_delay_alu instid0(VALU_DEP_2) | instskip(NEXT) | instid1(VALU_DEP_2)
	v_add_f64 v[27:28], v[25:26], 1.0
	v_subrev_co_ci_u32_e32 v2, vcc_lo, 0, v2, vcc_lo
	v_cmp_class_f64_e64 vcc_lo, v[11:12], 0x204
	s_delay_alu instid0(VALU_DEP_3) | instskip(SKIP_2) | instid1(VALU_DEP_1)
	v_rcp_f64_e32 v[29:30], v[27:28]
	s_waitcnt_depctr 0xfff
	v_fma_f64 v[31:32], -v[27:28], v[29:30], 1.0
	v_fma_f64 v[29:30], v[31:32], v[29:30], v[29:30]
	s_delay_alu instid0(VALU_DEP_1) | instskip(NEXT) | instid1(VALU_DEP_1)
	v_fma_f64 v[31:32], -v[27:28], v[29:30], 1.0
	v_fma_f64 v[29:30], v[31:32], v[29:30], v[29:30]
	v_add_f64 v[31:32], v[27:28], -1.0
	s_delay_alu instid0(VALU_DEP_1) | instskip(SKIP_1) | instid1(VALU_DEP_1)
	v_add_f64 v[31:32], v[25:26], -v[31:32]
	v_add_f64 v[25:26], v[25:26], -1.0
	v_mul_f64 v[33:34], v[25:26], v[29:30]
	s_delay_alu instid0(VALU_DEP_1) | instskip(NEXT) | instid1(VALU_DEP_1)
	v_mul_f64 v[35:36], v[27:28], v[33:34]
	v_fma_f64 v[27:28], v[33:34], v[27:28], -v[35:36]
	s_delay_alu instid0(VALU_DEP_1) | instskip(NEXT) | instid1(VALU_DEP_1)
	v_fma_f64 v[27:28], v[33:34], v[31:32], v[27:28]
	v_add_f64 v[31:32], v[35:36], v[27:28]
	s_delay_alu instid0(VALU_DEP_1) | instskip(NEXT) | instid1(VALU_DEP_1)
	v_add_f64 v[35:36], v[31:32], -v[35:36]
	v_add_f64 v[27:28], v[35:36], -v[27:28]
	;; [unrolled: 1-line block ×3, first 2 shown]
	s_delay_alu instid0(VALU_DEP_1) | instskip(NEXT) | instid1(VALU_DEP_1)
	v_add_f64 v[25:26], v[25:26], -v[35:36]
	v_add_f64 v[25:26], v[25:26], -v[31:32]
	s_delay_alu instid0(VALU_DEP_1) | instskip(SKIP_1) | instid1(VALU_DEP_2)
	v_add_f64 v[25:26], v[27:28], v[25:26]
	v_cvt_f64_i32_e32 v[27:28], v2
	v_add_f64 v[25:26], v[35:36], v[25:26]
	s_delay_alu instid0(VALU_DEP_1) | instskip(NEXT) | instid1(VALU_DEP_3)
	v_mul_f64 v[25:26], v[29:30], v[25:26]
	v_mul_f64 v[29:30], v[27:28], s[28:29]
	s_delay_alu instid0(VALU_DEP_1) | instskip(NEXT) | instid1(VALU_DEP_1)
	v_fma_f64 v[31:32], v[27:28], s[28:29], -v[29:30]
	v_fma_f64 v[27:28], v[27:28], s[30:31], v[31:32]
	s_delay_alu instid0(VALU_DEP_4) | instskip(NEXT) | instid1(VALU_DEP_1)
	v_add_f64 v[31:32], v[33:34], v[25:26]
	v_add_f64 v[33:34], v[31:32], -v[33:34]
	s_delay_alu instid0(VALU_DEP_1) | instskip(SKIP_1) | instid1(VALU_DEP_2)
	v_add_f64 v[25:26], v[25:26], -v[33:34]
	v_mul_f64 v[33:34], v[31:32], v[31:32]
	v_ldexp_f64 v[25:26], v[25:26], 1
	s_delay_alu instid0(VALU_DEP_2) | instskip(NEXT) | instid1(VALU_DEP_1)
	v_fma_f64 v[35:36], v[33:34], s[18:19], s[16:17]
	v_fma_f64 v[35:36], v[33:34], v[35:36], s[20:21]
	s_delay_alu instid0(VALU_DEP_1) | instskip(NEXT) | instid1(VALU_DEP_1)
	v_fma_f64 v[35:36], v[33:34], v[35:36], s[22:23]
	v_fma_f64 v[35:36], v[33:34], v[35:36], s[24:25]
	s_delay_alu instid0(VALU_DEP_1) | instskip(NEXT) | instid1(VALU_DEP_1)
	v_fma_f64 v[35:36], v[33:34], v[35:36], s[26:27]
	v_fma_f64 v[35:36], v[33:34], v[35:36], s[14:15]
	v_mul_f64 v[33:34], v[31:32], v[33:34]
	v_ldexp_f64 v[31:32], v[31:32], 1
	s_delay_alu instid0(VALU_DEP_2) | instskip(NEXT) | instid1(VALU_DEP_1)
	v_mul_f64 v[33:34], v[33:34], v[35:36]
	v_add_f64 v[35:36], v[31:32], v[33:34]
	s_delay_alu instid0(VALU_DEP_1) | instskip(NEXT) | instid1(VALU_DEP_1)
	v_add_f64 v[31:32], v[35:36], -v[31:32]
	v_add_f64 v[31:32], v[33:34], -v[31:32]
	s_delay_alu instid0(VALU_DEP_1) | instskip(SKIP_1) | instid1(VALU_DEP_1)
	v_add_f64 v[25:26], v[25:26], v[31:32]
	v_add_f64 v[31:32], v[29:30], v[27:28]
	v_add_f64 v[29:30], v[31:32], -v[29:30]
	s_delay_alu instid0(VALU_DEP_1) | instskip(NEXT) | instid1(VALU_DEP_4)
	v_add_f64 v[27:28], v[27:28], -v[29:30]
	v_add_f64 v[29:30], v[35:36], v[25:26]
	s_delay_alu instid0(VALU_DEP_1) | instskip(SKIP_1) | instid1(VALU_DEP_2)
	v_add_f64 v[33:34], v[29:30], -v[35:36]
	v_add_f64 v[35:36], v[31:32], v[29:30]
	v_add_f64 v[25:26], v[25:26], -v[33:34]
	s_delay_alu instid0(VALU_DEP_2) | instskip(NEXT) | instid1(VALU_DEP_1)
	v_add_f64 v[43:44], v[35:36], -v[31:32]
	v_add_f64 v[29:30], v[29:30], -v[43:44]
	v_add_f64 v[43:44], v[35:36], -v[43:44]
	s_delay_alu instid0(VALU_DEP_1) | instskip(NEXT) | instid1(VALU_DEP_1)
	v_add_f64 v[31:32], v[31:32], -v[43:44]
	v_add_f64 v[29:30], v[29:30], v[31:32]
	v_add_f64 v[31:32], v[27:28], v[25:26]
	s_delay_alu instid0(VALU_DEP_1) | instskip(NEXT) | instid1(VALU_DEP_3)
	v_add_f64 v[33:34], v[31:32], -v[27:28]
	v_add_f64 v[29:30], v[31:32], v[29:30]
	s_delay_alu instid0(VALU_DEP_2) | instskip(SKIP_1) | instid1(VALU_DEP_1)
	v_add_f64 v[25:26], v[25:26], -v[33:34]
	v_add_f64 v[33:34], v[31:32], -v[33:34]
	;; [unrolled: 1-line block ×3, first 2 shown]
	s_delay_alu instid0(VALU_DEP_1) | instskip(SKIP_1) | instid1(VALU_DEP_1)
	v_add_f64 v[25:26], v[25:26], v[27:28]
	v_add_f64 v[27:28], v[35:36], v[29:30]
	v_add_f64 v[31:32], v[27:28], -v[35:36]
	s_delay_alu instid0(VALU_DEP_1) | instskip(NEXT) | instid1(VALU_DEP_1)
	v_add_f64 v[29:30], v[29:30], -v[31:32]
	v_add_f64 v[25:26], v[25:26], v[29:30]
	s_delay_alu instid0(VALU_DEP_1) | instskip(NEXT) | instid1(VALU_DEP_1)
	v_add_f64 v[25:26], v[27:28], v[25:26]
	v_dual_cndmask_b32 v2, v26, v24 :: v_dual_cndmask_b32 v15, v25, v11
	s_delay_alu instid0(VALU_DEP_1) | instskip(NEXT) | instid1(VALU_DEP_2)
	v_cndmask_b32_e64 v26, 0xfff00000, v2, s6
	v_cndmask_b32_e64 v25, 0, v15, s6
	s_delay_alu instid0(VALU_DEP_1)
	v_fma_f64 v[25:26], |v[11:12]|, v[25:26], -|v[11:12]|
.LBB12_85:                              ;   in Loop: Header=BB12_4 Depth=1
	s_and_not1_saveexec_b32 s6, s8
	s_cbranch_execz .LBB12_87
; %bb.86:                               ;   in Loop: Header=BB12_4 Depth=1
	v_mov_b32_e32 v23, v11
	s_mov_b32 s15, s71
	s_mov_b32 s78, 0x4cdad5d1
	s_mov_b32 s80, 0xb9e43e4
	s_mov_b32 s79, 0x3f4b67ba
	v_div_scale_f64 v[25:26], null, v[23:24], v[23:24], 1.0
	s_mov_b32 s81, 0xbf5ab89d
	s_delay_alu instid0(VALU_DEP_1) | instskip(SKIP_2) | instid1(VALU_DEP_1)
	v_rcp_f64_e32 v[27:28], v[25:26]
	s_waitcnt_depctr 0xfff
	v_fma_f64 v[29:30], -v[25:26], v[27:28], 1.0
	v_fma_f64 v[27:28], v[27:28], v[29:30], v[27:28]
	s_delay_alu instid0(VALU_DEP_1) | instskip(NEXT) | instid1(VALU_DEP_1)
	v_fma_f64 v[29:30], -v[25:26], v[27:28], 1.0
	v_fma_f64 v[27:28], v[27:28], v[29:30], v[27:28]
	v_div_scale_f64 v[29:30], vcc_lo, 1.0, v[23:24], 1.0
	s_delay_alu instid0(VALU_DEP_1) | instskip(NEXT) | instid1(VALU_DEP_1)
	v_mul_f64 v[31:32], v[29:30], v[27:28]
	v_fma_f64 v[25:26], -v[25:26], v[31:32], v[29:30]
	s_delay_alu instid0(VALU_DEP_1) | instskip(SKIP_1) | instid1(VALU_DEP_2)
	v_div_fmas_f64 v[25:26], v[25:26], v[27:28], v[31:32]
	v_frexp_mant_f64_e64 v[27:28], |v[11:12]|
	v_div_fixup_f64 v[25:26], v[25:26], |v[11:12]|, 1.0
	s_delay_alu instid0(VALU_DEP_2) | instskip(SKIP_1) | instid1(VALU_DEP_1)
	v_cmp_gt_f64_e32 vcc_lo, s[70:71], v[27:28]
	v_cndmask_b32_e64 v2, 0x3ff00000, 2.0, vcc_lo
	v_mul_f64 v[27:28], v[27:28], v[1:2]
	v_frexp_exp_i32_f64_e32 v2, v[11:12]
	s_delay_alu instid0(VALU_DEP_2) | instskip(NEXT) | instid1(VALU_DEP_2)
	v_add_f64 v[29:30], v[27:28], 1.0
	v_subrev_co_ci_u32_e32 v2, vcc_lo, 0, v2, vcc_lo
	v_cmp_class_f64_e64 vcc_lo, v[11:12], 0x204
	s_delay_alu instid0(VALU_DEP_3) | instskip(SKIP_2) | instid1(VALU_DEP_1)
	v_rcp_f64_e32 v[31:32], v[29:30]
	s_waitcnt_depctr 0xfff
	v_fma_f64 v[33:34], -v[29:30], v[31:32], 1.0
	v_fma_f64 v[31:32], v[33:34], v[31:32], v[31:32]
	s_delay_alu instid0(VALU_DEP_1) | instskip(NEXT) | instid1(VALU_DEP_1)
	v_fma_f64 v[33:34], -v[29:30], v[31:32], 1.0
	v_fma_f64 v[31:32], v[33:34], v[31:32], v[31:32]
	v_add_f64 v[33:34], v[29:30], -1.0
	s_delay_alu instid0(VALU_DEP_1) | instskip(SKIP_1) | instid1(VALU_DEP_1)
	v_add_f64 v[33:34], v[27:28], -v[33:34]
	v_add_f64 v[27:28], v[27:28], -1.0
	v_mul_f64 v[35:36], v[27:28], v[31:32]
	s_delay_alu instid0(VALU_DEP_1) | instskip(NEXT) | instid1(VALU_DEP_1)
	v_mul_f64 v[43:44], v[29:30], v[35:36]
	v_fma_f64 v[29:30], v[35:36], v[29:30], -v[43:44]
	s_delay_alu instid0(VALU_DEP_1) | instskip(NEXT) | instid1(VALU_DEP_1)
	v_fma_f64 v[29:30], v[35:36], v[33:34], v[29:30]
	v_add_f64 v[33:34], v[43:44], v[29:30]
	s_delay_alu instid0(VALU_DEP_1) | instskip(NEXT) | instid1(VALU_DEP_1)
	v_add_f64 v[43:44], v[33:34], -v[43:44]
	v_add_f64 v[29:30], v[43:44], -v[29:30]
	;; [unrolled: 1-line block ×3, first 2 shown]
	s_delay_alu instid0(VALU_DEP_1) | instskip(NEXT) | instid1(VALU_DEP_1)
	v_add_f64 v[27:28], v[27:28], -v[43:44]
	v_add_f64 v[27:28], v[27:28], -v[33:34]
	s_delay_alu instid0(VALU_DEP_1) | instskip(SKIP_1) | instid1(VALU_DEP_2)
	v_add_f64 v[27:28], v[29:30], v[27:28]
	v_cvt_f64_i32_e32 v[29:30], v2
	v_add_f64 v[27:28], v[43:44], v[27:28]
	s_delay_alu instid0(VALU_DEP_1) | instskip(NEXT) | instid1(VALU_DEP_3)
	v_mul_f64 v[27:28], v[31:32], v[27:28]
	v_mul_f64 v[31:32], v[29:30], s[28:29]
	s_delay_alu instid0(VALU_DEP_1) | instskip(NEXT) | instid1(VALU_DEP_1)
	v_fma_f64 v[33:34], v[29:30], s[28:29], -v[31:32]
	v_fma_f64 v[29:30], v[29:30], s[30:31], v[33:34]
	s_delay_alu instid0(VALU_DEP_4) | instskip(NEXT) | instid1(VALU_DEP_1)
	v_add_f64 v[33:34], v[35:36], v[27:28]
	v_add_f64 v[35:36], v[33:34], -v[35:36]
	s_delay_alu instid0(VALU_DEP_1) | instskip(SKIP_1) | instid1(VALU_DEP_2)
	v_add_f64 v[27:28], v[27:28], -v[35:36]
	v_mul_f64 v[35:36], v[33:34], v[33:34]
	v_ldexp_f64 v[27:28], v[27:28], 1
	s_delay_alu instid0(VALU_DEP_2) | instskip(NEXT) | instid1(VALU_DEP_1)
	v_fma_f64 v[43:44], v[35:36], s[18:19], s[16:17]
	v_fma_f64 v[43:44], v[35:36], v[43:44], s[20:21]
	s_delay_alu instid0(VALU_DEP_1) | instskip(NEXT) | instid1(VALU_DEP_1)
	v_fma_f64 v[43:44], v[35:36], v[43:44], s[22:23]
	v_fma_f64 v[43:44], v[35:36], v[43:44], s[24:25]
	s_delay_alu instid0(VALU_DEP_1) | instskip(NEXT) | instid1(VALU_DEP_1)
	v_fma_f64 v[43:44], v[35:36], v[43:44], s[26:27]
	v_fma_f64 v[43:44], v[35:36], v[43:44], s[14:15]
	v_mul_f64 v[35:36], v[33:34], v[35:36]
	v_ldexp_f64 v[33:34], v[33:34], 1
	s_delay_alu instid0(VALU_DEP_2) | instskip(NEXT) | instid1(VALU_DEP_1)
	v_mul_f64 v[35:36], v[35:36], v[43:44]
	v_add_f64 v[43:44], v[33:34], v[35:36]
	s_delay_alu instid0(VALU_DEP_1) | instskip(NEXT) | instid1(VALU_DEP_1)
	v_add_f64 v[33:34], v[43:44], -v[33:34]
	v_add_f64 v[33:34], v[35:36], -v[33:34]
	s_delay_alu instid0(VALU_DEP_1) | instskip(SKIP_1) | instid1(VALU_DEP_1)
	v_add_f64 v[27:28], v[27:28], v[33:34]
	v_add_f64 v[33:34], v[31:32], v[29:30]
	v_add_f64 v[31:32], v[33:34], -v[31:32]
	s_delay_alu instid0(VALU_DEP_1) | instskip(NEXT) | instid1(VALU_DEP_4)
	v_add_f64 v[29:30], v[29:30], -v[31:32]
	v_add_f64 v[31:32], v[43:44], v[27:28]
	s_delay_alu instid0(VALU_DEP_1) | instskip(SKIP_1) | instid1(VALU_DEP_2)
	v_add_f64 v[35:36], v[31:32], -v[43:44]
	v_add_f64 v[43:44], v[33:34], v[31:32]
	v_add_f64 v[27:28], v[27:28], -v[35:36]
	s_delay_alu instid0(VALU_DEP_2) | instskip(NEXT) | instid1(VALU_DEP_1)
	v_add_f64 v[45:46], v[43:44], -v[33:34]
	v_add_f64 v[31:32], v[31:32], -v[45:46]
	;; [unrolled: 1-line block ×3, first 2 shown]
	s_delay_alu instid0(VALU_DEP_1) | instskip(NEXT) | instid1(VALU_DEP_1)
	v_add_f64 v[33:34], v[33:34], -v[45:46]
	v_add_f64 v[31:32], v[31:32], v[33:34]
	v_add_f64 v[33:34], v[29:30], v[27:28]
	s_delay_alu instid0(VALU_DEP_1) | instskip(NEXT) | instid1(VALU_DEP_3)
	v_add_f64 v[35:36], v[33:34], -v[29:30]
	v_add_f64 v[31:32], v[33:34], v[31:32]
	s_delay_alu instid0(VALU_DEP_2) | instskip(SKIP_1) | instid1(VALU_DEP_1)
	v_add_f64 v[27:28], v[27:28], -v[35:36]
	v_add_f64 v[35:36], v[33:34], -v[35:36]
	;; [unrolled: 1-line block ×3, first 2 shown]
	s_delay_alu instid0(VALU_DEP_1) | instskip(SKIP_1) | instid1(VALU_DEP_1)
	v_add_f64 v[27:28], v[27:28], v[29:30]
	v_add_f64 v[29:30], v[43:44], v[31:32]
	v_add_f64 v[33:34], v[29:30], -v[43:44]
	s_delay_alu instid0(VALU_DEP_1) | instskip(NEXT) | instid1(VALU_DEP_1)
	v_add_f64 v[31:32], v[31:32], -v[33:34]
	v_add_f64 v[27:28], v[27:28], v[31:32]
	s_delay_alu instid0(VALU_DEP_1) | instskip(SKIP_1) | instid1(VALU_DEP_2)
	v_add_f64 v[27:28], v[29:30], v[27:28]
	v_mul_f64 v[29:30], v[25:26], v[25:26]
	v_cndmask_b32_e32 v28, v28, v24, vcc_lo
	s_delay_alu instid0(VALU_DEP_2) | instskip(SKIP_2) | instid1(VALU_DEP_4)
	v_fma_f64 v[31:32], v[29:30], s[80:81], s[78:79]
	s_mov_b32 s78, 0x8c0fe741
	s_mov_b32 s79, 0xbf4380cb
	v_cndmask_b32_e32 v27, v27, v23, vcc_lo
	v_cmp_neq_f64_e32 vcc_lo, 0, v[11:12]
	s_mov_b32 s80, 0xdd17e945
	s_mov_b32 s81, 0x3f00bfec
	s_delay_alu instid0(VALU_DEP_2) | instskip(NEXT) | instid1(VALU_DEP_4)
	v_add_f64 v[27:28], v[27:28], -1.0
	v_fma_f64 v[31:32], v[29:30], v[31:32], s[78:79]
	s_mov_b32 s78, 0x98cf38b6
	s_mov_b32 s79, 0x3f4a019f
	s_delay_alu instid0(VALU_DEP_2) | instskip(NEXT) | instid1(VALU_DEP_3)
	v_cndmask_b32_e32 v28, 0xfff00000, v28, vcc_lo
	v_cndmask_b32_e32 v27, 0, v27, vcc_lo
	s_delay_alu instid0(VALU_DEP_3)
	v_fma_f64 v[31:32], v[29:30], v[31:32], s[78:79]
	s_mov_b32 s78, 0x16b02e5c
	s_mov_b32 s79, 0xbf66c16c
	s_delay_alu instid0(VALU_DEP_1) | instid1(SALU_CYCLE_1)
	v_fma_f64 v[31:32], v[29:30], v[31:32], s[78:79]
	s_mov_b32 s78, 0x5555553b
	s_mov_b32 s79, 0x3fb55555
	s_delay_alu instid0(VALU_DEP_1) | instid1(SALU_CYCLE_1)
	;; [unrolled: 4-line block ×3, first 2 shown]
	v_fma_f64 v[25:26], v[25:26], v[29:30], s[78:79]
	v_add_f64 v[29:30], |v[11:12]|, -0.5
	s_mov_b32 s78, 0x7368f239
	s_mov_b32 s79, 0x3f5e26b6
	s_delay_alu instid0(VALU_DEP_1)
	v_fma_f64 v[25:26], v[29:30], v[27:28], v[25:26]
.LBB12_87:                              ;   in Loop: Header=BB12_4 Depth=1
	s_or_b32 exec_lo, exec_lo, s6
.LBB12_88:                              ;   in Loop: Header=BB12_4 Depth=1
	s_and_not1_saveexec_b32 s77, s7
	s_cbranch_execz .LBB12_90
; %bb.89:                               ;   in Loop: Header=BB12_4 Depth=1
	v_cvt_i32_f64_e32 v2, v[23:24]
	s_mov_b32 s6, 0xca41a95b
	s_mov_b32 s82, 0xa5b38140
	;; [unrolled: 1-line block ×6, first 2 shown]
	s_delay_alu instid0(VALU_DEP_1) | instskip(NEXT) | instid1(VALU_DEP_1)
	v_cvt_f64_i32_e32 v[25:26], v2
	v_add_f64 v[25:26], |v[11:12]|, -v[25:26]
	s_delay_alu instid0(VALU_DEP_1)
	v_fma_f64 v[27:28], v[25:26], s[80:81], s[78:79]
	v_fma_f64 v[29:30], v[25:26], s[82:83], s[6:7]
	s_mov_b32 s6, 0x7e939961
	s_mov_b32 s7, 0x3f9b481c
	s_delay_alu instid0(VALU_DEP_2) | instid1(SALU_CYCLE_1)
	v_fma_f64 v[27:28], v[25:26], v[27:28], s[6:7]
	s_mov_b32 s6, 0x742ed475
	s_mov_b32 s7, 0x3f9317ea
	s_delay_alu instid0(VALU_DEP_2) | instid1(SALU_CYCLE_1)
	;; [unrolled: 4-line block ×8, first 2 shown]
	v_fma_f64 v[29:30], v[25:26], v[29:30], s[6:7]
	s_delay_alu instid0(VALU_DEP_2) | instskip(NEXT) | instid1(VALU_DEP_2)
	v_fma_f64 v[27:28], v[25:26], v[27:28], s[8:9]
	v_fma_f64 v[29:30], v[25:26], v[29:30], 1.0
	s_delay_alu instid0(VALU_DEP_2) | instskip(NEXT) | instid1(VALU_DEP_1)
	v_mul_f64 v[27:28], v[25:26], v[27:28]
	v_div_scale_f64 v[31:32], null, v[29:30], v[29:30], v[27:28]
	s_delay_alu instid0(VALU_DEP_1) | instskip(SKIP_2) | instid1(VALU_DEP_1)
	v_rcp_f64_e32 v[33:34], v[31:32]
	s_waitcnt_depctr 0xfff
	v_fma_f64 v[35:36], -v[31:32], v[33:34], 1.0
	v_fma_f64 v[33:34], v[33:34], v[35:36], v[33:34]
	s_delay_alu instid0(VALU_DEP_1) | instskip(NEXT) | instid1(VALU_DEP_1)
	v_fma_f64 v[35:36], -v[31:32], v[33:34], 1.0
	v_fma_f64 v[33:34], v[33:34], v[35:36], v[33:34]
	v_div_scale_f64 v[35:36], vcc_lo, v[27:28], v[29:30], v[27:28]
	s_delay_alu instid0(VALU_DEP_1) | instskip(NEXT) | instid1(VALU_DEP_1)
	v_mul_f64 v[43:44], v[35:36], v[33:34]
	v_fma_f64 v[31:32], -v[31:32], v[43:44], v[35:36]
	s_delay_alu instid0(VALU_DEP_1) | instskip(SKIP_1) | instid1(VALU_DEP_2)
	v_div_fmas_f64 v[31:32], v[31:32], v[33:34], v[43:44]
	v_cmp_lt_i32_e32 vcc_lo, 2, v2
	v_div_fixup_f64 v[27:28], v[31:32], v[29:30], v[27:28]
	v_add_f64 v[29:30], v[25:26], 2.0
	v_add_f64 v[31:32], 0x40080000, v[25:26]
	s_delay_alu instid0(VALU_DEP_2) | instskip(NEXT) | instid1(VALU_DEP_3)
	v_cndmask_b32_e32 v30, 0x3ff00000, v30, vcc_lo
	v_cndmask_b32_e32 v29, 0, v29, vcc_lo
	v_cmp_lt_i32_e32 vcc_lo, 3, v2
	s_delay_alu instid0(VALU_DEP_4) | instskip(SKIP_2) | instid1(VALU_DEP_2)
	v_cndmask_b32_e32 v32, 0x3ff00000, v32, vcc_lo
	v_cndmask_b32_e32 v31, 0, v31, vcc_lo
	v_cmp_lt_i32_e32 vcc_lo, 4, v2
	v_mul_f64 v[29:30], v[29:30], v[31:32]
	v_add_f64 v[31:32], v[25:26], 4.0
	s_delay_alu instid0(VALU_DEP_1) | instskip(NEXT) | instid1(VALU_DEP_2)
	v_cndmask_b32_e32 v32, 0x3ff00000, v32, vcc_lo
	v_cndmask_b32_e32 v31, 0, v31, vcc_lo
	v_cmp_lt_i32_e32 vcc_lo, 5, v2
	s_delay_alu instid0(VALU_DEP_2) | instskip(SKIP_1) | instid1(VALU_DEP_1)
	v_mul_f64 v[29:30], v[31:32], v[29:30]
	v_add_f64 v[31:32], 0x40140000, v[25:26]
	v_cndmask_b32_e32 v32, 0x3ff00000, v32, vcc_lo
	s_delay_alu instid0(VALU_DEP_2) | instskip(SKIP_1) | instid1(VALU_DEP_2)
	v_cndmask_b32_e32 v31, 0, v31, vcc_lo
	v_cmp_lt_i32_e32 vcc_lo, 6, v2
	v_mul_f64 v[29:30], v[31:32], v[29:30]
	v_add_f64 v[31:32], 0x40180000, v[25:26]
	v_fma_f64 v[25:26], v[25:26], 0.5, v[27:28]
	s_delay_alu instid0(VALU_DEP_2) | instskip(NEXT) | instid1(VALU_DEP_3)
	v_cndmask_b32_e32 v32, 0x3ff00000, v32, vcc_lo
	v_cndmask_b32_e32 v31, 0, v31, vcc_lo
	s_delay_alu instid0(VALU_DEP_1) | instskip(NEXT) | instid1(VALU_DEP_1)
	v_mul_f64 v[29:30], v[31:32], v[29:30]
	v_frexp_mant_f64_e32 v[31:32], v[29:30]
	v_cmp_ngt_f64_e64 s6, 0, v[29:30]
	v_cmp_nge_f64_e64 s7, 0, v[29:30]
	v_cmp_neq_f64_e64 s8, 0, v[29:30]
	s_delay_alu instid0(VALU_DEP_4) | instskip(SKIP_1) | instid1(VALU_DEP_1)
	v_cmp_gt_f64_e32 vcc_lo, s[70:71], v[31:32]
	v_cndmask_b32_e64 v2, 0x3ff00000, 2.0, vcc_lo
	v_mul_f64 v[31:32], v[31:32], v[1:2]
	v_frexp_exp_i32_f64_e32 v2, v[29:30]
	s_delay_alu instid0(VALU_DEP_2) | instskip(NEXT) | instid1(VALU_DEP_2)
	v_add_f64 v[33:34], v[31:32], 1.0
	v_subrev_co_ci_u32_e32 v2, vcc_lo, 0, v2, vcc_lo
	v_cmp_class_f64_e64 vcc_lo, v[29:30], 0x204
	s_delay_alu instid0(VALU_DEP_3) | instskip(SKIP_2) | instid1(VALU_DEP_1)
	v_rcp_f64_e32 v[35:36], v[33:34]
	s_waitcnt_depctr 0xfff
	v_fma_f64 v[43:44], -v[33:34], v[35:36], 1.0
	v_fma_f64 v[35:36], v[43:44], v[35:36], v[35:36]
	s_delay_alu instid0(VALU_DEP_1) | instskip(NEXT) | instid1(VALU_DEP_1)
	v_fma_f64 v[43:44], -v[33:34], v[35:36], 1.0
	v_fma_f64 v[35:36], v[43:44], v[35:36], v[35:36]
	v_add_f64 v[43:44], v[33:34], -1.0
	s_delay_alu instid0(VALU_DEP_1) | instskip(SKIP_1) | instid1(VALU_DEP_1)
	v_add_f64 v[43:44], v[31:32], -v[43:44]
	v_add_f64 v[31:32], v[31:32], -1.0
	v_mul_f64 v[45:46], v[31:32], v[35:36]
	s_delay_alu instid0(VALU_DEP_1) | instskip(NEXT) | instid1(VALU_DEP_1)
	v_mul_f64 v[47:48], v[33:34], v[45:46]
	v_fma_f64 v[33:34], v[45:46], v[33:34], -v[47:48]
	s_delay_alu instid0(VALU_DEP_1) | instskip(NEXT) | instid1(VALU_DEP_1)
	v_fma_f64 v[33:34], v[45:46], v[43:44], v[33:34]
	v_add_f64 v[43:44], v[47:48], v[33:34]
	s_delay_alu instid0(VALU_DEP_1) | instskip(NEXT) | instid1(VALU_DEP_1)
	v_add_f64 v[47:48], v[43:44], -v[47:48]
	v_add_f64 v[33:34], v[47:48], -v[33:34]
	;; [unrolled: 1-line block ×3, first 2 shown]
	s_delay_alu instid0(VALU_DEP_1) | instskip(NEXT) | instid1(VALU_DEP_1)
	v_add_f64 v[31:32], v[31:32], -v[47:48]
	v_add_f64 v[31:32], v[31:32], -v[43:44]
	s_delay_alu instid0(VALU_DEP_1) | instskip(SKIP_1) | instid1(VALU_DEP_2)
	v_add_f64 v[31:32], v[33:34], v[31:32]
	v_cvt_f64_i32_e32 v[33:34], v2
	v_add_f64 v[31:32], v[47:48], v[31:32]
	s_delay_alu instid0(VALU_DEP_1) | instskip(NEXT) | instid1(VALU_DEP_3)
	v_mul_f64 v[31:32], v[35:36], v[31:32]
	v_mul_f64 v[35:36], v[33:34], s[28:29]
	s_delay_alu instid0(VALU_DEP_1) | instskip(NEXT) | instid1(VALU_DEP_1)
	v_fma_f64 v[43:44], v[33:34], s[28:29], -v[35:36]
	v_fma_f64 v[33:34], v[33:34], s[30:31], v[43:44]
	s_delay_alu instid0(VALU_DEP_4) | instskip(NEXT) | instid1(VALU_DEP_1)
	v_add_f64 v[43:44], v[45:46], v[31:32]
	v_add_f64 v[45:46], v[43:44], -v[45:46]
	s_delay_alu instid0(VALU_DEP_1) | instskip(SKIP_1) | instid1(VALU_DEP_2)
	v_add_f64 v[31:32], v[31:32], -v[45:46]
	v_mul_f64 v[45:46], v[43:44], v[43:44]
	v_ldexp_f64 v[31:32], v[31:32], 1
	s_delay_alu instid0(VALU_DEP_2) | instskip(NEXT) | instid1(VALU_DEP_1)
	v_fma_f64 v[47:48], v[45:46], s[18:19], s[16:17]
	v_fma_f64 v[47:48], v[45:46], v[47:48], s[20:21]
	s_delay_alu instid0(VALU_DEP_1) | instskip(NEXT) | instid1(VALU_DEP_1)
	v_fma_f64 v[47:48], v[45:46], v[47:48], s[22:23]
	v_fma_f64 v[47:48], v[45:46], v[47:48], s[24:25]
	s_delay_alu instid0(VALU_DEP_1) | instskip(NEXT) | instid1(VALU_DEP_1)
	v_fma_f64 v[47:48], v[45:46], v[47:48], s[26:27]
	v_fma_f64 v[47:48], v[45:46], v[47:48], s[14:15]
	v_mul_f64 v[45:46], v[43:44], v[45:46]
	v_ldexp_f64 v[43:44], v[43:44], 1
	s_delay_alu instid0(VALU_DEP_2) | instskip(NEXT) | instid1(VALU_DEP_1)
	v_mul_f64 v[45:46], v[45:46], v[47:48]
	v_add_f64 v[47:48], v[43:44], v[45:46]
	s_delay_alu instid0(VALU_DEP_1) | instskip(NEXT) | instid1(VALU_DEP_1)
	v_add_f64 v[43:44], v[47:48], -v[43:44]
	v_add_f64 v[43:44], v[45:46], -v[43:44]
	s_delay_alu instid0(VALU_DEP_1) | instskip(SKIP_1) | instid1(VALU_DEP_1)
	v_add_f64 v[31:32], v[31:32], v[43:44]
	v_add_f64 v[43:44], v[35:36], v[33:34]
	v_add_f64 v[35:36], v[43:44], -v[35:36]
	s_delay_alu instid0(VALU_DEP_1) | instskip(NEXT) | instid1(VALU_DEP_4)
	v_add_f64 v[33:34], v[33:34], -v[35:36]
	v_add_f64 v[35:36], v[47:48], v[31:32]
	s_delay_alu instid0(VALU_DEP_1) | instskip(SKIP_1) | instid1(VALU_DEP_2)
	v_add_f64 v[45:46], v[35:36], -v[47:48]
	v_add_f64 v[47:48], v[43:44], v[35:36]
	v_add_f64 v[31:32], v[31:32], -v[45:46]
	s_delay_alu instid0(VALU_DEP_2) | instskip(NEXT) | instid1(VALU_DEP_1)
	v_add_f64 v[49:50], v[47:48], -v[43:44]
	v_add_f64 v[35:36], v[35:36], -v[49:50]
	;; [unrolled: 1-line block ×3, first 2 shown]
	s_delay_alu instid0(VALU_DEP_1) | instskip(NEXT) | instid1(VALU_DEP_1)
	v_add_f64 v[43:44], v[43:44], -v[49:50]
	v_add_f64 v[35:36], v[35:36], v[43:44]
	v_add_f64 v[43:44], v[33:34], v[31:32]
	s_delay_alu instid0(VALU_DEP_1) | instskip(NEXT) | instid1(VALU_DEP_3)
	v_add_f64 v[45:46], v[43:44], -v[33:34]
	v_add_f64 v[35:36], v[43:44], v[35:36]
	s_delay_alu instid0(VALU_DEP_2) | instskip(SKIP_1) | instid1(VALU_DEP_1)
	v_add_f64 v[31:32], v[31:32], -v[45:46]
	v_add_f64 v[45:46], v[43:44], -v[45:46]
	;; [unrolled: 1-line block ×3, first 2 shown]
	s_delay_alu instid0(VALU_DEP_1) | instskip(SKIP_1) | instid1(VALU_DEP_1)
	v_add_f64 v[31:32], v[31:32], v[33:34]
	v_add_f64 v[33:34], v[47:48], v[35:36]
	v_add_f64 v[43:44], v[33:34], -v[47:48]
	s_delay_alu instid0(VALU_DEP_1) | instskip(NEXT) | instid1(VALU_DEP_1)
	v_add_f64 v[35:36], v[35:36], -v[43:44]
	v_add_f64 v[31:32], v[31:32], v[35:36]
	s_delay_alu instid0(VALU_DEP_1) | instskip(NEXT) | instid1(VALU_DEP_1)
	v_add_f64 v[27:28], v[33:34], v[31:32]
	v_dual_cndmask_b32 v2, v28, v30 :: v_dual_cndmask_b32 v15, v27, v29
	s_delay_alu instid0(VALU_DEP_1) | instskip(NEXT) | instid1(VALU_DEP_2)
	v_cndmask_b32_e64 v2, 0x7ff80000, v2, s6
	v_cndmask_b32_e64 v27, 0, v15, s7
	s_delay_alu instid0(VALU_DEP_2) | instskip(NEXT) | instid1(VALU_DEP_1)
	v_cndmask_b32_e64 v28, 0xfff00000, v2, s8
	v_add_f64 v[25:26], v[25:26], v[27:28]
.LBB12_90:                              ;   in Loop: Header=BB12_4 Depth=1
	s_or_b32 exec_lo, exec_lo, s77
.LBB12_91:                              ;   in Loop: Header=BB12_4 Depth=1
	s_and_not1_saveexec_b32 s76, s76
	s_cbranch_execz .LBB12_105
; %bb.92:                               ;   in Loop: Header=BB12_4 Depth=1
	s_mov_b32 s8, exec_lo
                                        ; implicit-def: $sgpr6_sgpr7
                                        ; implicit-def: $vgpr2
                                        ; implicit-def: $vgpr27_vgpr28
	v_cmpx_lt_u32_e32 0x3feccccc, v24
	s_xor_b32 s8, exec_lo, s8
	s_cbranch_execz .LBB12_94
; %bb.93:                               ;   in Loop: Header=BB12_4 Depth=1
	s_mov_b32 s6, 0x6356be3f
	s_mov_b32 s7, 0xbff762d8
	v_add_f64 v[25:26], -|v[11:12]|, 2.0
	v_add_f64 v[27:28], |v[11:12]|, s[6:7]
	v_add_f64 v[29:30], |v[11:12]|, -1.0
	v_cmp_gt_u32_e32 vcc_lo, 0x3ffbb4c3, v24
	v_cmp_gt_u32_e64 s6, 0x3ff3b4c4, v24
	v_cndmask_b32_e64 v19, 0, 1, vcc_lo
	v_dual_cndmask_b32 v2, v26, v28 :: v_dual_cndmask_b32 v15, v25, v27
	s_delay_alu instid0(VALU_DEP_1) | instskip(NEXT) | instid1(VALU_DEP_2)
	v_cndmask_b32_e64 v28, v2, v30, s6
	v_cndmask_b32_e64 v27, v15, v29, s6
	s_delay_alu instid0(VALU_DEP_4)
	v_cndmask_b32_e64 v2, v19, 2, s6
	s_mov_b64 s[6:7], 0
.LBB12_94:                              ;   in Loop: Header=BB12_4 Depth=1
	s_or_saveexec_b32 s77, s8
	v_dual_mov_b32 v26, s7 :: v_dual_mov_b32 v25, s6
	s_xor_b32 exec_lo, exec_lo, s77
	s_cbranch_execz .LBB12_96
; %bb.95:                               ;   in Loop: Header=BB12_4 Depth=1
	v_frexp_mant_f64_e64 v[25:26], |v[11:12]|
	s_mov_b32 s15, s71
	s_mov_b32 s6, 0x8d5af8fc
	;; [unrolled: 1-line block ×3, first 2 shown]
	v_cmp_gt_u32_e64 s8, 0x3fcda661, v24
	s_delay_alu instid0(VALU_DEP_2) | instskip(SKIP_1) | instid1(VALU_DEP_1)
	v_cmp_gt_f64_e32 vcc_lo, s[70:71], v[25:26]
	v_cndmask_b32_e64 v2, 0x3ff00000, 2.0, vcc_lo
	v_mul_f64 v[25:26], v[25:26], v[1:2]
	v_frexp_exp_i32_f64_e32 v2, v[11:12]
	s_delay_alu instid0(VALU_DEP_2) | instskip(NEXT) | instid1(VALU_DEP_2)
	v_add_f64 v[27:28], v[25:26], 1.0
	v_subrev_co_ci_u32_e32 v2, vcc_lo, 0, v2, vcc_lo
	v_cmp_class_f64_e64 vcc_lo, v[11:12], 0x204
	s_delay_alu instid0(VALU_DEP_3) | instskip(SKIP_2) | instid1(VALU_DEP_1)
	v_rcp_f64_e32 v[29:30], v[27:28]
	s_waitcnt_depctr 0xfff
	v_fma_f64 v[31:32], -v[27:28], v[29:30], 1.0
	v_fma_f64 v[29:30], v[31:32], v[29:30], v[29:30]
	s_delay_alu instid0(VALU_DEP_1) | instskip(NEXT) | instid1(VALU_DEP_1)
	v_fma_f64 v[31:32], -v[27:28], v[29:30], 1.0
	v_fma_f64 v[29:30], v[31:32], v[29:30], v[29:30]
	v_add_f64 v[31:32], v[27:28], -1.0
	s_delay_alu instid0(VALU_DEP_1) | instskip(SKIP_1) | instid1(VALU_DEP_1)
	v_add_f64 v[31:32], v[25:26], -v[31:32]
	v_add_f64 v[25:26], v[25:26], -1.0
	v_mul_f64 v[33:34], v[25:26], v[29:30]
	s_delay_alu instid0(VALU_DEP_1) | instskip(NEXT) | instid1(VALU_DEP_1)
	v_mul_f64 v[35:36], v[27:28], v[33:34]
	v_fma_f64 v[27:28], v[33:34], v[27:28], -v[35:36]
	s_delay_alu instid0(VALU_DEP_1) | instskip(NEXT) | instid1(VALU_DEP_1)
	v_fma_f64 v[27:28], v[33:34], v[31:32], v[27:28]
	v_add_f64 v[31:32], v[35:36], v[27:28]
	s_delay_alu instid0(VALU_DEP_1) | instskip(NEXT) | instid1(VALU_DEP_1)
	v_add_f64 v[35:36], v[31:32], -v[35:36]
	v_add_f64 v[27:28], v[35:36], -v[27:28]
	;; [unrolled: 1-line block ×3, first 2 shown]
	s_delay_alu instid0(VALU_DEP_1) | instskip(NEXT) | instid1(VALU_DEP_1)
	v_add_f64 v[25:26], v[25:26], -v[35:36]
	v_add_f64 v[25:26], v[25:26], -v[31:32]
	s_delay_alu instid0(VALU_DEP_1) | instskip(SKIP_1) | instid1(VALU_DEP_2)
	v_add_f64 v[25:26], v[27:28], v[25:26]
	v_cvt_f64_i32_e32 v[27:28], v2
	v_add_f64 v[25:26], v[35:36], v[25:26]
	s_delay_alu instid0(VALU_DEP_1) | instskip(NEXT) | instid1(VALU_DEP_3)
	v_mul_f64 v[25:26], v[29:30], v[25:26]
	v_mul_f64 v[29:30], v[27:28], s[28:29]
	s_delay_alu instid0(VALU_DEP_1) | instskip(NEXT) | instid1(VALU_DEP_1)
	v_fma_f64 v[31:32], v[27:28], s[28:29], -v[29:30]
	v_fma_f64 v[27:28], v[27:28], s[30:31], v[31:32]
	s_delay_alu instid0(VALU_DEP_4) | instskip(NEXT) | instid1(VALU_DEP_1)
	v_add_f64 v[31:32], v[33:34], v[25:26]
	v_add_f64 v[33:34], v[31:32], -v[33:34]
	s_delay_alu instid0(VALU_DEP_1) | instskip(SKIP_1) | instid1(VALU_DEP_2)
	v_add_f64 v[25:26], v[25:26], -v[33:34]
	v_mul_f64 v[33:34], v[31:32], v[31:32]
	v_ldexp_f64 v[25:26], v[25:26], 1
	s_delay_alu instid0(VALU_DEP_2) | instskip(NEXT) | instid1(VALU_DEP_1)
	v_fma_f64 v[35:36], v[33:34], s[18:19], s[16:17]
	v_fma_f64 v[35:36], v[33:34], v[35:36], s[20:21]
	s_delay_alu instid0(VALU_DEP_1) | instskip(NEXT) | instid1(VALU_DEP_1)
	v_fma_f64 v[35:36], v[33:34], v[35:36], s[22:23]
	v_fma_f64 v[35:36], v[33:34], v[35:36], s[24:25]
	s_delay_alu instid0(VALU_DEP_1) | instskip(NEXT) | instid1(VALU_DEP_1)
	v_fma_f64 v[35:36], v[33:34], v[35:36], s[26:27]
	v_fma_f64 v[35:36], v[33:34], v[35:36], s[14:15]
	v_mul_f64 v[33:34], v[31:32], v[33:34]
	v_ldexp_f64 v[31:32], v[31:32], 1
	s_delay_alu instid0(VALU_DEP_2) | instskip(NEXT) | instid1(VALU_DEP_1)
	v_mul_f64 v[33:34], v[33:34], v[35:36]
	v_add_f64 v[35:36], v[31:32], v[33:34]
	s_delay_alu instid0(VALU_DEP_1) | instskip(NEXT) | instid1(VALU_DEP_1)
	v_add_f64 v[31:32], v[35:36], -v[31:32]
	v_add_f64 v[31:32], v[33:34], -v[31:32]
	s_delay_alu instid0(VALU_DEP_1) | instskip(SKIP_1) | instid1(VALU_DEP_1)
	v_add_f64 v[25:26], v[25:26], v[31:32]
	v_add_f64 v[31:32], v[29:30], v[27:28]
	v_add_f64 v[29:30], v[31:32], -v[29:30]
	s_delay_alu instid0(VALU_DEP_1) | instskip(NEXT) | instid1(VALU_DEP_4)
	v_add_f64 v[27:28], v[27:28], -v[29:30]
	v_add_f64 v[29:30], v[35:36], v[25:26]
	s_delay_alu instid0(VALU_DEP_1) | instskip(SKIP_1) | instid1(VALU_DEP_2)
	v_add_f64 v[33:34], v[29:30], -v[35:36]
	v_add_f64 v[35:36], v[31:32], v[29:30]
	v_add_f64 v[25:26], v[25:26], -v[33:34]
	s_delay_alu instid0(VALU_DEP_2) | instskip(NEXT) | instid1(VALU_DEP_1)
	v_add_f64 v[43:44], v[35:36], -v[31:32]
	v_add_f64 v[29:30], v[29:30], -v[43:44]
	;; [unrolled: 1-line block ×3, first 2 shown]
	s_delay_alu instid0(VALU_DEP_1) | instskip(NEXT) | instid1(VALU_DEP_1)
	v_add_f64 v[31:32], v[31:32], -v[43:44]
	v_add_f64 v[29:30], v[29:30], v[31:32]
	v_add_f64 v[31:32], v[27:28], v[25:26]
	s_delay_alu instid0(VALU_DEP_1) | instskip(NEXT) | instid1(VALU_DEP_3)
	v_add_f64 v[33:34], v[31:32], -v[27:28]
	v_add_f64 v[29:30], v[31:32], v[29:30]
	s_delay_alu instid0(VALU_DEP_2) | instskip(SKIP_1) | instid1(VALU_DEP_1)
	v_add_f64 v[25:26], v[25:26], -v[33:34]
	v_add_f64 v[33:34], v[31:32], -v[33:34]
	;; [unrolled: 1-line block ×3, first 2 shown]
	s_delay_alu instid0(VALU_DEP_1) | instskip(SKIP_1) | instid1(VALU_DEP_1)
	v_add_f64 v[25:26], v[25:26], v[27:28]
	v_add_f64 v[27:28], v[35:36], v[29:30]
	v_add_f64 v[31:32], v[27:28], -v[35:36]
	s_delay_alu instid0(VALU_DEP_1) | instskip(NEXT) | instid1(VALU_DEP_1)
	v_add_f64 v[29:30], v[29:30], -v[31:32]
	v_add_f64 v[25:26], v[25:26], v[29:30]
	v_add_f64 v[29:30], -|v[11:12]|, 1.0
	s_delay_alu instid0(VALU_DEP_2) | instskip(SKIP_3) | instid1(VALU_DEP_4)
	v_add_f64 v[25:26], v[27:28], v[25:26]
	v_add_f64 v[27:28], |v[11:12]|, s[6:7]
	v_cmp_neq_f64_e64 s6, 0, v[11:12]
	v_cmp_gt_u32_e64 s7, 0x3fe76944, v24
	v_cndmask_b32_e64 v19, -v26, -v24, vcc_lo
	s_delay_alu instid0(VALU_DEP_2)
	v_cndmask_b32_e64 v2, v30, v28, s7
	v_cndmask_b32_e64 v15, v29, v27, s7
	v_cndmask_b32_e32 v23, v25, v11, vcc_lo
	v_cndmask_b32_e64 v29, 0, 1, s7
	v_cndmask_b32_e64 v26, 0x7ff00000, v19, s6
	;; [unrolled: 1-line block ×6, first 2 shown]
.LBB12_96:                              ;   in Loop: Header=BB12_4 Depth=1
	s_or_b32 exec_lo, exec_lo, s77
	s_delay_alu instid0(SALU_CYCLE_1) | instskip(NEXT) | instid1(VALU_DEP_1)
	s_mov_b32 s6, exec_lo
                                        ; implicit-def: $vgpr31_vgpr32
	v_cmpx_lt_i32_e32 1, v2
	s_xor_b32 s6, exec_lo, s6
	s_cbranch_execz .LBB12_98
; %bb.97:                               ;   in Loop: Header=BB12_4 Depth=1
	s_mov_b32 s82, 0xf6010924
	s_mov_b32 s84, 0xbf2bab09
	;; [unrolled: 1-line block ×4, first 2 shown]
	v_fma_f64 v[31:32], v[27:28], s[90:91], s[88:89]
	v_fma_f64 v[29:30], v[27:28], s[84:85], s[82:83]
	s_mov_b32 s82, 0x44ea8450
	s_mov_b32 s83, 0x3fef4976
	;; [unrolled: 1-line block ×3, first 2 shown]
                                        ; implicit-def: $vgpr2
	s_delay_alu instid0(VALU_DEP_2) | instskip(NEXT) | instid1(VALU_DEP_2)
	v_fma_f64 v[31:32], v[27:28], v[31:32], s[92:93]
	v_fma_f64 v[29:30], v[27:28], v[29:30], s[82:83]
	s_mov_b32 s82, 0xd119bd6f
	s_mov_b32 s83, 0x3ff7475c
	s_delay_alu instid0(VALU_DEP_2) | instskip(NEXT) | instid1(VALU_DEP_2)
	v_fma_f64 v[31:32], v[27:28], v[31:32], s[94:95]
	v_fma_f64 v[29:30], v[27:28], v[29:30], s[82:83]
	s_delay_alu instid0(VALU_DEP_2) | instskip(NEXT) | instid1(VALU_DEP_2)
	v_fma_f64 v[31:32], v[27:28], v[31:32], s[96:97]
	v_fma_f64 v[29:30], v[27:28], v[29:30], s[86:87]
	s_delay_alu instid0(VALU_DEP_2) | instskip(NEXT) | instid1(VALU_DEP_2)
	v_fma_f64 v[31:32], v[27:28], v[31:32], 1.0
	v_fma_f64 v[29:30], v[27:28], v[29:30], s[8:9]
	s_delay_alu instid0(VALU_DEP_1) | instskip(NEXT) | instid1(VALU_DEP_1)
	v_mul_f64 v[29:30], v[27:28], v[29:30]
	v_div_scale_f64 v[33:34], null, v[31:32], v[31:32], v[29:30]
	s_delay_alu instid0(VALU_DEP_1) | instskip(SKIP_2) | instid1(VALU_DEP_1)
	v_rcp_f64_e32 v[35:36], v[33:34]
	s_waitcnt_depctr 0xfff
	v_fma_f64 v[43:44], -v[33:34], v[35:36], 1.0
	v_fma_f64 v[35:36], v[35:36], v[43:44], v[35:36]
	s_delay_alu instid0(VALU_DEP_1) | instskip(NEXT) | instid1(VALU_DEP_1)
	v_fma_f64 v[43:44], -v[33:34], v[35:36], 1.0
	v_fma_f64 v[35:36], v[35:36], v[43:44], v[35:36]
	v_div_scale_f64 v[43:44], vcc_lo, v[29:30], v[31:32], v[29:30]
	s_delay_alu instid0(VALU_DEP_1) | instskip(NEXT) | instid1(VALU_DEP_1)
	v_mul_f64 v[45:46], v[43:44], v[35:36]
	v_fma_f64 v[33:34], -v[33:34], v[45:46], v[43:44]
	s_delay_alu instid0(VALU_DEP_1) | instskip(NEXT) | instid1(VALU_DEP_1)
	v_div_fmas_f64 v[33:34], v[33:34], v[35:36], v[45:46]
	v_div_fixup_f64 v[29:30], v[33:34], v[31:32], v[29:30]
	s_delay_alu instid0(VALU_DEP_1)
	v_fma_f64 v[31:32], v[27:28], -0.5, v[29:30]
                                        ; implicit-def: $vgpr27_vgpr28
.LBB12_98:                              ;   in Loop: Header=BB12_4 Depth=1
	s_and_not1_saveexec_b32 s6, s6
	s_cbranch_execz .LBB12_104
; %bb.99:                               ;   in Loop: Header=BB12_4 Depth=1
	v_mul_f64 v[29:30], v[27:28], v[27:28]
	s_mov_b32 s7, exec_lo
                                        ; implicit-def: $vgpr31_vgpr32
	v_cmpx_ne_u32_e32 1, v2
	s_xor_b32 s7, exec_lo, s7
	s_cbranch_execz .LBB12_101
; %bb.100:                              ;   in Loop: Header=BB12_4 Depth=1
	s_mov_b32 s82, 0x987dfb07
	s_mov_b32 s84, 0x90a45837
	;; [unrolled: 1-line block ×4, first 2 shown]
	s_delay_alu instid0(VALU_DEP_2) | instid1(SALU_CYCLE_1)
	v_fma_f64 v[31:32], v[29:30], s[84:85], s[82:83]
	s_mov_b32 s82, 0xed10e54d
	s_mov_b32 s84, 0x428cfa52
	s_mov_b32 s83, 0x3f2cf2ec
	s_mov_b32 s85, 0x3efa7074
	s_delay_alu instid0(SALU_CYCLE_1)
	v_fma_f64 v[33:34], v[29:30], s[84:85], s[82:83]
	s_mov_b32 s82, 0x89b99c00
	s_mov_b32 s83, 0x3f40b6c6
	s_delay_alu instid0(VALU_DEP_2) | instid1(SALU_CYCLE_1)
	v_fma_f64 v[31:32], v[29:30], v[31:32], s[82:83]
	s_mov_b32 s82, 0x116f3f5d
	s_mov_b32 s83, 0x3f538a94
	s_delay_alu instid0(VALU_DEP_2) | instid1(SALU_CYCLE_1)
	;; [unrolled: 4-line block ×7, first 2 shown]
	v_fma_f64 v[31:32], v[29:30], v[31:32], s[82:83]
	s_delay_alu instid0(VALU_DEP_2) | instskip(NEXT) | instid1(VALU_DEP_2)
	v_fma_f64 v[33:34], v[29:30], v[33:34], s[60:61]
	v_mul_f64 v[29:30], v[29:30], v[31:32]
	s_delay_alu instid0(VALU_DEP_1) | instskip(NEXT) | instid1(VALU_DEP_1)
	v_fma_f64 v[29:30], v[27:28], v[33:34], v[29:30]
	v_fma_f64 v[31:32], v[27:28], -0.5, v[29:30]
                                        ; implicit-def: $vgpr27_vgpr28
                                        ; implicit-def: $vgpr29_vgpr30
.LBB12_101:                             ;   in Loop: Header=BB12_4 Depth=1
	s_and_not1_saveexec_b32 s7, s7
	s_cbranch_execz .LBB12_103
; %bb.102:                              ;   in Loop: Header=BB12_4 Depth=1
	s_delay_alu instid0(VALU_DEP_2)
	v_mul_f64 v[31:32], v[27:28], v[29:30]
	s_mov_b32 s82, 0xef61a8e9
	s_mov_b32 s84, 0xecc38c38
	;; [unrolled: 1-line block ×4, first 2 shown]
	s_delay_alu instid0(VALU_DEP_1) | instid1(SALU_CYCLE_1)
	v_fma_f64 v[33:34], v[31:32], s[84:85], s[82:83]
	s_mov_b32 s82, 0x9c73e0ec
	s_mov_b32 s84, 0xe8c2d3f4
	;; [unrolled: 1-line block ×4, first 2 shown]
	s_delay_alu instid0(SALU_CYCLE_1) | instskip(SKIP_4) | instid1(VALU_DEP_2)
	v_fma_f64 v[35:36], v[31:32], s[84:85], s[82:83]
	s_mov_b32 s82, 0xb3e914d7
	s_mov_b32 s83, 0xbf6e2eff
	;; [unrolled: 1-line block ×4, first 2 shown]
	v_fma_f64 v[33:34], v[31:32], v[33:34], s[82:83]
	s_mov_b32 s82, 0x2e15c915
	s_mov_b32 s83, 0x3f6282d3
	s_delay_alu instid0(VALU_DEP_2) | instid1(SALU_CYCLE_1)
	v_fma_f64 v[35:36], v[31:32], v[35:36], s[82:83]
	s_mov_b32 s82, 0xbf2d1af1
	s_mov_b32 s83, 0xbf56fe8e
	s_delay_alu instid0(SALU_CYCLE_1)
	v_fma_f64 v[43:44], v[31:32], s[84:85], s[82:83]
	s_mov_b32 s82, 0x970af9ec
	s_mov_b32 s83, 0x3f9266e7
	s_delay_alu instid0(VALU_DEP_3) | instid1(SALU_CYCLE_1)
	v_fma_f64 v[33:34], v[31:32], v[33:34], s[82:83]
	s_mov_b32 s82, 0xba91ec6a
	s_mov_b32 s83, 0xbf851f9f
	s_delay_alu instid0(VALU_DEP_3) | instid1(SALU_CYCLE_1)
	;; [unrolled: 4-line block ×6, first 2 shown]
	v_fma_f64 v[43:44], v[31:32], v[43:44], s[82:83]
	s_mov_b32 s82, 0xc8ee38a2
	s_mov_b32 s83, 0x3fdef72b
	s_delay_alu instid0(VALU_DEP_2) | instskip(NEXT) | instid1(VALU_DEP_2)
	v_fma_f64 v[27:28], v[27:28], v[35:36], v[33:34]
	v_fma_f64 v[33:34], v[31:32], v[43:44], s[82:83]
	s_mov_b32 s82, 0xa48a971f
	s_mov_b32 s83, 0xbc50c7ca
	s_delay_alu instid0(VALU_DEP_2) | instid1(SALU_CYCLE_1)
	v_fma_f64 v[27:28], v[31:32], -v[27:28], s[82:83]
	s_mov_b32 s82, 0xbcc38a42
	s_mov_b32 s83, 0xbfbf19b9
	s_delay_alu instid0(VALU_DEP_1) | instskip(NEXT) | instid1(VALU_DEP_1)
	v_fma_f64 v[27:28], v[29:30], v[33:34], -v[27:28]
	v_add_f64 v[31:32], v[27:28], s[82:83]
.LBB12_103:                             ;   in Loop: Header=BB12_4 Depth=1
	s_or_b32 exec_lo, exec_lo, s7
.LBB12_104:                             ;   in Loop: Header=BB12_4 Depth=1
	s_delay_alu instid0(SALU_CYCLE_1) | instskip(NEXT) | instid1(VALU_DEP_1)
	s_or_b32 exec_lo, exec_lo, s6
	v_add_f64 v[25:26], v[25:26], v[31:32]
.LBB12_105:                             ;   in Loop: Header=BB12_4 Depth=1
	s_or_b32 exec_lo, exec_lo, s76
.LBB12_106:                             ;   in Loop: Header=BB12_4 Depth=1
	s_and_not1_saveexec_b32 s7, s75
	s_cbranch_execz .LBB12_108
; %bb.107:                              ;   in Loop: Header=BB12_4 Depth=1
	v_frexp_mant_f64_e64 v[25:26], |v[11:12]|
	s_mov_b32 s15, s71
	v_cmp_neq_f64_e64 s6, 0, v[11:12]
	s_delay_alu instid0(VALU_DEP_2) | instskip(SKIP_1) | instid1(VALU_DEP_1)
	v_cmp_gt_f64_e32 vcc_lo, s[70:71], v[25:26]
	v_cndmask_b32_e64 v2, 0x3ff00000, 2.0, vcc_lo
	v_mul_f64 v[25:26], v[25:26], v[1:2]
	v_frexp_exp_i32_f64_e32 v2, v[11:12]
	s_delay_alu instid0(VALU_DEP_2) | instskip(NEXT) | instid1(VALU_DEP_2)
	v_add_f64 v[27:28], v[25:26], 1.0
	v_subrev_co_ci_u32_e32 v2, vcc_lo, 0, v2, vcc_lo
	v_cmp_class_f64_e64 vcc_lo, v[11:12], 0x204
	s_delay_alu instid0(VALU_DEP_3) | instskip(SKIP_2) | instid1(VALU_DEP_1)
	v_rcp_f64_e32 v[29:30], v[27:28]
	s_waitcnt_depctr 0xfff
	v_fma_f64 v[31:32], -v[27:28], v[29:30], 1.0
	v_fma_f64 v[29:30], v[31:32], v[29:30], v[29:30]
	s_delay_alu instid0(VALU_DEP_1) | instskip(NEXT) | instid1(VALU_DEP_1)
	v_fma_f64 v[31:32], -v[27:28], v[29:30], 1.0
	v_fma_f64 v[29:30], v[31:32], v[29:30], v[29:30]
	v_add_f64 v[31:32], v[27:28], -1.0
	s_delay_alu instid0(VALU_DEP_1) | instskip(SKIP_1) | instid1(VALU_DEP_1)
	v_add_f64 v[31:32], v[25:26], -v[31:32]
	v_add_f64 v[25:26], v[25:26], -1.0
	v_mul_f64 v[33:34], v[25:26], v[29:30]
	s_delay_alu instid0(VALU_DEP_1) | instskip(NEXT) | instid1(VALU_DEP_1)
	v_mul_f64 v[35:36], v[27:28], v[33:34]
	v_fma_f64 v[27:28], v[33:34], v[27:28], -v[35:36]
	s_delay_alu instid0(VALU_DEP_1) | instskip(NEXT) | instid1(VALU_DEP_1)
	v_fma_f64 v[27:28], v[33:34], v[31:32], v[27:28]
	v_add_f64 v[31:32], v[35:36], v[27:28]
	s_delay_alu instid0(VALU_DEP_1) | instskip(NEXT) | instid1(VALU_DEP_1)
	v_add_f64 v[35:36], v[31:32], -v[35:36]
	v_add_f64 v[27:28], v[35:36], -v[27:28]
	;; [unrolled: 1-line block ×3, first 2 shown]
	s_delay_alu instid0(VALU_DEP_1) | instskip(NEXT) | instid1(VALU_DEP_1)
	v_add_f64 v[25:26], v[25:26], -v[35:36]
	v_add_f64 v[25:26], v[25:26], -v[31:32]
	s_delay_alu instid0(VALU_DEP_1) | instskip(SKIP_1) | instid1(VALU_DEP_2)
	v_add_f64 v[25:26], v[27:28], v[25:26]
	v_cvt_f64_i32_e32 v[27:28], v2
	v_add_f64 v[25:26], v[35:36], v[25:26]
	s_delay_alu instid0(VALU_DEP_1) | instskip(NEXT) | instid1(VALU_DEP_3)
	v_mul_f64 v[25:26], v[29:30], v[25:26]
	v_mul_f64 v[29:30], v[27:28], s[28:29]
	s_delay_alu instid0(VALU_DEP_1) | instskip(NEXT) | instid1(VALU_DEP_1)
	v_fma_f64 v[31:32], v[27:28], s[28:29], -v[29:30]
	v_fma_f64 v[27:28], v[27:28], s[30:31], v[31:32]
	s_delay_alu instid0(VALU_DEP_4) | instskip(NEXT) | instid1(VALU_DEP_1)
	v_add_f64 v[31:32], v[33:34], v[25:26]
	v_add_f64 v[33:34], v[31:32], -v[33:34]
	s_delay_alu instid0(VALU_DEP_1) | instskip(SKIP_1) | instid1(VALU_DEP_2)
	v_add_f64 v[25:26], v[25:26], -v[33:34]
	v_mul_f64 v[33:34], v[31:32], v[31:32]
	v_ldexp_f64 v[25:26], v[25:26], 1
	s_delay_alu instid0(VALU_DEP_2) | instskip(NEXT) | instid1(VALU_DEP_1)
	v_fma_f64 v[35:36], v[33:34], s[18:19], s[16:17]
	v_fma_f64 v[35:36], v[33:34], v[35:36], s[20:21]
	s_delay_alu instid0(VALU_DEP_1) | instskip(NEXT) | instid1(VALU_DEP_1)
	v_fma_f64 v[35:36], v[33:34], v[35:36], s[22:23]
	v_fma_f64 v[35:36], v[33:34], v[35:36], s[24:25]
	s_delay_alu instid0(VALU_DEP_1) | instskip(NEXT) | instid1(VALU_DEP_1)
	v_fma_f64 v[35:36], v[33:34], v[35:36], s[26:27]
	v_fma_f64 v[35:36], v[33:34], v[35:36], s[14:15]
	v_mul_f64 v[33:34], v[31:32], v[33:34]
	v_ldexp_f64 v[31:32], v[31:32], 1
	s_delay_alu instid0(VALU_DEP_2) | instskip(NEXT) | instid1(VALU_DEP_1)
	v_mul_f64 v[33:34], v[33:34], v[35:36]
	v_add_f64 v[35:36], v[31:32], v[33:34]
	s_delay_alu instid0(VALU_DEP_1) | instskip(NEXT) | instid1(VALU_DEP_1)
	v_add_f64 v[31:32], v[35:36], -v[31:32]
	v_add_f64 v[31:32], v[33:34], -v[31:32]
	s_delay_alu instid0(VALU_DEP_1) | instskip(SKIP_1) | instid1(VALU_DEP_1)
	v_add_f64 v[25:26], v[25:26], v[31:32]
	v_add_f64 v[31:32], v[29:30], v[27:28]
	v_add_f64 v[29:30], v[31:32], -v[29:30]
	s_delay_alu instid0(VALU_DEP_1) | instskip(NEXT) | instid1(VALU_DEP_4)
	v_add_f64 v[27:28], v[27:28], -v[29:30]
	v_add_f64 v[29:30], v[35:36], v[25:26]
	s_delay_alu instid0(VALU_DEP_1) | instskip(SKIP_1) | instid1(VALU_DEP_2)
	v_add_f64 v[33:34], v[29:30], -v[35:36]
	v_add_f64 v[35:36], v[31:32], v[29:30]
	v_add_f64 v[25:26], v[25:26], -v[33:34]
	s_delay_alu instid0(VALU_DEP_2) | instskip(NEXT) | instid1(VALU_DEP_1)
	v_add_f64 v[43:44], v[35:36], -v[31:32]
	v_add_f64 v[29:30], v[29:30], -v[43:44]
	;; [unrolled: 1-line block ×3, first 2 shown]
	s_delay_alu instid0(VALU_DEP_1) | instskip(NEXT) | instid1(VALU_DEP_1)
	v_add_f64 v[31:32], v[31:32], -v[43:44]
	v_add_f64 v[29:30], v[29:30], v[31:32]
	v_add_f64 v[31:32], v[27:28], v[25:26]
	s_delay_alu instid0(VALU_DEP_1) | instskip(NEXT) | instid1(VALU_DEP_3)
	v_add_f64 v[33:34], v[31:32], -v[27:28]
	v_add_f64 v[29:30], v[31:32], v[29:30]
	s_delay_alu instid0(VALU_DEP_2) | instskip(SKIP_1) | instid1(VALU_DEP_1)
	v_add_f64 v[25:26], v[25:26], -v[33:34]
	v_add_f64 v[33:34], v[31:32], -v[33:34]
	;; [unrolled: 1-line block ×3, first 2 shown]
	s_delay_alu instid0(VALU_DEP_1) | instskip(SKIP_1) | instid1(VALU_DEP_1)
	v_add_f64 v[25:26], v[25:26], v[27:28]
	v_add_f64 v[27:28], v[35:36], v[29:30]
	v_add_f64 v[31:32], v[27:28], -v[35:36]
	s_delay_alu instid0(VALU_DEP_1) | instskip(NEXT) | instid1(VALU_DEP_1)
	v_add_f64 v[29:30], v[29:30], -v[31:32]
	v_add_f64 v[25:26], v[25:26], v[29:30]
	v_fma_f64 v[29:30], |v[11:12]|, s[46:47], s[44:45]
	s_delay_alu instid0(VALU_DEP_2) | instskip(NEXT) | instid1(VALU_DEP_2)
	v_add_f64 v[25:26], v[27:28], v[25:26]
	v_fma_f64 v[29:30], |v[11:12]|, v[29:30], s[98:99]
	s_delay_alu instid0(VALU_DEP_2) | instskip(NEXT) | instid1(VALU_DEP_2)
	v_cndmask_b32_e64 v2, -v26, -v24, vcc_lo
	v_fma_f64 v[29:30], |v[11:12]|, v[29:30], s[100:101]
	s_delay_alu instid0(VALU_DEP_4) | instskip(NEXT) | instid1(VALU_DEP_3)
	v_cndmask_b32_e32 v15, v25, v11, vcc_lo
	v_cndmask_b32_e64 v26, 0x7ff00000, v2, s6
	s_delay_alu instid0(VALU_DEP_2) | instskip(NEXT) | instid1(VALU_DEP_4)
	v_cndmask_b32_e64 v25, 0, v15, s6
	v_fma_f64 v[27:28], |v[11:12]|, v[29:30], s[102:103]
	s_delay_alu instid0(VALU_DEP_1)
	v_fma_f64 v[25:26], |v[11:12]|, v[27:28], v[25:26]
.LBB12_108:                             ;   in Loop: Header=BB12_4 Depth=1
	s_or_b32 exec_lo, exec_lo, s7
	s_delay_alu instid0(SALU_CYCLE_1)
	s_mov_b32 s6, exec_lo
	v_cmpx_le_f64_e32 0, v[11:12]
	s_xor_b32 s7, exec_lo, s6
; %bb.109:                              ;   in Loop: Header=BB12_4 Depth=1
	v_cmp_eq_f64_e32 vcc_lo, 1.0, v[11:12]
	v_cmp_eq_f64_e64 s6, 2.0, v[11:12]
	s_delay_alu instid0(VALU_DEP_1)
	s_or_b32 s6, vcc_lo, s6
	s_delay_alu instid0(VALU_DEP_4) | instid1(SALU_CYCLE_1)
	v_cndmask_b32_e64 v26, v26, 0, s6
	v_cndmask_b32_e64 v25, v25, 0, s6
; %bb.110:                              ;   in Loop: Header=BB12_4 Depth=1
	s_and_not1_saveexec_b32 s7, s7
	s_cbranch_execz .LBB12_114
; %bb.111:                              ;   in Loop: Header=BB12_4 Depth=1
	v_add_nc_u32_e32 v2, 0xc32fffff, v24
	s_mov_b32 s8, exec_lo
	s_delay_alu instid0(VALU_DEP_1)
	v_cmpx_gt_u32_e32 0x65fffff, v2
	s_cbranch_execz .LBB12_113
; %bb.112:                              ;   in Loop: Header=BB12_4 Depth=1
	v_mul_f64 v[27:28], |v[11:12]|, 0.5
	v_cmp_gt_f64_e64 s6, |v[11:12]|, 1.0
	s_mov_b32 s15, s71
	s_delay_alu instid0(VALU_DEP_2) | instskip(SKIP_1) | instid1(VALU_DEP_2)
	v_fract_f64_e32 v[29:30], v[27:28]
	v_cmp_neq_f64_e64 vcc_lo, 0x7ff00000, |v[27:28]|
	v_add_f64 v[27:28], v[29:30], v[29:30]
	s_delay_alu instid0(VALU_DEP_1) | instskip(NEXT) | instid1(VALU_DEP_1)
	v_dual_cndmask_b32 v2, 0, v28 :: v_dual_cndmask_b32 v15, 0, v27
	v_cndmask_b32_e64 v28, v24, v2, s6
	s_delay_alu instid0(VALU_DEP_2) | instskip(NEXT) | instid1(VALU_DEP_1)
	v_cndmask_b32_e64 v27, v11, v15, s6
	v_add_f64 v[29:30], v[27:28], v[27:28]
	s_delay_alu instid0(VALU_DEP_1) | instskip(NEXT) | instid1(VALU_DEP_1)
	v_rndne_f64_e32 v[29:30], v[29:30]
	v_fma_f64 v[27:28], v[29:30], -0.5, v[27:28]
	v_cvt_i32_f64_e32 v2, v[29:30]
	s_delay_alu instid0(VALU_DEP_2) | instskip(NEXT) | instid1(VALU_DEP_2)
	v_mul_f64 v[31:32], v[27:28], v[27:28]
	v_and_b32_e32 v15, 1, v2
	v_lshlrev_b32_e32 v2, 30, v2
	s_delay_alu instid0(VALU_DEP_2) | instskip(NEXT) | instid1(VALU_DEP_2)
	v_cmp_eq_u32_e32 vcc_lo, 0, v15
	v_xor_b32_e32 v2, v2, v12
	s_delay_alu instid0(VALU_DEP_1) | instskip(SKIP_2) | instid1(VALU_DEP_2)
	v_and_b32_e32 v2, 0x80000000, v2
	v_fma_f64 v[33:34], v[31:32], s[36:37], s[34:35]
	v_mul_f64 v[35:36], v[27:28], v[31:32]
	v_fma_f64 v[33:34], v[31:32], v[33:34], s[38:39]
	s_delay_alu instid0(VALU_DEP_1) | instskip(NEXT) | instid1(VALU_DEP_1)
	v_fma_f64 v[33:34], v[31:32], v[33:34], s[40:41]
	v_fma_f64 v[33:34], v[31:32], v[33:34], s[42:43]
	s_delay_alu instid0(VALU_DEP_1) | instskip(NEXT) | instid1(VALU_DEP_1)
	v_fma_f64 v[33:34], v[31:32], v[33:34], s[48:49]
	v_mul_f64 v[33:34], v[35:36], v[33:34]
	s_delay_alu instid0(VALU_DEP_1) | instskip(SKIP_1) | instid1(VALU_DEP_1)
	v_fma_f64 v[27:28], v[27:28], s[50:51], v[33:34]
	v_fma_f64 v[33:34], v[31:32], s[54:55], s[52:53]
	;; [unrolled: 1-line block ×3, first 2 shown]
	s_delay_alu instid0(VALU_DEP_1) | instskip(NEXT) | instid1(VALU_DEP_1)
	v_fma_f64 v[33:34], v[31:32], v[33:34], s[58:59]
	v_fma_f64 v[33:34], v[31:32], v[33:34], s[62:63]
	s_delay_alu instid0(VALU_DEP_1) | instskip(NEXT) | instid1(VALU_DEP_1)
	v_fma_f64 v[33:34], v[31:32], v[33:34], s[64:65]
	v_fma_f64 v[33:34], v[31:32], v[33:34], s[66:67]
	s_delay_alu instid0(VALU_DEP_1) | instskip(NEXT) | instid1(VALU_DEP_1)
	v_fma_f64 v[31:32], v[31:32], v[33:34], 1.0
	v_cndmask_b32_e32 v15, v31, v27, vcc_lo
	s_delay_alu instid0(VALU_DEP_2) | instskip(SKIP_1) | instid1(VALU_DEP_2)
	v_cndmask_b32_e32 v19, v32, v28, vcc_lo
	v_cmp_class_f64_e64 vcc_lo, v[11:12], 0x1f8
	v_xor_b32_e32 v2, v19, v2
	s_delay_alu instid0(VALU_DEP_4) | instskip(NEXT) | instid1(VALU_DEP_2)
	v_cndmask_b32_e32 v27, 0, v15, vcc_lo
	v_cndmask_b32_e32 v28, 0x7ff80000, v2, vcc_lo
	s_delay_alu instid0(VALU_DEP_1) | instskip(NEXT) | instid1(VALU_DEP_1)
	v_mul_f64 v[27:28], v[11:12], v[27:28]
	v_dual_mov_b32 v29, v27 :: v_dual_and_b32 v30, 0x7fffffff, v28
	s_delay_alu instid0(VALU_DEP_1) | instskip(SKIP_1) | instid1(VALU_DEP_2)
	v_div_scale_f64 v[31:32], null, v[29:30], v[29:30], s[50:51]
	v_div_scale_f64 v[29:30], vcc_lo, s[50:51], v[29:30], s[50:51]
	v_rcp_f64_e32 v[33:34], v[31:32]
	s_waitcnt_depctr 0xfff
	v_fma_f64 v[35:36], -v[31:32], v[33:34], 1.0
	s_delay_alu instid0(VALU_DEP_1) | instskip(NEXT) | instid1(VALU_DEP_1)
	v_fma_f64 v[33:34], v[33:34], v[35:36], v[33:34]
	v_fma_f64 v[35:36], -v[31:32], v[33:34], 1.0
	s_delay_alu instid0(VALU_DEP_1) | instskip(NEXT) | instid1(VALU_DEP_1)
	v_fma_f64 v[33:34], v[33:34], v[35:36], v[33:34]
	v_mul_f64 v[35:36], v[29:30], v[33:34]
	s_delay_alu instid0(VALU_DEP_1) | instskip(NEXT) | instid1(VALU_DEP_1)
	v_fma_f64 v[29:30], -v[31:32], v[35:36], v[29:30]
	v_div_fmas_f64 v[29:30], v[29:30], v[33:34], v[35:36]
	s_delay_alu instid0(VALU_DEP_1) | instskip(NEXT) | instid1(VALU_DEP_1)
	v_div_fixup_f64 v[27:28], v[29:30], |v[27:28]|, s[50:51]
	v_frexp_mant_f64_e32 v[29:30], v[27:28]
	v_cmp_neq_f64_e64 s6, 0, v[27:28]
	s_delay_alu instid0(VALU_DEP_2) | instskip(SKIP_1) | instid1(VALU_DEP_1)
	v_cmp_gt_f64_e32 vcc_lo, s[70:71], v[29:30]
	v_cndmask_b32_e64 v2, 0x3ff00000, 2.0, vcc_lo
	v_mul_f64 v[29:30], v[29:30], v[1:2]
	v_frexp_exp_i32_f64_e32 v2, v[27:28]
	s_delay_alu instid0(VALU_DEP_2) | instskip(NEXT) | instid1(VALU_DEP_2)
	v_add_f64 v[31:32], v[29:30], 1.0
	v_subrev_co_ci_u32_e32 v2, vcc_lo, 0, v2, vcc_lo
	v_cmp_class_f64_e64 vcc_lo, v[27:28], 0x204
	s_delay_alu instid0(VALU_DEP_3) | instskip(SKIP_2) | instid1(VALU_DEP_1)
	v_rcp_f64_e32 v[33:34], v[31:32]
	s_waitcnt_depctr 0xfff
	v_fma_f64 v[35:36], -v[31:32], v[33:34], 1.0
	v_fma_f64 v[33:34], v[35:36], v[33:34], v[33:34]
	s_delay_alu instid0(VALU_DEP_1) | instskip(NEXT) | instid1(VALU_DEP_1)
	v_fma_f64 v[35:36], -v[31:32], v[33:34], 1.0
	v_fma_f64 v[33:34], v[35:36], v[33:34], v[33:34]
	v_add_f64 v[35:36], v[31:32], -1.0
	s_delay_alu instid0(VALU_DEP_1) | instskip(SKIP_1) | instid1(VALU_DEP_1)
	v_add_f64 v[35:36], v[29:30], -v[35:36]
	v_add_f64 v[29:30], v[29:30], -1.0
	v_mul_f64 v[43:44], v[29:30], v[33:34]
	s_delay_alu instid0(VALU_DEP_1) | instskip(NEXT) | instid1(VALU_DEP_1)
	v_mul_f64 v[45:46], v[31:32], v[43:44]
	v_fma_f64 v[31:32], v[43:44], v[31:32], -v[45:46]
	s_delay_alu instid0(VALU_DEP_1) | instskip(NEXT) | instid1(VALU_DEP_1)
	v_fma_f64 v[31:32], v[43:44], v[35:36], v[31:32]
	v_add_f64 v[35:36], v[45:46], v[31:32]
	s_delay_alu instid0(VALU_DEP_1) | instskip(NEXT) | instid1(VALU_DEP_1)
	v_add_f64 v[45:46], v[35:36], -v[45:46]
	v_add_f64 v[31:32], v[45:46], -v[31:32]
	;; [unrolled: 1-line block ×3, first 2 shown]
	s_delay_alu instid0(VALU_DEP_1) | instskip(NEXT) | instid1(VALU_DEP_1)
	v_add_f64 v[29:30], v[29:30], -v[45:46]
	v_add_f64 v[29:30], v[29:30], -v[35:36]
	s_delay_alu instid0(VALU_DEP_1) | instskip(SKIP_1) | instid1(VALU_DEP_2)
	v_add_f64 v[29:30], v[31:32], v[29:30]
	v_cvt_f64_i32_e32 v[31:32], v2
	v_add_f64 v[29:30], v[45:46], v[29:30]
	s_delay_alu instid0(VALU_DEP_1) | instskip(NEXT) | instid1(VALU_DEP_3)
	v_mul_f64 v[29:30], v[33:34], v[29:30]
	v_mul_f64 v[33:34], v[31:32], s[28:29]
	s_delay_alu instid0(VALU_DEP_1) | instskip(NEXT) | instid1(VALU_DEP_1)
	v_fma_f64 v[35:36], v[31:32], s[28:29], -v[33:34]
	v_fma_f64 v[31:32], v[31:32], s[30:31], v[35:36]
	s_delay_alu instid0(VALU_DEP_4) | instskip(NEXT) | instid1(VALU_DEP_1)
	v_add_f64 v[35:36], v[43:44], v[29:30]
	v_add_f64 v[43:44], v[35:36], -v[43:44]
	s_delay_alu instid0(VALU_DEP_1) | instskip(SKIP_1) | instid1(VALU_DEP_2)
	v_add_f64 v[29:30], v[29:30], -v[43:44]
	v_mul_f64 v[43:44], v[35:36], v[35:36]
	v_ldexp_f64 v[29:30], v[29:30], 1
	s_delay_alu instid0(VALU_DEP_2) | instskip(NEXT) | instid1(VALU_DEP_1)
	v_fma_f64 v[45:46], v[43:44], s[18:19], s[16:17]
	v_fma_f64 v[45:46], v[43:44], v[45:46], s[20:21]
	s_delay_alu instid0(VALU_DEP_1) | instskip(NEXT) | instid1(VALU_DEP_1)
	v_fma_f64 v[45:46], v[43:44], v[45:46], s[22:23]
	v_fma_f64 v[45:46], v[43:44], v[45:46], s[24:25]
	s_delay_alu instid0(VALU_DEP_1) | instskip(NEXT) | instid1(VALU_DEP_1)
	v_fma_f64 v[45:46], v[43:44], v[45:46], s[26:27]
	v_fma_f64 v[45:46], v[43:44], v[45:46], s[14:15]
	v_mul_f64 v[43:44], v[35:36], v[43:44]
	v_ldexp_f64 v[35:36], v[35:36], 1
	s_delay_alu instid0(VALU_DEP_2) | instskip(NEXT) | instid1(VALU_DEP_1)
	v_mul_f64 v[43:44], v[43:44], v[45:46]
	v_add_f64 v[45:46], v[35:36], v[43:44]
	s_delay_alu instid0(VALU_DEP_1) | instskip(NEXT) | instid1(VALU_DEP_1)
	v_add_f64 v[35:36], v[45:46], -v[35:36]
	v_add_f64 v[35:36], v[43:44], -v[35:36]
	s_delay_alu instid0(VALU_DEP_1) | instskip(SKIP_1) | instid1(VALU_DEP_1)
	v_add_f64 v[29:30], v[29:30], v[35:36]
	v_add_f64 v[35:36], v[33:34], v[31:32]
	v_add_f64 v[33:34], v[35:36], -v[33:34]
	s_delay_alu instid0(VALU_DEP_1) | instskip(NEXT) | instid1(VALU_DEP_4)
	v_add_f64 v[31:32], v[31:32], -v[33:34]
	v_add_f64 v[33:34], v[45:46], v[29:30]
	s_delay_alu instid0(VALU_DEP_1) | instskip(SKIP_1) | instid1(VALU_DEP_2)
	v_add_f64 v[43:44], v[33:34], -v[45:46]
	v_add_f64 v[45:46], v[35:36], v[33:34]
	v_add_f64 v[29:30], v[29:30], -v[43:44]
	s_delay_alu instid0(VALU_DEP_2) | instskip(NEXT) | instid1(VALU_DEP_1)
	v_add_f64 v[47:48], v[45:46], -v[35:36]
	v_add_f64 v[33:34], v[33:34], -v[47:48]
	;; [unrolled: 1-line block ×3, first 2 shown]
	s_delay_alu instid0(VALU_DEP_1) | instskip(NEXT) | instid1(VALU_DEP_1)
	v_add_f64 v[35:36], v[35:36], -v[47:48]
	v_add_f64 v[33:34], v[33:34], v[35:36]
	v_add_f64 v[35:36], v[31:32], v[29:30]
	s_delay_alu instid0(VALU_DEP_1) | instskip(NEXT) | instid1(VALU_DEP_3)
	v_add_f64 v[43:44], v[35:36], -v[31:32]
	v_add_f64 v[33:34], v[35:36], v[33:34]
	s_delay_alu instid0(VALU_DEP_2) | instskip(SKIP_1) | instid1(VALU_DEP_1)
	v_add_f64 v[29:30], v[29:30], -v[43:44]
	v_add_f64 v[43:44], v[35:36], -v[43:44]
	;; [unrolled: 1-line block ×3, first 2 shown]
	s_delay_alu instid0(VALU_DEP_1) | instskip(SKIP_1) | instid1(VALU_DEP_1)
	v_add_f64 v[29:30], v[29:30], v[31:32]
	v_add_f64 v[31:32], v[45:46], v[33:34]
	v_add_f64 v[35:36], v[31:32], -v[45:46]
	s_delay_alu instid0(VALU_DEP_1) | instskip(NEXT) | instid1(VALU_DEP_1)
	v_add_f64 v[33:34], v[33:34], -v[35:36]
	v_add_f64 v[29:30], v[29:30], v[33:34]
	s_delay_alu instid0(VALU_DEP_1) | instskip(NEXT) | instid1(VALU_DEP_1)
	v_add_f64 v[29:30], v[31:32], v[29:30]
	v_dual_cndmask_b32 v2, v29, v27 :: v_dual_cndmask_b32 v15, v30, v28
	v_fract_f64_e32 v[27:28], v[11:12]
	s_delay_alu instid0(VALU_DEP_2) | instskip(NEXT) | instid1(VALU_DEP_3)
	v_cndmask_b32_e64 v29, 0, v2, s6
	v_cndmask_b32_e64 v30, 0xfff00000, v15, s6
	v_cmp_class_f64_e64 s6, v[11:12], 0x204
	s_delay_alu instid0(VALU_DEP_2) | instskip(SKIP_1) | instid1(VALU_DEP_3)
	v_add_f64 v[25:26], v[29:30], -v[25:26]
	v_cmp_eq_f64_e32 vcc_lo, 0, v[27:28]
	s_or_b32 s6, s6, vcc_lo
	s_delay_alu instid0(VALU_DEP_2) | instid1(SALU_CYCLE_1)
	v_cndmask_b32_e64 v26, v26, 0x7ff00000, s6
	s_delay_alu instid0(VALU_DEP_3)
	v_cndmask_b32_e64 v25, v25, 0, s6
.LBB12_113:                             ;   in Loop: Header=BB12_4 Depth=1
	s_or_b32 exec_lo, exec_lo, s8
.LBB12_114:                             ;   in Loop: Header=BB12_4 Depth=1
	s_delay_alu instid0(SALU_CYCLE_1) | instskip(SKIP_2) | instid1(VALU_DEP_1)
	s_or_b32 exec_lo, exec_lo, s7
	v_dual_mov_b32 v27, v7 :: v_dual_and_b32 v28, 0x7fffffff, v8
                                        ; implicit-def: $vgpr29_vgpr30
	s_mov_b32 s6, exec_lo
	v_cmpx_lt_u32_e32 0x3f6fffff, v28
	s_xor_b32 s75, exec_lo, s6
	s_cbranch_execz .LBB12_140
; %bb.115:                              ;   in Loop: Header=BB12_4 Depth=1
                                        ; implicit-def: $vgpr29_vgpr30
	s_mov_b32 s6, exec_lo
	v_cmpx_lt_u32_e32 0x3fffffff, v28
	s_xor_b32 s76, exec_lo, s6
	s_cbranch_execz .LBB12_125
; %bb.116:                              ;   in Loop: Header=BB12_4 Depth=1
	;; [unrolled: 6-line block ×4, first 2 shown]
	v_frexp_mant_f64_e64 v[29:30], |v[7:8]|
	s_mov_b32 s15, s71
	v_cmp_neq_f64_e64 s6, 0, v[7:8]
	s_delay_alu instid0(VALU_DEP_2) | instskip(SKIP_1) | instid1(VALU_DEP_1)
	v_cmp_gt_f64_e32 vcc_lo, s[70:71], v[29:30]
	v_cndmask_b32_e64 v2, 0x3ff00000, 2.0, vcc_lo
	v_mul_f64 v[29:30], v[29:30], v[1:2]
	v_frexp_exp_i32_f64_e32 v2, v[7:8]
	s_delay_alu instid0(VALU_DEP_2) | instskip(NEXT) | instid1(VALU_DEP_2)
	v_add_f64 v[31:32], v[29:30], 1.0
	v_subrev_co_ci_u32_e32 v2, vcc_lo, 0, v2, vcc_lo
	v_cmp_class_f64_e64 vcc_lo, v[7:8], 0x204
	s_delay_alu instid0(VALU_DEP_3) | instskip(SKIP_2) | instid1(VALU_DEP_1)
	v_rcp_f64_e32 v[33:34], v[31:32]
	s_waitcnt_depctr 0xfff
	v_fma_f64 v[35:36], -v[31:32], v[33:34], 1.0
	v_fma_f64 v[33:34], v[35:36], v[33:34], v[33:34]
	s_delay_alu instid0(VALU_DEP_1) | instskip(NEXT) | instid1(VALU_DEP_1)
	v_fma_f64 v[35:36], -v[31:32], v[33:34], 1.0
	v_fma_f64 v[33:34], v[35:36], v[33:34], v[33:34]
	v_add_f64 v[35:36], v[31:32], -1.0
	s_delay_alu instid0(VALU_DEP_1) | instskip(SKIP_1) | instid1(VALU_DEP_1)
	v_add_f64 v[35:36], v[29:30], -v[35:36]
	v_add_f64 v[29:30], v[29:30], -1.0
	v_mul_f64 v[43:44], v[29:30], v[33:34]
	s_delay_alu instid0(VALU_DEP_1) | instskip(NEXT) | instid1(VALU_DEP_1)
	v_mul_f64 v[45:46], v[31:32], v[43:44]
	v_fma_f64 v[31:32], v[43:44], v[31:32], -v[45:46]
	s_delay_alu instid0(VALU_DEP_1) | instskip(NEXT) | instid1(VALU_DEP_1)
	v_fma_f64 v[31:32], v[43:44], v[35:36], v[31:32]
	v_add_f64 v[35:36], v[45:46], v[31:32]
	s_delay_alu instid0(VALU_DEP_1) | instskip(NEXT) | instid1(VALU_DEP_1)
	v_add_f64 v[45:46], v[35:36], -v[45:46]
	v_add_f64 v[31:32], v[45:46], -v[31:32]
	;; [unrolled: 1-line block ×3, first 2 shown]
	s_delay_alu instid0(VALU_DEP_1) | instskip(NEXT) | instid1(VALU_DEP_1)
	v_add_f64 v[29:30], v[29:30], -v[45:46]
	v_add_f64 v[29:30], v[29:30], -v[35:36]
	s_delay_alu instid0(VALU_DEP_1) | instskip(SKIP_1) | instid1(VALU_DEP_2)
	v_add_f64 v[29:30], v[31:32], v[29:30]
	v_cvt_f64_i32_e32 v[31:32], v2
	v_add_f64 v[29:30], v[45:46], v[29:30]
	s_delay_alu instid0(VALU_DEP_1) | instskip(NEXT) | instid1(VALU_DEP_3)
	v_mul_f64 v[29:30], v[33:34], v[29:30]
	v_mul_f64 v[33:34], v[31:32], s[28:29]
	s_delay_alu instid0(VALU_DEP_1) | instskip(NEXT) | instid1(VALU_DEP_1)
	v_fma_f64 v[35:36], v[31:32], s[28:29], -v[33:34]
	v_fma_f64 v[31:32], v[31:32], s[30:31], v[35:36]
	s_delay_alu instid0(VALU_DEP_4) | instskip(NEXT) | instid1(VALU_DEP_1)
	v_add_f64 v[35:36], v[43:44], v[29:30]
	v_add_f64 v[43:44], v[35:36], -v[43:44]
	s_delay_alu instid0(VALU_DEP_1) | instskip(SKIP_1) | instid1(VALU_DEP_2)
	v_add_f64 v[29:30], v[29:30], -v[43:44]
	v_mul_f64 v[43:44], v[35:36], v[35:36]
	v_ldexp_f64 v[29:30], v[29:30], 1
	s_delay_alu instid0(VALU_DEP_2) | instskip(NEXT) | instid1(VALU_DEP_1)
	v_fma_f64 v[45:46], v[43:44], s[18:19], s[16:17]
	v_fma_f64 v[45:46], v[43:44], v[45:46], s[20:21]
	s_delay_alu instid0(VALU_DEP_1) | instskip(NEXT) | instid1(VALU_DEP_1)
	v_fma_f64 v[45:46], v[43:44], v[45:46], s[22:23]
	v_fma_f64 v[45:46], v[43:44], v[45:46], s[24:25]
	s_delay_alu instid0(VALU_DEP_1) | instskip(NEXT) | instid1(VALU_DEP_1)
	v_fma_f64 v[45:46], v[43:44], v[45:46], s[26:27]
	v_fma_f64 v[45:46], v[43:44], v[45:46], s[14:15]
	v_mul_f64 v[43:44], v[35:36], v[43:44]
	v_ldexp_f64 v[35:36], v[35:36], 1
	s_delay_alu instid0(VALU_DEP_2) | instskip(NEXT) | instid1(VALU_DEP_1)
	v_mul_f64 v[43:44], v[43:44], v[45:46]
	v_add_f64 v[45:46], v[35:36], v[43:44]
	s_delay_alu instid0(VALU_DEP_1) | instskip(NEXT) | instid1(VALU_DEP_1)
	v_add_f64 v[35:36], v[45:46], -v[35:36]
	v_add_f64 v[35:36], v[43:44], -v[35:36]
	s_delay_alu instid0(VALU_DEP_1) | instskip(SKIP_1) | instid1(VALU_DEP_1)
	v_add_f64 v[29:30], v[29:30], v[35:36]
	v_add_f64 v[35:36], v[33:34], v[31:32]
	v_add_f64 v[33:34], v[35:36], -v[33:34]
	s_delay_alu instid0(VALU_DEP_1) | instskip(NEXT) | instid1(VALU_DEP_4)
	v_add_f64 v[31:32], v[31:32], -v[33:34]
	v_add_f64 v[33:34], v[45:46], v[29:30]
	s_delay_alu instid0(VALU_DEP_1) | instskip(SKIP_1) | instid1(VALU_DEP_2)
	v_add_f64 v[43:44], v[33:34], -v[45:46]
	v_add_f64 v[45:46], v[35:36], v[33:34]
	v_add_f64 v[29:30], v[29:30], -v[43:44]
	s_delay_alu instid0(VALU_DEP_2) | instskip(NEXT) | instid1(VALU_DEP_1)
	v_add_f64 v[47:48], v[45:46], -v[35:36]
	v_add_f64 v[33:34], v[33:34], -v[47:48]
	;; [unrolled: 1-line block ×3, first 2 shown]
	s_delay_alu instid0(VALU_DEP_1) | instskip(NEXT) | instid1(VALU_DEP_1)
	v_add_f64 v[35:36], v[35:36], -v[47:48]
	v_add_f64 v[33:34], v[33:34], v[35:36]
	v_add_f64 v[35:36], v[31:32], v[29:30]
	s_delay_alu instid0(VALU_DEP_1) | instskip(NEXT) | instid1(VALU_DEP_3)
	v_add_f64 v[43:44], v[35:36], -v[31:32]
	v_add_f64 v[33:34], v[35:36], v[33:34]
	s_delay_alu instid0(VALU_DEP_2) | instskip(SKIP_1) | instid1(VALU_DEP_1)
	v_add_f64 v[29:30], v[29:30], -v[43:44]
	v_add_f64 v[43:44], v[35:36], -v[43:44]
	;; [unrolled: 1-line block ×3, first 2 shown]
	s_delay_alu instid0(VALU_DEP_1) | instskip(SKIP_1) | instid1(VALU_DEP_1)
	v_add_f64 v[29:30], v[29:30], v[31:32]
	v_add_f64 v[31:32], v[45:46], v[33:34]
	v_add_f64 v[35:36], v[31:32], -v[45:46]
	s_delay_alu instid0(VALU_DEP_1) | instskip(NEXT) | instid1(VALU_DEP_1)
	v_add_f64 v[33:34], v[33:34], -v[35:36]
	v_add_f64 v[29:30], v[29:30], v[33:34]
	s_delay_alu instid0(VALU_DEP_1) | instskip(NEXT) | instid1(VALU_DEP_1)
	v_add_f64 v[29:30], v[31:32], v[29:30]
	v_dual_cndmask_b32 v2, v30, v28 :: v_dual_cndmask_b32 v15, v29, v7
	s_delay_alu instid0(VALU_DEP_1) | instskip(NEXT) | instid1(VALU_DEP_2)
	v_cndmask_b32_e64 v30, 0xfff00000, v2, s6
	v_cndmask_b32_e64 v29, 0, v15, s6
	s_delay_alu instid0(VALU_DEP_1)
	v_fma_f64 v[29:30], |v[7:8]|, v[29:30], -|v[7:8]|
.LBB12_119:                             ;   in Loop: Header=BB12_4 Depth=1
	s_and_not1_saveexec_b32 s6, s8
	s_cbranch_execz .LBB12_121
; %bb.120:                              ;   in Loop: Header=BB12_4 Depth=1
	v_mov_b32_e32 v27, v7
	s_mov_b32 s15, s71
	s_mov_b32 s78, 0x4cdad5d1
	;; [unrolled: 1-line block ×4, first 2 shown]
	v_div_scale_f64 v[29:30], null, v[27:28], v[27:28], 1.0
	s_mov_b32 s81, 0xbf5ab89d
	s_delay_alu instid0(VALU_DEP_1) | instskip(SKIP_2) | instid1(VALU_DEP_1)
	v_rcp_f64_e32 v[31:32], v[29:30]
	s_waitcnt_depctr 0xfff
	v_fma_f64 v[33:34], -v[29:30], v[31:32], 1.0
	v_fma_f64 v[31:32], v[31:32], v[33:34], v[31:32]
	s_delay_alu instid0(VALU_DEP_1) | instskip(NEXT) | instid1(VALU_DEP_1)
	v_fma_f64 v[33:34], -v[29:30], v[31:32], 1.0
	v_fma_f64 v[31:32], v[31:32], v[33:34], v[31:32]
	v_div_scale_f64 v[33:34], vcc_lo, 1.0, v[27:28], 1.0
	s_delay_alu instid0(VALU_DEP_1) | instskip(NEXT) | instid1(VALU_DEP_1)
	v_mul_f64 v[35:36], v[33:34], v[31:32]
	v_fma_f64 v[29:30], -v[29:30], v[35:36], v[33:34]
	s_delay_alu instid0(VALU_DEP_1) | instskip(SKIP_1) | instid1(VALU_DEP_2)
	v_div_fmas_f64 v[29:30], v[29:30], v[31:32], v[35:36]
	v_frexp_mant_f64_e64 v[31:32], |v[7:8]|
	v_div_fixup_f64 v[29:30], v[29:30], |v[7:8]|, 1.0
	s_delay_alu instid0(VALU_DEP_2) | instskip(SKIP_1) | instid1(VALU_DEP_1)
	v_cmp_gt_f64_e32 vcc_lo, s[70:71], v[31:32]
	v_cndmask_b32_e64 v2, 0x3ff00000, 2.0, vcc_lo
	v_mul_f64 v[31:32], v[31:32], v[1:2]
	v_frexp_exp_i32_f64_e32 v2, v[7:8]
	s_delay_alu instid0(VALU_DEP_2) | instskip(NEXT) | instid1(VALU_DEP_2)
	v_add_f64 v[33:34], v[31:32], 1.0
	v_subrev_co_ci_u32_e32 v2, vcc_lo, 0, v2, vcc_lo
	v_cmp_class_f64_e64 vcc_lo, v[7:8], 0x204
	s_delay_alu instid0(VALU_DEP_3) | instskip(SKIP_2) | instid1(VALU_DEP_1)
	v_rcp_f64_e32 v[35:36], v[33:34]
	s_waitcnt_depctr 0xfff
	v_fma_f64 v[43:44], -v[33:34], v[35:36], 1.0
	v_fma_f64 v[35:36], v[43:44], v[35:36], v[35:36]
	s_delay_alu instid0(VALU_DEP_1) | instskip(NEXT) | instid1(VALU_DEP_1)
	v_fma_f64 v[43:44], -v[33:34], v[35:36], 1.0
	v_fma_f64 v[35:36], v[43:44], v[35:36], v[35:36]
	v_add_f64 v[43:44], v[33:34], -1.0
	s_delay_alu instid0(VALU_DEP_1) | instskip(SKIP_1) | instid1(VALU_DEP_1)
	v_add_f64 v[43:44], v[31:32], -v[43:44]
	v_add_f64 v[31:32], v[31:32], -1.0
	v_mul_f64 v[45:46], v[31:32], v[35:36]
	s_delay_alu instid0(VALU_DEP_1) | instskip(NEXT) | instid1(VALU_DEP_1)
	v_mul_f64 v[47:48], v[33:34], v[45:46]
	v_fma_f64 v[33:34], v[45:46], v[33:34], -v[47:48]
	s_delay_alu instid0(VALU_DEP_1) | instskip(NEXT) | instid1(VALU_DEP_1)
	v_fma_f64 v[33:34], v[45:46], v[43:44], v[33:34]
	v_add_f64 v[43:44], v[47:48], v[33:34]
	s_delay_alu instid0(VALU_DEP_1) | instskip(NEXT) | instid1(VALU_DEP_1)
	v_add_f64 v[47:48], v[43:44], -v[47:48]
	v_add_f64 v[33:34], v[47:48], -v[33:34]
	;; [unrolled: 1-line block ×3, first 2 shown]
	s_delay_alu instid0(VALU_DEP_1) | instskip(NEXT) | instid1(VALU_DEP_1)
	v_add_f64 v[31:32], v[31:32], -v[47:48]
	v_add_f64 v[31:32], v[31:32], -v[43:44]
	s_delay_alu instid0(VALU_DEP_1) | instskip(SKIP_1) | instid1(VALU_DEP_2)
	v_add_f64 v[31:32], v[33:34], v[31:32]
	v_cvt_f64_i32_e32 v[33:34], v2
	v_add_f64 v[31:32], v[47:48], v[31:32]
	s_delay_alu instid0(VALU_DEP_1) | instskip(NEXT) | instid1(VALU_DEP_3)
	v_mul_f64 v[31:32], v[35:36], v[31:32]
	v_mul_f64 v[35:36], v[33:34], s[28:29]
	s_delay_alu instid0(VALU_DEP_1) | instskip(NEXT) | instid1(VALU_DEP_1)
	v_fma_f64 v[43:44], v[33:34], s[28:29], -v[35:36]
	v_fma_f64 v[33:34], v[33:34], s[30:31], v[43:44]
	s_delay_alu instid0(VALU_DEP_4) | instskip(NEXT) | instid1(VALU_DEP_1)
	v_add_f64 v[43:44], v[45:46], v[31:32]
	v_add_f64 v[45:46], v[43:44], -v[45:46]
	s_delay_alu instid0(VALU_DEP_1) | instskip(SKIP_1) | instid1(VALU_DEP_2)
	v_add_f64 v[31:32], v[31:32], -v[45:46]
	v_mul_f64 v[45:46], v[43:44], v[43:44]
	v_ldexp_f64 v[31:32], v[31:32], 1
	s_delay_alu instid0(VALU_DEP_2) | instskip(NEXT) | instid1(VALU_DEP_1)
	v_fma_f64 v[47:48], v[45:46], s[18:19], s[16:17]
	v_fma_f64 v[47:48], v[45:46], v[47:48], s[20:21]
	s_delay_alu instid0(VALU_DEP_1) | instskip(NEXT) | instid1(VALU_DEP_1)
	v_fma_f64 v[47:48], v[45:46], v[47:48], s[22:23]
	v_fma_f64 v[47:48], v[45:46], v[47:48], s[24:25]
	s_delay_alu instid0(VALU_DEP_1) | instskip(NEXT) | instid1(VALU_DEP_1)
	v_fma_f64 v[47:48], v[45:46], v[47:48], s[26:27]
	v_fma_f64 v[47:48], v[45:46], v[47:48], s[14:15]
	v_mul_f64 v[45:46], v[43:44], v[45:46]
	v_ldexp_f64 v[43:44], v[43:44], 1
	s_delay_alu instid0(VALU_DEP_2) | instskip(NEXT) | instid1(VALU_DEP_1)
	v_mul_f64 v[45:46], v[45:46], v[47:48]
	v_add_f64 v[47:48], v[43:44], v[45:46]
	s_delay_alu instid0(VALU_DEP_1) | instskip(NEXT) | instid1(VALU_DEP_1)
	v_add_f64 v[43:44], v[47:48], -v[43:44]
	v_add_f64 v[43:44], v[45:46], -v[43:44]
	s_delay_alu instid0(VALU_DEP_1) | instskip(SKIP_1) | instid1(VALU_DEP_1)
	v_add_f64 v[31:32], v[31:32], v[43:44]
	v_add_f64 v[43:44], v[35:36], v[33:34]
	v_add_f64 v[35:36], v[43:44], -v[35:36]
	s_delay_alu instid0(VALU_DEP_1) | instskip(NEXT) | instid1(VALU_DEP_4)
	v_add_f64 v[33:34], v[33:34], -v[35:36]
	v_add_f64 v[35:36], v[47:48], v[31:32]
	s_delay_alu instid0(VALU_DEP_1) | instskip(SKIP_1) | instid1(VALU_DEP_2)
	v_add_f64 v[45:46], v[35:36], -v[47:48]
	v_add_f64 v[47:48], v[43:44], v[35:36]
	v_add_f64 v[31:32], v[31:32], -v[45:46]
	s_delay_alu instid0(VALU_DEP_2) | instskip(NEXT) | instid1(VALU_DEP_1)
	v_add_f64 v[49:50], v[47:48], -v[43:44]
	v_add_f64 v[35:36], v[35:36], -v[49:50]
	;; [unrolled: 1-line block ×3, first 2 shown]
	s_delay_alu instid0(VALU_DEP_1) | instskip(NEXT) | instid1(VALU_DEP_1)
	v_add_f64 v[43:44], v[43:44], -v[49:50]
	v_add_f64 v[35:36], v[35:36], v[43:44]
	v_add_f64 v[43:44], v[33:34], v[31:32]
	s_delay_alu instid0(VALU_DEP_1) | instskip(NEXT) | instid1(VALU_DEP_3)
	v_add_f64 v[45:46], v[43:44], -v[33:34]
	v_add_f64 v[35:36], v[43:44], v[35:36]
	s_delay_alu instid0(VALU_DEP_2) | instskip(SKIP_1) | instid1(VALU_DEP_1)
	v_add_f64 v[31:32], v[31:32], -v[45:46]
	v_add_f64 v[45:46], v[43:44], -v[45:46]
	;; [unrolled: 1-line block ×3, first 2 shown]
	s_delay_alu instid0(VALU_DEP_1) | instskip(SKIP_1) | instid1(VALU_DEP_1)
	v_add_f64 v[31:32], v[31:32], v[33:34]
	v_add_f64 v[33:34], v[47:48], v[35:36]
	v_add_f64 v[43:44], v[33:34], -v[47:48]
	s_delay_alu instid0(VALU_DEP_1) | instskip(NEXT) | instid1(VALU_DEP_1)
	v_add_f64 v[35:36], v[35:36], -v[43:44]
	v_add_f64 v[31:32], v[31:32], v[35:36]
	s_delay_alu instid0(VALU_DEP_1) | instskip(SKIP_1) | instid1(VALU_DEP_2)
	v_add_f64 v[31:32], v[33:34], v[31:32]
	v_mul_f64 v[33:34], v[29:30], v[29:30]
	v_cndmask_b32_e32 v32, v32, v28, vcc_lo
	s_delay_alu instid0(VALU_DEP_2) | instskip(SKIP_2) | instid1(VALU_DEP_4)
	v_fma_f64 v[35:36], v[33:34], s[80:81], s[78:79]
	s_mov_b32 s78, 0x8c0fe741
	s_mov_b32 s79, 0xbf4380cb
	v_cndmask_b32_e32 v31, v31, v27, vcc_lo
	v_cmp_neq_f64_e32 vcc_lo, 0, v[7:8]
	s_mov_b32 s80, 0xdd17e945
	s_mov_b32 s81, 0x3f00bfec
	s_delay_alu instid0(VALU_DEP_2) | instskip(NEXT) | instid1(VALU_DEP_4)
	v_add_f64 v[31:32], v[31:32], -1.0
	v_fma_f64 v[35:36], v[33:34], v[35:36], s[78:79]
	s_mov_b32 s78, 0x98cf38b6
	s_mov_b32 s79, 0x3f4a019f
	s_delay_alu instid0(VALU_DEP_2) | instskip(NEXT) | instid1(VALU_DEP_3)
	v_cndmask_b32_e32 v32, 0xfff00000, v32, vcc_lo
	v_cndmask_b32_e32 v31, 0, v31, vcc_lo
	s_delay_alu instid0(VALU_DEP_3)
	v_fma_f64 v[35:36], v[33:34], v[35:36], s[78:79]
	s_mov_b32 s78, 0x16b02e5c
	s_mov_b32 s79, 0xbf66c16c
	s_delay_alu instid0(VALU_DEP_1) | instid1(SALU_CYCLE_1)
	v_fma_f64 v[35:36], v[33:34], v[35:36], s[78:79]
	s_mov_b32 s78, 0x5555553b
	s_mov_b32 s79, 0x3fb55555
	s_delay_alu instid0(VALU_DEP_1) | instid1(SALU_CYCLE_1)
	;; [unrolled: 4-line block ×3, first 2 shown]
	v_fma_f64 v[29:30], v[29:30], v[33:34], s[78:79]
	v_add_f64 v[33:34], |v[7:8]|, -0.5
	s_mov_b32 s78, 0x7368f239
	s_mov_b32 s79, 0x3f5e26b6
	s_delay_alu instid0(VALU_DEP_1)
	v_fma_f64 v[29:30], v[33:34], v[31:32], v[29:30]
.LBB12_121:                             ;   in Loop: Header=BB12_4 Depth=1
	s_or_b32 exec_lo, exec_lo, s6
.LBB12_122:                             ;   in Loop: Header=BB12_4 Depth=1
	s_and_not1_saveexec_b32 s77, s7
	s_cbranch_execz .LBB12_124
; %bb.123:                              ;   in Loop: Header=BB12_4 Depth=1
	v_cvt_i32_f64_e32 v2, v[27:28]
	s_mov_b32 s6, 0xca41a95b
	s_mov_b32 s82, 0xa5b38140
	;; [unrolled: 1-line block ×6, first 2 shown]
	s_delay_alu instid0(VALU_DEP_1) | instskip(NEXT) | instid1(VALU_DEP_1)
	v_cvt_f64_i32_e32 v[29:30], v2
	v_add_f64 v[29:30], |v[7:8]|, -v[29:30]
	s_delay_alu instid0(VALU_DEP_1)
	v_fma_f64 v[31:32], v[29:30], s[80:81], s[78:79]
	v_fma_f64 v[33:34], v[29:30], s[82:83], s[6:7]
	s_mov_b32 s6, 0x7e939961
	s_mov_b32 s7, 0x3f9b481c
	s_delay_alu instid0(VALU_DEP_2) | instid1(SALU_CYCLE_1)
	v_fma_f64 v[31:32], v[29:30], v[31:32], s[6:7]
	s_mov_b32 s6, 0x742ed475
	s_mov_b32 s7, 0x3f9317ea
	s_delay_alu instid0(VALU_DEP_2) | instid1(SALU_CYCLE_1)
	;; [unrolled: 4-line block ×8, first 2 shown]
	v_fma_f64 v[33:34], v[29:30], v[33:34], s[6:7]
	s_delay_alu instid0(VALU_DEP_2) | instskip(NEXT) | instid1(VALU_DEP_2)
	v_fma_f64 v[31:32], v[29:30], v[31:32], s[8:9]
	v_fma_f64 v[33:34], v[29:30], v[33:34], 1.0
	s_delay_alu instid0(VALU_DEP_2) | instskip(NEXT) | instid1(VALU_DEP_1)
	v_mul_f64 v[31:32], v[29:30], v[31:32]
	v_div_scale_f64 v[35:36], null, v[33:34], v[33:34], v[31:32]
	s_delay_alu instid0(VALU_DEP_1) | instskip(SKIP_2) | instid1(VALU_DEP_1)
	v_rcp_f64_e32 v[43:44], v[35:36]
	s_waitcnt_depctr 0xfff
	v_fma_f64 v[45:46], -v[35:36], v[43:44], 1.0
	v_fma_f64 v[43:44], v[43:44], v[45:46], v[43:44]
	s_delay_alu instid0(VALU_DEP_1) | instskip(NEXT) | instid1(VALU_DEP_1)
	v_fma_f64 v[45:46], -v[35:36], v[43:44], 1.0
	v_fma_f64 v[43:44], v[43:44], v[45:46], v[43:44]
	v_div_scale_f64 v[45:46], vcc_lo, v[31:32], v[33:34], v[31:32]
	s_delay_alu instid0(VALU_DEP_1) | instskip(NEXT) | instid1(VALU_DEP_1)
	v_mul_f64 v[47:48], v[45:46], v[43:44]
	v_fma_f64 v[35:36], -v[35:36], v[47:48], v[45:46]
	s_delay_alu instid0(VALU_DEP_1) | instskip(SKIP_1) | instid1(VALU_DEP_2)
	v_div_fmas_f64 v[35:36], v[35:36], v[43:44], v[47:48]
	v_cmp_lt_i32_e32 vcc_lo, 2, v2
	v_div_fixup_f64 v[31:32], v[35:36], v[33:34], v[31:32]
	v_add_f64 v[33:34], v[29:30], 2.0
	v_add_f64 v[35:36], 0x40080000, v[29:30]
	s_delay_alu instid0(VALU_DEP_2) | instskip(NEXT) | instid1(VALU_DEP_3)
	v_cndmask_b32_e32 v34, 0x3ff00000, v34, vcc_lo
	v_cndmask_b32_e32 v33, 0, v33, vcc_lo
	v_cmp_lt_i32_e32 vcc_lo, 3, v2
	s_delay_alu instid0(VALU_DEP_4) | instskip(SKIP_2) | instid1(VALU_DEP_2)
	v_cndmask_b32_e32 v36, 0x3ff00000, v36, vcc_lo
	v_cndmask_b32_e32 v35, 0, v35, vcc_lo
	v_cmp_lt_i32_e32 vcc_lo, 4, v2
	v_mul_f64 v[33:34], v[33:34], v[35:36]
	v_add_f64 v[35:36], v[29:30], 4.0
	s_delay_alu instid0(VALU_DEP_1) | instskip(NEXT) | instid1(VALU_DEP_2)
	v_cndmask_b32_e32 v36, 0x3ff00000, v36, vcc_lo
	v_cndmask_b32_e32 v35, 0, v35, vcc_lo
	v_cmp_lt_i32_e32 vcc_lo, 5, v2
	s_delay_alu instid0(VALU_DEP_2) | instskip(SKIP_1) | instid1(VALU_DEP_1)
	v_mul_f64 v[33:34], v[35:36], v[33:34]
	v_add_f64 v[35:36], 0x40140000, v[29:30]
	v_cndmask_b32_e32 v36, 0x3ff00000, v36, vcc_lo
	s_delay_alu instid0(VALU_DEP_2) | instskip(SKIP_1) | instid1(VALU_DEP_2)
	v_cndmask_b32_e32 v35, 0, v35, vcc_lo
	v_cmp_lt_i32_e32 vcc_lo, 6, v2
	v_mul_f64 v[33:34], v[35:36], v[33:34]
	v_add_f64 v[35:36], 0x40180000, v[29:30]
	v_fma_f64 v[29:30], v[29:30], 0.5, v[31:32]
	s_delay_alu instid0(VALU_DEP_2) | instskip(NEXT) | instid1(VALU_DEP_3)
	v_cndmask_b32_e32 v36, 0x3ff00000, v36, vcc_lo
	v_cndmask_b32_e32 v35, 0, v35, vcc_lo
	s_delay_alu instid0(VALU_DEP_1) | instskip(NEXT) | instid1(VALU_DEP_1)
	v_mul_f64 v[33:34], v[35:36], v[33:34]
	v_frexp_mant_f64_e32 v[35:36], v[33:34]
	v_cmp_ngt_f64_e64 s6, 0, v[33:34]
	v_cmp_nge_f64_e64 s7, 0, v[33:34]
	v_cmp_neq_f64_e64 s8, 0, v[33:34]
	s_delay_alu instid0(VALU_DEP_4) | instskip(SKIP_1) | instid1(VALU_DEP_1)
	v_cmp_gt_f64_e32 vcc_lo, s[70:71], v[35:36]
	v_cndmask_b32_e64 v2, 0x3ff00000, 2.0, vcc_lo
	v_mul_f64 v[35:36], v[35:36], v[1:2]
	v_frexp_exp_i32_f64_e32 v2, v[33:34]
	s_delay_alu instid0(VALU_DEP_2) | instskip(NEXT) | instid1(VALU_DEP_2)
	v_add_f64 v[43:44], v[35:36], 1.0
	v_subrev_co_ci_u32_e32 v2, vcc_lo, 0, v2, vcc_lo
	v_cmp_class_f64_e64 vcc_lo, v[33:34], 0x204
	s_delay_alu instid0(VALU_DEP_3) | instskip(SKIP_2) | instid1(VALU_DEP_1)
	v_rcp_f64_e32 v[45:46], v[43:44]
	s_waitcnt_depctr 0xfff
	v_fma_f64 v[47:48], -v[43:44], v[45:46], 1.0
	v_fma_f64 v[45:46], v[47:48], v[45:46], v[45:46]
	s_delay_alu instid0(VALU_DEP_1) | instskip(NEXT) | instid1(VALU_DEP_1)
	v_fma_f64 v[47:48], -v[43:44], v[45:46], 1.0
	v_fma_f64 v[45:46], v[47:48], v[45:46], v[45:46]
	v_add_f64 v[47:48], v[43:44], -1.0
	s_delay_alu instid0(VALU_DEP_1) | instskip(SKIP_1) | instid1(VALU_DEP_1)
	v_add_f64 v[47:48], v[35:36], -v[47:48]
	v_add_f64 v[35:36], v[35:36], -1.0
	v_mul_f64 v[49:50], v[35:36], v[45:46]
	s_delay_alu instid0(VALU_DEP_1) | instskip(NEXT) | instid1(VALU_DEP_1)
	v_mul_f64 v[51:52], v[43:44], v[49:50]
	v_fma_f64 v[43:44], v[49:50], v[43:44], -v[51:52]
	s_delay_alu instid0(VALU_DEP_1) | instskip(NEXT) | instid1(VALU_DEP_1)
	v_fma_f64 v[43:44], v[49:50], v[47:48], v[43:44]
	v_add_f64 v[47:48], v[51:52], v[43:44]
	s_delay_alu instid0(VALU_DEP_1) | instskip(NEXT) | instid1(VALU_DEP_1)
	v_add_f64 v[51:52], v[47:48], -v[51:52]
	v_add_f64 v[43:44], v[51:52], -v[43:44]
	v_add_f64 v[51:52], v[35:36], -v[47:48]
	s_delay_alu instid0(VALU_DEP_1) | instskip(NEXT) | instid1(VALU_DEP_1)
	v_add_f64 v[35:36], v[35:36], -v[51:52]
	v_add_f64 v[35:36], v[35:36], -v[47:48]
	s_delay_alu instid0(VALU_DEP_1) | instskip(SKIP_1) | instid1(VALU_DEP_2)
	v_add_f64 v[35:36], v[43:44], v[35:36]
	v_cvt_f64_i32_e32 v[43:44], v2
	v_add_f64 v[35:36], v[51:52], v[35:36]
	s_delay_alu instid0(VALU_DEP_1) | instskip(NEXT) | instid1(VALU_DEP_3)
	v_mul_f64 v[35:36], v[45:46], v[35:36]
	v_mul_f64 v[45:46], v[43:44], s[28:29]
	s_delay_alu instid0(VALU_DEP_1) | instskip(NEXT) | instid1(VALU_DEP_1)
	v_fma_f64 v[47:48], v[43:44], s[28:29], -v[45:46]
	v_fma_f64 v[43:44], v[43:44], s[30:31], v[47:48]
	s_delay_alu instid0(VALU_DEP_4) | instskip(NEXT) | instid1(VALU_DEP_1)
	v_add_f64 v[47:48], v[49:50], v[35:36]
	v_add_f64 v[49:50], v[47:48], -v[49:50]
	s_delay_alu instid0(VALU_DEP_1) | instskip(SKIP_1) | instid1(VALU_DEP_2)
	v_add_f64 v[35:36], v[35:36], -v[49:50]
	v_mul_f64 v[49:50], v[47:48], v[47:48]
	v_ldexp_f64 v[35:36], v[35:36], 1
	s_delay_alu instid0(VALU_DEP_2) | instskip(NEXT) | instid1(VALU_DEP_1)
	v_fma_f64 v[51:52], v[49:50], s[18:19], s[16:17]
	v_fma_f64 v[51:52], v[49:50], v[51:52], s[20:21]
	s_delay_alu instid0(VALU_DEP_1) | instskip(NEXT) | instid1(VALU_DEP_1)
	v_fma_f64 v[51:52], v[49:50], v[51:52], s[22:23]
	v_fma_f64 v[51:52], v[49:50], v[51:52], s[24:25]
	s_delay_alu instid0(VALU_DEP_1) | instskip(NEXT) | instid1(VALU_DEP_1)
	v_fma_f64 v[51:52], v[49:50], v[51:52], s[26:27]
	v_fma_f64 v[51:52], v[49:50], v[51:52], s[14:15]
	v_mul_f64 v[49:50], v[47:48], v[49:50]
	v_ldexp_f64 v[47:48], v[47:48], 1
	s_delay_alu instid0(VALU_DEP_2) | instskip(NEXT) | instid1(VALU_DEP_1)
	v_mul_f64 v[49:50], v[49:50], v[51:52]
	v_add_f64 v[51:52], v[47:48], v[49:50]
	s_delay_alu instid0(VALU_DEP_1) | instskip(NEXT) | instid1(VALU_DEP_1)
	v_add_f64 v[47:48], v[51:52], -v[47:48]
	v_add_f64 v[47:48], v[49:50], -v[47:48]
	s_delay_alu instid0(VALU_DEP_1) | instskip(SKIP_1) | instid1(VALU_DEP_1)
	v_add_f64 v[35:36], v[35:36], v[47:48]
	v_add_f64 v[47:48], v[45:46], v[43:44]
	v_add_f64 v[45:46], v[47:48], -v[45:46]
	s_delay_alu instid0(VALU_DEP_1) | instskip(NEXT) | instid1(VALU_DEP_4)
	v_add_f64 v[43:44], v[43:44], -v[45:46]
	v_add_f64 v[45:46], v[51:52], v[35:36]
	s_delay_alu instid0(VALU_DEP_1) | instskip(SKIP_1) | instid1(VALU_DEP_2)
	v_add_f64 v[49:50], v[45:46], -v[51:52]
	v_add_f64 v[51:52], v[47:48], v[45:46]
	v_add_f64 v[35:36], v[35:36], -v[49:50]
	s_delay_alu instid0(VALU_DEP_2) | instskip(NEXT) | instid1(VALU_DEP_1)
	v_add_f64 v[53:54], v[51:52], -v[47:48]
	v_add_f64 v[45:46], v[45:46], -v[53:54]
	;; [unrolled: 1-line block ×3, first 2 shown]
	s_delay_alu instid0(VALU_DEP_1) | instskip(NEXT) | instid1(VALU_DEP_1)
	v_add_f64 v[47:48], v[47:48], -v[53:54]
	v_add_f64 v[45:46], v[45:46], v[47:48]
	v_add_f64 v[47:48], v[43:44], v[35:36]
	s_delay_alu instid0(VALU_DEP_1) | instskip(NEXT) | instid1(VALU_DEP_3)
	v_add_f64 v[49:50], v[47:48], -v[43:44]
	v_add_f64 v[45:46], v[47:48], v[45:46]
	s_delay_alu instid0(VALU_DEP_2) | instskip(SKIP_1) | instid1(VALU_DEP_1)
	v_add_f64 v[35:36], v[35:36], -v[49:50]
	v_add_f64 v[49:50], v[47:48], -v[49:50]
	;; [unrolled: 1-line block ×3, first 2 shown]
	s_delay_alu instid0(VALU_DEP_1) | instskip(SKIP_1) | instid1(VALU_DEP_1)
	v_add_f64 v[35:36], v[35:36], v[43:44]
	v_add_f64 v[43:44], v[51:52], v[45:46]
	v_add_f64 v[47:48], v[43:44], -v[51:52]
	s_delay_alu instid0(VALU_DEP_1) | instskip(NEXT) | instid1(VALU_DEP_1)
	v_add_f64 v[45:46], v[45:46], -v[47:48]
	v_add_f64 v[35:36], v[35:36], v[45:46]
	s_delay_alu instid0(VALU_DEP_1) | instskip(NEXT) | instid1(VALU_DEP_1)
	v_add_f64 v[31:32], v[43:44], v[35:36]
	v_dual_cndmask_b32 v2, v32, v34 :: v_dual_cndmask_b32 v15, v31, v33
	s_delay_alu instid0(VALU_DEP_1) | instskip(NEXT) | instid1(VALU_DEP_2)
	v_cndmask_b32_e64 v2, 0x7ff80000, v2, s6
	v_cndmask_b32_e64 v31, 0, v15, s7
	s_delay_alu instid0(VALU_DEP_2) | instskip(NEXT) | instid1(VALU_DEP_1)
	v_cndmask_b32_e64 v32, 0xfff00000, v2, s8
	v_add_f64 v[29:30], v[29:30], v[31:32]
.LBB12_124:                             ;   in Loop: Header=BB12_4 Depth=1
	s_or_b32 exec_lo, exec_lo, s77
.LBB12_125:                             ;   in Loop: Header=BB12_4 Depth=1
	s_and_not1_saveexec_b32 s76, s76
	s_cbranch_execz .LBB12_139
; %bb.126:                              ;   in Loop: Header=BB12_4 Depth=1
	s_mov_b32 s8, exec_lo
                                        ; implicit-def: $sgpr6_sgpr7
                                        ; implicit-def: $vgpr2
                                        ; implicit-def: $vgpr31_vgpr32
	v_cmpx_lt_u32_e32 0x3feccccc, v28
	s_xor_b32 s8, exec_lo, s8
	s_cbranch_execz .LBB12_128
; %bb.127:                              ;   in Loop: Header=BB12_4 Depth=1
	s_mov_b32 s6, 0x6356be3f
	s_mov_b32 s7, 0xbff762d8
	v_add_f64 v[29:30], -|v[7:8]|, 2.0
	v_add_f64 v[31:32], |v[7:8]|, s[6:7]
	v_add_f64 v[33:34], |v[7:8]|, -1.0
	v_cmp_gt_u32_e32 vcc_lo, 0x3ffbb4c3, v28
	v_cmp_gt_u32_e64 s6, 0x3ff3b4c4, v28
	v_cndmask_b32_e64 v19, 0, 1, vcc_lo
	v_dual_cndmask_b32 v2, v30, v32 :: v_dual_cndmask_b32 v15, v29, v31
	s_delay_alu instid0(VALU_DEP_1) | instskip(NEXT) | instid1(VALU_DEP_2)
	v_cndmask_b32_e64 v32, v2, v34, s6
	v_cndmask_b32_e64 v31, v15, v33, s6
	s_delay_alu instid0(VALU_DEP_4)
	v_cndmask_b32_e64 v2, v19, 2, s6
	s_mov_b64 s[6:7], 0
.LBB12_128:                             ;   in Loop: Header=BB12_4 Depth=1
	s_or_saveexec_b32 s77, s8
	v_dual_mov_b32 v30, s7 :: v_dual_mov_b32 v29, s6
	s_xor_b32 exec_lo, exec_lo, s77
	s_cbranch_execz .LBB12_130
; %bb.129:                              ;   in Loop: Header=BB12_4 Depth=1
	v_frexp_mant_f64_e64 v[29:30], |v[7:8]|
	s_mov_b32 s15, s71
	s_mov_b32 s6, 0x8d5af8fc
	;; [unrolled: 1-line block ×3, first 2 shown]
	v_cmp_gt_u32_e64 s8, 0x3fcda661, v28
	s_delay_alu instid0(VALU_DEP_2) | instskip(SKIP_1) | instid1(VALU_DEP_1)
	v_cmp_gt_f64_e32 vcc_lo, s[70:71], v[29:30]
	v_cndmask_b32_e64 v2, 0x3ff00000, 2.0, vcc_lo
	v_mul_f64 v[29:30], v[29:30], v[1:2]
	v_frexp_exp_i32_f64_e32 v2, v[7:8]
	s_delay_alu instid0(VALU_DEP_2) | instskip(NEXT) | instid1(VALU_DEP_2)
	v_add_f64 v[31:32], v[29:30], 1.0
	v_subrev_co_ci_u32_e32 v2, vcc_lo, 0, v2, vcc_lo
	v_cmp_class_f64_e64 vcc_lo, v[7:8], 0x204
	s_delay_alu instid0(VALU_DEP_3) | instskip(SKIP_2) | instid1(VALU_DEP_1)
	v_rcp_f64_e32 v[33:34], v[31:32]
	s_waitcnt_depctr 0xfff
	v_fma_f64 v[35:36], -v[31:32], v[33:34], 1.0
	v_fma_f64 v[33:34], v[35:36], v[33:34], v[33:34]
	s_delay_alu instid0(VALU_DEP_1) | instskip(NEXT) | instid1(VALU_DEP_1)
	v_fma_f64 v[35:36], -v[31:32], v[33:34], 1.0
	v_fma_f64 v[33:34], v[35:36], v[33:34], v[33:34]
	v_add_f64 v[35:36], v[31:32], -1.0
	s_delay_alu instid0(VALU_DEP_1) | instskip(SKIP_1) | instid1(VALU_DEP_1)
	v_add_f64 v[35:36], v[29:30], -v[35:36]
	v_add_f64 v[29:30], v[29:30], -1.0
	v_mul_f64 v[43:44], v[29:30], v[33:34]
	s_delay_alu instid0(VALU_DEP_1) | instskip(NEXT) | instid1(VALU_DEP_1)
	v_mul_f64 v[45:46], v[31:32], v[43:44]
	v_fma_f64 v[31:32], v[43:44], v[31:32], -v[45:46]
	s_delay_alu instid0(VALU_DEP_1) | instskip(NEXT) | instid1(VALU_DEP_1)
	v_fma_f64 v[31:32], v[43:44], v[35:36], v[31:32]
	v_add_f64 v[35:36], v[45:46], v[31:32]
	s_delay_alu instid0(VALU_DEP_1) | instskip(NEXT) | instid1(VALU_DEP_1)
	v_add_f64 v[45:46], v[35:36], -v[45:46]
	v_add_f64 v[31:32], v[45:46], -v[31:32]
	;; [unrolled: 1-line block ×3, first 2 shown]
	s_delay_alu instid0(VALU_DEP_1) | instskip(NEXT) | instid1(VALU_DEP_1)
	v_add_f64 v[29:30], v[29:30], -v[45:46]
	v_add_f64 v[29:30], v[29:30], -v[35:36]
	s_delay_alu instid0(VALU_DEP_1) | instskip(SKIP_1) | instid1(VALU_DEP_2)
	v_add_f64 v[29:30], v[31:32], v[29:30]
	v_cvt_f64_i32_e32 v[31:32], v2
	v_add_f64 v[29:30], v[45:46], v[29:30]
	s_delay_alu instid0(VALU_DEP_1) | instskip(NEXT) | instid1(VALU_DEP_3)
	v_mul_f64 v[29:30], v[33:34], v[29:30]
	v_mul_f64 v[33:34], v[31:32], s[28:29]
	s_delay_alu instid0(VALU_DEP_1) | instskip(NEXT) | instid1(VALU_DEP_1)
	v_fma_f64 v[35:36], v[31:32], s[28:29], -v[33:34]
	v_fma_f64 v[31:32], v[31:32], s[30:31], v[35:36]
	s_delay_alu instid0(VALU_DEP_4) | instskip(NEXT) | instid1(VALU_DEP_1)
	v_add_f64 v[35:36], v[43:44], v[29:30]
	v_add_f64 v[43:44], v[35:36], -v[43:44]
	s_delay_alu instid0(VALU_DEP_1) | instskip(SKIP_1) | instid1(VALU_DEP_2)
	v_add_f64 v[29:30], v[29:30], -v[43:44]
	v_mul_f64 v[43:44], v[35:36], v[35:36]
	v_ldexp_f64 v[29:30], v[29:30], 1
	s_delay_alu instid0(VALU_DEP_2) | instskip(NEXT) | instid1(VALU_DEP_1)
	v_fma_f64 v[45:46], v[43:44], s[18:19], s[16:17]
	v_fma_f64 v[45:46], v[43:44], v[45:46], s[20:21]
	s_delay_alu instid0(VALU_DEP_1) | instskip(NEXT) | instid1(VALU_DEP_1)
	v_fma_f64 v[45:46], v[43:44], v[45:46], s[22:23]
	v_fma_f64 v[45:46], v[43:44], v[45:46], s[24:25]
	s_delay_alu instid0(VALU_DEP_1) | instskip(NEXT) | instid1(VALU_DEP_1)
	v_fma_f64 v[45:46], v[43:44], v[45:46], s[26:27]
	v_fma_f64 v[45:46], v[43:44], v[45:46], s[14:15]
	v_mul_f64 v[43:44], v[35:36], v[43:44]
	v_ldexp_f64 v[35:36], v[35:36], 1
	s_delay_alu instid0(VALU_DEP_2) | instskip(NEXT) | instid1(VALU_DEP_1)
	v_mul_f64 v[43:44], v[43:44], v[45:46]
	v_add_f64 v[45:46], v[35:36], v[43:44]
	s_delay_alu instid0(VALU_DEP_1) | instskip(NEXT) | instid1(VALU_DEP_1)
	v_add_f64 v[35:36], v[45:46], -v[35:36]
	v_add_f64 v[35:36], v[43:44], -v[35:36]
	s_delay_alu instid0(VALU_DEP_1) | instskip(SKIP_1) | instid1(VALU_DEP_1)
	v_add_f64 v[29:30], v[29:30], v[35:36]
	v_add_f64 v[35:36], v[33:34], v[31:32]
	v_add_f64 v[33:34], v[35:36], -v[33:34]
	s_delay_alu instid0(VALU_DEP_1) | instskip(NEXT) | instid1(VALU_DEP_4)
	v_add_f64 v[31:32], v[31:32], -v[33:34]
	v_add_f64 v[33:34], v[45:46], v[29:30]
	s_delay_alu instid0(VALU_DEP_1) | instskip(SKIP_1) | instid1(VALU_DEP_2)
	v_add_f64 v[43:44], v[33:34], -v[45:46]
	v_add_f64 v[45:46], v[35:36], v[33:34]
	v_add_f64 v[29:30], v[29:30], -v[43:44]
	s_delay_alu instid0(VALU_DEP_2) | instskip(NEXT) | instid1(VALU_DEP_1)
	v_add_f64 v[47:48], v[45:46], -v[35:36]
	v_add_f64 v[33:34], v[33:34], -v[47:48]
	;; [unrolled: 1-line block ×3, first 2 shown]
	s_delay_alu instid0(VALU_DEP_1) | instskip(NEXT) | instid1(VALU_DEP_1)
	v_add_f64 v[35:36], v[35:36], -v[47:48]
	v_add_f64 v[33:34], v[33:34], v[35:36]
	v_add_f64 v[35:36], v[31:32], v[29:30]
	s_delay_alu instid0(VALU_DEP_1) | instskip(NEXT) | instid1(VALU_DEP_3)
	v_add_f64 v[43:44], v[35:36], -v[31:32]
	v_add_f64 v[33:34], v[35:36], v[33:34]
	s_delay_alu instid0(VALU_DEP_2) | instskip(SKIP_1) | instid1(VALU_DEP_1)
	v_add_f64 v[29:30], v[29:30], -v[43:44]
	v_add_f64 v[43:44], v[35:36], -v[43:44]
	;; [unrolled: 1-line block ×3, first 2 shown]
	s_delay_alu instid0(VALU_DEP_1) | instskip(SKIP_1) | instid1(VALU_DEP_1)
	v_add_f64 v[29:30], v[29:30], v[31:32]
	v_add_f64 v[31:32], v[45:46], v[33:34]
	v_add_f64 v[35:36], v[31:32], -v[45:46]
	s_delay_alu instid0(VALU_DEP_1) | instskip(NEXT) | instid1(VALU_DEP_1)
	v_add_f64 v[33:34], v[33:34], -v[35:36]
	v_add_f64 v[29:30], v[29:30], v[33:34]
	v_add_f64 v[33:34], -|v[7:8]|, 1.0
	s_delay_alu instid0(VALU_DEP_2) | instskip(SKIP_3) | instid1(VALU_DEP_1)
	v_add_f64 v[29:30], v[31:32], v[29:30]
	v_add_f64 v[31:32], |v[7:8]|, s[6:7]
	v_cmp_neq_f64_e64 s6, 0, v[7:8]
	v_cmp_gt_u32_e64 s7, 0x3fe76944, v28
	v_cndmask_b32_e64 v27, 0, 1, s7
	v_cndmask_b32_e64 v19, -v30, -v28, vcc_lo
	v_cndmask_b32_e64 v2, v34, v32, s7
	v_cndmask_b32_e64 v15, v33, v31, s7
	v_cndmask_b32_e32 v23, v29, v7, vcc_lo
	s_delay_alu instid0(VALU_DEP_4) | instskip(NEXT) | instid1(VALU_DEP_4)
	v_cndmask_b32_e64 v30, 0x7ff00000, v19, s6
	v_cndmask_b32_e64 v32, v2, v28, s8
	s_delay_alu instid0(VALU_DEP_4) | instskip(NEXT) | instid1(VALU_DEP_4)
	v_cndmask_b32_e64 v31, v15, v7, s8
	v_cndmask_b32_e64 v29, 0, v23, s6
	;; [unrolled: 1-line block ×3, first 2 shown]
.LBB12_130:                             ;   in Loop: Header=BB12_4 Depth=1
	s_or_b32 exec_lo, exec_lo, s77
	s_delay_alu instid0(SALU_CYCLE_1) | instskip(NEXT) | instid1(VALU_DEP_1)
	s_mov_b32 s6, exec_lo
                                        ; implicit-def: $vgpr35_vgpr36
	v_cmpx_lt_i32_e32 1, v2
	s_xor_b32 s6, exec_lo, s6
	s_cbranch_execz .LBB12_132
; %bb.131:                              ;   in Loop: Header=BB12_4 Depth=1
	s_mov_b32 s82, 0xf6010924
	s_mov_b32 s84, 0xbf2bab09
	;; [unrolled: 1-line block ×4, first 2 shown]
	v_fma_f64 v[35:36], v[31:32], s[90:91], s[88:89]
	v_fma_f64 v[33:34], v[31:32], s[84:85], s[82:83]
	s_mov_b32 s82, 0x44ea8450
	s_mov_b32 s83, 0x3fef4976
	;; [unrolled: 1-line block ×3, first 2 shown]
                                        ; implicit-def: $vgpr2
	s_delay_alu instid0(VALU_DEP_2) | instskip(NEXT) | instid1(VALU_DEP_2)
	v_fma_f64 v[35:36], v[31:32], v[35:36], s[92:93]
	v_fma_f64 v[33:34], v[31:32], v[33:34], s[82:83]
	s_mov_b32 s82, 0xd119bd6f
	s_mov_b32 s83, 0x3ff7475c
	s_delay_alu instid0(VALU_DEP_2) | instskip(NEXT) | instid1(VALU_DEP_2)
	v_fma_f64 v[35:36], v[31:32], v[35:36], s[94:95]
	v_fma_f64 v[33:34], v[31:32], v[33:34], s[82:83]
	s_delay_alu instid0(VALU_DEP_2) | instskip(NEXT) | instid1(VALU_DEP_2)
	v_fma_f64 v[35:36], v[31:32], v[35:36], s[96:97]
	v_fma_f64 v[33:34], v[31:32], v[33:34], s[86:87]
	s_delay_alu instid0(VALU_DEP_2) | instskip(NEXT) | instid1(VALU_DEP_2)
	v_fma_f64 v[35:36], v[31:32], v[35:36], 1.0
	v_fma_f64 v[33:34], v[31:32], v[33:34], s[8:9]
	s_delay_alu instid0(VALU_DEP_1) | instskip(NEXT) | instid1(VALU_DEP_1)
	v_mul_f64 v[33:34], v[31:32], v[33:34]
	v_div_scale_f64 v[43:44], null, v[35:36], v[35:36], v[33:34]
	s_delay_alu instid0(VALU_DEP_1) | instskip(SKIP_2) | instid1(VALU_DEP_1)
	v_rcp_f64_e32 v[45:46], v[43:44]
	s_waitcnt_depctr 0xfff
	v_fma_f64 v[47:48], -v[43:44], v[45:46], 1.0
	v_fma_f64 v[45:46], v[45:46], v[47:48], v[45:46]
	s_delay_alu instid0(VALU_DEP_1) | instskip(NEXT) | instid1(VALU_DEP_1)
	v_fma_f64 v[47:48], -v[43:44], v[45:46], 1.0
	v_fma_f64 v[45:46], v[45:46], v[47:48], v[45:46]
	v_div_scale_f64 v[47:48], vcc_lo, v[33:34], v[35:36], v[33:34]
	s_delay_alu instid0(VALU_DEP_1) | instskip(NEXT) | instid1(VALU_DEP_1)
	v_mul_f64 v[49:50], v[47:48], v[45:46]
	v_fma_f64 v[43:44], -v[43:44], v[49:50], v[47:48]
	s_delay_alu instid0(VALU_DEP_1) | instskip(NEXT) | instid1(VALU_DEP_1)
	v_div_fmas_f64 v[43:44], v[43:44], v[45:46], v[49:50]
	v_div_fixup_f64 v[33:34], v[43:44], v[35:36], v[33:34]
	s_delay_alu instid0(VALU_DEP_1)
	v_fma_f64 v[35:36], v[31:32], -0.5, v[33:34]
                                        ; implicit-def: $vgpr31_vgpr32
.LBB12_132:                             ;   in Loop: Header=BB12_4 Depth=1
	s_and_not1_saveexec_b32 s6, s6
	s_cbranch_execz .LBB12_138
; %bb.133:                              ;   in Loop: Header=BB12_4 Depth=1
	v_mul_f64 v[33:34], v[31:32], v[31:32]
	s_mov_b32 s7, exec_lo
                                        ; implicit-def: $vgpr35_vgpr36
	v_cmpx_ne_u32_e32 1, v2
	s_xor_b32 s7, exec_lo, s7
	s_cbranch_execz .LBB12_135
; %bb.134:                              ;   in Loop: Header=BB12_4 Depth=1
	s_mov_b32 s82, 0x987dfb07
	s_mov_b32 s84, 0x90a45837
	;; [unrolled: 1-line block ×4, first 2 shown]
	s_delay_alu instid0(VALU_DEP_2) | instid1(SALU_CYCLE_1)
	v_fma_f64 v[35:36], v[33:34], s[84:85], s[82:83]
	s_mov_b32 s82, 0xed10e54d
	s_mov_b32 s84, 0x428cfa52
	;; [unrolled: 1-line block ×4, first 2 shown]
	s_delay_alu instid0(SALU_CYCLE_1)
	v_fma_f64 v[43:44], v[33:34], s[84:85], s[82:83]
	s_mov_b32 s82, 0x89b99c00
	s_mov_b32 s83, 0x3f40b6c6
	s_delay_alu instid0(VALU_DEP_2) | instid1(SALU_CYCLE_1)
	v_fma_f64 v[35:36], v[33:34], v[35:36], s[82:83]
	s_mov_b32 s82, 0x116f3f5d
	s_mov_b32 s83, 0x3f538a94
	s_delay_alu instid0(VALU_DEP_2) | instid1(SALU_CYCLE_1)
	;; [unrolled: 4-line block ×7, first 2 shown]
	v_fma_f64 v[35:36], v[33:34], v[35:36], s[82:83]
	s_delay_alu instid0(VALU_DEP_2) | instskip(NEXT) | instid1(VALU_DEP_2)
	v_fma_f64 v[43:44], v[33:34], v[43:44], s[60:61]
	v_mul_f64 v[33:34], v[33:34], v[35:36]
	s_delay_alu instid0(VALU_DEP_1) | instskip(NEXT) | instid1(VALU_DEP_1)
	v_fma_f64 v[33:34], v[31:32], v[43:44], v[33:34]
	v_fma_f64 v[35:36], v[31:32], -0.5, v[33:34]
                                        ; implicit-def: $vgpr31_vgpr32
                                        ; implicit-def: $vgpr33_vgpr34
.LBB12_135:                             ;   in Loop: Header=BB12_4 Depth=1
	s_and_not1_saveexec_b32 s7, s7
	s_cbranch_execz .LBB12_137
; %bb.136:                              ;   in Loop: Header=BB12_4 Depth=1
	s_delay_alu instid0(VALU_DEP_2)
	v_mul_f64 v[35:36], v[31:32], v[33:34]
	s_mov_b32 s82, 0xef61a8e9
	s_mov_b32 s84, 0xecc38c38
	;; [unrolled: 1-line block ×4, first 2 shown]
	s_delay_alu instid0(VALU_DEP_1) | instid1(SALU_CYCLE_1)
	v_fma_f64 v[43:44], v[35:36], s[84:85], s[82:83]
	s_mov_b32 s82, 0x9c73e0ec
	s_mov_b32 s84, 0xe8c2d3f4
	;; [unrolled: 1-line block ×4, first 2 shown]
	s_delay_alu instid0(SALU_CYCLE_1) | instskip(SKIP_4) | instid1(VALU_DEP_2)
	v_fma_f64 v[45:46], v[35:36], s[84:85], s[82:83]
	s_mov_b32 s82, 0xb3e914d7
	s_mov_b32 s83, 0xbf6e2eff
	;; [unrolled: 1-line block ×4, first 2 shown]
	v_fma_f64 v[43:44], v[35:36], v[43:44], s[82:83]
	s_mov_b32 s82, 0x2e15c915
	s_mov_b32 s83, 0x3f6282d3
	s_delay_alu instid0(VALU_DEP_2) | instid1(SALU_CYCLE_1)
	v_fma_f64 v[45:46], v[35:36], v[45:46], s[82:83]
	s_mov_b32 s82, 0xbf2d1af1
	s_mov_b32 s83, 0xbf56fe8e
	s_delay_alu instid0(SALU_CYCLE_1)
	v_fma_f64 v[47:48], v[35:36], s[84:85], s[82:83]
	s_mov_b32 s82, 0x970af9ec
	s_mov_b32 s83, 0x3f9266e7
	s_delay_alu instid0(VALU_DEP_3) | instid1(SALU_CYCLE_1)
	v_fma_f64 v[43:44], v[35:36], v[43:44], s[82:83]
	s_mov_b32 s82, 0xba91ec6a
	s_mov_b32 s83, 0xbf851f9f
	s_delay_alu instid0(VALU_DEP_3) | instid1(SALU_CYCLE_1)
	;; [unrolled: 4-line block ×6, first 2 shown]
	v_fma_f64 v[47:48], v[35:36], v[47:48], s[82:83]
	s_mov_b32 s82, 0xc8ee38a2
	s_mov_b32 s83, 0x3fdef72b
	s_delay_alu instid0(VALU_DEP_2) | instskip(NEXT) | instid1(VALU_DEP_2)
	v_fma_f64 v[31:32], v[31:32], v[45:46], v[43:44]
	v_fma_f64 v[43:44], v[35:36], v[47:48], s[82:83]
	s_mov_b32 s82, 0xa48a971f
	s_mov_b32 s83, 0xbc50c7ca
	s_delay_alu instid0(VALU_DEP_2) | instid1(SALU_CYCLE_1)
	v_fma_f64 v[31:32], v[35:36], -v[31:32], s[82:83]
	s_mov_b32 s82, 0xbcc38a42
	s_mov_b32 s83, 0xbfbf19b9
	s_delay_alu instid0(VALU_DEP_1) | instskip(NEXT) | instid1(VALU_DEP_1)
	v_fma_f64 v[31:32], v[33:34], v[43:44], -v[31:32]
	v_add_f64 v[35:36], v[31:32], s[82:83]
.LBB12_137:                             ;   in Loop: Header=BB12_4 Depth=1
	s_or_b32 exec_lo, exec_lo, s7
.LBB12_138:                             ;   in Loop: Header=BB12_4 Depth=1
	s_delay_alu instid0(SALU_CYCLE_1) | instskip(NEXT) | instid1(VALU_DEP_1)
	s_or_b32 exec_lo, exec_lo, s6
	v_add_f64 v[29:30], v[29:30], v[35:36]
.LBB12_139:                             ;   in Loop: Header=BB12_4 Depth=1
	s_or_b32 exec_lo, exec_lo, s76
.LBB12_140:                             ;   in Loop: Header=BB12_4 Depth=1
	s_and_not1_saveexec_b32 s7, s75
	s_cbranch_execz .LBB12_142
; %bb.141:                              ;   in Loop: Header=BB12_4 Depth=1
	v_frexp_mant_f64_e64 v[29:30], |v[7:8]|
	s_mov_b32 s15, s71
	v_cmp_neq_f64_e64 s6, 0, v[7:8]
	s_delay_alu instid0(VALU_DEP_2) | instskip(SKIP_1) | instid1(VALU_DEP_1)
	v_cmp_gt_f64_e32 vcc_lo, s[70:71], v[29:30]
	v_cndmask_b32_e64 v2, 0x3ff00000, 2.0, vcc_lo
	v_mul_f64 v[29:30], v[29:30], v[1:2]
	v_frexp_exp_i32_f64_e32 v2, v[7:8]
	s_delay_alu instid0(VALU_DEP_2) | instskip(NEXT) | instid1(VALU_DEP_2)
	v_add_f64 v[31:32], v[29:30], 1.0
	v_subrev_co_ci_u32_e32 v2, vcc_lo, 0, v2, vcc_lo
	v_cmp_class_f64_e64 vcc_lo, v[7:8], 0x204
	s_delay_alu instid0(VALU_DEP_3) | instskip(SKIP_2) | instid1(VALU_DEP_1)
	v_rcp_f64_e32 v[33:34], v[31:32]
	s_waitcnt_depctr 0xfff
	v_fma_f64 v[35:36], -v[31:32], v[33:34], 1.0
	v_fma_f64 v[33:34], v[35:36], v[33:34], v[33:34]
	s_delay_alu instid0(VALU_DEP_1) | instskip(NEXT) | instid1(VALU_DEP_1)
	v_fma_f64 v[35:36], -v[31:32], v[33:34], 1.0
	v_fma_f64 v[33:34], v[35:36], v[33:34], v[33:34]
	v_add_f64 v[35:36], v[31:32], -1.0
	s_delay_alu instid0(VALU_DEP_1) | instskip(SKIP_1) | instid1(VALU_DEP_1)
	v_add_f64 v[35:36], v[29:30], -v[35:36]
	v_add_f64 v[29:30], v[29:30], -1.0
	v_mul_f64 v[43:44], v[29:30], v[33:34]
	s_delay_alu instid0(VALU_DEP_1) | instskip(NEXT) | instid1(VALU_DEP_1)
	v_mul_f64 v[45:46], v[31:32], v[43:44]
	v_fma_f64 v[31:32], v[43:44], v[31:32], -v[45:46]
	s_delay_alu instid0(VALU_DEP_1) | instskip(NEXT) | instid1(VALU_DEP_1)
	v_fma_f64 v[31:32], v[43:44], v[35:36], v[31:32]
	v_add_f64 v[35:36], v[45:46], v[31:32]
	s_delay_alu instid0(VALU_DEP_1) | instskip(NEXT) | instid1(VALU_DEP_1)
	v_add_f64 v[45:46], v[35:36], -v[45:46]
	v_add_f64 v[31:32], v[45:46], -v[31:32]
	;; [unrolled: 1-line block ×3, first 2 shown]
	s_delay_alu instid0(VALU_DEP_1) | instskip(NEXT) | instid1(VALU_DEP_1)
	v_add_f64 v[29:30], v[29:30], -v[45:46]
	v_add_f64 v[29:30], v[29:30], -v[35:36]
	s_delay_alu instid0(VALU_DEP_1) | instskip(SKIP_1) | instid1(VALU_DEP_2)
	v_add_f64 v[29:30], v[31:32], v[29:30]
	v_cvt_f64_i32_e32 v[31:32], v2
	v_add_f64 v[29:30], v[45:46], v[29:30]
	s_delay_alu instid0(VALU_DEP_1) | instskip(NEXT) | instid1(VALU_DEP_3)
	v_mul_f64 v[29:30], v[33:34], v[29:30]
	v_mul_f64 v[33:34], v[31:32], s[28:29]
	s_delay_alu instid0(VALU_DEP_1) | instskip(NEXT) | instid1(VALU_DEP_1)
	v_fma_f64 v[35:36], v[31:32], s[28:29], -v[33:34]
	v_fma_f64 v[31:32], v[31:32], s[30:31], v[35:36]
	s_delay_alu instid0(VALU_DEP_4) | instskip(NEXT) | instid1(VALU_DEP_1)
	v_add_f64 v[35:36], v[43:44], v[29:30]
	v_add_f64 v[43:44], v[35:36], -v[43:44]
	s_delay_alu instid0(VALU_DEP_1) | instskip(SKIP_1) | instid1(VALU_DEP_2)
	v_add_f64 v[29:30], v[29:30], -v[43:44]
	v_mul_f64 v[43:44], v[35:36], v[35:36]
	v_ldexp_f64 v[29:30], v[29:30], 1
	s_delay_alu instid0(VALU_DEP_2) | instskip(NEXT) | instid1(VALU_DEP_1)
	v_fma_f64 v[45:46], v[43:44], s[18:19], s[16:17]
	v_fma_f64 v[45:46], v[43:44], v[45:46], s[20:21]
	s_delay_alu instid0(VALU_DEP_1) | instskip(NEXT) | instid1(VALU_DEP_1)
	v_fma_f64 v[45:46], v[43:44], v[45:46], s[22:23]
	v_fma_f64 v[45:46], v[43:44], v[45:46], s[24:25]
	s_delay_alu instid0(VALU_DEP_1) | instskip(NEXT) | instid1(VALU_DEP_1)
	v_fma_f64 v[45:46], v[43:44], v[45:46], s[26:27]
	v_fma_f64 v[45:46], v[43:44], v[45:46], s[14:15]
	v_mul_f64 v[43:44], v[35:36], v[43:44]
	v_ldexp_f64 v[35:36], v[35:36], 1
	s_delay_alu instid0(VALU_DEP_2) | instskip(NEXT) | instid1(VALU_DEP_1)
	v_mul_f64 v[43:44], v[43:44], v[45:46]
	v_add_f64 v[45:46], v[35:36], v[43:44]
	s_delay_alu instid0(VALU_DEP_1) | instskip(NEXT) | instid1(VALU_DEP_1)
	v_add_f64 v[35:36], v[45:46], -v[35:36]
	v_add_f64 v[35:36], v[43:44], -v[35:36]
	s_delay_alu instid0(VALU_DEP_1) | instskip(SKIP_1) | instid1(VALU_DEP_1)
	v_add_f64 v[29:30], v[29:30], v[35:36]
	v_add_f64 v[35:36], v[33:34], v[31:32]
	v_add_f64 v[33:34], v[35:36], -v[33:34]
	s_delay_alu instid0(VALU_DEP_1) | instskip(NEXT) | instid1(VALU_DEP_4)
	v_add_f64 v[31:32], v[31:32], -v[33:34]
	v_add_f64 v[33:34], v[45:46], v[29:30]
	s_delay_alu instid0(VALU_DEP_1) | instskip(SKIP_1) | instid1(VALU_DEP_2)
	v_add_f64 v[43:44], v[33:34], -v[45:46]
	v_add_f64 v[45:46], v[35:36], v[33:34]
	v_add_f64 v[29:30], v[29:30], -v[43:44]
	s_delay_alu instid0(VALU_DEP_2) | instskip(NEXT) | instid1(VALU_DEP_1)
	v_add_f64 v[47:48], v[45:46], -v[35:36]
	v_add_f64 v[33:34], v[33:34], -v[47:48]
	;; [unrolled: 1-line block ×3, first 2 shown]
	s_delay_alu instid0(VALU_DEP_1) | instskip(NEXT) | instid1(VALU_DEP_1)
	v_add_f64 v[35:36], v[35:36], -v[47:48]
	v_add_f64 v[33:34], v[33:34], v[35:36]
	v_add_f64 v[35:36], v[31:32], v[29:30]
	s_delay_alu instid0(VALU_DEP_1) | instskip(NEXT) | instid1(VALU_DEP_3)
	v_add_f64 v[43:44], v[35:36], -v[31:32]
	v_add_f64 v[33:34], v[35:36], v[33:34]
	s_delay_alu instid0(VALU_DEP_2) | instskip(SKIP_1) | instid1(VALU_DEP_1)
	v_add_f64 v[29:30], v[29:30], -v[43:44]
	v_add_f64 v[43:44], v[35:36], -v[43:44]
	;; [unrolled: 1-line block ×3, first 2 shown]
	s_delay_alu instid0(VALU_DEP_1) | instskip(SKIP_1) | instid1(VALU_DEP_1)
	v_add_f64 v[29:30], v[29:30], v[31:32]
	v_add_f64 v[31:32], v[45:46], v[33:34]
	v_add_f64 v[35:36], v[31:32], -v[45:46]
	s_delay_alu instid0(VALU_DEP_1) | instskip(NEXT) | instid1(VALU_DEP_1)
	v_add_f64 v[33:34], v[33:34], -v[35:36]
	v_add_f64 v[29:30], v[29:30], v[33:34]
	v_fma_f64 v[33:34], |v[7:8]|, s[46:47], s[44:45]
	s_delay_alu instid0(VALU_DEP_2) | instskip(NEXT) | instid1(VALU_DEP_2)
	v_add_f64 v[29:30], v[31:32], v[29:30]
	v_fma_f64 v[33:34], |v[7:8]|, v[33:34], s[98:99]
	s_delay_alu instid0(VALU_DEP_2) | instskip(NEXT) | instid1(VALU_DEP_2)
	v_cndmask_b32_e64 v2, -v30, -v28, vcc_lo
	v_fma_f64 v[33:34], |v[7:8]|, v[33:34], s[100:101]
	s_delay_alu instid0(VALU_DEP_4) | instskip(NEXT) | instid1(VALU_DEP_3)
	v_cndmask_b32_e32 v15, v29, v7, vcc_lo
	v_cndmask_b32_e64 v30, 0x7ff00000, v2, s6
	s_delay_alu instid0(VALU_DEP_2) | instskip(NEXT) | instid1(VALU_DEP_4)
	v_cndmask_b32_e64 v29, 0, v15, s6
	v_fma_f64 v[31:32], |v[7:8]|, v[33:34], s[102:103]
	s_delay_alu instid0(VALU_DEP_1)
	v_fma_f64 v[29:30], |v[7:8]|, v[31:32], v[29:30]
.LBB12_142:                             ;   in Loop: Header=BB12_4 Depth=1
	s_or_b32 exec_lo, exec_lo, s7
	s_delay_alu instid0(SALU_CYCLE_1)
	s_mov_b32 s6, exec_lo
	v_cmpx_le_f64_e32 0, v[7:8]
	s_xor_b32 s7, exec_lo, s6
	s_cbranch_execnz .LBB12_148
; %bb.143:                              ;   in Loop: Header=BB12_4 Depth=1
	s_and_not1_saveexec_b32 s7, s7
	s_cbranch_execnz .LBB12_149
.LBB12_144:                             ;   in Loop: Header=BB12_4 Depth=1
	s_or_b32 exec_lo, exec_lo, s7
	s_and_saveexec_b32 s6, s5
	s_delay_alu instid0(SALU_CYCLE_1)
	s_xor_b32 s7, exec_lo, s6
	s_cbranch_execnz .LBB12_152
.LBB12_145:                             ;   in Loop: Header=BB12_4 Depth=1
	s_or_b32 exec_lo, exec_lo, s7
	s_and_saveexec_b32 s6, s4
	s_cbranch_execnz .LBB12_153
.LBB12_146:                             ;   in Loop: Header=BB12_4 Depth=1
	s_or_b32 exec_lo, exec_lo, s6
	s_and_saveexec_b32 s5, s3
	s_cbranch_execnz .LBB12_154
.LBB12_147:                             ;   in Loop: Header=BB12_4 Depth=1
	s_or_b32 exec_lo, exec_lo, s5
	s_and_saveexec_b32 s4, s2
	s_cbranch_execz .LBB12_3
	s_branch .LBB12_155
.LBB12_148:                             ;   in Loop: Header=BB12_4 Depth=1
	v_cmp_eq_f64_e32 vcc_lo, 1.0, v[7:8]
	v_cmp_eq_f64_e64 s6, 2.0, v[7:8]
	s_delay_alu instid0(VALU_DEP_1)
	s_or_b32 s6, vcc_lo, s6
	s_delay_alu instid0(VALU_DEP_4) | instid1(SALU_CYCLE_1)
	v_cndmask_b32_e64 v30, v30, 0, s6
	v_cndmask_b32_e64 v29, v29, 0, s6
	s_and_not1_saveexec_b32 s7, s7
	s_cbranch_execz .LBB12_144
.LBB12_149:                             ;   in Loop: Header=BB12_4 Depth=1
	v_add_nc_u32_e32 v2, 0xc32fffff, v28
	s_mov_b32 s8, exec_lo
	s_delay_alu instid0(VALU_DEP_1)
	v_cmpx_gt_u32_e32 0x65fffff, v2
	s_cbranch_execz .LBB12_151
; %bb.150:                              ;   in Loop: Header=BB12_4 Depth=1
	v_mul_f64 v[31:32], |v[7:8]|, 0.5
	v_cmp_gt_f64_e64 s6, |v[7:8]|, 1.0
	s_mov_b32 s15, s71
	s_delay_alu instid0(VALU_DEP_2) | instskip(SKIP_1) | instid1(VALU_DEP_2)
	v_fract_f64_e32 v[33:34], v[31:32]
	v_cmp_neq_f64_e64 vcc_lo, 0x7ff00000, |v[31:32]|
	v_add_f64 v[31:32], v[33:34], v[33:34]
	s_delay_alu instid0(VALU_DEP_1) | instskip(NEXT) | instid1(VALU_DEP_1)
	v_dual_cndmask_b32 v2, 0, v32 :: v_dual_cndmask_b32 v15, 0, v31
	v_cndmask_b32_e64 v32, v28, v2, s6
	s_delay_alu instid0(VALU_DEP_2) | instskip(NEXT) | instid1(VALU_DEP_1)
	v_cndmask_b32_e64 v31, v7, v15, s6
	v_add_f64 v[33:34], v[31:32], v[31:32]
	s_delay_alu instid0(VALU_DEP_1) | instskip(NEXT) | instid1(VALU_DEP_1)
	v_rndne_f64_e32 v[33:34], v[33:34]
	v_fma_f64 v[31:32], v[33:34], -0.5, v[31:32]
	v_cvt_i32_f64_e32 v2, v[33:34]
	s_delay_alu instid0(VALU_DEP_2) | instskip(NEXT) | instid1(VALU_DEP_2)
	v_mul_f64 v[35:36], v[31:32], v[31:32]
	v_and_b32_e32 v15, 1, v2
	v_lshlrev_b32_e32 v2, 30, v2
	s_delay_alu instid0(VALU_DEP_2) | instskip(NEXT) | instid1(VALU_DEP_2)
	v_cmp_eq_u32_e32 vcc_lo, 0, v15
	v_xor_b32_e32 v2, v2, v8
	s_delay_alu instid0(VALU_DEP_1) | instskip(SKIP_2) | instid1(VALU_DEP_2)
	v_and_b32_e32 v2, 0x80000000, v2
	v_fma_f64 v[43:44], v[35:36], s[36:37], s[34:35]
	v_mul_f64 v[45:46], v[31:32], v[35:36]
	v_fma_f64 v[43:44], v[35:36], v[43:44], s[38:39]
	s_delay_alu instid0(VALU_DEP_1) | instskip(NEXT) | instid1(VALU_DEP_1)
	v_fma_f64 v[43:44], v[35:36], v[43:44], s[40:41]
	v_fma_f64 v[43:44], v[35:36], v[43:44], s[42:43]
	s_delay_alu instid0(VALU_DEP_1) | instskip(NEXT) | instid1(VALU_DEP_1)
	v_fma_f64 v[43:44], v[35:36], v[43:44], s[48:49]
	v_mul_f64 v[43:44], v[45:46], v[43:44]
	s_delay_alu instid0(VALU_DEP_1) | instskip(SKIP_1) | instid1(VALU_DEP_1)
	v_fma_f64 v[31:32], v[31:32], s[50:51], v[43:44]
	v_fma_f64 v[43:44], v[35:36], s[54:55], s[52:53]
	;; [unrolled: 1-line block ×3, first 2 shown]
	s_delay_alu instid0(VALU_DEP_1) | instskip(NEXT) | instid1(VALU_DEP_1)
	v_fma_f64 v[43:44], v[35:36], v[43:44], s[58:59]
	v_fma_f64 v[43:44], v[35:36], v[43:44], s[62:63]
	s_delay_alu instid0(VALU_DEP_1) | instskip(NEXT) | instid1(VALU_DEP_1)
	v_fma_f64 v[43:44], v[35:36], v[43:44], s[64:65]
	v_fma_f64 v[43:44], v[35:36], v[43:44], s[66:67]
	s_delay_alu instid0(VALU_DEP_1) | instskip(NEXT) | instid1(VALU_DEP_1)
	v_fma_f64 v[35:36], v[35:36], v[43:44], 1.0
	v_cndmask_b32_e32 v15, v35, v31, vcc_lo
	s_delay_alu instid0(VALU_DEP_2) | instskip(SKIP_1) | instid1(VALU_DEP_2)
	v_cndmask_b32_e32 v19, v36, v32, vcc_lo
	v_cmp_class_f64_e64 vcc_lo, v[7:8], 0x1f8
	v_xor_b32_e32 v2, v19, v2
	s_delay_alu instid0(VALU_DEP_4) | instskip(NEXT) | instid1(VALU_DEP_2)
	v_cndmask_b32_e32 v31, 0, v15, vcc_lo
	v_cndmask_b32_e32 v32, 0x7ff80000, v2, vcc_lo
	s_delay_alu instid0(VALU_DEP_1) | instskip(NEXT) | instid1(VALU_DEP_1)
	v_mul_f64 v[31:32], v[7:8], v[31:32]
	v_dual_mov_b32 v33, v31 :: v_dual_and_b32 v34, 0x7fffffff, v32
	s_delay_alu instid0(VALU_DEP_1) | instskip(SKIP_1) | instid1(VALU_DEP_2)
	v_div_scale_f64 v[35:36], null, v[33:34], v[33:34], s[50:51]
	v_div_scale_f64 v[33:34], vcc_lo, s[50:51], v[33:34], s[50:51]
	v_rcp_f64_e32 v[43:44], v[35:36]
	s_waitcnt_depctr 0xfff
	v_fma_f64 v[45:46], -v[35:36], v[43:44], 1.0
	s_delay_alu instid0(VALU_DEP_1) | instskip(NEXT) | instid1(VALU_DEP_1)
	v_fma_f64 v[43:44], v[43:44], v[45:46], v[43:44]
	v_fma_f64 v[45:46], -v[35:36], v[43:44], 1.0
	s_delay_alu instid0(VALU_DEP_1) | instskip(NEXT) | instid1(VALU_DEP_1)
	v_fma_f64 v[43:44], v[43:44], v[45:46], v[43:44]
	v_mul_f64 v[45:46], v[33:34], v[43:44]
	s_delay_alu instid0(VALU_DEP_1) | instskip(NEXT) | instid1(VALU_DEP_1)
	v_fma_f64 v[33:34], -v[35:36], v[45:46], v[33:34]
	v_div_fmas_f64 v[33:34], v[33:34], v[43:44], v[45:46]
	s_delay_alu instid0(VALU_DEP_1) | instskip(NEXT) | instid1(VALU_DEP_1)
	v_div_fixup_f64 v[31:32], v[33:34], |v[31:32]|, s[50:51]
	v_frexp_mant_f64_e32 v[33:34], v[31:32]
	v_cmp_neq_f64_e64 s6, 0, v[31:32]
	s_delay_alu instid0(VALU_DEP_2) | instskip(SKIP_1) | instid1(VALU_DEP_1)
	v_cmp_gt_f64_e32 vcc_lo, s[70:71], v[33:34]
	v_cndmask_b32_e64 v2, 0x3ff00000, 2.0, vcc_lo
	v_mul_f64 v[33:34], v[33:34], v[1:2]
	v_frexp_exp_i32_f64_e32 v2, v[31:32]
	s_delay_alu instid0(VALU_DEP_2) | instskip(NEXT) | instid1(VALU_DEP_2)
	v_add_f64 v[35:36], v[33:34], 1.0
	v_subrev_co_ci_u32_e32 v2, vcc_lo, 0, v2, vcc_lo
	v_cmp_class_f64_e64 vcc_lo, v[31:32], 0x204
	s_delay_alu instid0(VALU_DEP_3) | instskip(SKIP_2) | instid1(VALU_DEP_1)
	v_rcp_f64_e32 v[43:44], v[35:36]
	s_waitcnt_depctr 0xfff
	v_fma_f64 v[45:46], -v[35:36], v[43:44], 1.0
	v_fma_f64 v[43:44], v[45:46], v[43:44], v[43:44]
	s_delay_alu instid0(VALU_DEP_1) | instskip(NEXT) | instid1(VALU_DEP_1)
	v_fma_f64 v[45:46], -v[35:36], v[43:44], 1.0
	v_fma_f64 v[43:44], v[45:46], v[43:44], v[43:44]
	v_add_f64 v[45:46], v[35:36], -1.0
	s_delay_alu instid0(VALU_DEP_1) | instskip(SKIP_1) | instid1(VALU_DEP_1)
	v_add_f64 v[45:46], v[33:34], -v[45:46]
	v_add_f64 v[33:34], v[33:34], -1.0
	v_mul_f64 v[47:48], v[33:34], v[43:44]
	s_delay_alu instid0(VALU_DEP_1) | instskip(NEXT) | instid1(VALU_DEP_1)
	v_mul_f64 v[49:50], v[35:36], v[47:48]
	v_fma_f64 v[35:36], v[47:48], v[35:36], -v[49:50]
	s_delay_alu instid0(VALU_DEP_1) | instskip(NEXT) | instid1(VALU_DEP_1)
	v_fma_f64 v[35:36], v[47:48], v[45:46], v[35:36]
	v_add_f64 v[45:46], v[49:50], v[35:36]
	s_delay_alu instid0(VALU_DEP_1) | instskip(NEXT) | instid1(VALU_DEP_1)
	v_add_f64 v[49:50], v[45:46], -v[49:50]
	v_add_f64 v[35:36], v[49:50], -v[35:36]
	;; [unrolled: 1-line block ×3, first 2 shown]
	s_delay_alu instid0(VALU_DEP_1) | instskip(NEXT) | instid1(VALU_DEP_1)
	v_add_f64 v[33:34], v[33:34], -v[49:50]
	v_add_f64 v[33:34], v[33:34], -v[45:46]
	s_delay_alu instid0(VALU_DEP_1) | instskip(SKIP_1) | instid1(VALU_DEP_2)
	v_add_f64 v[33:34], v[35:36], v[33:34]
	v_cvt_f64_i32_e32 v[35:36], v2
	v_add_f64 v[33:34], v[49:50], v[33:34]
	s_delay_alu instid0(VALU_DEP_1) | instskip(NEXT) | instid1(VALU_DEP_3)
	v_mul_f64 v[33:34], v[43:44], v[33:34]
	v_mul_f64 v[43:44], v[35:36], s[28:29]
	s_delay_alu instid0(VALU_DEP_1) | instskip(NEXT) | instid1(VALU_DEP_1)
	v_fma_f64 v[45:46], v[35:36], s[28:29], -v[43:44]
	v_fma_f64 v[35:36], v[35:36], s[30:31], v[45:46]
	s_delay_alu instid0(VALU_DEP_4) | instskip(NEXT) | instid1(VALU_DEP_1)
	v_add_f64 v[45:46], v[47:48], v[33:34]
	v_add_f64 v[47:48], v[45:46], -v[47:48]
	s_delay_alu instid0(VALU_DEP_1) | instskip(SKIP_1) | instid1(VALU_DEP_2)
	v_add_f64 v[33:34], v[33:34], -v[47:48]
	v_mul_f64 v[47:48], v[45:46], v[45:46]
	v_ldexp_f64 v[33:34], v[33:34], 1
	s_delay_alu instid0(VALU_DEP_2) | instskip(NEXT) | instid1(VALU_DEP_1)
	v_fma_f64 v[49:50], v[47:48], s[18:19], s[16:17]
	v_fma_f64 v[49:50], v[47:48], v[49:50], s[20:21]
	s_delay_alu instid0(VALU_DEP_1) | instskip(NEXT) | instid1(VALU_DEP_1)
	v_fma_f64 v[49:50], v[47:48], v[49:50], s[22:23]
	v_fma_f64 v[49:50], v[47:48], v[49:50], s[24:25]
	s_delay_alu instid0(VALU_DEP_1) | instskip(NEXT) | instid1(VALU_DEP_1)
	v_fma_f64 v[49:50], v[47:48], v[49:50], s[26:27]
	v_fma_f64 v[49:50], v[47:48], v[49:50], s[14:15]
	v_mul_f64 v[47:48], v[45:46], v[47:48]
	v_ldexp_f64 v[45:46], v[45:46], 1
	s_delay_alu instid0(VALU_DEP_2) | instskip(NEXT) | instid1(VALU_DEP_1)
	v_mul_f64 v[47:48], v[47:48], v[49:50]
	v_add_f64 v[49:50], v[45:46], v[47:48]
	s_delay_alu instid0(VALU_DEP_1) | instskip(NEXT) | instid1(VALU_DEP_1)
	v_add_f64 v[45:46], v[49:50], -v[45:46]
	v_add_f64 v[45:46], v[47:48], -v[45:46]
	s_delay_alu instid0(VALU_DEP_1) | instskip(SKIP_1) | instid1(VALU_DEP_1)
	v_add_f64 v[33:34], v[33:34], v[45:46]
	v_add_f64 v[45:46], v[43:44], v[35:36]
	v_add_f64 v[43:44], v[45:46], -v[43:44]
	s_delay_alu instid0(VALU_DEP_1) | instskip(NEXT) | instid1(VALU_DEP_4)
	v_add_f64 v[35:36], v[35:36], -v[43:44]
	v_add_f64 v[43:44], v[49:50], v[33:34]
	s_delay_alu instid0(VALU_DEP_1) | instskip(SKIP_1) | instid1(VALU_DEP_2)
	v_add_f64 v[47:48], v[43:44], -v[49:50]
	v_add_f64 v[49:50], v[45:46], v[43:44]
	v_add_f64 v[33:34], v[33:34], -v[47:48]
	s_delay_alu instid0(VALU_DEP_2) | instskip(NEXT) | instid1(VALU_DEP_1)
	v_add_f64 v[51:52], v[49:50], -v[45:46]
	v_add_f64 v[43:44], v[43:44], -v[51:52]
	;; [unrolled: 1-line block ×3, first 2 shown]
	s_delay_alu instid0(VALU_DEP_1) | instskip(NEXT) | instid1(VALU_DEP_1)
	v_add_f64 v[45:46], v[45:46], -v[51:52]
	v_add_f64 v[43:44], v[43:44], v[45:46]
	v_add_f64 v[45:46], v[35:36], v[33:34]
	s_delay_alu instid0(VALU_DEP_1) | instskip(NEXT) | instid1(VALU_DEP_3)
	v_add_f64 v[47:48], v[45:46], -v[35:36]
	v_add_f64 v[43:44], v[45:46], v[43:44]
	s_delay_alu instid0(VALU_DEP_2) | instskip(SKIP_1) | instid1(VALU_DEP_1)
	v_add_f64 v[33:34], v[33:34], -v[47:48]
	v_add_f64 v[47:48], v[45:46], -v[47:48]
	;; [unrolled: 1-line block ×3, first 2 shown]
	s_delay_alu instid0(VALU_DEP_1) | instskip(SKIP_1) | instid1(VALU_DEP_1)
	v_add_f64 v[33:34], v[33:34], v[35:36]
	v_add_f64 v[35:36], v[49:50], v[43:44]
	v_add_f64 v[45:46], v[35:36], -v[49:50]
	s_delay_alu instid0(VALU_DEP_1) | instskip(NEXT) | instid1(VALU_DEP_1)
	v_add_f64 v[43:44], v[43:44], -v[45:46]
	v_add_f64 v[33:34], v[33:34], v[43:44]
	s_delay_alu instid0(VALU_DEP_1) | instskip(NEXT) | instid1(VALU_DEP_1)
	v_add_f64 v[33:34], v[35:36], v[33:34]
	v_dual_cndmask_b32 v2, v33, v31 :: v_dual_cndmask_b32 v15, v34, v32
	v_fract_f64_e32 v[31:32], v[7:8]
	s_delay_alu instid0(VALU_DEP_2) | instskip(NEXT) | instid1(VALU_DEP_3)
	v_cndmask_b32_e64 v33, 0, v2, s6
	v_cndmask_b32_e64 v34, 0xfff00000, v15, s6
	v_cmp_class_f64_e64 s6, v[7:8], 0x204
	s_delay_alu instid0(VALU_DEP_2) | instskip(SKIP_1) | instid1(VALU_DEP_3)
	v_add_f64 v[29:30], v[33:34], -v[29:30]
	v_cmp_eq_f64_e32 vcc_lo, 0, v[31:32]
	s_or_b32 s6, s6, vcc_lo
	s_delay_alu instid0(VALU_DEP_2) | instid1(SALU_CYCLE_1)
	v_cndmask_b32_e64 v30, v30, 0x7ff00000, s6
	s_delay_alu instid0(VALU_DEP_3)
	v_cndmask_b32_e64 v29, v29, 0, s6
.LBB12_151:                             ;   in Loop: Header=BB12_4 Depth=1
	s_or_b32 exec_lo, exec_lo, s8
	s_delay_alu instid0(SALU_CYCLE_1) | instskip(SKIP_1) | instid1(SALU_CYCLE_1)
	s_or_b32 exec_lo, exec_lo, s7
	s_and_saveexec_b32 s6, s5
	s_xor_b32 s7, exec_lo, s6
	s_cbranch_execz .LBB12_145
.LBB12_152:                             ;   in Loop: Header=BB12_4 Depth=1
	v_cmp_gt_f64_e32 vcc_lo, 0, v[13:14]
	v_cmp_class_f64_e64 s8, v[13:14], 0x264
	v_cmp_u_f64_e64 s5, v[13:14], v[13:14]
	v_cmp_lt_u32_e64 s6, 0x432fffff, v16
	s_delay_alu instid0(VALU_DEP_1)
	s_and_b32 s6, vcc_lo, s6
	s_delay_alu instid0(VALU_DEP_3) | instid1(SALU_CYCLE_1)
	s_or_b32 s6, s8, s6
	s_delay_alu instid0(SALU_CYCLE_1) | instskip(SKIP_1) | instid1(VALU_DEP_2)
	v_cndmask_b32_e64 v2, v18, 0x7ff00000, s6
	v_cndmask_b32_e64 v15, v17, 0, s6
	;; [unrolled: 1-line block ×3, first 2 shown]
	s_delay_alu instid0(VALU_DEP_2)
	v_cndmask_b32_e64 v13, v15, v13, s5
	global_store_b64 v[3:4], v[13:14], off
	s_or_b32 exec_lo, exec_lo, s7
	s_and_saveexec_b32 s6, s4
	s_cbranch_execz .LBB12_146
.LBB12_153:                             ;   in Loop: Header=BB12_4 Depth=1
	v_cmp_gt_f64_e32 vcc_lo, 0, v[9:10]
	v_cmp_class_f64_e64 s7, v[9:10], 0x264
	v_cmp_u_f64_e64 s4, v[9:10], v[9:10]
	v_cmp_lt_u32_e64 s5, 0x432fffff, v20
	s_delay_alu instid0(VALU_DEP_1)
	s_and_b32 s5, vcc_lo, s5
	s_delay_alu instid0(VALU_DEP_3) | instid1(SALU_CYCLE_1)
	s_or_b32 s5, s7, s5
	s_delay_alu instid0(SALU_CYCLE_1) | instskip(SKIP_1) | instid1(VALU_DEP_2)
	v_cndmask_b32_e64 v2, v22, 0x7ff00000, s5
	v_cndmask_b32_e64 v13, v21, 0, s5
	;; [unrolled: 1-line block ×3, first 2 shown]
	s_delay_alu instid0(VALU_DEP_2)
	v_cndmask_b32_e64 v9, v13, v9, s4
	global_store_b64 v[5:6], v[9:10], off
	s_or_b32 exec_lo, exec_lo, s6
	s_and_saveexec_b32 s5, s3
	s_cbranch_execz .LBB12_147
.LBB12_154:                             ;   in Loop: Header=BB12_4 Depth=1
	v_cmp_gt_f64_e32 vcc_lo, 0, v[11:12]
	v_cmp_class_f64_e64 s6, v[11:12], 0x264
	v_cmp_u_f64_e64 s3, v[11:12], v[11:12]
	v_cmp_lt_u32_e64 s4, 0x432fffff, v24
	s_delay_alu instid0(VALU_DEP_1) | instskip(SKIP_1) | instid1(VALU_DEP_4)
	s_and_b32 s4, vcc_lo, s4
	v_add_co_u32 v9, vcc_lo, v3, s74
	s_or_b32 s4, s6, s4
	s_delay_alu instid0(SALU_CYCLE_1) | instskip(SKIP_1) | instid1(VALU_DEP_2)
	v_cndmask_b32_e64 v2, v26, 0x7ff00000, s4
	v_cndmask_b32_e64 v10, v25, 0, s4
	;; [unrolled: 1-line block ×3, first 2 shown]
	s_delay_alu instid0(VALU_DEP_2)
	v_cndmask_b32_e64 v11, v10, v11, s3
	v_add_co_ci_u32_e32 v10, vcc_lo, 0, v4, vcc_lo
	global_store_b64 v[9:10], v[11:12], off
	s_or_b32 exec_lo, exec_lo, s5
	s_and_saveexec_b32 s4, s2
	s_cbranch_execz .LBB12_3
.LBB12_155:                             ;   in Loop: Header=BB12_4 Depth=1
	v_cmp_gt_f64_e32 vcc_lo, 0, v[7:8]
	v_cmp_class_f64_e64 s5, v[7:8], 0x264
	v_cmp_u_f64_e64 s2, v[7:8], v[7:8]
	v_cmp_lt_u32_e64 s3, 0x432fffff, v28
	s_delay_alu instid0(VALU_DEP_1) | instskip(SKIP_1) | instid1(VALU_DEP_4)
	s_and_b32 s3, vcc_lo, s3
	v_add_co_u32 v9, vcc_lo, v3, s72
	s_or_b32 s3, s5, s3
	s_delay_alu instid0(SALU_CYCLE_1) | instskip(SKIP_1) | instid1(VALU_DEP_2)
	v_cndmask_b32_e64 v2, v30, 0x7ff00000, s3
	v_cndmask_b32_e64 v10, v29, 0, s3
	;; [unrolled: 1-line block ×3, first 2 shown]
	s_delay_alu instid0(VALU_DEP_2)
	v_cndmask_b32_e64 v7, v10, v7, s2
	v_add_co_ci_u32_e32 v10, vcc_lo, 0, v4, vcc_lo
	global_store_b64 v[9:10], v[7:8], off
	s_branch .LBB12_3
.LBB12_156:
	s_cbranch_execz .LBB12_158
	s_branch .LBB12_297
.LBB12_157:
.LBB12_158:
	v_dual_mov_b32 v10, 0 :: v_dual_lshlrev_b32 v1, 2, v0
	s_mov_b32 s54, 0
	s_mov_b32 s2, exec_lo
	s_delay_alu instid0(VALU_DEP_1) | instskip(NEXT) | instid1(VALU_DEP_1)
	v_mov_b32_e32 v2, v10
	v_cmpx_gt_i64_e64 s[10:11], v[1:2]
	s_cbranch_execz .LBB12_297
; %bb.159:
	v_mov_b32_e32 v1, v10
	s_add_u32 s2, s0, 0xd30
	s_mov_b32 s50, 0x55555555
	s_mov_b32 s6, 0x6b47b09a
	;; [unrolled: 1-line block ×44, first 2 shown]
	s_addc_u32 s3, s1, 0
	s_mov_b32 s51, 0x3fe55555
	s_mov_b32 s7, 0x3fc38538
	s_mov_b32 s9, 0x3fc3ab76
	s_mov_b32 s13, 0x3fc7474d
	s_mov_b32 s15, 0x3fcc71c0
	s_mov_b32 s17, 0x3fd24924
	s_mov_b32 s19, 0x3fd99999
	s_mov_b32 s21, 0x3fe62e42
	s_mov_b32 s23, 0x3c7abc9e
	s_mov_b32 s59, 0x3f5e26b6
	s_mov_b32 s61, 0x3f00bfec
	s_mov_b32 s53, 0x3fb3c467
	s_mov_b32 s65, 0x3ff645a7
	s_mov_b32 s67, 0xbff762d8
	s_mov_b32 s69, 0xbfdd8b61
	s_mov_b32 s71, 0x3fcd4eae
	s_mov_b32 s73, 0x3f8b678b
	s_mov_b32 s75, 0x3fef4976
	s_mov_b32 s77, 0x3ff7475c
	s_mov_b32 s79, 0x3fe4401e
	s_mov_b32 s81, 0x3fbaae55
	s_mov_b32 s83, 0x3f6a5abb
	s_mov_b32 s85, 0x3fe89dfb
	s_mov_b32 s87, 0x40010725
	s_mov_b32 s89, 0x4003a5d7
	s_mov_b32 s91, 0x3fd15132
	s_mov_b32 s93, 0xbfca8b9c
	s_mov_b32 s95, 0xbfd9a4d5
	s_mov_b32 s97, 0x3fea51a6
	s_mov_b32 s99, 0xbfe2788c
	s_mov_b32 s101, 0xbf7e2fe7
	s_mov_b32 s103, 0x3f3e357e
	s_mov_b32 s25, 0x3fb50782
	s_mov_b32 s27, 0xbfe32d2c
	s_mov_b32 s29, 0x400466bc
	s_mov_b32 s31, 0xc014abbc
	s_mov_b32 s35, 0x400921fb
	s_mov_b32 s37, 0x3f5f9c89
	s_mov_b32 s39, 0xbf1b1673
	s_mov_b32 s41, 0xbf9a6d1e
	s_mov_b32 s43, 0x3fce1f50
	s_mov_b32 s45, 0xbff55d3c
	s_mov_b32 s47, 0x40103c1f
	s_mov_b32 s49, 0xc013bd3c
	s_mov_b32 s4, 0x55555780
	s_mov_b32 vcc_hi, 0xbfb3c467
	s_branch .LBB12_162
.LBB12_160:                             ;   in Loop: Header=BB12_162 Depth=1
	s_or_b32 exec_lo, exec_lo, s55
.LBB12_161:                             ;   in Loop: Header=BB12_162 Depth=1
	s_delay_alu instid0(SALU_CYCLE_1) | instskip(SKIP_4) | instid1(VALU_DEP_4)
	s_or_b32 exec_lo, exec_lo, s1
	v_cmp_gt_f64_e64 s1, 0, v[8:9]
	v_cmp_class_f64_e64 s5, v[8:9], 0x264
	v_cmp_lt_u32_e32 vcc_lo, 0x432fffff, v19
	v_cmp_lt_u32_e64 s0, 0x432fffff, v15
	s_and_b32 s1, s1, vcc_lo
	v_cmp_gt_f64_e32 vcc_lo, 0, v[6:7]
	s_delay_alu instid0(VALU_DEP_4)
	s_or_b32 s1, s5, s1
	v_cmp_class_f64_e64 s5, v[2:3], 0x264
	v_cndmask_b32_e64 v11, v20, 0, s1
	v_cndmask_b32_e64 v14, v21, 0x7ff00000, s1
	v_cmp_class_f64_e64 s1, v[6:7], 0x264
	s_and_b32 s0, vcc_lo, s0
	v_cmp_u_f64_e32 vcc_lo, v[8:9], v[8:9]
	s_delay_alu instid0(VALU_DEP_2)
	s_or_b32 s0, s1, s0
	v_cmp_gt_f64_e64 s1, 0, v[2:3]
	v_cndmask_b32_e64 v15, v16, 0, s0
	v_cndmask_b32_e64 v16, v17, 0x7ff00000, s0
	v_cmp_u_f64_e64 s0, v[6:7], v[6:7]
	v_dual_cndmask_b32 v9, v14, v9 :: v_dual_cndmask_b32 v8, v11, v8
	v_cmp_lt_u32_e32 vcc_lo, 0x432fffff, v23
	s_and_b32 s1, s1, vcc_lo
	v_cmp_gt_f64_e32 vcc_lo, 0, v[4:5]
	s_or_b32 s1, s5, s1
	s_delay_alu instid0(VALU_DEP_4)
	v_cndmask_b32_e64 v7, v16, v7, s0
	v_cndmask_b32_e64 v11, v24, 0, s1
	;; [unrolled: 1-line block ×3, first 2 shown]
	v_cmp_class_f64_e64 s1, v[4:5], 0x264
	v_cndmask_b32_e64 v6, v15, v6, s0
	v_cmp_lt_u32_e64 s0, 0x432fffff, v27
	s_delay_alu instid0(VALU_DEP_1) | instskip(SKIP_1) | instid1(VALU_DEP_4)
	s_and_b32 s0, vcc_lo, s0
	v_cmp_u_f64_e32 vcc_lo, v[2:3], v[2:3]
	s_or_b32 s0, s1, s0
	s_delay_alu instid0(SALU_CYCLE_1) | instskip(SKIP_3) | instid1(VALU_DEP_2)
	v_cndmask_b32_e64 v15, v28, 0, s0
	v_cndmask_b32_e64 v16, v29, 0x7ff00000, s0
	v_cmp_u_f64_e64 s0, v[4:5], v[4:5]
	v_dual_cndmask_b32 v3, v14, v3 :: v_dual_cndmask_b32 v2, v11, v2
	v_cndmask_b32_e64 v5, v16, v5, s0
	v_cndmask_b32_e64 v4, v15, v4, s0
	s_clause 0x1
	global_store_b128 v[12:13], v[6:9], off
	global_store_b128 v[12:13], v[2:5], off offset:16
	s_load_b32 s0, s[2:3], 0xc
	s_waitcnt lgkmcnt(0)
	s_and_b32 s0, s0, 0xffff
	s_delay_alu instid0(SALU_CYCLE_1) | instskip(SKIP_1) | instid1(VALU_DEP_1)
	v_add_co_u32 v0, vcc_lo, v0, s0
	v_add_co_ci_u32_e32 v1, vcc_lo, 0, v1, vcc_lo
	v_lshlrev_b64 v[2:3], 2, v[0:1]
	s_delay_alu instid0(VALU_DEP_1) | instskip(SKIP_1) | instid1(VALU_DEP_1)
	v_cmp_le_i64_e32 vcc_lo, s[10:11], v[2:3]
	v_cmp_lt_u64_e64 s0, 0xffff, v[2:3]
	s_or_b32 s0, vcc_lo, s0
	s_delay_alu instid0(SALU_CYCLE_1) | instskip(NEXT) | instid1(SALU_CYCLE_1)
	s_and_b32 s0, exec_lo, s0
	s_or_b32 s54, s0, s54
	s_delay_alu instid0(SALU_CYCLE_1)
	s_and_not1_b32 exec_lo, exec_lo, s54
	s_cbranch_execz .LBB12_297
.LBB12_162:                             ; =>This Inner Loop Header: Depth=1
	v_lshlrev_b64 v[2:3], 5, v[0:1]
                                        ; implicit-def: $vgpr16_vgpr17
	s_mov_b32 s0, exec_lo
	s_delay_alu instid0(VALU_DEP_1) | instskip(NEXT) | instid1(VALU_DEP_2)
	v_add_co_u32 v12, vcc_lo, s33, v2
	v_add_co_ci_u32_e32 v13, vcc_lo, s104, v3, vcc_lo
	s_clause 0x1
	global_load_b128 v[6:9], v[12:13], off
	global_load_b128 v[2:5], v[12:13], off offset:16
	s_waitcnt vmcnt(1)
	v_dual_mov_b32 v14, v6 :: v_dual_and_b32 v15, 0x7fffffff, v7
	s_delay_alu instid0(VALU_DEP_1)
	v_cmpx_lt_u32_e32 0x3f6fffff, v15
	s_xor_b32 s55, exec_lo, s0
	s_cbranch_execz .LBB12_188
; %bb.163:                              ;   in Loop: Header=BB12_162 Depth=1
                                        ; implicit-def: $vgpr16_vgpr17
	s_mov_b32 s0, exec_lo
	v_cmpx_lt_u32_e32 0x3fffffff, v15
	s_xor_b32 s56, exec_lo, s0
	s_cbranch_execz .LBB12_173
; %bb.164:                              ;   in Loop: Header=BB12_162 Depth=1
                                        ; implicit-def: $vgpr16_vgpr17
	s_mov_b32 s0, exec_lo
	;; [unrolled: 6-line block ×3, first 2 shown]
	v_cmpx_lt_u32_e32 0x438fffff, v15
	s_xor_b32 s57, exec_lo, s0
	s_cbranch_execz .LBB12_167
; %bb.166:                              ;   in Loop: Header=BB12_162 Depth=1
	v_frexp_mant_f64_e64 v[16:17], |v[6:7]|
	s_mov_b32 s5, s51
	v_cmp_neq_f64_e64 s0, 0, v[6:7]
	s_delay_alu instid0(VALU_DEP_2) | instskip(SKIP_1) | instid1(VALU_DEP_1)
	v_cmp_gt_f64_e32 vcc_lo, s[50:51], v[16:17]
	v_cndmask_b32_e64 v11, 0x3ff00000, 2.0, vcc_lo
	v_mul_f64 v[16:17], v[16:17], v[10:11]
	v_frexp_exp_i32_f64_e32 v11, v[6:7]
	s_delay_alu instid0(VALU_DEP_2) | instskip(NEXT) | instid1(VALU_DEP_2)
	v_add_f64 v[18:19], v[16:17], 1.0
	v_subrev_co_ci_u32_e32 v11, vcc_lo, 0, v11, vcc_lo
	v_cmp_class_f64_e64 vcc_lo, v[6:7], 0x204
	s_delay_alu instid0(VALU_DEP_3) | instskip(SKIP_2) | instid1(VALU_DEP_1)
	v_rcp_f64_e32 v[20:21], v[18:19]
	s_waitcnt_depctr 0xfff
	v_fma_f64 v[22:23], -v[18:19], v[20:21], 1.0
	v_fma_f64 v[20:21], v[22:23], v[20:21], v[20:21]
	s_delay_alu instid0(VALU_DEP_1) | instskip(NEXT) | instid1(VALU_DEP_1)
	v_fma_f64 v[22:23], -v[18:19], v[20:21], 1.0
	v_fma_f64 v[20:21], v[22:23], v[20:21], v[20:21]
	v_add_f64 v[22:23], v[18:19], -1.0
	s_delay_alu instid0(VALU_DEP_1) | instskip(SKIP_1) | instid1(VALU_DEP_1)
	v_add_f64 v[22:23], v[16:17], -v[22:23]
	v_add_f64 v[16:17], v[16:17], -1.0
	v_mul_f64 v[24:25], v[16:17], v[20:21]
	s_delay_alu instid0(VALU_DEP_1) | instskip(NEXT) | instid1(VALU_DEP_1)
	v_mul_f64 v[26:27], v[18:19], v[24:25]
	v_fma_f64 v[18:19], v[24:25], v[18:19], -v[26:27]
	s_delay_alu instid0(VALU_DEP_1) | instskip(NEXT) | instid1(VALU_DEP_1)
	v_fma_f64 v[18:19], v[24:25], v[22:23], v[18:19]
	v_add_f64 v[22:23], v[26:27], v[18:19]
	s_delay_alu instid0(VALU_DEP_1) | instskip(NEXT) | instid1(VALU_DEP_1)
	v_add_f64 v[26:27], v[22:23], -v[26:27]
	v_add_f64 v[18:19], v[26:27], -v[18:19]
	;; [unrolled: 1-line block ×3, first 2 shown]
	s_delay_alu instid0(VALU_DEP_1) | instskip(NEXT) | instid1(VALU_DEP_1)
	v_add_f64 v[16:17], v[16:17], -v[26:27]
	v_add_f64 v[16:17], v[16:17], -v[22:23]
	s_delay_alu instid0(VALU_DEP_1) | instskip(SKIP_1) | instid1(VALU_DEP_2)
	v_add_f64 v[16:17], v[18:19], v[16:17]
	v_cvt_f64_i32_e32 v[18:19], v11
	v_add_f64 v[16:17], v[26:27], v[16:17]
	s_delay_alu instid0(VALU_DEP_1) | instskip(NEXT) | instid1(VALU_DEP_3)
	v_mul_f64 v[16:17], v[20:21], v[16:17]
	v_mul_f64 v[20:21], v[18:19], s[20:21]
	s_delay_alu instid0(VALU_DEP_1) | instskip(NEXT) | instid1(VALU_DEP_1)
	v_fma_f64 v[22:23], v[18:19], s[20:21], -v[20:21]
	v_fma_f64 v[18:19], v[18:19], s[22:23], v[22:23]
	s_delay_alu instid0(VALU_DEP_4) | instskip(NEXT) | instid1(VALU_DEP_1)
	v_add_f64 v[22:23], v[24:25], v[16:17]
	v_add_f64 v[24:25], v[22:23], -v[24:25]
	s_delay_alu instid0(VALU_DEP_1) | instskip(SKIP_1) | instid1(VALU_DEP_2)
	v_add_f64 v[16:17], v[16:17], -v[24:25]
	v_mul_f64 v[24:25], v[22:23], v[22:23]
	v_ldexp_f64 v[16:17], v[16:17], 1
	s_delay_alu instid0(VALU_DEP_2) | instskip(NEXT) | instid1(VALU_DEP_1)
	v_fma_f64 v[26:27], v[24:25], s[8:9], s[6:7]
	v_fma_f64 v[26:27], v[24:25], v[26:27], s[12:13]
	s_delay_alu instid0(VALU_DEP_1) | instskip(NEXT) | instid1(VALU_DEP_1)
	v_fma_f64 v[26:27], v[24:25], v[26:27], s[14:15]
	v_fma_f64 v[26:27], v[24:25], v[26:27], s[16:17]
	s_delay_alu instid0(VALU_DEP_1) | instskip(NEXT) | instid1(VALU_DEP_1)
	v_fma_f64 v[26:27], v[24:25], v[26:27], s[18:19]
	v_fma_f64 v[26:27], v[24:25], v[26:27], s[4:5]
	v_mul_f64 v[24:25], v[22:23], v[24:25]
	v_ldexp_f64 v[22:23], v[22:23], 1
	s_delay_alu instid0(VALU_DEP_2) | instskip(NEXT) | instid1(VALU_DEP_1)
	v_mul_f64 v[24:25], v[24:25], v[26:27]
	v_add_f64 v[26:27], v[22:23], v[24:25]
	s_delay_alu instid0(VALU_DEP_1) | instskip(NEXT) | instid1(VALU_DEP_1)
	v_add_f64 v[22:23], v[26:27], -v[22:23]
	v_add_f64 v[22:23], v[24:25], -v[22:23]
	s_delay_alu instid0(VALU_DEP_1) | instskip(SKIP_1) | instid1(VALU_DEP_1)
	v_add_f64 v[16:17], v[16:17], v[22:23]
	v_add_f64 v[22:23], v[20:21], v[18:19]
	v_add_f64 v[20:21], v[22:23], -v[20:21]
	s_delay_alu instid0(VALU_DEP_1) | instskip(NEXT) | instid1(VALU_DEP_4)
	v_add_f64 v[18:19], v[18:19], -v[20:21]
	v_add_f64 v[20:21], v[26:27], v[16:17]
	s_delay_alu instid0(VALU_DEP_1) | instskip(SKIP_1) | instid1(VALU_DEP_2)
	v_add_f64 v[24:25], v[20:21], -v[26:27]
	v_add_f64 v[26:27], v[22:23], v[20:21]
	v_add_f64 v[16:17], v[16:17], -v[24:25]
	s_delay_alu instid0(VALU_DEP_2) | instskip(NEXT) | instid1(VALU_DEP_1)
	v_add_f64 v[28:29], v[26:27], -v[22:23]
	v_add_f64 v[20:21], v[20:21], -v[28:29]
	;; [unrolled: 1-line block ×3, first 2 shown]
	s_delay_alu instid0(VALU_DEP_1) | instskip(NEXT) | instid1(VALU_DEP_1)
	v_add_f64 v[22:23], v[22:23], -v[28:29]
	v_add_f64 v[20:21], v[20:21], v[22:23]
	v_add_f64 v[22:23], v[18:19], v[16:17]
	s_delay_alu instid0(VALU_DEP_1) | instskip(NEXT) | instid1(VALU_DEP_3)
	v_add_f64 v[24:25], v[22:23], -v[18:19]
	v_add_f64 v[20:21], v[22:23], v[20:21]
	s_delay_alu instid0(VALU_DEP_2) | instskip(SKIP_1) | instid1(VALU_DEP_1)
	v_add_f64 v[16:17], v[16:17], -v[24:25]
	v_add_f64 v[24:25], v[22:23], -v[24:25]
	;; [unrolled: 1-line block ×3, first 2 shown]
	s_delay_alu instid0(VALU_DEP_1) | instskip(SKIP_1) | instid1(VALU_DEP_1)
	v_add_f64 v[16:17], v[16:17], v[18:19]
	v_add_f64 v[18:19], v[26:27], v[20:21]
	v_add_f64 v[22:23], v[18:19], -v[26:27]
	s_delay_alu instid0(VALU_DEP_1) | instskip(NEXT) | instid1(VALU_DEP_1)
	v_add_f64 v[20:21], v[20:21], -v[22:23]
	v_add_f64 v[16:17], v[16:17], v[20:21]
	s_delay_alu instid0(VALU_DEP_1) | instskip(NEXT) | instid1(VALU_DEP_1)
	v_add_f64 v[16:17], v[18:19], v[16:17]
	v_dual_cndmask_b32 v14, v16, v6 :: v_dual_and_b32 v11, 0x7fffffff, v7
	s_delay_alu instid0(VALU_DEP_1) | instskip(NEXT) | instid1(VALU_DEP_2)
	v_cndmask_b32_e32 v11, v17, v11, vcc_lo
	v_cndmask_b32_e64 v16, 0, v14, s0
	s_delay_alu instid0(VALU_DEP_2) | instskip(NEXT) | instid1(VALU_DEP_1)
	v_cndmask_b32_e64 v17, 0xfff00000, v11, s0
	v_fma_f64 v[16:17], |v[6:7]|, v[16:17], -|v[6:7]|
.LBB12_167:                             ;   in Loop: Header=BB12_162 Depth=1
	s_and_not1_saveexec_b32 s0, s57
	s_cbranch_execz .LBB12_169
; %bb.168:                              ;   in Loop: Header=BB12_162 Depth=1
	v_dual_mov_b32 v16, v6 :: v_dual_and_b32 v17, 0x7fffffff, v7
	s_mov_b32 s5, s51
	s_mov_b32 s58, 0x4cdad5d1
	;; [unrolled: 1-line block ×4, first 2 shown]
	v_div_scale_f64 v[18:19], null, v[16:17], v[16:17], 1.0
	s_mov_b32 s61, 0xbf5ab89d
	s_delay_alu instid0(VALU_DEP_1) | instskip(SKIP_2) | instid1(VALU_DEP_1)
	v_rcp_f64_e32 v[20:21], v[18:19]
	s_waitcnt_depctr 0xfff
	v_fma_f64 v[22:23], -v[18:19], v[20:21], 1.0
	v_fma_f64 v[20:21], v[20:21], v[22:23], v[20:21]
	s_delay_alu instid0(VALU_DEP_1) | instskip(NEXT) | instid1(VALU_DEP_1)
	v_fma_f64 v[22:23], -v[18:19], v[20:21], 1.0
	v_fma_f64 v[20:21], v[20:21], v[22:23], v[20:21]
	v_div_scale_f64 v[22:23], vcc_lo, 1.0, v[16:17], 1.0
	s_delay_alu instid0(VALU_DEP_1) | instskip(NEXT) | instid1(VALU_DEP_1)
	v_mul_f64 v[24:25], v[22:23], v[20:21]
	v_fma_f64 v[18:19], -v[18:19], v[24:25], v[22:23]
	s_delay_alu instid0(VALU_DEP_1) | instskip(SKIP_1) | instid1(VALU_DEP_2)
	v_div_fmas_f64 v[18:19], v[18:19], v[20:21], v[24:25]
	v_frexp_mant_f64_e64 v[20:21], |v[6:7]|
	v_div_fixup_f64 v[18:19], v[18:19], |v[6:7]|, 1.0
	s_delay_alu instid0(VALU_DEP_2) | instskip(SKIP_1) | instid1(VALU_DEP_1)
	v_cmp_gt_f64_e32 vcc_lo, s[50:51], v[20:21]
	v_cndmask_b32_e64 v11, 0x3ff00000, 2.0, vcc_lo
	v_mul_f64 v[20:21], v[20:21], v[10:11]
	v_frexp_exp_i32_f64_e32 v11, v[6:7]
	s_delay_alu instid0(VALU_DEP_2) | instskip(NEXT) | instid1(VALU_DEP_2)
	v_add_f64 v[22:23], v[20:21], 1.0
	v_subrev_co_ci_u32_e32 v11, vcc_lo, 0, v11, vcc_lo
	v_cmp_class_f64_e64 vcc_lo, v[6:7], 0x204
	s_delay_alu instid0(VALU_DEP_3) | instskip(SKIP_2) | instid1(VALU_DEP_1)
	v_rcp_f64_e32 v[24:25], v[22:23]
	s_waitcnt_depctr 0xfff
	v_fma_f64 v[26:27], -v[22:23], v[24:25], 1.0
	v_fma_f64 v[24:25], v[26:27], v[24:25], v[24:25]
	s_delay_alu instid0(VALU_DEP_1) | instskip(NEXT) | instid1(VALU_DEP_1)
	v_fma_f64 v[26:27], -v[22:23], v[24:25], 1.0
	v_fma_f64 v[24:25], v[26:27], v[24:25], v[24:25]
	v_add_f64 v[26:27], v[22:23], -1.0
	s_delay_alu instid0(VALU_DEP_1) | instskip(SKIP_1) | instid1(VALU_DEP_1)
	v_add_f64 v[26:27], v[20:21], -v[26:27]
	v_add_f64 v[20:21], v[20:21], -1.0
	v_mul_f64 v[28:29], v[20:21], v[24:25]
	s_delay_alu instid0(VALU_DEP_1) | instskip(NEXT) | instid1(VALU_DEP_1)
	v_mul_f64 v[30:31], v[22:23], v[28:29]
	v_fma_f64 v[22:23], v[28:29], v[22:23], -v[30:31]
	s_delay_alu instid0(VALU_DEP_1) | instskip(NEXT) | instid1(VALU_DEP_1)
	v_fma_f64 v[22:23], v[28:29], v[26:27], v[22:23]
	v_add_f64 v[26:27], v[30:31], v[22:23]
	s_delay_alu instid0(VALU_DEP_1) | instskip(NEXT) | instid1(VALU_DEP_1)
	v_add_f64 v[30:31], v[26:27], -v[30:31]
	v_add_f64 v[22:23], v[30:31], -v[22:23]
	v_add_f64 v[30:31], v[20:21], -v[26:27]
	s_delay_alu instid0(VALU_DEP_1) | instskip(NEXT) | instid1(VALU_DEP_1)
	v_add_f64 v[20:21], v[20:21], -v[30:31]
	v_add_f64 v[20:21], v[20:21], -v[26:27]
	s_delay_alu instid0(VALU_DEP_1) | instskip(SKIP_1) | instid1(VALU_DEP_2)
	v_add_f64 v[20:21], v[22:23], v[20:21]
	v_cvt_f64_i32_e32 v[22:23], v11
	v_add_f64 v[20:21], v[30:31], v[20:21]
	s_delay_alu instid0(VALU_DEP_1) | instskip(NEXT) | instid1(VALU_DEP_3)
	v_mul_f64 v[20:21], v[24:25], v[20:21]
	v_mul_f64 v[24:25], v[22:23], s[20:21]
	s_delay_alu instid0(VALU_DEP_1) | instskip(NEXT) | instid1(VALU_DEP_1)
	v_fma_f64 v[26:27], v[22:23], s[20:21], -v[24:25]
	v_fma_f64 v[22:23], v[22:23], s[22:23], v[26:27]
	s_delay_alu instid0(VALU_DEP_4) | instskip(NEXT) | instid1(VALU_DEP_1)
	v_add_f64 v[26:27], v[28:29], v[20:21]
	v_add_f64 v[28:29], v[26:27], -v[28:29]
	s_delay_alu instid0(VALU_DEP_1) | instskip(SKIP_1) | instid1(VALU_DEP_2)
	v_add_f64 v[20:21], v[20:21], -v[28:29]
	v_mul_f64 v[28:29], v[26:27], v[26:27]
	v_ldexp_f64 v[20:21], v[20:21], 1
	s_delay_alu instid0(VALU_DEP_2) | instskip(NEXT) | instid1(VALU_DEP_1)
	v_fma_f64 v[30:31], v[28:29], s[8:9], s[6:7]
	v_fma_f64 v[30:31], v[28:29], v[30:31], s[12:13]
	s_delay_alu instid0(VALU_DEP_1) | instskip(NEXT) | instid1(VALU_DEP_1)
	v_fma_f64 v[30:31], v[28:29], v[30:31], s[14:15]
	v_fma_f64 v[30:31], v[28:29], v[30:31], s[16:17]
	s_delay_alu instid0(VALU_DEP_1) | instskip(NEXT) | instid1(VALU_DEP_1)
	v_fma_f64 v[30:31], v[28:29], v[30:31], s[18:19]
	v_fma_f64 v[30:31], v[28:29], v[30:31], s[4:5]
	v_mul_f64 v[28:29], v[26:27], v[28:29]
	v_ldexp_f64 v[26:27], v[26:27], 1
	s_delay_alu instid0(VALU_DEP_2) | instskip(NEXT) | instid1(VALU_DEP_1)
	v_mul_f64 v[28:29], v[28:29], v[30:31]
	v_add_f64 v[30:31], v[26:27], v[28:29]
	s_delay_alu instid0(VALU_DEP_1) | instskip(NEXT) | instid1(VALU_DEP_1)
	v_add_f64 v[26:27], v[30:31], -v[26:27]
	v_add_f64 v[26:27], v[28:29], -v[26:27]
	s_delay_alu instid0(VALU_DEP_1) | instskip(SKIP_1) | instid1(VALU_DEP_1)
	v_add_f64 v[20:21], v[20:21], v[26:27]
	v_add_f64 v[26:27], v[24:25], v[22:23]
	v_add_f64 v[24:25], v[26:27], -v[24:25]
	s_delay_alu instid0(VALU_DEP_1) | instskip(NEXT) | instid1(VALU_DEP_4)
	v_add_f64 v[22:23], v[22:23], -v[24:25]
	v_add_f64 v[24:25], v[30:31], v[20:21]
	s_delay_alu instid0(VALU_DEP_1) | instskip(SKIP_1) | instid1(VALU_DEP_2)
	v_add_f64 v[28:29], v[24:25], -v[30:31]
	v_add_f64 v[30:31], v[26:27], v[24:25]
	v_add_f64 v[20:21], v[20:21], -v[28:29]
	s_delay_alu instid0(VALU_DEP_2) | instskip(NEXT) | instid1(VALU_DEP_1)
	v_add_f64 v[32:33], v[30:31], -v[26:27]
	v_add_f64 v[24:25], v[24:25], -v[32:33]
	v_add_f64 v[32:33], v[30:31], -v[32:33]
	s_delay_alu instid0(VALU_DEP_1) | instskip(NEXT) | instid1(VALU_DEP_1)
	v_add_f64 v[26:27], v[26:27], -v[32:33]
	v_add_f64 v[24:25], v[24:25], v[26:27]
	v_add_f64 v[26:27], v[22:23], v[20:21]
	s_delay_alu instid0(VALU_DEP_1) | instskip(NEXT) | instid1(VALU_DEP_3)
	v_add_f64 v[28:29], v[26:27], -v[22:23]
	v_add_f64 v[24:25], v[26:27], v[24:25]
	s_delay_alu instid0(VALU_DEP_2) | instskip(SKIP_1) | instid1(VALU_DEP_1)
	v_add_f64 v[20:21], v[20:21], -v[28:29]
	v_add_f64 v[28:29], v[26:27], -v[28:29]
	;; [unrolled: 1-line block ×3, first 2 shown]
	s_delay_alu instid0(VALU_DEP_1) | instskip(SKIP_1) | instid1(VALU_DEP_1)
	v_add_f64 v[20:21], v[20:21], v[22:23]
	v_add_f64 v[22:23], v[30:31], v[24:25]
	v_add_f64 v[26:27], v[22:23], -v[30:31]
	s_delay_alu instid0(VALU_DEP_1) | instskip(NEXT) | instid1(VALU_DEP_1)
	v_add_f64 v[24:25], v[24:25], -v[26:27]
	v_add_f64 v[20:21], v[20:21], v[24:25]
	s_delay_alu instid0(VALU_DEP_1) | instskip(NEXT) | instid1(VALU_DEP_1)
	v_add_f64 v[20:21], v[22:23], v[20:21]
	v_dual_cndmask_b32 v17, v21, v17 :: v_dual_cndmask_b32 v16, v20, v16
	v_mul_f64 v[20:21], v[18:19], v[18:19]
	v_cmp_neq_f64_e32 vcc_lo, 0, v[6:7]
	s_delay_alu instid0(VALU_DEP_3) | instskip(NEXT) | instid1(VALU_DEP_3)
	v_add_f64 v[16:17], v[16:17], -1.0
	v_fma_f64 v[22:23], v[20:21], s[60:61], s[58:59]
	s_mov_b32 s58, 0x8c0fe741
	s_mov_b32 s59, 0xbf4380cb
	;; [unrolled: 1-line block ×3, first 2 shown]
	s_delay_alu instid0(VALU_DEP_2) | instskip(NEXT) | instid1(VALU_DEP_3)
	v_cndmask_b32_e32 v17, 0xfff00000, v17, vcc_lo
	v_cndmask_b32_e32 v16, 0, v16, vcc_lo
	s_mov_b32 s61, 0x3f00bfec
	s_delay_alu instid0(VALU_DEP_3)
	v_fma_f64 v[22:23], v[20:21], v[22:23], s[58:59]
	s_mov_b32 s58, 0x98cf38b6
	s_mov_b32 s59, 0x3f4a019f
	s_delay_alu instid0(VALU_DEP_1) | instid1(SALU_CYCLE_1)
	v_fma_f64 v[22:23], v[20:21], v[22:23], s[58:59]
	s_mov_b32 s58, 0x16b02e5c
	s_mov_b32 s59, 0xbf66c16c
	s_delay_alu instid0(VALU_DEP_1) | instid1(SALU_CYCLE_1)
	;; [unrolled: 4-line block ×4, first 2 shown]
	v_fma_f64 v[18:19], v[18:19], v[20:21], s[58:59]
	v_add_f64 v[20:21], |v[6:7]|, -0.5
	s_mov_b32 s58, 0x7368f239
	s_mov_b32 s59, 0x3f5e26b6
	s_delay_alu instid0(VALU_DEP_1)
	v_fma_f64 v[16:17], v[20:21], v[16:17], v[18:19]
.LBB12_169:                             ;   in Loop: Header=BB12_162 Depth=1
	s_or_b32 exec_lo, exec_lo, s0
.LBB12_170:                             ;   in Loop: Header=BB12_162 Depth=1
	s_and_not1_saveexec_b32 s57, s1
	s_cbranch_execz .LBB12_172
; %bb.171:                              ;   in Loop: Header=BB12_162 Depth=1
	v_cvt_i32_f64_e32 v11, v[14:15]
	s_mov_b32 s0, 0x7e939961
	s_mov_b32 s1, 0x3f9b481c
	s_mov_b32 s62, 0xa5b38140
	s_mov_b32 s63, 0x3edebaf7
	s_mov_b32 vcc_lo, s52
	s_mov_b32 s5, s51
	s_delay_alu instid0(VALU_DEP_1) | instskip(NEXT) | instid1(VALU_DEP_1)
	v_cvt_f64_i32_e32 v[16:17], v11
	v_add_f64 v[16:17], |v[6:7]|, -v[16:17]
	s_delay_alu instid0(VALU_DEP_1) | instskip(NEXT) | instid1(VALU_DEP_1)
	v_fma_f64 v[18:19], v[16:17], s[60:61], s[58:59]
	v_fma_f64 v[18:19], v[16:17], v[18:19], s[0:1]
	s_mov_b32 s0, 0xca41a95b
	s_mov_b32 s1, 0x3f497dda
	s_delay_alu instid0(SALU_CYCLE_1)
	v_fma_f64 v[20:21], v[16:17], s[62:63], s[0:1]
	s_mov_b32 s0, 0x742ed475
	s_mov_b32 s1, 0x3f9317ea
	s_delay_alu instid0(VALU_DEP_1) | instid1(SALU_CYCLE_1)
	v_fma_f64 v[20:21], v[16:17], v[20:21], s[0:1]
	s_mov_b32 s0, 0xbee5f2f7
	s_mov_b32 s1, 0x3fc2bb9c
	s_delay_alu instid0(VALU_DEP_3) | instid1(SALU_CYCLE_1)
	v_fma_f64 v[18:19], v[16:17], v[18:19], s[0:1]
	s_mov_b32 s0, 0xccfbdf27
	s_mov_b32 s1, 0x3fc601ed
	s_delay_alu instid0(VALU_DEP_2) | instid1(SALU_CYCLE_1)
	v_fma_f64 v[20:21], v[16:17], v[20:21], s[0:1]
	s_mov_b32 s0, 0x4f139f59
	s_mov_b32 s1, 0x3fd4d98f
	s_delay_alu instid0(VALU_DEP_2) | instid1(SALU_CYCLE_1)
	;; [unrolled: 4-line block ×4, first 2 shown]
	v_fma_f64 v[18:19], v[16:17], v[18:19], s[0:1]
	s_delay_alu instid0(VALU_DEP_2) | instskip(NEXT) | instid1(VALU_DEP_2)
	v_fma_f64 v[20:21], v[16:17], v[20:21], s[64:65]
	v_fma_f64 v[18:19], v[16:17], v[18:19], vcc
	s_delay_alu instid0(VALU_DEP_2) | instskip(NEXT) | instid1(VALU_DEP_2)
	v_fma_f64 v[20:21], v[16:17], v[20:21], 1.0
	v_mul_f64 v[18:19], v[16:17], v[18:19]
	s_delay_alu instid0(VALU_DEP_1) | instskip(NEXT) | instid1(VALU_DEP_1)
	v_div_scale_f64 v[22:23], null, v[20:21], v[20:21], v[18:19]
	v_rcp_f64_e32 v[24:25], v[22:23]
	s_waitcnt_depctr 0xfff
	v_fma_f64 v[26:27], -v[22:23], v[24:25], 1.0
	s_delay_alu instid0(VALU_DEP_1) | instskip(NEXT) | instid1(VALU_DEP_1)
	v_fma_f64 v[24:25], v[24:25], v[26:27], v[24:25]
	v_fma_f64 v[26:27], -v[22:23], v[24:25], 1.0
	s_delay_alu instid0(VALU_DEP_1) | instskip(SKIP_1) | instid1(VALU_DEP_1)
	v_fma_f64 v[24:25], v[24:25], v[26:27], v[24:25]
	v_div_scale_f64 v[26:27], vcc_lo, v[18:19], v[20:21], v[18:19]
	v_mul_f64 v[28:29], v[26:27], v[24:25]
	s_delay_alu instid0(VALU_DEP_1) | instskip(NEXT) | instid1(VALU_DEP_1)
	v_fma_f64 v[22:23], -v[22:23], v[28:29], v[26:27]
	v_div_fmas_f64 v[22:23], v[22:23], v[24:25], v[28:29]
	v_cmp_lt_i32_e32 vcc_lo, 2, v11
	s_delay_alu instid0(VALU_DEP_2) | instskip(SKIP_2) | instid1(VALU_DEP_2)
	v_div_fixup_f64 v[18:19], v[22:23], v[20:21], v[18:19]
	v_add_f64 v[20:21], v[16:17], 2.0
	v_add_f64 v[22:23], 0x40080000, v[16:17]
	v_cndmask_b32_e32 v21, 0x3ff00000, v21, vcc_lo
	s_delay_alu instid0(VALU_DEP_3) | instskip(SKIP_1) | instid1(VALU_DEP_4)
	v_cndmask_b32_e32 v20, 0, v20, vcc_lo
	v_cmp_lt_i32_e32 vcc_lo, 3, v11
	v_cndmask_b32_e32 v23, 0x3ff00000, v23, vcc_lo
	v_cndmask_b32_e32 v22, 0, v22, vcc_lo
	v_cmp_lt_i32_e32 vcc_lo, 4, v11
	s_delay_alu instid0(VALU_DEP_2) | instskip(SKIP_1) | instid1(VALU_DEP_1)
	v_mul_f64 v[20:21], v[20:21], v[22:23]
	v_add_f64 v[22:23], v[16:17], 4.0
	v_cndmask_b32_e32 v23, 0x3ff00000, v23, vcc_lo
	s_delay_alu instid0(VALU_DEP_2) | instskip(SKIP_1) | instid1(VALU_DEP_2)
	v_cndmask_b32_e32 v22, 0, v22, vcc_lo
	v_cmp_lt_i32_e32 vcc_lo, 5, v11
	v_mul_f64 v[20:21], v[22:23], v[20:21]
	v_add_f64 v[22:23], 0x40140000, v[16:17]
	s_delay_alu instid0(VALU_DEP_1) | instskip(NEXT) | instid1(VALU_DEP_2)
	v_cndmask_b32_e32 v23, 0x3ff00000, v23, vcc_lo
	v_cndmask_b32_e32 v22, 0, v22, vcc_lo
	v_cmp_lt_i32_e32 vcc_lo, 6, v11
	s_delay_alu instid0(VALU_DEP_2) | instskip(SKIP_2) | instid1(VALU_DEP_2)
	v_mul_f64 v[20:21], v[22:23], v[20:21]
	v_add_f64 v[22:23], 0x40180000, v[16:17]
	v_fma_f64 v[16:17], v[16:17], 0.5, v[18:19]
	v_cndmask_b32_e32 v23, 0x3ff00000, v23, vcc_lo
	s_delay_alu instid0(VALU_DEP_3) | instskip(NEXT) | instid1(VALU_DEP_1)
	v_cndmask_b32_e32 v22, 0, v22, vcc_lo
	v_mul_f64 v[20:21], v[22:23], v[20:21]
	s_delay_alu instid0(VALU_DEP_1) | instskip(SKIP_2) | instid1(VALU_DEP_3)
	v_frexp_mant_f64_e32 v[22:23], v[20:21]
	v_cmp_nge_f64_e64 s0, 0, v[20:21]
	v_cmp_neq_f64_e64 s1, 0, v[20:21]
	v_cmp_gt_f64_e32 vcc_lo, s[50:51], v[22:23]
	v_cndmask_b32_e64 v11, 0x3ff00000, 2.0, vcc_lo
	s_delay_alu instid0(VALU_DEP_1) | instskip(SKIP_1) | instid1(VALU_DEP_2)
	v_mul_f64 v[22:23], v[22:23], v[10:11]
	v_frexp_exp_i32_f64_e32 v11, v[20:21]
	v_add_f64 v[24:25], v[22:23], 1.0
	s_delay_alu instid0(VALU_DEP_2) | instskip(SKIP_1) | instid1(VALU_DEP_3)
	v_subrev_co_ci_u32_e32 v11, vcc_lo, 0, v11, vcc_lo
	v_cmp_class_f64_e64 vcc_lo, v[20:21], 0x204
	v_rcp_f64_e32 v[26:27], v[24:25]
	s_waitcnt_depctr 0xfff
	v_fma_f64 v[28:29], -v[24:25], v[26:27], 1.0
	s_delay_alu instid0(VALU_DEP_1) | instskip(NEXT) | instid1(VALU_DEP_1)
	v_fma_f64 v[26:27], v[28:29], v[26:27], v[26:27]
	v_fma_f64 v[28:29], -v[24:25], v[26:27], 1.0
	s_delay_alu instid0(VALU_DEP_1) | instskip(SKIP_1) | instid1(VALU_DEP_1)
	v_fma_f64 v[26:27], v[28:29], v[26:27], v[26:27]
	v_add_f64 v[28:29], v[24:25], -1.0
	v_add_f64 v[28:29], v[22:23], -v[28:29]
	v_add_f64 v[22:23], v[22:23], -1.0
	s_delay_alu instid0(VALU_DEP_1) | instskip(NEXT) | instid1(VALU_DEP_1)
	v_mul_f64 v[30:31], v[22:23], v[26:27]
	v_mul_f64 v[32:33], v[24:25], v[30:31]
	s_delay_alu instid0(VALU_DEP_1) | instskip(NEXT) | instid1(VALU_DEP_1)
	v_fma_f64 v[24:25], v[30:31], v[24:25], -v[32:33]
	v_fma_f64 v[24:25], v[30:31], v[28:29], v[24:25]
	s_delay_alu instid0(VALU_DEP_1) | instskip(NEXT) | instid1(VALU_DEP_1)
	v_add_f64 v[28:29], v[32:33], v[24:25]
	v_add_f64 v[32:33], v[28:29], -v[32:33]
	s_delay_alu instid0(VALU_DEP_1) | instskip(SKIP_1) | instid1(VALU_DEP_1)
	v_add_f64 v[24:25], v[32:33], -v[24:25]
	v_add_f64 v[32:33], v[22:23], -v[28:29]
	;; [unrolled: 1-line block ×3, first 2 shown]
	s_delay_alu instid0(VALU_DEP_1) | instskip(NEXT) | instid1(VALU_DEP_1)
	v_add_f64 v[22:23], v[22:23], -v[28:29]
	v_add_f64 v[22:23], v[24:25], v[22:23]
	v_cvt_f64_i32_e32 v[24:25], v11
	s_delay_alu instid0(VALU_DEP_2) | instskip(NEXT) | instid1(VALU_DEP_1)
	v_add_f64 v[22:23], v[32:33], v[22:23]
	v_mul_f64 v[22:23], v[26:27], v[22:23]
	s_delay_alu instid0(VALU_DEP_3) | instskip(NEXT) | instid1(VALU_DEP_1)
	v_mul_f64 v[26:27], v[24:25], s[20:21]
	v_fma_f64 v[28:29], v[24:25], s[20:21], -v[26:27]
	s_delay_alu instid0(VALU_DEP_1) | instskip(NEXT) | instid1(VALU_DEP_4)
	v_fma_f64 v[24:25], v[24:25], s[22:23], v[28:29]
	v_add_f64 v[28:29], v[30:31], v[22:23]
	s_delay_alu instid0(VALU_DEP_1) | instskip(NEXT) | instid1(VALU_DEP_1)
	v_add_f64 v[30:31], v[28:29], -v[30:31]
	v_add_f64 v[22:23], v[22:23], -v[30:31]
	v_mul_f64 v[30:31], v[28:29], v[28:29]
	s_delay_alu instid0(VALU_DEP_2) | instskip(NEXT) | instid1(VALU_DEP_2)
	v_ldexp_f64 v[22:23], v[22:23], 1
	v_fma_f64 v[32:33], v[30:31], s[8:9], s[6:7]
	s_delay_alu instid0(VALU_DEP_1) | instskip(NEXT) | instid1(VALU_DEP_1)
	v_fma_f64 v[32:33], v[30:31], v[32:33], s[12:13]
	v_fma_f64 v[32:33], v[30:31], v[32:33], s[14:15]
	s_delay_alu instid0(VALU_DEP_1) | instskip(NEXT) | instid1(VALU_DEP_1)
	v_fma_f64 v[32:33], v[30:31], v[32:33], s[16:17]
	v_fma_f64 v[32:33], v[30:31], v[32:33], s[18:19]
	s_delay_alu instid0(VALU_DEP_1) | instskip(SKIP_2) | instid1(VALU_DEP_2)
	v_fma_f64 v[32:33], v[30:31], v[32:33], s[4:5]
	v_mul_f64 v[30:31], v[28:29], v[30:31]
	v_ldexp_f64 v[28:29], v[28:29], 1
	v_mul_f64 v[30:31], v[30:31], v[32:33]
	s_delay_alu instid0(VALU_DEP_1) | instskip(NEXT) | instid1(VALU_DEP_1)
	v_add_f64 v[32:33], v[28:29], v[30:31]
	v_add_f64 v[28:29], v[32:33], -v[28:29]
	s_delay_alu instid0(VALU_DEP_1) | instskip(NEXT) | instid1(VALU_DEP_1)
	v_add_f64 v[28:29], v[30:31], -v[28:29]
	v_add_f64 v[22:23], v[22:23], v[28:29]
	v_add_f64 v[28:29], v[26:27], v[24:25]
	s_delay_alu instid0(VALU_DEP_1) | instskip(NEXT) | instid1(VALU_DEP_1)
	v_add_f64 v[26:27], v[28:29], -v[26:27]
	v_add_f64 v[24:25], v[24:25], -v[26:27]
	s_delay_alu instid0(VALU_DEP_4) | instskip(NEXT) | instid1(VALU_DEP_1)
	v_add_f64 v[26:27], v[32:33], v[22:23]
	v_add_f64 v[30:31], v[26:27], -v[32:33]
	v_add_f64 v[32:33], v[28:29], v[26:27]
	s_delay_alu instid0(VALU_DEP_2) | instskip(NEXT) | instid1(VALU_DEP_2)
	v_add_f64 v[22:23], v[22:23], -v[30:31]
	v_add_f64 v[34:35], v[32:33], -v[28:29]
	s_delay_alu instid0(VALU_DEP_1) | instskip(SKIP_1) | instid1(VALU_DEP_1)
	v_add_f64 v[26:27], v[26:27], -v[34:35]
	v_add_f64 v[34:35], v[32:33], -v[34:35]
	;; [unrolled: 1-line block ×3, first 2 shown]
	s_delay_alu instid0(VALU_DEP_1) | instskip(SKIP_1) | instid1(VALU_DEP_1)
	v_add_f64 v[26:27], v[26:27], v[28:29]
	v_add_f64 v[28:29], v[24:25], v[22:23]
	v_add_f64 v[30:31], v[28:29], -v[24:25]
	s_delay_alu instid0(VALU_DEP_3) | instskip(NEXT) | instid1(VALU_DEP_2)
	v_add_f64 v[26:27], v[28:29], v[26:27]
	v_add_f64 v[22:23], v[22:23], -v[30:31]
	v_add_f64 v[30:31], v[28:29], -v[30:31]
	s_delay_alu instid0(VALU_DEP_1) | instskip(NEXT) | instid1(VALU_DEP_1)
	v_add_f64 v[24:25], v[24:25], -v[30:31]
	v_add_f64 v[22:23], v[22:23], v[24:25]
	v_add_f64 v[24:25], v[32:33], v[26:27]
	s_delay_alu instid0(VALU_DEP_1) | instskip(NEXT) | instid1(VALU_DEP_1)
	v_add_f64 v[28:29], v[24:25], -v[32:33]
	v_add_f64 v[26:27], v[26:27], -v[28:29]
	s_delay_alu instid0(VALU_DEP_1) | instskip(NEXT) | instid1(VALU_DEP_1)
	v_add_f64 v[22:23], v[22:23], v[26:27]
	v_add_f64 v[22:23], v[24:25], v[22:23]
	s_delay_alu instid0(VALU_DEP_1) | instskip(SKIP_1) | instid1(VALU_DEP_2)
	v_dual_cndmask_b32 v11, v22, v20 :: v_dual_cndmask_b32 v14, v23, v21
	v_cmp_ngt_f64_e32 vcc_lo, 0, v[20:21]
	v_cndmask_b32_e64 v18, 0, v11, s0
	s_delay_alu instid0(VALU_DEP_3) | instskip(NEXT) | instid1(VALU_DEP_1)
	v_cndmask_b32_e32 v14, 0x7ff80000, v14, vcc_lo
	v_cndmask_b32_e64 v19, 0xfff00000, v14, s1
	s_delay_alu instid0(VALU_DEP_1)
	v_add_f64 v[16:17], v[16:17], v[18:19]
.LBB12_172:                             ;   in Loop: Header=BB12_162 Depth=1
	s_or_b32 exec_lo, exec_lo, s57
.LBB12_173:                             ;   in Loop: Header=BB12_162 Depth=1
	s_and_not1_saveexec_b32 s56, s56
	s_cbranch_execz .LBB12_187
; %bb.174:                              ;   in Loop: Header=BB12_162 Depth=1
	s_mov_b32 s5, exec_lo
                                        ; implicit-def: $sgpr0_sgpr1
                                        ; implicit-def: $vgpr11
                                        ; implicit-def: $vgpr18_vgpr19
	v_cmpx_lt_u32_e32 0x3feccccc, v15
	s_xor_b32 s5, exec_lo, s5
; %bb.175:                              ;   in Loop: Header=BB12_162 Depth=1
	v_add_f64 v[16:17], -|v[6:7]|, 2.0
	v_add_f64 v[18:19], |v[6:7]|, s[66:67]
	v_add_f64 v[20:21], |v[6:7]|, -1.0
	v_cmp_gt_u32_e32 vcc_lo, 0x3ffbb4c3, v15
	v_cmp_gt_u32_e64 s0, 0x3ff3b4c4, v15
	s_delay_alu instid0(VALU_DEP_4) | instskip(SKIP_1) | instid1(VALU_DEP_2)
	v_dual_cndmask_b32 v11, v17, v19 :: v_dual_cndmask_b32 v14, v16, v18
	v_cndmask_b32_e64 v16, 0, 1, vcc_lo
	v_cndmask_b32_e64 v19, v11, v21, s0
	s_delay_alu instid0(VALU_DEP_3) | instskip(NEXT) | instid1(VALU_DEP_3)
	v_cndmask_b32_e64 v18, v14, v20, s0
	v_cndmask_b32_e64 v11, v16, 2, s0
	s_mov_b64 s[0:1], 0
; %bb.176:                              ;   in Loop: Header=BB12_162 Depth=1
	s_or_saveexec_b32 s57, s5
	v_dual_mov_b32 v17, s1 :: v_dual_mov_b32 v16, s0
	s_xor_b32 exec_lo, exec_lo, s57
	s_cbranch_execz .LBB12_178
; %bb.177:                              ;   in Loop: Header=BB12_162 Depth=1
	v_add_f64 v[16:17], -|v[6:7]|, 1.0
	v_add_f64 v[18:19], |v[6:7]|, s[68:69]
	v_cmp_gt_u32_e32 vcc_lo, 0x3fe76944, v15
	s_mov_b32 s5, s51
	v_cmp_gt_u32_e64 s1, 0x3fcda661, v15
	s_delay_alu instid0(VALU_DEP_3) | instskip(NEXT) | instid1(VALU_DEP_4)
	v_cndmask_b32_e32 v14, v16, v18, vcc_lo
	v_cndmask_b32_e32 v30, v17, v19, vcc_lo
	v_frexp_mant_f64_e64 v[16:17], |v[6:7]|
	s_delay_alu instid0(VALU_DEP_1) | instskip(NEXT) | instid1(VALU_DEP_1)
	v_cmp_gt_f64_e64 s0, s[50:51], v[16:17]
	v_cndmask_b32_e64 v11, 0x3ff00000, 2.0, s0
	s_delay_alu instid0(VALU_DEP_1) | instskip(SKIP_1) | instid1(VALU_DEP_2)
	v_mul_f64 v[16:17], v[16:17], v[10:11]
	v_frexp_exp_i32_f64_e32 v11, v[6:7]
	v_add_f64 v[18:19], v[16:17], 1.0
	s_delay_alu instid0(VALU_DEP_2) | instskip(SKIP_1) | instid1(VALU_DEP_3)
	v_subrev_co_ci_u32_e64 v11, s0, 0, v11, s0
	v_cmp_class_f64_e64 s0, v[6:7], 0x204
	v_rcp_f64_e32 v[20:21], v[18:19]
	s_waitcnt_depctr 0xfff
	v_fma_f64 v[22:23], -v[18:19], v[20:21], 1.0
	s_delay_alu instid0(VALU_DEP_1) | instskip(NEXT) | instid1(VALU_DEP_1)
	v_fma_f64 v[20:21], v[22:23], v[20:21], v[20:21]
	v_fma_f64 v[22:23], -v[18:19], v[20:21], 1.0
	s_delay_alu instid0(VALU_DEP_1) | instskip(SKIP_1) | instid1(VALU_DEP_1)
	v_fma_f64 v[20:21], v[22:23], v[20:21], v[20:21]
	v_add_f64 v[22:23], v[18:19], -1.0
	v_add_f64 v[22:23], v[16:17], -v[22:23]
	v_add_f64 v[16:17], v[16:17], -1.0
	s_delay_alu instid0(VALU_DEP_1) | instskip(NEXT) | instid1(VALU_DEP_1)
	v_mul_f64 v[24:25], v[16:17], v[20:21]
	v_mul_f64 v[26:27], v[18:19], v[24:25]
	s_delay_alu instid0(VALU_DEP_1) | instskip(NEXT) | instid1(VALU_DEP_1)
	v_fma_f64 v[18:19], v[24:25], v[18:19], -v[26:27]
	v_fma_f64 v[18:19], v[24:25], v[22:23], v[18:19]
	s_delay_alu instid0(VALU_DEP_1) | instskip(NEXT) | instid1(VALU_DEP_1)
	v_add_f64 v[22:23], v[26:27], v[18:19]
	v_add_f64 v[26:27], v[22:23], -v[26:27]
	s_delay_alu instid0(VALU_DEP_1) | instskip(SKIP_1) | instid1(VALU_DEP_1)
	v_add_f64 v[18:19], v[26:27], -v[18:19]
	v_add_f64 v[26:27], v[16:17], -v[22:23]
	;; [unrolled: 1-line block ×3, first 2 shown]
	s_delay_alu instid0(VALU_DEP_1) | instskip(NEXT) | instid1(VALU_DEP_1)
	v_add_f64 v[16:17], v[16:17], -v[22:23]
	v_add_f64 v[16:17], v[18:19], v[16:17]
	v_cvt_f64_i32_e32 v[18:19], v11
	v_and_b32_e32 v11, 0x7fffffff, v7
	s_delay_alu instid0(VALU_DEP_3) | instskip(NEXT) | instid1(VALU_DEP_1)
	v_add_f64 v[16:17], v[26:27], v[16:17]
	v_mul_f64 v[16:17], v[20:21], v[16:17]
	s_delay_alu instid0(VALU_DEP_4) | instskip(NEXT) | instid1(VALU_DEP_1)
	v_mul_f64 v[20:21], v[18:19], s[20:21]
	v_fma_f64 v[22:23], v[18:19], s[20:21], -v[20:21]
	s_delay_alu instid0(VALU_DEP_1) | instskip(NEXT) | instid1(VALU_DEP_4)
	v_fma_f64 v[18:19], v[18:19], s[22:23], v[22:23]
	v_add_f64 v[22:23], v[24:25], v[16:17]
	s_delay_alu instid0(VALU_DEP_1) | instskip(NEXT) | instid1(VALU_DEP_1)
	v_add_f64 v[24:25], v[22:23], -v[24:25]
	v_add_f64 v[16:17], v[16:17], -v[24:25]
	v_mul_f64 v[24:25], v[22:23], v[22:23]
	s_delay_alu instid0(VALU_DEP_2) | instskip(NEXT) | instid1(VALU_DEP_2)
	v_ldexp_f64 v[16:17], v[16:17], 1
	v_fma_f64 v[26:27], v[24:25], s[8:9], s[6:7]
	s_delay_alu instid0(VALU_DEP_1) | instskip(NEXT) | instid1(VALU_DEP_1)
	v_fma_f64 v[26:27], v[24:25], v[26:27], s[12:13]
	v_fma_f64 v[26:27], v[24:25], v[26:27], s[14:15]
	s_delay_alu instid0(VALU_DEP_1) | instskip(NEXT) | instid1(VALU_DEP_1)
	v_fma_f64 v[26:27], v[24:25], v[26:27], s[16:17]
	v_fma_f64 v[26:27], v[24:25], v[26:27], s[18:19]
	s_delay_alu instid0(VALU_DEP_1) | instskip(SKIP_2) | instid1(VALU_DEP_2)
	v_fma_f64 v[26:27], v[24:25], v[26:27], s[4:5]
	v_mul_f64 v[24:25], v[22:23], v[24:25]
	v_ldexp_f64 v[22:23], v[22:23], 1
	v_mul_f64 v[24:25], v[24:25], v[26:27]
	s_delay_alu instid0(VALU_DEP_1) | instskip(NEXT) | instid1(VALU_DEP_1)
	v_add_f64 v[26:27], v[22:23], v[24:25]
	v_add_f64 v[22:23], v[26:27], -v[22:23]
	s_delay_alu instid0(VALU_DEP_1) | instskip(NEXT) | instid1(VALU_DEP_1)
	v_add_f64 v[22:23], v[24:25], -v[22:23]
	v_add_f64 v[16:17], v[16:17], v[22:23]
	v_add_f64 v[22:23], v[20:21], v[18:19]
	s_delay_alu instid0(VALU_DEP_1) | instskip(NEXT) | instid1(VALU_DEP_1)
	v_add_f64 v[20:21], v[22:23], -v[20:21]
	v_add_f64 v[18:19], v[18:19], -v[20:21]
	s_delay_alu instid0(VALU_DEP_4) | instskip(NEXT) | instid1(VALU_DEP_1)
	v_add_f64 v[20:21], v[26:27], v[16:17]
	v_add_f64 v[24:25], v[20:21], -v[26:27]
	v_add_f64 v[26:27], v[22:23], v[20:21]
	s_delay_alu instid0(VALU_DEP_2) | instskip(NEXT) | instid1(VALU_DEP_2)
	v_add_f64 v[16:17], v[16:17], -v[24:25]
	v_add_f64 v[28:29], v[26:27], -v[22:23]
	s_delay_alu instid0(VALU_DEP_1) | instskip(SKIP_1) | instid1(VALU_DEP_1)
	v_add_f64 v[20:21], v[20:21], -v[28:29]
	v_add_f64 v[28:29], v[26:27], -v[28:29]
	;; [unrolled: 1-line block ×3, first 2 shown]
	s_delay_alu instid0(VALU_DEP_1) | instskip(SKIP_1) | instid1(VALU_DEP_1)
	v_add_f64 v[20:21], v[20:21], v[22:23]
	v_add_f64 v[22:23], v[18:19], v[16:17]
	v_add_f64 v[24:25], v[22:23], -v[18:19]
	s_delay_alu instid0(VALU_DEP_3) | instskip(NEXT) | instid1(VALU_DEP_2)
	v_add_f64 v[20:21], v[22:23], v[20:21]
	v_add_f64 v[16:17], v[16:17], -v[24:25]
	v_add_f64 v[24:25], v[22:23], -v[24:25]
	s_delay_alu instid0(VALU_DEP_1) | instskip(NEXT) | instid1(VALU_DEP_1)
	v_add_f64 v[18:19], v[18:19], -v[24:25]
	v_add_f64 v[16:17], v[16:17], v[18:19]
	v_add_f64 v[18:19], v[26:27], v[20:21]
	s_delay_alu instid0(VALU_DEP_1) | instskip(NEXT) | instid1(VALU_DEP_1)
	v_add_f64 v[22:23], v[18:19], -v[26:27]
	v_add_f64 v[20:21], v[20:21], -v[22:23]
	s_delay_alu instid0(VALU_DEP_1) | instskip(NEXT) | instid1(VALU_DEP_1)
	v_add_f64 v[16:17], v[16:17], v[20:21]
	v_add_f64 v[16:17], v[18:19], v[16:17]
	v_cndmask_b32_e64 v19, v30, v11, s1
	v_cndmask_b32_e64 v18, v14, v6, s1
	s_delay_alu instid0(VALU_DEP_3) | instskip(NEXT) | instid1(VALU_DEP_4)
	v_cndmask_b32_e64 v16, v16, v6, s0
	v_cndmask_b32_e64 v17, -v17, -v11, s0
	v_cmp_neq_f64_e64 s0, 0, v[6:7]
	v_cndmask_b32_e64 v11, 0, 1, vcc_lo
	s_delay_alu instid0(VALU_DEP_1) | instskip(NEXT) | instid1(VALU_DEP_3)
	v_cndmask_b32_e64 v11, v11, 2, s1
	v_cndmask_b32_e64 v17, 0x7ff00000, v17, s0
	;; [unrolled: 1-line block ×3, first 2 shown]
.LBB12_178:                             ;   in Loop: Header=BB12_162 Depth=1
	s_or_b32 exec_lo, exec_lo, s57
	s_delay_alu instid0(SALU_CYCLE_1)
	s_mov_b32 s0, exec_lo
                                        ; implicit-def: $vgpr22_vgpr23
	v_cmpx_lt_i32_e32 1, v11
	s_xor_b32 s0, exec_lo, s0
	s_cbranch_execz .LBB12_180
; %bb.179:                              ;   in Loop: Header=BB12_162 Depth=1
	v_fma_f64 v[20:21], v[18:19], s[72:73], s[70:71]
	v_fma_f64 v[22:23], v[18:19], s[82:83], s[80:81]
	s_mov_b32 vcc_lo, s52
                                        ; implicit-def: $vgpr11
	s_delay_alu instid0(VALU_DEP_2) | instskip(NEXT) | instid1(VALU_DEP_2)
	v_fma_f64 v[20:21], v[18:19], v[20:21], s[74:75]
	v_fma_f64 v[22:23], v[18:19], v[22:23], s[84:85]
	s_delay_alu instid0(VALU_DEP_2) | instskip(NEXT) | instid1(VALU_DEP_2)
	v_fma_f64 v[20:21], v[18:19], v[20:21], s[76:77]
	v_fma_f64 v[22:23], v[18:19], v[22:23], s[86:87]
	;; [unrolled: 3-line block ×3, first 2 shown]
	s_delay_alu instid0(VALU_DEP_2) | instskip(NEXT) | instid1(VALU_DEP_2)
	v_fma_f64 v[20:21], v[18:19], v[20:21], vcc
	v_fma_f64 v[22:23], v[18:19], v[22:23], 1.0
	s_delay_alu instid0(VALU_DEP_2) | instskip(NEXT) | instid1(VALU_DEP_1)
	v_mul_f64 v[20:21], v[18:19], v[20:21]
	v_div_scale_f64 v[24:25], null, v[22:23], v[22:23], v[20:21]
	s_delay_alu instid0(VALU_DEP_1) | instskip(SKIP_2) | instid1(VALU_DEP_1)
	v_rcp_f64_e32 v[26:27], v[24:25]
	s_waitcnt_depctr 0xfff
	v_fma_f64 v[28:29], -v[24:25], v[26:27], 1.0
	v_fma_f64 v[26:27], v[26:27], v[28:29], v[26:27]
	s_delay_alu instid0(VALU_DEP_1) | instskip(NEXT) | instid1(VALU_DEP_1)
	v_fma_f64 v[28:29], -v[24:25], v[26:27], 1.0
	v_fma_f64 v[26:27], v[26:27], v[28:29], v[26:27]
	v_div_scale_f64 v[28:29], vcc_lo, v[20:21], v[22:23], v[20:21]
	s_delay_alu instid0(VALU_DEP_1) | instskip(NEXT) | instid1(VALU_DEP_1)
	v_mul_f64 v[30:31], v[28:29], v[26:27]
	v_fma_f64 v[24:25], -v[24:25], v[30:31], v[28:29]
	s_delay_alu instid0(VALU_DEP_1) | instskip(NEXT) | instid1(VALU_DEP_1)
	v_div_fmas_f64 v[24:25], v[24:25], v[26:27], v[30:31]
	v_div_fixup_f64 v[20:21], v[24:25], v[22:23], v[20:21]
	s_delay_alu instid0(VALU_DEP_1)
	v_fma_f64 v[22:23], v[18:19], -0.5, v[20:21]
                                        ; implicit-def: $vgpr18_vgpr19
.LBB12_180:                             ;   in Loop: Header=BB12_162 Depth=1
	s_and_not1_saveexec_b32 s0, s0
	s_cbranch_execz .LBB12_186
; %bb.181:                              ;   in Loop: Header=BB12_162 Depth=1
	v_mul_f64 v[20:21], v[18:19], v[18:19]
	s_mov_b32 s1, exec_lo
                                        ; implicit-def: $vgpr22_vgpr23
	v_cmpx_ne_u32_e32 1, v11
	s_xor_b32 s1, exec_lo, s1
	s_cbranch_execz .LBB12_183
; %bb.182:                              ;   in Loop: Header=BB12_162 Depth=1
	s_mov_b32 s62, 0x987dfb07
	s_mov_b32 s64, 0x90a45837
	;; [unrolled: 1-line block ×4, first 2 shown]
	s_delay_alu instid0(VALU_DEP_2) | instid1(SALU_CYCLE_1)
	v_fma_f64 v[22:23], v[20:21], s[64:65], s[62:63]
	s_mov_b32 s62, 0xed10e54d
	s_mov_b32 s64, 0x428cfa52
	;; [unrolled: 1-line block ×4, first 2 shown]
	s_delay_alu instid0(SALU_CYCLE_1) | instskip(SKIP_4) | instid1(VALU_DEP_2)
	v_fma_f64 v[24:25], v[20:21], s[64:65], s[62:63]
	s_mov_b32 s62, 0x89b99c00
	s_mov_b32 s63, 0x3f40b6c6
	;; [unrolled: 1-line block ×4, first 2 shown]
	v_fma_f64 v[22:23], v[20:21], v[22:23], s[62:63]
	s_mov_b32 s62, 0x116f3f5d
	s_mov_b32 s63, 0x3f538a94
	s_delay_alu instid0(VALU_DEP_2) | instid1(SALU_CYCLE_1)
	v_fma_f64 v[24:25], v[20:21], v[24:25], s[62:63]
	s_mov_b32 s62, 0xccb7926b
	s_mov_b32 s63, 0x3f67add8
	s_delay_alu instid0(VALU_DEP_2) | instid1(SALU_CYCLE_1)
	;; [unrolled: 4-line block ×6, first 2 shown]
	v_fma_f64 v[22:23], v[20:21], v[22:23], s[62:63]
	s_delay_alu instid0(VALU_DEP_2) | instskip(NEXT) | instid1(VALU_DEP_2)
	v_fma_f64 v[24:25], v[20:21], v[24:25], s[52:53]
	v_mul_f64 v[20:21], v[20:21], v[22:23]
	s_delay_alu instid0(VALU_DEP_1) | instskip(NEXT) | instid1(VALU_DEP_1)
	v_fma_f64 v[20:21], v[18:19], v[24:25], v[20:21]
	v_fma_f64 v[22:23], v[18:19], -0.5, v[20:21]
                                        ; implicit-def: $vgpr18_vgpr19
                                        ; implicit-def: $vgpr20_vgpr21
.LBB12_183:                             ;   in Loop: Header=BB12_162 Depth=1
	s_and_not1_saveexec_b32 s1, s1
	s_cbranch_execz .LBB12_185
; %bb.184:                              ;   in Loop: Header=BB12_162 Depth=1
	s_delay_alu instid0(VALU_DEP_2)
	v_mul_f64 v[22:23], v[18:19], v[20:21]
	s_mov_b32 s62, 0xef61a8e9
	s_mov_b32 s66, 0xecc38c38
	;; [unrolled: 1-line block ×4, first 2 shown]
	s_delay_alu instid0(VALU_DEP_1) | instid1(SALU_CYCLE_1)
	v_fma_f64 v[24:25], v[22:23], s[66:67], s[62:63]
	s_mov_b32 s62, 0x9c73e0ec
	s_mov_b32 s66, 0xe8c2d3f4
	;; [unrolled: 1-line block ×4, first 2 shown]
	s_delay_alu instid0(SALU_CYCLE_1) | instskip(SKIP_4) | instid1(VALU_DEP_2)
	v_fma_f64 v[26:27], v[22:23], s[66:67], s[62:63]
	s_mov_b32 s62, 0xb3e914d7
	s_mov_b32 s63, 0xbf6e2eff
	;; [unrolled: 1-line block ×4, first 2 shown]
	v_fma_f64 v[24:25], v[22:23], v[24:25], s[62:63]
	s_mov_b32 s62, 0x2e15c915
	s_mov_b32 s63, 0x3f6282d3
	s_delay_alu instid0(VALU_DEP_2) | instid1(SALU_CYCLE_1)
	v_fma_f64 v[26:27], v[22:23], v[26:27], s[62:63]
	s_mov_b32 s62, 0xbf2d1af1
	s_mov_b32 s63, 0xbf56fe8e
	s_delay_alu instid0(SALU_CYCLE_1) | instskip(SKIP_4) | instid1(VALU_DEP_3)
	v_fma_f64 v[28:29], v[22:23], s[66:67], s[62:63]
	s_mov_b32 s62, 0x970af9ec
	s_mov_b32 s63, 0x3f9266e7
	;; [unrolled: 1-line block ×4, first 2 shown]
	v_fma_f64 v[24:25], v[22:23], v[24:25], s[62:63]
	s_mov_b32 s62, 0xba91ec6a
	s_mov_b32 s63, 0xbf851f9f
	s_delay_alu instid0(VALU_DEP_3) | instid1(SALU_CYCLE_1)
	v_fma_f64 v[26:27], v[22:23], v[26:27], s[62:63]
	s_mov_b32 s62, 0xe370e344
	s_mov_b32 s63, 0x3f78fce0
	s_delay_alu instid0(VALU_DEP_3) | instid1(SALU_CYCLE_1)
	;; [unrolled: 4-line block ×5, first 2 shown]
	v_fma_f64 v[28:29], v[22:23], v[28:29], s[62:63]
	s_mov_b32 s62, 0xc8ee38a2
	s_mov_b32 s63, 0x3fdef72b
	s_delay_alu instid0(VALU_DEP_2) | instskip(NEXT) | instid1(VALU_DEP_2)
	v_fma_f64 v[18:19], v[18:19], v[26:27], v[24:25]
	v_fma_f64 v[24:25], v[22:23], v[28:29], s[62:63]
	s_mov_b32 s62, 0xa48a971f
	s_mov_b32 s63, 0xbc50c7ca
	s_delay_alu instid0(VALU_DEP_2) | instid1(SALU_CYCLE_1)
	v_fma_f64 v[18:19], v[22:23], -v[18:19], s[62:63]
	s_mov_b32 s62, 0xbcc38a42
	s_mov_b32 s63, 0xbfbf19b9
	s_delay_alu instid0(VALU_DEP_1) | instskip(NEXT) | instid1(VALU_DEP_1)
	v_fma_f64 v[18:19], v[20:21], v[24:25], -v[18:19]
	v_add_f64 v[22:23], v[18:19], s[62:63]
.LBB12_185:                             ;   in Loop: Header=BB12_162 Depth=1
	s_or_b32 exec_lo, exec_lo, s1
.LBB12_186:                             ;   in Loop: Header=BB12_162 Depth=1
	s_delay_alu instid0(SALU_CYCLE_1) | instskip(NEXT) | instid1(VALU_DEP_1)
	s_or_b32 exec_lo, exec_lo, s0
	v_add_f64 v[16:17], v[16:17], v[22:23]
.LBB12_187:                             ;   in Loop: Header=BB12_162 Depth=1
	s_or_b32 exec_lo, exec_lo, s56
.LBB12_188:                             ;   in Loop: Header=BB12_162 Depth=1
	s_and_not1_saveexec_b32 s1, s55
	s_cbranch_execz .LBB12_190
; %bb.189:                              ;   in Loop: Header=BB12_162 Depth=1
	v_frexp_mant_f64_e64 v[16:17], |v[6:7]|
	s_mov_b32 s5, s51
	v_cmp_neq_f64_e64 s0, 0, v[6:7]
	s_delay_alu instid0(VALU_DEP_2) | instskip(SKIP_1) | instid1(VALU_DEP_1)
	v_cmp_gt_f64_e32 vcc_lo, s[50:51], v[16:17]
	v_cndmask_b32_e64 v11, 0x3ff00000, 2.0, vcc_lo
	v_mul_f64 v[16:17], v[16:17], v[10:11]
	v_frexp_exp_i32_f64_e32 v11, v[6:7]
	s_delay_alu instid0(VALU_DEP_2) | instskip(NEXT) | instid1(VALU_DEP_2)
	v_add_f64 v[18:19], v[16:17], 1.0
	v_subrev_co_ci_u32_e32 v11, vcc_lo, 0, v11, vcc_lo
	v_cmp_class_f64_e64 vcc_lo, v[6:7], 0x204
	s_delay_alu instid0(VALU_DEP_3) | instskip(SKIP_2) | instid1(VALU_DEP_1)
	v_rcp_f64_e32 v[20:21], v[18:19]
	s_waitcnt_depctr 0xfff
	v_fma_f64 v[22:23], -v[18:19], v[20:21], 1.0
	v_fma_f64 v[20:21], v[22:23], v[20:21], v[20:21]
	s_delay_alu instid0(VALU_DEP_1) | instskip(NEXT) | instid1(VALU_DEP_1)
	v_fma_f64 v[22:23], -v[18:19], v[20:21], 1.0
	v_fma_f64 v[20:21], v[22:23], v[20:21], v[20:21]
	v_add_f64 v[22:23], v[18:19], -1.0
	s_delay_alu instid0(VALU_DEP_1) | instskip(SKIP_1) | instid1(VALU_DEP_1)
	v_add_f64 v[22:23], v[16:17], -v[22:23]
	v_add_f64 v[16:17], v[16:17], -1.0
	v_mul_f64 v[24:25], v[16:17], v[20:21]
	s_delay_alu instid0(VALU_DEP_1) | instskip(NEXT) | instid1(VALU_DEP_1)
	v_mul_f64 v[26:27], v[18:19], v[24:25]
	v_fma_f64 v[18:19], v[24:25], v[18:19], -v[26:27]
	s_delay_alu instid0(VALU_DEP_1) | instskip(NEXT) | instid1(VALU_DEP_1)
	v_fma_f64 v[18:19], v[24:25], v[22:23], v[18:19]
	v_add_f64 v[22:23], v[26:27], v[18:19]
	s_delay_alu instid0(VALU_DEP_1) | instskip(NEXT) | instid1(VALU_DEP_1)
	v_add_f64 v[26:27], v[22:23], -v[26:27]
	v_add_f64 v[18:19], v[26:27], -v[18:19]
	;; [unrolled: 1-line block ×3, first 2 shown]
	s_delay_alu instid0(VALU_DEP_1) | instskip(NEXT) | instid1(VALU_DEP_1)
	v_add_f64 v[16:17], v[16:17], -v[26:27]
	v_add_f64 v[16:17], v[16:17], -v[22:23]
	s_delay_alu instid0(VALU_DEP_1) | instskip(SKIP_1) | instid1(VALU_DEP_2)
	v_add_f64 v[16:17], v[18:19], v[16:17]
	v_cvt_f64_i32_e32 v[18:19], v11
	v_add_f64 v[16:17], v[26:27], v[16:17]
	s_delay_alu instid0(VALU_DEP_1) | instskip(NEXT) | instid1(VALU_DEP_3)
	v_mul_f64 v[16:17], v[20:21], v[16:17]
	v_mul_f64 v[20:21], v[18:19], s[20:21]
	s_delay_alu instid0(VALU_DEP_1) | instskip(NEXT) | instid1(VALU_DEP_1)
	v_fma_f64 v[22:23], v[18:19], s[20:21], -v[20:21]
	v_fma_f64 v[18:19], v[18:19], s[22:23], v[22:23]
	s_delay_alu instid0(VALU_DEP_4) | instskip(NEXT) | instid1(VALU_DEP_1)
	v_add_f64 v[22:23], v[24:25], v[16:17]
	v_add_f64 v[24:25], v[22:23], -v[24:25]
	s_delay_alu instid0(VALU_DEP_1) | instskip(SKIP_1) | instid1(VALU_DEP_2)
	v_add_f64 v[16:17], v[16:17], -v[24:25]
	v_mul_f64 v[24:25], v[22:23], v[22:23]
	v_ldexp_f64 v[16:17], v[16:17], 1
	s_delay_alu instid0(VALU_DEP_2) | instskip(NEXT) | instid1(VALU_DEP_1)
	v_fma_f64 v[26:27], v[24:25], s[8:9], s[6:7]
	v_fma_f64 v[26:27], v[24:25], v[26:27], s[12:13]
	s_delay_alu instid0(VALU_DEP_1) | instskip(NEXT) | instid1(VALU_DEP_1)
	v_fma_f64 v[26:27], v[24:25], v[26:27], s[14:15]
	v_fma_f64 v[26:27], v[24:25], v[26:27], s[16:17]
	s_delay_alu instid0(VALU_DEP_1) | instskip(NEXT) | instid1(VALU_DEP_1)
	v_fma_f64 v[26:27], v[24:25], v[26:27], s[18:19]
	v_fma_f64 v[26:27], v[24:25], v[26:27], s[4:5]
	v_mul_f64 v[24:25], v[22:23], v[24:25]
	v_ldexp_f64 v[22:23], v[22:23], 1
	s_delay_alu instid0(VALU_DEP_2) | instskip(NEXT) | instid1(VALU_DEP_1)
	v_mul_f64 v[24:25], v[24:25], v[26:27]
	v_add_f64 v[26:27], v[22:23], v[24:25]
	s_delay_alu instid0(VALU_DEP_1) | instskip(NEXT) | instid1(VALU_DEP_1)
	v_add_f64 v[22:23], v[26:27], -v[22:23]
	v_add_f64 v[22:23], v[24:25], -v[22:23]
	s_delay_alu instid0(VALU_DEP_1) | instskip(SKIP_1) | instid1(VALU_DEP_1)
	v_add_f64 v[16:17], v[16:17], v[22:23]
	v_add_f64 v[22:23], v[20:21], v[18:19]
	v_add_f64 v[20:21], v[22:23], -v[20:21]
	s_delay_alu instid0(VALU_DEP_1) | instskip(NEXT) | instid1(VALU_DEP_4)
	v_add_f64 v[18:19], v[18:19], -v[20:21]
	v_add_f64 v[20:21], v[26:27], v[16:17]
	s_delay_alu instid0(VALU_DEP_1) | instskip(SKIP_1) | instid1(VALU_DEP_2)
	v_add_f64 v[24:25], v[20:21], -v[26:27]
	v_add_f64 v[26:27], v[22:23], v[20:21]
	v_add_f64 v[16:17], v[16:17], -v[24:25]
	s_delay_alu instid0(VALU_DEP_2) | instskip(NEXT) | instid1(VALU_DEP_1)
	v_add_f64 v[28:29], v[26:27], -v[22:23]
	v_add_f64 v[20:21], v[20:21], -v[28:29]
	;; [unrolled: 1-line block ×3, first 2 shown]
	s_delay_alu instid0(VALU_DEP_1) | instskip(NEXT) | instid1(VALU_DEP_1)
	v_add_f64 v[22:23], v[22:23], -v[28:29]
	v_add_f64 v[20:21], v[20:21], v[22:23]
	v_add_f64 v[22:23], v[18:19], v[16:17]
	s_delay_alu instid0(VALU_DEP_1) | instskip(NEXT) | instid1(VALU_DEP_3)
	v_add_f64 v[24:25], v[22:23], -v[18:19]
	v_add_f64 v[20:21], v[22:23], v[20:21]
	s_delay_alu instid0(VALU_DEP_2) | instskip(SKIP_1) | instid1(VALU_DEP_1)
	v_add_f64 v[16:17], v[16:17], -v[24:25]
	v_add_f64 v[24:25], v[22:23], -v[24:25]
	;; [unrolled: 1-line block ×3, first 2 shown]
	s_delay_alu instid0(VALU_DEP_1) | instskip(SKIP_1) | instid1(VALU_DEP_1)
	v_add_f64 v[16:17], v[16:17], v[18:19]
	v_add_f64 v[18:19], v[26:27], v[20:21]
	v_add_f64 v[22:23], v[18:19], -v[26:27]
	s_delay_alu instid0(VALU_DEP_1) | instskip(NEXT) | instid1(VALU_DEP_1)
	v_add_f64 v[20:21], v[20:21], -v[22:23]
	v_add_f64 v[16:17], v[16:17], v[20:21]
	v_fma_f64 v[20:21], |v[6:7]|, s[92:93], s[90:91]
	s_delay_alu instid0(VALU_DEP_2) | instskip(NEXT) | instid1(VALU_DEP_2)
	v_add_f64 v[16:17], v[18:19], v[16:17]
	v_fma_f64 v[20:21], |v[6:7]|, v[20:21], s[94:95]
	s_delay_alu instid0(VALU_DEP_2) | instskip(NEXT) | instid1(VALU_DEP_2)
	v_dual_cndmask_b32 v14, v16, v6 :: v_dual_and_b32 v11, 0x7fffffff, v7
	v_fma_f64 v[20:21], |v[6:7]|, v[20:21], s[96:97]
	s_delay_alu instid0(VALU_DEP_2) | instskip(NEXT) | instid1(VALU_DEP_3)
	v_cndmask_b32_e64 v11, -v17, -v11, vcc_lo
	v_cndmask_b32_e64 v16, 0, v14, s0
	s_delay_alu instid0(VALU_DEP_2) | instskip(NEXT) | instid1(VALU_DEP_4)
	v_cndmask_b32_e64 v17, 0x7ff00000, v11, s0
	v_fma_f64 v[18:19], |v[6:7]|, v[20:21], s[98:99]
	s_delay_alu instid0(VALU_DEP_1)
	v_fma_f64 v[16:17], |v[6:7]|, v[18:19], v[16:17]
.LBB12_190:                             ;   in Loop: Header=BB12_162 Depth=1
	s_or_b32 exec_lo, exec_lo, s1
	s_delay_alu instid0(SALU_CYCLE_1)
	s_mov_b32 s0, exec_lo
	v_cmpx_le_f64_e32 0, v[6:7]
	s_xor_b32 s1, exec_lo, s0
; %bb.191:                              ;   in Loop: Header=BB12_162 Depth=1
	v_cmp_eq_f64_e32 vcc_lo, 1.0, v[6:7]
	v_cmp_eq_f64_e64 s0, 2.0, v[6:7]
	s_delay_alu instid0(VALU_DEP_1)
	s_or_b32 s0, vcc_lo, s0
	s_delay_alu instid0(VALU_DEP_4) | instid1(SALU_CYCLE_1)
	v_cndmask_b32_e64 v17, v17, 0, s0
	v_cndmask_b32_e64 v16, v16, 0, s0
; %bb.192:                              ;   in Loop: Header=BB12_162 Depth=1
	s_and_not1_saveexec_b32 s1, s1
	s_cbranch_execz .LBB12_196
; %bb.193:                              ;   in Loop: Header=BB12_162 Depth=1
	v_add_nc_u32_e32 v11, 0xc32fffff, v15
	s_mov_b32 s55, exec_lo
	s_delay_alu instid0(VALU_DEP_1)
	v_cmpx_gt_u32_e32 0x65fffff, v11
	s_cbranch_execz .LBB12_195
; %bb.194:                              ;   in Loop: Header=BB12_162 Depth=1
	v_mul_f64 v[18:19], |v[6:7]|, 0.5
	v_cmp_gt_f64_e64 s0, |v[6:7]|, 1.0
	s_mov_b32 s5, s51
	s_delay_alu instid0(VALU_DEP_2) | instskip(SKIP_1) | instid1(VALU_DEP_2)
	v_fract_f64_e32 v[20:21], v[18:19]
	v_cmp_neq_f64_e64 vcc_lo, 0x7ff00000, |v[18:19]|
	v_add_f64 v[18:19], v[20:21], v[20:21]
	s_delay_alu instid0(VALU_DEP_1) | instskip(NEXT) | instid1(VALU_DEP_2)
	v_dual_cndmask_b32 v18, 0, v18 :: v_dual_and_b32 v11, 0x7fffffff, v7
	v_cndmask_b32_e32 v14, 0, v19, vcc_lo
	s_delay_alu instid0(VALU_DEP_2) | instskip(NEXT) | instid1(VALU_DEP_2)
	v_cndmask_b32_e64 v18, v6, v18, s0
	v_cndmask_b32_e64 v19, v11, v14, s0
	s_delay_alu instid0(VALU_DEP_1) | instskip(NEXT) | instid1(VALU_DEP_1)
	v_add_f64 v[20:21], v[18:19], v[18:19]
	v_rndne_f64_e32 v[20:21], v[20:21]
	s_delay_alu instid0(VALU_DEP_1) | instskip(SKIP_1) | instid1(VALU_DEP_2)
	v_fma_f64 v[18:19], v[20:21], -0.5, v[18:19]
	v_cvt_i32_f64_e32 v11, v[20:21]
	v_mul_f64 v[22:23], v[18:19], v[18:19]
	s_delay_alu instid0(VALU_DEP_2) | instskip(SKIP_1) | instid1(VALU_DEP_2)
	v_and_b32_e32 v14, 1, v11
	v_lshlrev_b32_e32 v11, 30, v11
	v_cmp_eq_u32_e32 vcc_lo, 0, v14
	s_delay_alu instid0(VALU_DEP_2) | instskip(SKIP_2) | instid1(VALU_DEP_2)
	v_xor_b32_e32 v11, v11, v7
	v_fma_f64 v[24:25], v[22:23], s[102:103], s[100:101]
	v_mul_f64 v[26:27], v[18:19], v[22:23]
	v_fma_f64 v[24:25], v[22:23], v[24:25], s[24:25]
	s_delay_alu instid0(VALU_DEP_1) | instskip(NEXT) | instid1(VALU_DEP_1)
	v_fma_f64 v[24:25], v[22:23], v[24:25], s[26:27]
	v_fma_f64 v[24:25], v[22:23], v[24:25], s[28:29]
	s_delay_alu instid0(VALU_DEP_1) | instskip(NEXT) | instid1(VALU_DEP_1)
	v_fma_f64 v[24:25], v[22:23], v[24:25], s[30:31]
	v_mul_f64 v[24:25], v[26:27], v[24:25]
	s_delay_alu instid0(VALU_DEP_1) | instskip(SKIP_1) | instid1(VALU_DEP_1)
	v_fma_f64 v[18:19], v[18:19], s[34:35], v[24:25]
	v_fma_f64 v[24:25], v[22:23], s[38:39], s[36:37]
	;; [unrolled: 1-line block ×3, first 2 shown]
	s_delay_alu instid0(VALU_DEP_1) | instskip(NEXT) | instid1(VALU_DEP_1)
	v_fma_f64 v[24:25], v[22:23], v[24:25], s[42:43]
	v_fma_f64 v[24:25], v[22:23], v[24:25], s[44:45]
	s_delay_alu instid0(VALU_DEP_1) | instskip(NEXT) | instid1(VALU_DEP_1)
	v_fma_f64 v[24:25], v[22:23], v[24:25], s[46:47]
	v_fma_f64 v[24:25], v[22:23], v[24:25], s[48:49]
	s_delay_alu instid0(VALU_DEP_1) | instskip(NEXT) | instid1(VALU_DEP_1)
	v_fma_f64 v[22:23], v[22:23], v[24:25], 1.0
	v_cndmask_b32_e32 v14, v22, v18, vcc_lo
	s_delay_alu instid0(VALU_DEP_2) | instskip(SKIP_2) | instid1(VALU_DEP_1)
	v_cndmask_b32_e32 v18, v23, v19, vcc_lo
	v_cmp_class_f64_e64 vcc_lo, v[6:7], 0x1f8
	v_and_b32_e32 v11, 0x80000000, v11
	v_xor_b32_e32 v11, v18, v11
	v_cndmask_b32_e32 v18, 0, v14, vcc_lo
	s_delay_alu instid0(VALU_DEP_2) | instskip(NEXT) | instid1(VALU_DEP_1)
	v_cndmask_b32_e32 v19, 0x7ff80000, v11, vcc_lo
	v_mul_f64 v[18:19], v[6:7], v[18:19]
	s_delay_alu instid0(VALU_DEP_1) | instskip(NEXT) | instid1(VALU_DEP_1)
	v_dual_mov_b32 v20, v18 :: v_dual_and_b32 v21, 0x7fffffff, v19
	v_div_scale_f64 v[22:23], null, v[20:21], v[20:21], s[34:35]
	v_div_scale_f64 v[20:21], vcc_lo, s[34:35], v[20:21], s[34:35]
	s_delay_alu instid0(VALU_DEP_2) | instskip(SKIP_2) | instid1(VALU_DEP_1)
	v_rcp_f64_e32 v[24:25], v[22:23]
	s_waitcnt_depctr 0xfff
	v_fma_f64 v[26:27], -v[22:23], v[24:25], 1.0
	v_fma_f64 v[24:25], v[24:25], v[26:27], v[24:25]
	s_delay_alu instid0(VALU_DEP_1) | instskip(NEXT) | instid1(VALU_DEP_1)
	v_fma_f64 v[26:27], -v[22:23], v[24:25], 1.0
	v_fma_f64 v[24:25], v[24:25], v[26:27], v[24:25]
	s_delay_alu instid0(VALU_DEP_1) | instskip(NEXT) | instid1(VALU_DEP_1)
	v_mul_f64 v[26:27], v[20:21], v[24:25]
	v_fma_f64 v[20:21], -v[22:23], v[26:27], v[20:21]
	s_delay_alu instid0(VALU_DEP_1) | instskip(NEXT) | instid1(VALU_DEP_1)
	v_div_fmas_f64 v[20:21], v[20:21], v[24:25], v[26:27]
	v_div_fixup_f64 v[18:19], v[20:21], |v[18:19]|, s[34:35]
	s_delay_alu instid0(VALU_DEP_1) | instskip(SKIP_1) | instid1(VALU_DEP_2)
	v_frexp_mant_f64_e32 v[20:21], v[18:19]
	v_cmp_neq_f64_e64 s0, 0, v[18:19]
	v_cmp_gt_f64_e32 vcc_lo, s[50:51], v[20:21]
	v_cndmask_b32_e64 v11, 0x3ff00000, 2.0, vcc_lo
	s_delay_alu instid0(VALU_DEP_1) | instskip(SKIP_1) | instid1(VALU_DEP_2)
	v_mul_f64 v[20:21], v[20:21], v[10:11]
	v_frexp_exp_i32_f64_e32 v11, v[18:19]
	v_add_f64 v[22:23], v[20:21], 1.0
	s_delay_alu instid0(VALU_DEP_2) | instskip(SKIP_1) | instid1(VALU_DEP_3)
	v_subrev_co_ci_u32_e32 v11, vcc_lo, 0, v11, vcc_lo
	v_cmp_class_f64_e64 vcc_lo, v[18:19], 0x204
	v_rcp_f64_e32 v[24:25], v[22:23]
	s_waitcnt_depctr 0xfff
	v_fma_f64 v[26:27], -v[22:23], v[24:25], 1.0
	s_delay_alu instid0(VALU_DEP_1) | instskip(NEXT) | instid1(VALU_DEP_1)
	v_fma_f64 v[24:25], v[26:27], v[24:25], v[24:25]
	v_fma_f64 v[26:27], -v[22:23], v[24:25], 1.0
	s_delay_alu instid0(VALU_DEP_1) | instskip(SKIP_1) | instid1(VALU_DEP_1)
	v_fma_f64 v[24:25], v[26:27], v[24:25], v[24:25]
	v_add_f64 v[26:27], v[22:23], -1.0
	v_add_f64 v[26:27], v[20:21], -v[26:27]
	v_add_f64 v[20:21], v[20:21], -1.0
	s_delay_alu instid0(VALU_DEP_1) | instskip(NEXT) | instid1(VALU_DEP_1)
	v_mul_f64 v[28:29], v[20:21], v[24:25]
	v_mul_f64 v[30:31], v[22:23], v[28:29]
	s_delay_alu instid0(VALU_DEP_1) | instskip(NEXT) | instid1(VALU_DEP_1)
	v_fma_f64 v[22:23], v[28:29], v[22:23], -v[30:31]
	v_fma_f64 v[22:23], v[28:29], v[26:27], v[22:23]
	s_delay_alu instid0(VALU_DEP_1) | instskip(NEXT) | instid1(VALU_DEP_1)
	v_add_f64 v[26:27], v[30:31], v[22:23]
	v_add_f64 v[30:31], v[26:27], -v[30:31]
	s_delay_alu instid0(VALU_DEP_1) | instskip(SKIP_1) | instid1(VALU_DEP_1)
	v_add_f64 v[22:23], v[30:31], -v[22:23]
	v_add_f64 v[30:31], v[20:21], -v[26:27]
	v_add_f64 v[20:21], v[20:21], -v[30:31]
	s_delay_alu instid0(VALU_DEP_1) | instskip(NEXT) | instid1(VALU_DEP_1)
	v_add_f64 v[20:21], v[20:21], -v[26:27]
	v_add_f64 v[20:21], v[22:23], v[20:21]
	v_cvt_f64_i32_e32 v[22:23], v11
	s_delay_alu instid0(VALU_DEP_2) | instskip(NEXT) | instid1(VALU_DEP_1)
	v_add_f64 v[20:21], v[30:31], v[20:21]
	v_mul_f64 v[20:21], v[24:25], v[20:21]
	s_delay_alu instid0(VALU_DEP_3) | instskip(NEXT) | instid1(VALU_DEP_1)
	v_mul_f64 v[24:25], v[22:23], s[20:21]
	v_fma_f64 v[26:27], v[22:23], s[20:21], -v[24:25]
	s_delay_alu instid0(VALU_DEP_1) | instskip(NEXT) | instid1(VALU_DEP_4)
	v_fma_f64 v[22:23], v[22:23], s[22:23], v[26:27]
	v_add_f64 v[26:27], v[28:29], v[20:21]
	s_delay_alu instid0(VALU_DEP_1) | instskip(NEXT) | instid1(VALU_DEP_1)
	v_add_f64 v[28:29], v[26:27], -v[28:29]
	v_add_f64 v[20:21], v[20:21], -v[28:29]
	v_mul_f64 v[28:29], v[26:27], v[26:27]
	s_delay_alu instid0(VALU_DEP_2) | instskip(NEXT) | instid1(VALU_DEP_2)
	v_ldexp_f64 v[20:21], v[20:21], 1
	v_fma_f64 v[30:31], v[28:29], s[8:9], s[6:7]
	s_delay_alu instid0(VALU_DEP_1) | instskip(NEXT) | instid1(VALU_DEP_1)
	v_fma_f64 v[30:31], v[28:29], v[30:31], s[12:13]
	v_fma_f64 v[30:31], v[28:29], v[30:31], s[14:15]
	s_delay_alu instid0(VALU_DEP_1) | instskip(NEXT) | instid1(VALU_DEP_1)
	v_fma_f64 v[30:31], v[28:29], v[30:31], s[16:17]
	v_fma_f64 v[30:31], v[28:29], v[30:31], s[18:19]
	s_delay_alu instid0(VALU_DEP_1) | instskip(SKIP_2) | instid1(VALU_DEP_2)
	v_fma_f64 v[30:31], v[28:29], v[30:31], s[4:5]
	v_mul_f64 v[28:29], v[26:27], v[28:29]
	v_ldexp_f64 v[26:27], v[26:27], 1
	v_mul_f64 v[28:29], v[28:29], v[30:31]
	s_delay_alu instid0(VALU_DEP_1) | instskip(NEXT) | instid1(VALU_DEP_1)
	v_add_f64 v[30:31], v[26:27], v[28:29]
	v_add_f64 v[26:27], v[30:31], -v[26:27]
	s_delay_alu instid0(VALU_DEP_1) | instskip(NEXT) | instid1(VALU_DEP_1)
	v_add_f64 v[26:27], v[28:29], -v[26:27]
	v_add_f64 v[20:21], v[20:21], v[26:27]
	v_add_f64 v[26:27], v[24:25], v[22:23]
	s_delay_alu instid0(VALU_DEP_1) | instskip(NEXT) | instid1(VALU_DEP_1)
	v_add_f64 v[24:25], v[26:27], -v[24:25]
	v_add_f64 v[22:23], v[22:23], -v[24:25]
	s_delay_alu instid0(VALU_DEP_4) | instskip(NEXT) | instid1(VALU_DEP_1)
	v_add_f64 v[24:25], v[30:31], v[20:21]
	v_add_f64 v[28:29], v[24:25], -v[30:31]
	v_add_f64 v[30:31], v[26:27], v[24:25]
	s_delay_alu instid0(VALU_DEP_2) | instskip(NEXT) | instid1(VALU_DEP_2)
	v_add_f64 v[20:21], v[20:21], -v[28:29]
	v_add_f64 v[32:33], v[30:31], -v[26:27]
	s_delay_alu instid0(VALU_DEP_1) | instskip(SKIP_1) | instid1(VALU_DEP_1)
	v_add_f64 v[24:25], v[24:25], -v[32:33]
	v_add_f64 v[32:33], v[30:31], -v[32:33]
	;; [unrolled: 1-line block ×3, first 2 shown]
	s_delay_alu instid0(VALU_DEP_1) | instskip(SKIP_1) | instid1(VALU_DEP_1)
	v_add_f64 v[24:25], v[24:25], v[26:27]
	v_add_f64 v[26:27], v[22:23], v[20:21]
	v_add_f64 v[28:29], v[26:27], -v[22:23]
	s_delay_alu instid0(VALU_DEP_3) | instskip(NEXT) | instid1(VALU_DEP_2)
	v_add_f64 v[24:25], v[26:27], v[24:25]
	v_add_f64 v[20:21], v[20:21], -v[28:29]
	v_add_f64 v[28:29], v[26:27], -v[28:29]
	s_delay_alu instid0(VALU_DEP_1) | instskip(NEXT) | instid1(VALU_DEP_1)
	v_add_f64 v[22:23], v[22:23], -v[28:29]
	v_add_f64 v[20:21], v[20:21], v[22:23]
	v_add_f64 v[22:23], v[30:31], v[24:25]
	s_delay_alu instid0(VALU_DEP_1) | instskip(NEXT) | instid1(VALU_DEP_1)
	v_add_f64 v[26:27], v[22:23], -v[30:31]
	v_add_f64 v[24:25], v[24:25], -v[26:27]
	s_delay_alu instid0(VALU_DEP_1) | instskip(NEXT) | instid1(VALU_DEP_1)
	v_add_f64 v[20:21], v[20:21], v[24:25]
	v_add_f64 v[20:21], v[22:23], v[20:21]
	s_delay_alu instid0(VALU_DEP_1) | instskip(SKIP_1) | instid1(VALU_DEP_2)
	v_dual_cndmask_b32 v11, v20, v18 :: v_dual_cndmask_b32 v14, v21, v19
	v_fract_f64_e32 v[18:19], v[6:7]
	v_cndmask_b32_e64 v20, 0, v11, s0
	s_delay_alu instid0(VALU_DEP_3) | instskip(SKIP_1) | instid1(VALU_DEP_2)
	v_cndmask_b32_e64 v21, 0xfff00000, v14, s0
	v_cmp_class_f64_e64 s0, v[6:7], 0x204
	v_add_f64 v[16:17], v[20:21], -v[16:17]
	v_cmp_eq_f64_e32 vcc_lo, 0, v[18:19]
	s_delay_alu instid0(VALU_DEP_3)
	s_or_b32 s0, s0, vcc_lo
	s_delay_alu instid0(VALU_DEP_2) | instid1(SALU_CYCLE_1)
	v_cndmask_b32_e64 v17, v17, 0x7ff00000, s0
	s_delay_alu instid0(VALU_DEP_3)
	v_cndmask_b32_e64 v16, v16, 0, s0
.LBB12_195:                             ;   in Loop: Header=BB12_162 Depth=1
	s_or_b32 exec_lo, exec_lo, s55
.LBB12_196:                             ;   in Loop: Header=BB12_162 Depth=1
	s_delay_alu instid0(SALU_CYCLE_1) | instskip(SKIP_2) | instid1(VALU_DEP_1)
	s_or_b32 exec_lo, exec_lo, s1
	v_dual_mov_b32 v18, v8 :: v_dual_and_b32 v19, 0x7fffffff, v9
                                        ; implicit-def: $vgpr20_vgpr21
	s_mov_b32 s0, exec_lo
	v_cmpx_lt_u32_e32 0x3f6fffff, v19
	s_xor_b32 s55, exec_lo, s0
	s_cbranch_execz .LBB12_222
; %bb.197:                              ;   in Loop: Header=BB12_162 Depth=1
                                        ; implicit-def: $vgpr20_vgpr21
	s_mov_b32 s0, exec_lo
	v_cmpx_lt_u32_e32 0x3fffffff, v19
	s_xor_b32 s56, exec_lo, s0
	s_cbranch_execz .LBB12_207
; %bb.198:                              ;   in Loop: Header=BB12_162 Depth=1
	;; [unrolled: 6-line block ×4, first 2 shown]
	v_frexp_mant_f64_e64 v[20:21], |v[8:9]|
	s_mov_b32 s5, s51
	v_cmp_neq_f64_e64 s0, 0, v[8:9]
	s_delay_alu instid0(VALU_DEP_2) | instskip(SKIP_1) | instid1(VALU_DEP_1)
	v_cmp_gt_f64_e32 vcc_lo, s[50:51], v[20:21]
	v_cndmask_b32_e64 v11, 0x3ff00000, 2.0, vcc_lo
	v_mul_f64 v[20:21], v[20:21], v[10:11]
	v_frexp_exp_i32_f64_e32 v11, v[8:9]
	s_delay_alu instid0(VALU_DEP_2) | instskip(NEXT) | instid1(VALU_DEP_2)
	v_add_f64 v[22:23], v[20:21], 1.0
	v_subrev_co_ci_u32_e32 v11, vcc_lo, 0, v11, vcc_lo
	v_cmp_class_f64_e64 vcc_lo, v[8:9], 0x204
	s_delay_alu instid0(VALU_DEP_3) | instskip(SKIP_2) | instid1(VALU_DEP_1)
	v_rcp_f64_e32 v[24:25], v[22:23]
	s_waitcnt_depctr 0xfff
	v_fma_f64 v[26:27], -v[22:23], v[24:25], 1.0
	v_fma_f64 v[24:25], v[26:27], v[24:25], v[24:25]
	s_delay_alu instid0(VALU_DEP_1) | instskip(NEXT) | instid1(VALU_DEP_1)
	v_fma_f64 v[26:27], -v[22:23], v[24:25], 1.0
	v_fma_f64 v[24:25], v[26:27], v[24:25], v[24:25]
	v_add_f64 v[26:27], v[22:23], -1.0
	s_delay_alu instid0(VALU_DEP_1) | instskip(SKIP_1) | instid1(VALU_DEP_1)
	v_add_f64 v[26:27], v[20:21], -v[26:27]
	v_add_f64 v[20:21], v[20:21], -1.0
	v_mul_f64 v[28:29], v[20:21], v[24:25]
	s_delay_alu instid0(VALU_DEP_1) | instskip(NEXT) | instid1(VALU_DEP_1)
	v_mul_f64 v[30:31], v[22:23], v[28:29]
	v_fma_f64 v[22:23], v[28:29], v[22:23], -v[30:31]
	s_delay_alu instid0(VALU_DEP_1) | instskip(NEXT) | instid1(VALU_DEP_1)
	v_fma_f64 v[22:23], v[28:29], v[26:27], v[22:23]
	v_add_f64 v[26:27], v[30:31], v[22:23]
	s_delay_alu instid0(VALU_DEP_1) | instskip(NEXT) | instid1(VALU_DEP_1)
	v_add_f64 v[30:31], v[26:27], -v[30:31]
	v_add_f64 v[22:23], v[30:31], -v[22:23]
	;; [unrolled: 1-line block ×3, first 2 shown]
	s_delay_alu instid0(VALU_DEP_1) | instskip(NEXT) | instid1(VALU_DEP_1)
	v_add_f64 v[20:21], v[20:21], -v[30:31]
	v_add_f64 v[20:21], v[20:21], -v[26:27]
	s_delay_alu instid0(VALU_DEP_1) | instskip(SKIP_1) | instid1(VALU_DEP_2)
	v_add_f64 v[20:21], v[22:23], v[20:21]
	v_cvt_f64_i32_e32 v[22:23], v11
	v_add_f64 v[20:21], v[30:31], v[20:21]
	s_delay_alu instid0(VALU_DEP_1) | instskip(NEXT) | instid1(VALU_DEP_3)
	v_mul_f64 v[20:21], v[24:25], v[20:21]
	v_mul_f64 v[24:25], v[22:23], s[20:21]
	s_delay_alu instid0(VALU_DEP_1) | instskip(NEXT) | instid1(VALU_DEP_1)
	v_fma_f64 v[26:27], v[22:23], s[20:21], -v[24:25]
	v_fma_f64 v[22:23], v[22:23], s[22:23], v[26:27]
	s_delay_alu instid0(VALU_DEP_4) | instskip(NEXT) | instid1(VALU_DEP_1)
	v_add_f64 v[26:27], v[28:29], v[20:21]
	v_add_f64 v[28:29], v[26:27], -v[28:29]
	s_delay_alu instid0(VALU_DEP_1) | instskip(SKIP_1) | instid1(VALU_DEP_2)
	v_add_f64 v[20:21], v[20:21], -v[28:29]
	v_mul_f64 v[28:29], v[26:27], v[26:27]
	v_ldexp_f64 v[20:21], v[20:21], 1
	s_delay_alu instid0(VALU_DEP_2) | instskip(NEXT) | instid1(VALU_DEP_1)
	v_fma_f64 v[30:31], v[28:29], s[8:9], s[6:7]
	v_fma_f64 v[30:31], v[28:29], v[30:31], s[12:13]
	s_delay_alu instid0(VALU_DEP_1) | instskip(NEXT) | instid1(VALU_DEP_1)
	v_fma_f64 v[30:31], v[28:29], v[30:31], s[14:15]
	v_fma_f64 v[30:31], v[28:29], v[30:31], s[16:17]
	s_delay_alu instid0(VALU_DEP_1) | instskip(NEXT) | instid1(VALU_DEP_1)
	v_fma_f64 v[30:31], v[28:29], v[30:31], s[18:19]
	v_fma_f64 v[30:31], v[28:29], v[30:31], s[4:5]
	v_mul_f64 v[28:29], v[26:27], v[28:29]
	v_ldexp_f64 v[26:27], v[26:27], 1
	s_delay_alu instid0(VALU_DEP_2) | instskip(NEXT) | instid1(VALU_DEP_1)
	v_mul_f64 v[28:29], v[28:29], v[30:31]
	v_add_f64 v[30:31], v[26:27], v[28:29]
	s_delay_alu instid0(VALU_DEP_1) | instskip(NEXT) | instid1(VALU_DEP_1)
	v_add_f64 v[26:27], v[30:31], -v[26:27]
	v_add_f64 v[26:27], v[28:29], -v[26:27]
	s_delay_alu instid0(VALU_DEP_1) | instskip(SKIP_1) | instid1(VALU_DEP_1)
	v_add_f64 v[20:21], v[20:21], v[26:27]
	v_add_f64 v[26:27], v[24:25], v[22:23]
	v_add_f64 v[24:25], v[26:27], -v[24:25]
	s_delay_alu instid0(VALU_DEP_1) | instskip(NEXT) | instid1(VALU_DEP_4)
	v_add_f64 v[22:23], v[22:23], -v[24:25]
	v_add_f64 v[24:25], v[30:31], v[20:21]
	s_delay_alu instid0(VALU_DEP_1) | instskip(SKIP_1) | instid1(VALU_DEP_2)
	v_add_f64 v[28:29], v[24:25], -v[30:31]
	v_add_f64 v[30:31], v[26:27], v[24:25]
	v_add_f64 v[20:21], v[20:21], -v[28:29]
	s_delay_alu instid0(VALU_DEP_2) | instskip(NEXT) | instid1(VALU_DEP_1)
	v_add_f64 v[32:33], v[30:31], -v[26:27]
	v_add_f64 v[24:25], v[24:25], -v[32:33]
	;; [unrolled: 1-line block ×3, first 2 shown]
	s_delay_alu instid0(VALU_DEP_1) | instskip(NEXT) | instid1(VALU_DEP_1)
	v_add_f64 v[26:27], v[26:27], -v[32:33]
	v_add_f64 v[24:25], v[24:25], v[26:27]
	v_add_f64 v[26:27], v[22:23], v[20:21]
	s_delay_alu instid0(VALU_DEP_1) | instskip(NEXT) | instid1(VALU_DEP_3)
	v_add_f64 v[28:29], v[26:27], -v[22:23]
	v_add_f64 v[24:25], v[26:27], v[24:25]
	s_delay_alu instid0(VALU_DEP_2) | instskip(SKIP_1) | instid1(VALU_DEP_1)
	v_add_f64 v[20:21], v[20:21], -v[28:29]
	v_add_f64 v[28:29], v[26:27], -v[28:29]
	;; [unrolled: 1-line block ×3, first 2 shown]
	s_delay_alu instid0(VALU_DEP_1) | instskip(SKIP_1) | instid1(VALU_DEP_1)
	v_add_f64 v[20:21], v[20:21], v[22:23]
	v_add_f64 v[22:23], v[30:31], v[24:25]
	v_add_f64 v[26:27], v[22:23], -v[30:31]
	s_delay_alu instid0(VALU_DEP_1) | instskip(NEXT) | instid1(VALU_DEP_1)
	v_add_f64 v[24:25], v[24:25], -v[26:27]
	v_add_f64 v[20:21], v[20:21], v[24:25]
	s_delay_alu instid0(VALU_DEP_1) | instskip(NEXT) | instid1(VALU_DEP_1)
	v_add_f64 v[20:21], v[22:23], v[20:21]
	v_dual_cndmask_b32 v14, v20, v8 :: v_dual_and_b32 v11, 0x7fffffff, v9
	s_delay_alu instid0(VALU_DEP_1) | instskip(NEXT) | instid1(VALU_DEP_2)
	v_cndmask_b32_e32 v11, v21, v11, vcc_lo
	v_cndmask_b32_e64 v20, 0, v14, s0
	s_delay_alu instid0(VALU_DEP_2) | instskip(NEXT) | instid1(VALU_DEP_1)
	v_cndmask_b32_e64 v21, 0xfff00000, v11, s0
	v_fma_f64 v[20:21], |v[8:9]|, v[20:21], -|v[8:9]|
.LBB12_201:                             ;   in Loop: Header=BB12_162 Depth=1
	s_and_not1_saveexec_b32 s0, s57
	s_cbranch_execz .LBB12_203
; %bb.202:                              ;   in Loop: Header=BB12_162 Depth=1
	v_dual_mov_b32 v20, v8 :: v_dual_and_b32 v21, 0x7fffffff, v9
	s_mov_b32 s5, s51
	s_mov_b32 s58, 0x4cdad5d1
	;; [unrolled: 1-line block ×4, first 2 shown]
	v_div_scale_f64 v[22:23], null, v[20:21], v[20:21], 1.0
	s_mov_b32 s61, 0xbf5ab89d
	s_delay_alu instid0(VALU_DEP_1) | instskip(SKIP_2) | instid1(VALU_DEP_1)
	v_rcp_f64_e32 v[24:25], v[22:23]
	s_waitcnt_depctr 0xfff
	v_fma_f64 v[26:27], -v[22:23], v[24:25], 1.0
	v_fma_f64 v[24:25], v[24:25], v[26:27], v[24:25]
	s_delay_alu instid0(VALU_DEP_1) | instskip(NEXT) | instid1(VALU_DEP_1)
	v_fma_f64 v[26:27], -v[22:23], v[24:25], 1.0
	v_fma_f64 v[24:25], v[24:25], v[26:27], v[24:25]
	v_div_scale_f64 v[26:27], vcc_lo, 1.0, v[20:21], 1.0
	s_delay_alu instid0(VALU_DEP_1) | instskip(NEXT) | instid1(VALU_DEP_1)
	v_mul_f64 v[28:29], v[26:27], v[24:25]
	v_fma_f64 v[22:23], -v[22:23], v[28:29], v[26:27]
	s_delay_alu instid0(VALU_DEP_1) | instskip(SKIP_1) | instid1(VALU_DEP_2)
	v_div_fmas_f64 v[22:23], v[22:23], v[24:25], v[28:29]
	v_frexp_mant_f64_e64 v[24:25], |v[8:9]|
	v_div_fixup_f64 v[22:23], v[22:23], |v[8:9]|, 1.0
	s_delay_alu instid0(VALU_DEP_2) | instskip(SKIP_1) | instid1(VALU_DEP_1)
	v_cmp_gt_f64_e32 vcc_lo, s[50:51], v[24:25]
	v_cndmask_b32_e64 v11, 0x3ff00000, 2.0, vcc_lo
	v_mul_f64 v[24:25], v[24:25], v[10:11]
	v_frexp_exp_i32_f64_e32 v11, v[8:9]
	s_delay_alu instid0(VALU_DEP_2) | instskip(NEXT) | instid1(VALU_DEP_2)
	v_add_f64 v[26:27], v[24:25], 1.0
	v_subrev_co_ci_u32_e32 v11, vcc_lo, 0, v11, vcc_lo
	v_cmp_class_f64_e64 vcc_lo, v[8:9], 0x204
	s_delay_alu instid0(VALU_DEP_3) | instskip(SKIP_2) | instid1(VALU_DEP_1)
	v_rcp_f64_e32 v[28:29], v[26:27]
	s_waitcnt_depctr 0xfff
	v_fma_f64 v[30:31], -v[26:27], v[28:29], 1.0
	v_fma_f64 v[28:29], v[30:31], v[28:29], v[28:29]
	s_delay_alu instid0(VALU_DEP_1) | instskip(NEXT) | instid1(VALU_DEP_1)
	v_fma_f64 v[30:31], -v[26:27], v[28:29], 1.0
	v_fma_f64 v[28:29], v[30:31], v[28:29], v[28:29]
	v_add_f64 v[30:31], v[26:27], -1.0
	s_delay_alu instid0(VALU_DEP_1) | instskip(SKIP_1) | instid1(VALU_DEP_1)
	v_add_f64 v[30:31], v[24:25], -v[30:31]
	v_add_f64 v[24:25], v[24:25], -1.0
	v_mul_f64 v[32:33], v[24:25], v[28:29]
	s_delay_alu instid0(VALU_DEP_1) | instskip(NEXT) | instid1(VALU_DEP_1)
	v_mul_f64 v[34:35], v[26:27], v[32:33]
	v_fma_f64 v[26:27], v[32:33], v[26:27], -v[34:35]
	s_delay_alu instid0(VALU_DEP_1) | instskip(NEXT) | instid1(VALU_DEP_1)
	v_fma_f64 v[26:27], v[32:33], v[30:31], v[26:27]
	v_add_f64 v[30:31], v[34:35], v[26:27]
	s_delay_alu instid0(VALU_DEP_1) | instskip(NEXT) | instid1(VALU_DEP_1)
	v_add_f64 v[34:35], v[30:31], -v[34:35]
	v_add_f64 v[26:27], v[34:35], -v[26:27]
	;; [unrolled: 1-line block ×3, first 2 shown]
	s_delay_alu instid0(VALU_DEP_1) | instskip(NEXT) | instid1(VALU_DEP_1)
	v_add_f64 v[24:25], v[24:25], -v[34:35]
	v_add_f64 v[24:25], v[24:25], -v[30:31]
	s_delay_alu instid0(VALU_DEP_1) | instskip(SKIP_1) | instid1(VALU_DEP_2)
	v_add_f64 v[24:25], v[26:27], v[24:25]
	v_cvt_f64_i32_e32 v[26:27], v11
	v_add_f64 v[24:25], v[34:35], v[24:25]
	s_delay_alu instid0(VALU_DEP_1) | instskip(NEXT) | instid1(VALU_DEP_3)
	v_mul_f64 v[24:25], v[28:29], v[24:25]
	v_mul_f64 v[28:29], v[26:27], s[20:21]
	s_delay_alu instid0(VALU_DEP_1) | instskip(NEXT) | instid1(VALU_DEP_1)
	v_fma_f64 v[30:31], v[26:27], s[20:21], -v[28:29]
	v_fma_f64 v[26:27], v[26:27], s[22:23], v[30:31]
	s_delay_alu instid0(VALU_DEP_4) | instskip(NEXT) | instid1(VALU_DEP_1)
	v_add_f64 v[30:31], v[32:33], v[24:25]
	v_add_f64 v[32:33], v[30:31], -v[32:33]
	s_delay_alu instid0(VALU_DEP_1) | instskip(SKIP_1) | instid1(VALU_DEP_2)
	v_add_f64 v[24:25], v[24:25], -v[32:33]
	v_mul_f64 v[32:33], v[30:31], v[30:31]
	v_ldexp_f64 v[24:25], v[24:25], 1
	s_delay_alu instid0(VALU_DEP_2) | instskip(NEXT) | instid1(VALU_DEP_1)
	v_fma_f64 v[34:35], v[32:33], s[8:9], s[6:7]
	v_fma_f64 v[34:35], v[32:33], v[34:35], s[12:13]
	s_delay_alu instid0(VALU_DEP_1) | instskip(NEXT) | instid1(VALU_DEP_1)
	v_fma_f64 v[34:35], v[32:33], v[34:35], s[14:15]
	v_fma_f64 v[34:35], v[32:33], v[34:35], s[16:17]
	s_delay_alu instid0(VALU_DEP_1) | instskip(NEXT) | instid1(VALU_DEP_1)
	v_fma_f64 v[34:35], v[32:33], v[34:35], s[18:19]
	v_fma_f64 v[34:35], v[32:33], v[34:35], s[4:5]
	v_mul_f64 v[32:33], v[30:31], v[32:33]
	v_ldexp_f64 v[30:31], v[30:31], 1
	s_delay_alu instid0(VALU_DEP_2) | instskip(NEXT) | instid1(VALU_DEP_1)
	v_mul_f64 v[32:33], v[32:33], v[34:35]
	v_add_f64 v[34:35], v[30:31], v[32:33]
	s_delay_alu instid0(VALU_DEP_1) | instskip(NEXT) | instid1(VALU_DEP_1)
	v_add_f64 v[30:31], v[34:35], -v[30:31]
	v_add_f64 v[30:31], v[32:33], -v[30:31]
	s_delay_alu instid0(VALU_DEP_1) | instskip(SKIP_1) | instid1(VALU_DEP_1)
	v_add_f64 v[24:25], v[24:25], v[30:31]
	v_add_f64 v[30:31], v[28:29], v[26:27]
	v_add_f64 v[28:29], v[30:31], -v[28:29]
	s_delay_alu instid0(VALU_DEP_1) | instskip(NEXT) | instid1(VALU_DEP_4)
	v_add_f64 v[26:27], v[26:27], -v[28:29]
	v_add_f64 v[28:29], v[34:35], v[24:25]
	s_delay_alu instid0(VALU_DEP_1) | instskip(SKIP_1) | instid1(VALU_DEP_2)
	v_add_f64 v[32:33], v[28:29], -v[34:35]
	v_add_f64 v[34:35], v[30:31], v[28:29]
	v_add_f64 v[24:25], v[24:25], -v[32:33]
	s_delay_alu instid0(VALU_DEP_2) | instskip(NEXT) | instid1(VALU_DEP_1)
	v_add_f64 v[36:37], v[34:35], -v[30:31]
	v_add_f64 v[28:29], v[28:29], -v[36:37]
	;; [unrolled: 1-line block ×3, first 2 shown]
	s_delay_alu instid0(VALU_DEP_1) | instskip(NEXT) | instid1(VALU_DEP_1)
	v_add_f64 v[30:31], v[30:31], -v[36:37]
	v_add_f64 v[28:29], v[28:29], v[30:31]
	v_add_f64 v[30:31], v[26:27], v[24:25]
	s_delay_alu instid0(VALU_DEP_1) | instskip(NEXT) | instid1(VALU_DEP_3)
	v_add_f64 v[32:33], v[30:31], -v[26:27]
	v_add_f64 v[28:29], v[30:31], v[28:29]
	s_delay_alu instid0(VALU_DEP_2) | instskip(SKIP_1) | instid1(VALU_DEP_1)
	v_add_f64 v[24:25], v[24:25], -v[32:33]
	v_add_f64 v[32:33], v[30:31], -v[32:33]
	;; [unrolled: 1-line block ×3, first 2 shown]
	s_delay_alu instid0(VALU_DEP_1) | instskip(SKIP_1) | instid1(VALU_DEP_1)
	v_add_f64 v[24:25], v[24:25], v[26:27]
	v_add_f64 v[26:27], v[34:35], v[28:29]
	v_add_f64 v[30:31], v[26:27], -v[34:35]
	s_delay_alu instid0(VALU_DEP_1) | instskip(NEXT) | instid1(VALU_DEP_1)
	v_add_f64 v[28:29], v[28:29], -v[30:31]
	v_add_f64 v[24:25], v[24:25], v[28:29]
	s_delay_alu instid0(VALU_DEP_1) | instskip(NEXT) | instid1(VALU_DEP_1)
	v_add_f64 v[24:25], v[26:27], v[24:25]
	v_dual_cndmask_b32 v21, v25, v21 :: v_dual_cndmask_b32 v20, v24, v20
	v_mul_f64 v[24:25], v[22:23], v[22:23]
	v_cmp_neq_f64_e32 vcc_lo, 0, v[8:9]
	s_delay_alu instid0(VALU_DEP_3) | instskip(NEXT) | instid1(VALU_DEP_3)
	v_add_f64 v[20:21], v[20:21], -1.0
	v_fma_f64 v[26:27], v[24:25], s[60:61], s[58:59]
	s_mov_b32 s58, 0x8c0fe741
	s_mov_b32 s59, 0xbf4380cb
	;; [unrolled: 1-line block ×3, first 2 shown]
	s_delay_alu instid0(VALU_DEP_2) | instskip(NEXT) | instid1(VALU_DEP_3)
	v_cndmask_b32_e32 v21, 0xfff00000, v21, vcc_lo
	v_cndmask_b32_e32 v20, 0, v20, vcc_lo
	s_mov_b32 s61, 0x3f00bfec
	s_delay_alu instid0(VALU_DEP_3)
	v_fma_f64 v[26:27], v[24:25], v[26:27], s[58:59]
	s_mov_b32 s58, 0x98cf38b6
	s_mov_b32 s59, 0x3f4a019f
	s_delay_alu instid0(VALU_DEP_1) | instid1(SALU_CYCLE_1)
	v_fma_f64 v[26:27], v[24:25], v[26:27], s[58:59]
	s_mov_b32 s58, 0x16b02e5c
	s_mov_b32 s59, 0xbf66c16c
	s_delay_alu instid0(VALU_DEP_1) | instid1(SALU_CYCLE_1)
	;; [unrolled: 4-line block ×4, first 2 shown]
	v_fma_f64 v[22:23], v[22:23], v[24:25], s[58:59]
	v_add_f64 v[24:25], |v[8:9]|, -0.5
	s_mov_b32 s58, 0x7368f239
	s_mov_b32 s59, 0x3f5e26b6
	s_delay_alu instid0(VALU_DEP_1)
	v_fma_f64 v[20:21], v[24:25], v[20:21], v[22:23]
.LBB12_203:                             ;   in Loop: Header=BB12_162 Depth=1
	s_or_b32 exec_lo, exec_lo, s0
.LBB12_204:                             ;   in Loop: Header=BB12_162 Depth=1
	s_and_not1_saveexec_b32 s57, s1
	s_cbranch_execz .LBB12_206
; %bb.205:                              ;   in Loop: Header=BB12_162 Depth=1
	v_cvt_i32_f64_e32 v11, v[18:19]
	s_mov_b32 s0, 0x7e939961
	s_mov_b32 s1, 0x3f9b481c
	;; [unrolled: 1-line block ×4, first 2 shown]
	s_mov_b32 vcc_lo, s52
	s_mov_b32 s5, s51
	s_delay_alu instid0(VALU_DEP_1) | instskip(NEXT) | instid1(VALU_DEP_1)
	v_cvt_f64_i32_e32 v[20:21], v11
	v_add_f64 v[20:21], |v[8:9]|, -v[20:21]
	s_delay_alu instid0(VALU_DEP_1) | instskip(NEXT) | instid1(VALU_DEP_1)
	v_fma_f64 v[22:23], v[20:21], s[60:61], s[58:59]
	v_fma_f64 v[22:23], v[20:21], v[22:23], s[0:1]
	s_mov_b32 s0, 0xca41a95b
	s_mov_b32 s1, 0x3f497dda
	s_delay_alu instid0(SALU_CYCLE_1)
	v_fma_f64 v[24:25], v[20:21], s[62:63], s[0:1]
	s_mov_b32 s0, 0x742ed475
	s_mov_b32 s1, 0x3f9317ea
	s_delay_alu instid0(VALU_DEP_1) | instid1(SALU_CYCLE_1)
	v_fma_f64 v[24:25], v[20:21], v[24:25], s[0:1]
	s_mov_b32 s0, 0xbee5f2f7
	s_mov_b32 s1, 0x3fc2bb9c
	s_delay_alu instid0(VALU_DEP_3) | instid1(SALU_CYCLE_1)
	v_fma_f64 v[22:23], v[20:21], v[22:23], s[0:1]
	s_mov_b32 s0, 0xccfbdf27
	s_mov_b32 s1, 0x3fc601ed
	s_delay_alu instid0(VALU_DEP_2) | instid1(SALU_CYCLE_1)
	v_fma_f64 v[24:25], v[20:21], v[24:25], s[0:1]
	s_mov_b32 s0, 0x4f139f59
	s_mov_b32 s1, 0x3fd4d98f
	s_delay_alu instid0(VALU_DEP_2) | instid1(SALU_CYCLE_1)
	;; [unrolled: 4-line block ×4, first 2 shown]
	v_fma_f64 v[22:23], v[20:21], v[22:23], s[0:1]
	s_delay_alu instid0(VALU_DEP_2) | instskip(NEXT) | instid1(VALU_DEP_2)
	v_fma_f64 v[24:25], v[20:21], v[24:25], s[64:65]
	v_fma_f64 v[22:23], v[20:21], v[22:23], vcc
	s_delay_alu instid0(VALU_DEP_2) | instskip(NEXT) | instid1(VALU_DEP_2)
	v_fma_f64 v[24:25], v[20:21], v[24:25], 1.0
	v_mul_f64 v[22:23], v[20:21], v[22:23]
	s_delay_alu instid0(VALU_DEP_1) | instskip(NEXT) | instid1(VALU_DEP_1)
	v_div_scale_f64 v[26:27], null, v[24:25], v[24:25], v[22:23]
	v_rcp_f64_e32 v[28:29], v[26:27]
	s_waitcnt_depctr 0xfff
	v_fma_f64 v[30:31], -v[26:27], v[28:29], 1.0
	s_delay_alu instid0(VALU_DEP_1) | instskip(NEXT) | instid1(VALU_DEP_1)
	v_fma_f64 v[28:29], v[28:29], v[30:31], v[28:29]
	v_fma_f64 v[30:31], -v[26:27], v[28:29], 1.0
	s_delay_alu instid0(VALU_DEP_1) | instskip(SKIP_1) | instid1(VALU_DEP_1)
	v_fma_f64 v[28:29], v[28:29], v[30:31], v[28:29]
	v_div_scale_f64 v[30:31], vcc_lo, v[22:23], v[24:25], v[22:23]
	v_mul_f64 v[32:33], v[30:31], v[28:29]
	s_delay_alu instid0(VALU_DEP_1) | instskip(NEXT) | instid1(VALU_DEP_1)
	v_fma_f64 v[26:27], -v[26:27], v[32:33], v[30:31]
	v_div_fmas_f64 v[26:27], v[26:27], v[28:29], v[32:33]
	v_cmp_lt_i32_e32 vcc_lo, 2, v11
	s_delay_alu instid0(VALU_DEP_2) | instskip(SKIP_2) | instid1(VALU_DEP_2)
	v_div_fixup_f64 v[22:23], v[26:27], v[24:25], v[22:23]
	v_add_f64 v[24:25], v[20:21], 2.0
	v_add_f64 v[26:27], 0x40080000, v[20:21]
	v_cndmask_b32_e32 v25, 0x3ff00000, v25, vcc_lo
	s_delay_alu instid0(VALU_DEP_3) | instskip(SKIP_1) | instid1(VALU_DEP_4)
	v_cndmask_b32_e32 v24, 0, v24, vcc_lo
	v_cmp_lt_i32_e32 vcc_lo, 3, v11
	v_cndmask_b32_e32 v27, 0x3ff00000, v27, vcc_lo
	v_cndmask_b32_e32 v26, 0, v26, vcc_lo
	v_cmp_lt_i32_e32 vcc_lo, 4, v11
	s_delay_alu instid0(VALU_DEP_2) | instskip(SKIP_1) | instid1(VALU_DEP_1)
	v_mul_f64 v[24:25], v[24:25], v[26:27]
	v_add_f64 v[26:27], v[20:21], 4.0
	v_cndmask_b32_e32 v27, 0x3ff00000, v27, vcc_lo
	s_delay_alu instid0(VALU_DEP_2) | instskip(SKIP_1) | instid1(VALU_DEP_2)
	v_cndmask_b32_e32 v26, 0, v26, vcc_lo
	v_cmp_lt_i32_e32 vcc_lo, 5, v11
	v_mul_f64 v[24:25], v[26:27], v[24:25]
	v_add_f64 v[26:27], 0x40140000, v[20:21]
	s_delay_alu instid0(VALU_DEP_1) | instskip(NEXT) | instid1(VALU_DEP_2)
	v_cndmask_b32_e32 v27, 0x3ff00000, v27, vcc_lo
	v_cndmask_b32_e32 v26, 0, v26, vcc_lo
	v_cmp_lt_i32_e32 vcc_lo, 6, v11
	s_delay_alu instid0(VALU_DEP_2) | instskip(SKIP_2) | instid1(VALU_DEP_2)
	v_mul_f64 v[24:25], v[26:27], v[24:25]
	v_add_f64 v[26:27], 0x40180000, v[20:21]
	v_fma_f64 v[20:21], v[20:21], 0.5, v[22:23]
	v_cndmask_b32_e32 v27, 0x3ff00000, v27, vcc_lo
	s_delay_alu instid0(VALU_DEP_3) | instskip(NEXT) | instid1(VALU_DEP_1)
	v_cndmask_b32_e32 v26, 0, v26, vcc_lo
	v_mul_f64 v[24:25], v[26:27], v[24:25]
	s_delay_alu instid0(VALU_DEP_1) | instskip(SKIP_2) | instid1(VALU_DEP_3)
	v_frexp_mant_f64_e32 v[26:27], v[24:25]
	v_cmp_nge_f64_e64 s0, 0, v[24:25]
	v_cmp_neq_f64_e64 s1, 0, v[24:25]
	v_cmp_gt_f64_e32 vcc_lo, s[50:51], v[26:27]
	v_cndmask_b32_e64 v11, 0x3ff00000, 2.0, vcc_lo
	s_delay_alu instid0(VALU_DEP_1) | instskip(SKIP_1) | instid1(VALU_DEP_2)
	v_mul_f64 v[26:27], v[26:27], v[10:11]
	v_frexp_exp_i32_f64_e32 v11, v[24:25]
	v_add_f64 v[28:29], v[26:27], 1.0
	s_delay_alu instid0(VALU_DEP_2) | instskip(SKIP_1) | instid1(VALU_DEP_3)
	v_subrev_co_ci_u32_e32 v11, vcc_lo, 0, v11, vcc_lo
	v_cmp_class_f64_e64 vcc_lo, v[24:25], 0x204
	v_rcp_f64_e32 v[30:31], v[28:29]
	s_waitcnt_depctr 0xfff
	v_fma_f64 v[32:33], -v[28:29], v[30:31], 1.0
	s_delay_alu instid0(VALU_DEP_1) | instskip(NEXT) | instid1(VALU_DEP_1)
	v_fma_f64 v[30:31], v[32:33], v[30:31], v[30:31]
	v_fma_f64 v[32:33], -v[28:29], v[30:31], 1.0
	s_delay_alu instid0(VALU_DEP_1) | instskip(SKIP_1) | instid1(VALU_DEP_1)
	v_fma_f64 v[30:31], v[32:33], v[30:31], v[30:31]
	v_add_f64 v[32:33], v[28:29], -1.0
	v_add_f64 v[32:33], v[26:27], -v[32:33]
	v_add_f64 v[26:27], v[26:27], -1.0
	s_delay_alu instid0(VALU_DEP_1) | instskip(NEXT) | instid1(VALU_DEP_1)
	v_mul_f64 v[34:35], v[26:27], v[30:31]
	v_mul_f64 v[36:37], v[28:29], v[34:35]
	s_delay_alu instid0(VALU_DEP_1) | instskip(NEXT) | instid1(VALU_DEP_1)
	v_fma_f64 v[28:29], v[34:35], v[28:29], -v[36:37]
	v_fma_f64 v[28:29], v[34:35], v[32:33], v[28:29]
	s_delay_alu instid0(VALU_DEP_1) | instskip(NEXT) | instid1(VALU_DEP_1)
	v_add_f64 v[32:33], v[36:37], v[28:29]
	v_add_f64 v[36:37], v[32:33], -v[36:37]
	s_delay_alu instid0(VALU_DEP_1) | instskip(SKIP_1) | instid1(VALU_DEP_1)
	v_add_f64 v[28:29], v[36:37], -v[28:29]
	v_add_f64 v[36:37], v[26:27], -v[32:33]
	;; [unrolled: 1-line block ×3, first 2 shown]
	s_delay_alu instid0(VALU_DEP_1) | instskip(NEXT) | instid1(VALU_DEP_1)
	v_add_f64 v[26:27], v[26:27], -v[32:33]
	v_add_f64 v[26:27], v[28:29], v[26:27]
	v_cvt_f64_i32_e32 v[28:29], v11
	s_delay_alu instid0(VALU_DEP_2) | instskip(NEXT) | instid1(VALU_DEP_1)
	v_add_f64 v[26:27], v[36:37], v[26:27]
	v_mul_f64 v[26:27], v[30:31], v[26:27]
	s_delay_alu instid0(VALU_DEP_3) | instskip(NEXT) | instid1(VALU_DEP_1)
	v_mul_f64 v[30:31], v[28:29], s[20:21]
	v_fma_f64 v[32:33], v[28:29], s[20:21], -v[30:31]
	s_delay_alu instid0(VALU_DEP_1) | instskip(NEXT) | instid1(VALU_DEP_4)
	v_fma_f64 v[28:29], v[28:29], s[22:23], v[32:33]
	v_add_f64 v[32:33], v[34:35], v[26:27]
	s_delay_alu instid0(VALU_DEP_1) | instskip(NEXT) | instid1(VALU_DEP_1)
	v_add_f64 v[34:35], v[32:33], -v[34:35]
	v_add_f64 v[26:27], v[26:27], -v[34:35]
	v_mul_f64 v[34:35], v[32:33], v[32:33]
	s_delay_alu instid0(VALU_DEP_2) | instskip(NEXT) | instid1(VALU_DEP_2)
	v_ldexp_f64 v[26:27], v[26:27], 1
	v_fma_f64 v[36:37], v[34:35], s[8:9], s[6:7]
	s_delay_alu instid0(VALU_DEP_1) | instskip(NEXT) | instid1(VALU_DEP_1)
	v_fma_f64 v[36:37], v[34:35], v[36:37], s[12:13]
	v_fma_f64 v[36:37], v[34:35], v[36:37], s[14:15]
	s_delay_alu instid0(VALU_DEP_1) | instskip(NEXT) | instid1(VALU_DEP_1)
	v_fma_f64 v[36:37], v[34:35], v[36:37], s[16:17]
	v_fma_f64 v[36:37], v[34:35], v[36:37], s[18:19]
	s_delay_alu instid0(VALU_DEP_1) | instskip(SKIP_2) | instid1(VALU_DEP_2)
	v_fma_f64 v[36:37], v[34:35], v[36:37], s[4:5]
	v_mul_f64 v[34:35], v[32:33], v[34:35]
	v_ldexp_f64 v[32:33], v[32:33], 1
	v_mul_f64 v[34:35], v[34:35], v[36:37]
	s_delay_alu instid0(VALU_DEP_1) | instskip(NEXT) | instid1(VALU_DEP_1)
	v_add_f64 v[36:37], v[32:33], v[34:35]
	v_add_f64 v[32:33], v[36:37], -v[32:33]
	s_delay_alu instid0(VALU_DEP_1) | instskip(NEXT) | instid1(VALU_DEP_1)
	v_add_f64 v[32:33], v[34:35], -v[32:33]
	v_add_f64 v[26:27], v[26:27], v[32:33]
	v_add_f64 v[32:33], v[30:31], v[28:29]
	s_delay_alu instid0(VALU_DEP_1) | instskip(NEXT) | instid1(VALU_DEP_1)
	v_add_f64 v[30:31], v[32:33], -v[30:31]
	v_add_f64 v[28:29], v[28:29], -v[30:31]
	s_delay_alu instid0(VALU_DEP_4) | instskip(NEXT) | instid1(VALU_DEP_1)
	v_add_f64 v[30:31], v[36:37], v[26:27]
	v_add_f64 v[34:35], v[30:31], -v[36:37]
	v_add_f64 v[36:37], v[32:33], v[30:31]
	s_delay_alu instid0(VALU_DEP_2) | instskip(NEXT) | instid1(VALU_DEP_2)
	v_add_f64 v[26:27], v[26:27], -v[34:35]
	v_add_f64 v[38:39], v[36:37], -v[32:33]
	s_delay_alu instid0(VALU_DEP_1) | instskip(SKIP_1) | instid1(VALU_DEP_1)
	v_add_f64 v[30:31], v[30:31], -v[38:39]
	v_add_f64 v[38:39], v[36:37], -v[38:39]
	;; [unrolled: 1-line block ×3, first 2 shown]
	s_delay_alu instid0(VALU_DEP_1) | instskip(SKIP_1) | instid1(VALU_DEP_1)
	v_add_f64 v[30:31], v[30:31], v[32:33]
	v_add_f64 v[32:33], v[28:29], v[26:27]
	v_add_f64 v[34:35], v[32:33], -v[28:29]
	s_delay_alu instid0(VALU_DEP_3) | instskip(NEXT) | instid1(VALU_DEP_2)
	v_add_f64 v[30:31], v[32:33], v[30:31]
	v_add_f64 v[26:27], v[26:27], -v[34:35]
	v_add_f64 v[34:35], v[32:33], -v[34:35]
	s_delay_alu instid0(VALU_DEP_1) | instskip(NEXT) | instid1(VALU_DEP_1)
	v_add_f64 v[28:29], v[28:29], -v[34:35]
	v_add_f64 v[26:27], v[26:27], v[28:29]
	v_add_f64 v[28:29], v[36:37], v[30:31]
	s_delay_alu instid0(VALU_DEP_1) | instskip(NEXT) | instid1(VALU_DEP_1)
	v_add_f64 v[32:33], v[28:29], -v[36:37]
	v_add_f64 v[30:31], v[30:31], -v[32:33]
	s_delay_alu instid0(VALU_DEP_1) | instskip(NEXT) | instid1(VALU_DEP_1)
	v_add_f64 v[26:27], v[26:27], v[30:31]
	v_add_f64 v[26:27], v[28:29], v[26:27]
	s_delay_alu instid0(VALU_DEP_1) | instskip(SKIP_1) | instid1(VALU_DEP_2)
	v_dual_cndmask_b32 v11, v26, v24 :: v_dual_cndmask_b32 v14, v27, v25
	v_cmp_ngt_f64_e32 vcc_lo, 0, v[24:25]
	v_cndmask_b32_e64 v22, 0, v11, s0
	s_delay_alu instid0(VALU_DEP_3) | instskip(NEXT) | instid1(VALU_DEP_1)
	v_cndmask_b32_e32 v14, 0x7ff80000, v14, vcc_lo
	v_cndmask_b32_e64 v23, 0xfff00000, v14, s1
	s_delay_alu instid0(VALU_DEP_1)
	v_add_f64 v[20:21], v[20:21], v[22:23]
.LBB12_206:                             ;   in Loop: Header=BB12_162 Depth=1
	s_or_b32 exec_lo, exec_lo, s57
.LBB12_207:                             ;   in Loop: Header=BB12_162 Depth=1
	s_and_not1_saveexec_b32 s56, s56
	s_cbranch_execz .LBB12_221
; %bb.208:                              ;   in Loop: Header=BB12_162 Depth=1
	s_mov_b32 s5, exec_lo
                                        ; implicit-def: $sgpr0_sgpr1
                                        ; implicit-def: $vgpr11
                                        ; implicit-def: $vgpr22_vgpr23
	v_cmpx_lt_u32_e32 0x3feccccc, v19
	s_xor_b32 s5, exec_lo, s5
; %bb.209:                              ;   in Loop: Header=BB12_162 Depth=1
	v_add_f64 v[20:21], -|v[8:9]|, 2.0
	v_add_f64 v[22:23], |v[8:9]|, s[66:67]
	v_add_f64 v[24:25], |v[8:9]|, -1.0
	v_cmp_gt_u32_e32 vcc_lo, 0x3ffbb4c3, v19
	v_cmp_gt_u32_e64 s0, 0x3ff3b4c4, v19
	v_cndmask_b32_e64 v18, 0, 1, vcc_lo
	v_dual_cndmask_b32 v11, v21, v23 :: v_dual_cndmask_b32 v14, v20, v22
	s_delay_alu instid0(VALU_DEP_1) | instskip(NEXT) | instid1(VALU_DEP_2)
	v_cndmask_b32_e64 v23, v11, v25, s0
	v_cndmask_b32_e64 v22, v14, v24, s0
	s_delay_alu instid0(VALU_DEP_4)
	v_cndmask_b32_e64 v11, v18, 2, s0
	s_mov_b64 s[0:1], 0
; %bb.210:                              ;   in Loop: Header=BB12_162 Depth=1
	s_or_saveexec_b32 s57, s5
	v_dual_mov_b32 v21, s1 :: v_dual_mov_b32 v20, s0
	s_xor_b32 exec_lo, exec_lo, s57
	s_cbranch_execz .LBB12_212
; %bb.211:                              ;   in Loop: Header=BB12_162 Depth=1
	v_add_f64 v[20:21], -|v[8:9]|, 1.0
	v_add_f64 v[22:23], |v[8:9]|, s[68:69]
	v_cmp_gt_u32_e32 vcc_lo, 0x3fe76944, v19
	s_mov_b32 s5, s51
	v_cmp_gt_u32_e64 s1, 0x3fcda661, v19
	s_delay_alu instid0(VALU_DEP_3) | instskip(NEXT) | instid1(VALU_DEP_4)
	v_cndmask_b32_e32 v14, v20, v22, vcc_lo
	v_cndmask_b32_e32 v18, v21, v23, vcc_lo
	v_frexp_mant_f64_e64 v[20:21], |v[8:9]|
	s_delay_alu instid0(VALU_DEP_1) | instskip(NEXT) | instid1(VALU_DEP_1)
	v_cmp_gt_f64_e64 s0, s[50:51], v[20:21]
	v_cndmask_b32_e64 v11, 0x3ff00000, 2.0, s0
	s_delay_alu instid0(VALU_DEP_1) | instskip(SKIP_1) | instid1(VALU_DEP_2)
	v_mul_f64 v[20:21], v[20:21], v[10:11]
	v_frexp_exp_i32_f64_e32 v11, v[8:9]
	v_add_f64 v[22:23], v[20:21], 1.0
	s_delay_alu instid0(VALU_DEP_2) | instskip(SKIP_1) | instid1(VALU_DEP_3)
	v_subrev_co_ci_u32_e64 v11, s0, 0, v11, s0
	v_cmp_class_f64_e64 s0, v[8:9], 0x204
	v_rcp_f64_e32 v[24:25], v[22:23]
	s_waitcnt_depctr 0xfff
	v_fma_f64 v[26:27], -v[22:23], v[24:25], 1.0
	s_delay_alu instid0(VALU_DEP_1) | instskip(NEXT) | instid1(VALU_DEP_1)
	v_fma_f64 v[24:25], v[26:27], v[24:25], v[24:25]
	v_fma_f64 v[26:27], -v[22:23], v[24:25], 1.0
	s_delay_alu instid0(VALU_DEP_1) | instskip(SKIP_1) | instid1(VALU_DEP_1)
	v_fma_f64 v[24:25], v[26:27], v[24:25], v[24:25]
	v_add_f64 v[26:27], v[22:23], -1.0
	v_add_f64 v[26:27], v[20:21], -v[26:27]
	v_add_f64 v[20:21], v[20:21], -1.0
	s_delay_alu instid0(VALU_DEP_1) | instskip(NEXT) | instid1(VALU_DEP_1)
	v_mul_f64 v[28:29], v[20:21], v[24:25]
	v_mul_f64 v[30:31], v[22:23], v[28:29]
	s_delay_alu instid0(VALU_DEP_1) | instskip(NEXT) | instid1(VALU_DEP_1)
	v_fma_f64 v[22:23], v[28:29], v[22:23], -v[30:31]
	v_fma_f64 v[22:23], v[28:29], v[26:27], v[22:23]
	s_delay_alu instid0(VALU_DEP_1) | instskip(NEXT) | instid1(VALU_DEP_1)
	v_add_f64 v[26:27], v[30:31], v[22:23]
	v_add_f64 v[30:31], v[26:27], -v[30:31]
	s_delay_alu instid0(VALU_DEP_1) | instskip(SKIP_1) | instid1(VALU_DEP_1)
	v_add_f64 v[22:23], v[30:31], -v[22:23]
	v_add_f64 v[30:31], v[20:21], -v[26:27]
	v_add_f64 v[20:21], v[20:21], -v[30:31]
	s_delay_alu instid0(VALU_DEP_1) | instskip(NEXT) | instid1(VALU_DEP_1)
	v_add_f64 v[20:21], v[20:21], -v[26:27]
	v_add_f64 v[20:21], v[22:23], v[20:21]
	v_cvt_f64_i32_e32 v[22:23], v11
	v_and_b32_e32 v11, 0x7fffffff, v9
	s_delay_alu instid0(VALU_DEP_3) | instskip(NEXT) | instid1(VALU_DEP_1)
	v_add_f64 v[20:21], v[30:31], v[20:21]
	v_mul_f64 v[20:21], v[24:25], v[20:21]
	s_delay_alu instid0(VALU_DEP_4) | instskip(NEXT) | instid1(VALU_DEP_1)
	v_mul_f64 v[24:25], v[22:23], s[20:21]
	v_fma_f64 v[26:27], v[22:23], s[20:21], -v[24:25]
	s_delay_alu instid0(VALU_DEP_1) | instskip(NEXT) | instid1(VALU_DEP_4)
	v_fma_f64 v[22:23], v[22:23], s[22:23], v[26:27]
	v_add_f64 v[26:27], v[28:29], v[20:21]
	s_delay_alu instid0(VALU_DEP_1) | instskip(NEXT) | instid1(VALU_DEP_1)
	v_add_f64 v[28:29], v[26:27], -v[28:29]
	v_add_f64 v[20:21], v[20:21], -v[28:29]
	v_mul_f64 v[28:29], v[26:27], v[26:27]
	s_delay_alu instid0(VALU_DEP_2) | instskip(NEXT) | instid1(VALU_DEP_2)
	v_ldexp_f64 v[20:21], v[20:21], 1
	v_fma_f64 v[30:31], v[28:29], s[8:9], s[6:7]
	s_delay_alu instid0(VALU_DEP_1) | instskip(NEXT) | instid1(VALU_DEP_1)
	v_fma_f64 v[30:31], v[28:29], v[30:31], s[12:13]
	v_fma_f64 v[30:31], v[28:29], v[30:31], s[14:15]
	s_delay_alu instid0(VALU_DEP_1) | instskip(NEXT) | instid1(VALU_DEP_1)
	v_fma_f64 v[30:31], v[28:29], v[30:31], s[16:17]
	v_fma_f64 v[30:31], v[28:29], v[30:31], s[18:19]
	s_delay_alu instid0(VALU_DEP_1) | instskip(SKIP_2) | instid1(VALU_DEP_2)
	v_fma_f64 v[30:31], v[28:29], v[30:31], s[4:5]
	v_mul_f64 v[28:29], v[26:27], v[28:29]
	v_ldexp_f64 v[26:27], v[26:27], 1
	v_mul_f64 v[28:29], v[28:29], v[30:31]
	s_delay_alu instid0(VALU_DEP_1) | instskip(NEXT) | instid1(VALU_DEP_1)
	v_add_f64 v[30:31], v[26:27], v[28:29]
	v_add_f64 v[26:27], v[30:31], -v[26:27]
	s_delay_alu instid0(VALU_DEP_1) | instskip(NEXT) | instid1(VALU_DEP_1)
	v_add_f64 v[26:27], v[28:29], -v[26:27]
	v_add_f64 v[20:21], v[20:21], v[26:27]
	v_add_f64 v[26:27], v[24:25], v[22:23]
	s_delay_alu instid0(VALU_DEP_1) | instskip(NEXT) | instid1(VALU_DEP_1)
	v_add_f64 v[24:25], v[26:27], -v[24:25]
	v_add_f64 v[22:23], v[22:23], -v[24:25]
	s_delay_alu instid0(VALU_DEP_4) | instskip(NEXT) | instid1(VALU_DEP_1)
	v_add_f64 v[24:25], v[30:31], v[20:21]
	v_add_f64 v[28:29], v[24:25], -v[30:31]
	v_add_f64 v[30:31], v[26:27], v[24:25]
	s_delay_alu instid0(VALU_DEP_2) | instskip(NEXT) | instid1(VALU_DEP_2)
	v_add_f64 v[20:21], v[20:21], -v[28:29]
	v_add_f64 v[32:33], v[30:31], -v[26:27]
	s_delay_alu instid0(VALU_DEP_1) | instskip(SKIP_1) | instid1(VALU_DEP_1)
	v_add_f64 v[24:25], v[24:25], -v[32:33]
	v_add_f64 v[32:33], v[30:31], -v[32:33]
	v_add_f64 v[26:27], v[26:27], -v[32:33]
	s_delay_alu instid0(VALU_DEP_1) | instskip(SKIP_1) | instid1(VALU_DEP_1)
	v_add_f64 v[24:25], v[24:25], v[26:27]
	v_add_f64 v[26:27], v[22:23], v[20:21]
	v_add_f64 v[28:29], v[26:27], -v[22:23]
	s_delay_alu instid0(VALU_DEP_3) | instskip(NEXT) | instid1(VALU_DEP_2)
	v_add_f64 v[24:25], v[26:27], v[24:25]
	v_add_f64 v[20:21], v[20:21], -v[28:29]
	v_add_f64 v[28:29], v[26:27], -v[28:29]
	s_delay_alu instid0(VALU_DEP_1) | instskip(NEXT) | instid1(VALU_DEP_1)
	v_add_f64 v[22:23], v[22:23], -v[28:29]
	v_add_f64 v[20:21], v[20:21], v[22:23]
	v_add_f64 v[22:23], v[30:31], v[24:25]
	s_delay_alu instid0(VALU_DEP_1) | instskip(NEXT) | instid1(VALU_DEP_1)
	v_add_f64 v[26:27], v[22:23], -v[30:31]
	v_add_f64 v[24:25], v[24:25], -v[26:27]
	s_delay_alu instid0(VALU_DEP_1) | instskip(NEXT) | instid1(VALU_DEP_1)
	v_add_f64 v[20:21], v[20:21], v[24:25]
	v_add_f64 v[20:21], v[22:23], v[20:21]
	v_cndmask_b32_e64 v23, v18, v11, s1
	v_cndmask_b32_e64 v22, v14, v8, s1
	s_delay_alu instid0(VALU_DEP_3) | instskip(NEXT) | instid1(VALU_DEP_4)
	v_cndmask_b32_e64 v20, v20, v8, s0
	v_cndmask_b32_e64 v21, -v21, -v11, s0
	v_cmp_neq_f64_e64 s0, 0, v[8:9]
	v_cndmask_b32_e64 v11, 0, 1, vcc_lo
	s_delay_alu instid0(VALU_DEP_1) | instskip(NEXT) | instid1(VALU_DEP_3)
	v_cndmask_b32_e64 v11, v11, 2, s1
	v_cndmask_b32_e64 v21, 0x7ff00000, v21, s0
	;; [unrolled: 1-line block ×3, first 2 shown]
.LBB12_212:                             ;   in Loop: Header=BB12_162 Depth=1
	s_or_b32 exec_lo, exec_lo, s57
	s_delay_alu instid0(SALU_CYCLE_1)
	s_mov_b32 s0, exec_lo
                                        ; implicit-def: $vgpr26_vgpr27
	v_cmpx_lt_i32_e32 1, v11
	s_xor_b32 s0, exec_lo, s0
	s_cbranch_execz .LBB12_214
; %bb.213:                              ;   in Loop: Header=BB12_162 Depth=1
	v_fma_f64 v[24:25], v[22:23], s[72:73], s[70:71]
	v_fma_f64 v[26:27], v[22:23], s[82:83], s[80:81]
	s_mov_b32 vcc_lo, s52
                                        ; implicit-def: $vgpr11
	s_delay_alu instid0(VALU_DEP_2) | instskip(NEXT) | instid1(VALU_DEP_2)
	v_fma_f64 v[24:25], v[22:23], v[24:25], s[74:75]
	v_fma_f64 v[26:27], v[22:23], v[26:27], s[84:85]
	s_delay_alu instid0(VALU_DEP_2) | instskip(NEXT) | instid1(VALU_DEP_2)
	v_fma_f64 v[24:25], v[22:23], v[24:25], s[76:77]
	v_fma_f64 v[26:27], v[22:23], v[26:27], s[86:87]
	;; [unrolled: 3-line block ×3, first 2 shown]
	s_delay_alu instid0(VALU_DEP_2) | instskip(NEXT) | instid1(VALU_DEP_2)
	v_fma_f64 v[24:25], v[22:23], v[24:25], vcc
	v_fma_f64 v[26:27], v[22:23], v[26:27], 1.0
	s_delay_alu instid0(VALU_DEP_2) | instskip(NEXT) | instid1(VALU_DEP_1)
	v_mul_f64 v[24:25], v[22:23], v[24:25]
	v_div_scale_f64 v[28:29], null, v[26:27], v[26:27], v[24:25]
	s_delay_alu instid0(VALU_DEP_1) | instskip(SKIP_2) | instid1(VALU_DEP_1)
	v_rcp_f64_e32 v[30:31], v[28:29]
	s_waitcnt_depctr 0xfff
	v_fma_f64 v[32:33], -v[28:29], v[30:31], 1.0
	v_fma_f64 v[30:31], v[30:31], v[32:33], v[30:31]
	s_delay_alu instid0(VALU_DEP_1) | instskip(NEXT) | instid1(VALU_DEP_1)
	v_fma_f64 v[32:33], -v[28:29], v[30:31], 1.0
	v_fma_f64 v[30:31], v[30:31], v[32:33], v[30:31]
	v_div_scale_f64 v[32:33], vcc_lo, v[24:25], v[26:27], v[24:25]
	s_delay_alu instid0(VALU_DEP_1) | instskip(NEXT) | instid1(VALU_DEP_1)
	v_mul_f64 v[34:35], v[32:33], v[30:31]
	v_fma_f64 v[28:29], -v[28:29], v[34:35], v[32:33]
	s_delay_alu instid0(VALU_DEP_1) | instskip(NEXT) | instid1(VALU_DEP_1)
	v_div_fmas_f64 v[28:29], v[28:29], v[30:31], v[34:35]
	v_div_fixup_f64 v[24:25], v[28:29], v[26:27], v[24:25]
	s_delay_alu instid0(VALU_DEP_1)
	v_fma_f64 v[26:27], v[22:23], -0.5, v[24:25]
                                        ; implicit-def: $vgpr22_vgpr23
.LBB12_214:                             ;   in Loop: Header=BB12_162 Depth=1
	s_and_not1_saveexec_b32 s0, s0
	s_cbranch_execz .LBB12_220
; %bb.215:                              ;   in Loop: Header=BB12_162 Depth=1
	v_mul_f64 v[24:25], v[22:23], v[22:23]
	s_mov_b32 s1, exec_lo
                                        ; implicit-def: $vgpr26_vgpr27
	v_cmpx_ne_u32_e32 1, v11
	s_xor_b32 s1, exec_lo, s1
	s_cbranch_execz .LBB12_217
; %bb.216:                              ;   in Loop: Header=BB12_162 Depth=1
	s_mov_b32 s62, 0x987dfb07
	s_mov_b32 s64, 0x90a45837
	;; [unrolled: 1-line block ×4, first 2 shown]
	s_delay_alu instid0(VALU_DEP_2) | instid1(SALU_CYCLE_1)
	v_fma_f64 v[26:27], v[24:25], s[64:65], s[62:63]
	s_mov_b32 s62, 0xed10e54d
	s_mov_b32 s64, 0x428cfa52
	s_mov_b32 s63, 0x3f2cf2ec
	s_mov_b32 s65, 0x3efa7074
	s_delay_alu instid0(SALU_CYCLE_1) | instskip(SKIP_4) | instid1(VALU_DEP_2)
	v_fma_f64 v[28:29], v[24:25], s[64:65], s[62:63]
	s_mov_b32 s62, 0x89b99c00
	s_mov_b32 s63, 0x3f40b6c6
	;; [unrolled: 1-line block ×4, first 2 shown]
	v_fma_f64 v[26:27], v[24:25], v[26:27], s[62:63]
	s_mov_b32 s62, 0x116f3f5d
	s_mov_b32 s63, 0x3f538a94
	s_delay_alu instid0(VALU_DEP_2) | instid1(SALU_CYCLE_1)
	v_fma_f64 v[28:29], v[24:25], v[28:29], s[62:63]
	s_mov_b32 s62, 0xccb7926b
	s_mov_b32 s63, 0x3f67add8
	s_delay_alu instid0(VALU_DEP_2) | instid1(SALU_CYCLE_1)
	;; [unrolled: 4-line block ×6, first 2 shown]
	v_fma_f64 v[26:27], v[24:25], v[26:27], s[62:63]
	s_delay_alu instid0(VALU_DEP_2) | instskip(NEXT) | instid1(VALU_DEP_2)
	v_fma_f64 v[28:29], v[24:25], v[28:29], s[52:53]
	v_mul_f64 v[24:25], v[24:25], v[26:27]
	s_delay_alu instid0(VALU_DEP_1) | instskip(NEXT) | instid1(VALU_DEP_1)
	v_fma_f64 v[24:25], v[22:23], v[28:29], v[24:25]
	v_fma_f64 v[26:27], v[22:23], -0.5, v[24:25]
                                        ; implicit-def: $vgpr22_vgpr23
                                        ; implicit-def: $vgpr24_vgpr25
.LBB12_217:                             ;   in Loop: Header=BB12_162 Depth=1
	s_and_not1_saveexec_b32 s1, s1
	s_cbranch_execz .LBB12_219
; %bb.218:                              ;   in Loop: Header=BB12_162 Depth=1
	s_delay_alu instid0(VALU_DEP_2)
	v_mul_f64 v[26:27], v[22:23], v[24:25]
	s_mov_b32 s62, 0xef61a8e9
	s_mov_b32 s66, 0xecc38c38
	;; [unrolled: 1-line block ×4, first 2 shown]
	s_delay_alu instid0(VALU_DEP_1) | instid1(SALU_CYCLE_1)
	v_fma_f64 v[28:29], v[26:27], s[66:67], s[62:63]
	s_mov_b32 s62, 0x9c73e0ec
	s_mov_b32 s66, 0xe8c2d3f4
	;; [unrolled: 1-line block ×4, first 2 shown]
	s_delay_alu instid0(SALU_CYCLE_1) | instskip(SKIP_4) | instid1(VALU_DEP_2)
	v_fma_f64 v[30:31], v[26:27], s[66:67], s[62:63]
	s_mov_b32 s62, 0xb3e914d7
	s_mov_b32 s63, 0xbf6e2eff
	;; [unrolled: 1-line block ×4, first 2 shown]
	v_fma_f64 v[28:29], v[26:27], v[28:29], s[62:63]
	s_mov_b32 s62, 0x2e15c915
	s_mov_b32 s63, 0x3f6282d3
	s_delay_alu instid0(VALU_DEP_2) | instid1(SALU_CYCLE_1)
	v_fma_f64 v[30:31], v[26:27], v[30:31], s[62:63]
	s_mov_b32 s62, 0xbf2d1af1
	s_mov_b32 s63, 0xbf56fe8e
	s_delay_alu instid0(SALU_CYCLE_1) | instskip(SKIP_4) | instid1(VALU_DEP_3)
	v_fma_f64 v[32:33], v[26:27], s[66:67], s[62:63]
	s_mov_b32 s62, 0x970af9ec
	s_mov_b32 s63, 0x3f9266e7
	;; [unrolled: 1-line block ×4, first 2 shown]
	v_fma_f64 v[28:29], v[26:27], v[28:29], s[62:63]
	s_mov_b32 s62, 0xba91ec6a
	s_mov_b32 s63, 0xbf851f9f
	s_delay_alu instid0(VALU_DEP_3) | instid1(SALU_CYCLE_1)
	v_fma_f64 v[30:31], v[26:27], v[30:31], s[62:63]
	s_mov_b32 s62, 0xe370e344
	s_mov_b32 s63, 0x3f78fce0
	s_delay_alu instid0(VALU_DEP_3) | instid1(SALU_CYCLE_1)
	;; [unrolled: 4-line block ×5, first 2 shown]
	v_fma_f64 v[32:33], v[26:27], v[32:33], s[62:63]
	s_mov_b32 s62, 0xc8ee38a2
	s_mov_b32 s63, 0x3fdef72b
	s_delay_alu instid0(VALU_DEP_2) | instskip(NEXT) | instid1(VALU_DEP_2)
	v_fma_f64 v[22:23], v[22:23], v[30:31], v[28:29]
	v_fma_f64 v[28:29], v[26:27], v[32:33], s[62:63]
	s_mov_b32 s62, 0xa48a971f
	s_mov_b32 s63, 0xbc50c7ca
	s_delay_alu instid0(VALU_DEP_2) | instid1(SALU_CYCLE_1)
	v_fma_f64 v[22:23], v[26:27], -v[22:23], s[62:63]
	s_mov_b32 s62, 0xbcc38a42
	s_mov_b32 s63, 0xbfbf19b9
	s_delay_alu instid0(VALU_DEP_1) | instskip(NEXT) | instid1(VALU_DEP_1)
	v_fma_f64 v[22:23], v[24:25], v[28:29], -v[22:23]
	v_add_f64 v[26:27], v[22:23], s[62:63]
.LBB12_219:                             ;   in Loop: Header=BB12_162 Depth=1
	s_or_b32 exec_lo, exec_lo, s1
.LBB12_220:                             ;   in Loop: Header=BB12_162 Depth=1
	s_delay_alu instid0(SALU_CYCLE_1) | instskip(NEXT) | instid1(VALU_DEP_1)
	s_or_b32 exec_lo, exec_lo, s0
	v_add_f64 v[20:21], v[20:21], v[26:27]
.LBB12_221:                             ;   in Loop: Header=BB12_162 Depth=1
	s_or_b32 exec_lo, exec_lo, s56
.LBB12_222:                             ;   in Loop: Header=BB12_162 Depth=1
	s_and_not1_saveexec_b32 s1, s55
	s_cbranch_execz .LBB12_224
; %bb.223:                              ;   in Loop: Header=BB12_162 Depth=1
	v_frexp_mant_f64_e64 v[20:21], |v[8:9]|
	s_mov_b32 s5, s51
	v_cmp_neq_f64_e64 s0, 0, v[8:9]
	s_delay_alu instid0(VALU_DEP_2) | instskip(SKIP_1) | instid1(VALU_DEP_1)
	v_cmp_gt_f64_e32 vcc_lo, s[50:51], v[20:21]
	v_cndmask_b32_e64 v11, 0x3ff00000, 2.0, vcc_lo
	v_mul_f64 v[20:21], v[20:21], v[10:11]
	v_frexp_exp_i32_f64_e32 v11, v[8:9]
	s_delay_alu instid0(VALU_DEP_2) | instskip(NEXT) | instid1(VALU_DEP_2)
	v_add_f64 v[22:23], v[20:21], 1.0
	v_subrev_co_ci_u32_e32 v11, vcc_lo, 0, v11, vcc_lo
	v_cmp_class_f64_e64 vcc_lo, v[8:9], 0x204
	s_delay_alu instid0(VALU_DEP_3) | instskip(SKIP_2) | instid1(VALU_DEP_1)
	v_rcp_f64_e32 v[24:25], v[22:23]
	s_waitcnt_depctr 0xfff
	v_fma_f64 v[26:27], -v[22:23], v[24:25], 1.0
	v_fma_f64 v[24:25], v[26:27], v[24:25], v[24:25]
	s_delay_alu instid0(VALU_DEP_1) | instskip(NEXT) | instid1(VALU_DEP_1)
	v_fma_f64 v[26:27], -v[22:23], v[24:25], 1.0
	v_fma_f64 v[24:25], v[26:27], v[24:25], v[24:25]
	v_add_f64 v[26:27], v[22:23], -1.0
	s_delay_alu instid0(VALU_DEP_1) | instskip(SKIP_1) | instid1(VALU_DEP_1)
	v_add_f64 v[26:27], v[20:21], -v[26:27]
	v_add_f64 v[20:21], v[20:21], -1.0
	v_mul_f64 v[28:29], v[20:21], v[24:25]
	s_delay_alu instid0(VALU_DEP_1) | instskip(NEXT) | instid1(VALU_DEP_1)
	v_mul_f64 v[30:31], v[22:23], v[28:29]
	v_fma_f64 v[22:23], v[28:29], v[22:23], -v[30:31]
	s_delay_alu instid0(VALU_DEP_1) | instskip(NEXT) | instid1(VALU_DEP_1)
	v_fma_f64 v[22:23], v[28:29], v[26:27], v[22:23]
	v_add_f64 v[26:27], v[30:31], v[22:23]
	s_delay_alu instid0(VALU_DEP_1) | instskip(NEXT) | instid1(VALU_DEP_1)
	v_add_f64 v[30:31], v[26:27], -v[30:31]
	v_add_f64 v[22:23], v[30:31], -v[22:23]
	;; [unrolled: 1-line block ×3, first 2 shown]
	s_delay_alu instid0(VALU_DEP_1) | instskip(NEXT) | instid1(VALU_DEP_1)
	v_add_f64 v[20:21], v[20:21], -v[30:31]
	v_add_f64 v[20:21], v[20:21], -v[26:27]
	s_delay_alu instid0(VALU_DEP_1) | instskip(SKIP_1) | instid1(VALU_DEP_2)
	v_add_f64 v[20:21], v[22:23], v[20:21]
	v_cvt_f64_i32_e32 v[22:23], v11
	v_add_f64 v[20:21], v[30:31], v[20:21]
	s_delay_alu instid0(VALU_DEP_1) | instskip(NEXT) | instid1(VALU_DEP_3)
	v_mul_f64 v[20:21], v[24:25], v[20:21]
	v_mul_f64 v[24:25], v[22:23], s[20:21]
	s_delay_alu instid0(VALU_DEP_1) | instskip(NEXT) | instid1(VALU_DEP_1)
	v_fma_f64 v[26:27], v[22:23], s[20:21], -v[24:25]
	v_fma_f64 v[22:23], v[22:23], s[22:23], v[26:27]
	s_delay_alu instid0(VALU_DEP_4) | instskip(NEXT) | instid1(VALU_DEP_1)
	v_add_f64 v[26:27], v[28:29], v[20:21]
	v_add_f64 v[28:29], v[26:27], -v[28:29]
	s_delay_alu instid0(VALU_DEP_1) | instskip(SKIP_1) | instid1(VALU_DEP_2)
	v_add_f64 v[20:21], v[20:21], -v[28:29]
	v_mul_f64 v[28:29], v[26:27], v[26:27]
	v_ldexp_f64 v[20:21], v[20:21], 1
	s_delay_alu instid0(VALU_DEP_2) | instskip(NEXT) | instid1(VALU_DEP_1)
	v_fma_f64 v[30:31], v[28:29], s[8:9], s[6:7]
	v_fma_f64 v[30:31], v[28:29], v[30:31], s[12:13]
	s_delay_alu instid0(VALU_DEP_1) | instskip(NEXT) | instid1(VALU_DEP_1)
	v_fma_f64 v[30:31], v[28:29], v[30:31], s[14:15]
	v_fma_f64 v[30:31], v[28:29], v[30:31], s[16:17]
	s_delay_alu instid0(VALU_DEP_1) | instskip(NEXT) | instid1(VALU_DEP_1)
	v_fma_f64 v[30:31], v[28:29], v[30:31], s[18:19]
	v_fma_f64 v[30:31], v[28:29], v[30:31], s[4:5]
	v_mul_f64 v[28:29], v[26:27], v[28:29]
	v_ldexp_f64 v[26:27], v[26:27], 1
	s_delay_alu instid0(VALU_DEP_2) | instskip(NEXT) | instid1(VALU_DEP_1)
	v_mul_f64 v[28:29], v[28:29], v[30:31]
	v_add_f64 v[30:31], v[26:27], v[28:29]
	s_delay_alu instid0(VALU_DEP_1) | instskip(NEXT) | instid1(VALU_DEP_1)
	v_add_f64 v[26:27], v[30:31], -v[26:27]
	v_add_f64 v[26:27], v[28:29], -v[26:27]
	s_delay_alu instid0(VALU_DEP_1) | instskip(SKIP_1) | instid1(VALU_DEP_1)
	v_add_f64 v[20:21], v[20:21], v[26:27]
	v_add_f64 v[26:27], v[24:25], v[22:23]
	v_add_f64 v[24:25], v[26:27], -v[24:25]
	s_delay_alu instid0(VALU_DEP_1) | instskip(NEXT) | instid1(VALU_DEP_4)
	v_add_f64 v[22:23], v[22:23], -v[24:25]
	v_add_f64 v[24:25], v[30:31], v[20:21]
	s_delay_alu instid0(VALU_DEP_1) | instskip(SKIP_1) | instid1(VALU_DEP_2)
	v_add_f64 v[28:29], v[24:25], -v[30:31]
	v_add_f64 v[30:31], v[26:27], v[24:25]
	v_add_f64 v[20:21], v[20:21], -v[28:29]
	s_delay_alu instid0(VALU_DEP_2) | instskip(NEXT) | instid1(VALU_DEP_1)
	v_add_f64 v[32:33], v[30:31], -v[26:27]
	v_add_f64 v[24:25], v[24:25], -v[32:33]
	;; [unrolled: 1-line block ×3, first 2 shown]
	s_delay_alu instid0(VALU_DEP_1) | instskip(NEXT) | instid1(VALU_DEP_1)
	v_add_f64 v[26:27], v[26:27], -v[32:33]
	v_add_f64 v[24:25], v[24:25], v[26:27]
	v_add_f64 v[26:27], v[22:23], v[20:21]
	s_delay_alu instid0(VALU_DEP_1) | instskip(NEXT) | instid1(VALU_DEP_3)
	v_add_f64 v[28:29], v[26:27], -v[22:23]
	v_add_f64 v[24:25], v[26:27], v[24:25]
	s_delay_alu instid0(VALU_DEP_2) | instskip(SKIP_1) | instid1(VALU_DEP_1)
	v_add_f64 v[20:21], v[20:21], -v[28:29]
	v_add_f64 v[28:29], v[26:27], -v[28:29]
	;; [unrolled: 1-line block ×3, first 2 shown]
	s_delay_alu instid0(VALU_DEP_1) | instskip(SKIP_1) | instid1(VALU_DEP_1)
	v_add_f64 v[20:21], v[20:21], v[22:23]
	v_add_f64 v[22:23], v[30:31], v[24:25]
	v_add_f64 v[26:27], v[22:23], -v[30:31]
	s_delay_alu instid0(VALU_DEP_1) | instskip(NEXT) | instid1(VALU_DEP_1)
	v_add_f64 v[24:25], v[24:25], -v[26:27]
	v_add_f64 v[20:21], v[20:21], v[24:25]
	v_fma_f64 v[24:25], |v[8:9]|, s[92:93], s[90:91]
	s_delay_alu instid0(VALU_DEP_2) | instskip(NEXT) | instid1(VALU_DEP_2)
	v_add_f64 v[20:21], v[22:23], v[20:21]
	v_fma_f64 v[24:25], |v[8:9]|, v[24:25], s[94:95]
	s_delay_alu instid0(VALU_DEP_2) | instskip(NEXT) | instid1(VALU_DEP_2)
	v_dual_cndmask_b32 v14, v20, v8 :: v_dual_and_b32 v11, 0x7fffffff, v9
	v_fma_f64 v[24:25], |v[8:9]|, v[24:25], s[96:97]
	s_delay_alu instid0(VALU_DEP_2) | instskip(NEXT) | instid1(VALU_DEP_3)
	v_cndmask_b32_e64 v11, -v21, -v11, vcc_lo
	v_cndmask_b32_e64 v20, 0, v14, s0
	s_delay_alu instid0(VALU_DEP_2) | instskip(NEXT) | instid1(VALU_DEP_4)
	v_cndmask_b32_e64 v21, 0x7ff00000, v11, s0
	v_fma_f64 v[22:23], |v[8:9]|, v[24:25], s[98:99]
	s_delay_alu instid0(VALU_DEP_1)
	v_fma_f64 v[20:21], |v[8:9]|, v[22:23], v[20:21]
.LBB12_224:                             ;   in Loop: Header=BB12_162 Depth=1
	s_or_b32 exec_lo, exec_lo, s1
	s_delay_alu instid0(SALU_CYCLE_1)
	s_mov_b32 s0, exec_lo
	v_cmpx_le_f64_e32 0, v[8:9]
	s_xor_b32 s1, exec_lo, s0
; %bb.225:                              ;   in Loop: Header=BB12_162 Depth=1
	v_cmp_eq_f64_e32 vcc_lo, 1.0, v[8:9]
	v_cmp_eq_f64_e64 s0, 2.0, v[8:9]
	s_delay_alu instid0(VALU_DEP_1)
	s_or_b32 s0, vcc_lo, s0
	s_delay_alu instid0(VALU_DEP_4) | instid1(SALU_CYCLE_1)
	v_cndmask_b32_e64 v21, v21, 0, s0
	v_cndmask_b32_e64 v20, v20, 0, s0
; %bb.226:                              ;   in Loop: Header=BB12_162 Depth=1
	s_and_not1_saveexec_b32 s1, s1
	s_cbranch_execz .LBB12_230
; %bb.227:                              ;   in Loop: Header=BB12_162 Depth=1
	v_add_nc_u32_e32 v11, 0xc32fffff, v19
	s_mov_b32 s55, exec_lo
	s_delay_alu instid0(VALU_DEP_1)
	v_cmpx_gt_u32_e32 0x65fffff, v11
	s_cbranch_execz .LBB12_229
; %bb.228:                              ;   in Loop: Header=BB12_162 Depth=1
	v_mul_f64 v[22:23], |v[8:9]|, 0.5
	v_cmp_gt_f64_e64 s0, |v[8:9]|, 1.0
	s_mov_b32 s5, s51
	s_delay_alu instid0(VALU_DEP_2) | instskip(SKIP_1) | instid1(VALU_DEP_2)
	v_fract_f64_e32 v[24:25], v[22:23]
	v_cmp_neq_f64_e64 vcc_lo, 0x7ff00000, |v[22:23]|
	v_add_f64 v[22:23], v[24:25], v[24:25]
	s_delay_alu instid0(VALU_DEP_1) | instskip(NEXT) | instid1(VALU_DEP_2)
	v_dual_cndmask_b32 v14, 0, v23 :: v_dual_and_b32 v11, 0x7fffffff, v9
	v_cndmask_b32_e32 v18, 0, v22, vcc_lo
	s_delay_alu instid0(VALU_DEP_2) | instskip(NEXT) | instid1(VALU_DEP_2)
	v_cndmask_b32_e64 v23, v11, v14, s0
	v_cndmask_b32_e64 v22, v8, v18, s0
	s_delay_alu instid0(VALU_DEP_1) | instskip(NEXT) | instid1(VALU_DEP_1)
	v_add_f64 v[24:25], v[22:23], v[22:23]
	v_rndne_f64_e32 v[24:25], v[24:25]
	s_delay_alu instid0(VALU_DEP_1) | instskip(SKIP_1) | instid1(VALU_DEP_2)
	v_fma_f64 v[22:23], v[24:25], -0.5, v[22:23]
	v_cvt_i32_f64_e32 v11, v[24:25]
	v_mul_f64 v[26:27], v[22:23], v[22:23]
	s_delay_alu instid0(VALU_DEP_2) | instskip(SKIP_1) | instid1(VALU_DEP_2)
	v_and_b32_e32 v14, 1, v11
	v_lshlrev_b32_e32 v11, 30, v11
	v_cmp_eq_u32_e32 vcc_lo, 0, v14
	s_delay_alu instid0(VALU_DEP_2) | instskip(NEXT) | instid1(VALU_DEP_1)
	v_xor_b32_e32 v11, v11, v9
	v_and_b32_e32 v11, 0x80000000, v11
	v_fma_f64 v[28:29], v[26:27], s[102:103], s[100:101]
	v_mul_f64 v[30:31], v[22:23], v[26:27]
	s_delay_alu instid0(VALU_DEP_2) | instskip(NEXT) | instid1(VALU_DEP_1)
	v_fma_f64 v[28:29], v[26:27], v[28:29], s[24:25]
	v_fma_f64 v[28:29], v[26:27], v[28:29], s[26:27]
	s_delay_alu instid0(VALU_DEP_1) | instskip(NEXT) | instid1(VALU_DEP_1)
	v_fma_f64 v[28:29], v[26:27], v[28:29], s[28:29]
	v_fma_f64 v[28:29], v[26:27], v[28:29], s[30:31]
	s_delay_alu instid0(VALU_DEP_1) | instskip(NEXT) | instid1(VALU_DEP_1)
	v_mul_f64 v[28:29], v[30:31], v[28:29]
	v_fma_f64 v[22:23], v[22:23], s[34:35], v[28:29]
	v_fma_f64 v[28:29], v[26:27], s[38:39], s[36:37]
	s_delay_alu instid0(VALU_DEP_1) | instskip(NEXT) | instid1(VALU_DEP_1)
	v_fma_f64 v[28:29], v[26:27], v[28:29], s[40:41]
	v_fma_f64 v[28:29], v[26:27], v[28:29], s[42:43]
	s_delay_alu instid0(VALU_DEP_1) | instskip(NEXT) | instid1(VALU_DEP_1)
	;; [unrolled: 3-line block ×3, first 2 shown]
	v_fma_f64 v[28:29], v[26:27], v[28:29], s[48:49]
	v_fma_f64 v[26:27], v[26:27], v[28:29], 1.0
	s_delay_alu instid0(VALU_DEP_1) | instskip(NEXT) | instid1(VALU_DEP_2)
	v_cndmask_b32_e32 v14, v26, v22, vcc_lo
	v_cndmask_b32_e32 v18, v27, v23, vcc_lo
	v_cmp_class_f64_e64 vcc_lo, v[8:9], 0x1f8
	s_delay_alu instid0(VALU_DEP_2) | instskip(NEXT) | instid1(VALU_DEP_4)
	v_xor_b32_e32 v11, v18, v11
	v_cndmask_b32_e32 v22, 0, v14, vcc_lo
	s_delay_alu instid0(VALU_DEP_2) | instskip(NEXT) | instid1(VALU_DEP_1)
	v_cndmask_b32_e32 v23, 0x7ff80000, v11, vcc_lo
	v_mul_f64 v[22:23], v[8:9], v[22:23]
	s_delay_alu instid0(VALU_DEP_1) | instskip(NEXT) | instid1(VALU_DEP_1)
	v_dual_mov_b32 v24, v22 :: v_dual_and_b32 v25, 0x7fffffff, v23
	v_div_scale_f64 v[26:27], null, v[24:25], v[24:25], s[34:35]
	v_div_scale_f64 v[24:25], vcc_lo, s[34:35], v[24:25], s[34:35]
	s_delay_alu instid0(VALU_DEP_2) | instskip(SKIP_2) | instid1(VALU_DEP_1)
	v_rcp_f64_e32 v[28:29], v[26:27]
	s_waitcnt_depctr 0xfff
	v_fma_f64 v[30:31], -v[26:27], v[28:29], 1.0
	v_fma_f64 v[28:29], v[28:29], v[30:31], v[28:29]
	s_delay_alu instid0(VALU_DEP_1) | instskip(NEXT) | instid1(VALU_DEP_1)
	v_fma_f64 v[30:31], -v[26:27], v[28:29], 1.0
	v_fma_f64 v[28:29], v[28:29], v[30:31], v[28:29]
	s_delay_alu instid0(VALU_DEP_1) | instskip(NEXT) | instid1(VALU_DEP_1)
	v_mul_f64 v[30:31], v[24:25], v[28:29]
	v_fma_f64 v[24:25], -v[26:27], v[30:31], v[24:25]
	s_delay_alu instid0(VALU_DEP_1) | instskip(NEXT) | instid1(VALU_DEP_1)
	v_div_fmas_f64 v[24:25], v[24:25], v[28:29], v[30:31]
	v_div_fixup_f64 v[22:23], v[24:25], |v[22:23]|, s[34:35]
	s_delay_alu instid0(VALU_DEP_1) | instskip(SKIP_1) | instid1(VALU_DEP_2)
	v_frexp_mant_f64_e32 v[24:25], v[22:23]
	v_cmp_neq_f64_e64 s0, 0, v[22:23]
	v_cmp_gt_f64_e32 vcc_lo, s[50:51], v[24:25]
	v_cndmask_b32_e64 v11, 0x3ff00000, 2.0, vcc_lo
	s_delay_alu instid0(VALU_DEP_1) | instskip(SKIP_1) | instid1(VALU_DEP_2)
	v_mul_f64 v[24:25], v[24:25], v[10:11]
	v_frexp_exp_i32_f64_e32 v11, v[22:23]
	v_add_f64 v[26:27], v[24:25], 1.0
	s_delay_alu instid0(VALU_DEP_2) | instskip(SKIP_1) | instid1(VALU_DEP_3)
	v_subrev_co_ci_u32_e32 v11, vcc_lo, 0, v11, vcc_lo
	v_cmp_class_f64_e64 vcc_lo, v[22:23], 0x204
	v_rcp_f64_e32 v[28:29], v[26:27]
	s_waitcnt_depctr 0xfff
	v_fma_f64 v[30:31], -v[26:27], v[28:29], 1.0
	s_delay_alu instid0(VALU_DEP_1) | instskip(NEXT) | instid1(VALU_DEP_1)
	v_fma_f64 v[28:29], v[30:31], v[28:29], v[28:29]
	v_fma_f64 v[30:31], -v[26:27], v[28:29], 1.0
	s_delay_alu instid0(VALU_DEP_1) | instskip(SKIP_1) | instid1(VALU_DEP_1)
	v_fma_f64 v[28:29], v[30:31], v[28:29], v[28:29]
	v_add_f64 v[30:31], v[26:27], -1.0
	v_add_f64 v[30:31], v[24:25], -v[30:31]
	v_add_f64 v[24:25], v[24:25], -1.0
	s_delay_alu instid0(VALU_DEP_1) | instskip(NEXT) | instid1(VALU_DEP_1)
	v_mul_f64 v[32:33], v[24:25], v[28:29]
	v_mul_f64 v[34:35], v[26:27], v[32:33]
	s_delay_alu instid0(VALU_DEP_1) | instskip(NEXT) | instid1(VALU_DEP_1)
	v_fma_f64 v[26:27], v[32:33], v[26:27], -v[34:35]
	v_fma_f64 v[26:27], v[32:33], v[30:31], v[26:27]
	s_delay_alu instid0(VALU_DEP_1) | instskip(NEXT) | instid1(VALU_DEP_1)
	v_add_f64 v[30:31], v[34:35], v[26:27]
	v_add_f64 v[34:35], v[30:31], -v[34:35]
	s_delay_alu instid0(VALU_DEP_1) | instskip(SKIP_1) | instid1(VALU_DEP_1)
	v_add_f64 v[26:27], v[34:35], -v[26:27]
	v_add_f64 v[34:35], v[24:25], -v[30:31]
	;; [unrolled: 1-line block ×3, first 2 shown]
	s_delay_alu instid0(VALU_DEP_1) | instskip(NEXT) | instid1(VALU_DEP_1)
	v_add_f64 v[24:25], v[24:25], -v[30:31]
	v_add_f64 v[24:25], v[26:27], v[24:25]
	v_cvt_f64_i32_e32 v[26:27], v11
	s_delay_alu instid0(VALU_DEP_2) | instskip(NEXT) | instid1(VALU_DEP_1)
	v_add_f64 v[24:25], v[34:35], v[24:25]
	v_mul_f64 v[24:25], v[28:29], v[24:25]
	s_delay_alu instid0(VALU_DEP_3) | instskip(NEXT) | instid1(VALU_DEP_1)
	v_mul_f64 v[28:29], v[26:27], s[20:21]
	v_fma_f64 v[30:31], v[26:27], s[20:21], -v[28:29]
	s_delay_alu instid0(VALU_DEP_1) | instskip(NEXT) | instid1(VALU_DEP_4)
	v_fma_f64 v[26:27], v[26:27], s[22:23], v[30:31]
	v_add_f64 v[30:31], v[32:33], v[24:25]
	s_delay_alu instid0(VALU_DEP_1) | instskip(NEXT) | instid1(VALU_DEP_1)
	v_add_f64 v[32:33], v[30:31], -v[32:33]
	v_add_f64 v[24:25], v[24:25], -v[32:33]
	v_mul_f64 v[32:33], v[30:31], v[30:31]
	s_delay_alu instid0(VALU_DEP_2) | instskip(NEXT) | instid1(VALU_DEP_2)
	v_ldexp_f64 v[24:25], v[24:25], 1
	v_fma_f64 v[34:35], v[32:33], s[8:9], s[6:7]
	s_delay_alu instid0(VALU_DEP_1) | instskip(NEXT) | instid1(VALU_DEP_1)
	v_fma_f64 v[34:35], v[32:33], v[34:35], s[12:13]
	v_fma_f64 v[34:35], v[32:33], v[34:35], s[14:15]
	s_delay_alu instid0(VALU_DEP_1) | instskip(NEXT) | instid1(VALU_DEP_1)
	v_fma_f64 v[34:35], v[32:33], v[34:35], s[16:17]
	v_fma_f64 v[34:35], v[32:33], v[34:35], s[18:19]
	s_delay_alu instid0(VALU_DEP_1) | instskip(SKIP_2) | instid1(VALU_DEP_2)
	v_fma_f64 v[34:35], v[32:33], v[34:35], s[4:5]
	v_mul_f64 v[32:33], v[30:31], v[32:33]
	v_ldexp_f64 v[30:31], v[30:31], 1
	v_mul_f64 v[32:33], v[32:33], v[34:35]
	s_delay_alu instid0(VALU_DEP_1) | instskip(NEXT) | instid1(VALU_DEP_1)
	v_add_f64 v[34:35], v[30:31], v[32:33]
	v_add_f64 v[30:31], v[34:35], -v[30:31]
	s_delay_alu instid0(VALU_DEP_1) | instskip(NEXT) | instid1(VALU_DEP_1)
	v_add_f64 v[30:31], v[32:33], -v[30:31]
	v_add_f64 v[24:25], v[24:25], v[30:31]
	v_add_f64 v[30:31], v[28:29], v[26:27]
	s_delay_alu instid0(VALU_DEP_1) | instskip(NEXT) | instid1(VALU_DEP_1)
	v_add_f64 v[28:29], v[30:31], -v[28:29]
	v_add_f64 v[26:27], v[26:27], -v[28:29]
	s_delay_alu instid0(VALU_DEP_4) | instskip(NEXT) | instid1(VALU_DEP_1)
	v_add_f64 v[28:29], v[34:35], v[24:25]
	v_add_f64 v[32:33], v[28:29], -v[34:35]
	v_add_f64 v[34:35], v[30:31], v[28:29]
	s_delay_alu instid0(VALU_DEP_2) | instskip(NEXT) | instid1(VALU_DEP_2)
	v_add_f64 v[24:25], v[24:25], -v[32:33]
	v_add_f64 v[36:37], v[34:35], -v[30:31]
	s_delay_alu instid0(VALU_DEP_1) | instskip(SKIP_1) | instid1(VALU_DEP_1)
	v_add_f64 v[28:29], v[28:29], -v[36:37]
	v_add_f64 v[36:37], v[34:35], -v[36:37]
	;; [unrolled: 1-line block ×3, first 2 shown]
	s_delay_alu instid0(VALU_DEP_1) | instskip(SKIP_1) | instid1(VALU_DEP_1)
	v_add_f64 v[28:29], v[28:29], v[30:31]
	v_add_f64 v[30:31], v[26:27], v[24:25]
	v_add_f64 v[32:33], v[30:31], -v[26:27]
	s_delay_alu instid0(VALU_DEP_3) | instskip(NEXT) | instid1(VALU_DEP_2)
	v_add_f64 v[28:29], v[30:31], v[28:29]
	v_add_f64 v[24:25], v[24:25], -v[32:33]
	v_add_f64 v[32:33], v[30:31], -v[32:33]
	s_delay_alu instid0(VALU_DEP_1) | instskip(NEXT) | instid1(VALU_DEP_1)
	v_add_f64 v[26:27], v[26:27], -v[32:33]
	v_add_f64 v[24:25], v[24:25], v[26:27]
	v_add_f64 v[26:27], v[34:35], v[28:29]
	s_delay_alu instid0(VALU_DEP_1) | instskip(NEXT) | instid1(VALU_DEP_1)
	v_add_f64 v[30:31], v[26:27], -v[34:35]
	v_add_f64 v[28:29], v[28:29], -v[30:31]
	s_delay_alu instid0(VALU_DEP_1) | instskip(NEXT) | instid1(VALU_DEP_1)
	v_add_f64 v[24:25], v[24:25], v[28:29]
	v_add_f64 v[24:25], v[26:27], v[24:25]
	s_delay_alu instid0(VALU_DEP_1) | instskip(SKIP_1) | instid1(VALU_DEP_2)
	v_dual_cndmask_b32 v11, v24, v22 :: v_dual_cndmask_b32 v14, v25, v23
	v_fract_f64_e32 v[22:23], v[8:9]
	v_cndmask_b32_e64 v24, 0, v11, s0
	s_delay_alu instid0(VALU_DEP_3) | instskip(SKIP_1) | instid1(VALU_DEP_2)
	v_cndmask_b32_e64 v25, 0xfff00000, v14, s0
	v_cmp_class_f64_e64 s0, v[8:9], 0x204
	v_add_f64 v[20:21], v[24:25], -v[20:21]
	v_cmp_eq_f64_e32 vcc_lo, 0, v[22:23]
	s_delay_alu instid0(VALU_DEP_3)
	s_or_b32 s0, s0, vcc_lo
	s_delay_alu instid0(VALU_DEP_2) | instid1(SALU_CYCLE_1)
	v_cndmask_b32_e64 v21, v21, 0x7ff00000, s0
	s_delay_alu instid0(VALU_DEP_3)
	v_cndmask_b32_e64 v20, v20, 0, s0
.LBB12_229:                             ;   in Loop: Header=BB12_162 Depth=1
	s_or_b32 exec_lo, exec_lo, s55
.LBB12_230:                             ;   in Loop: Header=BB12_162 Depth=1
	s_delay_alu instid0(SALU_CYCLE_1) | instskip(SKIP_3) | instid1(VALU_DEP_1)
	s_or_b32 exec_lo, exec_lo, s1
	s_waitcnt vmcnt(0)
	v_dual_mov_b32 v22, v2 :: v_dual_and_b32 v23, 0x7fffffff, v3
                                        ; implicit-def: $vgpr24_vgpr25
	s_mov_b32 s0, exec_lo
	v_cmpx_lt_u32_e32 0x3f6fffff, v23
	s_xor_b32 s55, exec_lo, s0
	s_cbranch_execz .LBB12_256
; %bb.231:                              ;   in Loop: Header=BB12_162 Depth=1
                                        ; implicit-def: $vgpr24_vgpr25
	s_mov_b32 s0, exec_lo
	v_cmpx_lt_u32_e32 0x3fffffff, v23
	s_xor_b32 s56, exec_lo, s0
	s_cbranch_execz .LBB12_241
; %bb.232:                              ;   in Loop: Header=BB12_162 Depth=1
                                        ; implicit-def: $vgpr24_vgpr25
	s_mov_b32 s0, exec_lo
	v_cmpx_lt_u32_e32 0x401fffff, v23
	s_xor_b32 s1, exec_lo, s0
	s_cbranch_execz .LBB12_238
; %bb.233:                              ;   in Loop: Header=BB12_162 Depth=1
                                        ; implicit-def: $vgpr24_vgpr25
	s_mov_b32 s0, exec_lo
	v_cmpx_lt_u32_e32 0x438fffff, v23
	s_xor_b32 s57, exec_lo, s0
	s_cbranch_execz .LBB12_235
; %bb.234:                              ;   in Loop: Header=BB12_162 Depth=1
	v_frexp_mant_f64_e64 v[24:25], |v[2:3]|
	s_mov_b32 s5, s51
	v_cmp_neq_f64_e64 s0, 0, v[2:3]
	s_delay_alu instid0(VALU_DEP_2) | instskip(SKIP_1) | instid1(VALU_DEP_1)
	v_cmp_gt_f64_e32 vcc_lo, s[50:51], v[24:25]
	v_cndmask_b32_e64 v11, 0x3ff00000, 2.0, vcc_lo
	v_mul_f64 v[24:25], v[24:25], v[10:11]
	v_frexp_exp_i32_f64_e32 v11, v[2:3]
	s_delay_alu instid0(VALU_DEP_2) | instskip(NEXT) | instid1(VALU_DEP_2)
	v_add_f64 v[26:27], v[24:25], 1.0
	v_subrev_co_ci_u32_e32 v11, vcc_lo, 0, v11, vcc_lo
	v_cmp_class_f64_e64 vcc_lo, v[2:3], 0x204
	s_delay_alu instid0(VALU_DEP_3) | instskip(SKIP_2) | instid1(VALU_DEP_1)
	v_rcp_f64_e32 v[28:29], v[26:27]
	s_waitcnt_depctr 0xfff
	v_fma_f64 v[30:31], -v[26:27], v[28:29], 1.0
	v_fma_f64 v[28:29], v[30:31], v[28:29], v[28:29]
	s_delay_alu instid0(VALU_DEP_1) | instskip(NEXT) | instid1(VALU_DEP_1)
	v_fma_f64 v[30:31], -v[26:27], v[28:29], 1.0
	v_fma_f64 v[28:29], v[30:31], v[28:29], v[28:29]
	v_add_f64 v[30:31], v[26:27], -1.0
	s_delay_alu instid0(VALU_DEP_1) | instskip(SKIP_1) | instid1(VALU_DEP_1)
	v_add_f64 v[30:31], v[24:25], -v[30:31]
	v_add_f64 v[24:25], v[24:25], -1.0
	v_mul_f64 v[32:33], v[24:25], v[28:29]
	s_delay_alu instid0(VALU_DEP_1) | instskip(NEXT) | instid1(VALU_DEP_1)
	v_mul_f64 v[34:35], v[26:27], v[32:33]
	v_fma_f64 v[26:27], v[32:33], v[26:27], -v[34:35]
	s_delay_alu instid0(VALU_DEP_1) | instskip(NEXT) | instid1(VALU_DEP_1)
	v_fma_f64 v[26:27], v[32:33], v[30:31], v[26:27]
	v_add_f64 v[30:31], v[34:35], v[26:27]
	s_delay_alu instid0(VALU_DEP_1) | instskip(NEXT) | instid1(VALU_DEP_1)
	v_add_f64 v[34:35], v[30:31], -v[34:35]
	v_add_f64 v[26:27], v[34:35], -v[26:27]
	;; [unrolled: 1-line block ×3, first 2 shown]
	s_delay_alu instid0(VALU_DEP_1) | instskip(NEXT) | instid1(VALU_DEP_1)
	v_add_f64 v[24:25], v[24:25], -v[34:35]
	v_add_f64 v[24:25], v[24:25], -v[30:31]
	s_delay_alu instid0(VALU_DEP_1) | instskip(SKIP_1) | instid1(VALU_DEP_2)
	v_add_f64 v[24:25], v[26:27], v[24:25]
	v_cvt_f64_i32_e32 v[26:27], v11
	v_add_f64 v[24:25], v[34:35], v[24:25]
	s_delay_alu instid0(VALU_DEP_1) | instskip(NEXT) | instid1(VALU_DEP_3)
	v_mul_f64 v[24:25], v[28:29], v[24:25]
	v_mul_f64 v[28:29], v[26:27], s[20:21]
	s_delay_alu instid0(VALU_DEP_1) | instskip(NEXT) | instid1(VALU_DEP_1)
	v_fma_f64 v[30:31], v[26:27], s[20:21], -v[28:29]
	v_fma_f64 v[26:27], v[26:27], s[22:23], v[30:31]
	s_delay_alu instid0(VALU_DEP_4) | instskip(NEXT) | instid1(VALU_DEP_1)
	v_add_f64 v[30:31], v[32:33], v[24:25]
	v_add_f64 v[32:33], v[30:31], -v[32:33]
	s_delay_alu instid0(VALU_DEP_1) | instskip(SKIP_1) | instid1(VALU_DEP_2)
	v_add_f64 v[24:25], v[24:25], -v[32:33]
	v_mul_f64 v[32:33], v[30:31], v[30:31]
	v_ldexp_f64 v[24:25], v[24:25], 1
	s_delay_alu instid0(VALU_DEP_2) | instskip(NEXT) | instid1(VALU_DEP_1)
	v_fma_f64 v[34:35], v[32:33], s[8:9], s[6:7]
	v_fma_f64 v[34:35], v[32:33], v[34:35], s[12:13]
	s_delay_alu instid0(VALU_DEP_1) | instskip(NEXT) | instid1(VALU_DEP_1)
	v_fma_f64 v[34:35], v[32:33], v[34:35], s[14:15]
	v_fma_f64 v[34:35], v[32:33], v[34:35], s[16:17]
	s_delay_alu instid0(VALU_DEP_1) | instskip(NEXT) | instid1(VALU_DEP_1)
	v_fma_f64 v[34:35], v[32:33], v[34:35], s[18:19]
	v_fma_f64 v[34:35], v[32:33], v[34:35], s[4:5]
	v_mul_f64 v[32:33], v[30:31], v[32:33]
	v_ldexp_f64 v[30:31], v[30:31], 1
	s_delay_alu instid0(VALU_DEP_2) | instskip(NEXT) | instid1(VALU_DEP_1)
	v_mul_f64 v[32:33], v[32:33], v[34:35]
	v_add_f64 v[34:35], v[30:31], v[32:33]
	s_delay_alu instid0(VALU_DEP_1) | instskip(NEXT) | instid1(VALU_DEP_1)
	v_add_f64 v[30:31], v[34:35], -v[30:31]
	v_add_f64 v[30:31], v[32:33], -v[30:31]
	s_delay_alu instid0(VALU_DEP_1) | instskip(SKIP_1) | instid1(VALU_DEP_1)
	v_add_f64 v[24:25], v[24:25], v[30:31]
	v_add_f64 v[30:31], v[28:29], v[26:27]
	v_add_f64 v[28:29], v[30:31], -v[28:29]
	s_delay_alu instid0(VALU_DEP_1) | instskip(NEXT) | instid1(VALU_DEP_4)
	v_add_f64 v[26:27], v[26:27], -v[28:29]
	v_add_f64 v[28:29], v[34:35], v[24:25]
	s_delay_alu instid0(VALU_DEP_1) | instskip(SKIP_1) | instid1(VALU_DEP_2)
	v_add_f64 v[32:33], v[28:29], -v[34:35]
	v_add_f64 v[34:35], v[30:31], v[28:29]
	v_add_f64 v[24:25], v[24:25], -v[32:33]
	s_delay_alu instid0(VALU_DEP_2) | instskip(NEXT) | instid1(VALU_DEP_1)
	v_add_f64 v[36:37], v[34:35], -v[30:31]
	v_add_f64 v[28:29], v[28:29], -v[36:37]
	;; [unrolled: 1-line block ×3, first 2 shown]
	s_delay_alu instid0(VALU_DEP_1) | instskip(NEXT) | instid1(VALU_DEP_1)
	v_add_f64 v[30:31], v[30:31], -v[36:37]
	v_add_f64 v[28:29], v[28:29], v[30:31]
	v_add_f64 v[30:31], v[26:27], v[24:25]
	s_delay_alu instid0(VALU_DEP_1) | instskip(NEXT) | instid1(VALU_DEP_3)
	v_add_f64 v[32:33], v[30:31], -v[26:27]
	v_add_f64 v[28:29], v[30:31], v[28:29]
	s_delay_alu instid0(VALU_DEP_2) | instskip(SKIP_1) | instid1(VALU_DEP_1)
	v_add_f64 v[24:25], v[24:25], -v[32:33]
	v_add_f64 v[32:33], v[30:31], -v[32:33]
	;; [unrolled: 1-line block ×3, first 2 shown]
	s_delay_alu instid0(VALU_DEP_1) | instskip(SKIP_1) | instid1(VALU_DEP_1)
	v_add_f64 v[24:25], v[24:25], v[26:27]
	v_add_f64 v[26:27], v[34:35], v[28:29]
	v_add_f64 v[30:31], v[26:27], -v[34:35]
	s_delay_alu instid0(VALU_DEP_1) | instskip(NEXT) | instid1(VALU_DEP_1)
	v_add_f64 v[28:29], v[28:29], -v[30:31]
	v_add_f64 v[24:25], v[24:25], v[28:29]
	s_delay_alu instid0(VALU_DEP_1) | instskip(NEXT) | instid1(VALU_DEP_1)
	v_add_f64 v[24:25], v[26:27], v[24:25]
	v_dual_cndmask_b32 v14, v24, v2 :: v_dual_and_b32 v11, 0x7fffffff, v3
	s_delay_alu instid0(VALU_DEP_1) | instskip(NEXT) | instid1(VALU_DEP_2)
	v_cndmask_b32_e32 v11, v25, v11, vcc_lo
	v_cndmask_b32_e64 v24, 0, v14, s0
	s_delay_alu instid0(VALU_DEP_2) | instskip(NEXT) | instid1(VALU_DEP_1)
	v_cndmask_b32_e64 v25, 0xfff00000, v11, s0
	v_fma_f64 v[24:25], |v[2:3]|, v[24:25], -|v[2:3]|
.LBB12_235:                             ;   in Loop: Header=BB12_162 Depth=1
	s_and_not1_saveexec_b32 s0, s57
	s_cbranch_execz .LBB12_237
; %bb.236:                              ;   in Loop: Header=BB12_162 Depth=1
	v_dual_mov_b32 v24, v2 :: v_dual_and_b32 v25, 0x7fffffff, v3
	s_mov_b32 s5, s51
	s_mov_b32 s58, 0x4cdad5d1
	;; [unrolled: 1-line block ×4, first 2 shown]
	v_div_scale_f64 v[26:27], null, v[24:25], v[24:25], 1.0
	s_mov_b32 s61, 0xbf5ab89d
	s_delay_alu instid0(VALU_DEP_1) | instskip(SKIP_2) | instid1(VALU_DEP_1)
	v_rcp_f64_e32 v[28:29], v[26:27]
	s_waitcnt_depctr 0xfff
	v_fma_f64 v[30:31], -v[26:27], v[28:29], 1.0
	v_fma_f64 v[28:29], v[28:29], v[30:31], v[28:29]
	s_delay_alu instid0(VALU_DEP_1) | instskip(NEXT) | instid1(VALU_DEP_1)
	v_fma_f64 v[30:31], -v[26:27], v[28:29], 1.0
	v_fma_f64 v[28:29], v[28:29], v[30:31], v[28:29]
	v_div_scale_f64 v[30:31], vcc_lo, 1.0, v[24:25], 1.0
	s_delay_alu instid0(VALU_DEP_1) | instskip(NEXT) | instid1(VALU_DEP_1)
	v_mul_f64 v[32:33], v[30:31], v[28:29]
	v_fma_f64 v[26:27], -v[26:27], v[32:33], v[30:31]
	s_delay_alu instid0(VALU_DEP_1) | instskip(SKIP_1) | instid1(VALU_DEP_2)
	v_div_fmas_f64 v[26:27], v[26:27], v[28:29], v[32:33]
	v_frexp_mant_f64_e64 v[28:29], |v[2:3]|
	v_div_fixup_f64 v[26:27], v[26:27], |v[2:3]|, 1.0
	s_delay_alu instid0(VALU_DEP_2) | instskip(SKIP_1) | instid1(VALU_DEP_1)
	v_cmp_gt_f64_e32 vcc_lo, s[50:51], v[28:29]
	v_cndmask_b32_e64 v11, 0x3ff00000, 2.0, vcc_lo
	v_mul_f64 v[28:29], v[28:29], v[10:11]
	v_frexp_exp_i32_f64_e32 v11, v[2:3]
	s_delay_alu instid0(VALU_DEP_2) | instskip(NEXT) | instid1(VALU_DEP_2)
	v_add_f64 v[30:31], v[28:29], 1.0
	v_subrev_co_ci_u32_e32 v11, vcc_lo, 0, v11, vcc_lo
	v_cmp_class_f64_e64 vcc_lo, v[2:3], 0x204
	s_delay_alu instid0(VALU_DEP_3) | instskip(SKIP_2) | instid1(VALU_DEP_1)
	v_rcp_f64_e32 v[32:33], v[30:31]
	s_waitcnt_depctr 0xfff
	v_fma_f64 v[34:35], -v[30:31], v[32:33], 1.0
	v_fma_f64 v[32:33], v[34:35], v[32:33], v[32:33]
	s_delay_alu instid0(VALU_DEP_1) | instskip(NEXT) | instid1(VALU_DEP_1)
	v_fma_f64 v[34:35], -v[30:31], v[32:33], 1.0
	v_fma_f64 v[32:33], v[34:35], v[32:33], v[32:33]
	v_add_f64 v[34:35], v[30:31], -1.0
	s_delay_alu instid0(VALU_DEP_1) | instskip(SKIP_1) | instid1(VALU_DEP_1)
	v_add_f64 v[34:35], v[28:29], -v[34:35]
	v_add_f64 v[28:29], v[28:29], -1.0
	v_mul_f64 v[36:37], v[28:29], v[32:33]
	s_delay_alu instid0(VALU_DEP_1) | instskip(NEXT) | instid1(VALU_DEP_1)
	v_mul_f64 v[38:39], v[30:31], v[36:37]
	v_fma_f64 v[30:31], v[36:37], v[30:31], -v[38:39]
	s_delay_alu instid0(VALU_DEP_1) | instskip(NEXT) | instid1(VALU_DEP_1)
	v_fma_f64 v[30:31], v[36:37], v[34:35], v[30:31]
	v_add_f64 v[34:35], v[38:39], v[30:31]
	s_delay_alu instid0(VALU_DEP_1) | instskip(NEXT) | instid1(VALU_DEP_1)
	v_add_f64 v[38:39], v[34:35], -v[38:39]
	v_add_f64 v[30:31], v[38:39], -v[30:31]
	;; [unrolled: 1-line block ×3, first 2 shown]
	s_delay_alu instid0(VALU_DEP_1) | instskip(NEXT) | instid1(VALU_DEP_1)
	v_add_f64 v[28:29], v[28:29], -v[38:39]
	v_add_f64 v[28:29], v[28:29], -v[34:35]
	s_delay_alu instid0(VALU_DEP_1) | instskip(SKIP_1) | instid1(VALU_DEP_2)
	v_add_f64 v[28:29], v[30:31], v[28:29]
	v_cvt_f64_i32_e32 v[30:31], v11
	v_add_f64 v[28:29], v[38:39], v[28:29]
	s_delay_alu instid0(VALU_DEP_1) | instskip(NEXT) | instid1(VALU_DEP_3)
	v_mul_f64 v[28:29], v[32:33], v[28:29]
	v_mul_f64 v[32:33], v[30:31], s[20:21]
	s_delay_alu instid0(VALU_DEP_1) | instskip(NEXT) | instid1(VALU_DEP_1)
	v_fma_f64 v[34:35], v[30:31], s[20:21], -v[32:33]
	v_fma_f64 v[30:31], v[30:31], s[22:23], v[34:35]
	s_delay_alu instid0(VALU_DEP_4) | instskip(NEXT) | instid1(VALU_DEP_1)
	v_add_f64 v[34:35], v[36:37], v[28:29]
	v_add_f64 v[36:37], v[34:35], -v[36:37]
	s_delay_alu instid0(VALU_DEP_1) | instskip(SKIP_1) | instid1(VALU_DEP_2)
	v_add_f64 v[28:29], v[28:29], -v[36:37]
	v_mul_f64 v[36:37], v[34:35], v[34:35]
	v_ldexp_f64 v[28:29], v[28:29], 1
	s_delay_alu instid0(VALU_DEP_2) | instskip(NEXT) | instid1(VALU_DEP_1)
	v_fma_f64 v[38:39], v[36:37], s[8:9], s[6:7]
	v_fma_f64 v[38:39], v[36:37], v[38:39], s[12:13]
	s_delay_alu instid0(VALU_DEP_1) | instskip(NEXT) | instid1(VALU_DEP_1)
	v_fma_f64 v[38:39], v[36:37], v[38:39], s[14:15]
	v_fma_f64 v[38:39], v[36:37], v[38:39], s[16:17]
	s_delay_alu instid0(VALU_DEP_1) | instskip(NEXT) | instid1(VALU_DEP_1)
	v_fma_f64 v[38:39], v[36:37], v[38:39], s[18:19]
	v_fma_f64 v[38:39], v[36:37], v[38:39], s[4:5]
	v_mul_f64 v[36:37], v[34:35], v[36:37]
	v_ldexp_f64 v[34:35], v[34:35], 1
	s_delay_alu instid0(VALU_DEP_2) | instskip(NEXT) | instid1(VALU_DEP_1)
	v_mul_f64 v[36:37], v[36:37], v[38:39]
	v_add_f64 v[38:39], v[34:35], v[36:37]
	s_delay_alu instid0(VALU_DEP_1) | instskip(NEXT) | instid1(VALU_DEP_1)
	v_add_f64 v[34:35], v[38:39], -v[34:35]
	v_add_f64 v[34:35], v[36:37], -v[34:35]
	s_delay_alu instid0(VALU_DEP_1) | instskip(SKIP_1) | instid1(VALU_DEP_1)
	v_add_f64 v[28:29], v[28:29], v[34:35]
	v_add_f64 v[34:35], v[32:33], v[30:31]
	v_add_f64 v[32:33], v[34:35], -v[32:33]
	s_delay_alu instid0(VALU_DEP_1) | instskip(NEXT) | instid1(VALU_DEP_4)
	v_add_f64 v[30:31], v[30:31], -v[32:33]
	v_add_f64 v[32:33], v[38:39], v[28:29]
	s_delay_alu instid0(VALU_DEP_1) | instskip(SKIP_1) | instid1(VALU_DEP_2)
	v_add_f64 v[36:37], v[32:33], -v[38:39]
	v_add_f64 v[38:39], v[34:35], v[32:33]
	v_add_f64 v[28:29], v[28:29], -v[36:37]
	s_delay_alu instid0(VALU_DEP_2) | instskip(NEXT) | instid1(VALU_DEP_1)
	v_add_f64 v[40:41], v[38:39], -v[34:35]
	v_add_f64 v[32:33], v[32:33], -v[40:41]
	;; [unrolled: 1-line block ×3, first 2 shown]
	s_delay_alu instid0(VALU_DEP_1) | instskip(NEXT) | instid1(VALU_DEP_1)
	v_add_f64 v[34:35], v[34:35], -v[40:41]
	v_add_f64 v[32:33], v[32:33], v[34:35]
	v_add_f64 v[34:35], v[30:31], v[28:29]
	s_delay_alu instid0(VALU_DEP_1) | instskip(NEXT) | instid1(VALU_DEP_3)
	v_add_f64 v[36:37], v[34:35], -v[30:31]
	v_add_f64 v[32:33], v[34:35], v[32:33]
	s_delay_alu instid0(VALU_DEP_2) | instskip(SKIP_1) | instid1(VALU_DEP_1)
	v_add_f64 v[28:29], v[28:29], -v[36:37]
	v_add_f64 v[36:37], v[34:35], -v[36:37]
	;; [unrolled: 1-line block ×3, first 2 shown]
	s_delay_alu instid0(VALU_DEP_1) | instskip(SKIP_1) | instid1(VALU_DEP_1)
	v_add_f64 v[28:29], v[28:29], v[30:31]
	v_add_f64 v[30:31], v[38:39], v[32:33]
	v_add_f64 v[34:35], v[30:31], -v[38:39]
	s_delay_alu instid0(VALU_DEP_1) | instskip(NEXT) | instid1(VALU_DEP_1)
	v_add_f64 v[32:33], v[32:33], -v[34:35]
	v_add_f64 v[28:29], v[28:29], v[32:33]
	s_delay_alu instid0(VALU_DEP_1) | instskip(NEXT) | instid1(VALU_DEP_1)
	v_add_f64 v[28:29], v[30:31], v[28:29]
	v_dual_cndmask_b32 v25, v29, v25 :: v_dual_cndmask_b32 v24, v28, v24
	v_mul_f64 v[28:29], v[26:27], v[26:27]
	v_cmp_neq_f64_e32 vcc_lo, 0, v[2:3]
	s_delay_alu instid0(VALU_DEP_3) | instskip(NEXT) | instid1(VALU_DEP_3)
	v_add_f64 v[24:25], v[24:25], -1.0
	v_fma_f64 v[30:31], v[28:29], s[60:61], s[58:59]
	s_mov_b32 s58, 0x8c0fe741
	s_mov_b32 s59, 0xbf4380cb
	;; [unrolled: 1-line block ×3, first 2 shown]
	s_delay_alu instid0(VALU_DEP_2) | instskip(NEXT) | instid1(VALU_DEP_3)
	v_cndmask_b32_e32 v25, 0xfff00000, v25, vcc_lo
	v_cndmask_b32_e32 v24, 0, v24, vcc_lo
	s_mov_b32 s61, 0x3f00bfec
	s_delay_alu instid0(VALU_DEP_3)
	v_fma_f64 v[30:31], v[28:29], v[30:31], s[58:59]
	s_mov_b32 s58, 0x98cf38b6
	s_mov_b32 s59, 0x3f4a019f
	s_delay_alu instid0(VALU_DEP_1) | instid1(SALU_CYCLE_1)
	v_fma_f64 v[30:31], v[28:29], v[30:31], s[58:59]
	s_mov_b32 s58, 0x16b02e5c
	s_mov_b32 s59, 0xbf66c16c
	s_delay_alu instid0(VALU_DEP_1) | instid1(SALU_CYCLE_1)
	;; [unrolled: 4-line block ×4, first 2 shown]
	v_fma_f64 v[26:27], v[26:27], v[28:29], s[58:59]
	v_add_f64 v[28:29], |v[2:3]|, -0.5
	s_mov_b32 s58, 0x7368f239
	s_mov_b32 s59, 0x3f5e26b6
	s_delay_alu instid0(VALU_DEP_1)
	v_fma_f64 v[24:25], v[28:29], v[24:25], v[26:27]
.LBB12_237:                             ;   in Loop: Header=BB12_162 Depth=1
	s_or_b32 exec_lo, exec_lo, s0
.LBB12_238:                             ;   in Loop: Header=BB12_162 Depth=1
	s_and_not1_saveexec_b32 s57, s1
	s_cbranch_execz .LBB12_240
; %bb.239:                              ;   in Loop: Header=BB12_162 Depth=1
	v_cvt_i32_f64_e32 v11, v[22:23]
	s_mov_b32 s0, 0x7e939961
	s_mov_b32 s1, 0x3f9b481c
	;; [unrolled: 1-line block ×4, first 2 shown]
	s_mov_b32 vcc_lo, s52
	s_mov_b32 s5, s51
	s_delay_alu instid0(VALU_DEP_1) | instskip(NEXT) | instid1(VALU_DEP_1)
	v_cvt_f64_i32_e32 v[24:25], v11
	v_add_f64 v[24:25], |v[2:3]|, -v[24:25]
	s_delay_alu instid0(VALU_DEP_1) | instskip(NEXT) | instid1(VALU_DEP_1)
	v_fma_f64 v[26:27], v[24:25], s[60:61], s[58:59]
	v_fma_f64 v[26:27], v[24:25], v[26:27], s[0:1]
	s_mov_b32 s0, 0xca41a95b
	s_mov_b32 s1, 0x3f497dda
	s_delay_alu instid0(SALU_CYCLE_1)
	v_fma_f64 v[28:29], v[24:25], s[62:63], s[0:1]
	s_mov_b32 s0, 0x742ed475
	s_mov_b32 s1, 0x3f9317ea
	s_delay_alu instid0(VALU_DEP_1) | instid1(SALU_CYCLE_1)
	v_fma_f64 v[28:29], v[24:25], v[28:29], s[0:1]
	s_mov_b32 s0, 0xbee5f2f7
	s_mov_b32 s1, 0x3fc2bb9c
	s_delay_alu instid0(VALU_DEP_3) | instid1(SALU_CYCLE_1)
	v_fma_f64 v[26:27], v[24:25], v[26:27], s[0:1]
	s_mov_b32 s0, 0xccfbdf27
	s_mov_b32 s1, 0x3fc601ed
	s_delay_alu instid0(VALU_DEP_2) | instid1(SALU_CYCLE_1)
	v_fma_f64 v[28:29], v[24:25], v[28:29], s[0:1]
	s_mov_b32 s0, 0x4f139f59
	s_mov_b32 s1, 0x3fd4d98f
	s_delay_alu instid0(VALU_DEP_2) | instid1(SALU_CYCLE_1)
	;; [unrolled: 4-line block ×4, first 2 shown]
	v_fma_f64 v[26:27], v[24:25], v[26:27], s[0:1]
	s_delay_alu instid0(VALU_DEP_2) | instskip(NEXT) | instid1(VALU_DEP_2)
	v_fma_f64 v[28:29], v[24:25], v[28:29], s[64:65]
	v_fma_f64 v[26:27], v[24:25], v[26:27], vcc
	s_delay_alu instid0(VALU_DEP_2) | instskip(NEXT) | instid1(VALU_DEP_2)
	v_fma_f64 v[28:29], v[24:25], v[28:29], 1.0
	v_mul_f64 v[26:27], v[24:25], v[26:27]
	s_delay_alu instid0(VALU_DEP_1) | instskip(NEXT) | instid1(VALU_DEP_1)
	v_div_scale_f64 v[30:31], null, v[28:29], v[28:29], v[26:27]
	v_rcp_f64_e32 v[32:33], v[30:31]
	s_waitcnt_depctr 0xfff
	v_fma_f64 v[34:35], -v[30:31], v[32:33], 1.0
	s_delay_alu instid0(VALU_DEP_1) | instskip(NEXT) | instid1(VALU_DEP_1)
	v_fma_f64 v[32:33], v[32:33], v[34:35], v[32:33]
	v_fma_f64 v[34:35], -v[30:31], v[32:33], 1.0
	s_delay_alu instid0(VALU_DEP_1) | instskip(SKIP_1) | instid1(VALU_DEP_1)
	v_fma_f64 v[32:33], v[32:33], v[34:35], v[32:33]
	v_div_scale_f64 v[34:35], vcc_lo, v[26:27], v[28:29], v[26:27]
	v_mul_f64 v[36:37], v[34:35], v[32:33]
	s_delay_alu instid0(VALU_DEP_1) | instskip(NEXT) | instid1(VALU_DEP_1)
	v_fma_f64 v[30:31], -v[30:31], v[36:37], v[34:35]
	v_div_fmas_f64 v[30:31], v[30:31], v[32:33], v[36:37]
	v_cmp_lt_i32_e32 vcc_lo, 2, v11
	s_delay_alu instid0(VALU_DEP_2) | instskip(SKIP_2) | instid1(VALU_DEP_2)
	v_div_fixup_f64 v[26:27], v[30:31], v[28:29], v[26:27]
	v_add_f64 v[28:29], v[24:25], 2.0
	v_add_f64 v[30:31], 0x40080000, v[24:25]
	v_cndmask_b32_e32 v29, 0x3ff00000, v29, vcc_lo
	s_delay_alu instid0(VALU_DEP_3) | instskip(SKIP_1) | instid1(VALU_DEP_4)
	v_cndmask_b32_e32 v28, 0, v28, vcc_lo
	v_cmp_lt_i32_e32 vcc_lo, 3, v11
	v_cndmask_b32_e32 v31, 0x3ff00000, v31, vcc_lo
	v_cndmask_b32_e32 v30, 0, v30, vcc_lo
	v_cmp_lt_i32_e32 vcc_lo, 4, v11
	s_delay_alu instid0(VALU_DEP_2) | instskip(SKIP_1) | instid1(VALU_DEP_1)
	v_mul_f64 v[28:29], v[28:29], v[30:31]
	v_add_f64 v[30:31], v[24:25], 4.0
	v_cndmask_b32_e32 v31, 0x3ff00000, v31, vcc_lo
	s_delay_alu instid0(VALU_DEP_2) | instskip(SKIP_1) | instid1(VALU_DEP_2)
	v_cndmask_b32_e32 v30, 0, v30, vcc_lo
	v_cmp_lt_i32_e32 vcc_lo, 5, v11
	v_mul_f64 v[28:29], v[30:31], v[28:29]
	v_add_f64 v[30:31], 0x40140000, v[24:25]
	s_delay_alu instid0(VALU_DEP_1) | instskip(NEXT) | instid1(VALU_DEP_2)
	v_cndmask_b32_e32 v31, 0x3ff00000, v31, vcc_lo
	v_cndmask_b32_e32 v30, 0, v30, vcc_lo
	v_cmp_lt_i32_e32 vcc_lo, 6, v11
	s_delay_alu instid0(VALU_DEP_2) | instskip(SKIP_2) | instid1(VALU_DEP_2)
	v_mul_f64 v[28:29], v[30:31], v[28:29]
	v_add_f64 v[30:31], 0x40180000, v[24:25]
	v_fma_f64 v[24:25], v[24:25], 0.5, v[26:27]
	v_cndmask_b32_e32 v31, 0x3ff00000, v31, vcc_lo
	s_delay_alu instid0(VALU_DEP_3) | instskip(NEXT) | instid1(VALU_DEP_1)
	v_cndmask_b32_e32 v30, 0, v30, vcc_lo
	v_mul_f64 v[28:29], v[30:31], v[28:29]
	s_delay_alu instid0(VALU_DEP_1) | instskip(SKIP_2) | instid1(VALU_DEP_3)
	v_frexp_mant_f64_e32 v[30:31], v[28:29]
	v_cmp_nge_f64_e64 s0, 0, v[28:29]
	v_cmp_neq_f64_e64 s1, 0, v[28:29]
	v_cmp_gt_f64_e32 vcc_lo, s[50:51], v[30:31]
	v_cndmask_b32_e64 v11, 0x3ff00000, 2.0, vcc_lo
	s_delay_alu instid0(VALU_DEP_1) | instskip(SKIP_1) | instid1(VALU_DEP_2)
	v_mul_f64 v[30:31], v[30:31], v[10:11]
	v_frexp_exp_i32_f64_e32 v11, v[28:29]
	v_add_f64 v[32:33], v[30:31], 1.0
	s_delay_alu instid0(VALU_DEP_2) | instskip(SKIP_1) | instid1(VALU_DEP_3)
	v_subrev_co_ci_u32_e32 v11, vcc_lo, 0, v11, vcc_lo
	v_cmp_class_f64_e64 vcc_lo, v[28:29], 0x204
	v_rcp_f64_e32 v[34:35], v[32:33]
	s_waitcnt_depctr 0xfff
	v_fma_f64 v[36:37], -v[32:33], v[34:35], 1.0
	s_delay_alu instid0(VALU_DEP_1) | instskip(NEXT) | instid1(VALU_DEP_1)
	v_fma_f64 v[34:35], v[36:37], v[34:35], v[34:35]
	v_fma_f64 v[36:37], -v[32:33], v[34:35], 1.0
	s_delay_alu instid0(VALU_DEP_1) | instskip(SKIP_1) | instid1(VALU_DEP_1)
	v_fma_f64 v[34:35], v[36:37], v[34:35], v[34:35]
	v_add_f64 v[36:37], v[32:33], -1.0
	v_add_f64 v[36:37], v[30:31], -v[36:37]
	v_add_f64 v[30:31], v[30:31], -1.0
	s_delay_alu instid0(VALU_DEP_1) | instskip(NEXT) | instid1(VALU_DEP_1)
	v_mul_f64 v[38:39], v[30:31], v[34:35]
	v_mul_f64 v[40:41], v[32:33], v[38:39]
	s_delay_alu instid0(VALU_DEP_1) | instskip(NEXT) | instid1(VALU_DEP_1)
	v_fma_f64 v[32:33], v[38:39], v[32:33], -v[40:41]
	v_fma_f64 v[32:33], v[38:39], v[36:37], v[32:33]
	s_delay_alu instid0(VALU_DEP_1) | instskip(NEXT) | instid1(VALU_DEP_1)
	v_add_f64 v[36:37], v[40:41], v[32:33]
	v_add_f64 v[40:41], v[36:37], -v[40:41]
	s_delay_alu instid0(VALU_DEP_1) | instskip(SKIP_1) | instid1(VALU_DEP_1)
	v_add_f64 v[32:33], v[40:41], -v[32:33]
	v_add_f64 v[40:41], v[30:31], -v[36:37]
	;; [unrolled: 1-line block ×3, first 2 shown]
	s_delay_alu instid0(VALU_DEP_1) | instskip(NEXT) | instid1(VALU_DEP_1)
	v_add_f64 v[30:31], v[30:31], -v[36:37]
	v_add_f64 v[30:31], v[32:33], v[30:31]
	v_cvt_f64_i32_e32 v[32:33], v11
	s_delay_alu instid0(VALU_DEP_2) | instskip(NEXT) | instid1(VALU_DEP_1)
	v_add_f64 v[30:31], v[40:41], v[30:31]
	v_mul_f64 v[30:31], v[34:35], v[30:31]
	s_delay_alu instid0(VALU_DEP_3) | instskip(NEXT) | instid1(VALU_DEP_1)
	v_mul_f64 v[34:35], v[32:33], s[20:21]
	v_fma_f64 v[36:37], v[32:33], s[20:21], -v[34:35]
	s_delay_alu instid0(VALU_DEP_1) | instskip(NEXT) | instid1(VALU_DEP_4)
	v_fma_f64 v[32:33], v[32:33], s[22:23], v[36:37]
	v_add_f64 v[36:37], v[38:39], v[30:31]
	s_delay_alu instid0(VALU_DEP_1) | instskip(NEXT) | instid1(VALU_DEP_1)
	v_add_f64 v[38:39], v[36:37], -v[38:39]
	v_add_f64 v[30:31], v[30:31], -v[38:39]
	v_mul_f64 v[38:39], v[36:37], v[36:37]
	s_delay_alu instid0(VALU_DEP_2) | instskip(NEXT) | instid1(VALU_DEP_2)
	v_ldexp_f64 v[30:31], v[30:31], 1
	v_fma_f64 v[40:41], v[38:39], s[8:9], s[6:7]
	s_delay_alu instid0(VALU_DEP_1) | instskip(NEXT) | instid1(VALU_DEP_1)
	v_fma_f64 v[40:41], v[38:39], v[40:41], s[12:13]
	v_fma_f64 v[40:41], v[38:39], v[40:41], s[14:15]
	s_delay_alu instid0(VALU_DEP_1) | instskip(NEXT) | instid1(VALU_DEP_1)
	v_fma_f64 v[40:41], v[38:39], v[40:41], s[16:17]
	v_fma_f64 v[40:41], v[38:39], v[40:41], s[18:19]
	s_delay_alu instid0(VALU_DEP_1) | instskip(SKIP_2) | instid1(VALU_DEP_2)
	v_fma_f64 v[40:41], v[38:39], v[40:41], s[4:5]
	v_mul_f64 v[38:39], v[36:37], v[38:39]
	v_ldexp_f64 v[36:37], v[36:37], 1
	v_mul_f64 v[38:39], v[38:39], v[40:41]
	s_delay_alu instid0(VALU_DEP_1) | instskip(NEXT) | instid1(VALU_DEP_1)
	v_add_f64 v[40:41], v[36:37], v[38:39]
	v_add_f64 v[36:37], v[40:41], -v[36:37]
	s_delay_alu instid0(VALU_DEP_1) | instskip(NEXT) | instid1(VALU_DEP_1)
	v_add_f64 v[36:37], v[38:39], -v[36:37]
	v_add_f64 v[30:31], v[30:31], v[36:37]
	v_add_f64 v[36:37], v[34:35], v[32:33]
	s_delay_alu instid0(VALU_DEP_1) | instskip(NEXT) | instid1(VALU_DEP_1)
	v_add_f64 v[34:35], v[36:37], -v[34:35]
	v_add_f64 v[32:33], v[32:33], -v[34:35]
	s_delay_alu instid0(VALU_DEP_4) | instskip(NEXT) | instid1(VALU_DEP_1)
	v_add_f64 v[34:35], v[40:41], v[30:31]
	v_add_f64 v[38:39], v[34:35], -v[40:41]
	v_add_f64 v[40:41], v[36:37], v[34:35]
	s_delay_alu instid0(VALU_DEP_2) | instskip(NEXT) | instid1(VALU_DEP_2)
	v_add_f64 v[30:31], v[30:31], -v[38:39]
	v_add_f64 v[42:43], v[40:41], -v[36:37]
	s_delay_alu instid0(VALU_DEP_1) | instskip(SKIP_1) | instid1(VALU_DEP_1)
	v_add_f64 v[34:35], v[34:35], -v[42:43]
	v_add_f64 v[42:43], v[40:41], -v[42:43]
	;; [unrolled: 1-line block ×3, first 2 shown]
	s_delay_alu instid0(VALU_DEP_1) | instskip(SKIP_1) | instid1(VALU_DEP_1)
	v_add_f64 v[34:35], v[34:35], v[36:37]
	v_add_f64 v[36:37], v[32:33], v[30:31]
	v_add_f64 v[38:39], v[36:37], -v[32:33]
	s_delay_alu instid0(VALU_DEP_3) | instskip(NEXT) | instid1(VALU_DEP_2)
	v_add_f64 v[34:35], v[36:37], v[34:35]
	v_add_f64 v[30:31], v[30:31], -v[38:39]
	v_add_f64 v[38:39], v[36:37], -v[38:39]
	s_delay_alu instid0(VALU_DEP_1) | instskip(NEXT) | instid1(VALU_DEP_1)
	v_add_f64 v[32:33], v[32:33], -v[38:39]
	v_add_f64 v[30:31], v[30:31], v[32:33]
	v_add_f64 v[32:33], v[40:41], v[34:35]
	s_delay_alu instid0(VALU_DEP_1) | instskip(NEXT) | instid1(VALU_DEP_1)
	v_add_f64 v[36:37], v[32:33], -v[40:41]
	v_add_f64 v[34:35], v[34:35], -v[36:37]
	s_delay_alu instid0(VALU_DEP_1) | instskip(NEXT) | instid1(VALU_DEP_1)
	v_add_f64 v[30:31], v[30:31], v[34:35]
	v_add_f64 v[30:31], v[32:33], v[30:31]
	s_delay_alu instid0(VALU_DEP_1) | instskip(SKIP_1) | instid1(VALU_DEP_2)
	v_dual_cndmask_b32 v11, v30, v28 :: v_dual_cndmask_b32 v14, v31, v29
	v_cmp_ngt_f64_e32 vcc_lo, 0, v[28:29]
	v_cndmask_b32_e64 v26, 0, v11, s0
	s_delay_alu instid0(VALU_DEP_3) | instskip(NEXT) | instid1(VALU_DEP_1)
	v_cndmask_b32_e32 v14, 0x7ff80000, v14, vcc_lo
	v_cndmask_b32_e64 v27, 0xfff00000, v14, s1
	s_delay_alu instid0(VALU_DEP_1)
	v_add_f64 v[24:25], v[24:25], v[26:27]
.LBB12_240:                             ;   in Loop: Header=BB12_162 Depth=1
	s_or_b32 exec_lo, exec_lo, s57
.LBB12_241:                             ;   in Loop: Header=BB12_162 Depth=1
	s_and_not1_saveexec_b32 s56, s56
	s_cbranch_execz .LBB12_255
; %bb.242:                              ;   in Loop: Header=BB12_162 Depth=1
	s_mov_b32 s5, exec_lo
                                        ; implicit-def: $sgpr0_sgpr1
                                        ; implicit-def: $vgpr11
                                        ; implicit-def: $vgpr26_vgpr27
	v_cmpx_lt_u32_e32 0x3feccccc, v23
	s_xor_b32 s5, exec_lo, s5
; %bb.243:                              ;   in Loop: Header=BB12_162 Depth=1
	v_add_f64 v[24:25], -|v[2:3]|, 2.0
	v_add_f64 v[26:27], |v[2:3]|, s[66:67]
	v_add_f64 v[28:29], |v[2:3]|, -1.0
	v_cmp_gt_u32_e32 vcc_lo, 0x3ffbb4c3, v23
	v_cmp_gt_u32_e64 s0, 0x3ff3b4c4, v23
	v_cndmask_b32_e64 v18, 0, 1, vcc_lo
	v_dual_cndmask_b32 v11, v25, v27 :: v_dual_cndmask_b32 v14, v24, v26
	s_delay_alu instid0(VALU_DEP_1) | instskip(NEXT) | instid1(VALU_DEP_2)
	v_cndmask_b32_e64 v27, v11, v29, s0
	v_cndmask_b32_e64 v26, v14, v28, s0
	s_delay_alu instid0(VALU_DEP_4)
	v_cndmask_b32_e64 v11, v18, 2, s0
	s_mov_b64 s[0:1], 0
; %bb.244:                              ;   in Loop: Header=BB12_162 Depth=1
	s_or_saveexec_b32 s57, s5
	v_dual_mov_b32 v25, s1 :: v_dual_mov_b32 v24, s0
	s_xor_b32 exec_lo, exec_lo, s57
	s_cbranch_execz .LBB12_246
; %bb.245:                              ;   in Loop: Header=BB12_162 Depth=1
	v_add_f64 v[24:25], -|v[2:3]|, 1.0
	v_add_f64 v[26:27], |v[2:3]|, s[68:69]
	v_cmp_gt_u32_e32 vcc_lo, 0x3fe76944, v23
	s_mov_b32 s5, s51
	v_cmp_gt_u32_e64 s1, 0x3fcda661, v23
	s_delay_alu instid0(VALU_DEP_3) | instskip(NEXT) | instid1(VALU_DEP_4)
	v_cndmask_b32_e32 v14, v24, v26, vcc_lo
	v_cndmask_b32_e32 v18, v25, v27, vcc_lo
	v_frexp_mant_f64_e64 v[24:25], |v[2:3]|
	s_delay_alu instid0(VALU_DEP_1) | instskip(NEXT) | instid1(VALU_DEP_1)
	v_cmp_gt_f64_e64 s0, s[50:51], v[24:25]
	v_cndmask_b32_e64 v11, 0x3ff00000, 2.0, s0
	s_delay_alu instid0(VALU_DEP_1) | instskip(SKIP_1) | instid1(VALU_DEP_2)
	v_mul_f64 v[24:25], v[24:25], v[10:11]
	v_frexp_exp_i32_f64_e32 v11, v[2:3]
	v_add_f64 v[26:27], v[24:25], 1.0
	s_delay_alu instid0(VALU_DEP_2) | instskip(SKIP_1) | instid1(VALU_DEP_3)
	v_subrev_co_ci_u32_e64 v11, s0, 0, v11, s0
	v_cmp_class_f64_e64 s0, v[2:3], 0x204
	v_rcp_f64_e32 v[28:29], v[26:27]
	s_waitcnt_depctr 0xfff
	v_fma_f64 v[30:31], -v[26:27], v[28:29], 1.0
	s_delay_alu instid0(VALU_DEP_1) | instskip(NEXT) | instid1(VALU_DEP_1)
	v_fma_f64 v[28:29], v[30:31], v[28:29], v[28:29]
	v_fma_f64 v[30:31], -v[26:27], v[28:29], 1.0
	s_delay_alu instid0(VALU_DEP_1) | instskip(SKIP_1) | instid1(VALU_DEP_1)
	v_fma_f64 v[28:29], v[30:31], v[28:29], v[28:29]
	v_add_f64 v[30:31], v[26:27], -1.0
	v_add_f64 v[30:31], v[24:25], -v[30:31]
	v_add_f64 v[24:25], v[24:25], -1.0
	s_delay_alu instid0(VALU_DEP_1) | instskip(NEXT) | instid1(VALU_DEP_1)
	v_mul_f64 v[32:33], v[24:25], v[28:29]
	v_mul_f64 v[34:35], v[26:27], v[32:33]
	s_delay_alu instid0(VALU_DEP_1) | instskip(NEXT) | instid1(VALU_DEP_1)
	v_fma_f64 v[26:27], v[32:33], v[26:27], -v[34:35]
	v_fma_f64 v[26:27], v[32:33], v[30:31], v[26:27]
	s_delay_alu instid0(VALU_DEP_1) | instskip(NEXT) | instid1(VALU_DEP_1)
	v_add_f64 v[30:31], v[34:35], v[26:27]
	v_add_f64 v[34:35], v[30:31], -v[34:35]
	s_delay_alu instid0(VALU_DEP_1) | instskip(SKIP_1) | instid1(VALU_DEP_1)
	v_add_f64 v[26:27], v[34:35], -v[26:27]
	v_add_f64 v[34:35], v[24:25], -v[30:31]
	v_add_f64 v[24:25], v[24:25], -v[34:35]
	s_delay_alu instid0(VALU_DEP_1) | instskip(NEXT) | instid1(VALU_DEP_1)
	v_add_f64 v[24:25], v[24:25], -v[30:31]
	v_add_f64 v[24:25], v[26:27], v[24:25]
	v_cvt_f64_i32_e32 v[26:27], v11
	v_and_b32_e32 v11, 0x7fffffff, v3
	s_delay_alu instid0(VALU_DEP_3) | instskip(NEXT) | instid1(VALU_DEP_1)
	v_add_f64 v[24:25], v[34:35], v[24:25]
	v_mul_f64 v[24:25], v[28:29], v[24:25]
	s_delay_alu instid0(VALU_DEP_4) | instskip(NEXT) | instid1(VALU_DEP_1)
	v_mul_f64 v[28:29], v[26:27], s[20:21]
	v_fma_f64 v[30:31], v[26:27], s[20:21], -v[28:29]
	s_delay_alu instid0(VALU_DEP_1) | instskip(NEXT) | instid1(VALU_DEP_4)
	v_fma_f64 v[26:27], v[26:27], s[22:23], v[30:31]
	v_add_f64 v[30:31], v[32:33], v[24:25]
	s_delay_alu instid0(VALU_DEP_1) | instskip(NEXT) | instid1(VALU_DEP_1)
	v_add_f64 v[32:33], v[30:31], -v[32:33]
	v_add_f64 v[24:25], v[24:25], -v[32:33]
	v_mul_f64 v[32:33], v[30:31], v[30:31]
	s_delay_alu instid0(VALU_DEP_2) | instskip(NEXT) | instid1(VALU_DEP_2)
	v_ldexp_f64 v[24:25], v[24:25], 1
	v_fma_f64 v[34:35], v[32:33], s[8:9], s[6:7]
	s_delay_alu instid0(VALU_DEP_1) | instskip(NEXT) | instid1(VALU_DEP_1)
	v_fma_f64 v[34:35], v[32:33], v[34:35], s[12:13]
	v_fma_f64 v[34:35], v[32:33], v[34:35], s[14:15]
	s_delay_alu instid0(VALU_DEP_1) | instskip(NEXT) | instid1(VALU_DEP_1)
	v_fma_f64 v[34:35], v[32:33], v[34:35], s[16:17]
	v_fma_f64 v[34:35], v[32:33], v[34:35], s[18:19]
	s_delay_alu instid0(VALU_DEP_1) | instskip(SKIP_2) | instid1(VALU_DEP_2)
	v_fma_f64 v[34:35], v[32:33], v[34:35], s[4:5]
	v_mul_f64 v[32:33], v[30:31], v[32:33]
	v_ldexp_f64 v[30:31], v[30:31], 1
	v_mul_f64 v[32:33], v[32:33], v[34:35]
	s_delay_alu instid0(VALU_DEP_1) | instskip(NEXT) | instid1(VALU_DEP_1)
	v_add_f64 v[34:35], v[30:31], v[32:33]
	v_add_f64 v[30:31], v[34:35], -v[30:31]
	s_delay_alu instid0(VALU_DEP_1) | instskip(NEXT) | instid1(VALU_DEP_1)
	v_add_f64 v[30:31], v[32:33], -v[30:31]
	v_add_f64 v[24:25], v[24:25], v[30:31]
	v_add_f64 v[30:31], v[28:29], v[26:27]
	s_delay_alu instid0(VALU_DEP_1) | instskip(NEXT) | instid1(VALU_DEP_1)
	v_add_f64 v[28:29], v[30:31], -v[28:29]
	v_add_f64 v[26:27], v[26:27], -v[28:29]
	s_delay_alu instid0(VALU_DEP_4) | instskip(NEXT) | instid1(VALU_DEP_1)
	v_add_f64 v[28:29], v[34:35], v[24:25]
	v_add_f64 v[32:33], v[28:29], -v[34:35]
	v_add_f64 v[34:35], v[30:31], v[28:29]
	s_delay_alu instid0(VALU_DEP_2) | instskip(NEXT) | instid1(VALU_DEP_2)
	v_add_f64 v[24:25], v[24:25], -v[32:33]
	v_add_f64 v[36:37], v[34:35], -v[30:31]
	s_delay_alu instid0(VALU_DEP_1) | instskip(SKIP_1) | instid1(VALU_DEP_1)
	v_add_f64 v[28:29], v[28:29], -v[36:37]
	v_add_f64 v[36:37], v[34:35], -v[36:37]
	;; [unrolled: 1-line block ×3, first 2 shown]
	s_delay_alu instid0(VALU_DEP_1) | instskip(SKIP_1) | instid1(VALU_DEP_1)
	v_add_f64 v[28:29], v[28:29], v[30:31]
	v_add_f64 v[30:31], v[26:27], v[24:25]
	v_add_f64 v[32:33], v[30:31], -v[26:27]
	s_delay_alu instid0(VALU_DEP_3) | instskip(NEXT) | instid1(VALU_DEP_2)
	v_add_f64 v[28:29], v[30:31], v[28:29]
	v_add_f64 v[24:25], v[24:25], -v[32:33]
	v_add_f64 v[32:33], v[30:31], -v[32:33]
	s_delay_alu instid0(VALU_DEP_1) | instskip(NEXT) | instid1(VALU_DEP_1)
	v_add_f64 v[26:27], v[26:27], -v[32:33]
	v_add_f64 v[24:25], v[24:25], v[26:27]
	v_add_f64 v[26:27], v[34:35], v[28:29]
	s_delay_alu instid0(VALU_DEP_1) | instskip(NEXT) | instid1(VALU_DEP_1)
	v_add_f64 v[30:31], v[26:27], -v[34:35]
	v_add_f64 v[28:29], v[28:29], -v[30:31]
	s_delay_alu instid0(VALU_DEP_1) | instskip(NEXT) | instid1(VALU_DEP_1)
	v_add_f64 v[24:25], v[24:25], v[28:29]
	v_add_f64 v[24:25], v[26:27], v[24:25]
	v_cndmask_b32_e64 v27, v18, v11, s1
	v_cndmask_b32_e64 v26, v14, v2, s1
	s_delay_alu instid0(VALU_DEP_3) | instskip(NEXT) | instid1(VALU_DEP_4)
	v_cndmask_b32_e64 v22, v24, v2, s0
	v_cndmask_b32_e64 v24, -v25, -v11, s0
	v_cmp_neq_f64_e64 s0, 0, v[2:3]
	v_cndmask_b32_e64 v11, 0, 1, vcc_lo
	s_delay_alu instid0(VALU_DEP_1) | instskip(NEXT) | instid1(VALU_DEP_3)
	v_cndmask_b32_e64 v11, v11, 2, s1
	v_cndmask_b32_e64 v25, 0x7ff00000, v24, s0
	;; [unrolled: 1-line block ×3, first 2 shown]
.LBB12_246:                             ;   in Loop: Header=BB12_162 Depth=1
	s_or_b32 exec_lo, exec_lo, s57
	s_delay_alu instid0(SALU_CYCLE_1)
	s_mov_b32 s0, exec_lo
                                        ; implicit-def: $vgpr30_vgpr31
	v_cmpx_lt_i32_e32 1, v11
	s_xor_b32 s0, exec_lo, s0
	s_cbranch_execz .LBB12_248
; %bb.247:                              ;   in Loop: Header=BB12_162 Depth=1
	v_fma_f64 v[28:29], v[26:27], s[72:73], s[70:71]
	v_fma_f64 v[30:31], v[26:27], s[82:83], s[80:81]
	s_mov_b32 vcc_lo, s52
                                        ; implicit-def: $vgpr11
	s_delay_alu instid0(VALU_DEP_2) | instskip(NEXT) | instid1(VALU_DEP_2)
	v_fma_f64 v[28:29], v[26:27], v[28:29], s[74:75]
	v_fma_f64 v[30:31], v[26:27], v[30:31], s[84:85]
	s_delay_alu instid0(VALU_DEP_2) | instskip(NEXT) | instid1(VALU_DEP_2)
	v_fma_f64 v[28:29], v[26:27], v[28:29], s[76:77]
	v_fma_f64 v[30:31], v[26:27], v[30:31], s[86:87]
	;; [unrolled: 3-line block ×3, first 2 shown]
	s_delay_alu instid0(VALU_DEP_2) | instskip(NEXT) | instid1(VALU_DEP_2)
	v_fma_f64 v[28:29], v[26:27], v[28:29], vcc
	v_fma_f64 v[30:31], v[26:27], v[30:31], 1.0
	s_delay_alu instid0(VALU_DEP_2) | instskip(NEXT) | instid1(VALU_DEP_1)
	v_mul_f64 v[28:29], v[26:27], v[28:29]
	v_div_scale_f64 v[32:33], null, v[30:31], v[30:31], v[28:29]
	s_delay_alu instid0(VALU_DEP_1) | instskip(SKIP_2) | instid1(VALU_DEP_1)
	v_rcp_f64_e32 v[34:35], v[32:33]
	s_waitcnt_depctr 0xfff
	v_fma_f64 v[36:37], -v[32:33], v[34:35], 1.0
	v_fma_f64 v[34:35], v[34:35], v[36:37], v[34:35]
	s_delay_alu instid0(VALU_DEP_1) | instskip(NEXT) | instid1(VALU_DEP_1)
	v_fma_f64 v[36:37], -v[32:33], v[34:35], 1.0
	v_fma_f64 v[34:35], v[34:35], v[36:37], v[34:35]
	v_div_scale_f64 v[36:37], vcc_lo, v[28:29], v[30:31], v[28:29]
	s_delay_alu instid0(VALU_DEP_1) | instskip(NEXT) | instid1(VALU_DEP_1)
	v_mul_f64 v[38:39], v[36:37], v[34:35]
	v_fma_f64 v[32:33], -v[32:33], v[38:39], v[36:37]
	s_delay_alu instid0(VALU_DEP_1) | instskip(NEXT) | instid1(VALU_DEP_1)
	v_div_fmas_f64 v[32:33], v[32:33], v[34:35], v[38:39]
	v_div_fixup_f64 v[28:29], v[32:33], v[30:31], v[28:29]
	s_delay_alu instid0(VALU_DEP_1)
	v_fma_f64 v[30:31], v[26:27], -0.5, v[28:29]
                                        ; implicit-def: $vgpr26_vgpr27
.LBB12_248:                             ;   in Loop: Header=BB12_162 Depth=1
	s_and_not1_saveexec_b32 s0, s0
	s_cbranch_execz .LBB12_254
; %bb.249:                              ;   in Loop: Header=BB12_162 Depth=1
	v_mul_f64 v[28:29], v[26:27], v[26:27]
	s_mov_b32 s1, exec_lo
                                        ; implicit-def: $vgpr30_vgpr31
	v_cmpx_ne_u32_e32 1, v11
	s_xor_b32 s1, exec_lo, s1
	s_cbranch_execz .LBB12_251
; %bb.250:                              ;   in Loop: Header=BB12_162 Depth=1
	s_mov_b32 s62, 0x987dfb07
	s_mov_b32 s64, 0x90a45837
	;; [unrolled: 1-line block ×4, first 2 shown]
	s_delay_alu instid0(VALU_DEP_2) | instid1(SALU_CYCLE_1)
	v_fma_f64 v[30:31], v[28:29], s[64:65], s[62:63]
	s_mov_b32 s62, 0xed10e54d
	s_mov_b32 s64, 0x428cfa52
	;; [unrolled: 1-line block ×4, first 2 shown]
	s_delay_alu instid0(SALU_CYCLE_1) | instskip(SKIP_4) | instid1(VALU_DEP_2)
	v_fma_f64 v[32:33], v[28:29], s[64:65], s[62:63]
	s_mov_b32 s62, 0x89b99c00
	s_mov_b32 s63, 0x3f40b6c6
	;; [unrolled: 1-line block ×4, first 2 shown]
	v_fma_f64 v[30:31], v[28:29], v[30:31], s[62:63]
	s_mov_b32 s62, 0x116f3f5d
	s_mov_b32 s63, 0x3f538a94
	s_delay_alu instid0(VALU_DEP_2) | instid1(SALU_CYCLE_1)
	v_fma_f64 v[32:33], v[28:29], v[32:33], s[62:63]
	s_mov_b32 s62, 0xccb7926b
	s_mov_b32 s63, 0x3f67add8
	s_delay_alu instid0(VALU_DEP_2) | instid1(SALU_CYCLE_1)
	;; [unrolled: 4-line block ×6, first 2 shown]
	v_fma_f64 v[30:31], v[28:29], v[30:31], s[62:63]
	s_delay_alu instid0(VALU_DEP_2) | instskip(NEXT) | instid1(VALU_DEP_2)
	v_fma_f64 v[32:33], v[28:29], v[32:33], s[52:53]
	v_mul_f64 v[28:29], v[28:29], v[30:31]
	s_delay_alu instid0(VALU_DEP_1) | instskip(NEXT) | instid1(VALU_DEP_1)
	v_fma_f64 v[28:29], v[26:27], v[32:33], v[28:29]
	v_fma_f64 v[30:31], v[26:27], -0.5, v[28:29]
                                        ; implicit-def: $vgpr26_vgpr27
                                        ; implicit-def: $vgpr28_vgpr29
.LBB12_251:                             ;   in Loop: Header=BB12_162 Depth=1
	s_and_not1_saveexec_b32 s1, s1
	s_cbranch_execz .LBB12_253
; %bb.252:                              ;   in Loop: Header=BB12_162 Depth=1
	s_delay_alu instid0(VALU_DEP_2)
	v_mul_f64 v[30:31], v[26:27], v[28:29]
	s_mov_b32 s62, 0xef61a8e9
	s_mov_b32 s66, 0xecc38c38
	;; [unrolled: 1-line block ×4, first 2 shown]
	s_delay_alu instid0(VALU_DEP_1) | instid1(SALU_CYCLE_1)
	v_fma_f64 v[32:33], v[30:31], s[66:67], s[62:63]
	s_mov_b32 s62, 0x9c73e0ec
	s_mov_b32 s66, 0xe8c2d3f4
	;; [unrolled: 1-line block ×4, first 2 shown]
	s_delay_alu instid0(SALU_CYCLE_1) | instskip(SKIP_4) | instid1(VALU_DEP_2)
	v_fma_f64 v[34:35], v[30:31], s[66:67], s[62:63]
	s_mov_b32 s62, 0xb3e914d7
	s_mov_b32 s63, 0xbf6e2eff
	;; [unrolled: 1-line block ×4, first 2 shown]
	v_fma_f64 v[32:33], v[30:31], v[32:33], s[62:63]
	s_mov_b32 s62, 0x2e15c915
	s_mov_b32 s63, 0x3f6282d3
	s_delay_alu instid0(VALU_DEP_2) | instid1(SALU_CYCLE_1)
	v_fma_f64 v[34:35], v[30:31], v[34:35], s[62:63]
	s_mov_b32 s62, 0xbf2d1af1
	s_mov_b32 s63, 0xbf56fe8e
	s_delay_alu instid0(SALU_CYCLE_1) | instskip(SKIP_4) | instid1(VALU_DEP_3)
	v_fma_f64 v[36:37], v[30:31], s[66:67], s[62:63]
	s_mov_b32 s62, 0x970af9ec
	s_mov_b32 s63, 0x3f9266e7
	;; [unrolled: 1-line block ×4, first 2 shown]
	v_fma_f64 v[32:33], v[30:31], v[32:33], s[62:63]
	s_mov_b32 s62, 0xba91ec6a
	s_mov_b32 s63, 0xbf851f9f
	s_delay_alu instid0(VALU_DEP_3) | instid1(SALU_CYCLE_1)
	v_fma_f64 v[34:35], v[30:31], v[34:35], s[62:63]
	s_mov_b32 s62, 0xe370e344
	s_mov_b32 s63, 0x3f78fce0
	s_delay_alu instid0(VALU_DEP_3) | instid1(SALU_CYCLE_1)
	;; [unrolled: 4-line block ×5, first 2 shown]
	v_fma_f64 v[36:37], v[30:31], v[36:37], s[62:63]
	s_mov_b32 s62, 0xc8ee38a2
	s_mov_b32 s63, 0x3fdef72b
	s_delay_alu instid0(VALU_DEP_2) | instskip(NEXT) | instid1(VALU_DEP_2)
	v_fma_f64 v[26:27], v[26:27], v[34:35], v[32:33]
	v_fma_f64 v[32:33], v[30:31], v[36:37], s[62:63]
	s_mov_b32 s62, 0xa48a971f
	s_mov_b32 s63, 0xbc50c7ca
	s_delay_alu instid0(VALU_DEP_2) | instid1(SALU_CYCLE_1)
	v_fma_f64 v[26:27], v[30:31], -v[26:27], s[62:63]
	s_mov_b32 s62, 0xbcc38a42
	s_mov_b32 s63, 0xbfbf19b9
	s_delay_alu instid0(VALU_DEP_1) | instskip(NEXT) | instid1(VALU_DEP_1)
	v_fma_f64 v[26:27], v[28:29], v[32:33], -v[26:27]
	v_add_f64 v[30:31], v[26:27], s[62:63]
.LBB12_253:                             ;   in Loop: Header=BB12_162 Depth=1
	s_or_b32 exec_lo, exec_lo, s1
.LBB12_254:                             ;   in Loop: Header=BB12_162 Depth=1
	s_delay_alu instid0(SALU_CYCLE_1) | instskip(NEXT) | instid1(VALU_DEP_1)
	s_or_b32 exec_lo, exec_lo, s0
	v_add_f64 v[24:25], v[24:25], v[30:31]
.LBB12_255:                             ;   in Loop: Header=BB12_162 Depth=1
	s_or_b32 exec_lo, exec_lo, s56
.LBB12_256:                             ;   in Loop: Header=BB12_162 Depth=1
	s_and_not1_saveexec_b32 s1, s55
	s_cbranch_execz .LBB12_258
; %bb.257:                              ;   in Loop: Header=BB12_162 Depth=1
	v_frexp_mant_f64_e64 v[24:25], |v[2:3]|
	s_mov_b32 s5, s51
	v_cmp_neq_f64_e64 s0, 0, v[2:3]
	s_delay_alu instid0(VALU_DEP_2) | instskip(SKIP_1) | instid1(VALU_DEP_1)
	v_cmp_gt_f64_e32 vcc_lo, s[50:51], v[24:25]
	v_cndmask_b32_e64 v11, 0x3ff00000, 2.0, vcc_lo
	v_mul_f64 v[24:25], v[24:25], v[10:11]
	v_frexp_exp_i32_f64_e32 v11, v[2:3]
	s_delay_alu instid0(VALU_DEP_2) | instskip(NEXT) | instid1(VALU_DEP_2)
	v_add_f64 v[26:27], v[24:25], 1.0
	v_subrev_co_ci_u32_e32 v11, vcc_lo, 0, v11, vcc_lo
	v_cmp_class_f64_e64 vcc_lo, v[2:3], 0x204
	s_delay_alu instid0(VALU_DEP_3) | instskip(SKIP_2) | instid1(VALU_DEP_1)
	v_rcp_f64_e32 v[28:29], v[26:27]
	s_waitcnt_depctr 0xfff
	v_fma_f64 v[30:31], -v[26:27], v[28:29], 1.0
	v_fma_f64 v[28:29], v[30:31], v[28:29], v[28:29]
	s_delay_alu instid0(VALU_DEP_1) | instskip(NEXT) | instid1(VALU_DEP_1)
	v_fma_f64 v[30:31], -v[26:27], v[28:29], 1.0
	v_fma_f64 v[28:29], v[30:31], v[28:29], v[28:29]
	v_add_f64 v[30:31], v[26:27], -1.0
	s_delay_alu instid0(VALU_DEP_1) | instskip(SKIP_1) | instid1(VALU_DEP_1)
	v_add_f64 v[30:31], v[24:25], -v[30:31]
	v_add_f64 v[24:25], v[24:25], -1.0
	v_mul_f64 v[32:33], v[24:25], v[28:29]
	s_delay_alu instid0(VALU_DEP_1) | instskip(NEXT) | instid1(VALU_DEP_1)
	v_mul_f64 v[34:35], v[26:27], v[32:33]
	v_fma_f64 v[26:27], v[32:33], v[26:27], -v[34:35]
	s_delay_alu instid0(VALU_DEP_1) | instskip(NEXT) | instid1(VALU_DEP_1)
	v_fma_f64 v[26:27], v[32:33], v[30:31], v[26:27]
	v_add_f64 v[30:31], v[34:35], v[26:27]
	s_delay_alu instid0(VALU_DEP_1) | instskip(NEXT) | instid1(VALU_DEP_1)
	v_add_f64 v[34:35], v[30:31], -v[34:35]
	v_add_f64 v[26:27], v[34:35], -v[26:27]
	;; [unrolled: 1-line block ×3, first 2 shown]
	s_delay_alu instid0(VALU_DEP_1) | instskip(NEXT) | instid1(VALU_DEP_1)
	v_add_f64 v[24:25], v[24:25], -v[34:35]
	v_add_f64 v[24:25], v[24:25], -v[30:31]
	s_delay_alu instid0(VALU_DEP_1) | instskip(SKIP_1) | instid1(VALU_DEP_2)
	v_add_f64 v[24:25], v[26:27], v[24:25]
	v_cvt_f64_i32_e32 v[26:27], v11
	v_add_f64 v[24:25], v[34:35], v[24:25]
	s_delay_alu instid0(VALU_DEP_1) | instskip(NEXT) | instid1(VALU_DEP_3)
	v_mul_f64 v[24:25], v[28:29], v[24:25]
	v_mul_f64 v[28:29], v[26:27], s[20:21]
	s_delay_alu instid0(VALU_DEP_1) | instskip(NEXT) | instid1(VALU_DEP_1)
	v_fma_f64 v[30:31], v[26:27], s[20:21], -v[28:29]
	v_fma_f64 v[26:27], v[26:27], s[22:23], v[30:31]
	s_delay_alu instid0(VALU_DEP_4) | instskip(NEXT) | instid1(VALU_DEP_1)
	v_add_f64 v[30:31], v[32:33], v[24:25]
	v_add_f64 v[32:33], v[30:31], -v[32:33]
	s_delay_alu instid0(VALU_DEP_1) | instskip(SKIP_1) | instid1(VALU_DEP_2)
	v_add_f64 v[24:25], v[24:25], -v[32:33]
	v_mul_f64 v[32:33], v[30:31], v[30:31]
	v_ldexp_f64 v[24:25], v[24:25], 1
	s_delay_alu instid0(VALU_DEP_2) | instskip(NEXT) | instid1(VALU_DEP_1)
	v_fma_f64 v[34:35], v[32:33], s[8:9], s[6:7]
	v_fma_f64 v[34:35], v[32:33], v[34:35], s[12:13]
	s_delay_alu instid0(VALU_DEP_1) | instskip(NEXT) | instid1(VALU_DEP_1)
	v_fma_f64 v[34:35], v[32:33], v[34:35], s[14:15]
	v_fma_f64 v[34:35], v[32:33], v[34:35], s[16:17]
	s_delay_alu instid0(VALU_DEP_1) | instskip(NEXT) | instid1(VALU_DEP_1)
	v_fma_f64 v[34:35], v[32:33], v[34:35], s[18:19]
	v_fma_f64 v[34:35], v[32:33], v[34:35], s[4:5]
	v_mul_f64 v[32:33], v[30:31], v[32:33]
	v_ldexp_f64 v[30:31], v[30:31], 1
	s_delay_alu instid0(VALU_DEP_2) | instskip(NEXT) | instid1(VALU_DEP_1)
	v_mul_f64 v[32:33], v[32:33], v[34:35]
	v_add_f64 v[34:35], v[30:31], v[32:33]
	s_delay_alu instid0(VALU_DEP_1) | instskip(NEXT) | instid1(VALU_DEP_1)
	v_add_f64 v[30:31], v[34:35], -v[30:31]
	v_add_f64 v[30:31], v[32:33], -v[30:31]
	s_delay_alu instid0(VALU_DEP_1) | instskip(SKIP_1) | instid1(VALU_DEP_1)
	v_add_f64 v[24:25], v[24:25], v[30:31]
	v_add_f64 v[30:31], v[28:29], v[26:27]
	v_add_f64 v[28:29], v[30:31], -v[28:29]
	s_delay_alu instid0(VALU_DEP_1) | instskip(NEXT) | instid1(VALU_DEP_4)
	v_add_f64 v[26:27], v[26:27], -v[28:29]
	v_add_f64 v[28:29], v[34:35], v[24:25]
	s_delay_alu instid0(VALU_DEP_1) | instskip(SKIP_1) | instid1(VALU_DEP_2)
	v_add_f64 v[32:33], v[28:29], -v[34:35]
	v_add_f64 v[34:35], v[30:31], v[28:29]
	v_add_f64 v[24:25], v[24:25], -v[32:33]
	s_delay_alu instid0(VALU_DEP_2) | instskip(NEXT) | instid1(VALU_DEP_1)
	v_add_f64 v[36:37], v[34:35], -v[30:31]
	v_add_f64 v[28:29], v[28:29], -v[36:37]
	;; [unrolled: 1-line block ×3, first 2 shown]
	s_delay_alu instid0(VALU_DEP_1) | instskip(NEXT) | instid1(VALU_DEP_1)
	v_add_f64 v[30:31], v[30:31], -v[36:37]
	v_add_f64 v[28:29], v[28:29], v[30:31]
	v_add_f64 v[30:31], v[26:27], v[24:25]
	s_delay_alu instid0(VALU_DEP_1) | instskip(NEXT) | instid1(VALU_DEP_3)
	v_add_f64 v[32:33], v[30:31], -v[26:27]
	v_add_f64 v[28:29], v[30:31], v[28:29]
	s_delay_alu instid0(VALU_DEP_2) | instskip(SKIP_1) | instid1(VALU_DEP_1)
	v_add_f64 v[24:25], v[24:25], -v[32:33]
	v_add_f64 v[32:33], v[30:31], -v[32:33]
	;; [unrolled: 1-line block ×3, first 2 shown]
	s_delay_alu instid0(VALU_DEP_1) | instskip(SKIP_1) | instid1(VALU_DEP_1)
	v_add_f64 v[24:25], v[24:25], v[26:27]
	v_add_f64 v[26:27], v[34:35], v[28:29]
	v_add_f64 v[30:31], v[26:27], -v[34:35]
	s_delay_alu instid0(VALU_DEP_1) | instskip(NEXT) | instid1(VALU_DEP_1)
	v_add_f64 v[28:29], v[28:29], -v[30:31]
	v_add_f64 v[24:25], v[24:25], v[28:29]
	v_fma_f64 v[28:29], |v[2:3]|, s[92:93], s[90:91]
	s_delay_alu instid0(VALU_DEP_2) | instskip(NEXT) | instid1(VALU_DEP_2)
	v_add_f64 v[24:25], v[26:27], v[24:25]
	v_fma_f64 v[28:29], |v[2:3]|, v[28:29], s[94:95]
	s_delay_alu instid0(VALU_DEP_2) | instskip(NEXT) | instid1(VALU_DEP_2)
	v_dual_cndmask_b32 v14, v24, v2 :: v_dual_and_b32 v11, 0x7fffffff, v3
	v_fma_f64 v[28:29], |v[2:3]|, v[28:29], s[96:97]
	s_delay_alu instid0(VALU_DEP_2) | instskip(NEXT) | instid1(VALU_DEP_3)
	v_cndmask_b32_e64 v11, -v25, -v11, vcc_lo
	v_cndmask_b32_e64 v24, 0, v14, s0
	s_delay_alu instid0(VALU_DEP_2) | instskip(NEXT) | instid1(VALU_DEP_4)
	v_cndmask_b32_e64 v25, 0x7ff00000, v11, s0
	v_fma_f64 v[26:27], |v[2:3]|, v[28:29], s[98:99]
	s_delay_alu instid0(VALU_DEP_1)
	v_fma_f64 v[24:25], |v[2:3]|, v[26:27], v[24:25]
.LBB12_258:                             ;   in Loop: Header=BB12_162 Depth=1
	s_or_b32 exec_lo, exec_lo, s1
	s_delay_alu instid0(SALU_CYCLE_1)
	s_mov_b32 s0, exec_lo
	v_cmpx_le_f64_e32 0, v[2:3]
	s_xor_b32 s1, exec_lo, s0
; %bb.259:                              ;   in Loop: Header=BB12_162 Depth=1
	v_cmp_eq_f64_e32 vcc_lo, 1.0, v[2:3]
	v_cmp_eq_f64_e64 s0, 2.0, v[2:3]
	s_delay_alu instid0(VALU_DEP_1)
	s_or_b32 s0, vcc_lo, s0
	s_delay_alu instid0(VALU_DEP_4) | instid1(SALU_CYCLE_1)
	v_cndmask_b32_e64 v25, v25, 0, s0
	v_cndmask_b32_e64 v24, v24, 0, s0
; %bb.260:                              ;   in Loop: Header=BB12_162 Depth=1
	s_and_not1_saveexec_b32 s1, s1
	s_cbranch_execz .LBB12_264
; %bb.261:                              ;   in Loop: Header=BB12_162 Depth=1
	v_add_nc_u32_e32 v11, 0xc32fffff, v23
	s_mov_b32 s55, exec_lo
	s_delay_alu instid0(VALU_DEP_1)
	v_cmpx_gt_u32_e32 0x65fffff, v11
	s_cbranch_execz .LBB12_263
; %bb.262:                              ;   in Loop: Header=BB12_162 Depth=1
	v_mul_f64 v[26:27], |v[2:3]|, 0.5
	v_cmp_gt_f64_e64 s0, |v[2:3]|, 1.0
	s_mov_b32 s5, s51
	s_delay_alu instid0(VALU_DEP_2) | instskip(SKIP_1) | instid1(VALU_DEP_2)
	v_fract_f64_e32 v[28:29], v[26:27]
	v_cmp_neq_f64_e64 vcc_lo, 0x7ff00000, |v[26:27]|
	v_add_f64 v[26:27], v[28:29], v[28:29]
	s_delay_alu instid0(VALU_DEP_1) | instskip(NEXT) | instid1(VALU_DEP_2)
	v_dual_cndmask_b32 v18, 0, v26 :: v_dual_and_b32 v11, 0x7fffffff, v3
	v_cndmask_b32_e32 v14, 0, v27, vcc_lo
	s_delay_alu instid0(VALU_DEP_2) | instskip(NEXT) | instid1(VALU_DEP_2)
	v_cndmask_b32_e64 v26, v2, v18, s0
	v_cndmask_b32_e64 v27, v11, v14, s0
	s_delay_alu instid0(VALU_DEP_1) | instskip(NEXT) | instid1(VALU_DEP_1)
	v_add_f64 v[28:29], v[26:27], v[26:27]
	v_rndne_f64_e32 v[28:29], v[28:29]
	s_delay_alu instid0(VALU_DEP_1) | instskip(SKIP_1) | instid1(VALU_DEP_2)
	v_fma_f64 v[26:27], v[28:29], -0.5, v[26:27]
	v_cvt_i32_f64_e32 v11, v[28:29]
	v_mul_f64 v[30:31], v[26:27], v[26:27]
	s_delay_alu instid0(VALU_DEP_2) | instskip(SKIP_1) | instid1(VALU_DEP_2)
	v_and_b32_e32 v14, 1, v11
	v_lshlrev_b32_e32 v11, 30, v11
	v_cmp_eq_u32_e32 vcc_lo, 0, v14
	s_delay_alu instid0(VALU_DEP_2) | instskip(SKIP_2) | instid1(VALU_DEP_2)
	v_xor_b32_e32 v11, v11, v3
	v_fma_f64 v[32:33], v[30:31], s[102:103], s[100:101]
	v_mul_f64 v[34:35], v[26:27], v[30:31]
	v_fma_f64 v[32:33], v[30:31], v[32:33], s[24:25]
	s_delay_alu instid0(VALU_DEP_1) | instskip(NEXT) | instid1(VALU_DEP_1)
	v_fma_f64 v[32:33], v[30:31], v[32:33], s[26:27]
	v_fma_f64 v[32:33], v[30:31], v[32:33], s[28:29]
	s_delay_alu instid0(VALU_DEP_1) | instskip(NEXT) | instid1(VALU_DEP_1)
	v_fma_f64 v[32:33], v[30:31], v[32:33], s[30:31]
	v_mul_f64 v[32:33], v[34:35], v[32:33]
	s_delay_alu instid0(VALU_DEP_1) | instskip(SKIP_1) | instid1(VALU_DEP_1)
	v_fma_f64 v[26:27], v[26:27], s[34:35], v[32:33]
	v_fma_f64 v[32:33], v[30:31], s[38:39], s[36:37]
	;; [unrolled: 1-line block ×3, first 2 shown]
	s_delay_alu instid0(VALU_DEP_1) | instskip(NEXT) | instid1(VALU_DEP_1)
	v_fma_f64 v[32:33], v[30:31], v[32:33], s[42:43]
	v_fma_f64 v[32:33], v[30:31], v[32:33], s[44:45]
	s_delay_alu instid0(VALU_DEP_1) | instskip(NEXT) | instid1(VALU_DEP_1)
	v_fma_f64 v[32:33], v[30:31], v[32:33], s[46:47]
	v_fma_f64 v[32:33], v[30:31], v[32:33], s[48:49]
	s_delay_alu instid0(VALU_DEP_1) | instskip(NEXT) | instid1(VALU_DEP_1)
	v_fma_f64 v[30:31], v[30:31], v[32:33], 1.0
	v_cndmask_b32_e32 v14, v30, v26, vcc_lo
	s_delay_alu instid0(VALU_DEP_2) | instskip(SKIP_1) | instid1(VALU_DEP_3)
	v_cndmask_b32_e32 v18, v31, v27, vcc_lo
	v_cmp_class_f64_e64 vcc_lo, v[2:3], 0x1f8
	v_dual_cndmask_b32 v26, 0, v14 :: v_dual_and_b32 v11, 0x80000000, v11
	s_delay_alu instid0(VALU_DEP_1) | instskip(NEXT) | instid1(VALU_DEP_1)
	v_xor_b32_e32 v11, v18, v11
	v_cndmask_b32_e32 v27, 0x7ff80000, v11, vcc_lo
	s_delay_alu instid0(VALU_DEP_1) | instskip(NEXT) | instid1(VALU_DEP_1)
	v_mul_f64 v[26:27], v[2:3], v[26:27]
	v_dual_mov_b32 v28, v26 :: v_dual_and_b32 v29, 0x7fffffff, v27
	s_delay_alu instid0(VALU_DEP_1) | instskip(SKIP_1) | instid1(VALU_DEP_2)
	v_div_scale_f64 v[30:31], null, v[28:29], v[28:29], s[34:35]
	v_div_scale_f64 v[28:29], vcc_lo, s[34:35], v[28:29], s[34:35]
	v_rcp_f64_e32 v[32:33], v[30:31]
	s_waitcnt_depctr 0xfff
	v_fma_f64 v[34:35], -v[30:31], v[32:33], 1.0
	s_delay_alu instid0(VALU_DEP_1) | instskip(NEXT) | instid1(VALU_DEP_1)
	v_fma_f64 v[32:33], v[32:33], v[34:35], v[32:33]
	v_fma_f64 v[34:35], -v[30:31], v[32:33], 1.0
	s_delay_alu instid0(VALU_DEP_1) | instskip(NEXT) | instid1(VALU_DEP_1)
	v_fma_f64 v[32:33], v[32:33], v[34:35], v[32:33]
	v_mul_f64 v[34:35], v[28:29], v[32:33]
	s_delay_alu instid0(VALU_DEP_1) | instskip(NEXT) | instid1(VALU_DEP_1)
	v_fma_f64 v[28:29], -v[30:31], v[34:35], v[28:29]
	v_div_fmas_f64 v[28:29], v[28:29], v[32:33], v[34:35]
	s_delay_alu instid0(VALU_DEP_1) | instskip(NEXT) | instid1(VALU_DEP_1)
	v_div_fixup_f64 v[26:27], v[28:29], |v[26:27]|, s[34:35]
	v_frexp_mant_f64_e32 v[28:29], v[26:27]
	v_cmp_neq_f64_e64 s0, 0, v[26:27]
	s_delay_alu instid0(VALU_DEP_2) | instskip(SKIP_1) | instid1(VALU_DEP_1)
	v_cmp_gt_f64_e32 vcc_lo, s[50:51], v[28:29]
	v_cndmask_b32_e64 v11, 0x3ff00000, 2.0, vcc_lo
	v_mul_f64 v[28:29], v[28:29], v[10:11]
	v_frexp_exp_i32_f64_e32 v11, v[26:27]
	s_delay_alu instid0(VALU_DEP_2) | instskip(NEXT) | instid1(VALU_DEP_2)
	v_add_f64 v[30:31], v[28:29], 1.0
	v_subrev_co_ci_u32_e32 v11, vcc_lo, 0, v11, vcc_lo
	v_cmp_class_f64_e64 vcc_lo, v[26:27], 0x204
	s_delay_alu instid0(VALU_DEP_3) | instskip(SKIP_2) | instid1(VALU_DEP_1)
	v_rcp_f64_e32 v[32:33], v[30:31]
	s_waitcnt_depctr 0xfff
	v_fma_f64 v[34:35], -v[30:31], v[32:33], 1.0
	v_fma_f64 v[32:33], v[34:35], v[32:33], v[32:33]
	s_delay_alu instid0(VALU_DEP_1) | instskip(NEXT) | instid1(VALU_DEP_1)
	v_fma_f64 v[34:35], -v[30:31], v[32:33], 1.0
	v_fma_f64 v[32:33], v[34:35], v[32:33], v[32:33]
	v_add_f64 v[34:35], v[30:31], -1.0
	s_delay_alu instid0(VALU_DEP_1) | instskip(SKIP_1) | instid1(VALU_DEP_1)
	v_add_f64 v[34:35], v[28:29], -v[34:35]
	v_add_f64 v[28:29], v[28:29], -1.0
	v_mul_f64 v[36:37], v[28:29], v[32:33]
	s_delay_alu instid0(VALU_DEP_1) | instskip(NEXT) | instid1(VALU_DEP_1)
	v_mul_f64 v[38:39], v[30:31], v[36:37]
	v_fma_f64 v[30:31], v[36:37], v[30:31], -v[38:39]
	s_delay_alu instid0(VALU_DEP_1) | instskip(NEXT) | instid1(VALU_DEP_1)
	v_fma_f64 v[30:31], v[36:37], v[34:35], v[30:31]
	v_add_f64 v[34:35], v[38:39], v[30:31]
	s_delay_alu instid0(VALU_DEP_1) | instskip(NEXT) | instid1(VALU_DEP_1)
	v_add_f64 v[38:39], v[34:35], -v[38:39]
	v_add_f64 v[30:31], v[38:39], -v[30:31]
	;; [unrolled: 1-line block ×3, first 2 shown]
	s_delay_alu instid0(VALU_DEP_1) | instskip(NEXT) | instid1(VALU_DEP_1)
	v_add_f64 v[28:29], v[28:29], -v[38:39]
	v_add_f64 v[28:29], v[28:29], -v[34:35]
	s_delay_alu instid0(VALU_DEP_1) | instskip(SKIP_1) | instid1(VALU_DEP_2)
	v_add_f64 v[28:29], v[30:31], v[28:29]
	v_cvt_f64_i32_e32 v[30:31], v11
	v_add_f64 v[28:29], v[38:39], v[28:29]
	s_delay_alu instid0(VALU_DEP_1) | instskip(NEXT) | instid1(VALU_DEP_3)
	v_mul_f64 v[28:29], v[32:33], v[28:29]
	v_mul_f64 v[32:33], v[30:31], s[20:21]
	s_delay_alu instid0(VALU_DEP_1) | instskip(NEXT) | instid1(VALU_DEP_1)
	v_fma_f64 v[34:35], v[30:31], s[20:21], -v[32:33]
	v_fma_f64 v[30:31], v[30:31], s[22:23], v[34:35]
	s_delay_alu instid0(VALU_DEP_4) | instskip(NEXT) | instid1(VALU_DEP_1)
	v_add_f64 v[34:35], v[36:37], v[28:29]
	v_add_f64 v[36:37], v[34:35], -v[36:37]
	s_delay_alu instid0(VALU_DEP_1) | instskip(SKIP_1) | instid1(VALU_DEP_2)
	v_add_f64 v[28:29], v[28:29], -v[36:37]
	v_mul_f64 v[36:37], v[34:35], v[34:35]
	v_ldexp_f64 v[28:29], v[28:29], 1
	s_delay_alu instid0(VALU_DEP_2) | instskip(NEXT) | instid1(VALU_DEP_1)
	v_fma_f64 v[38:39], v[36:37], s[8:9], s[6:7]
	v_fma_f64 v[38:39], v[36:37], v[38:39], s[12:13]
	s_delay_alu instid0(VALU_DEP_1) | instskip(NEXT) | instid1(VALU_DEP_1)
	v_fma_f64 v[38:39], v[36:37], v[38:39], s[14:15]
	v_fma_f64 v[38:39], v[36:37], v[38:39], s[16:17]
	s_delay_alu instid0(VALU_DEP_1) | instskip(NEXT) | instid1(VALU_DEP_1)
	v_fma_f64 v[38:39], v[36:37], v[38:39], s[18:19]
	v_fma_f64 v[38:39], v[36:37], v[38:39], s[4:5]
	v_mul_f64 v[36:37], v[34:35], v[36:37]
	v_ldexp_f64 v[34:35], v[34:35], 1
	s_delay_alu instid0(VALU_DEP_2) | instskip(NEXT) | instid1(VALU_DEP_1)
	v_mul_f64 v[36:37], v[36:37], v[38:39]
	v_add_f64 v[38:39], v[34:35], v[36:37]
	s_delay_alu instid0(VALU_DEP_1) | instskip(NEXT) | instid1(VALU_DEP_1)
	v_add_f64 v[34:35], v[38:39], -v[34:35]
	v_add_f64 v[34:35], v[36:37], -v[34:35]
	s_delay_alu instid0(VALU_DEP_1) | instskip(SKIP_1) | instid1(VALU_DEP_1)
	v_add_f64 v[28:29], v[28:29], v[34:35]
	v_add_f64 v[34:35], v[32:33], v[30:31]
	v_add_f64 v[32:33], v[34:35], -v[32:33]
	s_delay_alu instid0(VALU_DEP_1) | instskip(NEXT) | instid1(VALU_DEP_4)
	v_add_f64 v[30:31], v[30:31], -v[32:33]
	v_add_f64 v[32:33], v[38:39], v[28:29]
	s_delay_alu instid0(VALU_DEP_1) | instskip(SKIP_1) | instid1(VALU_DEP_2)
	v_add_f64 v[36:37], v[32:33], -v[38:39]
	v_add_f64 v[38:39], v[34:35], v[32:33]
	v_add_f64 v[28:29], v[28:29], -v[36:37]
	s_delay_alu instid0(VALU_DEP_2) | instskip(NEXT) | instid1(VALU_DEP_1)
	v_add_f64 v[40:41], v[38:39], -v[34:35]
	v_add_f64 v[32:33], v[32:33], -v[40:41]
	;; [unrolled: 1-line block ×3, first 2 shown]
	s_delay_alu instid0(VALU_DEP_1) | instskip(NEXT) | instid1(VALU_DEP_1)
	v_add_f64 v[34:35], v[34:35], -v[40:41]
	v_add_f64 v[32:33], v[32:33], v[34:35]
	v_add_f64 v[34:35], v[30:31], v[28:29]
	s_delay_alu instid0(VALU_DEP_1) | instskip(NEXT) | instid1(VALU_DEP_3)
	v_add_f64 v[36:37], v[34:35], -v[30:31]
	v_add_f64 v[32:33], v[34:35], v[32:33]
	s_delay_alu instid0(VALU_DEP_2) | instskip(SKIP_1) | instid1(VALU_DEP_1)
	v_add_f64 v[28:29], v[28:29], -v[36:37]
	v_add_f64 v[36:37], v[34:35], -v[36:37]
	;; [unrolled: 1-line block ×3, first 2 shown]
	s_delay_alu instid0(VALU_DEP_1) | instskip(SKIP_1) | instid1(VALU_DEP_1)
	v_add_f64 v[28:29], v[28:29], v[30:31]
	v_add_f64 v[30:31], v[38:39], v[32:33]
	v_add_f64 v[34:35], v[30:31], -v[38:39]
	s_delay_alu instid0(VALU_DEP_1) | instskip(NEXT) | instid1(VALU_DEP_1)
	v_add_f64 v[32:33], v[32:33], -v[34:35]
	v_add_f64 v[28:29], v[28:29], v[32:33]
	s_delay_alu instid0(VALU_DEP_1) | instskip(NEXT) | instid1(VALU_DEP_1)
	v_add_f64 v[28:29], v[30:31], v[28:29]
	v_dual_cndmask_b32 v11, v28, v26 :: v_dual_cndmask_b32 v14, v29, v27
	v_fract_f64_e32 v[26:27], v[2:3]
	s_delay_alu instid0(VALU_DEP_2) | instskip(NEXT) | instid1(VALU_DEP_3)
	v_cndmask_b32_e64 v28, 0, v11, s0
	v_cndmask_b32_e64 v29, 0xfff00000, v14, s0
	v_cmp_class_f64_e64 s0, v[2:3], 0x204
	s_delay_alu instid0(VALU_DEP_2) | instskip(SKIP_1) | instid1(VALU_DEP_3)
	v_add_f64 v[24:25], v[28:29], -v[24:25]
	v_cmp_eq_f64_e32 vcc_lo, 0, v[26:27]
	s_or_b32 s0, s0, vcc_lo
	s_delay_alu instid0(VALU_DEP_2) | instid1(SALU_CYCLE_1)
	v_cndmask_b32_e64 v25, v25, 0x7ff00000, s0
	s_delay_alu instid0(VALU_DEP_3)
	v_cndmask_b32_e64 v24, v24, 0, s0
.LBB12_263:                             ;   in Loop: Header=BB12_162 Depth=1
	s_or_b32 exec_lo, exec_lo, s55
.LBB12_264:                             ;   in Loop: Header=BB12_162 Depth=1
	s_delay_alu instid0(SALU_CYCLE_1) | instskip(SKIP_2) | instid1(VALU_DEP_1)
	s_or_b32 exec_lo, exec_lo, s1
	v_dual_mov_b32 v26, v4 :: v_dual_and_b32 v27, 0x7fffffff, v5
                                        ; implicit-def: $vgpr28_vgpr29
	s_mov_b32 s0, exec_lo
	v_cmpx_lt_u32_e32 0x3f6fffff, v27
	s_xor_b32 s55, exec_lo, s0
	s_cbranch_execz .LBB12_290
; %bb.265:                              ;   in Loop: Header=BB12_162 Depth=1
                                        ; implicit-def: $vgpr28_vgpr29
	s_mov_b32 s0, exec_lo
	v_cmpx_lt_u32_e32 0x3fffffff, v27
	s_xor_b32 s56, exec_lo, s0
	s_cbranch_execz .LBB12_275
; %bb.266:                              ;   in Loop: Header=BB12_162 Depth=1
	;; [unrolled: 6-line block ×4, first 2 shown]
	v_frexp_mant_f64_e64 v[28:29], |v[4:5]|
	s_mov_b32 s5, s51
	v_cmp_neq_f64_e64 s0, 0, v[4:5]
	s_delay_alu instid0(VALU_DEP_2) | instskip(SKIP_1) | instid1(VALU_DEP_1)
	v_cmp_gt_f64_e32 vcc_lo, s[50:51], v[28:29]
	v_cndmask_b32_e64 v11, 0x3ff00000, 2.0, vcc_lo
	v_mul_f64 v[28:29], v[28:29], v[10:11]
	v_frexp_exp_i32_f64_e32 v11, v[4:5]
	s_delay_alu instid0(VALU_DEP_2) | instskip(NEXT) | instid1(VALU_DEP_2)
	v_add_f64 v[30:31], v[28:29], 1.0
	v_subrev_co_ci_u32_e32 v11, vcc_lo, 0, v11, vcc_lo
	v_cmp_class_f64_e64 vcc_lo, v[4:5], 0x204
	s_delay_alu instid0(VALU_DEP_3) | instskip(SKIP_2) | instid1(VALU_DEP_1)
	v_rcp_f64_e32 v[32:33], v[30:31]
	s_waitcnt_depctr 0xfff
	v_fma_f64 v[34:35], -v[30:31], v[32:33], 1.0
	v_fma_f64 v[32:33], v[34:35], v[32:33], v[32:33]
	s_delay_alu instid0(VALU_DEP_1) | instskip(NEXT) | instid1(VALU_DEP_1)
	v_fma_f64 v[34:35], -v[30:31], v[32:33], 1.0
	v_fma_f64 v[32:33], v[34:35], v[32:33], v[32:33]
	v_add_f64 v[34:35], v[30:31], -1.0
	s_delay_alu instid0(VALU_DEP_1) | instskip(SKIP_1) | instid1(VALU_DEP_1)
	v_add_f64 v[34:35], v[28:29], -v[34:35]
	v_add_f64 v[28:29], v[28:29], -1.0
	v_mul_f64 v[36:37], v[28:29], v[32:33]
	s_delay_alu instid0(VALU_DEP_1) | instskip(NEXT) | instid1(VALU_DEP_1)
	v_mul_f64 v[38:39], v[30:31], v[36:37]
	v_fma_f64 v[30:31], v[36:37], v[30:31], -v[38:39]
	s_delay_alu instid0(VALU_DEP_1) | instskip(NEXT) | instid1(VALU_DEP_1)
	v_fma_f64 v[30:31], v[36:37], v[34:35], v[30:31]
	v_add_f64 v[34:35], v[38:39], v[30:31]
	s_delay_alu instid0(VALU_DEP_1) | instskip(NEXT) | instid1(VALU_DEP_1)
	v_add_f64 v[38:39], v[34:35], -v[38:39]
	v_add_f64 v[30:31], v[38:39], -v[30:31]
	;; [unrolled: 1-line block ×3, first 2 shown]
	s_delay_alu instid0(VALU_DEP_1) | instskip(NEXT) | instid1(VALU_DEP_1)
	v_add_f64 v[28:29], v[28:29], -v[38:39]
	v_add_f64 v[28:29], v[28:29], -v[34:35]
	s_delay_alu instid0(VALU_DEP_1) | instskip(SKIP_1) | instid1(VALU_DEP_2)
	v_add_f64 v[28:29], v[30:31], v[28:29]
	v_cvt_f64_i32_e32 v[30:31], v11
	v_add_f64 v[28:29], v[38:39], v[28:29]
	s_delay_alu instid0(VALU_DEP_1) | instskip(NEXT) | instid1(VALU_DEP_3)
	v_mul_f64 v[28:29], v[32:33], v[28:29]
	v_mul_f64 v[32:33], v[30:31], s[20:21]
	s_delay_alu instid0(VALU_DEP_1) | instskip(NEXT) | instid1(VALU_DEP_1)
	v_fma_f64 v[34:35], v[30:31], s[20:21], -v[32:33]
	v_fma_f64 v[30:31], v[30:31], s[22:23], v[34:35]
	s_delay_alu instid0(VALU_DEP_4) | instskip(NEXT) | instid1(VALU_DEP_1)
	v_add_f64 v[34:35], v[36:37], v[28:29]
	v_add_f64 v[36:37], v[34:35], -v[36:37]
	s_delay_alu instid0(VALU_DEP_1) | instskip(SKIP_1) | instid1(VALU_DEP_2)
	v_add_f64 v[28:29], v[28:29], -v[36:37]
	v_mul_f64 v[36:37], v[34:35], v[34:35]
	v_ldexp_f64 v[28:29], v[28:29], 1
	s_delay_alu instid0(VALU_DEP_2) | instskip(NEXT) | instid1(VALU_DEP_1)
	v_fma_f64 v[38:39], v[36:37], s[8:9], s[6:7]
	v_fma_f64 v[38:39], v[36:37], v[38:39], s[12:13]
	s_delay_alu instid0(VALU_DEP_1) | instskip(NEXT) | instid1(VALU_DEP_1)
	v_fma_f64 v[38:39], v[36:37], v[38:39], s[14:15]
	v_fma_f64 v[38:39], v[36:37], v[38:39], s[16:17]
	s_delay_alu instid0(VALU_DEP_1) | instskip(NEXT) | instid1(VALU_DEP_1)
	v_fma_f64 v[38:39], v[36:37], v[38:39], s[18:19]
	v_fma_f64 v[38:39], v[36:37], v[38:39], s[4:5]
	v_mul_f64 v[36:37], v[34:35], v[36:37]
	v_ldexp_f64 v[34:35], v[34:35], 1
	s_delay_alu instid0(VALU_DEP_2) | instskip(NEXT) | instid1(VALU_DEP_1)
	v_mul_f64 v[36:37], v[36:37], v[38:39]
	v_add_f64 v[38:39], v[34:35], v[36:37]
	s_delay_alu instid0(VALU_DEP_1) | instskip(NEXT) | instid1(VALU_DEP_1)
	v_add_f64 v[34:35], v[38:39], -v[34:35]
	v_add_f64 v[34:35], v[36:37], -v[34:35]
	s_delay_alu instid0(VALU_DEP_1) | instskip(SKIP_1) | instid1(VALU_DEP_1)
	v_add_f64 v[28:29], v[28:29], v[34:35]
	v_add_f64 v[34:35], v[32:33], v[30:31]
	v_add_f64 v[32:33], v[34:35], -v[32:33]
	s_delay_alu instid0(VALU_DEP_1) | instskip(NEXT) | instid1(VALU_DEP_4)
	v_add_f64 v[30:31], v[30:31], -v[32:33]
	v_add_f64 v[32:33], v[38:39], v[28:29]
	s_delay_alu instid0(VALU_DEP_1) | instskip(SKIP_1) | instid1(VALU_DEP_2)
	v_add_f64 v[36:37], v[32:33], -v[38:39]
	v_add_f64 v[38:39], v[34:35], v[32:33]
	v_add_f64 v[28:29], v[28:29], -v[36:37]
	s_delay_alu instid0(VALU_DEP_2) | instskip(NEXT) | instid1(VALU_DEP_1)
	v_add_f64 v[40:41], v[38:39], -v[34:35]
	v_add_f64 v[32:33], v[32:33], -v[40:41]
	;; [unrolled: 1-line block ×3, first 2 shown]
	s_delay_alu instid0(VALU_DEP_1) | instskip(NEXT) | instid1(VALU_DEP_1)
	v_add_f64 v[34:35], v[34:35], -v[40:41]
	v_add_f64 v[32:33], v[32:33], v[34:35]
	v_add_f64 v[34:35], v[30:31], v[28:29]
	s_delay_alu instid0(VALU_DEP_1) | instskip(NEXT) | instid1(VALU_DEP_3)
	v_add_f64 v[36:37], v[34:35], -v[30:31]
	v_add_f64 v[32:33], v[34:35], v[32:33]
	s_delay_alu instid0(VALU_DEP_2) | instskip(SKIP_1) | instid1(VALU_DEP_1)
	v_add_f64 v[28:29], v[28:29], -v[36:37]
	v_add_f64 v[36:37], v[34:35], -v[36:37]
	;; [unrolled: 1-line block ×3, first 2 shown]
	s_delay_alu instid0(VALU_DEP_1) | instskip(SKIP_1) | instid1(VALU_DEP_1)
	v_add_f64 v[28:29], v[28:29], v[30:31]
	v_add_f64 v[30:31], v[38:39], v[32:33]
	v_add_f64 v[34:35], v[30:31], -v[38:39]
	s_delay_alu instid0(VALU_DEP_1) | instskip(NEXT) | instid1(VALU_DEP_1)
	v_add_f64 v[32:33], v[32:33], -v[34:35]
	v_add_f64 v[28:29], v[28:29], v[32:33]
	s_delay_alu instid0(VALU_DEP_1) | instskip(NEXT) | instid1(VALU_DEP_1)
	v_add_f64 v[28:29], v[30:31], v[28:29]
	v_dual_cndmask_b32 v14, v28, v4 :: v_dual_and_b32 v11, 0x7fffffff, v5
	s_delay_alu instid0(VALU_DEP_1) | instskip(NEXT) | instid1(VALU_DEP_2)
	v_cndmask_b32_e32 v11, v29, v11, vcc_lo
	v_cndmask_b32_e64 v28, 0, v14, s0
	s_delay_alu instid0(VALU_DEP_2) | instskip(NEXT) | instid1(VALU_DEP_1)
	v_cndmask_b32_e64 v29, 0xfff00000, v11, s0
	v_fma_f64 v[28:29], |v[4:5]|, v[28:29], -|v[4:5]|
.LBB12_269:                             ;   in Loop: Header=BB12_162 Depth=1
	s_and_not1_saveexec_b32 s0, s57
	s_cbranch_execz .LBB12_271
; %bb.270:                              ;   in Loop: Header=BB12_162 Depth=1
	v_dual_mov_b32 v28, v4 :: v_dual_and_b32 v29, 0x7fffffff, v5
	s_mov_b32 s5, s51
	s_mov_b32 s58, 0x4cdad5d1
	s_mov_b32 s60, 0xb9e43e4
	s_mov_b32 s59, 0x3f4b67ba
	v_div_scale_f64 v[30:31], null, v[28:29], v[28:29], 1.0
	s_mov_b32 s61, 0xbf5ab89d
	s_delay_alu instid0(VALU_DEP_1) | instskip(SKIP_2) | instid1(VALU_DEP_1)
	v_rcp_f64_e32 v[32:33], v[30:31]
	s_waitcnt_depctr 0xfff
	v_fma_f64 v[34:35], -v[30:31], v[32:33], 1.0
	v_fma_f64 v[32:33], v[32:33], v[34:35], v[32:33]
	s_delay_alu instid0(VALU_DEP_1) | instskip(NEXT) | instid1(VALU_DEP_1)
	v_fma_f64 v[34:35], -v[30:31], v[32:33], 1.0
	v_fma_f64 v[32:33], v[32:33], v[34:35], v[32:33]
	v_div_scale_f64 v[34:35], vcc_lo, 1.0, v[28:29], 1.0
	s_delay_alu instid0(VALU_DEP_1) | instskip(NEXT) | instid1(VALU_DEP_1)
	v_mul_f64 v[36:37], v[34:35], v[32:33]
	v_fma_f64 v[30:31], -v[30:31], v[36:37], v[34:35]
	s_delay_alu instid0(VALU_DEP_1) | instskip(SKIP_1) | instid1(VALU_DEP_2)
	v_div_fmas_f64 v[30:31], v[30:31], v[32:33], v[36:37]
	v_frexp_mant_f64_e64 v[32:33], |v[4:5]|
	v_div_fixup_f64 v[30:31], v[30:31], |v[4:5]|, 1.0
	s_delay_alu instid0(VALU_DEP_2) | instskip(SKIP_1) | instid1(VALU_DEP_1)
	v_cmp_gt_f64_e32 vcc_lo, s[50:51], v[32:33]
	v_cndmask_b32_e64 v11, 0x3ff00000, 2.0, vcc_lo
	v_mul_f64 v[32:33], v[32:33], v[10:11]
	v_frexp_exp_i32_f64_e32 v11, v[4:5]
	s_delay_alu instid0(VALU_DEP_2) | instskip(NEXT) | instid1(VALU_DEP_2)
	v_add_f64 v[34:35], v[32:33], 1.0
	v_subrev_co_ci_u32_e32 v11, vcc_lo, 0, v11, vcc_lo
	v_cmp_class_f64_e64 vcc_lo, v[4:5], 0x204
	s_delay_alu instid0(VALU_DEP_3) | instskip(SKIP_2) | instid1(VALU_DEP_1)
	v_rcp_f64_e32 v[36:37], v[34:35]
	s_waitcnt_depctr 0xfff
	v_fma_f64 v[38:39], -v[34:35], v[36:37], 1.0
	v_fma_f64 v[36:37], v[38:39], v[36:37], v[36:37]
	s_delay_alu instid0(VALU_DEP_1) | instskip(NEXT) | instid1(VALU_DEP_1)
	v_fma_f64 v[38:39], -v[34:35], v[36:37], 1.0
	v_fma_f64 v[36:37], v[38:39], v[36:37], v[36:37]
	v_add_f64 v[38:39], v[34:35], -1.0
	s_delay_alu instid0(VALU_DEP_1) | instskip(SKIP_1) | instid1(VALU_DEP_1)
	v_add_f64 v[38:39], v[32:33], -v[38:39]
	v_add_f64 v[32:33], v[32:33], -1.0
	v_mul_f64 v[40:41], v[32:33], v[36:37]
	s_delay_alu instid0(VALU_DEP_1) | instskip(NEXT) | instid1(VALU_DEP_1)
	v_mul_f64 v[42:43], v[34:35], v[40:41]
	v_fma_f64 v[34:35], v[40:41], v[34:35], -v[42:43]
	s_delay_alu instid0(VALU_DEP_1) | instskip(NEXT) | instid1(VALU_DEP_1)
	v_fma_f64 v[34:35], v[40:41], v[38:39], v[34:35]
	v_add_f64 v[38:39], v[42:43], v[34:35]
	s_delay_alu instid0(VALU_DEP_1) | instskip(NEXT) | instid1(VALU_DEP_1)
	v_add_f64 v[42:43], v[38:39], -v[42:43]
	v_add_f64 v[34:35], v[42:43], -v[34:35]
	;; [unrolled: 1-line block ×3, first 2 shown]
	s_delay_alu instid0(VALU_DEP_1) | instskip(NEXT) | instid1(VALU_DEP_1)
	v_add_f64 v[32:33], v[32:33], -v[42:43]
	v_add_f64 v[32:33], v[32:33], -v[38:39]
	s_delay_alu instid0(VALU_DEP_1) | instskip(SKIP_1) | instid1(VALU_DEP_2)
	v_add_f64 v[32:33], v[34:35], v[32:33]
	v_cvt_f64_i32_e32 v[34:35], v11
	v_add_f64 v[32:33], v[42:43], v[32:33]
	s_delay_alu instid0(VALU_DEP_1) | instskip(NEXT) | instid1(VALU_DEP_3)
	v_mul_f64 v[32:33], v[36:37], v[32:33]
	v_mul_f64 v[36:37], v[34:35], s[20:21]
	s_delay_alu instid0(VALU_DEP_1) | instskip(NEXT) | instid1(VALU_DEP_1)
	v_fma_f64 v[38:39], v[34:35], s[20:21], -v[36:37]
	v_fma_f64 v[34:35], v[34:35], s[22:23], v[38:39]
	s_delay_alu instid0(VALU_DEP_4) | instskip(NEXT) | instid1(VALU_DEP_1)
	v_add_f64 v[38:39], v[40:41], v[32:33]
	v_add_f64 v[40:41], v[38:39], -v[40:41]
	s_delay_alu instid0(VALU_DEP_1) | instskip(SKIP_1) | instid1(VALU_DEP_2)
	v_add_f64 v[32:33], v[32:33], -v[40:41]
	v_mul_f64 v[40:41], v[38:39], v[38:39]
	v_ldexp_f64 v[32:33], v[32:33], 1
	s_delay_alu instid0(VALU_DEP_2) | instskip(NEXT) | instid1(VALU_DEP_1)
	v_fma_f64 v[42:43], v[40:41], s[8:9], s[6:7]
	v_fma_f64 v[42:43], v[40:41], v[42:43], s[12:13]
	s_delay_alu instid0(VALU_DEP_1) | instskip(NEXT) | instid1(VALU_DEP_1)
	v_fma_f64 v[42:43], v[40:41], v[42:43], s[14:15]
	v_fma_f64 v[42:43], v[40:41], v[42:43], s[16:17]
	s_delay_alu instid0(VALU_DEP_1) | instskip(NEXT) | instid1(VALU_DEP_1)
	v_fma_f64 v[42:43], v[40:41], v[42:43], s[18:19]
	v_fma_f64 v[42:43], v[40:41], v[42:43], s[4:5]
	v_mul_f64 v[40:41], v[38:39], v[40:41]
	v_ldexp_f64 v[38:39], v[38:39], 1
	s_delay_alu instid0(VALU_DEP_2) | instskip(NEXT) | instid1(VALU_DEP_1)
	v_mul_f64 v[40:41], v[40:41], v[42:43]
	v_add_f64 v[42:43], v[38:39], v[40:41]
	s_delay_alu instid0(VALU_DEP_1) | instskip(NEXT) | instid1(VALU_DEP_1)
	v_add_f64 v[38:39], v[42:43], -v[38:39]
	v_add_f64 v[38:39], v[40:41], -v[38:39]
	s_delay_alu instid0(VALU_DEP_1) | instskip(SKIP_1) | instid1(VALU_DEP_1)
	v_add_f64 v[32:33], v[32:33], v[38:39]
	v_add_f64 v[38:39], v[36:37], v[34:35]
	v_add_f64 v[36:37], v[38:39], -v[36:37]
	s_delay_alu instid0(VALU_DEP_1) | instskip(NEXT) | instid1(VALU_DEP_4)
	v_add_f64 v[34:35], v[34:35], -v[36:37]
	v_add_f64 v[36:37], v[42:43], v[32:33]
	s_delay_alu instid0(VALU_DEP_1) | instskip(SKIP_1) | instid1(VALU_DEP_2)
	v_add_f64 v[40:41], v[36:37], -v[42:43]
	v_add_f64 v[42:43], v[38:39], v[36:37]
	v_add_f64 v[32:33], v[32:33], -v[40:41]
	s_delay_alu instid0(VALU_DEP_2) | instskip(NEXT) | instid1(VALU_DEP_1)
	v_add_f64 v[44:45], v[42:43], -v[38:39]
	v_add_f64 v[36:37], v[36:37], -v[44:45]
	;; [unrolled: 1-line block ×3, first 2 shown]
	s_delay_alu instid0(VALU_DEP_1) | instskip(NEXT) | instid1(VALU_DEP_1)
	v_add_f64 v[38:39], v[38:39], -v[44:45]
	v_add_f64 v[36:37], v[36:37], v[38:39]
	v_add_f64 v[38:39], v[34:35], v[32:33]
	s_delay_alu instid0(VALU_DEP_1) | instskip(NEXT) | instid1(VALU_DEP_3)
	v_add_f64 v[40:41], v[38:39], -v[34:35]
	v_add_f64 v[36:37], v[38:39], v[36:37]
	s_delay_alu instid0(VALU_DEP_2) | instskip(SKIP_1) | instid1(VALU_DEP_1)
	v_add_f64 v[32:33], v[32:33], -v[40:41]
	v_add_f64 v[40:41], v[38:39], -v[40:41]
	;; [unrolled: 1-line block ×3, first 2 shown]
	s_delay_alu instid0(VALU_DEP_1) | instskip(SKIP_1) | instid1(VALU_DEP_1)
	v_add_f64 v[32:33], v[32:33], v[34:35]
	v_add_f64 v[34:35], v[42:43], v[36:37]
	v_add_f64 v[38:39], v[34:35], -v[42:43]
	s_delay_alu instid0(VALU_DEP_1) | instskip(NEXT) | instid1(VALU_DEP_1)
	v_add_f64 v[36:37], v[36:37], -v[38:39]
	v_add_f64 v[32:33], v[32:33], v[36:37]
	s_delay_alu instid0(VALU_DEP_1) | instskip(NEXT) | instid1(VALU_DEP_1)
	v_add_f64 v[32:33], v[34:35], v[32:33]
	v_dual_cndmask_b32 v29, v33, v29 :: v_dual_cndmask_b32 v28, v32, v28
	v_mul_f64 v[32:33], v[30:31], v[30:31]
	v_cmp_neq_f64_e32 vcc_lo, 0, v[4:5]
	s_delay_alu instid0(VALU_DEP_3) | instskip(NEXT) | instid1(VALU_DEP_3)
	v_add_f64 v[28:29], v[28:29], -1.0
	v_fma_f64 v[34:35], v[32:33], s[60:61], s[58:59]
	s_mov_b32 s58, 0x8c0fe741
	s_mov_b32 s59, 0xbf4380cb
	s_mov_b32 s60, 0xdd17e945
	s_delay_alu instid0(VALU_DEP_2) | instskip(NEXT) | instid1(VALU_DEP_3)
	v_cndmask_b32_e32 v29, 0xfff00000, v29, vcc_lo
	v_cndmask_b32_e32 v28, 0, v28, vcc_lo
	s_mov_b32 s61, 0x3f00bfec
	s_delay_alu instid0(VALU_DEP_3)
	v_fma_f64 v[34:35], v[32:33], v[34:35], s[58:59]
	s_mov_b32 s58, 0x98cf38b6
	s_mov_b32 s59, 0x3f4a019f
	s_delay_alu instid0(VALU_DEP_1) | instid1(SALU_CYCLE_1)
	v_fma_f64 v[34:35], v[32:33], v[34:35], s[58:59]
	s_mov_b32 s58, 0x16b02e5c
	s_mov_b32 s59, 0xbf66c16c
	s_delay_alu instid0(VALU_DEP_1) | instid1(SALU_CYCLE_1)
	;; [unrolled: 4-line block ×4, first 2 shown]
	v_fma_f64 v[30:31], v[30:31], v[32:33], s[58:59]
	v_add_f64 v[32:33], |v[4:5]|, -0.5
	s_mov_b32 s58, 0x7368f239
	s_mov_b32 s59, 0x3f5e26b6
	s_delay_alu instid0(VALU_DEP_1)
	v_fma_f64 v[28:29], v[32:33], v[28:29], v[30:31]
.LBB12_271:                             ;   in Loop: Header=BB12_162 Depth=1
	s_or_b32 exec_lo, exec_lo, s0
.LBB12_272:                             ;   in Loop: Header=BB12_162 Depth=1
	s_and_not1_saveexec_b32 s57, s1
	s_cbranch_execz .LBB12_274
; %bb.273:                              ;   in Loop: Header=BB12_162 Depth=1
	v_cvt_i32_f64_e32 v11, v[26:27]
	s_mov_b32 s0, 0x7e939961
	s_mov_b32 s1, 0x3f9b481c
	;; [unrolled: 1-line block ×4, first 2 shown]
	s_mov_b32 vcc_lo, s52
	s_mov_b32 s5, s51
	s_delay_alu instid0(VALU_DEP_1) | instskip(NEXT) | instid1(VALU_DEP_1)
	v_cvt_f64_i32_e32 v[28:29], v11
	v_add_f64 v[28:29], |v[4:5]|, -v[28:29]
	s_delay_alu instid0(VALU_DEP_1) | instskip(NEXT) | instid1(VALU_DEP_1)
	v_fma_f64 v[30:31], v[28:29], s[60:61], s[58:59]
	v_fma_f64 v[30:31], v[28:29], v[30:31], s[0:1]
	s_mov_b32 s0, 0xca41a95b
	s_mov_b32 s1, 0x3f497dda
	s_delay_alu instid0(SALU_CYCLE_1)
	v_fma_f64 v[32:33], v[28:29], s[62:63], s[0:1]
	s_mov_b32 s0, 0x742ed475
	s_mov_b32 s1, 0x3f9317ea
	s_delay_alu instid0(VALU_DEP_1) | instid1(SALU_CYCLE_1)
	v_fma_f64 v[32:33], v[28:29], v[32:33], s[0:1]
	s_mov_b32 s0, 0xbee5f2f7
	s_mov_b32 s1, 0x3fc2bb9c
	s_delay_alu instid0(VALU_DEP_3) | instid1(SALU_CYCLE_1)
	v_fma_f64 v[30:31], v[28:29], v[30:31], s[0:1]
	s_mov_b32 s0, 0xccfbdf27
	s_mov_b32 s1, 0x3fc601ed
	s_delay_alu instid0(VALU_DEP_2) | instid1(SALU_CYCLE_1)
	v_fma_f64 v[32:33], v[28:29], v[32:33], s[0:1]
	s_mov_b32 s0, 0x4f139f59
	s_mov_b32 s1, 0x3fd4d98f
	s_delay_alu instid0(VALU_DEP_2) | instid1(SALU_CYCLE_1)
	;; [unrolled: 4-line block ×4, first 2 shown]
	v_fma_f64 v[30:31], v[28:29], v[30:31], s[0:1]
	s_delay_alu instid0(VALU_DEP_2) | instskip(NEXT) | instid1(VALU_DEP_2)
	v_fma_f64 v[32:33], v[28:29], v[32:33], s[64:65]
	v_fma_f64 v[30:31], v[28:29], v[30:31], vcc
	s_delay_alu instid0(VALU_DEP_2) | instskip(NEXT) | instid1(VALU_DEP_2)
	v_fma_f64 v[32:33], v[28:29], v[32:33], 1.0
	v_mul_f64 v[30:31], v[28:29], v[30:31]
	s_delay_alu instid0(VALU_DEP_1) | instskip(NEXT) | instid1(VALU_DEP_1)
	v_div_scale_f64 v[34:35], null, v[32:33], v[32:33], v[30:31]
	v_rcp_f64_e32 v[36:37], v[34:35]
	s_waitcnt_depctr 0xfff
	v_fma_f64 v[38:39], -v[34:35], v[36:37], 1.0
	s_delay_alu instid0(VALU_DEP_1) | instskip(NEXT) | instid1(VALU_DEP_1)
	v_fma_f64 v[36:37], v[36:37], v[38:39], v[36:37]
	v_fma_f64 v[38:39], -v[34:35], v[36:37], 1.0
	s_delay_alu instid0(VALU_DEP_1) | instskip(SKIP_1) | instid1(VALU_DEP_1)
	v_fma_f64 v[36:37], v[36:37], v[38:39], v[36:37]
	v_div_scale_f64 v[38:39], vcc_lo, v[30:31], v[32:33], v[30:31]
	v_mul_f64 v[40:41], v[38:39], v[36:37]
	s_delay_alu instid0(VALU_DEP_1) | instskip(NEXT) | instid1(VALU_DEP_1)
	v_fma_f64 v[34:35], -v[34:35], v[40:41], v[38:39]
	v_div_fmas_f64 v[34:35], v[34:35], v[36:37], v[40:41]
	v_cmp_lt_i32_e32 vcc_lo, 2, v11
	s_delay_alu instid0(VALU_DEP_2) | instskip(SKIP_2) | instid1(VALU_DEP_2)
	v_div_fixup_f64 v[30:31], v[34:35], v[32:33], v[30:31]
	v_add_f64 v[32:33], v[28:29], 2.0
	v_add_f64 v[34:35], 0x40080000, v[28:29]
	v_cndmask_b32_e32 v33, 0x3ff00000, v33, vcc_lo
	s_delay_alu instid0(VALU_DEP_3) | instskip(SKIP_1) | instid1(VALU_DEP_4)
	v_cndmask_b32_e32 v32, 0, v32, vcc_lo
	v_cmp_lt_i32_e32 vcc_lo, 3, v11
	v_cndmask_b32_e32 v35, 0x3ff00000, v35, vcc_lo
	v_cndmask_b32_e32 v34, 0, v34, vcc_lo
	v_cmp_lt_i32_e32 vcc_lo, 4, v11
	s_delay_alu instid0(VALU_DEP_2) | instskip(SKIP_1) | instid1(VALU_DEP_1)
	v_mul_f64 v[32:33], v[32:33], v[34:35]
	v_add_f64 v[34:35], v[28:29], 4.0
	v_cndmask_b32_e32 v35, 0x3ff00000, v35, vcc_lo
	s_delay_alu instid0(VALU_DEP_2) | instskip(SKIP_1) | instid1(VALU_DEP_2)
	v_cndmask_b32_e32 v34, 0, v34, vcc_lo
	v_cmp_lt_i32_e32 vcc_lo, 5, v11
	v_mul_f64 v[32:33], v[34:35], v[32:33]
	v_add_f64 v[34:35], 0x40140000, v[28:29]
	s_delay_alu instid0(VALU_DEP_1) | instskip(NEXT) | instid1(VALU_DEP_2)
	v_cndmask_b32_e32 v35, 0x3ff00000, v35, vcc_lo
	v_cndmask_b32_e32 v34, 0, v34, vcc_lo
	v_cmp_lt_i32_e32 vcc_lo, 6, v11
	s_delay_alu instid0(VALU_DEP_2) | instskip(SKIP_2) | instid1(VALU_DEP_2)
	v_mul_f64 v[32:33], v[34:35], v[32:33]
	v_add_f64 v[34:35], 0x40180000, v[28:29]
	v_fma_f64 v[28:29], v[28:29], 0.5, v[30:31]
	v_cndmask_b32_e32 v35, 0x3ff00000, v35, vcc_lo
	s_delay_alu instid0(VALU_DEP_3) | instskip(NEXT) | instid1(VALU_DEP_1)
	v_cndmask_b32_e32 v34, 0, v34, vcc_lo
	v_mul_f64 v[32:33], v[34:35], v[32:33]
	s_delay_alu instid0(VALU_DEP_1) | instskip(SKIP_2) | instid1(VALU_DEP_3)
	v_frexp_mant_f64_e32 v[34:35], v[32:33]
	v_cmp_nge_f64_e64 s0, 0, v[32:33]
	v_cmp_neq_f64_e64 s1, 0, v[32:33]
	v_cmp_gt_f64_e32 vcc_lo, s[50:51], v[34:35]
	v_cndmask_b32_e64 v11, 0x3ff00000, 2.0, vcc_lo
	s_delay_alu instid0(VALU_DEP_1) | instskip(SKIP_1) | instid1(VALU_DEP_2)
	v_mul_f64 v[34:35], v[34:35], v[10:11]
	v_frexp_exp_i32_f64_e32 v11, v[32:33]
	v_add_f64 v[36:37], v[34:35], 1.0
	s_delay_alu instid0(VALU_DEP_2) | instskip(SKIP_1) | instid1(VALU_DEP_3)
	v_subrev_co_ci_u32_e32 v11, vcc_lo, 0, v11, vcc_lo
	v_cmp_class_f64_e64 vcc_lo, v[32:33], 0x204
	v_rcp_f64_e32 v[38:39], v[36:37]
	s_waitcnt_depctr 0xfff
	v_fma_f64 v[40:41], -v[36:37], v[38:39], 1.0
	s_delay_alu instid0(VALU_DEP_1) | instskip(NEXT) | instid1(VALU_DEP_1)
	v_fma_f64 v[38:39], v[40:41], v[38:39], v[38:39]
	v_fma_f64 v[40:41], -v[36:37], v[38:39], 1.0
	s_delay_alu instid0(VALU_DEP_1) | instskip(SKIP_1) | instid1(VALU_DEP_1)
	v_fma_f64 v[38:39], v[40:41], v[38:39], v[38:39]
	v_add_f64 v[40:41], v[36:37], -1.0
	v_add_f64 v[40:41], v[34:35], -v[40:41]
	v_add_f64 v[34:35], v[34:35], -1.0
	s_delay_alu instid0(VALU_DEP_1) | instskip(NEXT) | instid1(VALU_DEP_1)
	v_mul_f64 v[42:43], v[34:35], v[38:39]
	v_mul_f64 v[44:45], v[36:37], v[42:43]
	s_delay_alu instid0(VALU_DEP_1) | instskip(NEXT) | instid1(VALU_DEP_1)
	v_fma_f64 v[36:37], v[42:43], v[36:37], -v[44:45]
	v_fma_f64 v[36:37], v[42:43], v[40:41], v[36:37]
	s_delay_alu instid0(VALU_DEP_1) | instskip(NEXT) | instid1(VALU_DEP_1)
	v_add_f64 v[40:41], v[44:45], v[36:37]
	v_add_f64 v[44:45], v[40:41], -v[44:45]
	s_delay_alu instid0(VALU_DEP_1) | instskip(SKIP_1) | instid1(VALU_DEP_1)
	v_add_f64 v[36:37], v[44:45], -v[36:37]
	v_add_f64 v[44:45], v[34:35], -v[40:41]
	;; [unrolled: 1-line block ×3, first 2 shown]
	s_delay_alu instid0(VALU_DEP_1) | instskip(NEXT) | instid1(VALU_DEP_1)
	v_add_f64 v[34:35], v[34:35], -v[40:41]
	v_add_f64 v[34:35], v[36:37], v[34:35]
	v_cvt_f64_i32_e32 v[36:37], v11
	s_delay_alu instid0(VALU_DEP_2) | instskip(NEXT) | instid1(VALU_DEP_1)
	v_add_f64 v[34:35], v[44:45], v[34:35]
	v_mul_f64 v[34:35], v[38:39], v[34:35]
	s_delay_alu instid0(VALU_DEP_3) | instskip(NEXT) | instid1(VALU_DEP_1)
	v_mul_f64 v[38:39], v[36:37], s[20:21]
	v_fma_f64 v[40:41], v[36:37], s[20:21], -v[38:39]
	s_delay_alu instid0(VALU_DEP_1) | instskip(NEXT) | instid1(VALU_DEP_4)
	v_fma_f64 v[36:37], v[36:37], s[22:23], v[40:41]
	v_add_f64 v[40:41], v[42:43], v[34:35]
	s_delay_alu instid0(VALU_DEP_1) | instskip(NEXT) | instid1(VALU_DEP_1)
	v_add_f64 v[42:43], v[40:41], -v[42:43]
	v_add_f64 v[34:35], v[34:35], -v[42:43]
	v_mul_f64 v[42:43], v[40:41], v[40:41]
	s_delay_alu instid0(VALU_DEP_2) | instskip(NEXT) | instid1(VALU_DEP_2)
	v_ldexp_f64 v[34:35], v[34:35], 1
	v_fma_f64 v[44:45], v[42:43], s[8:9], s[6:7]
	s_delay_alu instid0(VALU_DEP_1) | instskip(NEXT) | instid1(VALU_DEP_1)
	v_fma_f64 v[44:45], v[42:43], v[44:45], s[12:13]
	v_fma_f64 v[44:45], v[42:43], v[44:45], s[14:15]
	s_delay_alu instid0(VALU_DEP_1) | instskip(NEXT) | instid1(VALU_DEP_1)
	v_fma_f64 v[44:45], v[42:43], v[44:45], s[16:17]
	v_fma_f64 v[44:45], v[42:43], v[44:45], s[18:19]
	s_delay_alu instid0(VALU_DEP_1) | instskip(SKIP_2) | instid1(VALU_DEP_2)
	v_fma_f64 v[44:45], v[42:43], v[44:45], s[4:5]
	v_mul_f64 v[42:43], v[40:41], v[42:43]
	v_ldexp_f64 v[40:41], v[40:41], 1
	v_mul_f64 v[42:43], v[42:43], v[44:45]
	s_delay_alu instid0(VALU_DEP_1) | instskip(NEXT) | instid1(VALU_DEP_1)
	v_add_f64 v[44:45], v[40:41], v[42:43]
	v_add_f64 v[40:41], v[44:45], -v[40:41]
	s_delay_alu instid0(VALU_DEP_1) | instskip(NEXT) | instid1(VALU_DEP_1)
	v_add_f64 v[40:41], v[42:43], -v[40:41]
	v_add_f64 v[34:35], v[34:35], v[40:41]
	v_add_f64 v[40:41], v[38:39], v[36:37]
	s_delay_alu instid0(VALU_DEP_1) | instskip(NEXT) | instid1(VALU_DEP_1)
	v_add_f64 v[38:39], v[40:41], -v[38:39]
	v_add_f64 v[36:37], v[36:37], -v[38:39]
	s_delay_alu instid0(VALU_DEP_4) | instskip(NEXT) | instid1(VALU_DEP_1)
	v_add_f64 v[38:39], v[44:45], v[34:35]
	v_add_f64 v[42:43], v[38:39], -v[44:45]
	v_add_f64 v[44:45], v[40:41], v[38:39]
	s_delay_alu instid0(VALU_DEP_2) | instskip(NEXT) | instid1(VALU_DEP_2)
	v_add_f64 v[34:35], v[34:35], -v[42:43]
	v_add_f64 v[46:47], v[44:45], -v[40:41]
	s_delay_alu instid0(VALU_DEP_1) | instskip(SKIP_1) | instid1(VALU_DEP_1)
	v_add_f64 v[38:39], v[38:39], -v[46:47]
	v_add_f64 v[46:47], v[44:45], -v[46:47]
	;; [unrolled: 1-line block ×3, first 2 shown]
	s_delay_alu instid0(VALU_DEP_1) | instskip(SKIP_1) | instid1(VALU_DEP_1)
	v_add_f64 v[38:39], v[38:39], v[40:41]
	v_add_f64 v[40:41], v[36:37], v[34:35]
	v_add_f64 v[42:43], v[40:41], -v[36:37]
	s_delay_alu instid0(VALU_DEP_3) | instskip(NEXT) | instid1(VALU_DEP_2)
	v_add_f64 v[38:39], v[40:41], v[38:39]
	v_add_f64 v[34:35], v[34:35], -v[42:43]
	v_add_f64 v[42:43], v[40:41], -v[42:43]
	s_delay_alu instid0(VALU_DEP_1) | instskip(NEXT) | instid1(VALU_DEP_1)
	v_add_f64 v[36:37], v[36:37], -v[42:43]
	v_add_f64 v[34:35], v[34:35], v[36:37]
	v_add_f64 v[36:37], v[44:45], v[38:39]
	s_delay_alu instid0(VALU_DEP_1) | instskip(NEXT) | instid1(VALU_DEP_1)
	v_add_f64 v[40:41], v[36:37], -v[44:45]
	v_add_f64 v[38:39], v[38:39], -v[40:41]
	s_delay_alu instid0(VALU_DEP_1) | instskip(NEXT) | instid1(VALU_DEP_1)
	v_add_f64 v[34:35], v[34:35], v[38:39]
	v_add_f64 v[34:35], v[36:37], v[34:35]
	s_delay_alu instid0(VALU_DEP_1) | instskip(SKIP_1) | instid1(VALU_DEP_2)
	v_dual_cndmask_b32 v11, v34, v32 :: v_dual_cndmask_b32 v14, v35, v33
	v_cmp_ngt_f64_e32 vcc_lo, 0, v[32:33]
	v_cndmask_b32_e64 v30, 0, v11, s0
	s_delay_alu instid0(VALU_DEP_3) | instskip(NEXT) | instid1(VALU_DEP_1)
	v_cndmask_b32_e32 v14, 0x7ff80000, v14, vcc_lo
	v_cndmask_b32_e64 v31, 0xfff00000, v14, s1
	s_delay_alu instid0(VALU_DEP_1)
	v_add_f64 v[28:29], v[28:29], v[30:31]
.LBB12_274:                             ;   in Loop: Header=BB12_162 Depth=1
	s_or_b32 exec_lo, exec_lo, s57
.LBB12_275:                             ;   in Loop: Header=BB12_162 Depth=1
	s_and_not1_saveexec_b32 s56, s56
	s_cbranch_execz .LBB12_289
; %bb.276:                              ;   in Loop: Header=BB12_162 Depth=1
	s_mov_b32 s5, exec_lo
                                        ; implicit-def: $sgpr0_sgpr1
                                        ; implicit-def: $vgpr11
                                        ; implicit-def: $vgpr30_vgpr31
	v_cmpx_lt_u32_e32 0x3feccccc, v27
	s_xor_b32 s5, exec_lo, s5
; %bb.277:                              ;   in Loop: Header=BB12_162 Depth=1
	v_add_f64 v[28:29], -|v[4:5]|, 2.0
	v_add_f64 v[30:31], |v[4:5]|, s[66:67]
	v_add_f64 v[32:33], |v[4:5]|, -1.0
	v_cmp_gt_u32_e32 vcc_lo, 0x3ffbb4c3, v27
	v_cmp_gt_u32_e64 s0, 0x3ff3b4c4, v27
	v_cndmask_b32_e64 v18, 0, 1, vcc_lo
	v_dual_cndmask_b32 v11, v29, v31 :: v_dual_cndmask_b32 v14, v28, v30
	s_delay_alu instid0(VALU_DEP_1) | instskip(NEXT) | instid1(VALU_DEP_2)
	v_cndmask_b32_e64 v31, v11, v33, s0
	v_cndmask_b32_e64 v30, v14, v32, s0
	s_delay_alu instid0(VALU_DEP_4)
	v_cndmask_b32_e64 v11, v18, 2, s0
	s_mov_b64 s[0:1], 0
; %bb.278:                              ;   in Loop: Header=BB12_162 Depth=1
	s_or_saveexec_b32 s57, s5
	v_dual_mov_b32 v29, s1 :: v_dual_mov_b32 v28, s0
	s_xor_b32 exec_lo, exec_lo, s57
	s_cbranch_execz .LBB12_280
; %bb.279:                              ;   in Loop: Header=BB12_162 Depth=1
	v_add_f64 v[28:29], -|v[4:5]|, 1.0
	v_add_f64 v[30:31], |v[4:5]|, s[68:69]
	v_cmp_gt_u32_e32 vcc_lo, 0x3fe76944, v27
	s_mov_b32 s5, s51
	v_cmp_gt_u32_e64 s1, 0x3fcda661, v27
	s_delay_alu instid0(VALU_DEP_3) | instskip(NEXT) | instid1(VALU_DEP_4)
	v_cndmask_b32_e32 v14, v28, v30, vcc_lo
	v_cndmask_b32_e32 v18, v29, v31, vcc_lo
	v_frexp_mant_f64_e64 v[28:29], |v[4:5]|
	s_delay_alu instid0(VALU_DEP_1) | instskip(NEXT) | instid1(VALU_DEP_1)
	v_cmp_gt_f64_e64 s0, s[50:51], v[28:29]
	v_cndmask_b32_e64 v11, 0x3ff00000, 2.0, s0
	s_delay_alu instid0(VALU_DEP_1) | instskip(SKIP_1) | instid1(VALU_DEP_2)
	v_mul_f64 v[28:29], v[28:29], v[10:11]
	v_frexp_exp_i32_f64_e32 v11, v[4:5]
	v_add_f64 v[30:31], v[28:29], 1.0
	s_delay_alu instid0(VALU_DEP_2) | instskip(SKIP_1) | instid1(VALU_DEP_3)
	v_subrev_co_ci_u32_e64 v11, s0, 0, v11, s0
	v_cmp_class_f64_e64 s0, v[4:5], 0x204
	v_rcp_f64_e32 v[32:33], v[30:31]
	s_waitcnt_depctr 0xfff
	v_fma_f64 v[34:35], -v[30:31], v[32:33], 1.0
	s_delay_alu instid0(VALU_DEP_1) | instskip(NEXT) | instid1(VALU_DEP_1)
	v_fma_f64 v[32:33], v[34:35], v[32:33], v[32:33]
	v_fma_f64 v[34:35], -v[30:31], v[32:33], 1.0
	s_delay_alu instid0(VALU_DEP_1) | instskip(SKIP_1) | instid1(VALU_DEP_1)
	v_fma_f64 v[32:33], v[34:35], v[32:33], v[32:33]
	v_add_f64 v[34:35], v[30:31], -1.0
	v_add_f64 v[34:35], v[28:29], -v[34:35]
	v_add_f64 v[28:29], v[28:29], -1.0
	s_delay_alu instid0(VALU_DEP_1) | instskip(NEXT) | instid1(VALU_DEP_1)
	v_mul_f64 v[36:37], v[28:29], v[32:33]
	v_mul_f64 v[38:39], v[30:31], v[36:37]
	s_delay_alu instid0(VALU_DEP_1) | instskip(NEXT) | instid1(VALU_DEP_1)
	v_fma_f64 v[30:31], v[36:37], v[30:31], -v[38:39]
	v_fma_f64 v[30:31], v[36:37], v[34:35], v[30:31]
	s_delay_alu instid0(VALU_DEP_1) | instskip(NEXT) | instid1(VALU_DEP_1)
	v_add_f64 v[34:35], v[38:39], v[30:31]
	v_add_f64 v[38:39], v[34:35], -v[38:39]
	s_delay_alu instid0(VALU_DEP_1) | instskip(SKIP_1) | instid1(VALU_DEP_1)
	v_add_f64 v[30:31], v[38:39], -v[30:31]
	v_add_f64 v[38:39], v[28:29], -v[34:35]
	;; [unrolled: 1-line block ×3, first 2 shown]
	s_delay_alu instid0(VALU_DEP_1) | instskip(NEXT) | instid1(VALU_DEP_1)
	v_add_f64 v[28:29], v[28:29], -v[34:35]
	v_add_f64 v[28:29], v[30:31], v[28:29]
	v_cvt_f64_i32_e32 v[30:31], v11
	v_and_b32_e32 v11, 0x7fffffff, v5
	s_delay_alu instid0(VALU_DEP_3) | instskip(NEXT) | instid1(VALU_DEP_1)
	v_add_f64 v[28:29], v[38:39], v[28:29]
	v_mul_f64 v[28:29], v[32:33], v[28:29]
	s_delay_alu instid0(VALU_DEP_4) | instskip(NEXT) | instid1(VALU_DEP_1)
	v_mul_f64 v[32:33], v[30:31], s[20:21]
	v_fma_f64 v[34:35], v[30:31], s[20:21], -v[32:33]
	s_delay_alu instid0(VALU_DEP_1) | instskip(NEXT) | instid1(VALU_DEP_4)
	v_fma_f64 v[30:31], v[30:31], s[22:23], v[34:35]
	v_add_f64 v[34:35], v[36:37], v[28:29]
	s_delay_alu instid0(VALU_DEP_1) | instskip(NEXT) | instid1(VALU_DEP_1)
	v_add_f64 v[36:37], v[34:35], -v[36:37]
	v_add_f64 v[28:29], v[28:29], -v[36:37]
	v_mul_f64 v[36:37], v[34:35], v[34:35]
	s_delay_alu instid0(VALU_DEP_2) | instskip(NEXT) | instid1(VALU_DEP_2)
	v_ldexp_f64 v[28:29], v[28:29], 1
	v_fma_f64 v[38:39], v[36:37], s[8:9], s[6:7]
	s_delay_alu instid0(VALU_DEP_1) | instskip(NEXT) | instid1(VALU_DEP_1)
	v_fma_f64 v[38:39], v[36:37], v[38:39], s[12:13]
	v_fma_f64 v[38:39], v[36:37], v[38:39], s[14:15]
	s_delay_alu instid0(VALU_DEP_1) | instskip(NEXT) | instid1(VALU_DEP_1)
	v_fma_f64 v[38:39], v[36:37], v[38:39], s[16:17]
	v_fma_f64 v[38:39], v[36:37], v[38:39], s[18:19]
	s_delay_alu instid0(VALU_DEP_1) | instskip(SKIP_2) | instid1(VALU_DEP_2)
	v_fma_f64 v[38:39], v[36:37], v[38:39], s[4:5]
	v_mul_f64 v[36:37], v[34:35], v[36:37]
	v_ldexp_f64 v[34:35], v[34:35], 1
	v_mul_f64 v[36:37], v[36:37], v[38:39]
	s_delay_alu instid0(VALU_DEP_1) | instskip(NEXT) | instid1(VALU_DEP_1)
	v_add_f64 v[38:39], v[34:35], v[36:37]
	v_add_f64 v[34:35], v[38:39], -v[34:35]
	s_delay_alu instid0(VALU_DEP_1) | instskip(NEXT) | instid1(VALU_DEP_1)
	v_add_f64 v[34:35], v[36:37], -v[34:35]
	v_add_f64 v[28:29], v[28:29], v[34:35]
	v_add_f64 v[34:35], v[32:33], v[30:31]
	s_delay_alu instid0(VALU_DEP_1) | instskip(NEXT) | instid1(VALU_DEP_1)
	v_add_f64 v[32:33], v[34:35], -v[32:33]
	v_add_f64 v[30:31], v[30:31], -v[32:33]
	s_delay_alu instid0(VALU_DEP_4) | instskip(NEXT) | instid1(VALU_DEP_1)
	v_add_f64 v[32:33], v[38:39], v[28:29]
	v_add_f64 v[36:37], v[32:33], -v[38:39]
	v_add_f64 v[38:39], v[34:35], v[32:33]
	s_delay_alu instid0(VALU_DEP_2) | instskip(NEXT) | instid1(VALU_DEP_2)
	v_add_f64 v[28:29], v[28:29], -v[36:37]
	v_add_f64 v[40:41], v[38:39], -v[34:35]
	s_delay_alu instid0(VALU_DEP_1) | instskip(SKIP_1) | instid1(VALU_DEP_1)
	v_add_f64 v[32:33], v[32:33], -v[40:41]
	v_add_f64 v[40:41], v[38:39], -v[40:41]
	;; [unrolled: 1-line block ×3, first 2 shown]
	s_delay_alu instid0(VALU_DEP_1) | instskip(SKIP_1) | instid1(VALU_DEP_1)
	v_add_f64 v[32:33], v[32:33], v[34:35]
	v_add_f64 v[34:35], v[30:31], v[28:29]
	v_add_f64 v[36:37], v[34:35], -v[30:31]
	s_delay_alu instid0(VALU_DEP_3) | instskip(NEXT) | instid1(VALU_DEP_2)
	v_add_f64 v[32:33], v[34:35], v[32:33]
	v_add_f64 v[28:29], v[28:29], -v[36:37]
	v_add_f64 v[36:37], v[34:35], -v[36:37]
	s_delay_alu instid0(VALU_DEP_1) | instskip(NEXT) | instid1(VALU_DEP_1)
	v_add_f64 v[30:31], v[30:31], -v[36:37]
	v_add_f64 v[28:29], v[28:29], v[30:31]
	v_add_f64 v[30:31], v[38:39], v[32:33]
	s_delay_alu instid0(VALU_DEP_1) | instskip(NEXT) | instid1(VALU_DEP_1)
	v_add_f64 v[34:35], v[30:31], -v[38:39]
	v_add_f64 v[32:33], v[32:33], -v[34:35]
	s_delay_alu instid0(VALU_DEP_1) | instskip(NEXT) | instid1(VALU_DEP_1)
	v_add_f64 v[28:29], v[28:29], v[32:33]
	v_add_f64 v[28:29], v[30:31], v[28:29]
	v_cndmask_b32_e64 v31, v18, v11, s1
	v_cndmask_b32_e64 v30, v14, v4, s1
	s_delay_alu instid0(VALU_DEP_3) | instskip(NEXT) | instid1(VALU_DEP_4)
	v_cndmask_b32_e64 v22, v28, v4, s0
	v_cndmask_b32_e64 v26, -v29, -v11, s0
	v_cmp_neq_f64_e64 s0, 0, v[4:5]
	v_cndmask_b32_e64 v11, 0, 1, vcc_lo
	s_delay_alu instid0(VALU_DEP_1) | instskip(NEXT) | instid1(VALU_DEP_3)
	v_cndmask_b32_e64 v11, v11, 2, s1
	v_cndmask_b32_e64 v29, 0x7ff00000, v26, s0
	;; [unrolled: 1-line block ×3, first 2 shown]
.LBB12_280:                             ;   in Loop: Header=BB12_162 Depth=1
	s_or_b32 exec_lo, exec_lo, s57
	s_delay_alu instid0(SALU_CYCLE_1)
	s_mov_b32 s0, exec_lo
                                        ; implicit-def: $vgpr34_vgpr35
	v_cmpx_lt_i32_e32 1, v11
	s_xor_b32 s0, exec_lo, s0
	s_cbranch_execz .LBB12_282
; %bb.281:                              ;   in Loop: Header=BB12_162 Depth=1
	v_fma_f64 v[32:33], v[30:31], s[72:73], s[70:71]
	v_fma_f64 v[34:35], v[30:31], s[82:83], s[80:81]
	s_mov_b32 vcc_lo, s52
                                        ; implicit-def: $vgpr11
	s_delay_alu instid0(VALU_DEP_2) | instskip(NEXT) | instid1(VALU_DEP_2)
	v_fma_f64 v[32:33], v[30:31], v[32:33], s[74:75]
	v_fma_f64 v[34:35], v[30:31], v[34:35], s[84:85]
	s_delay_alu instid0(VALU_DEP_2) | instskip(NEXT) | instid1(VALU_DEP_2)
	v_fma_f64 v[32:33], v[30:31], v[32:33], s[76:77]
	v_fma_f64 v[34:35], v[30:31], v[34:35], s[86:87]
	;; [unrolled: 3-line block ×3, first 2 shown]
	s_delay_alu instid0(VALU_DEP_2) | instskip(NEXT) | instid1(VALU_DEP_2)
	v_fma_f64 v[32:33], v[30:31], v[32:33], vcc
	v_fma_f64 v[34:35], v[30:31], v[34:35], 1.0
	s_delay_alu instid0(VALU_DEP_2) | instskip(NEXT) | instid1(VALU_DEP_1)
	v_mul_f64 v[32:33], v[30:31], v[32:33]
	v_div_scale_f64 v[36:37], null, v[34:35], v[34:35], v[32:33]
	s_delay_alu instid0(VALU_DEP_1) | instskip(SKIP_2) | instid1(VALU_DEP_1)
	v_rcp_f64_e32 v[38:39], v[36:37]
	s_waitcnt_depctr 0xfff
	v_fma_f64 v[40:41], -v[36:37], v[38:39], 1.0
	v_fma_f64 v[38:39], v[38:39], v[40:41], v[38:39]
	s_delay_alu instid0(VALU_DEP_1) | instskip(NEXT) | instid1(VALU_DEP_1)
	v_fma_f64 v[40:41], -v[36:37], v[38:39], 1.0
	v_fma_f64 v[38:39], v[38:39], v[40:41], v[38:39]
	v_div_scale_f64 v[40:41], vcc_lo, v[32:33], v[34:35], v[32:33]
	s_delay_alu instid0(VALU_DEP_1) | instskip(NEXT) | instid1(VALU_DEP_1)
	v_mul_f64 v[42:43], v[40:41], v[38:39]
	v_fma_f64 v[36:37], -v[36:37], v[42:43], v[40:41]
	s_delay_alu instid0(VALU_DEP_1) | instskip(NEXT) | instid1(VALU_DEP_1)
	v_div_fmas_f64 v[36:37], v[36:37], v[38:39], v[42:43]
	v_div_fixup_f64 v[32:33], v[36:37], v[34:35], v[32:33]
	s_delay_alu instid0(VALU_DEP_1)
	v_fma_f64 v[34:35], v[30:31], -0.5, v[32:33]
                                        ; implicit-def: $vgpr30_vgpr31
.LBB12_282:                             ;   in Loop: Header=BB12_162 Depth=1
	s_and_not1_saveexec_b32 s0, s0
	s_cbranch_execz .LBB12_288
; %bb.283:                              ;   in Loop: Header=BB12_162 Depth=1
	v_mul_f64 v[32:33], v[30:31], v[30:31]
	s_mov_b32 s1, exec_lo
                                        ; implicit-def: $vgpr34_vgpr35
	v_cmpx_ne_u32_e32 1, v11
	s_xor_b32 s1, exec_lo, s1
	s_cbranch_execz .LBB12_285
; %bb.284:                              ;   in Loop: Header=BB12_162 Depth=1
	s_mov_b32 s62, 0x987dfb07
	s_mov_b32 s64, 0x90a45837
	;; [unrolled: 1-line block ×4, first 2 shown]
	s_delay_alu instid0(VALU_DEP_2) | instid1(SALU_CYCLE_1)
	v_fma_f64 v[34:35], v[32:33], s[64:65], s[62:63]
	s_mov_b32 s62, 0xed10e54d
	s_mov_b32 s64, 0x428cfa52
	;; [unrolled: 1-line block ×4, first 2 shown]
	s_delay_alu instid0(SALU_CYCLE_1) | instskip(SKIP_4) | instid1(VALU_DEP_2)
	v_fma_f64 v[36:37], v[32:33], s[64:65], s[62:63]
	s_mov_b32 s62, 0x89b99c00
	s_mov_b32 s63, 0x3f40b6c6
	;; [unrolled: 1-line block ×4, first 2 shown]
	v_fma_f64 v[34:35], v[32:33], v[34:35], s[62:63]
	s_mov_b32 s62, 0x116f3f5d
	s_mov_b32 s63, 0x3f538a94
	s_delay_alu instid0(VALU_DEP_2) | instid1(SALU_CYCLE_1)
	v_fma_f64 v[36:37], v[32:33], v[36:37], s[62:63]
	s_mov_b32 s62, 0xccb7926b
	s_mov_b32 s63, 0x3f67add8
	s_delay_alu instid0(VALU_DEP_2) | instid1(SALU_CYCLE_1)
	;; [unrolled: 4-line block ×6, first 2 shown]
	v_fma_f64 v[34:35], v[32:33], v[34:35], s[62:63]
	s_delay_alu instid0(VALU_DEP_2) | instskip(NEXT) | instid1(VALU_DEP_2)
	v_fma_f64 v[36:37], v[32:33], v[36:37], s[52:53]
	v_mul_f64 v[32:33], v[32:33], v[34:35]
	s_delay_alu instid0(VALU_DEP_1) | instskip(NEXT) | instid1(VALU_DEP_1)
	v_fma_f64 v[32:33], v[30:31], v[36:37], v[32:33]
	v_fma_f64 v[34:35], v[30:31], -0.5, v[32:33]
                                        ; implicit-def: $vgpr30_vgpr31
                                        ; implicit-def: $vgpr32_vgpr33
.LBB12_285:                             ;   in Loop: Header=BB12_162 Depth=1
	s_and_not1_saveexec_b32 s1, s1
	s_cbranch_execz .LBB12_287
; %bb.286:                              ;   in Loop: Header=BB12_162 Depth=1
	s_delay_alu instid0(VALU_DEP_2)
	v_mul_f64 v[34:35], v[30:31], v[32:33]
	s_mov_b32 s62, 0xef61a8e9
	s_mov_b32 s66, 0xecc38c38
	;; [unrolled: 1-line block ×4, first 2 shown]
	s_delay_alu instid0(VALU_DEP_1) | instid1(SALU_CYCLE_1)
	v_fma_f64 v[36:37], v[34:35], s[66:67], s[62:63]
	s_mov_b32 s62, 0x9c73e0ec
	s_mov_b32 s66, 0xe8c2d3f4
	;; [unrolled: 1-line block ×4, first 2 shown]
	s_delay_alu instid0(SALU_CYCLE_1) | instskip(SKIP_4) | instid1(VALU_DEP_2)
	v_fma_f64 v[38:39], v[34:35], s[66:67], s[62:63]
	s_mov_b32 s62, 0xb3e914d7
	s_mov_b32 s63, 0xbf6e2eff
	;; [unrolled: 1-line block ×4, first 2 shown]
	v_fma_f64 v[36:37], v[34:35], v[36:37], s[62:63]
	s_mov_b32 s62, 0x2e15c915
	s_mov_b32 s63, 0x3f6282d3
	s_delay_alu instid0(VALU_DEP_2) | instid1(SALU_CYCLE_1)
	v_fma_f64 v[38:39], v[34:35], v[38:39], s[62:63]
	s_mov_b32 s62, 0xbf2d1af1
	s_mov_b32 s63, 0xbf56fe8e
	s_delay_alu instid0(SALU_CYCLE_1) | instskip(SKIP_4) | instid1(VALU_DEP_3)
	v_fma_f64 v[40:41], v[34:35], s[66:67], s[62:63]
	s_mov_b32 s62, 0x970af9ec
	s_mov_b32 s63, 0x3f9266e7
	;; [unrolled: 1-line block ×4, first 2 shown]
	v_fma_f64 v[36:37], v[34:35], v[36:37], s[62:63]
	s_mov_b32 s62, 0xba91ec6a
	s_mov_b32 s63, 0xbf851f9f
	s_delay_alu instid0(VALU_DEP_3) | instid1(SALU_CYCLE_1)
	v_fma_f64 v[38:39], v[34:35], v[38:39], s[62:63]
	s_mov_b32 s62, 0xe370e344
	s_mov_b32 s63, 0x3f78fce0
	s_delay_alu instid0(VALU_DEP_3) | instid1(SALU_CYCLE_1)
	;; [unrolled: 4-line block ×5, first 2 shown]
	v_fma_f64 v[40:41], v[34:35], v[40:41], s[62:63]
	s_mov_b32 s62, 0xc8ee38a2
	s_mov_b32 s63, 0x3fdef72b
	s_delay_alu instid0(VALU_DEP_2) | instskip(NEXT) | instid1(VALU_DEP_2)
	v_fma_f64 v[30:31], v[30:31], v[38:39], v[36:37]
	v_fma_f64 v[36:37], v[34:35], v[40:41], s[62:63]
	s_mov_b32 s62, 0xa48a971f
	s_mov_b32 s63, 0xbc50c7ca
	s_delay_alu instid0(VALU_DEP_2) | instid1(SALU_CYCLE_1)
	v_fma_f64 v[30:31], v[34:35], -v[30:31], s[62:63]
	s_mov_b32 s62, 0xbcc38a42
	s_mov_b32 s63, 0xbfbf19b9
	s_delay_alu instid0(VALU_DEP_1) | instskip(NEXT) | instid1(VALU_DEP_1)
	v_fma_f64 v[30:31], v[32:33], v[36:37], -v[30:31]
	v_add_f64 v[34:35], v[30:31], s[62:63]
.LBB12_287:                             ;   in Loop: Header=BB12_162 Depth=1
	s_or_b32 exec_lo, exec_lo, s1
.LBB12_288:                             ;   in Loop: Header=BB12_162 Depth=1
	s_delay_alu instid0(SALU_CYCLE_1) | instskip(NEXT) | instid1(VALU_DEP_1)
	s_or_b32 exec_lo, exec_lo, s0
	v_add_f64 v[28:29], v[28:29], v[34:35]
.LBB12_289:                             ;   in Loop: Header=BB12_162 Depth=1
	s_or_b32 exec_lo, exec_lo, s56
.LBB12_290:                             ;   in Loop: Header=BB12_162 Depth=1
	s_and_not1_saveexec_b32 s1, s55
	s_cbranch_execz .LBB12_292
; %bb.291:                              ;   in Loop: Header=BB12_162 Depth=1
	v_frexp_mant_f64_e64 v[28:29], |v[4:5]|
	s_mov_b32 s5, s51
	v_cmp_neq_f64_e64 s0, 0, v[4:5]
	s_delay_alu instid0(VALU_DEP_2) | instskip(SKIP_1) | instid1(VALU_DEP_1)
	v_cmp_gt_f64_e32 vcc_lo, s[50:51], v[28:29]
	v_cndmask_b32_e64 v11, 0x3ff00000, 2.0, vcc_lo
	v_mul_f64 v[28:29], v[28:29], v[10:11]
	v_frexp_exp_i32_f64_e32 v11, v[4:5]
	s_delay_alu instid0(VALU_DEP_2) | instskip(NEXT) | instid1(VALU_DEP_2)
	v_add_f64 v[30:31], v[28:29], 1.0
	v_subrev_co_ci_u32_e32 v11, vcc_lo, 0, v11, vcc_lo
	v_cmp_class_f64_e64 vcc_lo, v[4:5], 0x204
	s_delay_alu instid0(VALU_DEP_3) | instskip(SKIP_2) | instid1(VALU_DEP_1)
	v_rcp_f64_e32 v[32:33], v[30:31]
	s_waitcnt_depctr 0xfff
	v_fma_f64 v[34:35], -v[30:31], v[32:33], 1.0
	v_fma_f64 v[32:33], v[34:35], v[32:33], v[32:33]
	s_delay_alu instid0(VALU_DEP_1) | instskip(NEXT) | instid1(VALU_DEP_1)
	v_fma_f64 v[34:35], -v[30:31], v[32:33], 1.0
	v_fma_f64 v[32:33], v[34:35], v[32:33], v[32:33]
	v_add_f64 v[34:35], v[30:31], -1.0
	s_delay_alu instid0(VALU_DEP_1) | instskip(SKIP_1) | instid1(VALU_DEP_1)
	v_add_f64 v[34:35], v[28:29], -v[34:35]
	v_add_f64 v[28:29], v[28:29], -1.0
	v_mul_f64 v[36:37], v[28:29], v[32:33]
	s_delay_alu instid0(VALU_DEP_1) | instskip(NEXT) | instid1(VALU_DEP_1)
	v_mul_f64 v[38:39], v[30:31], v[36:37]
	v_fma_f64 v[30:31], v[36:37], v[30:31], -v[38:39]
	s_delay_alu instid0(VALU_DEP_1) | instskip(NEXT) | instid1(VALU_DEP_1)
	v_fma_f64 v[30:31], v[36:37], v[34:35], v[30:31]
	v_add_f64 v[34:35], v[38:39], v[30:31]
	s_delay_alu instid0(VALU_DEP_1) | instskip(NEXT) | instid1(VALU_DEP_1)
	v_add_f64 v[38:39], v[34:35], -v[38:39]
	v_add_f64 v[30:31], v[38:39], -v[30:31]
	;; [unrolled: 1-line block ×3, first 2 shown]
	s_delay_alu instid0(VALU_DEP_1) | instskip(NEXT) | instid1(VALU_DEP_1)
	v_add_f64 v[28:29], v[28:29], -v[38:39]
	v_add_f64 v[28:29], v[28:29], -v[34:35]
	s_delay_alu instid0(VALU_DEP_1) | instskip(SKIP_1) | instid1(VALU_DEP_2)
	v_add_f64 v[28:29], v[30:31], v[28:29]
	v_cvt_f64_i32_e32 v[30:31], v11
	v_add_f64 v[28:29], v[38:39], v[28:29]
	s_delay_alu instid0(VALU_DEP_1) | instskip(NEXT) | instid1(VALU_DEP_3)
	v_mul_f64 v[28:29], v[32:33], v[28:29]
	v_mul_f64 v[32:33], v[30:31], s[20:21]
	s_delay_alu instid0(VALU_DEP_1) | instskip(NEXT) | instid1(VALU_DEP_1)
	v_fma_f64 v[34:35], v[30:31], s[20:21], -v[32:33]
	v_fma_f64 v[30:31], v[30:31], s[22:23], v[34:35]
	s_delay_alu instid0(VALU_DEP_4) | instskip(NEXT) | instid1(VALU_DEP_1)
	v_add_f64 v[34:35], v[36:37], v[28:29]
	v_add_f64 v[36:37], v[34:35], -v[36:37]
	s_delay_alu instid0(VALU_DEP_1) | instskip(SKIP_1) | instid1(VALU_DEP_2)
	v_add_f64 v[28:29], v[28:29], -v[36:37]
	v_mul_f64 v[36:37], v[34:35], v[34:35]
	v_ldexp_f64 v[28:29], v[28:29], 1
	s_delay_alu instid0(VALU_DEP_2) | instskip(NEXT) | instid1(VALU_DEP_1)
	v_fma_f64 v[38:39], v[36:37], s[8:9], s[6:7]
	v_fma_f64 v[38:39], v[36:37], v[38:39], s[12:13]
	s_delay_alu instid0(VALU_DEP_1) | instskip(NEXT) | instid1(VALU_DEP_1)
	v_fma_f64 v[38:39], v[36:37], v[38:39], s[14:15]
	v_fma_f64 v[38:39], v[36:37], v[38:39], s[16:17]
	s_delay_alu instid0(VALU_DEP_1) | instskip(NEXT) | instid1(VALU_DEP_1)
	v_fma_f64 v[38:39], v[36:37], v[38:39], s[18:19]
	v_fma_f64 v[38:39], v[36:37], v[38:39], s[4:5]
	v_mul_f64 v[36:37], v[34:35], v[36:37]
	v_ldexp_f64 v[34:35], v[34:35], 1
	s_delay_alu instid0(VALU_DEP_2) | instskip(NEXT) | instid1(VALU_DEP_1)
	v_mul_f64 v[36:37], v[36:37], v[38:39]
	v_add_f64 v[38:39], v[34:35], v[36:37]
	s_delay_alu instid0(VALU_DEP_1) | instskip(NEXT) | instid1(VALU_DEP_1)
	v_add_f64 v[34:35], v[38:39], -v[34:35]
	v_add_f64 v[34:35], v[36:37], -v[34:35]
	s_delay_alu instid0(VALU_DEP_1) | instskip(SKIP_1) | instid1(VALU_DEP_1)
	v_add_f64 v[28:29], v[28:29], v[34:35]
	v_add_f64 v[34:35], v[32:33], v[30:31]
	v_add_f64 v[32:33], v[34:35], -v[32:33]
	s_delay_alu instid0(VALU_DEP_1) | instskip(NEXT) | instid1(VALU_DEP_4)
	v_add_f64 v[30:31], v[30:31], -v[32:33]
	v_add_f64 v[32:33], v[38:39], v[28:29]
	s_delay_alu instid0(VALU_DEP_1) | instskip(SKIP_1) | instid1(VALU_DEP_2)
	v_add_f64 v[36:37], v[32:33], -v[38:39]
	v_add_f64 v[38:39], v[34:35], v[32:33]
	v_add_f64 v[28:29], v[28:29], -v[36:37]
	s_delay_alu instid0(VALU_DEP_2) | instskip(NEXT) | instid1(VALU_DEP_1)
	v_add_f64 v[40:41], v[38:39], -v[34:35]
	v_add_f64 v[32:33], v[32:33], -v[40:41]
	v_add_f64 v[40:41], v[38:39], -v[40:41]
	s_delay_alu instid0(VALU_DEP_1) | instskip(NEXT) | instid1(VALU_DEP_1)
	v_add_f64 v[34:35], v[34:35], -v[40:41]
	v_add_f64 v[32:33], v[32:33], v[34:35]
	v_add_f64 v[34:35], v[30:31], v[28:29]
	s_delay_alu instid0(VALU_DEP_1) | instskip(NEXT) | instid1(VALU_DEP_3)
	v_add_f64 v[36:37], v[34:35], -v[30:31]
	v_add_f64 v[32:33], v[34:35], v[32:33]
	s_delay_alu instid0(VALU_DEP_2) | instskip(SKIP_1) | instid1(VALU_DEP_1)
	v_add_f64 v[28:29], v[28:29], -v[36:37]
	v_add_f64 v[36:37], v[34:35], -v[36:37]
	;; [unrolled: 1-line block ×3, first 2 shown]
	s_delay_alu instid0(VALU_DEP_1) | instskip(SKIP_1) | instid1(VALU_DEP_1)
	v_add_f64 v[28:29], v[28:29], v[30:31]
	v_add_f64 v[30:31], v[38:39], v[32:33]
	v_add_f64 v[34:35], v[30:31], -v[38:39]
	s_delay_alu instid0(VALU_DEP_1) | instskip(NEXT) | instid1(VALU_DEP_1)
	v_add_f64 v[32:33], v[32:33], -v[34:35]
	v_add_f64 v[28:29], v[28:29], v[32:33]
	v_fma_f64 v[32:33], |v[4:5]|, s[92:93], s[90:91]
	s_delay_alu instid0(VALU_DEP_2) | instskip(NEXT) | instid1(VALU_DEP_2)
	v_add_f64 v[28:29], v[30:31], v[28:29]
	v_fma_f64 v[32:33], |v[4:5]|, v[32:33], s[94:95]
	s_delay_alu instid0(VALU_DEP_2) | instskip(NEXT) | instid1(VALU_DEP_2)
	v_dual_cndmask_b32 v14, v28, v4 :: v_dual_and_b32 v11, 0x7fffffff, v5
	v_fma_f64 v[32:33], |v[4:5]|, v[32:33], s[96:97]
	s_delay_alu instid0(VALU_DEP_2) | instskip(NEXT) | instid1(VALU_DEP_3)
	v_cndmask_b32_e64 v11, -v29, -v11, vcc_lo
	v_cndmask_b32_e64 v28, 0, v14, s0
	s_delay_alu instid0(VALU_DEP_2) | instskip(NEXT) | instid1(VALU_DEP_4)
	v_cndmask_b32_e64 v29, 0x7ff00000, v11, s0
	v_fma_f64 v[30:31], |v[4:5]|, v[32:33], s[98:99]
	s_delay_alu instid0(VALU_DEP_1)
	v_fma_f64 v[28:29], |v[4:5]|, v[30:31], v[28:29]
.LBB12_292:                             ;   in Loop: Header=BB12_162 Depth=1
	s_or_b32 exec_lo, exec_lo, s1
	s_delay_alu instid0(SALU_CYCLE_1)
	s_mov_b32 s0, exec_lo
	v_cmpx_le_f64_e32 0, v[4:5]
	s_xor_b32 s1, exec_lo, s0
; %bb.293:                              ;   in Loop: Header=BB12_162 Depth=1
	v_cmp_eq_f64_e32 vcc_lo, 1.0, v[4:5]
	v_cmp_eq_f64_e64 s0, 2.0, v[4:5]
	s_delay_alu instid0(VALU_DEP_1)
	s_or_b32 s0, vcc_lo, s0
	s_delay_alu instid0(VALU_DEP_4) | instid1(SALU_CYCLE_1)
	v_cndmask_b32_e64 v29, v29, 0, s0
	v_cndmask_b32_e64 v28, v28, 0, s0
; %bb.294:                              ;   in Loop: Header=BB12_162 Depth=1
	s_and_not1_saveexec_b32 s1, s1
	s_cbranch_execz .LBB12_161
; %bb.295:                              ;   in Loop: Header=BB12_162 Depth=1
	v_add_nc_u32_e32 v11, 0xc32fffff, v27
	s_mov_b32 s55, exec_lo
	s_delay_alu instid0(VALU_DEP_1)
	v_cmpx_gt_u32_e32 0x65fffff, v11
	s_cbranch_execz .LBB12_160
; %bb.296:                              ;   in Loop: Header=BB12_162 Depth=1
	v_mul_f64 v[30:31], |v[4:5]|, 0.5
	v_cmp_gt_f64_e64 s0, |v[4:5]|, 1.0
	s_mov_b32 s5, s51
	s_delay_alu instid0(VALU_DEP_2) | instskip(SKIP_1) | instid1(VALU_DEP_2)
	v_fract_f64_e32 v[32:33], v[30:31]
	v_cmp_neq_f64_e64 vcc_lo, 0x7ff00000, |v[30:31]|
	v_add_f64 v[30:31], v[32:33], v[32:33]
	s_delay_alu instid0(VALU_DEP_1) | instskip(NEXT) | instid1(VALU_DEP_2)
	v_dual_cndmask_b32 v14, 0, v31 :: v_dual_and_b32 v11, 0x7fffffff, v5
	v_cndmask_b32_e32 v18, 0, v30, vcc_lo
	s_delay_alu instid0(VALU_DEP_2) | instskip(NEXT) | instid1(VALU_DEP_2)
	v_cndmask_b32_e64 v31, v11, v14, s0
	v_cndmask_b32_e64 v30, v4, v18, s0
	s_delay_alu instid0(VALU_DEP_1) | instskip(NEXT) | instid1(VALU_DEP_1)
	v_add_f64 v[32:33], v[30:31], v[30:31]
	v_rndne_f64_e32 v[32:33], v[32:33]
	s_delay_alu instid0(VALU_DEP_1) | instskip(SKIP_1) | instid1(VALU_DEP_2)
	v_fma_f64 v[30:31], v[32:33], -0.5, v[30:31]
	v_cvt_i32_f64_e32 v11, v[32:33]
	v_mul_f64 v[34:35], v[30:31], v[30:31]
	s_delay_alu instid0(VALU_DEP_2) | instskip(SKIP_1) | instid1(VALU_DEP_2)
	v_and_b32_e32 v14, 1, v11
	v_lshlrev_b32_e32 v11, 30, v11
	v_cmp_eq_u32_e32 vcc_lo, 0, v14
	s_delay_alu instid0(VALU_DEP_2) | instskip(NEXT) | instid1(VALU_DEP_1)
	v_xor_b32_e32 v11, v11, v5
	v_and_b32_e32 v11, 0x80000000, v11
	v_fma_f64 v[36:37], v[34:35], s[102:103], s[100:101]
	v_mul_f64 v[38:39], v[30:31], v[34:35]
	s_delay_alu instid0(VALU_DEP_2) | instskip(NEXT) | instid1(VALU_DEP_1)
	v_fma_f64 v[36:37], v[34:35], v[36:37], s[24:25]
	v_fma_f64 v[36:37], v[34:35], v[36:37], s[26:27]
	s_delay_alu instid0(VALU_DEP_1) | instskip(NEXT) | instid1(VALU_DEP_1)
	v_fma_f64 v[36:37], v[34:35], v[36:37], s[28:29]
	v_fma_f64 v[36:37], v[34:35], v[36:37], s[30:31]
	s_delay_alu instid0(VALU_DEP_1) | instskip(NEXT) | instid1(VALU_DEP_1)
	v_mul_f64 v[36:37], v[38:39], v[36:37]
	v_fma_f64 v[30:31], v[30:31], s[34:35], v[36:37]
	v_fma_f64 v[36:37], v[34:35], s[38:39], s[36:37]
	s_delay_alu instid0(VALU_DEP_1) | instskip(NEXT) | instid1(VALU_DEP_1)
	v_fma_f64 v[36:37], v[34:35], v[36:37], s[40:41]
	v_fma_f64 v[36:37], v[34:35], v[36:37], s[42:43]
	s_delay_alu instid0(VALU_DEP_1) | instskip(NEXT) | instid1(VALU_DEP_1)
	;; [unrolled: 3-line block ×3, first 2 shown]
	v_fma_f64 v[36:37], v[34:35], v[36:37], s[48:49]
	v_fma_f64 v[34:35], v[34:35], v[36:37], 1.0
	s_delay_alu instid0(VALU_DEP_1) | instskip(NEXT) | instid1(VALU_DEP_2)
	v_cndmask_b32_e32 v14, v34, v30, vcc_lo
	v_cndmask_b32_e32 v18, v35, v31, vcc_lo
	v_cmp_class_f64_e64 vcc_lo, v[4:5], 0x1f8
	s_delay_alu instid0(VALU_DEP_2) | instskip(NEXT) | instid1(VALU_DEP_4)
	v_xor_b32_e32 v11, v18, v11
	v_cndmask_b32_e32 v30, 0, v14, vcc_lo
	s_delay_alu instid0(VALU_DEP_2) | instskip(NEXT) | instid1(VALU_DEP_1)
	v_cndmask_b32_e32 v31, 0x7ff80000, v11, vcc_lo
	v_mul_f64 v[30:31], v[4:5], v[30:31]
	s_delay_alu instid0(VALU_DEP_1) | instskip(NEXT) | instid1(VALU_DEP_1)
	v_dual_mov_b32 v32, v30 :: v_dual_and_b32 v33, 0x7fffffff, v31
	v_div_scale_f64 v[34:35], null, v[32:33], v[32:33], s[34:35]
	v_div_scale_f64 v[32:33], vcc_lo, s[34:35], v[32:33], s[34:35]
	s_delay_alu instid0(VALU_DEP_2) | instskip(SKIP_2) | instid1(VALU_DEP_1)
	v_rcp_f64_e32 v[36:37], v[34:35]
	s_waitcnt_depctr 0xfff
	v_fma_f64 v[38:39], -v[34:35], v[36:37], 1.0
	v_fma_f64 v[36:37], v[36:37], v[38:39], v[36:37]
	s_delay_alu instid0(VALU_DEP_1) | instskip(NEXT) | instid1(VALU_DEP_1)
	v_fma_f64 v[38:39], -v[34:35], v[36:37], 1.0
	v_fma_f64 v[36:37], v[36:37], v[38:39], v[36:37]
	s_delay_alu instid0(VALU_DEP_1) | instskip(NEXT) | instid1(VALU_DEP_1)
	v_mul_f64 v[38:39], v[32:33], v[36:37]
	v_fma_f64 v[32:33], -v[34:35], v[38:39], v[32:33]
	s_delay_alu instid0(VALU_DEP_1) | instskip(NEXT) | instid1(VALU_DEP_1)
	v_div_fmas_f64 v[32:33], v[32:33], v[36:37], v[38:39]
	v_div_fixup_f64 v[30:31], v[32:33], |v[30:31]|, s[34:35]
	s_delay_alu instid0(VALU_DEP_1) | instskip(SKIP_1) | instid1(VALU_DEP_2)
	v_frexp_mant_f64_e32 v[32:33], v[30:31]
	v_cmp_neq_f64_e64 s0, 0, v[30:31]
	v_cmp_gt_f64_e32 vcc_lo, s[50:51], v[32:33]
	v_cndmask_b32_e64 v11, 0x3ff00000, 2.0, vcc_lo
	s_delay_alu instid0(VALU_DEP_1) | instskip(SKIP_1) | instid1(VALU_DEP_2)
	v_mul_f64 v[32:33], v[32:33], v[10:11]
	v_frexp_exp_i32_f64_e32 v11, v[30:31]
	v_add_f64 v[34:35], v[32:33], 1.0
	s_delay_alu instid0(VALU_DEP_2) | instskip(SKIP_1) | instid1(VALU_DEP_3)
	v_subrev_co_ci_u32_e32 v11, vcc_lo, 0, v11, vcc_lo
	v_cmp_class_f64_e64 vcc_lo, v[30:31], 0x204
	v_rcp_f64_e32 v[36:37], v[34:35]
	s_waitcnt_depctr 0xfff
	v_fma_f64 v[38:39], -v[34:35], v[36:37], 1.0
	s_delay_alu instid0(VALU_DEP_1) | instskip(NEXT) | instid1(VALU_DEP_1)
	v_fma_f64 v[36:37], v[38:39], v[36:37], v[36:37]
	v_fma_f64 v[38:39], -v[34:35], v[36:37], 1.0
	s_delay_alu instid0(VALU_DEP_1) | instskip(SKIP_1) | instid1(VALU_DEP_1)
	v_fma_f64 v[36:37], v[38:39], v[36:37], v[36:37]
	v_add_f64 v[38:39], v[34:35], -1.0
	v_add_f64 v[38:39], v[32:33], -v[38:39]
	v_add_f64 v[32:33], v[32:33], -1.0
	s_delay_alu instid0(VALU_DEP_1) | instskip(NEXT) | instid1(VALU_DEP_1)
	v_mul_f64 v[40:41], v[32:33], v[36:37]
	v_mul_f64 v[42:43], v[34:35], v[40:41]
	s_delay_alu instid0(VALU_DEP_1) | instskip(NEXT) | instid1(VALU_DEP_1)
	v_fma_f64 v[34:35], v[40:41], v[34:35], -v[42:43]
	v_fma_f64 v[34:35], v[40:41], v[38:39], v[34:35]
	s_delay_alu instid0(VALU_DEP_1) | instskip(NEXT) | instid1(VALU_DEP_1)
	v_add_f64 v[38:39], v[42:43], v[34:35]
	v_add_f64 v[42:43], v[38:39], -v[42:43]
	s_delay_alu instid0(VALU_DEP_1) | instskip(SKIP_1) | instid1(VALU_DEP_1)
	v_add_f64 v[34:35], v[42:43], -v[34:35]
	v_add_f64 v[42:43], v[32:33], -v[38:39]
	;; [unrolled: 1-line block ×3, first 2 shown]
	s_delay_alu instid0(VALU_DEP_1) | instskip(NEXT) | instid1(VALU_DEP_1)
	v_add_f64 v[32:33], v[32:33], -v[38:39]
	v_add_f64 v[32:33], v[34:35], v[32:33]
	v_cvt_f64_i32_e32 v[34:35], v11
	s_delay_alu instid0(VALU_DEP_2) | instskip(NEXT) | instid1(VALU_DEP_1)
	v_add_f64 v[32:33], v[42:43], v[32:33]
	v_mul_f64 v[32:33], v[36:37], v[32:33]
	s_delay_alu instid0(VALU_DEP_3) | instskip(NEXT) | instid1(VALU_DEP_1)
	v_mul_f64 v[36:37], v[34:35], s[20:21]
	v_fma_f64 v[38:39], v[34:35], s[20:21], -v[36:37]
	s_delay_alu instid0(VALU_DEP_1) | instskip(NEXT) | instid1(VALU_DEP_4)
	v_fma_f64 v[34:35], v[34:35], s[22:23], v[38:39]
	v_add_f64 v[38:39], v[40:41], v[32:33]
	s_delay_alu instid0(VALU_DEP_1) | instskip(NEXT) | instid1(VALU_DEP_1)
	v_add_f64 v[40:41], v[38:39], -v[40:41]
	v_add_f64 v[32:33], v[32:33], -v[40:41]
	v_mul_f64 v[40:41], v[38:39], v[38:39]
	s_delay_alu instid0(VALU_DEP_2) | instskip(NEXT) | instid1(VALU_DEP_2)
	v_ldexp_f64 v[32:33], v[32:33], 1
	v_fma_f64 v[42:43], v[40:41], s[8:9], s[6:7]
	s_delay_alu instid0(VALU_DEP_1) | instskip(NEXT) | instid1(VALU_DEP_1)
	v_fma_f64 v[42:43], v[40:41], v[42:43], s[12:13]
	v_fma_f64 v[42:43], v[40:41], v[42:43], s[14:15]
	s_delay_alu instid0(VALU_DEP_1) | instskip(NEXT) | instid1(VALU_DEP_1)
	v_fma_f64 v[42:43], v[40:41], v[42:43], s[16:17]
	v_fma_f64 v[42:43], v[40:41], v[42:43], s[18:19]
	s_delay_alu instid0(VALU_DEP_1) | instskip(SKIP_2) | instid1(VALU_DEP_2)
	v_fma_f64 v[42:43], v[40:41], v[42:43], s[4:5]
	v_mul_f64 v[40:41], v[38:39], v[40:41]
	v_ldexp_f64 v[38:39], v[38:39], 1
	v_mul_f64 v[40:41], v[40:41], v[42:43]
	s_delay_alu instid0(VALU_DEP_1) | instskip(NEXT) | instid1(VALU_DEP_1)
	v_add_f64 v[42:43], v[38:39], v[40:41]
	v_add_f64 v[38:39], v[42:43], -v[38:39]
	s_delay_alu instid0(VALU_DEP_1) | instskip(NEXT) | instid1(VALU_DEP_1)
	v_add_f64 v[38:39], v[40:41], -v[38:39]
	v_add_f64 v[32:33], v[32:33], v[38:39]
	v_add_f64 v[38:39], v[36:37], v[34:35]
	s_delay_alu instid0(VALU_DEP_1) | instskip(NEXT) | instid1(VALU_DEP_1)
	v_add_f64 v[36:37], v[38:39], -v[36:37]
	v_add_f64 v[34:35], v[34:35], -v[36:37]
	s_delay_alu instid0(VALU_DEP_4) | instskip(NEXT) | instid1(VALU_DEP_1)
	v_add_f64 v[36:37], v[42:43], v[32:33]
	v_add_f64 v[40:41], v[36:37], -v[42:43]
	v_add_f64 v[42:43], v[38:39], v[36:37]
	s_delay_alu instid0(VALU_DEP_2) | instskip(NEXT) | instid1(VALU_DEP_2)
	v_add_f64 v[32:33], v[32:33], -v[40:41]
	v_add_f64 v[44:45], v[42:43], -v[38:39]
	s_delay_alu instid0(VALU_DEP_1) | instskip(SKIP_1) | instid1(VALU_DEP_1)
	v_add_f64 v[36:37], v[36:37], -v[44:45]
	v_add_f64 v[44:45], v[42:43], -v[44:45]
	;; [unrolled: 1-line block ×3, first 2 shown]
	s_delay_alu instid0(VALU_DEP_1) | instskip(SKIP_1) | instid1(VALU_DEP_1)
	v_add_f64 v[36:37], v[36:37], v[38:39]
	v_add_f64 v[38:39], v[34:35], v[32:33]
	v_add_f64 v[40:41], v[38:39], -v[34:35]
	s_delay_alu instid0(VALU_DEP_3) | instskip(NEXT) | instid1(VALU_DEP_2)
	v_add_f64 v[36:37], v[38:39], v[36:37]
	v_add_f64 v[32:33], v[32:33], -v[40:41]
	v_add_f64 v[40:41], v[38:39], -v[40:41]
	s_delay_alu instid0(VALU_DEP_1) | instskip(NEXT) | instid1(VALU_DEP_1)
	v_add_f64 v[34:35], v[34:35], -v[40:41]
	v_add_f64 v[32:33], v[32:33], v[34:35]
	v_add_f64 v[34:35], v[42:43], v[36:37]
	s_delay_alu instid0(VALU_DEP_1) | instskip(NEXT) | instid1(VALU_DEP_1)
	v_add_f64 v[38:39], v[34:35], -v[42:43]
	v_add_f64 v[36:37], v[36:37], -v[38:39]
	s_delay_alu instid0(VALU_DEP_1) | instskip(NEXT) | instid1(VALU_DEP_1)
	v_add_f64 v[32:33], v[32:33], v[36:37]
	v_add_f64 v[32:33], v[34:35], v[32:33]
	s_delay_alu instid0(VALU_DEP_1) | instskip(SKIP_1) | instid1(VALU_DEP_2)
	v_dual_cndmask_b32 v11, v32, v30 :: v_dual_cndmask_b32 v14, v33, v31
	v_fract_f64_e32 v[30:31], v[4:5]
	v_cndmask_b32_e64 v32, 0, v11, s0
	s_delay_alu instid0(VALU_DEP_3) | instskip(SKIP_1) | instid1(VALU_DEP_2)
	v_cndmask_b32_e64 v33, 0xfff00000, v14, s0
	v_cmp_class_f64_e64 s0, v[4:5], 0x204
	v_add_f64 v[28:29], v[32:33], -v[28:29]
	v_cmp_eq_f64_e32 vcc_lo, 0, v[30:31]
	s_delay_alu instid0(VALU_DEP_3)
	s_or_b32 s0, s0, vcc_lo
	s_delay_alu instid0(VALU_DEP_2) | instid1(SALU_CYCLE_1)
	v_cndmask_b32_e64 v29, v29, 0x7ff00000, s0
	s_delay_alu instid0(VALU_DEP_3)
	v_cndmask_b32_e64 v28, v28, 0, s0
	s_branch .LBB12_160
.LBB12_297:
	s_nop 0
	s_sendmsg sendmsg(MSG_DEALLOC_VGPRS)
	s_endpgm
	.section	.rodata,"a",@progbits
	.p2align	6, 0x0
	.amdhsa_kernel _ZN2at6native12_GLOBAL__N_125multi_tensor_apply_kernelINS1_18TensorListMetadataILi1EEENS1_14UnaryOpFunctorIdLi1ELi1ELi0EEEJNS0_6LgammaIdEEEEEvT_T0_DpT1_
		.amdhsa_group_segment_fixed_size 0
		.amdhsa_private_segment_fixed_size 0
		.amdhsa_kernarg_size 3632
		.amdhsa_user_sgpr_count 15
		.amdhsa_user_sgpr_dispatch_ptr 0
		.amdhsa_user_sgpr_queue_ptr 0
		.amdhsa_user_sgpr_kernarg_segment_ptr 1
		.amdhsa_user_sgpr_dispatch_id 0
		.amdhsa_user_sgpr_private_segment_size 0
		.amdhsa_wavefront_size32 1
		.amdhsa_uses_dynamic_stack 0
		.amdhsa_enable_private_segment 0
		.amdhsa_system_sgpr_workgroup_id_x 1
		.amdhsa_system_sgpr_workgroup_id_y 0
		.amdhsa_system_sgpr_workgroup_id_z 0
		.amdhsa_system_sgpr_workgroup_info 0
		.amdhsa_system_vgpr_workitem_id 0
		.amdhsa_next_free_vgpr 55
		.amdhsa_next_free_sgpr 105
		.amdhsa_reserve_vcc 1
		.amdhsa_float_round_mode_32 0
		.amdhsa_float_round_mode_16_64 0
		.amdhsa_float_denorm_mode_32 3
		.amdhsa_float_denorm_mode_16_64 3
		.amdhsa_dx10_clamp 1
		.amdhsa_ieee_mode 1
		.amdhsa_fp16_overflow 0
		.amdhsa_workgroup_processor_mode 1
		.amdhsa_memory_ordered 1
		.amdhsa_forward_progress 0
		.amdhsa_shared_vgpr_count 0
		.amdhsa_exception_fp_ieee_invalid_op 0
		.amdhsa_exception_fp_denorm_src 0
		.amdhsa_exception_fp_ieee_div_zero 0
		.amdhsa_exception_fp_ieee_overflow 0
		.amdhsa_exception_fp_ieee_underflow 0
		.amdhsa_exception_fp_ieee_inexact 0
		.amdhsa_exception_int_div_zero 0
	.end_amdhsa_kernel
	.section	.text._ZN2at6native12_GLOBAL__N_125multi_tensor_apply_kernelINS1_18TensorListMetadataILi1EEENS1_14UnaryOpFunctorIdLi1ELi1ELi0EEEJNS0_6LgammaIdEEEEEvT_T0_DpT1_,"axG",@progbits,_ZN2at6native12_GLOBAL__N_125multi_tensor_apply_kernelINS1_18TensorListMetadataILi1EEENS1_14UnaryOpFunctorIdLi1ELi1ELi0EEEJNS0_6LgammaIdEEEEEvT_T0_DpT1_,comdat
.Lfunc_end12:
	.size	_ZN2at6native12_GLOBAL__N_125multi_tensor_apply_kernelINS1_18TensorListMetadataILi1EEENS1_14UnaryOpFunctorIdLi1ELi1ELi0EEEJNS0_6LgammaIdEEEEEvT_T0_DpT1_, .Lfunc_end12-_ZN2at6native12_GLOBAL__N_125multi_tensor_apply_kernelINS1_18TensorListMetadataILi1EEENS1_14UnaryOpFunctorIdLi1ELi1ELi0EEEJNS0_6LgammaIdEEEEEvT_T0_DpT1_
                                        ; -- End function
	.section	.AMDGPU.csdata,"",@progbits
; Kernel info:
; codeLenInByte = 65296
; NumSgprs: 107
; NumVgprs: 55
; ScratchSize: 0
; MemoryBound: 1
; FloatMode: 240
; IeeeMode: 1
; LDSByteSize: 0 bytes/workgroup (compile time only)
; SGPRBlocks: 13
; VGPRBlocks: 6
; NumSGPRsForWavesPerEU: 107
; NumVGPRsForWavesPerEU: 55
; Occupancy: 16
; WaveLimiterHint : 0
; COMPUTE_PGM_RSRC2:SCRATCH_EN: 0
; COMPUTE_PGM_RSRC2:USER_SGPR: 15
; COMPUTE_PGM_RSRC2:TRAP_HANDLER: 0
; COMPUTE_PGM_RSRC2:TGID_X_EN: 1
; COMPUTE_PGM_RSRC2:TGID_Y_EN: 0
; COMPUTE_PGM_RSRC2:TGID_Z_EN: 0
; COMPUTE_PGM_RSRC2:TIDIG_COMP_CNT: 0
	.section	.text._ZN2at6native12_GLOBAL__N_125multi_tensor_apply_kernelINS1_18TensorListMetadataILi1EEENS1_14UnaryOpFunctorIfLi1ELi1ELi0EEEJNS0_6LgammaIfEEEEEvT_T0_DpT1_,"axG",@progbits,_ZN2at6native12_GLOBAL__N_125multi_tensor_apply_kernelINS1_18TensorListMetadataILi1EEENS1_14UnaryOpFunctorIfLi1ELi1ELi0EEEJNS0_6LgammaIfEEEEEvT_T0_DpT1_,comdat
	.globl	_ZN2at6native12_GLOBAL__N_125multi_tensor_apply_kernelINS1_18TensorListMetadataILi1EEENS1_14UnaryOpFunctorIfLi1ELi1ELi0EEEJNS0_6LgammaIfEEEEEvT_T0_DpT1_ ; -- Begin function _ZN2at6native12_GLOBAL__N_125multi_tensor_apply_kernelINS1_18TensorListMetadataILi1EEENS1_14UnaryOpFunctorIfLi1ELi1ELi0EEEJNS0_6LgammaIfEEEEEvT_T0_DpT1_
	.p2align	8
	.type	_ZN2at6native12_GLOBAL__N_125multi_tensor_apply_kernelINS1_18TensorListMetadataILi1EEENS1_14UnaryOpFunctorIfLi1ELi1ELi0EEEJNS0_6LgammaIfEEEEEvT_T0_DpT1_,@function
_ZN2at6native12_GLOBAL__N_125multi_tensor_apply_kernelINS1_18TensorListMetadataILi1EEENS1_14UnaryOpFunctorIfLi1ELi1ELi0EEEJNS0_6LgammaIfEEEEEvT_T0_DpT1_: ; @_ZN2at6native12_GLOBAL__N_125multi_tensor_apply_kernelINS1_18TensorListMetadataILi1EEENS1_14UnaryOpFunctorIfLi1ELi1ELi0EEEJNS0_6LgammaIfEEEEEvT_T0_DpT1_
; %bb.0:
	v_mov_b32_e32 v1, s15
	s_add_u32 s2, s0, s15
	s_mul_hi_u32 s3, s15, 3
	s_mul_i32 s15, s15, 3
	s_addc_u32 s4, s1, 0
	global_load_u8 v1, v1, s[0:1] offset:1760
	s_add_u32 s2, s2, s15
	s_addc_u32 s3, s4, s3
	s_mov_b32 s7, 0
	s_load_b32 s2, s[2:3], 0x820
	s_waitcnt vmcnt(0)
	v_readfirstlane_b32 s5, v1
	s_delay_alu instid0(VALU_DEP_1)
	s_lshl_b32 s3, s5, 3
	s_clause 0x1
	s_load_b64 s[14:15], s[0:1], s3 offset:0x0
	s_load_b64 s[4:5], s[0:1], s3 offset:0x370
	s_waitcnt lgkmcnt(0)
	s_ashr_i32 s3, s2, 31
	s_delay_alu instid0(SALU_CYCLE_1)
	s_lshl_b64 s[16:17], s[2:3], 18
	s_lshl_b64 s[2:3], s[2:3], 16
	s_and_b32 s6, s14, 15
	s_sub_u32 s12, s4, s2
	s_subb_u32 s13, s5, s3
	s_and_b32 s2, s4, 3
	s_mov_b32 s3, s7
	s_delay_alu instid0(SALU_CYCLE_1) | instskip(NEXT) | instid1(SALU_CYCLE_1)
	s_or_b64 s[2:3], s[6:7], s[2:3]
	s_cmp_eq_u64 s[2:3], 0
	s_cbranch_scc1 .LBB13_173
; %bb.1:
	v_cmp_lt_i64_e64 s2, s[12:13], 1
	s_delay_alu instid0(VALU_DEP_1)
	s_and_b32 vcc_lo, exec_lo, s2
	s_cbranch_vccnz .LBB13_172
; %bb.2:
	s_load_b32 s2, s[0:1], 0xd3c
	v_cmp_gt_u64_e64 s3, 0x10000, s[12:13]
	v_lshlrev_b32_e32 v1, 2, v0
	s_mov_b64 s[20:21], 0
	s_mov_b32 s25, 0xbad5c4e8
	s_mov_b32 s26, 0x3805ff67
	s_mov_b32 s27, 0x36f5d7bd
	s_mov_b32 s28, 0x3c5b3c5e
	s_mov_b32 s29, 0x3b52d5db
	s_mov_b32 s30, 0x39a57b6b
	s_mov_b32 s31, 0xb9a3f927
	s_mov_b32 s33, 0x39afe9f7
	s_mov_b32 s34, 0x37d383a2
	s_mov_b32 s35, 0x383c2c75
	s_mov_b32 s36, 0x3e8a8991
	s_mov_b32 s37, 0x3e75aa41
	s_mov_b32 s38, 0x3d4be544
	s_waitcnt lgkmcnt(0)
	s_and_b32 s2, s2, 0xffff
	s_and_b32 s3, s3, exec_lo
	v_add_co_u32 v5, s5, v0, s2
	s_cselect_b32 s19, s13, 0
	s_cselect_b32 s18, s12, 0x10000
	s_lshl_b32 s3, s2, 1
	s_lshl_b32 s11, s2, 2
	v_add_co_ci_u32_e64 v6, null, 0, 0, s5
	s_add_u32 s5, s14, s16
	v_lshlrev_b32_e32 v3, 2, v5
	s_mul_i32 s4, s2, 3
	s_mul_i32 s22, s2, 12
	s_addc_u32 s6, s15, s17
	s_lshl_b32 s23, s2, 4
	s_lshl_b32 s24, s2, 3
	v_add_co_u32 v1, s2, s5, v1
	s_delay_alu instid0(VALU_DEP_1)
	v_add_co_ci_u32_e64 v2, null, s6, 0, s2
	v_add_co_u32 v9, s2, s3, v0
	v_add_co_u32 v7, s4, s4, v0
	v_add_co_ci_u32_e64 v10, null, 0, 0, s2
	v_add_co_u32 v3, s2, s5, v3
	v_add_co_ci_u32_e64 v8, null, 0, 0, s4
	v_add_co_ci_u32_e64 v4, null, s6, 0, s2
	s_branch .LBB13_4
.LBB13_3:                               ;   in Loop: Header=BB13_4 Depth=1
	s_or_b32 exec_lo, exec_lo, s3
	s_add_u32 s20, s20, s11
	s_addc_u32 s21, s21, 0
	v_add_co_u32 v1, vcc_lo, v1, s23
	v_cmp_ge_i64_e64 s2, s[20:21], s[12:13]
	v_cmp_lt_u64_e64 s3, 0xffff, s[20:21]
	v_add_co_ci_u32_e32 v2, vcc_lo, 0, v2, vcc_lo
	v_add_co_u32 v3, vcc_lo, v3, s23
	v_add_co_ci_u32_e32 v4, vcc_lo, 0, v4, vcc_lo
	s_delay_alu instid0(VALU_DEP_4) | instskip(NEXT) | instid1(SALU_CYCLE_1)
	s_or_b32 s2, s2, s3
	s_and_b32 vcc_lo, exec_lo, s2
	s_cbranch_vccnz .LBB13_172
.LBB13_4:                               ; =>This Inner Loop Header: Depth=1
	v_add_co_u32 v11, s2, v0, s20
	s_delay_alu instid0(VALU_DEP_1) | instskip(SKIP_1) | instid1(VALU_DEP_2)
	v_add_co_ci_u32_e64 v12, null, 0, s21, s2
	v_mov_b32_e32 v13, 0
	v_cmp_gt_u64_e64 s4, s[18:19], v[11:12]
	s_delay_alu instid0(VALU_DEP_1)
	s_and_saveexec_b32 s2, s4
	s_cbranch_execz .LBB13_6
; %bb.5:                                ;   in Loop: Header=BB13_4 Depth=1
	global_load_b32 v13, v[1:2], off
.LBB13_6:                               ;   in Loop: Header=BB13_4 Depth=1
	s_or_b32 exec_lo, exec_lo, s2
	v_add_co_u32 v11, vcc_lo, v5, s20
	v_add_co_ci_u32_e32 v12, vcc_lo, s21, v6, vcc_lo
	s_delay_alu instid0(VALU_DEP_1) | instskip(SKIP_1) | instid1(VALU_DEP_2)
	v_cmp_gt_u64_e64 s3, s[18:19], v[11:12]
	v_mov_b32_e32 v12, 0
	s_and_saveexec_b32 s2, s3
	s_cbranch_execz .LBB13_8
; %bb.7:                                ;   in Loop: Header=BB13_4 Depth=1
	global_load_b32 v12, v[3:4], off
.LBB13_8:                               ;   in Loop: Header=BB13_4 Depth=1
	s_or_b32 exec_lo, exec_lo, s2
	v_add_co_u32 v14, vcc_lo, v9, s20
	v_add_co_ci_u32_e32 v15, vcc_lo, s21, v10, vcc_lo
	v_mov_b32_e32 v11, 0
	s_delay_alu instid0(VALU_DEP_2)
	v_cmp_gt_u64_e32 vcc_lo, s[18:19], v[14:15]
	v_mov_b32_e32 v14, 0
	s_and_saveexec_b32 s5, vcc_lo
	s_cbranch_execz .LBB13_10
; %bb.9:                                ;   in Loop: Header=BB13_4 Depth=1
	v_add_co_u32 v14, s2, v1, s24
	s_delay_alu instid0(VALU_DEP_1)
	v_add_co_ci_u32_e64 v15, s2, 0, v2, s2
	global_load_b32 v14, v[14:15], off
.LBB13_10:                              ;   in Loop: Header=BB13_4 Depth=1
	s_or_b32 exec_lo, exec_lo, s5
	v_add_co_u32 v15, s2, v7, s20
	s_delay_alu instid0(VALU_DEP_1) | instskip(NEXT) | instid1(VALU_DEP_1)
	v_add_co_ci_u32_e64 v16, s2, s21, v8, s2
	v_cmp_gt_u64_e64 s2, s[18:19], v[15:16]
	s_delay_alu instid0(VALU_DEP_1)
	s_and_saveexec_b32 s6, s2
	s_cbranch_execz .LBB13_12
; %bb.11:                               ;   in Loop: Header=BB13_4 Depth=1
	v_add_co_u32 v15, s5, v1, s22
	s_delay_alu instid0(VALU_DEP_1)
	v_add_co_ci_u32_e64 v16, s5, 0, v2, s5
	global_load_b32 v11, v[15:16], off
.LBB13_12:                              ;   in Loop: Header=BB13_4 Depth=1
	s_or_b32 exec_lo, exec_lo, s6
	s_waitcnt vmcnt(0)
	v_and_b32_e32 v16, 0x7fffffff, v13
                                        ; implicit-def: $vgpr15
	s_mov_b32 s6, exec_lo
	v_cmpx_ngt_f32_e64 0x3c800000, |v13|
	s_xor_b32 s7, exec_lo, s6
	s_cbranch_execz .LBB13_42
; %bb.13:                               ;   in Loop: Header=BB13_4 Depth=1
                                        ; implicit-def: $vgpr15
	s_mov_b32 s6, exec_lo
	v_cmpx_nlt_f32_e64 |v13|, 2.0
	s_xor_b32 s8, exec_lo, s6
	s_cbranch_execz .LBB13_23
; %bb.14:                               ;   in Loop: Header=BB13_4 Depth=1
	s_mov_b32 s6, exec_lo
                                        ; implicit-def: $vgpr15
	v_cmpx_ngt_f32_e64 0x41000000, |v13|
	s_xor_b32 s6, exec_lo, s6
	s_cbranch_execz .LBB13_20
; %bb.15:                               ;   in Loop: Header=BB13_4 Depth=1
	s_mov_b32 s9, exec_lo
                                        ; implicit-def: $vgpr15
	v_cmpx_ngt_f32_e64 0x5c800000, |v13|
	s_xor_b32 s9, exec_lo, s9
	s_cbranch_execz .LBB13_17
; %bb.16:                               ;   in Loop: Header=BB13_4 Depth=1
	v_cmp_gt_f32_e64 s10, 0x800000, |v13|
	s_delay_alu instid0(VALU_DEP_1) | instskip(NEXT) | instid1(VALU_DEP_1)
	v_cndmask_b32_e64 v15, 1.0, 0x4f800000, s10
	v_mul_f32_e64 v15, |v13|, v15
	s_delay_alu instid0(VALU_DEP_1) | instskip(SKIP_3) | instid1(VALU_DEP_2)
	v_log_f32_e32 v15, v15
	s_waitcnt_depctr 0xfff
	v_mul_f32_e32 v17, 0x3f317217, v15
	v_cmp_gt_f32_e64 s5, 0x7f800000, |v15|
	v_fma_f32 v18, 0x3f317217, v15, -v17
	s_delay_alu instid0(VALU_DEP_1) | instskip(NEXT) | instid1(VALU_DEP_1)
	v_fmac_f32_e32 v18, 0x3377d1cf, v15
	v_add_f32_e32 v17, v17, v18
	s_delay_alu instid0(VALU_DEP_1) | instskip(SKIP_1) | instid1(VALU_DEP_1)
	v_cndmask_b32_e64 v15, v15, v17, s5
	v_cndmask_b32_e64 v17, 0, 0x41b17218, s10
	v_sub_f32_e32 v15, v15, v17
	s_delay_alu instid0(VALU_DEP_1)
	v_fma_f32 v15, |v13|, v15, -|v13|
.LBB13_17:                              ;   in Loop: Header=BB13_4 Depth=1
	s_and_not1_saveexec_b32 s9, s9
	s_cbranch_execz .LBB13_19
; %bb.18:                               ;   in Loop: Header=BB13_4 Depth=1
	v_cmp_gt_f32_e64 s10, 0x800000, |v13|
	v_rcp_f32_e64 v17, |v13|
	s_delay_alu instid0(VALU_DEP_1) | instskip(NEXT) | instid1(VALU_DEP_1)
	v_cndmask_b32_e64 v15, 1.0, 0x4f800000, s10
	v_mul_f32_e64 v15, |v13|, v15
	s_delay_alu instid0(VALU_DEP_1) | instskip(SKIP_3) | instid1(VALU_DEP_2)
	v_log_f32_e32 v15, v15
	s_waitcnt_depctr 0xfff
	v_dual_mul_f32 v18, v17, v17 :: v_dual_mul_f32 v19, 0x3f317217, v15
	v_cmp_gt_f32_e64 s5, 0x7f800000, |v15|
	v_fma_f32 v21, 0x3f317217, v15, -v19
	s_delay_alu instid0(VALU_DEP_1) | instskip(NEXT) | instid1(VALU_DEP_1)
	v_fmac_f32_e32 v21, 0x3377d1cf, v15
	v_dual_fmaak_f32 v20, s25, v18, 0x3a5b3dd2 :: v_dual_add_f32 v19, v19, v21
	s_delay_alu instid0(VALU_DEP_1) | instskip(SKIP_1) | instid1(VALU_DEP_1)
	v_cndmask_b32_e64 v15, v15, v19, s5
	v_cndmask_b32_e64 v19, 0, 0x41b17218, s10
	v_dual_fmaak_f32 v20, v18, v20, 0xba1c065c :: v_dual_sub_f32 v19, v15, v19
	s_delay_alu instid0(VALU_DEP_1) | instskip(NEXT) | instid1(VALU_DEP_1)
	v_fmaak_f32 v20, v18, v20, 0x3a500cfd
	v_fmaak_f32 v20, v18, v20, 0xbb360b61
	s_delay_alu instid0(VALU_DEP_1) | instskip(NEXT) | instid1(VALU_DEP_1)
	v_fmaak_f32 v18, v18, v20, 0x3daaaaab
	v_dual_fmaak_f32 v15, v17, v18, 0x3ed67f1d :: v_dual_add_f32 v18, -1.0, v19
	v_add_f32_e64 v17, |v13|, -0.5
	s_delay_alu instid0(VALU_DEP_1)
	v_fmac_f32_e32 v15, v17, v18
.LBB13_19:                              ;   in Loop: Header=BB13_4 Depth=1
	s_or_b32 exec_lo, exec_lo, s9
.LBB13_20:                              ;   in Loop: Header=BB13_4 Depth=1
	s_and_not1_saveexec_b32 s9, s6
	s_cbranch_execz .LBB13_22
; %bb.21:                               ;   in Loop: Header=BB13_4 Depth=1
	v_cvt_i32_f32_e32 v15, v16
	s_delay_alu instid0(VALU_DEP_1) | instskip(SKIP_1) | instid1(VALU_DEP_2)
	v_cvt_f32_i32_e32 v17, v15
	v_cmp_lt_i32_e64 s5, 2, v15
	v_sub_f32_e64 v17, |v13|, v17
	s_delay_alu instid0(VALU_DEP_1) | instskip(SKIP_2) | instid1(VALU_DEP_3)
	v_add_f32_e32 v18, 2.0, v17
	v_add_f32_e32 v19, 0x40400000, v17
	v_add_f32_e32 v20, 4.0, v17
	v_cndmask_b32_e64 v18, 1.0, v18, s5
	v_cmp_lt_i32_e64 s5, 3, v15
	s_delay_alu instid0(VALU_DEP_1) | instskip(SKIP_1) | instid1(VALU_DEP_2)
	v_cndmask_b32_e64 v19, 1.0, v19, s5
	v_cmp_lt_i32_e64 s5, 4, v15
	v_dual_add_f32 v21, 0x40a00000, v17 :: v_dual_mul_f32 v18, v18, v19
	s_delay_alu instid0(VALU_DEP_2) | instskip(SKIP_1) | instid1(VALU_DEP_2)
	v_cndmask_b32_e64 v20, 1.0, v20, s5
	v_cmp_lt_i32_e64 s5, 5, v15
	v_mul_f32_e32 v18, v20, v18
	s_delay_alu instid0(VALU_DEP_2) | instskip(SKIP_3) | instid1(VALU_DEP_4)
	v_cndmask_b32_e64 v21, 1.0, v21, s5
	v_add_f32_e32 v19, 0x40c00000, v17
	v_cmp_lt_i32_e64 s5, 6, v15
	v_fmaak_f32 v20, s26, v17, 0x3af135b4
	v_mul_f32_e32 v18, v21, v18
	s_delay_alu instid0(VALU_DEP_3) | instskip(NEXT) | instid1(VALU_DEP_1)
	v_cndmask_b32_e64 v15, 1.0, v19, s5
	v_mul_f32_e32 v15, v15, v18
	s_delay_alu instid0(VALU_DEP_1) | instskip(NEXT) | instid1(VALU_DEP_1)
	v_cmp_gt_f32_e64 s5, 0x800000, v15
	v_cndmask_b32_e64 v19, 1.0, 0x4f800000, s5
	s_delay_alu instid0(VALU_DEP_1) | instskip(SKIP_1) | instid1(VALU_DEP_2)
	v_mul_f32_e32 v15, v15, v19
	v_fmaak_f32 v19, v17, v20, 0x3cda40e4
	v_log_f32_e32 v15, v15
	s_waitcnt_depctr 0xfff
	v_mul_f32_e32 v20, 0x3f317217, v15
	v_cmp_gt_f32_e64 s6, 0x7f800000, |v15|
	s_delay_alu instid0(VALU_DEP_2) | instskip(NEXT) | instid1(VALU_DEP_1)
	v_fma_f32 v21, 0x3f317217, v15, -v20
	v_fmac_f32_e32 v21, 0x3377d1cf, v15
	s_delay_alu instid0(VALU_DEP_1) | instskip(NEXT) | instid1(VALU_DEP_1)
	v_dual_add_f32 v20, v20, v21 :: v_dual_fmaak_f32 v19, v17, v19, 0x3e15dce6
	v_cndmask_b32_e64 v15, v15, v20, s6
	s_delay_alu instid0(VALU_DEP_2) | instskip(NEXT) | instid1(VALU_DEP_1)
	v_fmaak_f32 v19, v17, v19, 0x3ea6cc7a
	v_fmaak_f32 v19, v17, v19, 0x3e5c245a
	s_delay_alu instid0(VALU_DEP_1) | instskip(NEXT) | instid1(VALU_DEP_1)
	v_fmaak_f32 v19, v17, v19, 0xbd9e233f
	v_dual_fmaak_f32 v18, s27, v17, 0x3a4beed6 :: v_dual_mul_f32 v19, v17, v19
	s_delay_alu instid0(VALU_DEP_1) | instskip(NEXT) | instid1(VALU_DEP_1)
	v_fmaak_f32 v18, v17, v18, 0x3c98bf54
	v_fmaak_f32 v18, v17, v18, 0x3e300f6e
	s_delay_alu instid0(VALU_DEP_1) | instskip(NEXT) | instid1(VALU_DEP_1)
	v_fmaak_f32 v18, v17, v18, 0x3f38d0c5
	v_fmaak_f32 v18, v17, v18, 0x3fb22d3b
	s_delay_alu instid0(VALU_DEP_1) | instskip(NEXT) | instid1(VALU_DEP_1)
	v_fma_f32 v18, v17, v18, 1.0
	v_rcp_f32_e32 v18, v18
	s_waitcnt_depctr 0xfff
	v_mul_f32_e32 v18, v19, v18
	v_cndmask_b32_e64 v19, 0, 0x41b17218, s5
	s_delay_alu instid0(VALU_DEP_1) | instskip(NEXT) | instid1(VALU_DEP_1)
	v_dual_fmac_f32 v18, 0.5, v17 :: v_dual_sub_f32 v15, v15, v19
	v_add_f32_e32 v15, v15, v18
.LBB13_22:                              ;   in Loop: Header=BB13_4 Depth=1
	s_or_b32 exec_lo, exec_lo, s9
.LBB13_23:                              ;   in Loop: Header=BB13_4 Depth=1
	s_and_not1_saveexec_b32 s8, s8
	s_cbranch_execz .LBB13_41
; %bb.24:                               ;   in Loop: Header=BB13_4 Depth=1
                                        ; implicit-def: $vgpr15
                                        ; implicit-def: $vgpr18
                                        ; implicit-def: $vgpr17
	s_mov_b32 s6, exec_lo
	v_cmpx_ge_f32_e64 0x3f666666, |v13|
	s_xor_b32 s9, exec_lo, s6
	s_cbranch_execz .LBB13_26
; %bb.25:                               ;   in Loop: Header=BB13_4 Depth=1
	v_cmp_gt_f32_e64 s6, 0x800000, |v13|
	v_sub_f32_e64 v19, 1.0, |v13|
	v_cmp_gt_f32_e64 s5, 0x3f3b4a23, |v13|
	s_delay_alu instid0(VALU_DEP_3) | instskip(SKIP_1) | instid1(VALU_DEP_2)
	v_cndmask_b32_e64 v15, 1.0, 0x4f800000, s6
	v_cndmask_b32_e64 v20, 0, 0x41b17218, s6
	v_mul_f32_e64 v15, |v13|, v15
	s_delay_alu instid0(VALU_DEP_1) | instskip(SKIP_3) | instid1(VALU_DEP_2)
	v_log_f32_e32 v15, v15
	s_waitcnt_depctr 0xfff
	v_mul_f32_e32 v17, 0x3f317217, v15
	v_cmp_gt_f32_e64 s6, 0x7f800000, |v15|
	v_fma_f32 v18, 0x3f317217, v15, -v17
	s_delay_alu instid0(VALU_DEP_1) | instskip(NEXT) | instid1(VALU_DEP_1)
	v_fmac_f32_e32 v18, 0x3377d1cf, v15
	v_add_f32_e32 v17, v17, v18
	v_add_f32_e64 v18, 0xbeec5b0c, |v13|
	s_delay_alu instid0(VALU_DEP_2) | instskip(NEXT) | instid1(VALU_DEP_2)
	v_cndmask_b32_e64 v15, v15, v17, s6
	v_cndmask_b32_e64 v17, v19, v18, s5
	;; [unrolled: 1-line block ×3, first 2 shown]
	v_cmp_gt_f32_e64 s5, 0x3e6d3309, |v13|
	s_delay_alu instid0(VALU_DEP_4) | instskip(NEXT) | instid1(VALU_DEP_2)
	v_sub_f32_e32 v15, v15, v20
	v_cndmask_b32_e64 v17, v17, |v13|, s5
	s_delay_alu instid0(VALU_DEP_4) | instskip(NEXT) | instid1(VALU_DEP_3)
	v_cndmask_b32_e64 v18, v18, 2, s5
	v_xor_b32_e32 v15, 0x80000000, v15
.LBB13_26:                              ;   in Loop: Header=BB13_4 Depth=1
	s_and_not1_saveexec_b32 s6, s9
; %bb.27:                               ;   in Loop: Header=BB13_4 Depth=1
	v_sub_f32_e64 v15, 2.0, |v13|
	v_add_f32_e64 v17, 0xbfbb16c3, |v13|
	v_cmp_gt_f32_e64 s5, 0x3fdda512, |v13|
	v_add_f32_e64 v18, |v13|, -1.0
	s_delay_alu instid0(VALU_DEP_2) | instskip(SKIP_2) | instid1(VALU_DEP_2)
	v_cndmask_b32_e64 v17, v15, v17, s5
	v_cndmask_b32_e64 v15, v15, 1.0, s5
	v_cmp_gt_f32_e64 s5, 0x3f9d70a4, |v13|
	v_cvt_i32_f32_e32 v15, v15
	s_delay_alu instid0(VALU_DEP_2) | instskip(NEXT) | instid1(VALU_DEP_2)
	v_cndmask_b32_e64 v17, v17, v18, s5
	v_cndmask_b32_e64 v18, v15, 2, s5
	v_mov_b32_e32 v15, 0
; %bb.28:                               ;   in Loop: Header=BB13_4 Depth=1
	s_or_b32 exec_lo, exec_lo, s6
	s_delay_alu instid0(SALU_CYCLE_1) | instskip(NEXT) | instid1(VALU_DEP_2)
	s_mov_b32 s6, exec_lo
	v_cmpx_lt_i32_e32 0, v18
	s_xor_b32 s6, exec_lo, s6
	s_cbranch_execz .LBB13_36
; %bb.29:                               ;   in Loop: Header=BB13_4 Depth=1
	s_mov_b32 s9, exec_lo
	v_cmpx_lt_i32_e32 1, v18
	s_xor_b32 s9, exec_lo, s9
	s_cbranch_execz .LBB13_33
; %bb.30:                               ;   in Loop: Header=BB13_4 Depth=1
	s_mov_b32 s10, exec_lo
	v_cmpx_eq_u32_e32 2, v18
	s_cbranch_execz .LBB13_32
; %bb.31:                               ;   in Loop: Header=BB13_4 Depth=1
	v_fmaak_f32 v19, s28, v17, 0x3e6a7578
	s_delay_alu instid0(VALU_DEP_1) | instskip(NEXT) | instid1(VALU_DEP_1)
	v_fmaak_f32 v19, v17, v19, 0x3f7a4bb2
	v_fmaak_f32 v19, v17, v19, 0x3fba3ae7
	s_delay_alu instid0(VALU_DEP_1) | instskip(NEXT) | instid1(VALU_DEP_1)
	v_fmaak_f32 v19, v17, v19, 0x3f2200f4
	v_fmaak_f32 v19, v17, v19, 0xbd9e233f
	s_delay_alu instid0(VALU_DEP_1) | instskip(NEXT) | instid1(VALU_DEP_1)
	v_dual_fmaak_f32 v18, s29, v17, 0x3dd572af :: v_dual_mul_f32 v19, v17, v19
	v_fmaak_f32 v18, v17, v18, 0x3f44efdf
	s_delay_alu instid0(VALU_DEP_1) | instskip(NEXT) | instid1(VALU_DEP_1)
	v_fmaak_f32 v18, v17, v18, 0x4008392d
	v_fmaak_f32 v18, v17, v18, 0x401d2ebe
	s_delay_alu instid0(VALU_DEP_1) | instskip(NEXT) | instid1(VALU_DEP_1)
	v_fma_f32 v18, v17, v18, 1.0
	v_rcp_f32_e32 v18, v18
	s_waitcnt_depctr 0xfff
	v_mul_f32_e32 v18, v19, v18
	s_delay_alu instid0(VALU_DEP_1) | instskip(NEXT) | instid1(VALU_DEP_1)
	v_fmac_f32_e32 v18, -0.5, v17
	v_add_f32_e32 v15, v15, v18
.LBB13_32:                              ;   in Loop: Header=BB13_4 Depth=1
	s_or_b32 exec_lo, exec_lo, s10
                                        ; implicit-def: $vgpr17
.LBB13_33:                              ;   in Loop: Header=BB13_4 Depth=1
	s_and_not1_saveexec_b32 s5, s9
	s_cbranch_execz .LBB13_35
; %bb.34:                               ;   in Loop: Header=BB13_4 Depth=1
	v_mul_f32_e32 v18, v17, v17
	s_delay_alu instid0(VALU_DEP_1) | instskip(NEXT) | instid1(VALU_DEP_1)
	v_mul_f32_e32 v19, v17, v18
	v_fmaak_f32 v21, s33, v19, 0xba0d3085
	v_fmaak_f32 v20, s31, v19, 0x3a66f867
	;; [unrolled: 1-line block ×3, first 2 shown]
	s_delay_alu instid0(VALU_DEP_3) | instskip(NEXT) | instid1(VALU_DEP_3)
	v_fmaak_f32 v21, v19, v21, 0x3b141699
	v_fmaak_f32 v20, v19, v20, 0xbb7177fe
	s_delay_alu instid0(VALU_DEP_3) | instskip(NEXT) | instid1(VALU_DEP_3)
	v_fmaak_f32 v22, v19, v22, 0x3bc7e707
	v_fmaak_f32 v21, v19, v21, 0xbc28fcfe
	;; [unrolled: 3-line block ×4, first 2 shown]
	s_delay_alu instid0(VALU_DEP_1) | instskip(NEXT) | instid1(VALU_DEP_1)
	v_dual_fmac_f32 v20, v17, v21 :: v_dual_fmaak_f32 v17, v19, v22, 0x3ef7b95e
	v_fma_f32 v19, v19, -v20, 0xa2863e55
	s_delay_alu instid0(VALU_DEP_1) | instskip(NEXT) | instid1(VALU_DEP_1)
	v_fma_f32 v17, v18, v17, -v19
	v_add_f32_e32 v17, 0xbdf8cdce, v17
	s_delay_alu instid0(VALU_DEP_1)
	v_add_f32_e32 v15, v15, v17
.LBB13_35:                              ;   in Loop: Header=BB13_4 Depth=1
	s_or_b32 exec_lo, exec_lo, s5
                                        ; implicit-def: $vgpr18
                                        ; implicit-def: $vgpr17
.LBB13_36:                              ;   in Loop: Header=BB13_4 Depth=1
	s_and_not1_saveexec_b32 s6, s6
	s_cbranch_execz .LBB13_40
; %bb.37:                               ;   in Loop: Header=BB13_4 Depth=1
	s_mov_b32 s9, exec_lo
	v_cmpx_eq_u32_e32 0, v18
	s_cbranch_execz .LBB13_39
; %bb.38:                               ;   in Loop: Header=BB13_4 Depth=1
	v_mul_f32_e32 v18, v17, v17
	s_delay_alu instid0(VALU_DEP_1) | instskip(NEXT) | instid1(VALU_DEP_1)
	v_fmaak_f32 v20, s34, v18, 0x39679767
	v_fmaak_f32 v20, v18, v20, 0x3a9c54a1
	s_delay_alu instid0(VALU_DEP_1) | instskip(NEXT) | instid1(VALU_DEP_1)
	v_fmaak_f32 v20, v18, v20, 0x3bf2027e
	v_fmaak_f32 v20, v18, v20, 0x3d89f001
	s_delay_alu instid0(VALU_DEP_1) | instskip(SKIP_1) | instid1(VALU_DEP_1)
	v_fmaak_f32 v20, v18, v20, 0x3d9e233f
	v_fmaak_f32 v19, s35, v18, 0x38e28445
	;; [unrolled: 1-line block ×3, first 2 shown]
	s_delay_alu instid0(VALU_DEP_1) | instskip(NEXT) | instid1(VALU_DEP_1)
	v_fmaak_f32 v19, v18, v19, 0x3b3d6ec6
	v_fmaak_f32 v19, v18, v19, 0x3ca89915
	s_delay_alu instid0(VALU_DEP_1) | instskip(NEXT) | instid1(VALU_DEP_1)
	v_fmaak_f32 v19, v18, v19, 0x3ea51a66
	v_mul_f32_e32 v18, v18, v19
	s_delay_alu instid0(VALU_DEP_1) | instskip(NEXT) | instid1(VALU_DEP_1)
	v_fmac_f32_e32 v18, v17, v20
	v_fmac_f32_e32 v18, -0.5, v17
	s_delay_alu instid0(VALU_DEP_1)
	v_add_f32_e32 v15, v15, v18
.LBB13_39:                              ;   in Loop: Header=BB13_4 Depth=1
	s_or_b32 exec_lo, exec_lo, s9
.LBB13_40:                              ;   in Loop: Header=BB13_4 Depth=1
	s_delay_alu instid0(SALU_CYCLE_1)
	s_or_b32 exec_lo, exec_lo, s6
.LBB13_41:                              ;   in Loop: Header=BB13_4 Depth=1
	s_delay_alu instid0(SALU_CYCLE_1)
	s_or_b32 exec_lo, exec_lo, s8
.LBB13_42:                              ;   in Loop: Header=BB13_4 Depth=1
	s_and_not1_saveexec_b32 s6, s7
	s_cbranch_execz .LBB13_44
; %bb.43:                               ;   in Loop: Header=BB13_4 Depth=1
	v_cmp_gt_f32_e64 s7, 0x800000, |v13|
	v_fma_f32 v19, |v13|, s36, 0xbecd26ab
	s_delay_alu instid0(VALU_DEP_2) | instskip(NEXT) | instid1(VALU_DEP_1)
	v_cndmask_b32_e64 v15, 1.0, 0x4f800000, s7
	v_mul_f32_e64 v15, |v13|, v15
	s_delay_alu instid0(VALU_DEP_1) | instskip(SKIP_3) | instid1(VALU_DEP_2)
	v_log_f32_e32 v15, v15
	s_waitcnt_depctr 0xfff
	v_mul_f32_e32 v17, 0x3f317217, v15
	v_cmp_gt_f32_e64 s5, 0x7f800000, |v15|
	v_fma_f32 v18, 0x3f317217, v15, -v17
	s_delay_alu instid0(VALU_DEP_1) | instskip(NEXT) | instid1(VALU_DEP_1)
	v_fmac_f32_e32 v18, 0x3377d1cf, v15
	v_add_f32_e32 v17, v17, v18
	v_fma_f32 v18, |v13|, v19, 0x3f528d33
	s_delay_alu instid0(VALU_DEP_2) | instskip(SKIP_1) | instid1(VALU_DEP_3)
	v_cndmask_b32_e64 v15, v15, v17, s5
	v_cndmask_b32_e64 v17, 0, 0x41b17218, s7
	v_fma_f32 v18, |v13|, v18, 0xbf13c468
	s_delay_alu instid0(VALU_DEP_2) | instskip(NEXT) | instid1(VALU_DEP_1)
	v_sub_f32_e32 v15, v15, v17
	v_fma_f32 v15, |v13|, v18, -v15
.LBB13_44:                              ;   in Loop: Header=BB13_4 Depth=1
	s_or_b32 exec_lo, exec_lo, s6
	v_cmp_le_f32_e64 s5, 0, v13
	s_mov_b32 s7, exec_lo
	v_cmpx_nle_f32_e32 0, v13
	s_xor_b32 s8, exec_lo, s7
	s_cbranch_execz .LBB13_48
; %bb.45:                               ;   in Loop: Header=BB13_4 Depth=1
	v_cmp_gt_f32_e64 s6, 0x4b000000, |v13|
	v_cmp_lt_f32_e64 s7, 0x35000000, |v13|
	s_delay_alu instid0(VALU_DEP_1) | instskip(NEXT) | instid1(SALU_CYCLE_1)
	s_and_b32 s6, s6, s7
	s_and_saveexec_b32 s9, s6
	s_cbranch_execz .LBB13_47
; %bb.46:                               ;   in Loop: Header=BB13_4 Depth=1
	v_mul_f32_e64 v17, |v13|, 0.5
	v_xor_b32_e32 v16, v16, v13
	s_delay_alu instid0(VALU_DEP_2) | instskip(SKIP_1) | instid1(VALU_DEP_2)
	v_floor_f32_e32 v18, v17
	v_cmp_neq_f32_e64 s6, 0x7f800000, v17
	v_sub_f32_e32 v18, v17, v18
	s_delay_alu instid0(VALU_DEP_1) | instskip(NEXT) | instid1(VALU_DEP_1)
	v_min_f32_e32 v18, 0x3f7fffff, v18
	v_add_f32_e32 v18, v18, v18
	s_delay_alu instid0(VALU_DEP_1) | instskip(SKIP_1) | instid1(VALU_DEP_1)
	v_cndmask_b32_e64 v17, 0, v18, s6
	v_cmp_gt_f32_e64 s6, |v13|, 1.0
	v_cndmask_b32_e64 v17, |v13|, v17, s6
	s_delay_alu instid0(VALU_DEP_1) | instskip(NEXT) | instid1(VALU_DEP_1)
	v_add_f32_e32 v18, v17, v17
	v_rndne_f32_e32 v18, v18
	s_delay_alu instid0(VALU_DEP_1) | instskip(SKIP_1) | instid1(VALU_DEP_2)
	v_fmac_f32_e32 v17, -0.5, v18
	v_cvt_i32_f32_e32 v18, v18
	v_mul_f32_e32 v19, v17, v17
	s_delay_alu instid0(VALU_DEP_1) | instskip(SKIP_1) | instid1(VALU_DEP_2)
	v_fmaak_f32 v20, s37, v19, 0xbf1f24be
	v_fmaak_f32 v21, s38, v19, 0x3e642e9d
	;; [unrolled: 1-line block ×3, first 2 shown]
	s_delay_alu instid0(VALU_DEP_2) | instskip(NEXT) | instid1(VALU_DEP_2)
	v_dual_fmaak_f32 v21, v19, v21, 0xbfaad1da :: v_dual_mul_f32 v22, v17, v19
	v_fmaak_f32 v20, v19, v20, 0xc0a55e0e
	s_delay_alu instid0(VALU_DEP_1) | instskip(NEXT) | instid1(VALU_DEP_1)
	v_dual_fmaak_f32 v21, v19, v21, 0x4081e0d3 :: v_dual_mul_f32 v20, v22, v20
	v_dual_fmaak_f32 v21, v19, v21, 0xc09de9e6 :: v_dual_and_b32 v22, 1, v18
	v_lshlrev_b32_e32 v18, 30, v18
	s_delay_alu instid0(VALU_DEP_3) | instskip(NEXT) | instid1(VALU_DEP_3)
	v_fmac_f32_e32 v20, 0x40490fdb, v17
	v_fma_f32 v17, v19, v21, 1.0
	s_delay_alu instid0(VALU_DEP_4) | instskip(NEXT) | instid1(VALU_DEP_4)
	v_cmp_eq_u32_e64 s6, 0, v22
	v_and_b32_e32 v18, 0x80000000, v18
	s_delay_alu instid0(VALU_DEP_2) | instskip(NEXT) | instid1(VALU_DEP_1)
	v_cndmask_b32_e64 v17, v17, v20, s6
	v_xor3_b32 v16, v16, v18, v17
	s_delay_alu instid0(VALU_DEP_1) | instskip(NEXT) | instid1(VALU_DEP_1)
	v_mul_f32_e32 v16, v13, v16
	v_frexp_mant_f32_e64 v17, |v16|
	v_frexp_exp_i32_f32_e32 v16, v16
	s_delay_alu instid0(VALU_DEP_2) | instskip(NEXT) | instid1(VALU_DEP_1)
	v_rcp_f32_e32 v17, v17
	v_sub_nc_u32_e32 v16, 2, v16
	s_waitcnt_depctr 0xfff
	v_mul_f32_e32 v17, 0x3f490fdb, v17
	s_delay_alu instid0(VALU_DEP_1) | instskip(NEXT) | instid1(VALU_DEP_1)
	v_ldexp_f32 v16, v17, v16
	v_cmp_gt_f32_e64 s6, 0x800000, v16
	s_delay_alu instid0(VALU_DEP_1) | instskip(NEXT) | instid1(VALU_DEP_1)
	v_cndmask_b32_e64 v17, 1.0, 0x4f800000, s6
	v_mul_f32_e32 v16, v16, v17
	s_delay_alu instid0(VALU_DEP_1) | instskip(SKIP_3) | instid1(VALU_DEP_2)
	v_log_f32_e32 v16, v16
	s_waitcnt_depctr 0xfff
	v_mul_f32_e32 v17, 0x3f317217, v16
	v_cmp_gt_f32_e64 s7, 0x7f800000, |v16|
	v_fma_f32 v18, 0x3f317217, v16, -v17
	s_delay_alu instid0(VALU_DEP_1) | instskip(NEXT) | instid1(VALU_DEP_1)
	v_fmac_f32_e32 v18, 0x3377d1cf, v16
	v_add_f32_e32 v17, v17, v18
	v_floor_f32_e32 v18, v13
	s_delay_alu instid0(VALU_DEP_2) | instskip(SKIP_1) | instid1(VALU_DEP_3)
	v_cndmask_b32_e64 v16, v16, v17, s7
	v_cndmask_b32_e64 v17, 0, 0x41b17218, s6
	v_sub_f32_e32 v18, v13, v18
	s_delay_alu instid0(VALU_DEP_1) | instskip(NEXT) | instid1(VALU_DEP_1)
	v_dual_sub_f32 v16, v16, v17 :: v_dual_min_f32 v17, 0x3f7fffff, v18
	v_sub_f32_e32 v15, v16, v15
	s_delay_alu instid0(VALU_DEP_2) | instskip(NEXT) | instid1(VALU_DEP_1)
	v_cmp_neq_f32_e64 s6, 0, v17
	v_cndmask_b32_e64 v15, 0x7f800000, v15, s6
.LBB13_47:                              ;   in Loop: Header=BB13_4 Depth=1
	s_or_b32 exec_lo, exec_lo, s9
.LBB13_48:                              ;   in Loop: Header=BB13_4 Depth=1
	s_and_not1_saveexec_b32 s8, s8
; %bb.49:                               ;   in Loop: Header=BB13_4 Depth=1
	v_cmp_eq_f32_e64 s6, 1.0, v13
	v_cmp_eq_f32_e64 s7, 2.0, v13
	s_delay_alu instid0(VALU_DEP_1) | instskip(NEXT) | instid1(SALU_CYCLE_1)
	s_or_b32 s6, s6, s7
	v_cndmask_b32_e64 v15, v15, 0, s6
; %bb.50:                               ;   in Loop: Header=BB13_4 Depth=1
	s_or_b32 exec_lo, exec_lo, s8
	v_and_b32_e32 v17, 0x7fffffff, v12
                                        ; implicit-def: $vgpr16
	s_mov_b32 s7, exec_lo
	v_cmpx_ngt_f32_e64 0x3c800000, |v12|
	s_xor_b32 s8, exec_lo, s7
	s_cbranch_execz .LBB13_80
; %bb.51:                               ;   in Loop: Header=BB13_4 Depth=1
                                        ; implicit-def: $vgpr16
	s_mov_b32 s7, exec_lo
	v_cmpx_nlt_f32_e64 |v12|, 2.0
	s_xor_b32 s9, exec_lo, s7
	s_cbranch_execz .LBB13_61
; %bb.52:                               ;   in Loop: Header=BB13_4 Depth=1
	s_mov_b32 s7, exec_lo
                                        ; implicit-def: $vgpr16
	v_cmpx_ngt_f32_e64 0x41000000, |v12|
	s_xor_b32 s7, exec_lo, s7
	s_cbranch_execz .LBB13_58
; %bb.53:                               ;   in Loop: Header=BB13_4 Depth=1
	s_mov_b32 s10, exec_lo
                                        ; implicit-def: $vgpr16
	v_cmpx_ngt_f32_e64 0x5c800000, |v12|
	s_xor_b32 s10, exec_lo, s10
	s_cbranch_execz .LBB13_55
; %bb.54:                               ;   in Loop: Header=BB13_4 Depth=1
	v_cmp_gt_f32_e64 s39, 0x800000, |v12|
	s_delay_alu instid0(VALU_DEP_1) | instskip(NEXT) | instid1(VALU_DEP_1)
	v_cndmask_b32_e64 v16, 1.0, 0x4f800000, s39
	v_mul_f32_e64 v16, |v12|, v16
	s_delay_alu instid0(VALU_DEP_1) | instskip(SKIP_3) | instid1(VALU_DEP_2)
	v_log_f32_e32 v16, v16
	s_waitcnt_depctr 0xfff
	v_mul_f32_e32 v18, 0x3f317217, v16
	v_cmp_gt_f32_e64 s6, 0x7f800000, |v16|
	v_fma_f32 v19, 0x3f317217, v16, -v18
	s_delay_alu instid0(VALU_DEP_1) | instskip(NEXT) | instid1(VALU_DEP_1)
	v_fmac_f32_e32 v19, 0x3377d1cf, v16
	v_add_f32_e32 v18, v18, v19
	s_delay_alu instid0(VALU_DEP_1) | instskip(SKIP_1) | instid1(VALU_DEP_1)
	v_cndmask_b32_e64 v16, v16, v18, s6
	v_cndmask_b32_e64 v18, 0, 0x41b17218, s39
	v_sub_f32_e32 v16, v16, v18
	s_delay_alu instid0(VALU_DEP_1)
	v_fma_f32 v16, |v12|, v16, -|v12|
.LBB13_55:                              ;   in Loop: Header=BB13_4 Depth=1
	s_and_not1_saveexec_b32 s10, s10
	s_cbranch_execz .LBB13_57
; %bb.56:                               ;   in Loop: Header=BB13_4 Depth=1
	v_cmp_gt_f32_e64 s39, 0x800000, |v12|
	v_rcp_f32_e64 v18, |v12|
	s_delay_alu instid0(VALU_DEP_1) | instskip(NEXT) | instid1(VALU_DEP_1)
	v_cndmask_b32_e64 v16, 1.0, 0x4f800000, s39
	v_mul_f32_e64 v16, |v12|, v16
	s_delay_alu instid0(VALU_DEP_1) | instskip(SKIP_3) | instid1(VALU_DEP_2)
	v_log_f32_e32 v16, v16
	s_waitcnt_depctr 0xfff
	v_dual_mul_f32 v19, v18, v18 :: v_dual_mul_f32 v20, 0x3f317217, v16
	v_cmp_gt_f32_e64 s6, 0x7f800000, |v16|
	v_fma_f32 v22, 0x3f317217, v16, -v20
	s_delay_alu instid0(VALU_DEP_1) | instskip(NEXT) | instid1(VALU_DEP_1)
	v_fmac_f32_e32 v22, 0x3377d1cf, v16
	v_dual_fmaak_f32 v21, s25, v19, 0x3a5b3dd2 :: v_dual_add_f32 v20, v20, v22
	s_delay_alu instid0(VALU_DEP_1) | instskip(SKIP_1) | instid1(VALU_DEP_1)
	v_cndmask_b32_e64 v16, v16, v20, s6
	v_cndmask_b32_e64 v20, 0, 0x41b17218, s39
	v_dual_fmaak_f32 v21, v19, v21, 0xba1c065c :: v_dual_sub_f32 v20, v16, v20
	s_delay_alu instid0(VALU_DEP_1) | instskip(NEXT) | instid1(VALU_DEP_1)
	v_fmaak_f32 v21, v19, v21, 0x3a500cfd
	v_fmaak_f32 v21, v19, v21, 0xbb360b61
	s_delay_alu instid0(VALU_DEP_1) | instskip(NEXT) | instid1(VALU_DEP_1)
	v_fmaak_f32 v19, v19, v21, 0x3daaaaab
	v_dual_fmaak_f32 v16, v18, v19, 0x3ed67f1d :: v_dual_add_f32 v19, -1.0, v20
	v_add_f32_e64 v18, |v12|, -0.5
	s_delay_alu instid0(VALU_DEP_1)
	v_fmac_f32_e32 v16, v18, v19
.LBB13_57:                              ;   in Loop: Header=BB13_4 Depth=1
	s_or_b32 exec_lo, exec_lo, s10
.LBB13_58:                              ;   in Loop: Header=BB13_4 Depth=1
	s_and_not1_saveexec_b32 s10, s7
	s_cbranch_execz .LBB13_60
; %bb.59:                               ;   in Loop: Header=BB13_4 Depth=1
	v_cvt_i32_f32_e32 v16, v17
	s_delay_alu instid0(VALU_DEP_1) | instskip(SKIP_1) | instid1(VALU_DEP_2)
	v_cvt_f32_i32_e32 v18, v16
	v_cmp_lt_i32_e64 s6, 2, v16
	v_sub_f32_e64 v18, |v12|, v18
	s_delay_alu instid0(VALU_DEP_1) | instskip(SKIP_2) | instid1(VALU_DEP_3)
	v_add_f32_e32 v19, 2.0, v18
	v_add_f32_e32 v20, 0x40400000, v18
	v_add_f32_e32 v21, 4.0, v18
	v_cndmask_b32_e64 v19, 1.0, v19, s6
	v_cmp_lt_i32_e64 s6, 3, v16
	s_delay_alu instid0(VALU_DEP_1) | instskip(SKIP_1) | instid1(VALU_DEP_2)
	v_cndmask_b32_e64 v20, 1.0, v20, s6
	v_cmp_lt_i32_e64 s6, 4, v16
	v_dual_add_f32 v22, 0x40a00000, v18 :: v_dual_mul_f32 v19, v19, v20
	s_delay_alu instid0(VALU_DEP_2) | instskip(SKIP_1) | instid1(VALU_DEP_2)
	v_cndmask_b32_e64 v21, 1.0, v21, s6
	v_cmp_lt_i32_e64 s6, 5, v16
	v_mul_f32_e32 v19, v21, v19
	s_delay_alu instid0(VALU_DEP_2) | instskip(SKIP_3) | instid1(VALU_DEP_4)
	v_cndmask_b32_e64 v22, 1.0, v22, s6
	v_add_f32_e32 v20, 0x40c00000, v18
	v_cmp_lt_i32_e64 s6, 6, v16
	v_fmaak_f32 v21, s26, v18, 0x3af135b4
	v_mul_f32_e32 v19, v22, v19
	s_delay_alu instid0(VALU_DEP_3) | instskip(NEXT) | instid1(VALU_DEP_1)
	v_cndmask_b32_e64 v16, 1.0, v20, s6
	v_mul_f32_e32 v16, v16, v19
	s_delay_alu instid0(VALU_DEP_1) | instskip(NEXT) | instid1(VALU_DEP_1)
	v_cmp_gt_f32_e64 s6, 0x800000, v16
	v_cndmask_b32_e64 v20, 1.0, 0x4f800000, s6
	s_delay_alu instid0(VALU_DEP_1) | instskip(SKIP_1) | instid1(VALU_DEP_2)
	v_mul_f32_e32 v16, v16, v20
	v_fmaak_f32 v20, v18, v21, 0x3cda40e4
	v_log_f32_e32 v16, v16
	s_waitcnt_depctr 0xfff
	v_mul_f32_e32 v21, 0x3f317217, v16
	v_cmp_gt_f32_e64 s7, 0x7f800000, |v16|
	s_delay_alu instid0(VALU_DEP_2) | instskip(NEXT) | instid1(VALU_DEP_1)
	v_fma_f32 v22, 0x3f317217, v16, -v21
	v_fmac_f32_e32 v22, 0x3377d1cf, v16
	s_delay_alu instid0(VALU_DEP_1) | instskip(NEXT) | instid1(VALU_DEP_1)
	v_dual_add_f32 v21, v21, v22 :: v_dual_fmaak_f32 v20, v18, v20, 0x3e15dce6
	v_cndmask_b32_e64 v16, v16, v21, s7
	s_delay_alu instid0(VALU_DEP_2) | instskip(NEXT) | instid1(VALU_DEP_1)
	v_fmaak_f32 v20, v18, v20, 0x3ea6cc7a
	v_fmaak_f32 v20, v18, v20, 0x3e5c245a
	s_delay_alu instid0(VALU_DEP_1) | instskip(NEXT) | instid1(VALU_DEP_1)
	v_fmaak_f32 v20, v18, v20, 0xbd9e233f
	v_dual_fmaak_f32 v19, s27, v18, 0x3a4beed6 :: v_dual_mul_f32 v20, v18, v20
	s_delay_alu instid0(VALU_DEP_1) | instskip(NEXT) | instid1(VALU_DEP_1)
	v_fmaak_f32 v19, v18, v19, 0x3c98bf54
	v_fmaak_f32 v19, v18, v19, 0x3e300f6e
	s_delay_alu instid0(VALU_DEP_1) | instskip(NEXT) | instid1(VALU_DEP_1)
	v_fmaak_f32 v19, v18, v19, 0x3f38d0c5
	v_fmaak_f32 v19, v18, v19, 0x3fb22d3b
	s_delay_alu instid0(VALU_DEP_1) | instskip(NEXT) | instid1(VALU_DEP_1)
	v_fma_f32 v19, v18, v19, 1.0
	v_rcp_f32_e32 v19, v19
	s_waitcnt_depctr 0xfff
	v_mul_f32_e32 v19, v20, v19
	v_cndmask_b32_e64 v20, 0, 0x41b17218, s6
	s_delay_alu instid0(VALU_DEP_1) | instskip(NEXT) | instid1(VALU_DEP_1)
	v_dual_fmac_f32 v19, 0.5, v18 :: v_dual_sub_f32 v16, v16, v20
	v_add_f32_e32 v16, v16, v19
.LBB13_60:                              ;   in Loop: Header=BB13_4 Depth=1
	s_or_b32 exec_lo, exec_lo, s10
.LBB13_61:                              ;   in Loop: Header=BB13_4 Depth=1
	s_and_not1_saveexec_b32 s9, s9
	s_cbranch_execz .LBB13_79
; %bb.62:                               ;   in Loop: Header=BB13_4 Depth=1
                                        ; implicit-def: $vgpr16
                                        ; implicit-def: $vgpr19
                                        ; implicit-def: $vgpr18
	s_mov_b32 s7, exec_lo
	v_cmpx_ge_f32_e64 0x3f666666, |v12|
	s_xor_b32 s10, exec_lo, s7
	s_cbranch_execz .LBB13_64
; %bb.63:                               ;   in Loop: Header=BB13_4 Depth=1
	v_cmp_gt_f32_e64 s7, 0x800000, |v12|
	v_sub_f32_e64 v20, 1.0, |v12|
	v_cmp_gt_f32_e64 s6, 0x3f3b4a23, |v12|
	s_delay_alu instid0(VALU_DEP_3) | instskip(SKIP_1) | instid1(VALU_DEP_2)
	v_cndmask_b32_e64 v16, 1.0, 0x4f800000, s7
	v_cndmask_b32_e64 v21, 0, 0x41b17218, s7
	v_mul_f32_e64 v16, |v12|, v16
	s_delay_alu instid0(VALU_DEP_1) | instskip(SKIP_3) | instid1(VALU_DEP_2)
	v_log_f32_e32 v16, v16
	s_waitcnt_depctr 0xfff
	v_mul_f32_e32 v18, 0x3f317217, v16
	v_cmp_gt_f32_e64 s7, 0x7f800000, |v16|
	v_fma_f32 v19, 0x3f317217, v16, -v18
	s_delay_alu instid0(VALU_DEP_1) | instskip(NEXT) | instid1(VALU_DEP_1)
	v_fmac_f32_e32 v19, 0x3377d1cf, v16
	v_add_f32_e32 v18, v18, v19
	v_add_f32_e64 v19, 0xbeec5b0c, |v12|
	s_delay_alu instid0(VALU_DEP_2) | instskip(NEXT) | instid1(VALU_DEP_2)
	v_cndmask_b32_e64 v16, v16, v18, s7
	v_cndmask_b32_e64 v18, v20, v19, s6
	;; [unrolled: 1-line block ×3, first 2 shown]
	v_cmp_gt_f32_e64 s6, 0x3e6d3309, |v12|
	s_delay_alu instid0(VALU_DEP_4) | instskip(NEXT) | instid1(VALU_DEP_2)
	v_sub_f32_e32 v16, v16, v21
	v_cndmask_b32_e64 v18, v18, |v12|, s6
	s_delay_alu instid0(VALU_DEP_4) | instskip(NEXT) | instid1(VALU_DEP_3)
	v_cndmask_b32_e64 v19, v19, 2, s6
	v_xor_b32_e32 v16, 0x80000000, v16
.LBB13_64:                              ;   in Loop: Header=BB13_4 Depth=1
	s_and_not1_saveexec_b32 s7, s10
; %bb.65:                               ;   in Loop: Header=BB13_4 Depth=1
	v_sub_f32_e64 v16, 2.0, |v12|
	v_add_f32_e64 v18, 0xbfbb16c3, |v12|
	v_cmp_gt_f32_e64 s6, 0x3fdda512, |v12|
	v_add_f32_e64 v19, |v12|, -1.0
	s_delay_alu instid0(VALU_DEP_2) | instskip(SKIP_2) | instid1(VALU_DEP_2)
	v_cndmask_b32_e64 v18, v16, v18, s6
	v_cndmask_b32_e64 v16, v16, 1.0, s6
	v_cmp_gt_f32_e64 s6, 0x3f9d70a4, |v12|
	v_cvt_i32_f32_e32 v16, v16
	s_delay_alu instid0(VALU_DEP_2) | instskip(NEXT) | instid1(VALU_DEP_2)
	v_cndmask_b32_e64 v18, v18, v19, s6
	v_cndmask_b32_e64 v19, v16, 2, s6
	v_mov_b32_e32 v16, 0
; %bb.66:                               ;   in Loop: Header=BB13_4 Depth=1
	s_or_b32 exec_lo, exec_lo, s7
	s_delay_alu instid0(SALU_CYCLE_1) | instskip(NEXT) | instid1(VALU_DEP_2)
	s_mov_b32 s7, exec_lo
	v_cmpx_lt_i32_e32 0, v19
	s_xor_b32 s7, exec_lo, s7
	s_cbranch_execz .LBB13_74
; %bb.67:                               ;   in Loop: Header=BB13_4 Depth=1
	s_mov_b32 s10, exec_lo
	v_cmpx_lt_i32_e32 1, v19
	s_xor_b32 s10, exec_lo, s10
	s_cbranch_execz .LBB13_71
; %bb.68:                               ;   in Loop: Header=BB13_4 Depth=1
	s_mov_b32 s39, exec_lo
	v_cmpx_eq_u32_e32 2, v19
	s_cbranch_execz .LBB13_70
; %bb.69:                               ;   in Loop: Header=BB13_4 Depth=1
	v_fmaak_f32 v20, s28, v18, 0x3e6a7578
	s_delay_alu instid0(VALU_DEP_1) | instskip(NEXT) | instid1(VALU_DEP_1)
	v_fmaak_f32 v20, v18, v20, 0x3f7a4bb2
	v_fmaak_f32 v20, v18, v20, 0x3fba3ae7
	s_delay_alu instid0(VALU_DEP_1) | instskip(NEXT) | instid1(VALU_DEP_1)
	v_fmaak_f32 v20, v18, v20, 0x3f2200f4
	v_fmaak_f32 v20, v18, v20, 0xbd9e233f
	s_delay_alu instid0(VALU_DEP_1) | instskip(NEXT) | instid1(VALU_DEP_1)
	v_dual_fmaak_f32 v19, s29, v18, 0x3dd572af :: v_dual_mul_f32 v20, v18, v20
	v_fmaak_f32 v19, v18, v19, 0x3f44efdf
	s_delay_alu instid0(VALU_DEP_1) | instskip(NEXT) | instid1(VALU_DEP_1)
	v_fmaak_f32 v19, v18, v19, 0x4008392d
	v_fmaak_f32 v19, v18, v19, 0x401d2ebe
	s_delay_alu instid0(VALU_DEP_1) | instskip(NEXT) | instid1(VALU_DEP_1)
	v_fma_f32 v19, v18, v19, 1.0
	v_rcp_f32_e32 v19, v19
	s_waitcnt_depctr 0xfff
	v_mul_f32_e32 v19, v20, v19
	s_delay_alu instid0(VALU_DEP_1) | instskip(NEXT) | instid1(VALU_DEP_1)
	v_fmac_f32_e32 v19, -0.5, v18
	v_add_f32_e32 v16, v16, v19
.LBB13_70:                              ;   in Loop: Header=BB13_4 Depth=1
	s_or_b32 exec_lo, exec_lo, s39
                                        ; implicit-def: $vgpr18
.LBB13_71:                              ;   in Loop: Header=BB13_4 Depth=1
	s_and_not1_saveexec_b32 s6, s10
	s_cbranch_execz .LBB13_73
; %bb.72:                               ;   in Loop: Header=BB13_4 Depth=1
	v_mul_f32_e32 v19, v18, v18
	s_delay_alu instid0(VALU_DEP_1) | instskip(NEXT) | instid1(VALU_DEP_1)
	v_mul_f32_e32 v20, v18, v19
	v_fmaak_f32 v22, s33, v20, 0xba0d3085
	v_fmaak_f32 v21, s31, v20, 0x3a66f867
	;; [unrolled: 1-line block ×3, first 2 shown]
	s_delay_alu instid0(VALU_DEP_3) | instskip(NEXT) | instid1(VALU_DEP_3)
	v_fmaak_f32 v22, v20, v22, 0x3b141699
	v_fmaak_f32 v21, v20, v21, 0xbb7177fe
	s_delay_alu instid0(VALU_DEP_3) | instskip(NEXT) | instid1(VALU_DEP_3)
	v_fmaak_f32 v23, v20, v23, 0x3bc7e707
	v_fmaak_f32 v22, v20, v22, 0xbc28fcfe
	;; [unrolled: 3-line block ×4, first 2 shown]
	s_delay_alu instid0(VALU_DEP_1) | instskip(NEXT) | instid1(VALU_DEP_1)
	v_dual_fmac_f32 v21, v18, v22 :: v_dual_fmaak_f32 v18, v20, v23, 0x3ef7b95e
	v_fma_f32 v20, v20, -v21, 0xa2863e55
	s_delay_alu instid0(VALU_DEP_1) | instskip(NEXT) | instid1(VALU_DEP_1)
	v_fma_f32 v18, v19, v18, -v20
	v_add_f32_e32 v18, 0xbdf8cdce, v18
	s_delay_alu instid0(VALU_DEP_1)
	v_add_f32_e32 v16, v16, v18
.LBB13_73:                              ;   in Loop: Header=BB13_4 Depth=1
	s_or_b32 exec_lo, exec_lo, s6
                                        ; implicit-def: $vgpr19
                                        ; implicit-def: $vgpr18
.LBB13_74:                              ;   in Loop: Header=BB13_4 Depth=1
	s_and_not1_saveexec_b32 s7, s7
	s_cbranch_execz .LBB13_78
; %bb.75:                               ;   in Loop: Header=BB13_4 Depth=1
	s_mov_b32 s10, exec_lo
	v_cmpx_eq_u32_e32 0, v19
	s_cbranch_execz .LBB13_77
; %bb.76:                               ;   in Loop: Header=BB13_4 Depth=1
	v_mul_f32_e32 v19, v18, v18
	s_delay_alu instid0(VALU_DEP_1) | instskip(NEXT) | instid1(VALU_DEP_1)
	v_fmaak_f32 v21, s34, v19, 0x39679767
	v_fmaak_f32 v21, v19, v21, 0x3a9c54a1
	s_delay_alu instid0(VALU_DEP_1) | instskip(NEXT) | instid1(VALU_DEP_1)
	v_fmaak_f32 v21, v19, v21, 0x3bf2027e
	v_fmaak_f32 v21, v19, v21, 0x3d89f001
	s_delay_alu instid0(VALU_DEP_1) | instskip(SKIP_1) | instid1(VALU_DEP_1)
	v_fmaak_f32 v21, v19, v21, 0x3d9e233f
	v_fmaak_f32 v20, s35, v19, 0x38e28445
	;; [unrolled: 1-line block ×3, first 2 shown]
	s_delay_alu instid0(VALU_DEP_1) | instskip(NEXT) | instid1(VALU_DEP_1)
	v_fmaak_f32 v20, v19, v20, 0x3b3d6ec6
	v_fmaak_f32 v20, v19, v20, 0x3ca89915
	s_delay_alu instid0(VALU_DEP_1) | instskip(NEXT) | instid1(VALU_DEP_1)
	v_fmaak_f32 v20, v19, v20, 0x3ea51a66
	v_mul_f32_e32 v19, v19, v20
	s_delay_alu instid0(VALU_DEP_1) | instskip(NEXT) | instid1(VALU_DEP_1)
	v_fmac_f32_e32 v19, v18, v21
	v_fmac_f32_e32 v19, -0.5, v18
	s_delay_alu instid0(VALU_DEP_1)
	v_add_f32_e32 v16, v16, v19
.LBB13_77:                              ;   in Loop: Header=BB13_4 Depth=1
	s_or_b32 exec_lo, exec_lo, s10
.LBB13_78:                              ;   in Loop: Header=BB13_4 Depth=1
	s_delay_alu instid0(SALU_CYCLE_1)
	s_or_b32 exec_lo, exec_lo, s7
.LBB13_79:                              ;   in Loop: Header=BB13_4 Depth=1
	s_delay_alu instid0(SALU_CYCLE_1)
	s_or_b32 exec_lo, exec_lo, s9
.LBB13_80:                              ;   in Loop: Header=BB13_4 Depth=1
	s_and_not1_saveexec_b32 s7, s8
	s_cbranch_execz .LBB13_82
; %bb.81:                               ;   in Loop: Header=BB13_4 Depth=1
	v_cmp_gt_f32_e64 s8, 0x800000, |v12|
	v_fma_f32 v20, |v12|, s36, 0xbecd26ab
	s_delay_alu instid0(VALU_DEP_2) | instskip(NEXT) | instid1(VALU_DEP_1)
	v_cndmask_b32_e64 v16, 1.0, 0x4f800000, s8
	v_mul_f32_e64 v16, |v12|, v16
	s_delay_alu instid0(VALU_DEP_1) | instskip(SKIP_3) | instid1(VALU_DEP_2)
	v_log_f32_e32 v16, v16
	s_waitcnt_depctr 0xfff
	v_mul_f32_e32 v18, 0x3f317217, v16
	v_cmp_gt_f32_e64 s6, 0x7f800000, |v16|
	v_fma_f32 v19, 0x3f317217, v16, -v18
	s_delay_alu instid0(VALU_DEP_1) | instskip(NEXT) | instid1(VALU_DEP_1)
	v_fmac_f32_e32 v19, 0x3377d1cf, v16
	v_add_f32_e32 v18, v18, v19
	v_fma_f32 v19, |v12|, v20, 0x3f528d33
	s_delay_alu instid0(VALU_DEP_2) | instskip(SKIP_1) | instid1(VALU_DEP_3)
	v_cndmask_b32_e64 v16, v16, v18, s6
	v_cndmask_b32_e64 v18, 0, 0x41b17218, s8
	v_fma_f32 v19, |v12|, v19, 0xbf13c468
	s_delay_alu instid0(VALU_DEP_2) | instskip(NEXT) | instid1(VALU_DEP_1)
	v_sub_f32_e32 v16, v16, v18
	v_fma_f32 v16, |v12|, v19, -v16
.LBB13_82:                              ;   in Loop: Header=BB13_4 Depth=1
	s_or_b32 exec_lo, exec_lo, s7
	v_cmp_le_f32_e64 s6, 0, v12
	s_mov_b32 s8, exec_lo
	v_cmpx_nle_f32_e32 0, v12
	s_xor_b32 s9, exec_lo, s8
	s_cbranch_execz .LBB13_86
; %bb.83:                               ;   in Loop: Header=BB13_4 Depth=1
	v_cmp_gt_f32_e64 s7, 0x4b000000, |v12|
	v_cmp_lt_f32_e64 s8, 0x35000000, |v12|
	s_delay_alu instid0(VALU_DEP_1) | instskip(NEXT) | instid1(SALU_CYCLE_1)
	s_and_b32 s7, s7, s8
	s_and_saveexec_b32 s10, s7
	s_cbranch_execz .LBB13_85
; %bb.84:                               ;   in Loop: Header=BB13_4 Depth=1
	v_mul_f32_e64 v18, |v12|, 0.5
	v_xor_b32_e32 v17, v17, v12
	s_delay_alu instid0(VALU_DEP_2) | instskip(SKIP_1) | instid1(VALU_DEP_2)
	v_floor_f32_e32 v19, v18
	v_cmp_neq_f32_e64 s7, 0x7f800000, v18
	v_sub_f32_e32 v19, v18, v19
	s_delay_alu instid0(VALU_DEP_1) | instskip(NEXT) | instid1(VALU_DEP_1)
	v_min_f32_e32 v19, 0x3f7fffff, v19
	v_add_f32_e32 v19, v19, v19
	s_delay_alu instid0(VALU_DEP_1) | instskip(SKIP_1) | instid1(VALU_DEP_1)
	v_cndmask_b32_e64 v18, 0, v19, s7
	v_cmp_gt_f32_e64 s7, |v12|, 1.0
	v_cndmask_b32_e64 v18, |v12|, v18, s7
	s_delay_alu instid0(VALU_DEP_1) | instskip(NEXT) | instid1(VALU_DEP_1)
	v_add_f32_e32 v19, v18, v18
	v_rndne_f32_e32 v19, v19
	s_delay_alu instid0(VALU_DEP_1) | instskip(SKIP_1) | instid1(VALU_DEP_2)
	v_fmac_f32_e32 v18, -0.5, v19
	v_cvt_i32_f32_e32 v19, v19
	v_mul_f32_e32 v20, v18, v18
	s_delay_alu instid0(VALU_DEP_1) | instskip(SKIP_1) | instid1(VALU_DEP_2)
	v_fmaak_f32 v21, s37, v20, 0xbf1f24be
	v_fmaak_f32 v22, s38, v20, 0x3e642e9d
	v_fmaak_f32 v21, v20, v21, 0x40234736
	s_delay_alu instid0(VALU_DEP_2) | instskip(NEXT) | instid1(VALU_DEP_2)
	v_dual_fmaak_f32 v22, v20, v22, 0xbfaad1da :: v_dual_mul_f32 v23, v18, v20
	v_fmaak_f32 v21, v20, v21, 0xc0a55e0e
	s_delay_alu instid0(VALU_DEP_1) | instskip(NEXT) | instid1(VALU_DEP_1)
	v_dual_fmaak_f32 v22, v20, v22, 0x4081e0d3 :: v_dual_mul_f32 v21, v23, v21
	v_dual_fmaak_f32 v22, v20, v22, 0xc09de9e6 :: v_dual_and_b32 v23, 1, v19
	v_lshlrev_b32_e32 v19, 30, v19
	s_delay_alu instid0(VALU_DEP_3) | instskip(NEXT) | instid1(VALU_DEP_3)
	v_fmac_f32_e32 v21, 0x40490fdb, v18
	v_fma_f32 v18, v20, v22, 1.0
	s_delay_alu instid0(VALU_DEP_4) | instskip(NEXT) | instid1(VALU_DEP_4)
	v_cmp_eq_u32_e64 s7, 0, v23
	v_and_b32_e32 v19, 0x80000000, v19
	s_delay_alu instid0(VALU_DEP_2) | instskip(NEXT) | instid1(VALU_DEP_1)
	v_cndmask_b32_e64 v18, v18, v21, s7
	v_xor3_b32 v17, v17, v19, v18
	s_delay_alu instid0(VALU_DEP_1) | instskip(NEXT) | instid1(VALU_DEP_1)
	v_mul_f32_e32 v17, v12, v17
	v_frexp_mant_f32_e64 v18, |v17|
	v_frexp_exp_i32_f32_e32 v17, v17
	s_delay_alu instid0(VALU_DEP_2) | instskip(NEXT) | instid1(VALU_DEP_1)
	v_rcp_f32_e32 v18, v18
	v_sub_nc_u32_e32 v17, 2, v17
	s_waitcnt_depctr 0xfff
	v_mul_f32_e32 v18, 0x3f490fdb, v18
	s_delay_alu instid0(VALU_DEP_1) | instskip(NEXT) | instid1(VALU_DEP_1)
	v_ldexp_f32 v17, v18, v17
	v_cmp_gt_f32_e64 s7, 0x800000, v17
	s_delay_alu instid0(VALU_DEP_1) | instskip(NEXT) | instid1(VALU_DEP_1)
	v_cndmask_b32_e64 v18, 1.0, 0x4f800000, s7
	v_mul_f32_e32 v17, v17, v18
	s_delay_alu instid0(VALU_DEP_1) | instskip(SKIP_3) | instid1(VALU_DEP_2)
	v_log_f32_e32 v17, v17
	s_waitcnt_depctr 0xfff
	v_mul_f32_e32 v18, 0x3f317217, v17
	v_cmp_gt_f32_e64 s8, 0x7f800000, |v17|
	v_fma_f32 v19, 0x3f317217, v17, -v18
	s_delay_alu instid0(VALU_DEP_1) | instskip(NEXT) | instid1(VALU_DEP_1)
	v_fmac_f32_e32 v19, 0x3377d1cf, v17
	v_add_f32_e32 v18, v18, v19
	v_floor_f32_e32 v19, v12
	s_delay_alu instid0(VALU_DEP_2) | instskip(SKIP_1) | instid1(VALU_DEP_3)
	v_cndmask_b32_e64 v17, v17, v18, s8
	v_cndmask_b32_e64 v18, 0, 0x41b17218, s7
	v_sub_f32_e32 v19, v12, v19
	s_delay_alu instid0(VALU_DEP_1) | instskip(NEXT) | instid1(VALU_DEP_1)
	v_dual_sub_f32 v17, v17, v18 :: v_dual_min_f32 v18, 0x3f7fffff, v19
	v_sub_f32_e32 v16, v17, v16
	s_delay_alu instid0(VALU_DEP_2) | instskip(NEXT) | instid1(VALU_DEP_1)
	v_cmp_neq_f32_e64 s7, 0, v18
	v_cndmask_b32_e64 v16, 0x7f800000, v16, s7
.LBB13_85:                              ;   in Loop: Header=BB13_4 Depth=1
	s_or_b32 exec_lo, exec_lo, s10
.LBB13_86:                              ;   in Loop: Header=BB13_4 Depth=1
	s_and_not1_saveexec_b32 s9, s9
; %bb.87:                               ;   in Loop: Header=BB13_4 Depth=1
	v_cmp_eq_f32_e64 s7, 1.0, v12
	v_cmp_eq_f32_e64 s8, 2.0, v12
	s_delay_alu instid0(VALU_DEP_1) | instskip(NEXT) | instid1(SALU_CYCLE_1)
	s_or_b32 s7, s7, s8
	v_cndmask_b32_e64 v16, v16, 0, s7
; %bb.88:                               ;   in Loop: Header=BB13_4 Depth=1
	s_or_b32 exec_lo, exec_lo, s9
	v_and_b32_e32 v18, 0x7fffffff, v14
                                        ; implicit-def: $vgpr17
	s_mov_b32 s8, exec_lo
	v_cmpx_ngt_f32_e64 0x3c800000, |v14|
	s_xor_b32 s9, exec_lo, s8
	s_cbranch_execz .LBB13_118
; %bb.89:                               ;   in Loop: Header=BB13_4 Depth=1
                                        ; implicit-def: $vgpr17
	s_mov_b32 s8, exec_lo
	v_cmpx_nlt_f32_e64 |v14|, 2.0
	s_xor_b32 s10, exec_lo, s8
	s_cbranch_execz .LBB13_99
; %bb.90:                               ;   in Loop: Header=BB13_4 Depth=1
	s_mov_b32 s8, exec_lo
                                        ; implicit-def: $vgpr17
	v_cmpx_ngt_f32_e64 0x41000000, |v14|
	s_xor_b32 s8, exec_lo, s8
	s_cbranch_execz .LBB13_96
; %bb.91:                               ;   in Loop: Header=BB13_4 Depth=1
	s_mov_b32 s39, exec_lo
                                        ; implicit-def: $vgpr17
	v_cmpx_ngt_f32_e64 0x5c800000, |v14|
	s_xor_b32 s39, exec_lo, s39
	s_cbranch_execz .LBB13_93
; %bb.92:                               ;   in Loop: Header=BB13_4 Depth=1
	v_cmp_gt_f32_e64 s40, 0x800000, |v14|
	s_delay_alu instid0(VALU_DEP_1) | instskip(NEXT) | instid1(VALU_DEP_1)
	v_cndmask_b32_e64 v17, 1.0, 0x4f800000, s40
	v_mul_f32_e64 v17, |v14|, v17
	s_delay_alu instid0(VALU_DEP_1) | instskip(SKIP_3) | instid1(VALU_DEP_2)
	v_log_f32_e32 v17, v17
	s_waitcnt_depctr 0xfff
	v_mul_f32_e32 v19, 0x3f317217, v17
	v_cmp_gt_f32_e64 s7, 0x7f800000, |v17|
	v_fma_f32 v20, 0x3f317217, v17, -v19
	s_delay_alu instid0(VALU_DEP_1) | instskip(NEXT) | instid1(VALU_DEP_1)
	v_fmac_f32_e32 v20, 0x3377d1cf, v17
	v_add_f32_e32 v19, v19, v20
	s_delay_alu instid0(VALU_DEP_1) | instskip(SKIP_1) | instid1(VALU_DEP_1)
	v_cndmask_b32_e64 v17, v17, v19, s7
	v_cndmask_b32_e64 v19, 0, 0x41b17218, s40
	v_sub_f32_e32 v17, v17, v19
	s_delay_alu instid0(VALU_DEP_1)
	v_fma_f32 v17, |v14|, v17, -|v14|
.LBB13_93:                              ;   in Loop: Header=BB13_4 Depth=1
	s_and_not1_saveexec_b32 s39, s39
	s_cbranch_execz .LBB13_95
; %bb.94:                               ;   in Loop: Header=BB13_4 Depth=1
	v_cmp_gt_f32_e64 s40, 0x800000, |v14|
	v_rcp_f32_e64 v19, |v14|
	s_delay_alu instid0(VALU_DEP_1) | instskip(NEXT) | instid1(VALU_DEP_1)
	v_cndmask_b32_e64 v17, 1.0, 0x4f800000, s40
	v_mul_f32_e64 v17, |v14|, v17
	s_delay_alu instid0(VALU_DEP_1) | instskip(SKIP_3) | instid1(VALU_DEP_2)
	v_log_f32_e32 v17, v17
	s_waitcnt_depctr 0xfff
	v_dual_mul_f32 v20, v19, v19 :: v_dual_mul_f32 v21, 0x3f317217, v17
	v_cmp_gt_f32_e64 s7, 0x7f800000, |v17|
	v_fma_f32 v23, 0x3f317217, v17, -v21
	s_delay_alu instid0(VALU_DEP_1) | instskip(NEXT) | instid1(VALU_DEP_1)
	v_fmac_f32_e32 v23, 0x3377d1cf, v17
	v_dual_fmaak_f32 v22, s25, v20, 0x3a5b3dd2 :: v_dual_add_f32 v21, v21, v23
	s_delay_alu instid0(VALU_DEP_1) | instskip(SKIP_1) | instid1(VALU_DEP_1)
	v_cndmask_b32_e64 v17, v17, v21, s7
	v_cndmask_b32_e64 v21, 0, 0x41b17218, s40
	v_dual_fmaak_f32 v22, v20, v22, 0xba1c065c :: v_dual_sub_f32 v21, v17, v21
	s_delay_alu instid0(VALU_DEP_1) | instskip(NEXT) | instid1(VALU_DEP_1)
	v_fmaak_f32 v22, v20, v22, 0x3a500cfd
	v_fmaak_f32 v22, v20, v22, 0xbb360b61
	s_delay_alu instid0(VALU_DEP_1) | instskip(NEXT) | instid1(VALU_DEP_1)
	v_fmaak_f32 v20, v20, v22, 0x3daaaaab
	v_dual_fmaak_f32 v17, v19, v20, 0x3ed67f1d :: v_dual_add_f32 v20, -1.0, v21
	v_add_f32_e64 v19, |v14|, -0.5
	s_delay_alu instid0(VALU_DEP_1)
	v_fmac_f32_e32 v17, v19, v20
.LBB13_95:                              ;   in Loop: Header=BB13_4 Depth=1
	s_or_b32 exec_lo, exec_lo, s39
.LBB13_96:                              ;   in Loop: Header=BB13_4 Depth=1
	s_and_not1_saveexec_b32 s39, s8
	s_cbranch_execz .LBB13_98
; %bb.97:                               ;   in Loop: Header=BB13_4 Depth=1
	v_cvt_i32_f32_e32 v17, v18
	s_delay_alu instid0(VALU_DEP_1) | instskip(SKIP_1) | instid1(VALU_DEP_2)
	v_cvt_f32_i32_e32 v19, v17
	v_cmp_lt_i32_e64 s7, 2, v17
	v_sub_f32_e64 v19, |v14|, v19
	s_delay_alu instid0(VALU_DEP_1) | instskip(SKIP_2) | instid1(VALU_DEP_3)
	v_add_f32_e32 v20, 2.0, v19
	v_add_f32_e32 v21, 0x40400000, v19
	v_add_f32_e32 v22, 4.0, v19
	v_cndmask_b32_e64 v20, 1.0, v20, s7
	v_cmp_lt_i32_e64 s7, 3, v17
	s_delay_alu instid0(VALU_DEP_1) | instskip(SKIP_1) | instid1(VALU_DEP_2)
	v_cndmask_b32_e64 v21, 1.0, v21, s7
	v_cmp_lt_i32_e64 s7, 4, v17
	v_dual_add_f32 v23, 0x40a00000, v19 :: v_dual_mul_f32 v20, v20, v21
	s_delay_alu instid0(VALU_DEP_2) | instskip(SKIP_1) | instid1(VALU_DEP_2)
	v_cndmask_b32_e64 v22, 1.0, v22, s7
	v_cmp_lt_i32_e64 s7, 5, v17
	v_mul_f32_e32 v20, v22, v20
	s_delay_alu instid0(VALU_DEP_2) | instskip(SKIP_3) | instid1(VALU_DEP_4)
	v_cndmask_b32_e64 v23, 1.0, v23, s7
	v_add_f32_e32 v21, 0x40c00000, v19
	v_cmp_lt_i32_e64 s7, 6, v17
	v_fmaak_f32 v22, s26, v19, 0x3af135b4
	v_mul_f32_e32 v20, v23, v20
	s_delay_alu instid0(VALU_DEP_3) | instskip(NEXT) | instid1(VALU_DEP_1)
	v_cndmask_b32_e64 v17, 1.0, v21, s7
	v_mul_f32_e32 v17, v17, v20
	s_delay_alu instid0(VALU_DEP_1) | instskip(NEXT) | instid1(VALU_DEP_1)
	v_cmp_gt_f32_e64 s7, 0x800000, v17
	v_cndmask_b32_e64 v21, 1.0, 0x4f800000, s7
	s_delay_alu instid0(VALU_DEP_1) | instskip(SKIP_1) | instid1(VALU_DEP_2)
	v_mul_f32_e32 v17, v17, v21
	v_fmaak_f32 v21, v19, v22, 0x3cda40e4
	v_log_f32_e32 v17, v17
	s_waitcnt_depctr 0xfff
	v_mul_f32_e32 v22, 0x3f317217, v17
	v_cmp_gt_f32_e64 s8, 0x7f800000, |v17|
	s_delay_alu instid0(VALU_DEP_2) | instskip(NEXT) | instid1(VALU_DEP_1)
	v_fma_f32 v23, 0x3f317217, v17, -v22
	v_fmac_f32_e32 v23, 0x3377d1cf, v17
	s_delay_alu instid0(VALU_DEP_1) | instskip(NEXT) | instid1(VALU_DEP_1)
	v_dual_add_f32 v22, v22, v23 :: v_dual_fmaak_f32 v21, v19, v21, 0x3e15dce6
	v_cndmask_b32_e64 v17, v17, v22, s8
	s_delay_alu instid0(VALU_DEP_2) | instskip(NEXT) | instid1(VALU_DEP_1)
	v_fmaak_f32 v21, v19, v21, 0x3ea6cc7a
	v_fmaak_f32 v21, v19, v21, 0x3e5c245a
	s_delay_alu instid0(VALU_DEP_1) | instskip(NEXT) | instid1(VALU_DEP_1)
	v_fmaak_f32 v21, v19, v21, 0xbd9e233f
	v_dual_fmaak_f32 v20, s27, v19, 0x3a4beed6 :: v_dual_mul_f32 v21, v19, v21
	s_delay_alu instid0(VALU_DEP_1) | instskip(NEXT) | instid1(VALU_DEP_1)
	v_fmaak_f32 v20, v19, v20, 0x3c98bf54
	v_fmaak_f32 v20, v19, v20, 0x3e300f6e
	s_delay_alu instid0(VALU_DEP_1) | instskip(NEXT) | instid1(VALU_DEP_1)
	v_fmaak_f32 v20, v19, v20, 0x3f38d0c5
	v_fmaak_f32 v20, v19, v20, 0x3fb22d3b
	s_delay_alu instid0(VALU_DEP_1) | instskip(NEXT) | instid1(VALU_DEP_1)
	v_fma_f32 v20, v19, v20, 1.0
	v_rcp_f32_e32 v20, v20
	s_waitcnt_depctr 0xfff
	v_mul_f32_e32 v20, v21, v20
	v_cndmask_b32_e64 v21, 0, 0x41b17218, s7
	s_delay_alu instid0(VALU_DEP_1) | instskip(NEXT) | instid1(VALU_DEP_1)
	v_dual_fmac_f32 v20, 0.5, v19 :: v_dual_sub_f32 v17, v17, v21
	v_add_f32_e32 v17, v17, v20
.LBB13_98:                              ;   in Loop: Header=BB13_4 Depth=1
	s_or_b32 exec_lo, exec_lo, s39
.LBB13_99:                              ;   in Loop: Header=BB13_4 Depth=1
	s_and_not1_saveexec_b32 s10, s10
	s_cbranch_execz .LBB13_117
; %bb.100:                              ;   in Loop: Header=BB13_4 Depth=1
                                        ; implicit-def: $vgpr17
                                        ; implicit-def: $vgpr20
                                        ; implicit-def: $vgpr19
	s_mov_b32 s8, exec_lo
	v_cmpx_ge_f32_e64 0x3f666666, |v14|
	s_xor_b32 s39, exec_lo, s8
	s_cbranch_execz .LBB13_102
; %bb.101:                              ;   in Loop: Header=BB13_4 Depth=1
	v_cmp_gt_f32_e64 s8, 0x800000, |v14|
	v_sub_f32_e64 v21, 1.0, |v14|
	v_cmp_gt_f32_e64 s7, 0x3f3b4a23, |v14|
	s_delay_alu instid0(VALU_DEP_3) | instskip(SKIP_1) | instid1(VALU_DEP_2)
	v_cndmask_b32_e64 v17, 1.0, 0x4f800000, s8
	v_cndmask_b32_e64 v22, 0, 0x41b17218, s8
	v_mul_f32_e64 v17, |v14|, v17
	s_delay_alu instid0(VALU_DEP_1) | instskip(SKIP_3) | instid1(VALU_DEP_2)
	v_log_f32_e32 v17, v17
	s_waitcnt_depctr 0xfff
	v_mul_f32_e32 v19, 0x3f317217, v17
	v_cmp_gt_f32_e64 s8, 0x7f800000, |v17|
	v_fma_f32 v20, 0x3f317217, v17, -v19
	s_delay_alu instid0(VALU_DEP_1) | instskip(NEXT) | instid1(VALU_DEP_1)
	v_fmac_f32_e32 v20, 0x3377d1cf, v17
	v_add_f32_e32 v19, v19, v20
	v_add_f32_e64 v20, 0xbeec5b0c, |v14|
	s_delay_alu instid0(VALU_DEP_2) | instskip(NEXT) | instid1(VALU_DEP_2)
	v_cndmask_b32_e64 v17, v17, v19, s8
	v_cndmask_b32_e64 v19, v21, v20, s7
	;; [unrolled: 1-line block ×3, first 2 shown]
	v_cmp_gt_f32_e64 s7, 0x3e6d3309, |v14|
	s_delay_alu instid0(VALU_DEP_4) | instskip(NEXT) | instid1(VALU_DEP_2)
	v_sub_f32_e32 v17, v17, v22
	v_cndmask_b32_e64 v19, v19, |v14|, s7
	s_delay_alu instid0(VALU_DEP_4) | instskip(NEXT) | instid1(VALU_DEP_3)
	v_cndmask_b32_e64 v20, v20, 2, s7
	v_xor_b32_e32 v17, 0x80000000, v17
.LBB13_102:                             ;   in Loop: Header=BB13_4 Depth=1
	s_and_not1_saveexec_b32 s8, s39
; %bb.103:                              ;   in Loop: Header=BB13_4 Depth=1
	v_sub_f32_e64 v17, 2.0, |v14|
	v_add_f32_e64 v19, 0xbfbb16c3, |v14|
	v_cmp_gt_f32_e64 s7, 0x3fdda512, |v14|
	v_add_f32_e64 v20, |v14|, -1.0
	s_delay_alu instid0(VALU_DEP_2) | instskip(SKIP_2) | instid1(VALU_DEP_2)
	v_cndmask_b32_e64 v19, v17, v19, s7
	v_cndmask_b32_e64 v17, v17, 1.0, s7
	v_cmp_gt_f32_e64 s7, 0x3f9d70a4, |v14|
	v_cvt_i32_f32_e32 v17, v17
	s_delay_alu instid0(VALU_DEP_2) | instskip(NEXT) | instid1(VALU_DEP_2)
	v_cndmask_b32_e64 v19, v19, v20, s7
	v_cndmask_b32_e64 v20, v17, 2, s7
	v_mov_b32_e32 v17, 0
; %bb.104:                              ;   in Loop: Header=BB13_4 Depth=1
	s_or_b32 exec_lo, exec_lo, s8
	s_delay_alu instid0(SALU_CYCLE_1) | instskip(NEXT) | instid1(VALU_DEP_2)
	s_mov_b32 s8, exec_lo
	v_cmpx_lt_i32_e32 0, v20
	s_xor_b32 s8, exec_lo, s8
	s_cbranch_execz .LBB13_112
; %bb.105:                              ;   in Loop: Header=BB13_4 Depth=1
	s_mov_b32 s39, exec_lo
	v_cmpx_lt_i32_e32 1, v20
	s_xor_b32 s39, exec_lo, s39
	s_cbranch_execz .LBB13_109
; %bb.106:                              ;   in Loop: Header=BB13_4 Depth=1
	s_mov_b32 s40, exec_lo
	v_cmpx_eq_u32_e32 2, v20
	s_cbranch_execz .LBB13_108
; %bb.107:                              ;   in Loop: Header=BB13_4 Depth=1
	v_fmaak_f32 v21, s28, v19, 0x3e6a7578
	s_delay_alu instid0(VALU_DEP_1) | instskip(NEXT) | instid1(VALU_DEP_1)
	v_fmaak_f32 v21, v19, v21, 0x3f7a4bb2
	v_fmaak_f32 v21, v19, v21, 0x3fba3ae7
	s_delay_alu instid0(VALU_DEP_1) | instskip(NEXT) | instid1(VALU_DEP_1)
	v_fmaak_f32 v21, v19, v21, 0x3f2200f4
	v_fmaak_f32 v21, v19, v21, 0xbd9e233f
	s_delay_alu instid0(VALU_DEP_1) | instskip(NEXT) | instid1(VALU_DEP_1)
	v_dual_fmaak_f32 v20, s29, v19, 0x3dd572af :: v_dual_mul_f32 v21, v19, v21
	v_fmaak_f32 v20, v19, v20, 0x3f44efdf
	s_delay_alu instid0(VALU_DEP_1) | instskip(NEXT) | instid1(VALU_DEP_1)
	v_fmaak_f32 v20, v19, v20, 0x4008392d
	v_fmaak_f32 v20, v19, v20, 0x401d2ebe
	s_delay_alu instid0(VALU_DEP_1) | instskip(NEXT) | instid1(VALU_DEP_1)
	v_fma_f32 v20, v19, v20, 1.0
	v_rcp_f32_e32 v20, v20
	s_waitcnt_depctr 0xfff
	v_mul_f32_e32 v20, v21, v20
	s_delay_alu instid0(VALU_DEP_1) | instskip(NEXT) | instid1(VALU_DEP_1)
	v_fmac_f32_e32 v20, -0.5, v19
	v_add_f32_e32 v17, v17, v20
.LBB13_108:                             ;   in Loop: Header=BB13_4 Depth=1
	s_or_b32 exec_lo, exec_lo, s40
                                        ; implicit-def: $vgpr19
.LBB13_109:                             ;   in Loop: Header=BB13_4 Depth=1
	s_and_not1_saveexec_b32 s7, s39
	s_cbranch_execz .LBB13_111
; %bb.110:                              ;   in Loop: Header=BB13_4 Depth=1
	v_mul_f32_e32 v20, v19, v19
	s_delay_alu instid0(VALU_DEP_1) | instskip(NEXT) | instid1(VALU_DEP_1)
	v_mul_f32_e32 v21, v19, v20
	v_fmaak_f32 v23, s33, v21, 0xba0d3085
	v_fmaak_f32 v22, s31, v21, 0x3a66f867
	;; [unrolled: 1-line block ×3, first 2 shown]
	s_delay_alu instid0(VALU_DEP_3) | instskip(NEXT) | instid1(VALU_DEP_3)
	v_fmaak_f32 v23, v21, v23, 0x3b141699
	v_fmaak_f32 v22, v21, v22, 0xbb7177fe
	s_delay_alu instid0(VALU_DEP_3) | instskip(NEXT) | instid1(VALU_DEP_3)
	v_fmaak_f32 v24, v21, v24, 0x3bc7e707
	v_fmaak_f32 v23, v21, v23, 0xbc28fcfe
	;; [unrolled: 3-line block ×4, first 2 shown]
	s_delay_alu instid0(VALU_DEP_1) | instskip(NEXT) | instid1(VALU_DEP_1)
	v_dual_fmac_f32 v22, v19, v23 :: v_dual_fmaak_f32 v19, v21, v24, 0x3ef7b95e
	v_fma_f32 v21, v21, -v22, 0xa2863e55
	s_delay_alu instid0(VALU_DEP_1) | instskip(NEXT) | instid1(VALU_DEP_1)
	v_fma_f32 v19, v20, v19, -v21
	v_add_f32_e32 v19, 0xbdf8cdce, v19
	s_delay_alu instid0(VALU_DEP_1)
	v_add_f32_e32 v17, v17, v19
.LBB13_111:                             ;   in Loop: Header=BB13_4 Depth=1
	s_or_b32 exec_lo, exec_lo, s7
                                        ; implicit-def: $vgpr20
                                        ; implicit-def: $vgpr19
.LBB13_112:                             ;   in Loop: Header=BB13_4 Depth=1
	s_and_not1_saveexec_b32 s8, s8
	s_cbranch_execz .LBB13_116
; %bb.113:                              ;   in Loop: Header=BB13_4 Depth=1
	s_mov_b32 s39, exec_lo
	v_cmpx_eq_u32_e32 0, v20
	s_cbranch_execz .LBB13_115
; %bb.114:                              ;   in Loop: Header=BB13_4 Depth=1
	v_mul_f32_e32 v20, v19, v19
	s_delay_alu instid0(VALU_DEP_1) | instskip(NEXT) | instid1(VALU_DEP_1)
	v_fmaak_f32 v22, s34, v20, 0x39679767
	v_fmaak_f32 v22, v20, v22, 0x3a9c54a1
	s_delay_alu instid0(VALU_DEP_1) | instskip(NEXT) | instid1(VALU_DEP_1)
	v_fmaak_f32 v22, v20, v22, 0x3bf2027e
	v_fmaak_f32 v22, v20, v22, 0x3d89f001
	s_delay_alu instid0(VALU_DEP_1) | instskip(SKIP_1) | instid1(VALU_DEP_1)
	v_fmaak_f32 v22, v20, v22, 0x3d9e233f
	v_fmaak_f32 v21, s35, v20, 0x38e28445
	;; [unrolled: 1-line block ×3, first 2 shown]
	s_delay_alu instid0(VALU_DEP_1) | instskip(NEXT) | instid1(VALU_DEP_1)
	v_fmaak_f32 v21, v20, v21, 0x3b3d6ec6
	v_fmaak_f32 v21, v20, v21, 0x3ca89915
	s_delay_alu instid0(VALU_DEP_1) | instskip(NEXT) | instid1(VALU_DEP_1)
	v_fmaak_f32 v21, v20, v21, 0x3ea51a66
	v_mul_f32_e32 v20, v20, v21
	s_delay_alu instid0(VALU_DEP_1) | instskip(NEXT) | instid1(VALU_DEP_1)
	v_fmac_f32_e32 v20, v19, v22
	v_fmac_f32_e32 v20, -0.5, v19
	s_delay_alu instid0(VALU_DEP_1)
	v_add_f32_e32 v17, v17, v20
.LBB13_115:                             ;   in Loop: Header=BB13_4 Depth=1
	s_or_b32 exec_lo, exec_lo, s39
.LBB13_116:                             ;   in Loop: Header=BB13_4 Depth=1
	s_delay_alu instid0(SALU_CYCLE_1)
	s_or_b32 exec_lo, exec_lo, s8
.LBB13_117:                             ;   in Loop: Header=BB13_4 Depth=1
	s_delay_alu instid0(SALU_CYCLE_1)
	s_or_b32 exec_lo, exec_lo, s10
.LBB13_118:                             ;   in Loop: Header=BB13_4 Depth=1
	s_and_not1_saveexec_b32 s8, s9
	s_cbranch_execz .LBB13_120
; %bb.119:                              ;   in Loop: Header=BB13_4 Depth=1
	v_cmp_gt_f32_e64 s9, 0x800000, |v14|
	v_fma_f32 v21, |v14|, s36, 0xbecd26ab
	s_delay_alu instid0(VALU_DEP_2) | instskip(NEXT) | instid1(VALU_DEP_1)
	v_cndmask_b32_e64 v17, 1.0, 0x4f800000, s9
	v_mul_f32_e64 v17, |v14|, v17
	s_delay_alu instid0(VALU_DEP_1) | instskip(SKIP_3) | instid1(VALU_DEP_2)
	v_log_f32_e32 v17, v17
	s_waitcnt_depctr 0xfff
	v_mul_f32_e32 v19, 0x3f317217, v17
	v_cmp_gt_f32_e64 s7, 0x7f800000, |v17|
	v_fma_f32 v20, 0x3f317217, v17, -v19
	s_delay_alu instid0(VALU_DEP_1) | instskip(NEXT) | instid1(VALU_DEP_1)
	v_fmac_f32_e32 v20, 0x3377d1cf, v17
	v_add_f32_e32 v19, v19, v20
	v_fma_f32 v20, |v14|, v21, 0x3f528d33
	s_delay_alu instid0(VALU_DEP_2) | instskip(SKIP_1) | instid1(VALU_DEP_3)
	v_cndmask_b32_e64 v17, v17, v19, s7
	v_cndmask_b32_e64 v19, 0, 0x41b17218, s9
	v_fma_f32 v20, |v14|, v20, 0xbf13c468
	s_delay_alu instid0(VALU_DEP_2) | instskip(NEXT) | instid1(VALU_DEP_1)
	v_sub_f32_e32 v17, v17, v19
	v_fma_f32 v17, |v14|, v20, -v17
.LBB13_120:                             ;   in Loop: Header=BB13_4 Depth=1
	s_or_b32 exec_lo, exec_lo, s8
	v_cmp_le_f32_e64 s7, 0, v14
	s_mov_b32 s9, exec_lo
	v_cmpx_nle_f32_e32 0, v14
	s_xor_b32 s10, exec_lo, s9
	s_cbranch_execz .LBB13_124
; %bb.121:                              ;   in Loop: Header=BB13_4 Depth=1
	v_cmp_gt_f32_e64 s8, 0x4b000000, |v14|
	v_cmp_lt_f32_e64 s9, 0x35000000, |v14|
	s_delay_alu instid0(VALU_DEP_1) | instskip(NEXT) | instid1(SALU_CYCLE_1)
	s_and_b32 s8, s8, s9
	s_and_saveexec_b32 s39, s8
	s_cbranch_execz .LBB13_123
; %bb.122:                              ;   in Loop: Header=BB13_4 Depth=1
	v_mul_f32_e64 v19, |v14|, 0.5
	v_xor_b32_e32 v18, v18, v14
	s_delay_alu instid0(VALU_DEP_2) | instskip(SKIP_1) | instid1(VALU_DEP_2)
	v_floor_f32_e32 v20, v19
	v_cmp_neq_f32_e64 s8, 0x7f800000, v19
	v_sub_f32_e32 v20, v19, v20
	s_delay_alu instid0(VALU_DEP_1) | instskip(NEXT) | instid1(VALU_DEP_1)
	v_min_f32_e32 v20, 0x3f7fffff, v20
	v_add_f32_e32 v20, v20, v20
	s_delay_alu instid0(VALU_DEP_1) | instskip(SKIP_1) | instid1(VALU_DEP_1)
	v_cndmask_b32_e64 v19, 0, v20, s8
	v_cmp_gt_f32_e64 s8, |v14|, 1.0
	v_cndmask_b32_e64 v19, |v14|, v19, s8
	s_delay_alu instid0(VALU_DEP_1) | instskip(NEXT) | instid1(VALU_DEP_1)
	v_add_f32_e32 v20, v19, v19
	v_rndne_f32_e32 v20, v20
	s_delay_alu instid0(VALU_DEP_1) | instskip(SKIP_1) | instid1(VALU_DEP_2)
	v_fmac_f32_e32 v19, -0.5, v20
	v_cvt_i32_f32_e32 v20, v20
	v_mul_f32_e32 v21, v19, v19
	s_delay_alu instid0(VALU_DEP_1) | instskip(SKIP_1) | instid1(VALU_DEP_2)
	v_fmaak_f32 v22, s37, v21, 0xbf1f24be
	v_fmaak_f32 v23, s38, v21, 0x3e642e9d
	v_fmaak_f32 v22, v21, v22, 0x40234736
	s_delay_alu instid0(VALU_DEP_2) | instskip(NEXT) | instid1(VALU_DEP_2)
	v_dual_fmaak_f32 v23, v21, v23, 0xbfaad1da :: v_dual_mul_f32 v24, v19, v21
	v_fmaak_f32 v22, v21, v22, 0xc0a55e0e
	s_delay_alu instid0(VALU_DEP_1) | instskip(NEXT) | instid1(VALU_DEP_1)
	v_dual_fmaak_f32 v23, v21, v23, 0x4081e0d3 :: v_dual_mul_f32 v22, v24, v22
	v_dual_fmaak_f32 v23, v21, v23, 0xc09de9e6 :: v_dual_and_b32 v24, 1, v20
	v_lshlrev_b32_e32 v20, 30, v20
	s_delay_alu instid0(VALU_DEP_3) | instskip(NEXT) | instid1(VALU_DEP_3)
	v_fmac_f32_e32 v22, 0x40490fdb, v19
	v_fma_f32 v19, v21, v23, 1.0
	s_delay_alu instid0(VALU_DEP_4) | instskip(NEXT) | instid1(VALU_DEP_4)
	v_cmp_eq_u32_e64 s8, 0, v24
	v_and_b32_e32 v20, 0x80000000, v20
	s_delay_alu instid0(VALU_DEP_2) | instskip(NEXT) | instid1(VALU_DEP_1)
	v_cndmask_b32_e64 v19, v19, v22, s8
	v_xor3_b32 v18, v18, v20, v19
	s_delay_alu instid0(VALU_DEP_1) | instskip(NEXT) | instid1(VALU_DEP_1)
	v_mul_f32_e32 v18, v14, v18
	v_frexp_mant_f32_e64 v19, |v18|
	v_frexp_exp_i32_f32_e32 v18, v18
	s_delay_alu instid0(VALU_DEP_2) | instskip(NEXT) | instid1(VALU_DEP_1)
	v_rcp_f32_e32 v19, v19
	v_sub_nc_u32_e32 v18, 2, v18
	s_waitcnt_depctr 0xfff
	v_mul_f32_e32 v19, 0x3f490fdb, v19
	s_delay_alu instid0(VALU_DEP_1) | instskip(NEXT) | instid1(VALU_DEP_1)
	v_ldexp_f32 v18, v19, v18
	v_cmp_gt_f32_e64 s8, 0x800000, v18
	s_delay_alu instid0(VALU_DEP_1) | instskip(NEXT) | instid1(VALU_DEP_1)
	v_cndmask_b32_e64 v19, 1.0, 0x4f800000, s8
	v_mul_f32_e32 v18, v18, v19
	s_delay_alu instid0(VALU_DEP_1) | instskip(SKIP_3) | instid1(VALU_DEP_2)
	v_log_f32_e32 v18, v18
	s_waitcnt_depctr 0xfff
	v_mul_f32_e32 v19, 0x3f317217, v18
	v_cmp_gt_f32_e64 s9, 0x7f800000, |v18|
	v_fma_f32 v20, 0x3f317217, v18, -v19
	s_delay_alu instid0(VALU_DEP_1) | instskip(NEXT) | instid1(VALU_DEP_1)
	v_fmac_f32_e32 v20, 0x3377d1cf, v18
	v_add_f32_e32 v19, v19, v20
	v_floor_f32_e32 v20, v14
	s_delay_alu instid0(VALU_DEP_2) | instskip(SKIP_1) | instid1(VALU_DEP_3)
	v_cndmask_b32_e64 v18, v18, v19, s9
	v_cndmask_b32_e64 v19, 0, 0x41b17218, s8
	v_sub_f32_e32 v20, v14, v20
	s_delay_alu instid0(VALU_DEP_1) | instskip(NEXT) | instid1(VALU_DEP_1)
	v_dual_sub_f32 v18, v18, v19 :: v_dual_min_f32 v19, 0x3f7fffff, v20
	v_sub_f32_e32 v17, v18, v17
	s_delay_alu instid0(VALU_DEP_2) | instskip(NEXT) | instid1(VALU_DEP_1)
	v_cmp_neq_f32_e64 s8, 0, v19
	v_cndmask_b32_e64 v17, 0x7f800000, v17, s8
.LBB13_123:                             ;   in Loop: Header=BB13_4 Depth=1
	s_or_b32 exec_lo, exec_lo, s39
.LBB13_124:                             ;   in Loop: Header=BB13_4 Depth=1
	s_and_not1_saveexec_b32 s10, s10
; %bb.125:                              ;   in Loop: Header=BB13_4 Depth=1
	v_cmp_eq_f32_e64 s8, 1.0, v14
	v_cmp_eq_f32_e64 s9, 2.0, v14
	s_delay_alu instid0(VALU_DEP_1) | instskip(NEXT) | instid1(SALU_CYCLE_1)
	s_or_b32 s8, s8, s9
	v_cndmask_b32_e64 v17, v17, 0, s8
; %bb.126:                              ;   in Loop: Header=BB13_4 Depth=1
	s_or_b32 exec_lo, exec_lo, s10
	v_and_b32_e32 v18, 0x7fffffff, v11
                                        ; implicit-def: $vgpr19
	s_mov_b32 s9, exec_lo
	v_cmpx_ngt_f32_e64 0x3c800000, |v11|
	s_xor_b32 s10, exec_lo, s9
	s_cbranch_execz .LBB13_156
; %bb.127:                              ;   in Loop: Header=BB13_4 Depth=1
                                        ; implicit-def: $vgpr19
	s_mov_b32 s9, exec_lo
	v_cmpx_nlt_f32_e64 |v11|, 2.0
	s_xor_b32 s39, exec_lo, s9
	s_cbranch_execz .LBB13_137
; %bb.128:                              ;   in Loop: Header=BB13_4 Depth=1
	s_mov_b32 s9, exec_lo
                                        ; implicit-def: $vgpr19
	v_cmpx_ngt_f32_e64 0x41000000, |v11|
	s_xor_b32 s9, exec_lo, s9
	s_cbranch_execz .LBB13_134
; %bb.129:                              ;   in Loop: Header=BB13_4 Depth=1
	s_mov_b32 s40, exec_lo
                                        ; implicit-def: $vgpr19
	v_cmpx_ngt_f32_e64 0x5c800000, |v11|
	s_xor_b32 s40, exec_lo, s40
	s_cbranch_execz .LBB13_131
; %bb.130:                              ;   in Loop: Header=BB13_4 Depth=1
	v_cmp_gt_f32_e64 s41, 0x800000, |v11|
	s_delay_alu instid0(VALU_DEP_1) | instskip(NEXT) | instid1(VALU_DEP_1)
	v_cndmask_b32_e64 v19, 1.0, 0x4f800000, s41
	v_mul_f32_e64 v19, |v11|, v19
	s_delay_alu instid0(VALU_DEP_1) | instskip(SKIP_3) | instid1(VALU_DEP_2)
	v_log_f32_e32 v19, v19
	s_waitcnt_depctr 0xfff
	v_mul_f32_e32 v20, 0x3f317217, v19
	v_cmp_gt_f32_e64 s8, 0x7f800000, |v19|
	v_fma_f32 v21, 0x3f317217, v19, -v20
	s_delay_alu instid0(VALU_DEP_1) | instskip(NEXT) | instid1(VALU_DEP_1)
	v_fmac_f32_e32 v21, 0x3377d1cf, v19
	v_add_f32_e32 v20, v20, v21
	s_delay_alu instid0(VALU_DEP_1) | instskip(SKIP_1) | instid1(VALU_DEP_1)
	v_cndmask_b32_e64 v19, v19, v20, s8
	v_cndmask_b32_e64 v20, 0, 0x41b17218, s41
	v_sub_f32_e32 v19, v19, v20
	s_delay_alu instid0(VALU_DEP_1)
	v_fma_f32 v19, |v11|, v19, -|v11|
.LBB13_131:                             ;   in Loop: Header=BB13_4 Depth=1
	s_and_not1_saveexec_b32 s40, s40
	s_cbranch_execz .LBB13_133
; %bb.132:                              ;   in Loop: Header=BB13_4 Depth=1
	v_cmp_gt_f32_e64 s41, 0x800000, |v11|
	v_rcp_f32_e64 v20, |v11|
	s_delay_alu instid0(VALU_DEP_1) | instskip(NEXT) | instid1(VALU_DEP_1)
	v_cndmask_b32_e64 v19, 1.0, 0x4f800000, s41
	v_mul_f32_e64 v19, |v11|, v19
	s_delay_alu instid0(VALU_DEP_1) | instskip(SKIP_3) | instid1(VALU_DEP_2)
	v_log_f32_e32 v19, v19
	s_waitcnt_depctr 0xfff
	v_dual_mul_f32 v21, v20, v20 :: v_dual_mul_f32 v22, 0x3f317217, v19
	v_cmp_gt_f32_e64 s8, 0x7f800000, |v19|
	v_fma_f32 v24, 0x3f317217, v19, -v22
	s_delay_alu instid0(VALU_DEP_1) | instskip(NEXT) | instid1(VALU_DEP_1)
	v_fmac_f32_e32 v24, 0x3377d1cf, v19
	v_dual_fmaak_f32 v23, s25, v21, 0x3a5b3dd2 :: v_dual_add_f32 v22, v22, v24
	s_delay_alu instid0(VALU_DEP_1) | instskip(SKIP_1) | instid1(VALU_DEP_1)
	v_cndmask_b32_e64 v19, v19, v22, s8
	v_cndmask_b32_e64 v22, 0, 0x41b17218, s41
	v_dual_fmaak_f32 v23, v21, v23, 0xba1c065c :: v_dual_sub_f32 v22, v19, v22
	s_delay_alu instid0(VALU_DEP_1) | instskip(NEXT) | instid1(VALU_DEP_1)
	v_fmaak_f32 v23, v21, v23, 0x3a500cfd
	v_fmaak_f32 v23, v21, v23, 0xbb360b61
	s_delay_alu instid0(VALU_DEP_1) | instskip(NEXT) | instid1(VALU_DEP_1)
	v_fmaak_f32 v21, v21, v23, 0x3daaaaab
	v_fmaak_f32 v19, v20, v21, 0x3ed67f1d
	v_add_f32_e64 v20, |v11|, -0.5
	v_add_f32_e32 v21, -1.0, v22
	s_delay_alu instid0(VALU_DEP_1)
	v_fmac_f32_e32 v19, v20, v21
.LBB13_133:                             ;   in Loop: Header=BB13_4 Depth=1
	s_or_b32 exec_lo, exec_lo, s40
.LBB13_134:                             ;   in Loop: Header=BB13_4 Depth=1
	s_and_not1_saveexec_b32 s40, s9
	s_cbranch_execz .LBB13_136
; %bb.135:                              ;   in Loop: Header=BB13_4 Depth=1
	v_cvt_i32_f32_e32 v19, v18
	s_delay_alu instid0(VALU_DEP_1) | instskip(SKIP_1) | instid1(VALU_DEP_2)
	v_cvt_f32_i32_e32 v20, v19
	v_cmp_lt_i32_e64 s8, 2, v19
	v_sub_f32_e64 v20, |v11|, v20
	s_delay_alu instid0(VALU_DEP_1) | instskip(SKIP_2) | instid1(VALU_DEP_3)
	v_add_f32_e32 v21, 2.0, v20
	v_add_f32_e32 v22, 0x40400000, v20
	v_add_f32_e32 v23, 4.0, v20
	v_cndmask_b32_e64 v21, 1.0, v21, s8
	v_cmp_lt_i32_e64 s8, 3, v19
	s_delay_alu instid0(VALU_DEP_1) | instskip(SKIP_1) | instid1(VALU_DEP_2)
	v_cndmask_b32_e64 v22, 1.0, v22, s8
	v_cmp_lt_i32_e64 s8, 4, v19
	v_dual_add_f32 v24, 0x40a00000, v20 :: v_dual_mul_f32 v21, v21, v22
	s_delay_alu instid0(VALU_DEP_2) | instskip(SKIP_1) | instid1(VALU_DEP_2)
	v_cndmask_b32_e64 v23, 1.0, v23, s8
	v_cmp_lt_i32_e64 s8, 5, v19
	v_mul_f32_e32 v21, v23, v21
	s_delay_alu instid0(VALU_DEP_2) | instskip(SKIP_3) | instid1(VALU_DEP_4)
	v_cndmask_b32_e64 v24, 1.0, v24, s8
	v_add_f32_e32 v22, 0x40c00000, v20
	v_cmp_lt_i32_e64 s8, 6, v19
	v_fmaak_f32 v23, s26, v20, 0x3af135b4
	v_mul_f32_e32 v21, v24, v21
	s_delay_alu instid0(VALU_DEP_3) | instskip(NEXT) | instid1(VALU_DEP_1)
	v_cndmask_b32_e64 v19, 1.0, v22, s8
	v_mul_f32_e32 v19, v19, v21
	s_delay_alu instid0(VALU_DEP_1) | instskip(NEXT) | instid1(VALU_DEP_1)
	v_cmp_gt_f32_e64 s8, 0x800000, v19
	v_cndmask_b32_e64 v22, 1.0, 0x4f800000, s8
	s_delay_alu instid0(VALU_DEP_1) | instskip(NEXT) | instid1(VALU_DEP_1)
	v_dual_mul_f32 v19, v19, v22 :: v_dual_fmaak_f32 v22, v20, v23, 0x3cda40e4
	v_log_f32_e32 v19, v19
	s_delay_alu instid0(VALU_DEP_1) | instskip(NEXT) | instid1(VALU_DEP_1)
	v_fmaak_f32 v22, v20, v22, 0x3e15dce6
	v_fmaak_f32 v22, v20, v22, 0x3ea6cc7a
	s_waitcnt_depctr 0xfff
	v_mul_f32_e32 v23, 0x3f317217, v19
	v_cmp_gt_f32_e64 s9, 0x7f800000, |v19|
	s_delay_alu instid0(VALU_DEP_2) | instskip(NEXT) | instid1(VALU_DEP_1)
	v_fma_f32 v24, 0x3f317217, v19, -v23
	v_fmac_f32_e32 v24, 0x3377d1cf, v19
	s_delay_alu instid0(VALU_DEP_1) | instskip(NEXT) | instid1(VALU_DEP_1)
	v_dual_fmaak_f32 v22, v20, v22, 0x3e5c245a :: v_dual_add_f32 v23, v23, v24
	v_fmaak_f32 v22, v20, v22, 0xbd9e233f
	v_fmaak_f32 v21, s27, v20, 0x3a4beed6
	s_delay_alu instid0(VALU_DEP_3) | instskip(NEXT) | instid1(VALU_DEP_3)
	v_cndmask_b32_e64 v19, v19, v23, s9
	v_mul_f32_e32 v22, v20, v22
	s_delay_alu instid0(VALU_DEP_3) | instskip(NEXT) | instid1(VALU_DEP_1)
	v_fmaak_f32 v21, v20, v21, 0x3c98bf54
	v_fmaak_f32 v21, v20, v21, 0x3e300f6e
	s_delay_alu instid0(VALU_DEP_1) | instskip(NEXT) | instid1(VALU_DEP_1)
	v_fmaak_f32 v21, v20, v21, 0x3f38d0c5
	v_fmaak_f32 v21, v20, v21, 0x3fb22d3b
	s_delay_alu instid0(VALU_DEP_1) | instskip(NEXT) | instid1(VALU_DEP_1)
	v_fma_f32 v21, v20, v21, 1.0
	v_rcp_f32_e32 v21, v21
	s_waitcnt_depctr 0xfff
	v_mul_f32_e32 v21, v22, v21
	v_cndmask_b32_e64 v22, 0, 0x41b17218, s8
	s_delay_alu instid0(VALU_DEP_2) | instskip(NEXT) | instid1(VALU_DEP_2)
	v_fmac_f32_e32 v21, 0.5, v20
	v_sub_f32_e32 v19, v19, v22
	s_delay_alu instid0(VALU_DEP_1)
	v_add_f32_e32 v19, v19, v21
.LBB13_136:                             ;   in Loop: Header=BB13_4 Depth=1
	s_or_b32 exec_lo, exec_lo, s40
.LBB13_137:                             ;   in Loop: Header=BB13_4 Depth=1
	s_and_not1_saveexec_b32 s39, s39
	s_cbranch_execz .LBB13_155
; %bb.138:                              ;   in Loop: Header=BB13_4 Depth=1
                                        ; implicit-def: $vgpr19
                                        ; implicit-def: $vgpr21
                                        ; implicit-def: $vgpr20
	s_mov_b32 s9, exec_lo
	v_cmpx_ge_f32_e64 0x3f666666, |v11|
	s_xor_b32 s40, exec_lo, s9
	s_cbranch_execz .LBB13_140
; %bb.139:                              ;   in Loop: Header=BB13_4 Depth=1
	v_cmp_gt_f32_e64 s9, 0x800000, |v11|
	v_sub_f32_e64 v22, 1.0, |v11|
	v_cmp_gt_f32_e64 s8, 0x3f3b4a23, |v11|
	s_delay_alu instid0(VALU_DEP_3) | instskip(SKIP_1) | instid1(VALU_DEP_2)
	v_cndmask_b32_e64 v19, 1.0, 0x4f800000, s9
	v_cndmask_b32_e64 v23, 0, 0x41b17218, s9
	v_mul_f32_e64 v19, |v11|, v19
	s_delay_alu instid0(VALU_DEP_1) | instskip(SKIP_3) | instid1(VALU_DEP_2)
	v_log_f32_e32 v19, v19
	s_waitcnt_depctr 0xfff
	v_mul_f32_e32 v20, 0x3f317217, v19
	v_cmp_gt_f32_e64 s9, 0x7f800000, |v19|
	v_fma_f32 v21, 0x3f317217, v19, -v20
	s_delay_alu instid0(VALU_DEP_1) | instskip(NEXT) | instid1(VALU_DEP_1)
	v_fmac_f32_e32 v21, 0x3377d1cf, v19
	v_add_f32_e32 v20, v20, v21
	v_add_f32_e64 v21, 0xbeec5b0c, |v11|
	s_delay_alu instid0(VALU_DEP_2) | instskip(NEXT) | instid1(VALU_DEP_2)
	v_cndmask_b32_e64 v19, v19, v20, s9
	v_cndmask_b32_e64 v20, v22, v21, s8
	;; [unrolled: 1-line block ×3, first 2 shown]
	v_cmp_gt_f32_e64 s8, 0x3e6d3309, |v11|
	s_delay_alu instid0(VALU_DEP_4) | instskip(NEXT) | instid1(VALU_DEP_2)
	v_sub_f32_e32 v19, v19, v23
	v_cndmask_b32_e64 v20, v20, |v11|, s8
	s_delay_alu instid0(VALU_DEP_4) | instskip(NEXT) | instid1(VALU_DEP_3)
	v_cndmask_b32_e64 v21, v21, 2, s8
	v_xor_b32_e32 v19, 0x80000000, v19
.LBB13_140:                             ;   in Loop: Header=BB13_4 Depth=1
	s_and_not1_saveexec_b32 s9, s40
; %bb.141:                              ;   in Loop: Header=BB13_4 Depth=1
	v_sub_f32_e64 v19, 2.0, |v11|
	v_add_f32_e64 v20, 0xbfbb16c3, |v11|
	v_cmp_gt_f32_e64 s8, 0x3fdda512, |v11|
	v_add_f32_e64 v21, |v11|, -1.0
	s_delay_alu instid0(VALU_DEP_2) | instskip(SKIP_2) | instid1(VALU_DEP_2)
	v_cndmask_b32_e64 v20, v19, v20, s8
	v_cndmask_b32_e64 v19, v19, 1.0, s8
	v_cmp_gt_f32_e64 s8, 0x3f9d70a4, |v11|
	v_cvt_i32_f32_e32 v19, v19
	s_delay_alu instid0(VALU_DEP_2) | instskip(NEXT) | instid1(VALU_DEP_2)
	v_cndmask_b32_e64 v20, v20, v21, s8
	v_cndmask_b32_e64 v21, v19, 2, s8
	v_mov_b32_e32 v19, 0
; %bb.142:                              ;   in Loop: Header=BB13_4 Depth=1
	s_or_b32 exec_lo, exec_lo, s9
	s_delay_alu instid0(SALU_CYCLE_1) | instskip(NEXT) | instid1(VALU_DEP_2)
	s_mov_b32 s9, exec_lo
	v_cmpx_lt_i32_e32 0, v21
	s_xor_b32 s9, exec_lo, s9
	s_cbranch_execz .LBB13_150
; %bb.143:                              ;   in Loop: Header=BB13_4 Depth=1
	s_mov_b32 s40, exec_lo
	v_cmpx_lt_i32_e32 1, v21
	s_xor_b32 s40, exec_lo, s40
	s_cbranch_execz .LBB13_147
; %bb.144:                              ;   in Loop: Header=BB13_4 Depth=1
	s_mov_b32 s41, exec_lo
	v_cmpx_eq_u32_e32 2, v21
	s_cbranch_execz .LBB13_146
; %bb.145:                              ;   in Loop: Header=BB13_4 Depth=1
	v_fmaak_f32 v22, s28, v20, 0x3e6a7578
	s_delay_alu instid0(VALU_DEP_1) | instskip(NEXT) | instid1(VALU_DEP_1)
	v_fmaak_f32 v22, v20, v22, 0x3f7a4bb2
	v_fmaak_f32 v22, v20, v22, 0x3fba3ae7
	s_delay_alu instid0(VALU_DEP_1) | instskip(NEXT) | instid1(VALU_DEP_1)
	v_fmaak_f32 v22, v20, v22, 0x3f2200f4
	v_fmaak_f32 v22, v20, v22, 0xbd9e233f
	s_delay_alu instid0(VALU_DEP_1) | instskip(NEXT) | instid1(VALU_DEP_1)
	v_dual_fmaak_f32 v21, s29, v20, 0x3dd572af :: v_dual_mul_f32 v22, v20, v22
	v_fmaak_f32 v21, v20, v21, 0x3f44efdf
	s_delay_alu instid0(VALU_DEP_1) | instskip(NEXT) | instid1(VALU_DEP_1)
	v_fmaak_f32 v21, v20, v21, 0x4008392d
	v_fmaak_f32 v21, v20, v21, 0x401d2ebe
	s_delay_alu instid0(VALU_DEP_1) | instskip(NEXT) | instid1(VALU_DEP_1)
	v_fma_f32 v21, v20, v21, 1.0
	v_rcp_f32_e32 v21, v21
	s_waitcnt_depctr 0xfff
	v_mul_f32_e32 v21, v22, v21
	s_delay_alu instid0(VALU_DEP_1) | instskip(NEXT) | instid1(VALU_DEP_1)
	v_fmac_f32_e32 v21, -0.5, v20
	v_add_f32_e32 v19, v19, v21
.LBB13_146:                             ;   in Loop: Header=BB13_4 Depth=1
	s_or_b32 exec_lo, exec_lo, s41
                                        ; implicit-def: $vgpr20
.LBB13_147:                             ;   in Loop: Header=BB13_4 Depth=1
	s_and_not1_saveexec_b32 s8, s40
	s_cbranch_execz .LBB13_149
; %bb.148:                              ;   in Loop: Header=BB13_4 Depth=1
	v_mul_f32_e32 v21, v20, v20
	s_delay_alu instid0(VALU_DEP_1) | instskip(NEXT) | instid1(VALU_DEP_1)
	v_mul_f32_e32 v22, v20, v21
	v_fmaak_f32 v23, s31, v22, 0x3a66f867
	v_fmaak_f32 v24, s33, v22, 0xba0d3085
	;; [unrolled: 1-line block ×3, first 2 shown]
	s_delay_alu instid0(VALU_DEP_3) | instskip(NEXT) | instid1(VALU_DEP_3)
	v_fmaak_f32 v23, v22, v23, 0xbb7177fe
	v_fmaak_f32 v24, v22, v24, 0x3b141699
	s_delay_alu instid0(VALU_DEP_3) | instskip(NEXT) | instid1(VALU_DEP_3)
	v_fmaak_f32 v25, v22, v25, 0x3bc7e707
	v_fmaak_f32 v23, v22, v23, 0x3c93373d
	;; [unrolled: 3-line block ×4, first 2 shown]
	s_delay_alu instid0(VALU_DEP_1) | instskip(NEXT) | instid1(VALU_DEP_1)
	v_dual_fmac_f32 v23, v20, v24 :: v_dual_fmaak_f32 v20, v22, v25, 0x3ef7b95e
	v_fma_f32 v22, v22, -v23, 0xa2863e55
	s_delay_alu instid0(VALU_DEP_1) | instskip(NEXT) | instid1(VALU_DEP_1)
	v_fma_f32 v20, v21, v20, -v22
	v_add_f32_e32 v20, 0xbdf8cdce, v20
	s_delay_alu instid0(VALU_DEP_1)
	v_add_f32_e32 v19, v19, v20
.LBB13_149:                             ;   in Loop: Header=BB13_4 Depth=1
	s_or_b32 exec_lo, exec_lo, s8
                                        ; implicit-def: $vgpr21
                                        ; implicit-def: $vgpr20
.LBB13_150:                             ;   in Loop: Header=BB13_4 Depth=1
	s_and_not1_saveexec_b32 s9, s9
	s_cbranch_execz .LBB13_154
; %bb.151:                              ;   in Loop: Header=BB13_4 Depth=1
	s_mov_b32 s40, exec_lo
	v_cmpx_eq_u32_e32 0, v21
	s_cbranch_execz .LBB13_153
; %bb.152:                              ;   in Loop: Header=BB13_4 Depth=1
	v_mul_f32_e32 v21, v20, v20
	s_delay_alu instid0(VALU_DEP_1) | instskip(NEXT) | instid1(VALU_DEP_1)
	v_fmaak_f32 v23, s34, v21, 0x39679767
	v_fmaak_f32 v23, v21, v23, 0x3a9c54a1
	s_delay_alu instid0(VALU_DEP_1) | instskip(NEXT) | instid1(VALU_DEP_1)
	v_fmaak_f32 v23, v21, v23, 0x3bf2027e
	v_fmaak_f32 v23, v21, v23, 0x3d89f001
	s_delay_alu instid0(VALU_DEP_1) | instskip(SKIP_1) | instid1(VALU_DEP_1)
	v_fmaak_f32 v23, v21, v23, 0x3d9e233f
	v_fmaak_f32 v22, s35, v21, 0x38e28445
	;; [unrolled: 1-line block ×3, first 2 shown]
	s_delay_alu instid0(VALU_DEP_1) | instskip(NEXT) | instid1(VALU_DEP_1)
	v_fmaak_f32 v22, v21, v22, 0x3b3d6ec6
	v_fmaak_f32 v22, v21, v22, 0x3ca89915
	s_delay_alu instid0(VALU_DEP_1) | instskip(NEXT) | instid1(VALU_DEP_1)
	v_fmaak_f32 v22, v21, v22, 0x3ea51a66
	v_mul_f32_e32 v21, v21, v22
	s_delay_alu instid0(VALU_DEP_1) | instskip(NEXT) | instid1(VALU_DEP_1)
	v_fmac_f32_e32 v21, v20, v23
	v_fmac_f32_e32 v21, -0.5, v20
	s_delay_alu instid0(VALU_DEP_1)
	v_add_f32_e32 v19, v19, v21
.LBB13_153:                             ;   in Loop: Header=BB13_4 Depth=1
	s_or_b32 exec_lo, exec_lo, s40
.LBB13_154:                             ;   in Loop: Header=BB13_4 Depth=1
	s_delay_alu instid0(SALU_CYCLE_1)
	s_or_b32 exec_lo, exec_lo, s9
.LBB13_155:                             ;   in Loop: Header=BB13_4 Depth=1
	s_delay_alu instid0(SALU_CYCLE_1)
	s_or_b32 exec_lo, exec_lo, s39
.LBB13_156:                             ;   in Loop: Header=BB13_4 Depth=1
	s_and_not1_saveexec_b32 s9, s10
	s_cbranch_execz .LBB13_158
; %bb.157:                              ;   in Loop: Header=BB13_4 Depth=1
	v_cmp_gt_f32_e64 s10, 0x800000, |v11|
	v_fma_f32 v22, |v11|, s36, 0xbecd26ab
	s_delay_alu instid0(VALU_DEP_2) | instskip(NEXT) | instid1(VALU_DEP_1)
	v_cndmask_b32_e64 v19, 1.0, 0x4f800000, s10
	v_mul_f32_e64 v19, |v11|, v19
	s_delay_alu instid0(VALU_DEP_1) | instskip(SKIP_3) | instid1(VALU_DEP_2)
	v_log_f32_e32 v19, v19
	s_waitcnt_depctr 0xfff
	v_mul_f32_e32 v20, 0x3f317217, v19
	v_cmp_gt_f32_e64 s8, 0x7f800000, |v19|
	v_fma_f32 v21, 0x3f317217, v19, -v20
	s_delay_alu instid0(VALU_DEP_1) | instskip(NEXT) | instid1(VALU_DEP_1)
	v_fmac_f32_e32 v21, 0x3377d1cf, v19
	v_add_f32_e32 v20, v20, v21
	v_fma_f32 v21, |v11|, v22, 0x3f528d33
	s_delay_alu instid0(VALU_DEP_2) | instskip(SKIP_1) | instid1(VALU_DEP_3)
	v_cndmask_b32_e64 v19, v19, v20, s8
	v_cndmask_b32_e64 v20, 0, 0x41b17218, s10
	v_fma_f32 v21, |v11|, v21, 0xbf13c468
	s_delay_alu instid0(VALU_DEP_2) | instskip(NEXT) | instid1(VALU_DEP_1)
	v_sub_f32_e32 v19, v19, v20
	v_fma_f32 v19, |v11|, v21, -v19
.LBB13_158:                             ;   in Loop: Header=BB13_4 Depth=1
	s_or_b32 exec_lo, exec_lo, s9
	v_cmp_le_f32_e64 s8, 0, v11
	s_mov_b32 s10, exec_lo
	v_cmpx_nle_f32_e32 0, v11
	s_xor_b32 s39, exec_lo, s10
	s_cbranch_execnz .LBB13_164
; %bb.159:                              ;   in Loop: Header=BB13_4 Depth=1
	s_and_not1_saveexec_b32 s39, s39
	s_cbranch_execnz .LBB13_167
.LBB13_160:                             ;   in Loop: Header=BB13_4 Depth=1
	s_or_b32 exec_lo, exec_lo, s39
	s_and_saveexec_b32 s9, s4
	s_delay_alu instid0(SALU_CYCLE_1)
	s_xor_b32 s9, exec_lo, s9
	s_cbranch_execnz .LBB13_168
.LBB13_161:                             ;   in Loop: Header=BB13_4 Depth=1
	s_or_b32 exec_lo, exec_lo, s9
	s_and_saveexec_b32 s4, s3
	s_cbranch_execnz .LBB13_169
.LBB13_162:                             ;   in Loop: Header=BB13_4 Depth=1
	s_or_b32 exec_lo, exec_lo, s4
	s_and_saveexec_b32 s3, vcc_lo
	s_cbranch_execnz .LBB13_170
.LBB13_163:                             ;   in Loop: Header=BB13_4 Depth=1
	s_or_b32 exec_lo, exec_lo, s3
	s_and_saveexec_b32 s3, s2
	s_cbranch_execz .LBB13_3
	s_branch .LBB13_171
.LBB13_164:                             ;   in Loop: Header=BB13_4 Depth=1
	v_cmp_gt_f32_e64 s9, 0x4b000000, |v11|
	v_cmp_lt_f32_e64 s10, 0x35000000, |v11|
	s_delay_alu instid0(VALU_DEP_1) | instskip(NEXT) | instid1(SALU_CYCLE_1)
	s_and_b32 s9, s9, s10
	s_and_saveexec_b32 s40, s9
	s_cbranch_execz .LBB13_166
; %bb.165:                              ;   in Loop: Header=BB13_4 Depth=1
	v_mul_f32_e64 v20, |v11|, 0.5
	v_xor_b32_e32 v18, v18, v11
	s_delay_alu instid0(VALU_DEP_2) | instskip(SKIP_1) | instid1(VALU_DEP_2)
	v_floor_f32_e32 v21, v20
	v_cmp_neq_f32_e64 s9, 0x7f800000, v20
	v_sub_f32_e32 v21, v20, v21
	s_delay_alu instid0(VALU_DEP_1) | instskip(NEXT) | instid1(VALU_DEP_1)
	v_min_f32_e32 v21, 0x3f7fffff, v21
	v_add_f32_e32 v21, v21, v21
	s_delay_alu instid0(VALU_DEP_1) | instskip(SKIP_1) | instid1(VALU_DEP_1)
	v_cndmask_b32_e64 v20, 0, v21, s9
	v_cmp_gt_f32_e64 s9, |v11|, 1.0
	v_cndmask_b32_e64 v20, |v11|, v20, s9
	s_delay_alu instid0(VALU_DEP_1) | instskip(NEXT) | instid1(VALU_DEP_1)
	v_add_f32_e32 v21, v20, v20
	v_rndne_f32_e32 v21, v21
	s_delay_alu instid0(VALU_DEP_1) | instskip(SKIP_1) | instid1(VALU_DEP_2)
	v_fmac_f32_e32 v20, -0.5, v21
	v_cvt_i32_f32_e32 v21, v21
	v_mul_f32_e32 v22, v20, v20
	s_delay_alu instid0(VALU_DEP_1) | instskip(SKIP_1) | instid1(VALU_DEP_2)
	v_fmaak_f32 v23, s37, v22, 0xbf1f24be
	v_fmaak_f32 v24, s38, v22, 0x3e642e9d
	;; [unrolled: 1-line block ×3, first 2 shown]
	s_delay_alu instid0(VALU_DEP_2) | instskip(NEXT) | instid1(VALU_DEP_2)
	v_dual_fmaak_f32 v24, v22, v24, 0xbfaad1da :: v_dual_mul_f32 v25, v20, v22
	v_fmaak_f32 v23, v22, v23, 0xc0a55e0e
	s_delay_alu instid0(VALU_DEP_1) | instskip(NEXT) | instid1(VALU_DEP_1)
	v_dual_fmaak_f32 v24, v22, v24, 0x4081e0d3 :: v_dual_mul_f32 v23, v25, v23
	v_dual_fmaak_f32 v24, v22, v24, 0xc09de9e6 :: v_dual_and_b32 v25, 1, v21
	v_lshlrev_b32_e32 v21, 30, v21
	s_delay_alu instid0(VALU_DEP_3) | instskip(NEXT) | instid1(VALU_DEP_3)
	v_fmac_f32_e32 v23, 0x40490fdb, v20
	v_fma_f32 v20, v22, v24, 1.0
	s_delay_alu instid0(VALU_DEP_4) | instskip(NEXT) | instid1(VALU_DEP_4)
	v_cmp_eq_u32_e64 s9, 0, v25
	v_and_b32_e32 v21, 0x80000000, v21
	s_delay_alu instid0(VALU_DEP_2) | instskip(NEXT) | instid1(VALU_DEP_1)
	v_cndmask_b32_e64 v20, v20, v23, s9
	v_xor3_b32 v18, v18, v21, v20
	s_delay_alu instid0(VALU_DEP_1) | instskip(NEXT) | instid1(VALU_DEP_1)
	v_mul_f32_e32 v18, v11, v18
	v_frexp_mant_f32_e64 v20, |v18|
	v_frexp_exp_i32_f32_e32 v18, v18
	s_delay_alu instid0(VALU_DEP_2) | instskip(NEXT) | instid1(VALU_DEP_1)
	v_rcp_f32_e32 v20, v20
	v_sub_nc_u32_e32 v18, 2, v18
	s_waitcnt_depctr 0xfff
	v_mul_f32_e32 v20, 0x3f490fdb, v20
	s_delay_alu instid0(VALU_DEP_1) | instskip(NEXT) | instid1(VALU_DEP_1)
	v_ldexp_f32 v18, v20, v18
	v_cmp_gt_f32_e64 s9, 0x800000, v18
	s_delay_alu instid0(VALU_DEP_1) | instskip(NEXT) | instid1(VALU_DEP_1)
	v_cndmask_b32_e64 v20, 1.0, 0x4f800000, s9
	v_mul_f32_e32 v18, v18, v20
	s_delay_alu instid0(VALU_DEP_1) | instskip(SKIP_3) | instid1(VALU_DEP_2)
	v_log_f32_e32 v18, v18
	s_waitcnt_depctr 0xfff
	v_mul_f32_e32 v20, 0x3f317217, v18
	v_cmp_gt_f32_e64 s10, 0x7f800000, |v18|
	v_fma_f32 v21, 0x3f317217, v18, -v20
	s_delay_alu instid0(VALU_DEP_1) | instskip(NEXT) | instid1(VALU_DEP_1)
	v_fmac_f32_e32 v21, 0x3377d1cf, v18
	v_add_f32_e32 v20, v20, v21
	v_floor_f32_e32 v21, v11
	s_delay_alu instid0(VALU_DEP_2) | instskip(NEXT) | instid1(VALU_DEP_2)
	v_cndmask_b32_e64 v18, v18, v20, s10
	v_sub_f32_e32 v21, v11, v21
	v_cndmask_b32_e64 v20, 0, 0x41b17218, s9
	s_delay_alu instid0(VALU_DEP_1) | instskip(NEXT) | instid1(VALU_DEP_3)
	v_sub_f32_e32 v18, v18, v20
	v_min_f32_e32 v20, 0x3f7fffff, v21
	s_delay_alu instid0(VALU_DEP_2) | instskip(NEXT) | instid1(VALU_DEP_2)
	v_sub_f32_e32 v18, v18, v19
	v_cmp_neq_f32_e64 s9, 0, v20
	s_delay_alu instid0(VALU_DEP_1)
	v_cndmask_b32_e64 v19, 0x7f800000, v18, s9
.LBB13_166:                             ;   in Loop: Header=BB13_4 Depth=1
	s_or_b32 exec_lo, exec_lo, s40
	s_and_not1_saveexec_b32 s39, s39
	s_cbranch_execz .LBB13_160
.LBB13_167:                             ;   in Loop: Header=BB13_4 Depth=1
	v_cmp_eq_f32_e64 s9, 1.0, v11
	v_cmp_eq_f32_e64 s10, 2.0, v11
	s_delay_alu instid0(VALU_DEP_1) | instskip(NEXT) | instid1(SALU_CYCLE_1)
	s_or_b32 s9, s9, s10
	v_cndmask_b32_e64 v19, v19, 0, s9
	s_or_b32 exec_lo, exec_lo, s39
	s_and_saveexec_b32 s9, s4
	s_delay_alu instid0(SALU_CYCLE_1)
	s_xor_b32 s9, exec_lo, s9
	s_cbranch_execz .LBB13_161
.LBB13_168:                             ;   in Loop: Header=BB13_4 Depth=1
	v_cmp_gt_f32_e64 s4, 0x4b000000, |v13|
	s_delay_alu instid0(VALU_DEP_1) | instskip(NEXT) | instid1(SALU_CYCLE_1)
	s_or_b32 s4, s5, s4
	v_cndmask_b32_e64 v15, 0x7f800000, v15, s4
	v_cmp_class_f32_e64 s4, v13, 0x264
	s_delay_alu instid0(VALU_DEP_1) | instskip(SKIP_1) | instid1(VALU_DEP_1)
	v_cndmask_b32_e64 v15, v15, 0x7f800000, s4
	v_cmp_u_f32_e64 s4, v13, v13
	v_cndmask_b32_e64 v13, v15, v13, s4
	global_store_b32 v[1:2], v13, off
	s_or_b32 exec_lo, exec_lo, s9
	s_and_saveexec_b32 s4, s3
	s_cbranch_execz .LBB13_162
.LBB13_169:                             ;   in Loop: Header=BB13_4 Depth=1
	v_cmp_gt_f32_e64 s3, 0x4b000000, |v12|
	s_delay_alu instid0(VALU_DEP_1) | instskip(NEXT) | instid1(SALU_CYCLE_1)
	s_or_b32 s3, s6, s3
	v_cndmask_b32_e64 v13, 0x7f800000, v16, s3
	v_cmp_class_f32_e64 s3, v12, 0x264
	s_delay_alu instid0(VALU_DEP_1) | instskip(SKIP_1) | instid1(VALU_DEP_1)
	v_cndmask_b32_e64 v13, v13, 0x7f800000, s3
	v_cmp_u_f32_e64 s3, v12, v12
	v_cndmask_b32_e64 v12, v13, v12, s3
	global_store_b32 v[3:4], v12, off
	s_or_b32 exec_lo, exec_lo, s4
	s_and_saveexec_b32 s3, vcc_lo
	s_cbranch_execz .LBB13_163
.LBB13_170:                             ;   in Loop: Header=BB13_4 Depth=1
	v_cmp_gt_f32_e64 s4, 0x4b000000, |v14|
	s_delay_alu instid0(VALU_DEP_1) | instskip(SKIP_3) | instid1(VALU_DEP_2)
	s_or_b32 vcc_lo, s7, s4
	v_cmp_class_f32_e64 s4, v14, 0x264
	v_cndmask_b32_e32 v12, 0x7f800000, v17, vcc_lo
	v_cmp_u_f32_e32 vcc_lo, v14, v14
	v_cndmask_b32_e64 v12, v12, 0x7f800000, s4
	s_delay_alu instid0(VALU_DEP_1)
	v_cndmask_b32_e32 v14, v12, v14, vcc_lo
	v_add_co_u32 v12, vcc_lo, v1, s24
	v_add_co_ci_u32_e32 v13, vcc_lo, 0, v2, vcc_lo
	global_store_b32 v[12:13], v14, off
	s_or_b32 exec_lo, exec_lo, s3
	s_and_saveexec_b32 s3, s2
	s_cbranch_execz .LBB13_3
.LBB13_171:                             ;   in Loop: Header=BB13_4 Depth=1
	v_cmp_gt_f32_e64 s2, 0x4b000000, |v11|
	s_delay_alu instid0(VALU_DEP_1) | instskip(SKIP_3) | instid1(VALU_DEP_2)
	s_or_b32 vcc_lo, s8, s2
	v_cmp_class_f32_e64 s2, v11, 0x264
	v_cndmask_b32_e32 v12, 0x7f800000, v19, vcc_lo
	v_cmp_u_f32_e32 vcc_lo, v11, v11
	v_cndmask_b32_e64 v12, v12, 0x7f800000, s2
	s_delay_alu instid0(VALU_DEP_1)
	v_cndmask_b32_e32 v13, v12, v11, vcc_lo
	v_add_co_u32 v11, vcc_lo, v1, s22
	v_add_co_ci_u32_e32 v12, vcc_lo, 0, v2, vcc_lo
	global_store_b32 v[11:12], v13, off
	s_branch .LBB13_3
.LBB13_172:
	s_cbranch_execz .LBB13_174
	s_branch .LBB13_329
.LBB13_173:
.LBB13_174:
	v_dual_mov_b32 v5, 0 :: v_dual_lshlrev_b32 v4, 2, v0
	s_mov_b32 s5, 0
	s_mov_b32 s2, exec_lo
	s_delay_alu instid0(VALU_DEP_1)
	v_cmpx_gt_i64_e64 s[12:13], v[4:5]
	s_cbranch_execz .LBB13_329
; %bb.175:
	s_load_b32 s0, s[0:1], 0xd3c
	v_lshlrev_b32_e32 v1, 4, v0
	s_mov_b32 s6, 0xbad5c4e8
	s_mov_b32 s7, 0x3805ff67
	;; [unrolled: 1-line block ×10, first 2 shown]
	s_waitcnt lgkmcnt(0)
	s_and_b32 s0, s0, 0xffff
	s_delay_alu instid0(SALU_CYCLE_1) | instskip(SKIP_4) | instid1(VALU_DEP_1)
	s_lshl_b32 s21, s0, 2
	s_add_u32 s1, s14, s16
	v_add_lshl_u32 v4, v0, s0, 2
	s_addc_u32 s2, s15, s17
	v_add_co_u32 v0, s1, s1, v1
	v_add_co_ci_u32_e64 v1, null, s2, 0, s1
	s_lshl_b32 s14, s0, 4
	s_delay_alu instid0(VALU_DEP_2) | instskip(NEXT) | instid1(VALU_DEP_2)
	v_add_co_u32 v6, vcc_lo, v0, 8
	v_add_co_ci_u32_e32 v7, vcc_lo, 0, v1, vcc_lo
	s_mov_b32 s15, 0x383c2c75
	s_mov_b32 s16, 0x3e8a8991
	;; [unrolled: 1-line block ×3, first 2 shown]
	s_branch .LBB13_177
.LBB13_176:                             ;   in Loop: Header=BB13_177 Depth=1
	s_or_b32 exec_lo, exec_lo, s23
	v_cmp_gt_f32_e64 s3, 0x4b000000, |v2|
	v_cmp_gt_f32_e64 s4, 0x4b000000, |v1|
	;; [unrolled: 1-line block ×3, first 2 shown]
	s_delay_alu instid0(VALU_DEP_3) | instskip(NEXT) | instid1(VALU_DEP_2)
	s_or_b32 s1, s1, s3
	s_or_b32 s0, s0, s4
	v_cndmask_b32_e64 v10, 0x7f800000, v10, s1
	v_cmp_gt_f32_e64 s1, 0x4b000000, |v3|
	v_cndmask_b32_e64 v9, 0x7f800000, v9, s0
	v_cmp_class_f32_e64 s0, v2, 0x264
	s_or_b32 vcc_lo, vcc_lo, s23
	v_cndmask_b32_e32 v8, 0x7f800000, v8, vcc_lo
	s_or_b32 vcc_lo, s2, s1
	s_delay_alu instid0(VALU_DEP_2) | instskip(SKIP_3) | instid1(VALU_DEP_1)
	v_cndmask_b32_e64 v10, v10, 0x7f800000, s0
	v_cndmask_b32_e32 v11, 0x7f800000, v12, vcc_lo
	v_cmp_u_f32_e32 vcc_lo, v2, v2
	v_cmp_class_f32_e64 s0, v1, 0x264
	v_cndmask_b32_e64 v9, v9, 0x7f800000, s0
	v_cndmask_b32_e32 v2, v10, v2, vcc_lo
	v_cmp_class_f32_e64 s0, v0, 0x264
	v_cmp_u_f32_e32 vcc_lo, v1, v1
	s_delay_alu instid0(VALU_DEP_2) | instskip(SKIP_3) | instid1(VALU_DEP_2)
	v_cndmask_b32_e64 v8, v8, 0x7f800000, s0
	v_cndmask_b32_e32 v1, v9, v1, vcc_lo
	v_cmp_class_f32_e64 s0, v3, 0x264
	v_cmp_u_f32_e32 vcc_lo, v0, v0
	v_cndmask_b32_e64 v10, v11, 0x7f800000, s0
	v_cndmask_b32_e32 v0, v8, v0, vcc_lo
	v_cmp_u_f32_e32 vcc_lo, v3, v3
	v_cmp_lt_u64_e64 s0, 0xffff, v[4:5]
	s_delay_alu instid0(VALU_DEP_4)
	v_cndmask_b32_e32 v3, v10, v3, vcc_lo
	v_cmp_le_i64_e32 vcc_lo, s[12:13], v[4:5]
	global_store_b128 v[6:7], v[0:3], off offset:-8
	s_or_b32 s0, vcc_lo, s0
	v_add_co_u32 v4, vcc_lo, v4, s21
	v_add_co_ci_u32_e32 v5, vcc_lo, 0, v5, vcc_lo
	v_add_co_u32 v6, vcc_lo, v6, s14
	v_add_co_ci_u32_e32 v7, vcc_lo, 0, v7, vcc_lo
	s_and_b32 s0, exec_lo, s0
	s_delay_alu instid0(SALU_CYCLE_1) | instskip(NEXT) | instid1(SALU_CYCLE_1)
	s_or_b32 s5, s0, s5
	s_and_not1_b32 exec_lo, exec_lo, s5
	s_cbranch_execz .LBB13_329
.LBB13_177:                             ; =>This Inner Loop Header: Depth=1
	global_load_b128 v[0:3], v[6:7], off offset:-8
	s_mov_b32 s1, exec_lo
                                        ; implicit-def: $vgpr8
	s_waitcnt vmcnt(0)
	v_and_b32_e32 v9, 0x7fffffff, v0
	v_cmpx_ngt_f32_e64 0x3c800000, |v0|
	s_xor_b32 s1, exec_lo, s1
	s_cbranch_execz .LBB13_207
; %bb.178:                              ;   in Loop: Header=BB13_177 Depth=1
	s_mov_b32 s2, exec_lo
                                        ; implicit-def: $vgpr8
	v_cmpx_nlt_f32_e64 |v0|, 2.0
	s_xor_b32 s2, exec_lo, s2
	s_cbranch_execz .LBB13_188
; %bb.179:                              ;   in Loop: Header=BB13_177 Depth=1
	v_cmp_ngt_f32_e64 s0, 0x41000000, |v0|
                                        ; implicit-def: $vgpr8
	s_delay_alu instid0(VALU_DEP_1) | instskip(NEXT) | instid1(SALU_CYCLE_1)
	s_and_saveexec_b32 s3, s0
	s_xor_b32 s0, exec_lo, s3
	s_cbranch_execz .LBB13_185
; %bb.180:                              ;   in Loop: Header=BB13_177 Depth=1
	v_cmp_ngt_f32_e64 s3, 0x5c800000, |v0|
                                        ; implicit-def: $vgpr8
	s_delay_alu instid0(VALU_DEP_1) | instskip(NEXT) | instid1(SALU_CYCLE_1)
	s_and_saveexec_b32 s4, s3
	s_xor_b32 s3, exec_lo, s4
	s_cbranch_execz .LBB13_182
; %bb.181:                              ;   in Loop: Header=BB13_177 Depth=1
	v_cmp_gt_f32_e64 s4, 0x800000, |v0|
	s_delay_alu instid0(VALU_DEP_1) | instskip(NEXT) | instid1(VALU_DEP_1)
	v_cndmask_b32_e64 v8, 1.0, 0x4f800000, s4
	v_mul_f32_e64 v8, |v0|, v8
	s_delay_alu instid0(VALU_DEP_1) | instskip(SKIP_3) | instid1(VALU_DEP_2)
	v_log_f32_e32 v8, v8
	s_waitcnt_depctr 0xfff
	v_mul_f32_e32 v10, 0x3f317217, v8
	v_cmp_gt_f32_e64 vcc_lo, 0x7f800000, |v8|
	v_fma_f32 v11, 0x3f317217, v8, -v10
	s_delay_alu instid0(VALU_DEP_1) | instskip(NEXT) | instid1(VALU_DEP_1)
	v_fmac_f32_e32 v11, 0x3377d1cf, v8
	v_add_f32_e32 v10, v10, v11
	s_delay_alu instid0(VALU_DEP_1) | instskip(SKIP_1) | instid1(VALU_DEP_1)
	v_cndmask_b32_e32 v8, v8, v10, vcc_lo
	v_cndmask_b32_e64 v10, 0, 0x41b17218, s4
	v_sub_f32_e32 v8, v8, v10
	s_delay_alu instid0(VALU_DEP_1)
	v_fma_f32 v8, |v0|, v8, -|v0|
.LBB13_182:                             ;   in Loop: Header=BB13_177 Depth=1
	s_and_not1_saveexec_b32 s3, s3
	s_cbranch_execz .LBB13_184
; %bb.183:                              ;   in Loop: Header=BB13_177 Depth=1
	v_cmp_gt_f32_e64 s4, 0x800000, |v0|
	v_rcp_f32_e64 v10, |v0|
	s_delay_alu instid0(VALU_DEP_1) | instskip(NEXT) | instid1(VALU_DEP_1)
	v_cndmask_b32_e64 v8, 1.0, 0x4f800000, s4
	v_mul_f32_e64 v8, |v0|, v8
	s_delay_alu instid0(VALU_DEP_1) | instskip(SKIP_3) | instid1(VALU_DEP_2)
	v_log_f32_e32 v8, v8
	s_waitcnt_depctr 0xfff
	v_dual_mul_f32 v11, v10, v10 :: v_dual_mul_f32 v12, 0x3f317217, v8
	v_cmp_gt_f32_e64 vcc_lo, 0x7f800000, |v8|
	v_fma_f32 v14, 0x3f317217, v8, -v12
	s_delay_alu instid0(VALU_DEP_1) | instskip(NEXT) | instid1(VALU_DEP_1)
	v_fmac_f32_e32 v14, 0x3377d1cf, v8
	v_dual_fmaak_f32 v13, s6, v11, 0x3a5b3dd2 :: v_dual_add_f32 v12, v12, v14
	s_delay_alu instid0(VALU_DEP_1) | instskip(SKIP_1) | instid1(VALU_DEP_1)
	v_dual_fmaak_f32 v13, v11, v13, 0xba1c065c :: v_dual_cndmask_b32 v8, v8, v12
	v_cndmask_b32_e64 v12, 0, 0x41b17218, s4
	v_dual_fmaak_f32 v13, v11, v13, 0x3a500cfd :: v_dual_sub_f32 v12, v8, v12
	s_delay_alu instid0(VALU_DEP_1) | instskip(NEXT) | instid1(VALU_DEP_1)
	v_fmaak_f32 v13, v11, v13, 0xbb360b61
	v_fmaak_f32 v11, v11, v13, 0x3daaaaab
	s_delay_alu instid0(VALU_DEP_1) | instskip(SKIP_1) | instid1(VALU_DEP_1)
	v_dual_fmaak_f32 v8, v10, v11, 0x3ed67f1d :: v_dual_add_f32 v11, -1.0, v12
	v_add_f32_e64 v10, |v0|, -0.5
	v_fmac_f32_e32 v8, v10, v11
.LBB13_184:                             ;   in Loop: Header=BB13_177 Depth=1
	s_or_b32 exec_lo, exec_lo, s3
.LBB13_185:                             ;   in Loop: Header=BB13_177 Depth=1
	s_and_not1_saveexec_b32 s3, s0
	s_cbranch_execz .LBB13_187
; %bb.186:                              ;   in Loop: Header=BB13_177 Depth=1
	v_cvt_i32_f32_e32 v8, v9
	s_delay_alu instid0(VALU_DEP_1) | instskip(SKIP_1) | instid1(VALU_DEP_2)
	v_cvt_f32_i32_e32 v10, v8
	v_cmp_lt_i32_e32 vcc_lo, 2, v8
	v_sub_f32_e64 v10, |v0|, v10
	s_delay_alu instid0(VALU_DEP_1) | instskip(SKIP_1) | instid1(VALU_DEP_1)
	v_add_f32_e32 v12, 0x40400000, v10
	v_add_f32_e32 v11, 2.0, v10
	v_cndmask_b32_e32 v11, 1.0, v11, vcc_lo
	v_cmp_lt_i32_e32 vcc_lo, 3, v8
	s_delay_alu instid0(VALU_DEP_4) | instskip(SKIP_1) | instid1(VALU_DEP_2)
	v_cndmask_b32_e32 v12, 1.0, v12, vcc_lo
	v_cmp_lt_i32_e32 vcc_lo, 4, v8
	v_dual_mul_f32 v11, v11, v12 :: v_dual_add_f32 v12, 0x40c00000, v10
	v_add_f32_e32 v13, 4.0, v10
	s_delay_alu instid0(VALU_DEP_1) | instskip(SKIP_1) | instid1(VALU_DEP_2)
	v_dual_add_f32 v14, 0x40a00000, v10 :: v_dual_cndmask_b32 v13, 1.0, v13
	v_cmp_lt_i32_e32 vcc_lo, 5, v8
	v_dual_mul_f32 v11, v13, v11 :: v_dual_cndmask_b32 v14, 1.0, v14
	v_cmp_lt_i32_e32 vcc_lo, 6, v8
	v_fmaak_f32 v13, s7, v10, 0x3af135b4
	s_delay_alu instid0(VALU_DEP_3) | instskip(NEXT) | instid1(VALU_DEP_1)
	v_dual_mul_f32 v11, v14, v11 :: v_dual_cndmask_b32 v8, 1.0, v12
	v_dual_mul_f32 v8, v8, v11 :: v_dual_fmaak_f32 v11, s8, v10, 0x3a4beed6
	s_delay_alu instid0(VALU_DEP_1) | instskip(SKIP_1) | instid1(VALU_DEP_1)
	v_cmp_gt_f32_e32 vcc_lo, 0x800000, v8
	v_cndmask_b32_e64 v12, 1.0, 0x4f800000, vcc_lo
	v_mul_f32_e32 v8, v8, v12
	v_fmaak_f32 v12, v10, v13, 0x3cda40e4
	s_delay_alu instid0(VALU_DEP_2) | instskip(SKIP_3) | instid1(VALU_DEP_2)
	v_log_f32_e32 v8, v8
	s_waitcnt_depctr 0xfff
	v_mul_f32_e32 v13, 0x3f317217, v8
	v_cmp_gt_f32_e64 s0, 0x7f800000, |v8|
	v_fma_f32 v14, 0x3f317217, v8, -v13
	s_delay_alu instid0(VALU_DEP_1) | instskip(NEXT) | instid1(VALU_DEP_1)
	v_fmac_f32_e32 v14, 0x3377d1cf, v8
	v_dual_add_f32 v13, v13, v14 :: v_dual_fmaak_f32 v12, v10, v12, 0x3e15dce6
	s_delay_alu instid0(VALU_DEP_1) | instskip(SKIP_1) | instid1(VALU_DEP_3)
	v_cndmask_b32_e64 v8, v8, v13, s0
	v_fmaak_f32 v11, v10, v11, 0x3c98bf54
	v_fmaak_f32 v12, v10, v12, 0x3ea6cc7a
	s_delay_alu instid0(VALU_DEP_2) | instskip(NEXT) | instid1(VALU_DEP_2)
	v_fmaak_f32 v11, v10, v11, 0x3e300f6e
	v_fmaak_f32 v12, v10, v12, 0x3e5c245a
	s_delay_alu instid0(VALU_DEP_2) | instskip(NEXT) | instid1(VALU_DEP_2)
	;; [unrolled: 3-line block ×3, first 2 shown]
	v_fmaak_f32 v11, v10, v11, 0x3fb22d3b
	v_mul_f32_e32 v12, v10, v12
	s_delay_alu instid0(VALU_DEP_2) | instskip(NEXT) | instid1(VALU_DEP_1)
	v_fma_f32 v11, v10, v11, 1.0
	v_rcp_f32_e32 v11, v11
	s_waitcnt_depctr 0xfff
	v_mul_f32_e32 v11, v12, v11
	v_cndmask_b32_e64 v12, 0, 0x41b17218, vcc_lo
	s_delay_alu instid0(VALU_DEP_1) | instskip(NEXT) | instid1(VALU_DEP_1)
	v_dual_fmac_f32 v11, 0.5, v10 :: v_dual_sub_f32 v8, v8, v12
	v_add_f32_e32 v8, v8, v11
.LBB13_187:                             ;   in Loop: Header=BB13_177 Depth=1
	s_or_b32 exec_lo, exec_lo, s3
.LBB13_188:                             ;   in Loop: Header=BB13_177 Depth=1
	s_and_not1_saveexec_b32 s2, s2
	s_cbranch_execz .LBB13_206
; %bb.189:                              ;   in Loop: Header=BB13_177 Depth=1
	s_mov_b32 s3, exec_lo
                                        ; implicit-def: $vgpr8
                                        ; implicit-def: $vgpr11
                                        ; implicit-def: $vgpr10
	v_cmpx_ge_f32_e64 0x3f666666, |v0|
	s_xor_b32 s3, exec_lo, s3
	s_cbranch_execz .LBB13_191
; %bb.190:                              ;   in Loop: Header=BB13_177 Depth=1
	v_cmp_gt_f32_e64 s0, 0x800000, |v0|
	v_sub_f32_e64 v12, 1.0, |v0|
	v_cmp_gt_f32_e64 vcc_lo, 0x3f3b4a23, |v0|
	s_delay_alu instid0(VALU_DEP_3) | instskip(SKIP_1) | instid1(VALU_DEP_2)
	v_cndmask_b32_e64 v8, 1.0, 0x4f800000, s0
	v_cndmask_b32_e64 v13, 0, 0x41b17218, s0
	v_mul_f32_e64 v8, |v0|, v8
	s_delay_alu instid0(VALU_DEP_1) | instskip(SKIP_3) | instid1(VALU_DEP_2)
	v_log_f32_e32 v8, v8
	s_waitcnt_depctr 0xfff
	v_mul_f32_e32 v10, 0x3f317217, v8
	v_cmp_gt_f32_e64 s0, 0x7f800000, |v8|
	v_fma_f32 v11, 0x3f317217, v8, -v10
	s_delay_alu instid0(VALU_DEP_1) | instskip(NEXT) | instid1(VALU_DEP_1)
	v_fmac_f32_e32 v11, 0x3377d1cf, v8
	v_add_f32_e32 v10, v10, v11
	v_add_f32_e64 v11, 0xbeec5b0c, |v0|
	s_delay_alu instid0(VALU_DEP_2) | instskip(NEXT) | instid1(VALU_DEP_2)
	v_cndmask_b32_e64 v8, v8, v10, s0
	v_cndmask_b32_e32 v10, v12, v11, vcc_lo
	v_cndmask_b32_e64 v11, 0, 1, vcc_lo
	v_cmp_gt_f32_e64 s0, 0x3e6d3309, |v0|
	s_delay_alu instid0(VALU_DEP_4) | instskip(NEXT) | instid1(VALU_DEP_2)
	v_sub_f32_e32 v8, v8, v13
	v_cndmask_b32_e64 v10, v10, |v0|, s0
	s_delay_alu instid0(VALU_DEP_4) | instskip(NEXT) | instid1(VALU_DEP_3)
	v_cndmask_b32_e64 v11, v11, 2, s0
	v_xor_b32_e32 v8, 0x80000000, v8
.LBB13_191:                             ;   in Loop: Header=BB13_177 Depth=1
	s_and_not1_saveexec_b32 s0, s3
; %bb.192:                              ;   in Loop: Header=BB13_177 Depth=1
	v_sub_f32_e64 v8, 2.0, |v0|
	v_add_f32_e64 v10, 0xbfbb16c3, |v0|
	v_cmp_gt_f32_e64 vcc_lo, 0x3fdda512, |v0|
	v_add_f32_e64 v11, |v0|, -1.0
	s_delay_alu instid0(VALU_DEP_3) | instskip(NEXT) | instid1(VALU_DEP_3)
	v_cndmask_b32_e32 v10, v8, v10, vcc_lo
	v_cndmask_b32_e64 v8, v8, 1.0, vcc_lo
	v_cmp_gt_f32_e64 vcc_lo, 0x3f9d70a4, |v0|
	s_delay_alu instid0(VALU_DEP_2) | instskip(NEXT) | instid1(VALU_DEP_4)
	v_cvt_i32_f32_e32 v8, v8
	v_cndmask_b32_e32 v10, v10, v11, vcc_lo
	s_delay_alu instid0(VALU_DEP_2)
	v_cndmask_b32_e64 v11, v8, 2, vcc_lo
	v_mov_b32_e32 v8, 0
; %bb.193:                              ;   in Loop: Header=BB13_177 Depth=1
	s_or_b32 exec_lo, exec_lo, s0
	s_delay_alu instid0(SALU_CYCLE_1) | instskip(NEXT) | instid1(VALU_DEP_2)
	s_mov_b32 s0, exec_lo
	v_cmpx_lt_i32_e32 0, v11
	s_xor_b32 s0, exec_lo, s0
	s_cbranch_execz .LBB13_201
; %bb.194:                              ;   in Loop: Header=BB13_177 Depth=1
	s_mov_b32 s3, exec_lo
	v_cmpx_lt_i32_e32 1, v11
	s_xor_b32 s3, exec_lo, s3
	s_cbranch_execz .LBB13_198
; %bb.195:                              ;   in Loop: Header=BB13_177 Depth=1
	s_mov_b32 s4, exec_lo
	v_cmpx_eq_u32_e32 2, v11
	s_cbranch_execz .LBB13_197
; %bb.196:                              ;   in Loop: Header=BB13_177 Depth=1
	v_fmaak_f32 v12, s9, v10, 0x3e6a7578
	s_delay_alu instid0(VALU_DEP_1) | instskip(NEXT) | instid1(VALU_DEP_1)
	v_fmaak_f32 v12, v10, v12, 0x3f7a4bb2
	v_fmaak_f32 v12, v10, v12, 0x3fba3ae7
	s_delay_alu instid0(VALU_DEP_1) | instskip(NEXT) | instid1(VALU_DEP_1)
	v_fmaak_f32 v12, v10, v12, 0x3f2200f4
	v_fmaak_f32 v12, v10, v12, 0xbd9e233f
	s_delay_alu instid0(VALU_DEP_1) | instskip(NEXT) | instid1(VALU_DEP_1)
	v_dual_fmaak_f32 v11, s10, v10, 0x3dd572af :: v_dual_mul_f32 v12, v10, v12
	v_fmaak_f32 v11, v10, v11, 0x3f44efdf
	s_delay_alu instid0(VALU_DEP_1) | instskip(NEXT) | instid1(VALU_DEP_1)
	v_fmaak_f32 v11, v10, v11, 0x4008392d
	v_fmaak_f32 v11, v10, v11, 0x401d2ebe
	s_delay_alu instid0(VALU_DEP_1) | instskip(NEXT) | instid1(VALU_DEP_1)
	v_fma_f32 v11, v10, v11, 1.0
	v_rcp_f32_e32 v11, v11
	s_waitcnt_depctr 0xfff
	v_mul_f32_e32 v11, v12, v11
	s_delay_alu instid0(VALU_DEP_1) | instskip(NEXT) | instid1(VALU_DEP_1)
	v_fmac_f32_e32 v11, -0.5, v10
	v_add_f32_e32 v8, v8, v11
.LBB13_197:                             ;   in Loop: Header=BB13_177 Depth=1
	s_or_b32 exec_lo, exec_lo, s4
                                        ; implicit-def: $vgpr10
.LBB13_198:                             ;   in Loop: Header=BB13_177 Depth=1
	s_and_not1_saveexec_b32 s3, s3
	s_cbranch_execz .LBB13_200
; %bb.199:                              ;   in Loop: Header=BB13_177 Depth=1
	v_mul_f32_e32 v11, v10, v10
	s_delay_alu instid0(VALU_DEP_1) | instskip(NEXT) | instid1(VALU_DEP_1)
	v_mul_f32_e32 v12, v10, v11
	v_fmaak_f32 v14, s19, v12, 0xba0d3085
	v_fmaak_f32 v13, s18, v12, 0x3a66f867
	;; [unrolled: 1-line block ×3, first 2 shown]
	s_delay_alu instid0(VALU_DEP_3) | instskip(NEXT) | instid1(VALU_DEP_3)
	v_fmaak_f32 v14, v12, v14, 0x3b141699
	v_fmaak_f32 v13, v12, v13, 0xbb7177fe
	s_delay_alu instid0(VALU_DEP_3) | instskip(NEXT) | instid1(VALU_DEP_3)
	v_fmaak_f32 v15, v12, v15, 0x3bc7e707
	v_fmaak_f32 v14, v12, v14, 0xbc28fcfe
	;; [unrolled: 3-line block ×4, first 2 shown]
	s_delay_alu instid0(VALU_DEP_1) | instskip(NEXT) | instid1(VALU_DEP_1)
	v_dual_fmac_f32 v13, v10, v14 :: v_dual_fmaak_f32 v10, v12, v15, 0x3ef7b95e
	v_fma_f32 v12, v12, -v13, 0xa2863e55
	s_delay_alu instid0(VALU_DEP_1) | instskip(NEXT) | instid1(VALU_DEP_1)
	v_fma_f32 v10, v11, v10, -v12
	v_add_f32_e32 v10, 0xbdf8cdce, v10
	s_delay_alu instid0(VALU_DEP_1)
	v_add_f32_e32 v8, v8, v10
.LBB13_200:                             ;   in Loop: Header=BB13_177 Depth=1
	s_or_b32 exec_lo, exec_lo, s3
                                        ; implicit-def: $vgpr11
                                        ; implicit-def: $vgpr10
.LBB13_201:                             ;   in Loop: Header=BB13_177 Depth=1
	s_and_not1_saveexec_b32 s0, s0
	s_cbranch_execz .LBB13_205
; %bb.202:                              ;   in Loop: Header=BB13_177 Depth=1
	s_mov_b32 s3, exec_lo
	v_cmpx_eq_u32_e32 0, v11
	s_cbranch_execz .LBB13_204
; %bb.203:                              ;   in Loop: Header=BB13_177 Depth=1
	v_mul_f32_e32 v11, v10, v10
	s_delay_alu instid0(VALU_DEP_1) | instskip(NEXT) | instid1(VALU_DEP_1)
	v_fmaak_f32 v13, s20, v11, 0x39679767
	v_fmaak_f32 v13, v11, v13, 0x3a9c54a1
	s_delay_alu instid0(VALU_DEP_1) | instskip(NEXT) | instid1(VALU_DEP_1)
	v_fmaak_f32 v13, v11, v13, 0x3bf2027e
	v_fmaak_f32 v13, v11, v13, 0x3d89f001
	s_delay_alu instid0(VALU_DEP_1) | instskip(SKIP_1) | instid1(VALU_DEP_1)
	v_fmaak_f32 v13, v11, v13, 0x3d9e233f
	v_fmaak_f32 v12, s15, v11, 0x38e28445
	;; [unrolled: 1-line block ×3, first 2 shown]
	s_delay_alu instid0(VALU_DEP_1) | instskip(NEXT) | instid1(VALU_DEP_1)
	v_fmaak_f32 v12, v11, v12, 0x3b3d6ec6
	v_fmaak_f32 v12, v11, v12, 0x3ca89915
	s_delay_alu instid0(VALU_DEP_1) | instskip(NEXT) | instid1(VALU_DEP_1)
	v_fmaak_f32 v12, v11, v12, 0x3ea51a66
	v_mul_f32_e32 v11, v11, v12
	s_delay_alu instid0(VALU_DEP_1) | instskip(NEXT) | instid1(VALU_DEP_1)
	v_fmac_f32_e32 v11, v10, v13
	v_fmac_f32_e32 v11, -0.5, v10
	s_delay_alu instid0(VALU_DEP_1)
	v_add_f32_e32 v8, v8, v11
.LBB13_204:                             ;   in Loop: Header=BB13_177 Depth=1
	s_or_b32 exec_lo, exec_lo, s3
.LBB13_205:                             ;   in Loop: Header=BB13_177 Depth=1
	s_delay_alu instid0(SALU_CYCLE_1)
	s_or_b32 exec_lo, exec_lo, s0
.LBB13_206:                             ;   in Loop: Header=BB13_177 Depth=1
	s_delay_alu instid0(SALU_CYCLE_1)
	s_or_b32 exec_lo, exec_lo, s2
.LBB13_207:                             ;   in Loop: Header=BB13_177 Depth=1
	s_and_not1_saveexec_b32 s0, s1
	s_cbranch_execz .LBB13_209
; %bb.208:                              ;   in Loop: Header=BB13_177 Depth=1
	v_cmp_gt_f32_e64 s1, 0x800000, |v0|
	v_fma_f32 v12, |v0|, s16, 0xbecd26ab
	s_delay_alu instid0(VALU_DEP_2) | instskip(NEXT) | instid1(VALU_DEP_1)
	v_cndmask_b32_e64 v8, 1.0, 0x4f800000, s1
	v_mul_f32_e64 v8, |v0|, v8
	s_delay_alu instid0(VALU_DEP_1) | instskip(SKIP_3) | instid1(VALU_DEP_2)
	v_log_f32_e32 v8, v8
	s_waitcnt_depctr 0xfff
	v_mul_f32_e32 v10, 0x3f317217, v8
	v_cmp_gt_f32_e64 vcc_lo, 0x7f800000, |v8|
	v_fma_f32 v11, 0x3f317217, v8, -v10
	s_delay_alu instid0(VALU_DEP_1) | instskip(NEXT) | instid1(VALU_DEP_1)
	v_fmac_f32_e32 v11, 0x3377d1cf, v8
	v_add_f32_e32 v10, v10, v11
	v_fma_f32 v11, |v0|, v12, 0x3f528d33
	s_delay_alu instid0(VALU_DEP_2) | instskip(SKIP_1) | instid1(VALU_DEP_3)
	v_cndmask_b32_e32 v8, v8, v10, vcc_lo
	v_cndmask_b32_e64 v10, 0, 0x41b17218, s1
	v_fma_f32 v11, |v0|, v11, 0xbf13c468
	s_delay_alu instid0(VALU_DEP_2) | instskip(NEXT) | instid1(VALU_DEP_1)
	v_sub_f32_e32 v8, v8, v10
	v_fma_f32 v8, |v0|, v11, -v8
.LBB13_209:                             ;   in Loop: Header=BB13_177 Depth=1
	s_or_b32 exec_lo, exec_lo, s0
	v_cmp_le_f32_e32 vcc_lo, 0, v0
	s_mov_b32 s1, exec_lo
	v_cmpx_nle_f32_e32 0, v0
	s_xor_b32 s2, exec_lo, s1
	s_cbranch_execz .LBB13_213
; %bb.210:                              ;   in Loop: Header=BB13_177 Depth=1
	v_cmp_gt_f32_e64 s0, 0x4b000000, |v0|
	v_cmp_lt_f32_e64 s1, 0x35000000, |v0|
	s_delay_alu instid0(VALU_DEP_1) | instskip(NEXT) | instid1(SALU_CYCLE_1)
	s_and_b32 s0, s0, s1
	s_and_saveexec_b32 s3, s0
	s_cbranch_execz .LBB13_212
; %bb.211:                              ;   in Loop: Header=BB13_177 Depth=1
	v_mul_f32_e64 v10, |v0|, 0.5
	v_xor_b32_e32 v9, v9, v0
	s_delay_alu instid0(VALU_DEP_2) | instskip(SKIP_1) | instid1(VALU_DEP_2)
	v_floor_f32_e32 v11, v10
	v_cmp_neq_f32_e64 s0, 0x7f800000, v10
	v_sub_f32_e32 v11, v10, v11
	s_delay_alu instid0(VALU_DEP_1) | instskip(NEXT) | instid1(VALU_DEP_1)
	v_min_f32_e32 v11, 0x3f7fffff, v11
	v_add_f32_e32 v11, v11, v11
	s_delay_alu instid0(VALU_DEP_1) | instskip(SKIP_1) | instid1(VALU_DEP_1)
	v_cndmask_b32_e64 v10, 0, v11, s0
	v_cmp_gt_f32_e64 s0, |v0|, 1.0
	v_cndmask_b32_e64 v10, |v0|, v10, s0
	s_delay_alu instid0(VALU_DEP_1) | instskip(NEXT) | instid1(VALU_DEP_1)
	v_add_f32_e32 v11, v10, v10
	v_rndne_f32_e32 v11, v11
	s_delay_alu instid0(VALU_DEP_1) | instskip(SKIP_1) | instid1(VALU_DEP_2)
	v_fmac_f32_e32 v10, -0.5, v11
	v_cvt_i32_f32_e32 v11, v11
	v_mul_f32_e32 v12, v10, v10
	s_delay_alu instid0(VALU_DEP_1) | instskip(SKIP_1) | instid1(VALU_DEP_2)
	v_fmaak_f32 v13, s17, v12, 0xbf1f24be
	v_fmaak_f32 v14, s22, v12, 0x3e642e9d
	;; [unrolled: 1-line block ×3, first 2 shown]
	s_delay_alu instid0(VALU_DEP_2) | instskip(NEXT) | instid1(VALU_DEP_2)
	v_dual_fmaak_f32 v14, v12, v14, 0xbfaad1da :: v_dual_mul_f32 v15, v10, v12
	v_fmaak_f32 v13, v12, v13, 0xc0a55e0e
	s_delay_alu instid0(VALU_DEP_1) | instskip(NEXT) | instid1(VALU_DEP_1)
	v_dual_fmaak_f32 v14, v12, v14, 0x4081e0d3 :: v_dual_mul_f32 v13, v15, v13
	v_dual_fmaak_f32 v14, v12, v14, 0xc09de9e6 :: v_dual_and_b32 v15, 1, v11
	v_lshlrev_b32_e32 v11, 30, v11
	s_delay_alu instid0(VALU_DEP_3) | instskip(NEXT) | instid1(VALU_DEP_3)
	v_fmac_f32_e32 v13, 0x40490fdb, v10
	v_fma_f32 v10, v12, v14, 1.0
	s_delay_alu instid0(VALU_DEP_4) | instskip(NEXT) | instid1(VALU_DEP_4)
	v_cmp_eq_u32_e64 s0, 0, v15
	v_and_b32_e32 v11, 0x80000000, v11
	s_delay_alu instid0(VALU_DEP_2) | instskip(NEXT) | instid1(VALU_DEP_1)
	v_cndmask_b32_e64 v10, v10, v13, s0
	v_xor3_b32 v9, v9, v11, v10
	s_delay_alu instid0(VALU_DEP_1) | instskip(NEXT) | instid1(VALU_DEP_1)
	v_mul_f32_e32 v9, v0, v9
	v_frexp_mant_f32_e64 v10, |v9|
	v_frexp_exp_i32_f32_e32 v9, v9
	s_delay_alu instid0(VALU_DEP_2) | instskip(NEXT) | instid1(VALU_DEP_1)
	v_rcp_f32_e32 v10, v10
	v_sub_nc_u32_e32 v9, 2, v9
	s_waitcnt_depctr 0xfff
	v_mul_f32_e32 v10, 0x3f490fdb, v10
	s_delay_alu instid0(VALU_DEP_1) | instskip(NEXT) | instid1(VALU_DEP_1)
	v_ldexp_f32 v9, v10, v9
	v_cmp_gt_f32_e64 s0, 0x800000, v9
	s_delay_alu instid0(VALU_DEP_1) | instskip(NEXT) | instid1(VALU_DEP_1)
	v_cndmask_b32_e64 v10, 1.0, 0x4f800000, s0
	v_mul_f32_e32 v9, v9, v10
	s_delay_alu instid0(VALU_DEP_1) | instskip(SKIP_3) | instid1(VALU_DEP_2)
	v_log_f32_e32 v9, v9
	s_waitcnt_depctr 0xfff
	v_mul_f32_e32 v10, 0x3f317217, v9
	v_cmp_gt_f32_e64 s1, 0x7f800000, |v9|
	v_fma_f32 v11, 0x3f317217, v9, -v10
	s_delay_alu instid0(VALU_DEP_1) | instskip(NEXT) | instid1(VALU_DEP_1)
	v_fmac_f32_e32 v11, 0x3377d1cf, v9
	v_add_f32_e32 v10, v10, v11
	v_floor_f32_e32 v11, v0
	s_delay_alu instid0(VALU_DEP_2) | instskip(SKIP_1) | instid1(VALU_DEP_3)
	v_cndmask_b32_e64 v9, v9, v10, s1
	v_cndmask_b32_e64 v10, 0, 0x41b17218, s0
	v_sub_f32_e32 v11, v0, v11
	s_delay_alu instid0(VALU_DEP_1) | instskip(NEXT) | instid1(VALU_DEP_1)
	v_dual_sub_f32 v9, v9, v10 :: v_dual_min_f32 v10, 0x3f7fffff, v11
	v_sub_f32_e32 v8, v9, v8
	s_delay_alu instid0(VALU_DEP_2) | instskip(NEXT) | instid1(VALU_DEP_1)
	v_cmp_neq_f32_e64 s0, 0, v10
	v_cndmask_b32_e64 v8, 0x7f800000, v8, s0
.LBB13_212:                             ;   in Loop: Header=BB13_177 Depth=1
	s_or_b32 exec_lo, exec_lo, s3
.LBB13_213:                             ;   in Loop: Header=BB13_177 Depth=1
	s_and_not1_saveexec_b32 s2, s2
; %bb.214:                              ;   in Loop: Header=BB13_177 Depth=1
	v_cmp_eq_f32_e64 s0, 1.0, v0
	v_cmp_eq_f32_e64 s1, 2.0, v0
	s_delay_alu instid0(VALU_DEP_1) | instskip(NEXT) | instid1(SALU_CYCLE_1)
	s_or_b32 s0, s0, s1
	v_cndmask_b32_e64 v8, v8, 0, s0
; %bb.215:                              ;   in Loop: Header=BB13_177 Depth=1
	s_or_b32 exec_lo, exec_lo, s2
	v_and_b32_e32 v10, 0x7fffffff, v1
                                        ; implicit-def: $vgpr9
	s_mov_b32 s1, exec_lo
	v_cmpx_ngt_f32_e64 0x3c800000, |v1|
	s_xor_b32 s2, exec_lo, s1
	s_cbranch_execz .LBB13_245
; %bb.216:                              ;   in Loop: Header=BB13_177 Depth=1
                                        ; implicit-def: $vgpr9
	s_mov_b32 s1, exec_lo
	v_cmpx_nlt_f32_e64 |v1|, 2.0
	s_xor_b32 s3, exec_lo, s1
	s_cbranch_execz .LBB13_226
; %bb.217:                              ;   in Loop: Header=BB13_177 Depth=1
	s_mov_b32 s1, exec_lo
                                        ; implicit-def: $vgpr9
	v_cmpx_ngt_f32_e64 0x41000000, |v1|
	s_xor_b32 s1, exec_lo, s1
	s_cbranch_execz .LBB13_223
; %bb.218:                              ;   in Loop: Header=BB13_177 Depth=1
	s_mov_b32 s4, exec_lo
                                        ; implicit-def: $vgpr9
	v_cmpx_ngt_f32_e64 0x5c800000, |v1|
	s_xor_b32 s4, exec_lo, s4
	s_cbranch_execz .LBB13_220
; %bb.219:                              ;   in Loop: Header=BB13_177 Depth=1
	v_cmp_gt_f32_e64 s23, 0x800000, |v1|
	s_delay_alu instid0(VALU_DEP_1) | instskip(NEXT) | instid1(VALU_DEP_1)
	v_cndmask_b32_e64 v9, 1.0, 0x4f800000, s23
	v_mul_f32_e64 v9, |v1|, v9
	s_delay_alu instid0(VALU_DEP_1) | instskip(SKIP_3) | instid1(VALU_DEP_2)
	v_log_f32_e32 v9, v9
	s_waitcnt_depctr 0xfff
	v_mul_f32_e32 v11, 0x3f317217, v9
	v_cmp_gt_f32_e64 s0, 0x7f800000, |v9|
	v_fma_f32 v12, 0x3f317217, v9, -v11
	s_delay_alu instid0(VALU_DEP_1) | instskip(NEXT) | instid1(VALU_DEP_1)
	v_fmac_f32_e32 v12, 0x3377d1cf, v9
	v_add_f32_e32 v11, v11, v12
	s_delay_alu instid0(VALU_DEP_1) | instskip(SKIP_1) | instid1(VALU_DEP_1)
	v_cndmask_b32_e64 v9, v9, v11, s0
	v_cndmask_b32_e64 v11, 0, 0x41b17218, s23
	v_sub_f32_e32 v9, v9, v11
	s_delay_alu instid0(VALU_DEP_1)
	v_fma_f32 v9, |v1|, v9, -|v1|
.LBB13_220:                             ;   in Loop: Header=BB13_177 Depth=1
	s_and_not1_saveexec_b32 s4, s4
	s_cbranch_execz .LBB13_222
; %bb.221:                              ;   in Loop: Header=BB13_177 Depth=1
	v_cmp_gt_f32_e64 s23, 0x800000, |v1|
	v_rcp_f32_e64 v11, |v1|
	s_delay_alu instid0(VALU_DEP_1) | instskip(NEXT) | instid1(VALU_DEP_1)
	v_cndmask_b32_e64 v9, 1.0, 0x4f800000, s23
	v_mul_f32_e64 v9, |v1|, v9
	s_delay_alu instid0(VALU_DEP_1) | instskip(SKIP_3) | instid1(VALU_DEP_2)
	v_log_f32_e32 v9, v9
	s_waitcnt_depctr 0xfff
	v_dual_mul_f32 v12, v11, v11 :: v_dual_mul_f32 v13, 0x3f317217, v9
	v_cmp_gt_f32_e64 s0, 0x7f800000, |v9|
	v_fma_f32 v15, 0x3f317217, v9, -v13
	s_delay_alu instid0(VALU_DEP_1) | instskip(NEXT) | instid1(VALU_DEP_1)
	v_fmac_f32_e32 v15, 0x3377d1cf, v9
	v_dual_fmaak_f32 v14, s6, v12, 0x3a5b3dd2 :: v_dual_add_f32 v13, v13, v15
	s_delay_alu instid0(VALU_DEP_1) | instskip(SKIP_1) | instid1(VALU_DEP_1)
	v_cndmask_b32_e64 v9, v9, v13, s0
	v_cndmask_b32_e64 v13, 0, 0x41b17218, s23
	v_dual_fmaak_f32 v14, v12, v14, 0xba1c065c :: v_dual_sub_f32 v13, v9, v13
	s_delay_alu instid0(VALU_DEP_1) | instskip(NEXT) | instid1(VALU_DEP_1)
	v_fmaak_f32 v14, v12, v14, 0x3a500cfd
	v_fmaak_f32 v14, v12, v14, 0xbb360b61
	s_delay_alu instid0(VALU_DEP_1) | instskip(NEXT) | instid1(VALU_DEP_1)
	v_fmaak_f32 v12, v12, v14, 0x3daaaaab
	v_dual_fmaak_f32 v9, v11, v12, 0x3ed67f1d :: v_dual_add_f32 v12, -1.0, v13
	v_add_f32_e64 v11, |v1|, -0.5
	s_delay_alu instid0(VALU_DEP_1)
	v_fmac_f32_e32 v9, v11, v12
.LBB13_222:                             ;   in Loop: Header=BB13_177 Depth=1
	s_or_b32 exec_lo, exec_lo, s4
.LBB13_223:                             ;   in Loop: Header=BB13_177 Depth=1
	s_and_not1_saveexec_b32 s4, s1
	s_cbranch_execz .LBB13_225
; %bb.224:                              ;   in Loop: Header=BB13_177 Depth=1
	v_cvt_i32_f32_e32 v9, v10
	s_delay_alu instid0(VALU_DEP_1) | instskip(SKIP_1) | instid1(VALU_DEP_2)
	v_cvt_f32_i32_e32 v11, v9
	v_cmp_lt_i32_e64 s0, 2, v9
	v_sub_f32_e64 v11, |v1|, v11
	s_delay_alu instid0(VALU_DEP_1) | instskip(SKIP_2) | instid1(VALU_DEP_3)
	v_add_f32_e32 v12, 2.0, v11
	v_add_f32_e32 v13, 0x40400000, v11
	v_add_f32_e32 v14, 4.0, v11
	v_cndmask_b32_e64 v12, 1.0, v12, s0
	v_cmp_lt_i32_e64 s0, 3, v9
	s_delay_alu instid0(VALU_DEP_1) | instskip(SKIP_1) | instid1(VALU_DEP_2)
	v_cndmask_b32_e64 v13, 1.0, v13, s0
	v_cmp_lt_i32_e64 s0, 4, v9
	v_dual_add_f32 v15, 0x40a00000, v11 :: v_dual_mul_f32 v12, v12, v13
	s_delay_alu instid0(VALU_DEP_2) | instskip(SKIP_1) | instid1(VALU_DEP_2)
	v_cndmask_b32_e64 v14, 1.0, v14, s0
	v_cmp_lt_i32_e64 s0, 5, v9
	v_mul_f32_e32 v12, v14, v12
	s_delay_alu instid0(VALU_DEP_2) | instskip(SKIP_3) | instid1(VALU_DEP_4)
	v_cndmask_b32_e64 v15, 1.0, v15, s0
	v_add_f32_e32 v13, 0x40c00000, v11
	v_cmp_lt_i32_e64 s0, 6, v9
	v_fmaak_f32 v14, s7, v11, 0x3af135b4
	v_mul_f32_e32 v12, v15, v12
	s_delay_alu instid0(VALU_DEP_3) | instskip(NEXT) | instid1(VALU_DEP_1)
	v_cndmask_b32_e64 v9, 1.0, v13, s0
	v_mul_f32_e32 v9, v9, v12
	s_delay_alu instid0(VALU_DEP_1) | instskip(NEXT) | instid1(VALU_DEP_1)
	v_cmp_gt_f32_e64 s0, 0x800000, v9
	v_cndmask_b32_e64 v13, 1.0, 0x4f800000, s0
	s_delay_alu instid0(VALU_DEP_1) | instskip(SKIP_1) | instid1(VALU_DEP_2)
	v_mul_f32_e32 v9, v9, v13
	v_fmaak_f32 v13, v11, v14, 0x3cda40e4
	v_log_f32_e32 v9, v9
	s_waitcnt_depctr 0xfff
	v_mul_f32_e32 v14, 0x3f317217, v9
	v_cmp_gt_f32_e64 s1, 0x7f800000, |v9|
	s_delay_alu instid0(VALU_DEP_2) | instskip(NEXT) | instid1(VALU_DEP_1)
	v_fma_f32 v15, 0x3f317217, v9, -v14
	v_fmac_f32_e32 v15, 0x3377d1cf, v9
	s_delay_alu instid0(VALU_DEP_1) | instskip(NEXT) | instid1(VALU_DEP_1)
	v_dual_add_f32 v14, v14, v15 :: v_dual_fmaak_f32 v13, v11, v13, 0x3e15dce6
	v_cndmask_b32_e64 v9, v9, v14, s1
	s_delay_alu instid0(VALU_DEP_2) | instskip(NEXT) | instid1(VALU_DEP_1)
	v_fmaak_f32 v13, v11, v13, 0x3ea6cc7a
	v_fmaak_f32 v13, v11, v13, 0x3e5c245a
	s_delay_alu instid0(VALU_DEP_1) | instskip(NEXT) | instid1(VALU_DEP_1)
	v_fmaak_f32 v13, v11, v13, 0xbd9e233f
	v_dual_fmaak_f32 v12, s8, v11, 0x3a4beed6 :: v_dual_mul_f32 v13, v11, v13
	s_delay_alu instid0(VALU_DEP_1) | instskip(NEXT) | instid1(VALU_DEP_1)
	v_fmaak_f32 v12, v11, v12, 0x3c98bf54
	v_fmaak_f32 v12, v11, v12, 0x3e300f6e
	s_delay_alu instid0(VALU_DEP_1) | instskip(NEXT) | instid1(VALU_DEP_1)
	v_fmaak_f32 v12, v11, v12, 0x3f38d0c5
	v_fmaak_f32 v12, v11, v12, 0x3fb22d3b
	s_delay_alu instid0(VALU_DEP_1) | instskip(NEXT) | instid1(VALU_DEP_1)
	v_fma_f32 v12, v11, v12, 1.0
	v_rcp_f32_e32 v12, v12
	s_waitcnt_depctr 0xfff
	v_mul_f32_e32 v12, v13, v12
	v_cndmask_b32_e64 v13, 0, 0x41b17218, s0
	s_delay_alu instid0(VALU_DEP_1) | instskip(NEXT) | instid1(VALU_DEP_1)
	v_dual_fmac_f32 v12, 0.5, v11 :: v_dual_sub_f32 v9, v9, v13
	v_add_f32_e32 v9, v9, v12
.LBB13_225:                             ;   in Loop: Header=BB13_177 Depth=1
	s_or_b32 exec_lo, exec_lo, s4
.LBB13_226:                             ;   in Loop: Header=BB13_177 Depth=1
	s_and_not1_saveexec_b32 s3, s3
	s_cbranch_execz .LBB13_244
; %bb.227:                              ;   in Loop: Header=BB13_177 Depth=1
                                        ; implicit-def: $vgpr9
                                        ; implicit-def: $vgpr12
                                        ; implicit-def: $vgpr11
	s_mov_b32 s1, exec_lo
	v_cmpx_ge_f32_e64 0x3f666666, |v1|
	s_xor_b32 s4, exec_lo, s1
	s_cbranch_execz .LBB13_229
; %bb.228:                              ;   in Loop: Header=BB13_177 Depth=1
	v_cmp_gt_f32_e64 s1, 0x800000, |v1|
	v_sub_f32_e64 v13, 1.0, |v1|
	v_cmp_gt_f32_e64 s0, 0x3f3b4a23, |v1|
	s_delay_alu instid0(VALU_DEP_3) | instskip(SKIP_1) | instid1(VALU_DEP_2)
	v_cndmask_b32_e64 v9, 1.0, 0x4f800000, s1
	v_cndmask_b32_e64 v14, 0, 0x41b17218, s1
	v_mul_f32_e64 v9, |v1|, v9
	s_delay_alu instid0(VALU_DEP_1) | instskip(SKIP_3) | instid1(VALU_DEP_2)
	v_log_f32_e32 v9, v9
	s_waitcnt_depctr 0xfff
	v_mul_f32_e32 v11, 0x3f317217, v9
	v_cmp_gt_f32_e64 s1, 0x7f800000, |v9|
	v_fma_f32 v12, 0x3f317217, v9, -v11
	s_delay_alu instid0(VALU_DEP_1) | instskip(NEXT) | instid1(VALU_DEP_1)
	v_fmac_f32_e32 v12, 0x3377d1cf, v9
	v_add_f32_e32 v11, v11, v12
	v_add_f32_e64 v12, 0xbeec5b0c, |v1|
	s_delay_alu instid0(VALU_DEP_2) | instskip(NEXT) | instid1(VALU_DEP_2)
	v_cndmask_b32_e64 v9, v9, v11, s1
	v_cndmask_b32_e64 v11, v13, v12, s0
	;; [unrolled: 1-line block ×3, first 2 shown]
	v_cmp_gt_f32_e64 s0, 0x3e6d3309, |v1|
	s_delay_alu instid0(VALU_DEP_4) | instskip(NEXT) | instid1(VALU_DEP_2)
	v_sub_f32_e32 v9, v9, v14
	v_cndmask_b32_e64 v11, v11, |v1|, s0
	s_delay_alu instid0(VALU_DEP_4) | instskip(NEXT) | instid1(VALU_DEP_3)
	v_cndmask_b32_e64 v12, v12, 2, s0
	v_xor_b32_e32 v9, 0x80000000, v9
.LBB13_229:                             ;   in Loop: Header=BB13_177 Depth=1
	s_and_not1_saveexec_b32 s1, s4
; %bb.230:                              ;   in Loop: Header=BB13_177 Depth=1
	v_sub_f32_e64 v9, 2.0, |v1|
	v_add_f32_e64 v11, 0xbfbb16c3, |v1|
	v_cmp_gt_f32_e64 s0, 0x3fdda512, |v1|
	v_add_f32_e64 v12, |v1|, -1.0
	s_delay_alu instid0(VALU_DEP_2) | instskip(SKIP_2) | instid1(VALU_DEP_2)
	v_cndmask_b32_e64 v11, v9, v11, s0
	v_cndmask_b32_e64 v9, v9, 1.0, s0
	v_cmp_gt_f32_e64 s0, 0x3f9d70a4, |v1|
	v_cvt_i32_f32_e32 v9, v9
	s_delay_alu instid0(VALU_DEP_2) | instskip(NEXT) | instid1(VALU_DEP_2)
	v_cndmask_b32_e64 v11, v11, v12, s0
	v_cndmask_b32_e64 v12, v9, 2, s0
	v_mov_b32_e32 v9, 0
; %bb.231:                              ;   in Loop: Header=BB13_177 Depth=1
	s_or_b32 exec_lo, exec_lo, s1
	s_delay_alu instid0(SALU_CYCLE_1) | instskip(NEXT) | instid1(VALU_DEP_2)
	s_mov_b32 s1, exec_lo
	v_cmpx_lt_i32_e32 0, v12
	s_xor_b32 s1, exec_lo, s1
	s_cbranch_execz .LBB13_239
; %bb.232:                              ;   in Loop: Header=BB13_177 Depth=1
	s_mov_b32 s4, exec_lo
	v_cmpx_lt_i32_e32 1, v12
	s_xor_b32 s4, exec_lo, s4
	s_cbranch_execz .LBB13_236
; %bb.233:                              ;   in Loop: Header=BB13_177 Depth=1
	s_mov_b32 s23, exec_lo
	v_cmpx_eq_u32_e32 2, v12
	s_cbranch_execz .LBB13_235
; %bb.234:                              ;   in Loop: Header=BB13_177 Depth=1
	v_fmaak_f32 v13, s9, v11, 0x3e6a7578
	s_delay_alu instid0(VALU_DEP_1) | instskip(NEXT) | instid1(VALU_DEP_1)
	v_fmaak_f32 v13, v11, v13, 0x3f7a4bb2
	v_fmaak_f32 v13, v11, v13, 0x3fba3ae7
	s_delay_alu instid0(VALU_DEP_1) | instskip(NEXT) | instid1(VALU_DEP_1)
	v_fmaak_f32 v13, v11, v13, 0x3f2200f4
	v_fmaak_f32 v13, v11, v13, 0xbd9e233f
	s_delay_alu instid0(VALU_DEP_1) | instskip(NEXT) | instid1(VALU_DEP_1)
	v_dual_fmaak_f32 v12, s10, v11, 0x3dd572af :: v_dual_mul_f32 v13, v11, v13
	v_fmaak_f32 v12, v11, v12, 0x3f44efdf
	s_delay_alu instid0(VALU_DEP_1) | instskip(NEXT) | instid1(VALU_DEP_1)
	v_fmaak_f32 v12, v11, v12, 0x4008392d
	v_fmaak_f32 v12, v11, v12, 0x401d2ebe
	s_delay_alu instid0(VALU_DEP_1) | instskip(NEXT) | instid1(VALU_DEP_1)
	v_fma_f32 v12, v11, v12, 1.0
	v_rcp_f32_e32 v12, v12
	s_waitcnt_depctr 0xfff
	v_mul_f32_e32 v12, v13, v12
	s_delay_alu instid0(VALU_DEP_1) | instskip(NEXT) | instid1(VALU_DEP_1)
	v_fmac_f32_e32 v12, -0.5, v11
	v_add_f32_e32 v9, v9, v12
.LBB13_235:                             ;   in Loop: Header=BB13_177 Depth=1
	s_or_b32 exec_lo, exec_lo, s23
                                        ; implicit-def: $vgpr11
.LBB13_236:                             ;   in Loop: Header=BB13_177 Depth=1
	s_and_not1_saveexec_b32 s0, s4
	s_cbranch_execz .LBB13_238
; %bb.237:                              ;   in Loop: Header=BB13_177 Depth=1
	v_mul_f32_e32 v12, v11, v11
	s_delay_alu instid0(VALU_DEP_1) | instskip(NEXT) | instid1(VALU_DEP_1)
	v_mul_f32_e32 v13, v11, v12
	v_fmaak_f32 v15, s19, v13, 0xba0d3085
	v_fmaak_f32 v14, s18, v13, 0x3a66f867
	;; [unrolled: 1-line block ×3, first 2 shown]
	s_delay_alu instid0(VALU_DEP_3) | instskip(NEXT) | instid1(VALU_DEP_3)
	v_fmaak_f32 v15, v13, v15, 0x3b141699
	v_fmaak_f32 v14, v13, v14, 0xbb7177fe
	s_delay_alu instid0(VALU_DEP_3) | instskip(NEXT) | instid1(VALU_DEP_3)
	v_fmaak_f32 v16, v13, v16, 0x3bc7e707
	v_fmaak_f32 v15, v13, v15, 0xbc28fcfe
	;; [unrolled: 3-line block ×4, first 2 shown]
	s_delay_alu instid0(VALU_DEP_1) | instskip(NEXT) | instid1(VALU_DEP_1)
	v_dual_fmac_f32 v14, v11, v15 :: v_dual_fmaak_f32 v11, v13, v16, 0x3ef7b95e
	v_fma_f32 v13, v13, -v14, 0xa2863e55
	s_delay_alu instid0(VALU_DEP_1) | instskip(NEXT) | instid1(VALU_DEP_1)
	v_fma_f32 v11, v12, v11, -v13
	v_add_f32_e32 v11, 0xbdf8cdce, v11
	s_delay_alu instid0(VALU_DEP_1)
	v_add_f32_e32 v9, v9, v11
.LBB13_238:                             ;   in Loop: Header=BB13_177 Depth=1
	s_or_b32 exec_lo, exec_lo, s0
                                        ; implicit-def: $vgpr12
                                        ; implicit-def: $vgpr11
.LBB13_239:                             ;   in Loop: Header=BB13_177 Depth=1
	s_and_not1_saveexec_b32 s1, s1
	s_cbranch_execz .LBB13_243
; %bb.240:                              ;   in Loop: Header=BB13_177 Depth=1
	s_mov_b32 s4, exec_lo
	v_cmpx_eq_u32_e32 0, v12
	s_cbranch_execz .LBB13_242
; %bb.241:                              ;   in Loop: Header=BB13_177 Depth=1
	v_mul_f32_e32 v12, v11, v11
	s_delay_alu instid0(VALU_DEP_1) | instskip(NEXT) | instid1(VALU_DEP_1)
	v_fmaak_f32 v14, s20, v12, 0x39679767
	v_fmaak_f32 v14, v12, v14, 0x3a9c54a1
	s_delay_alu instid0(VALU_DEP_1) | instskip(NEXT) | instid1(VALU_DEP_1)
	v_fmaak_f32 v14, v12, v14, 0x3bf2027e
	v_fmaak_f32 v14, v12, v14, 0x3d89f001
	s_delay_alu instid0(VALU_DEP_1) | instskip(SKIP_1) | instid1(VALU_DEP_1)
	v_fmaak_f32 v14, v12, v14, 0x3d9e233f
	v_fmaak_f32 v13, s15, v12, 0x38e28445
	;; [unrolled: 1-line block ×3, first 2 shown]
	s_delay_alu instid0(VALU_DEP_1) | instskip(NEXT) | instid1(VALU_DEP_1)
	v_fmaak_f32 v13, v12, v13, 0x3b3d6ec6
	v_fmaak_f32 v13, v12, v13, 0x3ca89915
	s_delay_alu instid0(VALU_DEP_1) | instskip(NEXT) | instid1(VALU_DEP_1)
	v_fmaak_f32 v13, v12, v13, 0x3ea51a66
	v_mul_f32_e32 v12, v12, v13
	s_delay_alu instid0(VALU_DEP_1) | instskip(NEXT) | instid1(VALU_DEP_1)
	v_fmac_f32_e32 v12, v11, v14
	v_fmac_f32_e32 v12, -0.5, v11
	s_delay_alu instid0(VALU_DEP_1)
	v_add_f32_e32 v9, v9, v12
.LBB13_242:                             ;   in Loop: Header=BB13_177 Depth=1
	s_or_b32 exec_lo, exec_lo, s4
.LBB13_243:                             ;   in Loop: Header=BB13_177 Depth=1
	s_delay_alu instid0(SALU_CYCLE_1)
	s_or_b32 exec_lo, exec_lo, s1
.LBB13_244:                             ;   in Loop: Header=BB13_177 Depth=1
	s_delay_alu instid0(SALU_CYCLE_1)
	s_or_b32 exec_lo, exec_lo, s3
.LBB13_245:                             ;   in Loop: Header=BB13_177 Depth=1
	s_and_not1_saveexec_b32 s1, s2
	s_cbranch_execz .LBB13_247
; %bb.246:                              ;   in Loop: Header=BB13_177 Depth=1
	v_cmp_gt_f32_e64 s2, 0x800000, |v1|
	v_fma_f32 v13, |v1|, s16, 0xbecd26ab
	s_delay_alu instid0(VALU_DEP_2) | instskip(NEXT) | instid1(VALU_DEP_1)
	v_cndmask_b32_e64 v9, 1.0, 0x4f800000, s2
	v_mul_f32_e64 v9, |v1|, v9
	s_delay_alu instid0(VALU_DEP_1) | instskip(SKIP_3) | instid1(VALU_DEP_2)
	v_log_f32_e32 v9, v9
	s_waitcnt_depctr 0xfff
	v_mul_f32_e32 v11, 0x3f317217, v9
	v_cmp_gt_f32_e64 s0, 0x7f800000, |v9|
	v_fma_f32 v12, 0x3f317217, v9, -v11
	s_delay_alu instid0(VALU_DEP_1) | instskip(NEXT) | instid1(VALU_DEP_1)
	v_fmac_f32_e32 v12, 0x3377d1cf, v9
	v_add_f32_e32 v11, v11, v12
	v_fma_f32 v12, |v1|, v13, 0x3f528d33
	s_delay_alu instid0(VALU_DEP_2) | instskip(SKIP_1) | instid1(VALU_DEP_3)
	v_cndmask_b32_e64 v9, v9, v11, s0
	v_cndmask_b32_e64 v11, 0, 0x41b17218, s2
	v_fma_f32 v12, |v1|, v12, 0xbf13c468
	s_delay_alu instid0(VALU_DEP_2) | instskip(NEXT) | instid1(VALU_DEP_1)
	v_sub_f32_e32 v9, v9, v11
	v_fma_f32 v9, |v1|, v12, -v9
.LBB13_247:                             ;   in Loop: Header=BB13_177 Depth=1
	s_or_b32 exec_lo, exec_lo, s1
	v_cmp_le_f32_e64 s0, 0, v1
	s_mov_b32 s2, exec_lo
	v_cmpx_nle_f32_e32 0, v1
	s_xor_b32 s3, exec_lo, s2
	s_cbranch_execz .LBB13_251
; %bb.248:                              ;   in Loop: Header=BB13_177 Depth=1
	v_cmp_gt_f32_e64 s1, 0x4b000000, |v1|
	v_cmp_lt_f32_e64 s2, 0x35000000, |v1|
	s_delay_alu instid0(VALU_DEP_1) | instskip(NEXT) | instid1(SALU_CYCLE_1)
	s_and_b32 s1, s1, s2
	s_and_saveexec_b32 s4, s1
	s_cbranch_execz .LBB13_250
; %bb.249:                              ;   in Loop: Header=BB13_177 Depth=1
	v_mul_f32_e64 v11, |v1|, 0.5
	v_xor_b32_e32 v10, v10, v1
	s_delay_alu instid0(VALU_DEP_2) | instskip(SKIP_1) | instid1(VALU_DEP_2)
	v_floor_f32_e32 v12, v11
	v_cmp_neq_f32_e64 s1, 0x7f800000, v11
	v_sub_f32_e32 v12, v11, v12
	s_delay_alu instid0(VALU_DEP_1) | instskip(NEXT) | instid1(VALU_DEP_1)
	v_min_f32_e32 v12, 0x3f7fffff, v12
	v_add_f32_e32 v12, v12, v12
	s_delay_alu instid0(VALU_DEP_1) | instskip(SKIP_1) | instid1(VALU_DEP_1)
	v_cndmask_b32_e64 v11, 0, v12, s1
	v_cmp_gt_f32_e64 s1, |v1|, 1.0
	v_cndmask_b32_e64 v11, |v1|, v11, s1
	s_delay_alu instid0(VALU_DEP_1) | instskip(NEXT) | instid1(VALU_DEP_1)
	v_add_f32_e32 v12, v11, v11
	v_rndne_f32_e32 v12, v12
	s_delay_alu instid0(VALU_DEP_1) | instskip(SKIP_1) | instid1(VALU_DEP_2)
	v_fmac_f32_e32 v11, -0.5, v12
	v_cvt_i32_f32_e32 v12, v12
	v_mul_f32_e32 v13, v11, v11
	s_delay_alu instid0(VALU_DEP_1) | instskip(SKIP_1) | instid1(VALU_DEP_2)
	v_fmaak_f32 v14, s17, v13, 0xbf1f24be
	v_fmaak_f32 v15, s22, v13, 0x3e642e9d
	;; [unrolled: 1-line block ×3, first 2 shown]
	s_delay_alu instid0(VALU_DEP_2) | instskip(NEXT) | instid1(VALU_DEP_2)
	v_dual_fmaak_f32 v15, v13, v15, 0xbfaad1da :: v_dual_mul_f32 v16, v11, v13
	v_fmaak_f32 v14, v13, v14, 0xc0a55e0e
	s_delay_alu instid0(VALU_DEP_1) | instskip(NEXT) | instid1(VALU_DEP_1)
	v_dual_fmaak_f32 v15, v13, v15, 0x4081e0d3 :: v_dual_mul_f32 v14, v16, v14
	v_dual_fmaak_f32 v15, v13, v15, 0xc09de9e6 :: v_dual_and_b32 v16, 1, v12
	v_lshlrev_b32_e32 v12, 30, v12
	s_delay_alu instid0(VALU_DEP_3) | instskip(NEXT) | instid1(VALU_DEP_3)
	v_fmac_f32_e32 v14, 0x40490fdb, v11
	v_fma_f32 v11, v13, v15, 1.0
	s_delay_alu instid0(VALU_DEP_4) | instskip(NEXT) | instid1(VALU_DEP_4)
	v_cmp_eq_u32_e64 s1, 0, v16
	v_and_b32_e32 v12, 0x80000000, v12
	s_delay_alu instid0(VALU_DEP_2) | instskip(NEXT) | instid1(VALU_DEP_1)
	v_cndmask_b32_e64 v11, v11, v14, s1
	v_xor3_b32 v10, v10, v12, v11
	s_delay_alu instid0(VALU_DEP_1) | instskip(NEXT) | instid1(VALU_DEP_1)
	v_mul_f32_e32 v10, v1, v10
	v_frexp_mant_f32_e64 v11, |v10|
	v_frexp_exp_i32_f32_e32 v10, v10
	s_delay_alu instid0(VALU_DEP_2) | instskip(NEXT) | instid1(VALU_DEP_1)
	v_rcp_f32_e32 v11, v11
	v_sub_nc_u32_e32 v10, 2, v10
	s_waitcnt_depctr 0xfff
	v_mul_f32_e32 v11, 0x3f490fdb, v11
	s_delay_alu instid0(VALU_DEP_1) | instskip(NEXT) | instid1(VALU_DEP_1)
	v_ldexp_f32 v10, v11, v10
	v_cmp_gt_f32_e64 s1, 0x800000, v10
	s_delay_alu instid0(VALU_DEP_1) | instskip(NEXT) | instid1(VALU_DEP_1)
	v_cndmask_b32_e64 v11, 1.0, 0x4f800000, s1
	v_mul_f32_e32 v10, v10, v11
	s_delay_alu instid0(VALU_DEP_1) | instskip(SKIP_3) | instid1(VALU_DEP_2)
	v_log_f32_e32 v10, v10
	s_waitcnt_depctr 0xfff
	v_mul_f32_e32 v11, 0x3f317217, v10
	v_cmp_gt_f32_e64 s2, 0x7f800000, |v10|
	v_fma_f32 v12, 0x3f317217, v10, -v11
	s_delay_alu instid0(VALU_DEP_1) | instskip(NEXT) | instid1(VALU_DEP_1)
	v_fmac_f32_e32 v12, 0x3377d1cf, v10
	v_add_f32_e32 v11, v11, v12
	v_floor_f32_e32 v12, v1
	s_delay_alu instid0(VALU_DEP_2) | instskip(SKIP_1) | instid1(VALU_DEP_3)
	v_cndmask_b32_e64 v10, v10, v11, s2
	v_cndmask_b32_e64 v11, 0, 0x41b17218, s1
	v_sub_f32_e32 v12, v1, v12
	s_delay_alu instid0(VALU_DEP_1) | instskip(NEXT) | instid1(VALU_DEP_1)
	v_dual_sub_f32 v10, v10, v11 :: v_dual_min_f32 v11, 0x3f7fffff, v12
	v_sub_f32_e32 v9, v10, v9
	s_delay_alu instid0(VALU_DEP_2) | instskip(NEXT) | instid1(VALU_DEP_1)
	v_cmp_neq_f32_e64 s1, 0, v11
	v_cndmask_b32_e64 v9, 0x7f800000, v9, s1
.LBB13_250:                             ;   in Loop: Header=BB13_177 Depth=1
	s_or_b32 exec_lo, exec_lo, s4
.LBB13_251:                             ;   in Loop: Header=BB13_177 Depth=1
	s_and_not1_saveexec_b32 s3, s3
; %bb.252:                              ;   in Loop: Header=BB13_177 Depth=1
	v_cmp_eq_f32_e64 s1, 1.0, v1
	v_cmp_eq_f32_e64 s2, 2.0, v1
	s_delay_alu instid0(VALU_DEP_1) | instskip(NEXT) | instid1(SALU_CYCLE_1)
	s_or_b32 s1, s1, s2
	v_cndmask_b32_e64 v9, v9, 0, s1
; %bb.253:                              ;   in Loop: Header=BB13_177 Depth=1
	s_or_b32 exec_lo, exec_lo, s3
	v_and_b32_e32 v11, 0x7fffffff, v2
                                        ; implicit-def: $vgpr10
	s_mov_b32 s2, exec_lo
	v_cmpx_ngt_f32_e64 0x3c800000, |v2|
	s_xor_b32 s3, exec_lo, s2
	s_cbranch_execz .LBB13_283
; %bb.254:                              ;   in Loop: Header=BB13_177 Depth=1
                                        ; implicit-def: $vgpr10
	s_mov_b32 s2, exec_lo
	v_cmpx_nlt_f32_e64 |v2|, 2.0
	s_xor_b32 s4, exec_lo, s2
	s_cbranch_execz .LBB13_264
; %bb.255:                              ;   in Loop: Header=BB13_177 Depth=1
	s_mov_b32 s2, exec_lo
                                        ; implicit-def: $vgpr10
	v_cmpx_ngt_f32_e64 0x41000000, |v2|
	s_xor_b32 s2, exec_lo, s2
	s_cbranch_execz .LBB13_261
; %bb.256:                              ;   in Loop: Header=BB13_177 Depth=1
	s_mov_b32 s23, exec_lo
                                        ; implicit-def: $vgpr10
	v_cmpx_ngt_f32_e64 0x5c800000, |v2|
	s_xor_b32 s23, exec_lo, s23
	s_cbranch_execz .LBB13_258
; %bb.257:                              ;   in Loop: Header=BB13_177 Depth=1
	v_cmp_gt_f32_e64 s24, 0x800000, |v2|
	s_delay_alu instid0(VALU_DEP_1) | instskip(NEXT) | instid1(VALU_DEP_1)
	v_cndmask_b32_e64 v10, 1.0, 0x4f800000, s24
	v_mul_f32_e64 v10, |v2|, v10
	s_delay_alu instid0(VALU_DEP_1) | instskip(SKIP_3) | instid1(VALU_DEP_2)
	v_log_f32_e32 v10, v10
	s_waitcnt_depctr 0xfff
	v_mul_f32_e32 v12, 0x3f317217, v10
	v_cmp_gt_f32_e64 s1, 0x7f800000, |v10|
	v_fma_f32 v13, 0x3f317217, v10, -v12
	s_delay_alu instid0(VALU_DEP_1) | instskip(NEXT) | instid1(VALU_DEP_1)
	v_fmac_f32_e32 v13, 0x3377d1cf, v10
	v_add_f32_e32 v12, v12, v13
	s_delay_alu instid0(VALU_DEP_1) | instskip(SKIP_1) | instid1(VALU_DEP_1)
	v_cndmask_b32_e64 v10, v10, v12, s1
	v_cndmask_b32_e64 v12, 0, 0x41b17218, s24
	v_sub_f32_e32 v10, v10, v12
	s_delay_alu instid0(VALU_DEP_1)
	v_fma_f32 v10, |v2|, v10, -|v2|
.LBB13_258:                             ;   in Loop: Header=BB13_177 Depth=1
	s_and_not1_saveexec_b32 s23, s23
	s_cbranch_execz .LBB13_260
; %bb.259:                              ;   in Loop: Header=BB13_177 Depth=1
	v_cmp_gt_f32_e64 s24, 0x800000, |v2|
	v_rcp_f32_e64 v12, |v2|
	s_delay_alu instid0(VALU_DEP_1) | instskip(NEXT) | instid1(VALU_DEP_1)
	v_cndmask_b32_e64 v10, 1.0, 0x4f800000, s24
	v_mul_f32_e64 v10, |v2|, v10
	s_delay_alu instid0(VALU_DEP_1) | instskip(SKIP_3) | instid1(VALU_DEP_2)
	v_log_f32_e32 v10, v10
	s_waitcnt_depctr 0xfff
	v_dual_mul_f32 v13, v12, v12 :: v_dual_mul_f32 v14, 0x3f317217, v10
	v_cmp_gt_f32_e64 s1, 0x7f800000, |v10|
	v_fma_f32 v16, 0x3f317217, v10, -v14
	s_delay_alu instid0(VALU_DEP_1) | instskip(NEXT) | instid1(VALU_DEP_1)
	v_fmac_f32_e32 v16, 0x3377d1cf, v10
	v_dual_fmaak_f32 v15, s6, v13, 0x3a5b3dd2 :: v_dual_add_f32 v14, v14, v16
	s_delay_alu instid0(VALU_DEP_1) | instskip(SKIP_1) | instid1(VALU_DEP_1)
	v_cndmask_b32_e64 v10, v10, v14, s1
	v_cndmask_b32_e64 v14, 0, 0x41b17218, s24
	v_dual_fmaak_f32 v15, v13, v15, 0xba1c065c :: v_dual_sub_f32 v14, v10, v14
	s_delay_alu instid0(VALU_DEP_1) | instskip(NEXT) | instid1(VALU_DEP_1)
	v_fmaak_f32 v15, v13, v15, 0x3a500cfd
	v_fmaak_f32 v15, v13, v15, 0xbb360b61
	s_delay_alu instid0(VALU_DEP_1) | instskip(NEXT) | instid1(VALU_DEP_1)
	v_fmaak_f32 v13, v13, v15, 0x3daaaaab
	v_dual_fmaak_f32 v10, v12, v13, 0x3ed67f1d :: v_dual_add_f32 v13, -1.0, v14
	v_add_f32_e64 v12, |v2|, -0.5
	s_delay_alu instid0(VALU_DEP_1)
	v_fmac_f32_e32 v10, v12, v13
.LBB13_260:                             ;   in Loop: Header=BB13_177 Depth=1
	s_or_b32 exec_lo, exec_lo, s23
.LBB13_261:                             ;   in Loop: Header=BB13_177 Depth=1
	s_and_not1_saveexec_b32 s23, s2
	s_cbranch_execz .LBB13_263
; %bb.262:                              ;   in Loop: Header=BB13_177 Depth=1
	v_cvt_i32_f32_e32 v10, v11
	s_delay_alu instid0(VALU_DEP_1) | instskip(SKIP_1) | instid1(VALU_DEP_2)
	v_cvt_f32_i32_e32 v12, v10
	v_cmp_lt_i32_e64 s1, 2, v10
	v_sub_f32_e64 v12, |v2|, v12
	s_delay_alu instid0(VALU_DEP_1) | instskip(SKIP_2) | instid1(VALU_DEP_3)
	v_add_f32_e32 v13, 2.0, v12
	v_add_f32_e32 v14, 0x40400000, v12
	v_add_f32_e32 v15, 4.0, v12
	v_cndmask_b32_e64 v13, 1.0, v13, s1
	v_cmp_lt_i32_e64 s1, 3, v10
	s_delay_alu instid0(VALU_DEP_1) | instskip(SKIP_1) | instid1(VALU_DEP_2)
	v_cndmask_b32_e64 v14, 1.0, v14, s1
	v_cmp_lt_i32_e64 s1, 4, v10
	v_dual_add_f32 v16, 0x40a00000, v12 :: v_dual_mul_f32 v13, v13, v14
	s_delay_alu instid0(VALU_DEP_2) | instskip(SKIP_1) | instid1(VALU_DEP_2)
	v_cndmask_b32_e64 v15, 1.0, v15, s1
	v_cmp_lt_i32_e64 s1, 5, v10
	v_mul_f32_e32 v13, v15, v13
	s_delay_alu instid0(VALU_DEP_2) | instskip(SKIP_3) | instid1(VALU_DEP_4)
	v_cndmask_b32_e64 v16, 1.0, v16, s1
	v_add_f32_e32 v14, 0x40c00000, v12
	v_cmp_lt_i32_e64 s1, 6, v10
	v_fmaak_f32 v15, s7, v12, 0x3af135b4
	v_mul_f32_e32 v13, v16, v13
	s_delay_alu instid0(VALU_DEP_3) | instskip(NEXT) | instid1(VALU_DEP_1)
	v_cndmask_b32_e64 v10, 1.0, v14, s1
	v_mul_f32_e32 v10, v10, v13
	s_delay_alu instid0(VALU_DEP_1) | instskip(NEXT) | instid1(VALU_DEP_1)
	v_cmp_gt_f32_e64 s1, 0x800000, v10
	v_cndmask_b32_e64 v14, 1.0, 0x4f800000, s1
	s_delay_alu instid0(VALU_DEP_1) | instskip(SKIP_1) | instid1(VALU_DEP_2)
	v_mul_f32_e32 v10, v10, v14
	v_fmaak_f32 v14, v12, v15, 0x3cda40e4
	v_log_f32_e32 v10, v10
	s_waitcnt_depctr 0xfff
	v_mul_f32_e32 v15, 0x3f317217, v10
	v_cmp_gt_f32_e64 s2, 0x7f800000, |v10|
	s_delay_alu instid0(VALU_DEP_2) | instskip(NEXT) | instid1(VALU_DEP_1)
	v_fma_f32 v16, 0x3f317217, v10, -v15
	v_fmac_f32_e32 v16, 0x3377d1cf, v10
	s_delay_alu instid0(VALU_DEP_1) | instskip(NEXT) | instid1(VALU_DEP_1)
	v_dual_add_f32 v15, v15, v16 :: v_dual_fmaak_f32 v14, v12, v14, 0x3e15dce6
	v_cndmask_b32_e64 v10, v10, v15, s2
	s_delay_alu instid0(VALU_DEP_2) | instskip(NEXT) | instid1(VALU_DEP_1)
	v_fmaak_f32 v14, v12, v14, 0x3ea6cc7a
	v_fmaak_f32 v14, v12, v14, 0x3e5c245a
	s_delay_alu instid0(VALU_DEP_1) | instskip(NEXT) | instid1(VALU_DEP_1)
	v_fmaak_f32 v14, v12, v14, 0xbd9e233f
	v_dual_fmaak_f32 v13, s8, v12, 0x3a4beed6 :: v_dual_mul_f32 v14, v12, v14
	s_delay_alu instid0(VALU_DEP_1) | instskip(NEXT) | instid1(VALU_DEP_1)
	v_fmaak_f32 v13, v12, v13, 0x3c98bf54
	v_fmaak_f32 v13, v12, v13, 0x3e300f6e
	s_delay_alu instid0(VALU_DEP_1) | instskip(NEXT) | instid1(VALU_DEP_1)
	v_fmaak_f32 v13, v12, v13, 0x3f38d0c5
	v_fmaak_f32 v13, v12, v13, 0x3fb22d3b
	s_delay_alu instid0(VALU_DEP_1) | instskip(NEXT) | instid1(VALU_DEP_1)
	v_fma_f32 v13, v12, v13, 1.0
	v_rcp_f32_e32 v13, v13
	s_waitcnt_depctr 0xfff
	v_mul_f32_e32 v13, v14, v13
	v_cndmask_b32_e64 v14, 0, 0x41b17218, s1
	s_delay_alu instid0(VALU_DEP_1) | instskip(NEXT) | instid1(VALU_DEP_1)
	v_dual_fmac_f32 v13, 0.5, v12 :: v_dual_sub_f32 v10, v10, v14
	v_add_f32_e32 v10, v10, v13
.LBB13_263:                             ;   in Loop: Header=BB13_177 Depth=1
	s_or_b32 exec_lo, exec_lo, s23
.LBB13_264:                             ;   in Loop: Header=BB13_177 Depth=1
	s_and_not1_saveexec_b32 s4, s4
	s_cbranch_execz .LBB13_282
; %bb.265:                              ;   in Loop: Header=BB13_177 Depth=1
                                        ; implicit-def: $vgpr10
                                        ; implicit-def: $vgpr13
                                        ; implicit-def: $vgpr12
	s_mov_b32 s2, exec_lo
	v_cmpx_ge_f32_e64 0x3f666666, |v2|
	s_xor_b32 s23, exec_lo, s2
	s_cbranch_execz .LBB13_267
; %bb.266:                              ;   in Loop: Header=BB13_177 Depth=1
	v_cmp_gt_f32_e64 s2, 0x800000, |v2|
	v_sub_f32_e64 v14, 1.0, |v2|
	v_cmp_gt_f32_e64 s1, 0x3f3b4a23, |v2|
	s_delay_alu instid0(VALU_DEP_3) | instskip(SKIP_1) | instid1(VALU_DEP_2)
	v_cndmask_b32_e64 v10, 1.0, 0x4f800000, s2
	v_cndmask_b32_e64 v15, 0, 0x41b17218, s2
	v_mul_f32_e64 v10, |v2|, v10
	s_delay_alu instid0(VALU_DEP_1) | instskip(SKIP_3) | instid1(VALU_DEP_2)
	v_log_f32_e32 v10, v10
	s_waitcnt_depctr 0xfff
	v_mul_f32_e32 v12, 0x3f317217, v10
	v_cmp_gt_f32_e64 s2, 0x7f800000, |v10|
	v_fma_f32 v13, 0x3f317217, v10, -v12
	s_delay_alu instid0(VALU_DEP_1) | instskip(NEXT) | instid1(VALU_DEP_1)
	v_fmac_f32_e32 v13, 0x3377d1cf, v10
	v_add_f32_e32 v12, v12, v13
	v_add_f32_e64 v13, 0xbeec5b0c, |v2|
	s_delay_alu instid0(VALU_DEP_2) | instskip(NEXT) | instid1(VALU_DEP_2)
	v_cndmask_b32_e64 v10, v10, v12, s2
	v_cndmask_b32_e64 v12, v14, v13, s1
	;; [unrolled: 1-line block ×3, first 2 shown]
	v_cmp_gt_f32_e64 s1, 0x3e6d3309, |v2|
	s_delay_alu instid0(VALU_DEP_4) | instskip(NEXT) | instid1(VALU_DEP_2)
	v_sub_f32_e32 v10, v10, v15
	v_cndmask_b32_e64 v12, v12, |v2|, s1
	s_delay_alu instid0(VALU_DEP_4) | instskip(NEXT) | instid1(VALU_DEP_3)
	v_cndmask_b32_e64 v13, v13, 2, s1
	v_xor_b32_e32 v10, 0x80000000, v10
.LBB13_267:                             ;   in Loop: Header=BB13_177 Depth=1
	s_and_not1_saveexec_b32 s2, s23
; %bb.268:                              ;   in Loop: Header=BB13_177 Depth=1
	v_sub_f32_e64 v10, 2.0, |v2|
	v_add_f32_e64 v12, 0xbfbb16c3, |v2|
	v_cmp_gt_f32_e64 s1, 0x3fdda512, |v2|
	v_add_f32_e64 v13, |v2|, -1.0
	s_delay_alu instid0(VALU_DEP_2) | instskip(SKIP_2) | instid1(VALU_DEP_2)
	v_cndmask_b32_e64 v12, v10, v12, s1
	v_cndmask_b32_e64 v10, v10, 1.0, s1
	v_cmp_gt_f32_e64 s1, 0x3f9d70a4, |v2|
	v_cvt_i32_f32_e32 v10, v10
	s_delay_alu instid0(VALU_DEP_2) | instskip(NEXT) | instid1(VALU_DEP_2)
	v_cndmask_b32_e64 v12, v12, v13, s1
	v_cndmask_b32_e64 v13, v10, 2, s1
	v_mov_b32_e32 v10, 0
; %bb.269:                              ;   in Loop: Header=BB13_177 Depth=1
	s_or_b32 exec_lo, exec_lo, s2
	s_delay_alu instid0(SALU_CYCLE_1) | instskip(NEXT) | instid1(VALU_DEP_2)
	s_mov_b32 s2, exec_lo
	v_cmpx_lt_i32_e32 0, v13
	s_xor_b32 s2, exec_lo, s2
	s_cbranch_execz .LBB13_277
; %bb.270:                              ;   in Loop: Header=BB13_177 Depth=1
	s_mov_b32 s23, exec_lo
	v_cmpx_lt_i32_e32 1, v13
	s_xor_b32 s23, exec_lo, s23
	s_cbranch_execz .LBB13_274
; %bb.271:                              ;   in Loop: Header=BB13_177 Depth=1
	s_mov_b32 s24, exec_lo
	v_cmpx_eq_u32_e32 2, v13
	s_cbranch_execz .LBB13_273
; %bb.272:                              ;   in Loop: Header=BB13_177 Depth=1
	v_fmaak_f32 v14, s9, v12, 0x3e6a7578
	s_delay_alu instid0(VALU_DEP_1) | instskip(NEXT) | instid1(VALU_DEP_1)
	v_fmaak_f32 v14, v12, v14, 0x3f7a4bb2
	v_fmaak_f32 v14, v12, v14, 0x3fba3ae7
	s_delay_alu instid0(VALU_DEP_1) | instskip(NEXT) | instid1(VALU_DEP_1)
	v_fmaak_f32 v14, v12, v14, 0x3f2200f4
	v_fmaak_f32 v14, v12, v14, 0xbd9e233f
	s_delay_alu instid0(VALU_DEP_1) | instskip(NEXT) | instid1(VALU_DEP_1)
	v_dual_fmaak_f32 v13, s10, v12, 0x3dd572af :: v_dual_mul_f32 v14, v12, v14
	v_fmaak_f32 v13, v12, v13, 0x3f44efdf
	s_delay_alu instid0(VALU_DEP_1) | instskip(NEXT) | instid1(VALU_DEP_1)
	v_fmaak_f32 v13, v12, v13, 0x4008392d
	v_fmaak_f32 v13, v12, v13, 0x401d2ebe
	s_delay_alu instid0(VALU_DEP_1) | instskip(NEXT) | instid1(VALU_DEP_1)
	v_fma_f32 v13, v12, v13, 1.0
	v_rcp_f32_e32 v13, v13
	s_waitcnt_depctr 0xfff
	v_mul_f32_e32 v13, v14, v13
	s_delay_alu instid0(VALU_DEP_1) | instskip(NEXT) | instid1(VALU_DEP_1)
	v_fmac_f32_e32 v13, -0.5, v12
	v_add_f32_e32 v10, v10, v13
.LBB13_273:                             ;   in Loop: Header=BB13_177 Depth=1
	s_or_b32 exec_lo, exec_lo, s24
                                        ; implicit-def: $vgpr12
.LBB13_274:                             ;   in Loop: Header=BB13_177 Depth=1
	s_and_not1_saveexec_b32 s1, s23
	s_cbranch_execz .LBB13_276
; %bb.275:                              ;   in Loop: Header=BB13_177 Depth=1
	v_mul_f32_e32 v13, v12, v12
	s_delay_alu instid0(VALU_DEP_1) | instskip(NEXT) | instid1(VALU_DEP_1)
	v_mul_f32_e32 v14, v12, v13
	v_fmaak_f32 v16, s19, v14, 0xba0d3085
	v_fmaak_f32 v15, s18, v14, 0x3a66f867
	v_fmaak_f32 v17, s11, v14, 0xbab7f476
	s_delay_alu instid0(VALU_DEP_3) | instskip(NEXT) | instid1(VALU_DEP_3)
	v_fmaak_f32 v16, v14, v16, 0x3b141699
	v_fmaak_f32 v15, v14, v15, 0xbb7177fe
	s_delay_alu instid0(VALU_DEP_3) | instskip(NEXT) | instid1(VALU_DEP_3)
	v_fmaak_f32 v17, v14, v17, 0x3bc7e707
	v_fmaak_f32 v16, v14, v16, 0xbc28fcfe
	;; [unrolled: 3-line block ×4, first 2 shown]
	s_delay_alu instid0(VALU_DEP_1) | instskip(NEXT) | instid1(VALU_DEP_1)
	v_dual_fmac_f32 v15, v12, v16 :: v_dual_fmaak_f32 v12, v14, v17, 0x3ef7b95e
	v_fma_f32 v14, v14, -v15, 0xa2863e55
	s_delay_alu instid0(VALU_DEP_1) | instskip(NEXT) | instid1(VALU_DEP_1)
	v_fma_f32 v12, v13, v12, -v14
	v_add_f32_e32 v12, 0xbdf8cdce, v12
	s_delay_alu instid0(VALU_DEP_1)
	v_add_f32_e32 v10, v10, v12
.LBB13_276:                             ;   in Loop: Header=BB13_177 Depth=1
	s_or_b32 exec_lo, exec_lo, s1
                                        ; implicit-def: $vgpr13
                                        ; implicit-def: $vgpr12
.LBB13_277:                             ;   in Loop: Header=BB13_177 Depth=1
	s_and_not1_saveexec_b32 s2, s2
	s_cbranch_execz .LBB13_281
; %bb.278:                              ;   in Loop: Header=BB13_177 Depth=1
	s_mov_b32 s23, exec_lo
	v_cmpx_eq_u32_e32 0, v13
	s_cbranch_execz .LBB13_280
; %bb.279:                              ;   in Loop: Header=BB13_177 Depth=1
	v_mul_f32_e32 v13, v12, v12
	s_delay_alu instid0(VALU_DEP_1) | instskip(NEXT) | instid1(VALU_DEP_1)
	v_fmaak_f32 v15, s20, v13, 0x39679767
	v_fmaak_f32 v15, v13, v15, 0x3a9c54a1
	s_delay_alu instid0(VALU_DEP_1) | instskip(NEXT) | instid1(VALU_DEP_1)
	v_fmaak_f32 v15, v13, v15, 0x3bf2027e
	v_fmaak_f32 v15, v13, v15, 0x3d89f001
	s_delay_alu instid0(VALU_DEP_1) | instskip(SKIP_1) | instid1(VALU_DEP_1)
	v_fmaak_f32 v15, v13, v15, 0x3d9e233f
	v_fmaak_f32 v14, s15, v13, 0x38e28445
	;; [unrolled: 1-line block ×3, first 2 shown]
	s_delay_alu instid0(VALU_DEP_1) | instskip(NEXT) | instid1(VALU_DEP_1)
	v_fmaak_f32 v14, v13, v14, 0x3b3d6ec6
	v_fmaak_f32 v14, v13, v14, 0x3ca89915
	s_delay_alu instid0(VALU_DEP_1) | instskip(NEXT) | instid1(VALU_DEP_1)
	v_fmaak_f32 v14, v13, v14, 0x3ea51a66
	v_mul_f32_e32 v13, v13, v14
	s_delay_alu instid0(VALU_DEP_1) | instskip(NEXT) | instid1(VALU_DEP_1)
	v_fmac_f32_e32 v13, v12, v15
	v_fmac_f32_e32 v13, -0.5, v12
	s_delay_alu instid0(VALU_DEP_1)
	v_add_f32_e32 v10, v10, v13
.LBB13_280:                             ;   in Loop: Header=BB13_177 Depth=1
	s_or_b32 exec_lo, exec_lo, s23
.LBB13_281:                             ;   in Loop: Header=BB13_177 Depth=1
	s_delay_alu instid0(SALU_CYCLE_1)
	s_or_b32 exec_lo, exec_lo, s2
.LBB13_282:                             ;   in Loop: Header=BB13_177 Depth=1
	s_delay_alu instid0(SALU_CYCLE_1)
	s_or_b32 exec_lo, exec_lo, s4
.LBB13_283:                             ;   in Loop: Header=BB13_177 Depth=1
	s_and_not1_saveexec_b32 s2, s3
	s_cbranch_execz .LBB13_285
; %bb.284:                              ;   in Loop: Header=BB13_177 Depth=1
	v_cmp_gt_f32_e64 s3, 0x800000, |v2|
	v_fma_f32 v14, |v2|, s16, 0xbecd26ab
	s_delay_alu instid0(VALU_DEP_2) | instskip(NEXT) | instid1(VALU_DEP_1)
	v_cndmask_b32_e64 v10, 1.0, 0x4f800000, s3
	v_mul_f32_e64 v10, |v2|, v10
	s_delay_alu instid0(VALU_DEP_1) | instskip(SKIP_3) | instid1(VALU_DEP_2)
	v_log_f32_e32 v10, v10
	s_waitcnt_depctr 0xfff
	v_mul_f32_e32 v12, 0x3f317217, v10
	v_cmp_gt_f32_e64 s1, 0x7f800000, |v10|
	v_fma_f32 v13, 0x3f317217, v10, -v12
	s_delay_alu instid0(VALU_DEP_1) | instskip(NEXT) | instid1(VALU_DEP_1)
	v_fmac_f32_e32 v13, 0x3377d1cf, v10
	v_add_f32_e32 v12, v12, v13
	v_fma_f32 v13, |v2|, v14, 0x3f528d33
	s_delay_alu instid0(VALU_DEP_2) | instskip(SKIP_1) | instid1(VALU_DEP_3)
	v_cndmask_b32_e64 v10, v10, v12, s1
	v_cndmask_b32_e64 v12, 0, 0x41b17218, s3
	v_fma_f32 v13, |v2|, v13, 0xbf13c468
	s_delay_alu instid0(VALU_DEP_2) | instskip(NEXT) | instid1(VALU_DEP_1)
	v_sub_f32_e32 v10, v10, v12
	v_fma_f32 v10, |v2|, v13, -v10
.LBB13_285:                             ;   in Loop: Header=BB13_177 Depth=1
	s_or_b32 exec_lo, exec_lo, s2
	v_cmp_le_f32_e64 s1, 0, v2
	s_mov_b32 s3, exec_lo
	v_cmpx_nle_f32_e32 0, v2
	s_xor_b32 s4, exec_lo, s3
	s_cbranch_execz .LBB13_289
; %bb.286:                              ;   in Loop: Header=BB13_177 Depth=1
	v_cmp_gt_f32_e64 s2, 0x4b000000, |v2|
	v_cmp_lt_f32_e64 s3, 0x35000000, |v2|
	s_delay_alu instid0(VALU_DEP_1) | instskip(NEXT) | instid1(SALU_CYCLE_1)
	s_and_b32 s2, s2, s3
	s_and_saveexec_b32 s23, s2
	s_cbranch_execz .LBB13_288
; %bb.287:                              ;   in Loop: Header=BB13_177 Depth=1
	v_mul_f32_e64 v12, |v2|, 0.5
	v_xor_b32_e32 v11, v11, v2
	s_delay_alu instid0(VALU_DEP_2) | instskip(SKIP_1) | instid1(VALU_DEP_2)
	v_floor_f32_e32 v13, v12
	v_cmp_neq_f32_e64 s2, 0x7f800000, v12
	v_sub_f32_e32 v13, v12, v13
	s_delay_alu instid0(VALU_DEP_1) | instskip(NEXT) | instid1(VALU_DEP_1)
	v_min_f32_e32 v13, 0x3f7fffff, v13
	v_add_f32_e32 v13, v13, v13
	s_delay_alu instid0(VALU_DEP_1) | instskip(SKIP_1) | instid1(VALU_DEP_1)
	v_cndmask_b32_e64 v12, 0, v13, s2
	v_cmp_gt_f32_e64 s2, |v2|, 1.0
	v_cndmask_b32_e64 v12, |v2|, v12, s2
	s_delay_alu instid0(VALU_DEP_1) | instskip(NEXT) | instid1(VALU_DEP_1)
	v_add_f32_e32 v13, v12, v12
	v_rndne_f32_e32 v13, v13
	s_delay_alu instid0(VALU_DEP_1) | instskip(SKIP_1) | instid1(VALU_DEP_2)
	v_fmac_f32_e32 v12, -0.5, v13
	v_cvt_i32_f32_e32 v13, v13
	v_mul_f32_e32 v14, v12, v12
	s_delay_alu instid0(VALU_DEP_1) | instskip(SKIP_1) | instid1(VALU_DEP_2)
	v_fmaak_f32 v15, s17, v14, 0xbf1f24be
	v_fmaak_f32 v16, s22, v14, 0x3e642e9d
	;; [unrolled: 1-line block ×3, first 2 shown]
	s_delay_alu instid0(VALU_DEP_2) | instskip(NEXT) | instid1(VALU_DEP_2)
	v_dual_fmaak_f32 v16, v14, v16, 0xbfaad1da :: v_dual_mul_f32 v17, v12, v14
	v_fmaak_f32 v15, v14, v15, 0xc0a55e0e
	s_delay_alu instid0(VALU_DEP_1) | instskip(NEXT) | instid1(VALU_DEP_1)
	v_dual_fmaak_f32 v16, v14, v16, 0x4081e0d3 :: v_dual_mul_f32 v15, v17, v15
	v_dual_fmaak_f32 v16, v14, v16, 0xc09de9e6 :: v_dual_and_b32 v17, 1, v13
	v_lshlrev_b32_e32 v13, 30, v13
	s_delay_alu instid0(VALU_DEP_3) | instskip(NEXT) | instid1(VALU_DEP_3)
	v_fmac_f32_e32 v15, 0x40490fdb, v12
	v_fma_f32 v12, v14, v16, 1.0
	s_delay_alu instid0(VALU_DEP_4) | instskip(NEXT) | instid1(VALU_DEP_4)
	v_cmp_eq_u32_e64 s2, 0, v17
	v_and_b32_e32 v13, 0x80000000, v13
	s_delay_alu instid0(VALU_DEP_2) | instskip(NEXT) | instid1(VALU_DEP_1)
	v_cndmask_b32_e64 v12, v12, v15, s2
	v_xor3_b32 v11, v11, v13, v12
	s_delay_alu instid0(VALU_DEP_1) | instskip(NEXT) | instid1(VALU_DEP_1)
	v_mul_f32_e32 v11, v2, v11
	v_frexp_mant_f32_e64 v12, |v11|
	v_frexp_exp_i32_f32_e32 v11, v11
	s_delay_alu instid0(VALU_DEP_2) | instskip(NEXT) | instid1(VALU_DEP_1)
	v_rcp_f32_e32 v12, v12
	v_sub_nc_u32_e32 v11, 2, v11
	s_waitcnt_depctr 0xfff
	v_mul_f32_e32 v12, 0x3f490fdb, v12
	s_delay_alu instid0(VALU_DEP_1) | instskip(NEXT) | instid1(VALU_DEP_1)
	v_ldexp_f32 v11, v12, v11
	v_cmp_gt_f32_e64 s2, 0x800000, v11
	s_delay_alu instid0(VALU_DEP_1) | instskip(NEXT) | instid1(VALU_DEP_1)
	v_cndmask_b32_e64 v12, 1.0, 0x4f800000, s2
	v_mul_f32_e32 v11, v11, v12
	s_delay_alu instid0(VALU_DEP_1) | instskip(SKIP_3) | instid1(VALU_DEP_2)
	v_log_f32_e32 v11, v11
	s_waitcnt_depctr 0xfff
	v_mul_f32_e32 v12, 0x3f317217, v11
	v_cmp_gt_f32_e64 s3, 0x7f800000, |v11|
	v_fma_f32 v13, 0x3f317217, v11, -v12
	s_delay_alu instid0(VALU_DEP_1) | instskip(NEXT) | instid1(VALU_DEP_1)
	v_fmac_f32_e32 v13, 0x3377d1cf, v11
	v_add_f32_e32 v12, v12, v13
	v_floor_f32_e32 v13, v2
	s_delay_alu instid0(VALU_DEP_2) | instskip(SKIP_1) | instid1(VALU_DEP_3)
	v_cndmask_b32_e64 v11, v11, v12, s3
	v_cndmask_b32_e64 v12, 0, 0x41b17218, s2
	v_sub_f32_e32 v13, v2, v13
	s_delay_alu instid0(VALU_DEP_1) | instskip(NEXT) | instid1(VALU_DEP_1)
	v_dual_sub_f32 v11, v11, v12 :: v_dual_min_f32 v12, 0x3f7fffff, v13
	v_sub_f32_e32 v10, v11, v10
	s_delay_alu instid0(VALU_DEP_2) | instskip(NEXT) | instid1(VALU_DEP_1)
	v_cmp_neq_f32_e64 s2, 0, v12
	v_cndmask_b32_e64 v10, 0x7f800000, v10, s2
.LBB13_288:                             ;   in Loop: Header=BB13_177 Depth=1
	s_or_b32 exec_lo, exec_lo, s23
.LBB13_289:                             ;   in Loop: Header=BB13_177 Depth=1
	s_and_not1_saveexec_b32 s4, s4
; %bb.290:                              ;   in Loop: Header=BB13_177 Depth=1
	v_cmp_eq_f32_e64 s2, 1.0, v2
	v_cmp_eq_f32_e64 s3, 2.0, v2
	s_delay_alu instid0(VALU_DEP_1) | instskip(NEXT) | instid1(SALU_CYCLE_1)
	s_or_b32 s2, s2, s3
	v_cndmask_b32_e64 v10, v10, 0, s2
; %bb.291:                              ;   in Loop: Header=BB13_177 Depth=1
	s_or_b32 exec_lo, exec_lo, s4
	v_and_b32_e32 v11, 0x7fffffff, v3
                                        ; implicit-def: $vgpr12
	s_mov_b32 s3, exec_lo
	v_cmpx_ngt_f32_e64 0x3c800000, |v3|
	s_xor_b32 s4, exec_lo, s3
	s_cbranch_execz .LBB13_321
; %bb.292:                              ;   in Loop: Header=BB13_177 Depth=1
                                        ; implicit-def: $vgpr12
	s_mov_b32 s3, exec_lo
	v_cmpx_nlt_f32_e64 |v3|, 2.0
	s_xor_b32 s23, exec_lo, s3
	s_cbranch_execz .LBB13_302
; %bb.293:                              ;   in Loop: Header=BB13_177 Depth=1
	s_mov_b32 s3, exec_lo
                                        ; implicit-def: $vgpr12
	v_cmpx_ngt_f32_e64 0x41000000, |v3|
	s_xor_b32 s3, exec_lo, s3
	s_cbranch_execz .LBB13_299
; %bb.294:                              ;   in Loop: Header=BB13_177 Depth=1
	s_mov_b32 s24, exec_lo
                                        ; implicit-def: $vgpr12
	v_cmpx_ngt_f32_e64 0x5c800000, |v3|
	s_xor_b32 s24, exec_lo, s24
	s_cbranch_execz .LBB13_296
; %bb.295:                              ;   in Loop: Header=BB13_177 Depth=1
	v_cmp_gt_f32_e64 s25, 0x800000, |v3|
	s_delay_alu instid0(VALU_DEP_1) | instskip(NEXT) | instid1(VALU_DEP_1)
	v_cndmask_b32_e64 v12, 1.0, 0x4f800000, s25
	v_mul_f32_e64 v12, |v3|, v12
	s_delay_alu instid0(VALU_DEP_1) | instskip(SKIP_3) | instid1(VALU_DEP_2)
	v_log_f32_e32 v12, v12
	s_waitcnt_depctr 0xfff
	v_mul_f32_e32 v13, 0x3f317217, v12
	v_cmp_gt_f32_e64 s2, 0x7f800000, |v12|
	v_fma_f32 v14, 0x3f317217, v12, -v13
	s_delay_alu instid0(VALU_DEP_1) | instskip(NEXT) | instid1(VALU_DEP_1)
	v_fmac_f32_e32 v14, 0x3377d1cf, v12
	v_add_f32_e32 v13, v13, v14
	s_delay_alu instid0(VALU_DEP_1) | instskip(SKIP_1) | instid1(VALU_DEP_1)
	v_cndmask_b32_e64 v12, v12, v13, s2
	v_cndmask_b32_e64 v13, 0, 0x41b17218, s25
	v_sub_f32_e32 v12, v12, v13
	s_delay_alu instid0(VALU_DEP_1)
	v_fma_f32 v12, |v3|, v12, -|v3|
.LBB13_296:                             ;   in Loop: Header=BB13_177 Depth=1
	s_and_not1_saveexec_b32 s24, s24
	s_cbranch_execz .LBB13_298
; %bb.297:                              ;   in Loop: Header=BB13_177 Depth=1
	v_cmp_gt_f32_e64 s25, 0x800000, |v3|
	v_rcp_f32_e64 v13, |v3|
	s_delay_alu instid0(VALU_DEP_1) | instskip(NEXT) | instid1(VALU_DEP_1)
	v_cndmask_b32_e64 v12, 1.0, 0x4f800000, s25
	v_mul_f32_e64 v12, |v3|, v12
	s_delay_alu instid0(VALU_DEP_1) | instskip(SKIP_3) | instid1(VALU_DEP_2)
	v_log_f32_e32 v12, v12
	s_waitcnt_depctr 0xfff
	v_dual_mul_f32 v14, v13, v13 :: v_dual_mul_f32 v15, 0x3f317217, v12
	v_cmp_gt_f32_e64 s2, 0x7f800000, |v12|
	v_fma_f32 v17, 0x3f317217, v12, -v15
	s_delay_alu instid0(VALU_DEP_1) | instskip(NEXT) | instid1(VALU_DEP_1)
	v_fmac_f32_e32 v17, 0x3377d1cf, v12
	v_dual_fmaak_f32 v16, s6, v14, 0x3a5b3dd2 :: v_dual_add_f32 v15, v15, v17
	s_delay_alu instid0(VALU_DEP_1) | instskip(SKIP_1) | instid1(VALU_DEP_1)
	v_cndmask_b32_e64 v12, v12, v15, s2
	v_cndmask_b32_e64 v15, 0, 0x41b17218, s25
	v_dual_fmaak_f32 v16, v14, v16, 0xba1c065c :: v_dual_sub_f32 v15, v12, v15
	s_delay_alu instid0(VALU_DEP_1) | instskip(NEXT) | instid1(VALU_DEP_1)
	v_fmaak_f32 v16, v14, v16, 0x3a500cfd
	v_fmaak_f32 v16, v14, v16, 0xbb360b61
	s_delay_alu instid0(VALU_DEP_1) | instskip(NEXT) | instid1(VALU_DEP_1)
	v_fmaak_f32 v14, v14, v16, 0x3daaaaab
	v_fmaak_f32 v12, v13, v14, 0x3ed67f1d
	v_add_f32_e64 v13, |v3|, -0.5
	v_add_f32_e32 v14, -1.0, v15
	s_delay_alu instid0(VALU_DEP_1)
	v_fmac_f32_e32 v12, v13, v14
.LBB13_298:                             ;   in Loop: Header=BB13_177 Depth=1
	s_or_b32 exec_lo, exec_lo, s24
.LBB13_299:                             ;   in Loop: Header=BB13_177 Depth=1
	s_and_not1_saveexec_b32 s24, s3
	s_cbranch_execz .LBB13_301
; %bb.300:                              ;   in Loop: Header=BB13_177 Depth=1
	v_cvt_i32_f32_e32 v12, v11
	s_delay_alu instid0(VALU_DEP_1) | instskip(SKIP_1) | instid1(VALU_DEP_2)
	v_cvt_f32_i32_e32 v13, v12
	v_cmp_lt_i32_e64 s2, 2, v12
	v_sub_f32_e64 v13, |v3|, v13
	s_delay_alu instid0(VALU_DEP_1) | instskip(SKIP_2) | instid1(VALU_DEP_3)
	v_add_f32_e32 v14, 2.0, v13
	v_add_f32_e32 v15, 0x40400000, v13
	v_add_f32_e32 v16, 4.0, v13
	v_cndmask_b32_e64 v14, 1.0, v14, s2
	v_cmp_lt_i32_e64 s2, 3, v12
	s_delay_alu instid0(VALU_DEP_1) | instskip(SKIP_1) | instid1(VALU_DEP_2)
	v_cndmask_b32_e64 v15, 1.0, v15, s2
	v_cmp_lt_i32_e64 s2, 4, v12
	v_dual_add_f32 v17, 0x40a00000, v13 :: v_dual_mul_f32 v14, v14, v15
	s_delay_alu instid0(VALU_DEP_2) | instskip(SKIP_1) | instid1(VALU_DEP_2)
	v_cndmask_b32_e64 v16, 1.0, v16, s2
	v_cmp_lt_i32_e64 s2, 5, v12
	v_mul_f32_e32 v14, v16, v14
	s_delay_alu instid0(VALU_DEP_2) | instskip(SKIP_3) | instid1(VALU_DEP_4)
	v_cndmask_b32_e64 v17, 1.0, v17, s2
	v_add_f32_e32 v15, 0x40c00000, v13
	v_cmp_lt_i32_e64 s2, 6, v12
	v_fmaak_f32 v16, s7, v13, 0x3af135b4
	v_mul_f32_e32 v14, v17, v14
	s_delay_alu instid0(VALU_DEP_3) | instskip(NEXT) | instid1(VALU_DEP_1)
	v_cndmask_b32_e64 v12, 1.0, v15, s2
	v_mul_f32_e32 v12, v12, v14
	s_delay_alu instid0(VALU_DEP_1) | instskip(NEXT) | instid1(VALU_DEP_1)
	v_cmp_gt_f32_e64 s2, 0x800000, v12
	v_cndmask_b32_e64 v15, 1.0, 0x4f800000, s2
	s_delay_alu instid0(VALU_DEP_1) | instskip(NEXT) | instid1(VALU_DEP_1)
	v_dual_mul_f32 v12, v12, v15 :: v_dual_fmaak_f32 v15, v13, v16, 0x3cda40e4
	v_log_f32_e32 v12, v12
	s_delay_alu instid0(VALU_DEP_1) | instskip(NEXT) | instid1(VALU_DEP_1)
	v_fmaak_f32 v15, v13, v15, 0x3e15dce6
	v_fmaak_f32 v15, v13, v15, 0x3ea6cc7a
	s_waitcnt_depctr 0xfff
	v_mul_f32_e32 v16, 0x3f317217, v12
	v_cmp_gt_f32_e64 s3, 0x7f800000, |v12|
	s_delay_alu instid0(VALU_DEP_2) | instskip(NEXT) | instid1(VALU_DEP_1)
	v_fma_f32 v17, 0x3f317217, v12, -v16
	v_fmac_f32_e32 v17, 0x3377d1cf, v12
	s_delay_alu instid0(VALU_DEP_1) | instskip(NEXT) | instid1(VALU_DEP_1)
	v_dual_fmaak_f32 v15, v13, v15, 0x3e5c245a :: v_dual_add_f32 v16, v16, v17
	v_fmaak_f32 v15, v13, v15, 0xbd9e233f
	v_fmaak_f32 v14, s8, v13, 0x3a4beed6
	s_delay_alu instid0(VALU_DEP_3) | instskip(NEXT) | instid1(VALU_DEP_3)
	v_cndmask_b32_e64 v12, v12, v16, s3
	v_mul_f32_e32 v15, v13, v15
	s_delay_alu instid0(VALU_DEP_3) | instskip(NEXT) | instid1(VALU_DEP_1)
	v_fmaak_f32 v14, v13, v14, 0x3c98bf54
	v_fmaak_f32 v14, v13, v14, 0x3e300f6e
	s_delay_alu instid0(VALU_DEP_1) | instskip(NEXT) | instid1(VALU_DEP_1)
	v_fmaak_f32 v14, v13, v14, 0x3f38d0c5
	v_fmaak_f32 v14, v13, v14, 0x3fb22d3b
	s_delay_alu instid0(VALU_DEP_1) | instskip(NEXT) | instid1(VALU_DEP_1)
	v_fma_f32 v14, v13, v14, 1.0
	v_rcp_f32_e32 v14, v14
	s_waitcnt_depctr 0xfff
	v_mul_f32_e32 v14, v15, v14
	v_cndmask_b32_e64 v15, 0, 0x41b17218, s2
	s_delay_alu instid0(VALU_DEP_2) | instskip(NEXT) | instid1(VALU_DEP_2)
	v_fmac_f32_e32 v14, 0.5, v13
	v_sub_f32_e32 v12, v12, v15
	s_delay_alu instid0(VALU_DEP_1)
	v_add_f32_e32 v12, v12, v14
.LBB13_301:                             ;   in Loop: Header=BB13_177 Depth=1
	s_or_b32 exec_lo, exec_lo, s24
.LBB13_302:                             ;   in Loop: Header=BB13_177 Depth=1
	s_and_not1_saveexec_b32 s23, s23
	s_cbranch_execz .LBB13_320
; %bb.303:                              ;   in Loop: Header=BB13_177 Depth=1
                                        ; implicit-def: $vgpr12
                                        ; implicit-def: $vgpr14
                                        ; implicit-def: $vgpr13
	s_mov_b32 s3, exec_lo
	v_cmpx_ge_f32_e64 0x3f666666, |v3|
	s_xor_b32 s24, exec_lo, s3
	s_cbranch_execz .LBB13_305
; %bb.304:                              ;   in Loop: Header=BB13_177 Depth=1
	v_cmp_gt_f32_e64 s3, 0x800000, |v3|
	v_sub_f32_e64 v15, 1.0, |v3|
	v_cmp_gt_f32_e64 s2, 0x3f3b4a23, |v3|
	s_delay_alu instid0(VALU_DEP_3) | instskip(SKIP_1) | instid1(VALU_DEP_2)
	v_cndmask_b32_e64 v12, 1.0, 0x4f800000, s3
	v_cndmask_b32_e64 v16, 0, 0x41b17218, s3
	v_mul_f32_e64 v12, |v3|, v12
	s_delay_alu instid0(VALU_DEP_1) | instskip(SKIP_3) | instid1(VALU_DEP_2)
	v_log_f32_e32 v12, v12
	s_waitcnt_depctr 0xfff
	v_mul_f32_e32 v13, 0x3f317217, v12
	v_cmp_gt_f32_e64 s3, 0x7f800000, |v12|
	v_fma_f32 v14, 0x3f317217, v12, -v13
	s_delay_alu instid0(VALU_DEP_1) | instskip(NEXT) | instid1(VALU_DEP_1)
	v_fmac_f32_e32 v14, 0x3377d1cf, v12
	v_add_f32_e32 v13, v13, v14
	v_add_f32_e64 v14, 0xbeec5b0c, |v3|
	s_delay_alu instid0(VALU_DEP_2) | instskip(NEXT) | instid1(VALU_DEP_2)
	v_cndmask_b32_e64 v12, v12, v13, s3
	v_cndmask_b32_e64 v13, v15, v14, s2
	;; [unrolled: 1-line block ×3, first 2 shown]
	v_cmp_gt_f32_e64 s2, 0x3e6d3309, |v3|
	s_delay_alu instid0(VALU_DEP_4) | instskip(NEXT) | instid1(VALU_DEP_2)
	v_sub_f32_e32 v12, v12, v16
	v_cndmask_b32_e64 v13, v13, |v3|, s2
	s_delay_alu instid0(VALU_DEP_4) | instskip(NEXT) | instid1(VALU_DEP_3)
	v_cndmask_b32_e64 v14, v14, 2, s2
	v_xor_b32_e32 v12, 0x80000000, v12
.LBB13_305:                             ;   in Loop: Header=BB13_177 Depth=1
	s_and_not1_saveexec_b32 s3, s24
; %bb.306:                              ;   in Loop: Header=BB13_177 Depth=1
	v_sub_f32_e64 v12, 2.0, |v3|
	v_add_f32_e64 v13, 0xbfbb16c3, |v3|
	v_cmp_gt_f32_e64 s2, 0x3fdda512, |v3|
	v_add_f32_e64 v14, |v3|, -1.0
	s_delay_alu instid0(VALU_DEP_2) | instskip(SKIP_2) | instid1(VALU_DEP_2)
	v_cndmask_b32_e64 v13, v12, v13, s2
	v_cndmask_b32_e64 v12, v12, 1.0, s2
	v_cmp_gt_f32_e64 s2, 0x3f9d70a4, |v3|
	v_cvt_i32_f32_e32 v12, v12
	s_delay_alu instid0(VALU_DEP_2) | instskip(NEXT) | instid1(VALU_DEP_2)
	v_cndmask_b32_e64 v13, v13, v14, s2
	v_cndmask_b32_e64 v14, v12, 2, s2
	v_mov_b32_e32 v12, 0
; %bb.307:                              ;   in Loop: Header=BB13_177 Depth=1
	s_or_b32 exec_lo, exec_lo, s3
	s_delay_alu instid0(SALU_CYCLE_1) | instskip(NEXT) | instid1(VALU_DEP_2)
	s_mov_b32 s3, exec_lo
	v_cmpx_lt_i32_e32 0, v14
	s_xor_b32 s3, exec_lo, s3
	s_cbranch_execz .LBB13_315
; %bb.308:                              ;   in Loop: Header=BB13_177 Depth=1
	s_mov_b32 s24, exec_lo
	v_cmpx_lt_i32_e32 1, v14
	s_xor_b32 s24, exec_lo, s24
	s_cbranch_execz .LBB13_312
; %bb.309:                              ;   in Loop: Header=BB13_177 Depth=1
	s_mov_b32 s25, exec_lo
	v_cmpx_eq_u32_e32 2, v14
	s_cbranch_execz .LBB13_311
; %bb.310:                              ;   in Loop: Header=BB13_177 Depth=1
	v_fmaak_f32 v15, s9, v13, 0x3e6a7578
	s_delay_alu instid0(VALU_DEP_1) | instskip(NEXT) | instid1(VALU_DEP_1)
	v_fmaak_f32 v15, v13, v15, 0x3f7a4bb2
	v_fmaak_f32 v15, v13, v15, 0x3fba3ae7
	s_delay_alu instid0(VALU_DEP_1) | instskip(NEXT) | instid1(VALU_DEP_1)
	v_fmaak_f32 v15, v13, v15, 0x3f2200f4
	v_fmaak_f32 v15, v13, v15, 0xbd9e233f
	s_delay_alu instid0(VALU_DEP_1) | instskip(NEXT) | instid1(VALU_DEP_1)
	v_dual_fmaak_f32 v14, s10, v13, 0x3dd572af :: v_dual_mul_f32 v15, v13, v15
	v_fmaak_f32 v14, v13, v14, 0x3f44efdf
	s_delay_alu instid0(VALU_DEP_1) | instskip(NEXT) | instid1(VALU_DEP_1)
	v_fmaak_f32 v14, v13, v14, 0x4008392d
	v_fmaak_f32 v14, v13, v14, 0x401d2ebe
	s_delay_alu instid0(VALU_DEP_1) | instskip(NEXT) | instid1(VALU_DEP_1)
	v_fma_f32 v14, v13, v14, 1.0
	v_rcp_f32_e32 v14, v14
	s_waitcnt_depctr 0xfff
	v_mul_f32_e32 v14, v15, v14
	s_delay_alu instid0(VALU_DEP_1) | instskip(NEXT) | instid1(VALU_DEP_1)
	v_fmac_f32_e32 v14, -0.5, v13
	v_add_f32_e32 v12, v12, v14
.LBB13_311:                             ;   in Loop: Header=BB13_177 Depth=1
	s_or_b32 exec_lo, exec_lo, s25
                                        ; implicit-def: $vgpr13
.LBB13_312:                             ;   in Loop: Header=BB13_177 Depth=1
	s_and_not1_saveexec_b32 s2, s24
	s_cbranch_execz .LBB13_314
; %bb.313:                              ;   in Loop: Header=BB13_177 Depth=1
	v_mul_f32_e32 v14, v13, v13
	s_delay_alu instid0(VALU_DEP_1) | instskip(NEXT) | instid1(VALU_DEP_1)
	v_mul_f32_e32 v15, v13, v14
	v_fmaak_f32 v16, s18, v15, 0x3a66f867
	v_fmaak_f32 v17, s19, v15, 0xba0d3085
	;; [unrolled: 1-line block ×3, first 2 shown]
	s_delay_alu instid0(VALU_DEP_3) | instskip(NEXT) | instid1(VALU_DEP_3)
	v_fmaak_f32 v16, v15, v16, 0xbb7177fe
	v_fmaak_f32 v17, v15, v17, 0x3b141699
	s_delay_alu instid0(VALU_DEP_3) | instskip(NEXT) | instid1(VALU_DEP_3)
	v_fmaak_f32 v18, v15, v18, 0x3bc7e707
	v_fmaak_f32 v16, v15, v16, 0x3c93373d
	;; [unrolled: 3-line block ×4, first 2 shown]
	s_delay_alu instid0(VALU_DEP_1) | instskip(NEXT) | instid1(VALU_DEP_1)
	v_dual_fmac_f32 v16, v13, v17 :: v_dual_fmaak_f32 v13, v15, v18, 0x3ef7b95e
	v_fma_f32 v15, v15, -v16, 0xa2863e55
	s_delay_alu instid0(VALU_DEP_1) | instskip(NEXT) | instid1(VALU_DEP_1)
	v_fma_f32 v13, v14, v13, -v15
	v_add_f32_e32 v13, 0xbdf8cdce, v13
	s_delay_alu instid0(VALU_DEP_1)
	v_add_f32_e32 v12, v12, v13
.LBB13_314:                             ;   in Loop: Header=BB13_177 Depth=1
	s_or_b32 exec_lo, exec_lo, s2
                                        ; implicit-def: $vgpr14
                                        ; implicit-def: $vgpr13
.LBB13_315:                             ;   in Loop: Header=BB13_177 Depth=1
	s_and_not1_saveexec_b32 s3, s3
	s_cbranch_execz .LBB13_319
; %bb.316:                              ;   in Loop: Header=BB13_177 Depth=1
	s_mov_b32 s24, exec_lo
	v_cmpx_eq_u32_e32 0, v14
	s_cbranch_execz .LBB13_318
; %bb.317:                              ;   in Loop: Header=BB13_177 Depth=1
	v_mul_f32_e32 v14, v13, v13
	s_delay_alu instid0(VALU_DEP_1) | instskip(NEXT) | instid1(VALU_DEP_1)
	v_fmaak_f32 v16, s20, v14, 0x39679767
	v_fmaak_f32 v16, v14, v16, 0x3a9c54a1
	s_delay_alu instid0(VALU_DEP_1) | instskip(NEXT) | instid1(VALU_DEP_1)
	v_fmaak_f32 v16, v14, v16, 0x3bf2027e
	v_fmaak_f32 v16, v14, v16, 0x3d89f001
	s_delay_alu instid0(VALU_DEP_1) | instskip(SKIP_1) | instid1(VALU_DEP_1)
	v_fmaak_f32 v16, v14, v16, 0x3d9e233f
	v_fmaak_f32 v15, s15, v14, 0x38e28445
	;; [unrolled: 1-line block ×3, first 2 shown]
	s_delay_alu instid0(VALU_DEP_1) | instskip(NEXT) | instid1(VALU_DEP_1)
	v_fmaak_f32 v15, v14, v15, 0x3b3d6ec6
	v_fmaak_f32 v15, v14, v15, 0x3ca89915
	s_delay_alu instid0(VALU_DEP_1) | instskip(NEXT) | instid1(VALU_DEP_1)
	v_fmaak_f32 v15, v14, v15, 0x3ea51a66
	v_mul_f32_e32 v14, v14, v15
	s_delay_alu instid0(VALU_DEP_1) | instskip(NEXT) | instid1(VALU_DEP_1)
	v_fmac_f32_e32 v14, v13, v16
	v_fmac_f32_e32 v14, -0.5, v13
	s_delay_alu instid0(VALU_DEP_1)
	v_add_f32_e32 v12, v12, v14
.LBB13_318:                             ;   in Loop: Header=BB13_177 Depth=1
	s_or_b32 exec_lo, exec_lo, s24
.LBB13_319:                             ;   in Loop: Header=BB13_177 Depth=1
	s_delay_alu instid0(SALU_CYCLE_1)
	s_or_b32 exec_lo, exec_lo, s3
.LBB13_320:                             ;   in Loop: Header=BB13_177 Depth=1
	s_delay_alu instid0(SALU_CYCLE_1)
	s_or_b32 exec_lo, exec_lo, s23
.LBB13_321:                             ;   in Loop: Header=BB13_177 Depth=1
	s_and_not1_saveexec_b32 s3, s4
	s_cbranch_execz .LBB13_323
; %bb.322:                              ;   in Loop: Header=BB13_177 Depth=1
	v_cmp_gt_f32_e64 s4, 0x800000, |v3|
	v_fma_f32 v15, |v3|, s16, 0xbecd26ab
	s_delay_alu instid0(VALU_DEP_2) | instskip(NEXT) | instid1(VALU_DEP_1)
	v_cndmask_b32_e64 v12, 1.0, 0x4f800000, s4
	v_mul_f32_e64 v12, |v3|, v12
	s_delay_alu instid0(VALU_DEP_1) | instskip(SKIP_3) | instid1(VALU_DEP_2)
	v_log_f32_e32 v12, v12
	s_waitcnt_depctr 0xfff
	v_mul_f32_e32 v13, 0x3f317217, v12
	v_cmp_gt_f32_e64 s2, 0x7f800000, |v12|
	v_fma_f32 v14, 0x3f317217, v12, -v13
	s_delay_alu instid0(VALU_DEP_1) | instskip(NEXT) | instid1(VALU_DEP_1)
	v_fmac_f32_e32 v14, 0x3377d1cf, v12
	v_add_f32_e32 v13, v13, v14
	v_fma_f32 v14, |v3|, v15, 0x3f528d33
	s_delay_alu instid0(VALU_DEP_2) | instskip(SKIP_1) | instid1(VALU_DEP_3)
	v_cndmask_b32_e64 v12, v12, v13, s2
	v_cndmask_b32_e64 v13, 0, 0x41b17218, s4
	v_fma_f32 v14, |v3|, v14, 0xbf13c468
	s_delay_alu instid0(VALU_DEP_2) | instskip(NEXT) | instid1(VALU_DEP_1)
	v_sub_f32_e32 v12, v12, v13
	v_fma_f32 v12, |v3|, v14, -v12
.LBB13_323:                             ;   in Loop: Header=BB13_177 Depth=1
	s_or_b32 exec_lo, exec_lo, s3
	v_cmp_le_f32_e64 s2, 0, v3
	s_mov_b32 s4, exec_lo
	v_cmpx_nle_f32_e32 0, v3
	s_xor_b32 s23, exec_lo, s4
	s_cbranch_execz .LBB13_327
; %bb.324:                              ;   in Loop: Header=BB13_177 Depth=1
	v_cmp_gt_f32_e64 s3, 0x4b000000, |v3|
	v_cmp_lt_f32_e64 s4, 0x35000000, |v3|
	s_delay_alu instid0(VALU_DEP_1) | instskip(NEXT) | instid1(SALU_CYCLE_1)
	s_and_b32 s3, s3, s4
	s_and_saveexec_b32 s24, s3
	s_cbranch_execz .LBB13_326
; %bb.325:                              ;   in Loop: Header=BB13_177 Depth=1
	v_mul_f32_e64 v13, |v3|, 0.5
	v_xor_b32_e32 v11, v11, v3
	s_delay_alu instid0(VALU_DEP_2) | instskip(SKIP_1) | instid1(VALU_DEP_2)
	v_floor_f32_e32 v14, v13
	v_cmp_neq_f32_e64 s3, 0x7f800000, v13
	v_sub_f32_e32 v14, v13, v14
	s_delay_alu instid0(VALU_DEP_1) | instskip(NEXT) | instid1(VALU_DEP_1)
	v_min_f32_e32 v14, 0x3f7fffff, v14
	v_add_f32_e32 v14, v14, v14
	s_delay_alu instid0(VALU_DEP_1) | instskip(SKIP_1) | instid1(VALU_DEP_1)
	v_cndmask_b32_e64 v13, 0, v14, s3
	v_cmp_gt_f32_e64 s3, |v3|, 1.0
	v_cndmask_b32_e64 v13, |v3|, v13, s3
	s_delay_alu instid0(VALU_DEP_1) | instskip(NEXT) | instid1(VALU_DEP_1)
	v_add_f32_e32 v14, v13, v13
	v_rndne_f32_e32 v14, v14
	s_delay_alu instid0(VALU_DEP_1) | instskip(SKIP_1) | instid1(VALU_DEP_2)
	v_fmac_f32_e32 v13, -0.5, v14
	v_cvt_i32_f32_e32 v14, v14
	v_mul_f32_e32 v15, v13, v13
	s_delay_alu instid0(VALU_DEP_1) | instskip(SKIP_1) | instid1(VALU_DEP_2)
	v_fmaak_f32 v16, s17, v15, 0xbf1f24be
	v_fmaak_f32 v17, s22, v15, 0x3e642e9d
	;; [unrolled: 1-line block ×3, first 2 shown]
	s_delay_alu instid0(VALU_DEP_2) | instskip(NEXT) | instid1(VALU_DEP_2)
	v_dual_fmaak_f32 v17, v15, v17, 0xbfaad1da :: v_dual_mul_f32 v18, v13, v15
	v_fmaak_f32 v16, v15, v16, 0xc0a55e0e
	s_delay_alu instid0(VALU_DEP_1) | instskip(NEXT) | instid1(VALU_DEP_1)
	v_dual_fmaak_f32 v17, v15, v17, 0x4081e0d3 :: v_dual_mul_f32 v16, v18, v16
	v_dual_fmaak_f32 v17, v15, v17, 0xc09de9e6 :: v_dual_and_b32 v18, 1, v14
	v_lshlrev_b32_e32 v14, 30, v14
	s_delay_alu instid0(VALU_DEP_3) | instskip(NEXT) | instid1(VALU_DEP_3)
	v_fmac_f32_e32 v16, 0x40490fdb, v13
	v_fma_f32 v13, v15, v17, 1.0
	s_delay_alu instid0(VALU_DEP_4) | instskip(NEXT) | instid1(VALU_DEP_4)
	v_cmp_eq_u32_e64 s3, 0, v18
	v_and_b32_e32 v14, 0x80000000, v14
	s_delay_alu instid0(VALU_DEP_2) | instskip(NEXT) | instid1(VALU_DEP_1)
	v_cndmask_b32_e64 v13, v13, v16, s3
	v_xor3_b32 v11, v11, v14, v13
	s_delay_alu instid0(VALU_DEP_1) | instskip(NEXT) | instid1(VALU_DEP_1)
	v_mul_f32_e32 v11, v3, v11
	v_frexp_mant_f32_e64 v13, |v11|
	v_frexp_exp_i32_f32_e32 v11, v11
	s_delay_alu instid0(VALU_DEP_2) | instskip(NEXT) | instid1(VALU_DEP_1)
	v_rcp_f32_e32 v13, v13
	v_sub_nc_u32_e32 v11, 2, v11
	s_waitcnt_depctr 0xfff
	v_mul_f32_e32 v13, 0x3f490fdb, v13
	s_delay_alu instid0(VALU_DEP_1) | instskip(NEXT) | instid1(VALU_DEP_1)
	v_ldexp_f32 v11, v13, v11
	v_cmp_gt_f32_e64 s3, 0x800000, v11
	s_delay_alu instid0(VALU_DEP_1) | instskip(NEXT) | instid1(VALU_DEP_1)
	v_cndmask_b32_e64 v13, 1.0, 0x4f800000, s3
	v_mul_f32_e32 v11, v11, v13
	s_delay_alu instid0(VALU_DEP_1) | instskip(SKIP_3) | instid1(VALU_DEP_2)
	v_log_f32_e32 v11, v11
	s_waitcnt_depctr 0xfff
	v_mul_f32_e32 v13, 0x3f317217, v11
	v_cmp_gt_f32_e64 s4, 0x7f800000, |v11|
	v_fma_f32 v14, 0x3f317217, v11, -v13
	s_delay_alu instid0(VALU_DEP_1) | instskip(NEXT) | instid1(VALU_DEP_1)
	v_fmac_f32_e32 v14, 0x3377d1cf, v11
	v_add_f32_e32 v13, v13, v14
	v_floor_f32_e32 v14, v3
	s_delay_alu instid0(VALU_DEP_2) | instskip(NEXT) | instid1(VALU_DEP_2)
	v_cndmask_b32_e64 v11, v11, v13, s4
	v_sub_f32_e32 v14, v3, v14
	v_cndmask_b32_e64 v13, 0, 0x41b17218, s3
	s_delay_alu instid0(VALU_DEP_1) | instskip(NEXT) | instid1(VALU_DEP_3)
	v_sub_f32_e32 v11, v11, v13
	v_min_f32_e32 v13, 0x3f7fffff, v14
	s_delay_alu instid0(VALU_DEP_2) | instskip(NEXT) | instid1(VALU_DEP_2)
	v_sub_f32_e32 v11, v11, v12
	v_cmp_neq_f32_e64 s3, 0, v13
	s_delay_alu instid0(VALU_DEP_1)
	v_cndmask_b32_e64 v12, 0x7f800000, v11, s3
.LBB13_326:                             ;   in Loop: Header=BB13_177 Depth=1
	s_or_b32 exec_lo, exec_lo, s24
.LBB13_327:                             ;   in Loop: Header=BB13_177 Depth=1
	s_and_not1_saveexec_b32 s23, s23
	s_cbranch_execz .LBB13_176
; %bb.328:                              ;   in Loop: Header=BB13_177 Depth=1
	v_cmp_eq_f32_e64 s3, 1.0, v3
	v_cmp_eq_f32_e64 s4, 2.0, v3
	s_delay_alu instid0(VALU_DEP_1) | instskip(NEXT) | instid1(SALU_CYCLE_1)
	s_or_b32 s3, s3, s4
	v_cndmask_b32_e64 v12, v12, 0, s3
	s_branch .LBB13_176
.LBB13_329:
	s_nop 0
	s_sendmsg sendmsg(MSG_DEALLOC_VGPRS)
	s_endpgm
	.section	.rodata,"a",@progbits
	.p2align	6, 0x0
	.amdhsa_kernel _ZN2at6native12_GLOBAL__N_125multi_tensor_apply_kernelINS1_18TensorListMetadataILi1EEENS1_14UnaryOpFunctorIfLi1ELi1ELi0EEEJNS0_6LgammaIfEEEEEvT_T0_DpT1_
		.amdhsa_group_segment_fixed_size 0
		.amdhsa_private_segment_fixed_size 0
		.amdhsa_kernarg_size 3632
		.amdhsa_user_sgpr_count 15
		.amdhsa_user_sgpr_dispatch_ptr 0
		.amdhsa_user_sgpr_queue_ptr 0
		.amdhsa_user_sgpr_kernarg_segment_ptr 1
		.amdhsa_user_sgpr_dispatch_id 0
		.amdhsa_user_sgpr_private_segment_size 0
		.amdhsa_wavefront_size32 1
		.amdhsa_uses_dynamic_stack 0
		.amdhsa_enable_private_segment 0
		.amdhsa_system_sgpr_workgroup_id_x 1
		.amdhsa_system_sgpr_workgroup_id_y 0
		.amdhsa_system_sgpr_workgroup_id_z 0
		.amdhsa_system_sgpr_workgroup_info 0
		.amdhsa_system_vgpr_workitem_id 0
		.amdhsa_next_free_vgpr 26
		.amdhsa_next_free_sgpr 42
		.amdhsa_reserve_vcc 1
		.amdhsa_float_round_mode_32 0
		.amdhsa_float_round_mode_16_64 0
		.amdhsa_float_denorm_mode_32 3
		.amdhsa_float_denorm_mode_16_64 3
		.amdhsa_dx10_clamp 1
		.amdhsa_ieee_mode 1
		.amdhsa_fp16_overflow 0
		.amdhsa_workgroup_processor_mode 1
		.amdhsa_memory_ordered 1
		.amdhsa_forward_progress 0
		.amdhsa_shared_vgpr_count 0
		.amdhsa_exception_fp_ieee_invalid_op 0
		.amdhsa_exception_fp_denorm_src 0
		.amdhsa_exception_fp_ieee_div_zero 0
		.amdhsa_exception_fp_ieee_overflow 0
		.amdhsa_exception_fp_ieee_underflow 0
		.amdhsa_exception_fp_ieee_inexact 0
		.amdhsa_exception_int_div_zero 0
	.end_amdhsa_kernel
	.section	.text._ZN2at6native12_GLOBAL__N_125multi_tensor_apply_kernelINS1_18TensorListMetadataILi1EEENS1_14UnaryOpFunctorIfLi1ELi1ELi0EEEJNS0_6LgammaIfEEEEEvT_T0_DpT1_,"axG",@progbits,_ZN2at6native12_GLOBAL__N_125multi_tensor_apply_kernelINS1_18TensorListMetadataILi1EEENS1_14UnaryOpFunctorIfLi1ELi1ELi0EEEJNS0_6LgammaIfEEEEEvT_T0_DpT1_,comdat
.Lfunc_end13:
	.size	_ZN2at6native12_GLOBAL__N_125multi_tensor_apply_kernelINS1_18TensorListMetadataILi1EEENS1_14UnaryOpFunctorIfLi1ELi1ELi0EEEJNS0_6LgammaIfEEEEEvT_T0_DpT1_, .Lfunc_end13-_ZN2at6native12_GLOBAL__N_125multi_tensor_apply_kernelINS1_18TensorListMetadataILi1EEENS1_14UnaryOpFunctorIfLi1ELi1ELi0EEEJNS0_6LgammaIfEEEEEvT_T0_DpT1_
                                        ; -- End function
	.section	.AMDGPU.csdata,"",@progbits
; Kernel info:
; codeLenInByte = 22236
; NumSgprs: 44
; NumVgprs: 26
; ScratchSize: 0
; MemoryBound: 0
; FloatMode: 240
; IeeeMode: 1
; LDSByteSize: 0 bytes/workgroup (compile time only)
; SGPRBlocks: 5
; VGPRBlocks: 3
; NumSGPRsForWavesPerEU: 44
; NumVGPRsForWavesPerEU: 26
; Occupancy: 16
; WaveLimiterHint : 0
; COMPUTE_PGM_RSRC2:SCRATCH_EN: 0
; COMPUTE_PGM_RSRC2:USER_SGPR: 15
; COMPUTE_PGM_RSRC2:TRAP_HANDLER: 0
; COMPUTE_PGM_RSRC2:TGID_X_EN: 1
; COMPUTE_PGM_RSRC2:TGID_Y_EN: 0
; COMPUTE_PGM_RSRC2:TGID_Z_EN: 0
; COMPUTE_PGM_RSRC2:TIDIG_COMP_CNT: 0
	.section	.text._ZN2at6native12_GLOBAL__N_125multi_tensor_apply_kernelINS1_18TensorListMetadataILi1EEENS1_14UnaryOpFunctorIN3c104HalfELi1ELi1ELi0EEEJNS0_6LgammaIfEEEEEvT_T0_DpT1_,"axG",@progbits,_ZN2at6native12_GLOBAL__N_125multi_tensor_apply_kernelINS1_18TensorListMetadataILi1EEENS1_14UnaryOpFunctorIN3c104HalfELi1ELi1ELi0EEEJNS0_6LgammaIfEEEEEvT_T0_DpT1_,comdat
	.globl	_ZN2at6native12_GLOBAL__N_125multi_tensor_apply_kernelINS1_18TensorListMetadataILi1EEENS1_14UnaryOpFunctorIN3c104HalfELi1ELi1ELi0EEEJNS0_6LgammaIfEEEEEvT_T0_DpT1_ ; -- Begin function _ZN2at6native12_GLOBAL__N_125multi_tensor_apply_kernelINS1_18TensorListMetadataILi1EEENS1_14UnaryOpFunctorIN3c104HalfELi1ELi1ELi0EEEJNS0_6LgammaIfEEEEEvT_T0_DpT1_
	.p2align	8
	.type	_ZN2at6native12_GLOBAL__N_125multi_tensor_apply_kernelINS1_18TensorListMetadataILi1EEENS1_14UnaryOpFunctorIN3c104HalfELi1ELi1ELi0EEEJNS0_6LgammaIfEEEEEvT_T0_DpT1_,@function
_ZN2at6native12_GLOBAL__N_125multi_tensor_apply_kernelINS1_18TensorListMetadataILi1EEENS1_14UnaryOpFunctorIN3c104HalfELi1ELi1ELi0EEEJNS0_6LgammaIfEEEEEvT_T0_DpT1_: ; @_ZN2at6native12_GLOBAL__N_125multi_tensor_apply_kernelINS1_18TensorListMetadataILi1EEENS1_14UnaryOpFunctorIN3c104HalfELi1ELi1ELi0EEEJNS0_6LgammaIfEEEEEvT_T0_DpT1_
; %bb.0:
	v_mov_b32_e32 v1, s15
	s_add_u32 s2, s0, s15
	s_mul_hi_u32 s3, s15, 3
	s_mul_i32 s15, s15, 3
	s_addc_u32 s4, s1, 0
	global_load_u8 v1, v1, s[0:1] offset:1760
	s_add_u32 s2, s2, s15
	s_addc_u32 s3, s4, s3
	s_mov_b32 s7, 0
	s_load_b32 s2, s[2:3], 0x820
	s_waitcnt vmcnt(0)
	v_readfirstlane_b32 s5, v1
	s_delay_alu instid0(VALU_DEP_1)
	s_lshl_b32 s3, s5, 3
	s_clause 0x1
	s_load_b64 s[14:15], s[0:1], s3 offset:0x0
	s_load_b64 s[4:5], s[0:1], s3 offset:0x370
	s_waitcnt lgkmcnt(0)
	s_ashr_i32 s3, s2, 31
	s_delay_alu instid0(SALU_CYCLE_1)
	s_lshl_b64 s[16:17], s[2:3], 17
	s_lshl_b64 s[2:3], s[2:3], 16
	s_and_b32 s6, s14, 7
	s_sub_u32 s12, s4, s2
	s_subb_u32 s13, s5, s3
	s_and_b32 s2, s4, 3
	s_mov_b32 s3, s7
	s_delay_alu instid0(SALU_CYCLE_1) | instskip(NEXT) | instid1(SALU_CYCLE_1)
	s_or_b64 s[2:3], s[6:7], s[2:3]
	s_cmp_eq_u64 s[2:3], 0
	s_cbranch_scc1 .LBB14_173
; %bb.1:
	v_cmp_lt_i64_e64 s2, s[12:13], 1
	s_delay_alu instid0(VALU_DEP_1)
	s_and_b32 vcc_lo, exec_lo, s2
	s_cbranch_vccnz .LBB14_172
; %bb.2:
	s_load_b32 s2, s[0:1], 0xd3c
	v_cmp_gt_u64_e64 s3, 0x10000, s[12:13]
	v_lshlrev_b32_e32 v1, 1, v0
	s_mov_b64 s[20:21], 0
	s_mov_b32 s24, 0xbad5c4e8
	s_mov_b32 s25, 0x3805ff67
	;; [unrolled: 1-line block ×13, first 2 shown]
	s_waitcnt lgkmcnt(0)
	s_and_b32 s2, s2, 0xffff
	s_and_b32 s3, s3, exec_lo
	v_add_co_u32 v5, s5, v0, s2
	s_cselect_b32 s19, s13, 0
	s_cselect_b32 s18, s12, 0x10000
	s_lshl_b32 s3, s2, 1
	s_mul_i32 s4, s2, 3
	s_lshl_b32 s11, s2, 2
	v_add_co_ci_u32_e64 v6, null, 0, 0, s5
	s_add_u32 s5, s14, s16
	s_mul_i32 s22, s2, 6
	s_addc_u32 s6, s15, s17
	s_lshl_b32 s23, s2, 3
	v_add_co_u32 v7, s2, s4, v0
	v_lshlrev_b32_e32 v3, 1, v5
	v_add_co_ci_u32_e64 v8, null, 0, 0, s2
	v_add_co_u32 v9, s2, s3, v0
	s_delay_alu instid0(VALU_DEP_1) | instskip(SKIP_1) | instid1(VALU_DEP_1)
	v_add_co_ci_u32_e64 v10, null, 0, 0, s2
	v_add_co_u32 v1, s2, s5, v1
	v_add_co_ci_u32_e64 v2, null, s6, 0, s2
	v_add_co_u32 v3, s2, s5, v3
	s_delay_alu instid0(VALU_DEP_1)
	v_add_co_ci_u32_e64 v4, null, s6, 0, s2
	s_branch .LBB14_4
.LBB14_3:                               ;   in Loop: Header=BB14_4 Depth=1
	s_or_b32 exec_lo, exec_lo, s2
	s_add_u32 s20, s20, s11
	s_addc_u32 s21, s21, 0
	v_add_co_u32 v1, vcc_lo, v1, s23
	v_cmp_ge_i64_e64 s2, s[20:21], s[12:13]
	v_cmp_lt_u64_e64 s3, 0xffff, s[20:21]
	v_add_co_ci_u32_e32 v2, vcc_lo, 0, v2, vcc_lo
	v_add_co_u32 v3, vcc_lo, v3, s23
	v_add_co_ci_u32_e32 v4, vcc_lo, 0, v4, vcc_lo
	s_delay_alu instid0(VALU_DEP_4) | instskip(NEXT) | instid1(SALU_CYCLE_1)
	s_or_b32 s2, s2, s3
	s_and_b32 vcc_lo, exec_lo, s2
	s_cbranch_vccnz .LBB14_172
.LBB14_4:                               ; =>This Inner Loop Header: Depth=1
	v_add_co_u32 v11, s2, v0, s20
	s_delay_alu instid0(VALU_DEP_1) | instskip(SKIP_1) | instid1(VALU_DEP_2)
	v_add_co_ci_u32_e64 v12, null, 0, s21, s2
	v_mov_b32_e32 v14, 0
	v_cmp_gt_u64_e64 s4, s[18:19], v[11:12]
	s_delay_alu instid0(VALU_DEP_1)
	s_and_saveexec_b32 s2, s4
	s_cbranch_execz .LBB14_6
; %bb.5:                                ;   in Loop: Header=BB14_4 Depth=1
	global_load_u16 v14, v[1:2], off
.LBB14_6:                               ;   in Loop: Header=BB14_4 Depth=1
	s_or_b32 exec_lo, exec_lo, s2
	v_add_co_u32 v11, vcc_lo, v5, s20
	v_add_co_ci_u32_e32 v12, vcc_lo, s21, v6, vcc_lo
	s_delay_alu instid0(VALU_DEP_1) | instskip(SKIP_1) | instid1(VALU_DEP_2)
	v_cmp_gt_u64_e64 s3, s[18:19], v[11:12]
	v_mov_b32_e32 v12, 0
	s_and_saveexec_b32 s2, s3
	s_cbranch_execz .LBB14_8
; %bb.7:                                ;   in Loop: Header=BB14_4 Depth=1
	global_load_u16 v12, v[3:4], off
.LBB14_8:                               ;   in Loop: Header=BB14_4 Depth=1
	s_or_b32 exec_lo, exec_lo, s2
	v_add_co_u32 v15, vcc_lo, v9, s20
	v_add_co_ci_u32_e32 v16, vcc_lo, s21, v10, vcc_lo
	v_mov_b32_e32 v11, 0
	v_mov_b32_e32 v13, 0
	s_delay_alu instid0(VALU_DEP_3) | instskip(NEXT) | instid1(VALU_DEP_1)
	v_cmp_gt_u64_e64 s2, s[18:19], v[15:16]
	s_and_saveexec_b32 s5, s2
	s_cbranch_execz .LBB14_10
; %bb.9:                                ;   in Loop: Header=BB14_4 Depth=1
	v_add_co_u32 v15, vcc_lo, v1, s11
	v_add_co_ci_u32_e32 v16, vcc_lo, 0, v2, vcc_lo
	global_load_u16 v13, v[15:16], off
.LBB14_10:                              ;   in Loop: Header=BB14_4 Depth=1
	s_or_b32 exec_lo, exec_lo, s5
	v_add_co_u32 v15, vcc_lo, v7, s20
	v_add_co_ci_u32_e32 v16, vcc_lo, s21, v8, vcc_lo
	s_delay_alu instid0(VALU_DEP_1)
	v_cmp_gt_u64_e32 vcc_lo, s[18:19], v[15:16]
	s_and_saveexec_b32 s6, vcc_lo
	s_cbranch_execz .LBB14_12
; %bb.11:                               ;   in Loop: Header=BB14_4 Depth=1
	v_add_co_u32 v15, s5, v1, s22
	s_delay_alu instid0(VALU_DEP_1)
	v_add_co_ci_u32_e64 v16, s5, 0, v2, s5
	global_load_u16 v11, v[15:16], off
.LBB14_12:                              ;   in Loop: Header=BB14_4 Depth=1
	s_or_b32 exec_lo, exec_lo, s6
	s_waitcnt vmcnt(0)
	v_cvt_f32_f16_e32 v15, v14
                                        ; implicit-def: $vgpr16
	s_mov_b32 s6, exec_lo
	s_delay_alu instid0(VALU_DEP_1)
	v_and_b32_e32 v17, 0x7fffffff, v15
	v_cmpx_ngt_f32_e64 0x3c800000, |v15|
	s_xor_b32 s7, exec_lo, s6
	s_cbranch_execz .LBB14_42
; %bb.13:                               ;   in Loop: Header=BB14_4 Depth=1
                                        ; implicit-def: $vgpr16
	s_mov_b32 s6, exec_lo
	v_cmpx_nlt_f32_e64 |v15|, 2.0
	s_xor_b32 s8, exec_lo, s6
	s_cbranch_execz .LBB14_23
; %bb.14:                               ;   in Loop: Header=BB14_4 Depth=1
	s_mov_b32 s6, exec_lo
                                        ; implicit-def: $vgpr16
	v_cmpx_ngt_f32_e64 0x41000000, |v15|
	s_xor_b32 s6, exec_lo, s6
	s_cbranch_execz .LBB14_20
; %bb.15:                               ;   in Loop: Header=BB14_4 Depth=1
	s_mov_b32 s9, exec_lo
                                        ; implicit-def: $vgpr16
	v_cmpx_ngt_f32_e64 0x5c800000, |v15|
	s_xor_b32 s9, exec_lo, s9
	s_cbranch_execz .LBB14_17
; %bb.16:                               ;   in Loop: Header=BB14_4 Depth=1
	v_cmp_gt_f32_e64 s10, 0x800000, |v15|
	s_delay_alu instid0(VALU_DEP_1) | instskip(NEXT) | instid1(VALU_DEP_1)
	v_cndmask_b32_e64 v16, 1.0, 0x4f800000, s10
	v_mul_f32_e64 v16, |v15|, v16
	s_delay_alu instid0(VALU_DEP_1) | instskip(SKIP_3) | instid1(VALU_DEP_2)
	v_log_f32_e32 v16, v16
	s_waitcnt_depctr 0xfff
	v_mul_f32_e32 v18, 0x3f317217, v16
	v_cmp_gt_f32_e64 s5, 0x7f800000, |v16|
	v_fma_f32 v19, 0x3f317217, v16, -v18
	s_delay_alu instid0(VALU_DEP_1) | instskip(NEXT) | instid1(VALU_DEP_1)
	v_fmac_f32_e32 v19, 0x3377d1cf, v16
	v_add_f32_e32 v18, v18, v19
	s_delay_alu instid0(VALU_DEP_1) | instskip(SKIP_1) | instid1(VALU_DEP_1)
	v_cndmask_b32_e64 v16, v16, v18, s5
	v_cndmask_b32_e64 v18, 0, 0x41b17218, s10
	v_sub_f32_e32 v16, v16, v18
	s_delay_alu instid0(VALU_DEP_1)
	v_fma_f32 v16, |v15|, v16, -|v15|
.LBB14_17:                              ;   in Loop: Header=BB14_4 Depth=1
	s_and_not1_saveexec_b32 s9, s9
	s_cbranch_execz .LBB14_19
; %bb.18:                               ;   in Loop: Header=BB14_4 Depth=1
	v_cmp_gt_f32_e64 s10, 0x800000, |v15|
	v_rcp_f32_e64 v18, |v15|
	s_delay_alu instid0(VALU_DEP_1) | instskip(NEXT) | instid1(VALU_DEP_1)
	v_cndmask_b32_e64 v16, 1.0, 0x4f800000, s10
	v_mul_f32_e64 v16, |v15|, v16
	s_delay_alu instid0(VALU_DEP_1) | instskip(SKIP_3) | instid1(VALU_DEP_2)
	v_log_f32_e32 v16, v16
	s_waitcnt_depctr 0xfff
	v_dual_mul_f32 v19, v18, v18 :: v_dual_mul_f32 v20, 0x3f317217, v16
	v_cmp_gt_f32_e64 s5, 0x7f800000, |v16|
	v_fma_f32 v22, 0x3f317217, v16, -v20
	s_delay_alu instid0(VALU_DEP_1) | instskip(NEXT) | instid1(VALU_DEP_1)
	v_fmac_f32_e32 v22, 0x3377d1cf, v16
	v_dual_fmaak_f32 v21, s24, v19, 0x3a5b3dd2 :: v_dual_add_f32 v20, v20, v22
	s_delay_alu instid0(VALU_DEP_1) | instskip(SKIP_1) | instid1(VALU_DEP_1)
	v_cndmask_b32_e64 v16, v16, v20, s5
	v_cndmask_b32_e64 v20, 0, 0x41b17218, s10
	v_dual_fmaak_f32 v21, v19, v21, 0xba1c065c :: v_dual_sub_f32 v20, v16, v20
	s_delay_alu instid0(VALU_DEP_1) | instskip(NEXT) | instid1(VALU_DEP_1)
	v_fmaak_f32 v21, v19, v21, 0x3a500cfd
	v_fmaak_f32 v21, v19, v21, 0xbb360b61
	s_delay_alu instid0(VALU_DEP_1) | instskip(NEXT) | instid1(VALU_DEP_1)
	v_fmaak_f32 v19, v19, v21, 0x3daaaaab
	v_dual_fmaak_f32 v16, v18, v19, 0x3ed67f1d :: v_dual_add_f32 v19, -1.0, v20
	v_add_f32_e64 v18, |v15|, -0.5
	s_delay_alu instid0(VALU_DEP_1)
	v_fmac_f32_e32 v16, v18, v19
.LBB14_19:                              ;   in Loop: Header=BB14_4 Depth=1
	s_or_b32 exec_lo, exec_lo, s9
.LBB14_20:                              ;   in Loop: Header=BB14_4 Depth=1
	s_and_not1_saveexec_b32 s9, s6
	s_cbranch_execz .LBB14_22
; %bb.21:                               ;   in Loop: Header=BB14_4 Depth=1
	v_cvt_i32_f32_e32 v16, v17
	s_delay_alu instid0(VALU_DEP_1) | instskip(SKIP_1) | instid1(VALU_DEP_2)
	v_cvt_f32_i32_e32 v18, v16
	v_cmp_lt_i32_e64 s5, 2, v16
	v_sub_f32_e64 v18, |v15|, v18
	s_delay_alu instid0(VALU_DEP_1) | instskip(SKIP_2) | instid1(VALU_DEP_3)
	v_add_f32_e32 v19, 2.0, v18
	v_add_f32_e32 v20, 0x40400000, v18
	v_add_f32_e32 v21, 4.0, v18
	v_cndmask_b32_e64 v19, 1.0, v19, s5
	v_cmp_lt_i32_e64 s5, 3, v16
	s_delay_alu instid0(VALU_DEP_1) | instskip(SKIP_1) | instid1(VALU_DEP_2)
	v_cndmask_b32_e64 v20, 1.0, v20, s5
	v_cmp_lt_i32_e64 s5, 4, v16
	v_dual_add_f32 v22, 0x40a00000, v18 :: v_dual_mul_f32 v19, v19, v20
	s_delay_alu instid0(VALU_DEP_2) | instskip(SKIP_1) | instid1(VALU_DEP_2)
	v_cndmask_b32_e64 v21, 1.0, v21, s5
	v_cmp_lt_i32_e64 s5, 5, v16
	v_mul_f32_e32 v19, v21, v19
	s_delay_alu instid0(VALU_DEP_2) | instskip(SKIP_3) | instid1(VALU_DEP_4)
	v_cndmask_b32_e64 v22, 1.0, v22, s5
	v_add_f32_e32 v20, 0x40c00000, v18
	v_cmp_lt_i32_e64 s5, 6, v16
	v_fmaak_f32 v21, s25, v18, 0x3af135b4
	v_mul_f32_e32 v19, v22, v19
	s_delay_alu instid0(VALU_DEP_3) | instskip(NEXT) | instid1(VALU_DEP_1)
	v_cndmask_b32_e64 v16, 1.0, v20, s5
	v_mul_f32_e32 v16, v16, v19
	s_delay_alu instid0(VALU_DEP_1) | instskip(NEXT) | instid1(VALU_DEP_1)
	v_cmp_gt_f32_e64 s5, 0x800000, v16
	v_cndmask_b32_e64 v20, 1.0, 0x4f800000, s5
	s_delay_alu instid0(VALU_DEP_1) | instskip(SKIP_1) | instid1(VALU_DEP_2)
	v_mul_f32_e32 v16, v16, v20
	v_fmaak_f32 v20, v18, v21, 0x3cda40e4
	v_log_f32_e32 v16, v16
	s_waitcnt_depctr 0xfff
	v_mul_f32_e32 v21, 0x3f317217, v16
	v_cmp_gt_f32_e64 s6, 0x7f800000, |v16|
	s_delay_alu instid0(VALU_DEP_2) | instskip(NEXT) | instid1(VALU_DEP_1)
	v_fma_f32 v22, 0x3f317217, v16, -v21
	v_fmac_f32_e32 v22, 0x3377d1cf, v16
	s_delay_alu instid0(VALU_DEP_1) | instskip(NEXT) | instid1(VALU_DEP_1)
	v_dual_add_f32 v21, v21, v22 :: v_dual_fmaak_f32 v20, v18, v20, 0x3e15dce6
	v_cndmask_b32_e64 v16, v16, v21, s6
	s_delay_alu instid0(VALU_DEP_2) | instskip(NEXT) | instid1(VALU_DEP_1)
	v_fmaak_f32 v20, v18, v20, 0x3ea6cc7a
	v_fmaak_f32 v20, v18, v20, 0x3e5c245a
	s_delay_alu instid0(VALU_DEP_1) | instskip(NEXT) | instid1(VALU_DEP_1)
	v_fmaak_f32 v20, v18, v20, 0xbd9e233f
	v_dual_fmaak_f32 v19, s26, v18, 0x3a4beed6 :: v_dual_mul_f32 v20, v18, v20
	s_delay_alu instid0(VALU_DEP_1) | instskip(NEXT) | instid1(VALU_DEP_1)
	v_fmaak_f32 v19, v18, v19, 0x3c98bf54
	v_fmaak_f32 v19, v18, v19, 0x3e300f6e
	s_delay_alu instid0(VALU_DEP_1) | instskip(NEXT) | instid1(VALU_DEP_1)
	v_fmaak_f32 v19, v18, v19, 0x3f38d0c5
	v_fmaak_f32 v19, v18, v19, 0x3fb22d3b
	s_delay_alu instid0(VALU_DEP_1) | instskip(NEXT) | instid1(VALU_DEP_1)
	v_fma_f32 v19, v18, v19, 1.0
	v_rcp_f32_e32 v19, v19
	s_waitcnt_depctr 0xfff
	v_mul_f32_e32 v19, v20, v19
	v_cndmask_b32_e64 v20, 0, 0x41b17218, s5
	s_delay_alu instid0(VALU_DEP_1) | instskip(NEXT) | instid1(VALU_DEP_1)
	v_dual_fmac_f32 v19, 0.5, v18 :: v_dual_sub_f32 v16, v16, v20
	v_add_f32_e32 v16, v16, v19
.LBB14_22:                              ;   in Loop: Header=BB14_4 Depth=1
	s_or_b32 exec_lo, exec_lo, s9
.LBB14_23:                              ;   in Loop: Header=BB14_4 Depth=1
	s_and_not1_saveexec_b32 s8, s8
	s_cbranch_execz .LBB14_41
; %bb.24:                               ;   in Loop: Header=BB14_4 Depth=1
                                        ; implicit-def: $vgpr16
                                        ; implicit-def: $vgpr19
                                        ; implicit-def: $vgpr18
	s_mov_b32 s6, exec_lo
	v_cmpx_ge_f32_e64 0x3f666666, |v15|
	s_xor_b32 s9, exec_lo, s6
	s_cbranch_execz .LBB14_26
; %bb.25:                               ;   in Loop: Header=BB14_4 Depth=1
	v_cmp_gt_f32_e64 s6, 0x800000, |v15|
	v_sub_f32_e64 v20, 1.0, |v15|
	v_cmp_gt_f32_e64 s5, 0x3f3b4a23, |v15|
	s_delay_alu instid0(VALU_DEP_3) | instskip(SKIP_1) | instid1(VALU_DEP_2)
	v_cndmask_b32_e64 v16, 1.0, 0x4f800000, s6
	v_cndmask_b32_e64 v21, 0, 0x41b17218, s6
	v_mul_f32_e64 v16, |v15|, v16
	s_delay_alu instid0(VALU_DEP_1) | instskip(SKIP_3) | instid1(VALU_DEP_2)
	v_log_f32_e32 v16, v16
	s_waitcnt_depctr 0xfff
	v_mul_f32_e32 v18, 0x3f317217, v16
	v_cmp_gt_f32_e64 s6, 0x7f800000, |v16|
	v_fma_f32 v19, 0x3f317217, v16, -v18
	s_delay_alu instid0(VALU_DEP_1) | instskip(NEXT) | instid1(VALU_DEP_1)
	v_fmac_f32_e32 v19, 0x3377d1cf, v16
	v_add_f32_e32 v18, v18, v19
	v_add_f32_e64 v19, 0xbeec5b0c, |v15|
	s_delay_alu instid0(VALU_DEP_2) | instskip(NEXT) | instid1(VALU_DEP_2)
	v_cndmask_b32_e64 v16, v16, v18, s6
	v_cndmask_b32_e64 v18, v20, v19, s5
	;; [unrolled: 1-line block ×3, first 2 shown]
	v_cmp_gt_f32_e64 s5, 0x3e6d3309, |v15|
	s_delay_alu instid0(VALU_DEP_4) | instskip(NEXT) | instid1(VALU_DEP_2)
	v_sub_f32_e32 v16, v16, v21
	v_cndmask_b32_e64 v18, v18, |v15|, s5
	s_delay_alu instid0(VALU_DEP_4) | instskip(NEXT) | instid1(VALU_DEP_3)
	v_cndmask_b32_e64 v19, v19, 2, s5
	v_xor_b32_e32 v16, 0x80000000, v16
.LBB14_26:                              ;   in Loop: Header=BB14_4 Depth=1
	s_and_not1_saveexec_b32 s6, s9
; %bb.27:                               ;   in Loop: Header=BB14_4 Depth=1
	v_sub_f32_e64 v16, 2.0, |v15|
	v_add_f32_e64 v18, 0xbfbb16c3, |v15|
	v_cmp_gt_f32_e64 s5, 0x3fdda512, |v15|
	v_add_f32_e64 v19, |v15|, -1.0
	s_delay_alu instid0(VALU_DEP_2) | instskip(SKIP_2) | instid1(VALU_DEP_2)
	v_cndmask_b32_e64 v18, v16, v18, s5
	v_cndmask_b32_e64 v16, v16, 1.0, s5
	v_cmp_gt_f32_e64 s5, 0x3f9d70a4, |v15|
	v_cvt_i32_f32_e32 v16, v16
	s_delay_alu instid0(VALU_DEP_2) | instskip(NEXT) | instid1(VALU_DEP_2)
	v_cndmask_b32_e64 v18, v18, v19, s5
	v_cndmask_b32_e64 v19, v16, 2, s5
	v_mov_b32_e32 v16, 0
; %bb.28:                               ;   in Loop: Header=BB14_4 Depth=1
	s_or_b32 exec_lo, exec_lo, s6
	s_delay_alu instid0(SALU_CYCLE_1) | instskip(NEXT) | instid1(VALU_DEP_2)
	s_mov_b32 s6, exec_lo
	v_cmpx_lt_i32_e32 0, v19
	s_xor_b32 s6, exec_lo, s6
	s_cbranch_execz .LBB14_36
; %bb.29:                               ;   in Loop: Header=BB14_4 Depth=1
	s_mov_b32 s9, exec_lo
	v_cmpx_lt_i32_e32 1, v19
	s_xor_b32 s9, exec_lo, s9
	s_cbranch_execz .LBB14_33
; %bb.30:                               ;   in Loop: Header=BB14_4 Depth=1
	s_mov_b32 s10, exec_lo
	v_cmpx_eq_u32_e32 2, v19
	s_cbranch_execz .LBB14_32
; %bb.31:                               ;   in Loop: Header=BB14_4 Depth=1
	v_fmaak_f32 v20, s27, v18, 0x3e6a7578
	s_delay_alu instid0(VALU_DEP_1) | instskip(NEXT) | instid1(VALU_DEP_1)
	v_fmaak_f32 v20, v18, v20, 0x3f7a4bb2
	v_fmaak_f32 v20, v18, v20, 0x3fba3ae7
	s_delay_alu instid0(VALU_DEP_1) | instskip(NEXT) | instid1(VALU_DEP_1)
	v_fmaak_f32 v20, v18, v20, 0x3f2200f4
	v_fmaak_f32 v20, v18, v20, 0xbd9e233f
	s_delay_alu instid0(VALU_DEP_1) | instskip(NEXT) | instid1(VALU_DEP_1)
	v_dual_fmaak_f32 v19, s28, v18, 0x3dd572af :: v_dual_mul_f32 v20, v18, v20
	v_fmaak_f32 v19, v18, v19, 0x3f44efdf
	s_delay_alu instid0(VALU_DEP_1) | instskip(NEXT) | instid1(VALU_DEP_1)
	v_fmaak_f32 v19, v18, v19, 0x4008392d
	v_fmaak_f32 v19, v18, v19, 0x401d2ebe
	s_delay_alu instid0(VALU_DEP_1) | instskip(NEXT) | instid1(VALU_DEP_1)
	v_fma_f32 v19, v18, v19, 1.0
	v_rcp_f32_e32 v19, v19
	s_waitcnt_depctr 0xfff
	v_mul_f32_e32 v19, v20, v19
	s_delay_alu instid0(VALU_DEP_1) | instskip(NEXT) | instid1(VALU_DEP_1)
	v_fmac_f32_e32 v19, -0.5, v18
	v_add_f32_e32 v16, v16, v19
.LBB14_32:                              ;   in Loop: Header=BB14_4 Depth=1
	s_or_b32 exec_lo, exec_lo, s10
                                        ; implicit-def: $vgpr18
.LBB14_33:                              ;   in Loop: Header=BB14_4 Depth=1
	s_and_not1_saveexec_b32 s5, s9
	s_cbranch_execz .LBB14_35
; %bb.34:                               ;   in Loop: Header=BB14_4 Depth=1
	v_mul_f32_e32 v19, v18, v18
	s_delay_alu instid0(VALU_DEP_1) | instskip(NEXT) | instid1(VALU_DEP_1)
	v_mul_f32_e32 v20, v18, v19
	v_fmaak_f32 v22, s31, v20, 0xba0d3085
	v_fmaak_f32 v21, s30, v20, 0x3a66f867
	;; [unrolled: 1-line block ×3, first 2 shown]
	s_delay_alu instid0(VALU_DEP_3) | instskip(NEXT) | instid1(VALU_DEP_3)
	v_fmaak_f32 v22, v20, v22, 0x3b141699
	v_fmaak_f32 v21, v20, v21, 0xbb7177fe
	s_delay_alu instid0(VALU_DEP_3) | instskip(NEXT) | instid1(VALU_DEP_3)
	v_fmaak_f32 v23, v20, v23, 0x3bc7e707
	v_fmaak_f32 v22, v20, v22, 0xbc28fcfe
	;; [unrolled: 3-line block ×4, first 2 shown]
	s_delay_alu instid0(VALU_DEP_1) | instskip(NEXT) | instid1(VALU_DEP_1)
	v_dual_fmac_f32 v21, v18, v22 :: v_dual_fmaak_f32 v18, v20, v23, 0x3ef7b95e
	v_fma_f32 v20, v20, -v21, 0xa2863e55
	s_delay_alu instid0(VALU_DEP_1) | instskip(NEXT) | instid1(VALU_DEP_1)
	v_fma_f32 v18, v19, v18, -v20
	v_add_f32_e32 v18, 0xbdf8cdce, v18
	s_delay_alu instid0(VALU_DEP_1)
	v_add_f32_e32 v16, v16, v18
.LBB14_35:                              ;   in Loop: Header=BB14_4 Depth=1
	s_or_b32 exec_lo, exec_lo, s5
                                        ; implicit-def: $vgpr19
                                        ; implicit-def: $vgpr18
.LBB14_36:                              ;   in Loop: Header=BB14_4 Depth=1
	s_and_not1_saveexec_b32 s6, s6
	s_cbranch_execz .LBB14_40
; %bb.37:                               ;   in Loop: Header=BB14_4 Depth=1
	s_mov_b32 s9, exec_lo
	v_cmpx_eq_u32_e32 0, v19
	s_cbranch_execz .LBB14_39
; %bb.38:                               ;   in Loop: Header=BB14_4 Depth=1
	v_mul_f32_e32 v19, v18, v18
	s_delay_alu instid0(VALU_DEP_1) | instskip(NEXT) | instid1(VALU_DEP_1)
	v_fmaak_f32 v21, s33, v19, 0x39679767
	v_fmaak_f32 v21, v19, v21, 0x3a9c54a1
	s_delay_alu instid0(VALU_DEP_1) | instskip(NEXT) | instid1(VALU_DEP_1)
	v_fmaak_f32 v21, v19, v21, 0x3bf2027e
	v_fmaak_f32 v21, v19, v21, 0x3d89f001
	s_delay_alu instid0(VALU_DEP_1) | instskip(SKIP_1) | instid1(VALU_DEP_1)
	v_fmaak_f32 v21, v19, v21, 0x3d9e233f
	v_fmaak_f32 v20, s34, v19, 0x38e28445
	;; [unrolled: 1-line block ×3, first 2 shown]
	s_delay_alu instid0(VALU_DEP_1) | instskip(NEXT) | instid1(VALU_DEP_1)
	v_fmaak_f32 v20, v19, v20, 0x3b3d6ec6
	v_fmaak_f32 v20, v19, v20, 0x3ca89915
	s_delay_alu instid0(VALU_DEP_1) | instskip(NEXT) | instid1(VALU_DEP_1)
	v_fmaak_f32 v20, v19, v20, 0x3ea51a66
	v_mul_f32_e32 v19, v19, v20
	s_delay_alu instid0(VALU_DEP_1) | instskip(NEXT) | instid1(VALU_DEP_1)
	v_fmac_f32_e32 v19, v18, v21
	v_fmac_f32_e32 v19, -0.5, v18
	s_delay_alu instid0(VALU_DEP_1)
	v_add_f32_e32 v16, v16, v19
.LBB14_39:                              ;   in Loop: Header=BB14_4 Depth=1
	s_or_b32 exec_lo, exec_lo, s9
.LBB14_40:                              ;   in Loop: Header=BB14_4 Depth=1
	s_delay_alu instid0(SALU_CYCLE_1)
	s_or_b32 exec_lo, exec_lo, s6
.LBB14_41:                              ;   in Loop: Header=BB14_4 Depth=1
	s_delay_alu instid0(SALU_CYCLE_1)
	s_or_b32 exec_lo, exec_lo, s8
.LBB14_42:                              ;   in Loop: Header=BB14_4 Depth=1
	s_and_not1_saveexec_b32 s6, s7
	s_cbranch_execz .LBB14_44
; %bb.43:                               ;   in Loop: Header=BB14_4 Depth=1
	v_cmp_gt_f32_e64 s7, 0x800000, |v15|
	v_fma_f32 v20, |v15|, s35, 0xbecd26ab
	s_delay_alu instid0(VALU_DEP_2) | instskip(NEXT) | instid1(VALU_DEP_1)
	v_cndmask_b32_e64 v16, 1.0, 0x4f800000, s7
	v_mul_f32_e64 v16, |v15|, v16
	s_delay_alu instid0(VALU_DEP_1) | instskip(SKIP_3) | instid1(VALU_DEP_2)
	v_log_f32_e32 v16, v16
	s_waitcnt_depctr 0xfff
	v_mul_f32_e32 v18, 0x3f317217, v16
	v_cmp_gt_f32_e64 s5, 0x7f800000, |v16|
	v_fma_f32 v19, 0x3f317217, v16, -v18
	s_delay_alu instid0(VALU_DEP_1) | instskip(NEXT) | instid1(VALU_DEP_1)
	v_fmac_f32_e32 v19, 0x3377d1cf, v16
	v_add_f32_e32 v18, v18, v19
	v_fma_f32 v19, |v15|, v20, 0x3f528d33
	s_delay_alu instid0(VALU_DEP_2) | instskip(SKIP_1) | instid1(VALU_DEP_3)
	v_cndmask_b32_e64 v16, v16, v18, s5
	v_cndmask_b32_e64 v18, 0, 0x41b17218, s7
	v_fma_f32 v19, |v15|, v19, 0xbf13c468
	s_delay_alu instid0(VALU_DEP_2) | instskip(NEXT) | instid1(VALU_DEP_1)
	v_sub_f32_e32 v16, v16, v18
	v_fma_f32 v16, |v15|, v19, -v16
.LBB14_44:                              ;   in Loop: Header=BB14_4 Depth=1
	s_or_b32 exec_lo, exec_lo, s6
	v_cmp_le_f16_e64 s5, 0, v14
	s_mov_b32 s7, exec_lo
	v_cmpx_nle_f16_e32 0, v14
	s_xor_b32 s8, exec_lo, s7
	s_cbranch_execz .LBB14_48
; %bb.45:                               ;   in Loop: Header=BB14_4 Depth=1
	v_cmp_gt_f32_e64 s6, 0x4b000000, |v15|
	v_cmp_lt_f32_e64 s7, 0x35000000, |v15|
	s_delay_alu instid0(VALU_DEP_1) | instskip(NEXT) | instid1(SALU_CYCLE_1)
	s_and_b32 s6, s6, s7
	s_and_saveexec_b32 s9, s6
	s_cbranch_execz .LBB14_47
; %bb.46:                               ;   in Loop: Header=BB14_4 Depth=1
	v_mul_f32_e64 v18, |v15|, 0.5
	v_xor_b32_e32 v17, v17, v15
	s_delay_alu instid0(VALU_DEP_2) | instskip(SKIP_1) | instid1(VALU_DEP_2)
	v_floor_f32_e32 v19, v18
	v_cmp_neq_f32_e64 s6, 0x7f800000, v18
	v_sub_f32_e32 v19, v18, v19
	s_delay_alu instid0(VALU_DEP_1) | instskip(NEXT) | instid1(VALU_DEP_1)
	v_min_f32_e32 v19, 0x3f7fffff, v19
	v_add_f32_e32 v19, v19, v19
	s_delay_alu instid0(VALU_DEP_1) | instskip(SKIP_1) | instid1(VALU_DEP_1)
	v_cndmask_b32_e64 v18, 0, v19, s6
	v_cmp_gt_f32_e64 s6, |v15|, 1.0
	v_cndmask_b32_e64 v18, |v15|, v18, s6
	s_delay_alu instid0(VALU_DEP_1) | instskip(NEXT) | instid1(VALU_DEP_1)
	v_add_f32_e32 v19, v18, v18
	v_rndne_f32_e32 v19, v19
	s_delay_alu instid0(VALU_DEP_1) | instskip(SKIP_1) | instid1(VALU_DEP_2)
	v_fmac_f32_e32 v18, -0.5, v19
	v_cvt_i32_f32_e32 v19, v19
	v_mul_f32_e32 v20, v18, v18
	s_delay_alu instid0(VALU_DEP_1) | instskip(SKIP_1) | instid1(VALU_DEP_2)
	v_fmaak_f32 v21, s36, v20, 0xbf1f24be
	v_fmaak_f32 v22, s37, v20, 0x3e642e9d
	;; [unrolled: 1-line block ×3, first 2 shown]
	s_delay_alu instid0(VALU_DEP_2) | instskip(NEXT) | instid1(VALU_DEP_2)
	v_dual_fmaak_f32 v22, v20, v22, 0xbfaad1da :: v_dual_mul_f32 v23, v18, v20
	v_fmaak_f32 v21, v20, v21, 0xc0a55e0e
	s_delay_alu instid0(VALU_DEP_1) | instskip(NEXT) | instid1(VALU_DEP_1)
	v_dual_fmaak_f32 v22, v20, v22, 0x4081e0d3 :: v_dual_mul_f32 v21, v23, v21
	v_dual_fmaak_f32 v22, v20, v22, 0xc09de9e6 :: v_dual_and_b32 v23, 1, v19
	v_lshlrev_b32_e32 v19, 30, v19
	s_delay_alu instid0(VALU_DEP_3) | instskip(NEXT) | instid1(VALU_DEP_3)
	v_fmac_f32_e32 v21, 0x40490fdb, v18
	v_fma_f32 v18, v20, v22, 1.0
	s_delay_alu instid0(VALU_DEP_4) | instskip(NEXT) | instid1(VALU_DEP_4)
	v_cmp_eq_u32_e64 s6, 0, v23
	v_and_b32_e32 v19, 0x80000000, v19
	s_delay_alu instid0(VALU_DEP_2) | instskip(NEXT) | instid1(VALU_DEP_1)
	v_cndmask_b32_e64 v18, v18, v21, s6
	v_xor3_b32 v17, v17, v19, v18
	s_delay_alu instid0(VALU_DEP_1) | instskip(NEXT) | instid1(VALU_DEP_1)
	v_mul_f32_e32 v17, v15, v17
	v_frexp_mant_f32_e64 v18, |v17|
	v_frexp_exp_i32_f32_e32 v17, v17
	s_delay_alu instid0(VALU_DEP_2) | instskip(NEXT) | instid1(VALU_DEP_1)
	v_rcp_f32_e32 v18, v18
	v_sub_nc_u32_e32 v17, 2, v17
	s_waitcnt_depctr 0xfff
	v_mul_f32_e32 v18, 0x3f490fdb, v18
	s_delay_alu instid0(VALU_DEP_1) | instskip(NEXT) | instid1(VALU_DEP_1)
	v_ldexp_f32 v17, v18, v17
	v_cmp_gt_f32_e64 s6, 0x800000, v17
	s_delay_alu instid0(VALU_DEP_1) | instskip(NEXT) | instid1(VALU_DEP_1)
	v_cndmask_b32_e64 v18, 1.0, 0x4f800000, s6
	v_mul_f32_e32 v17, v17, v18
	s_delay_alu instid0(VALU_DEP_1) | instskip(SKIP_3) | instid1(VALU_DEP_2)
	v_log_f32_e32 v17, v17
	s_waitcnt_depctr 0xfff
	v_mul_f32_e32 v18, 0x3f317217, v17
	v_cmp_gt_f32_e64 s7, 0x7f800000, |v17|
	v_fma_f32 v19, 0x3f317217, v17, -v18
	s_delay_alu instid0(VALU_DEP_1) | instskip(NEXT) | instid1(VALU_DEP_1)
	v_fmac_f32_e32 v19, 0x3377d1cf, v17
	v_add_f32_e32 v18, v18, v19
	v_floor_f32_e32 v19, v15
	s_delay_alu instid0(VALU_DEP_2) | instskip(SKIP_1) | instid1(VALU_DEP_3)
	v_cndmask_b32_e64 v17, v17, v18, s7
	v_cndmask_b32_e64 v18, 0, 0x41b17218, s6
	v_sub_f32_e32 v19, v15, v19
	s_delay_alu instid0(VALU_DEP_1) | instskip(NEXT) | instid1(VALU_DEP_1)
	v_dual_sub_f32 v17, v17, v18 :: v_dual_min_f32 v18, 0x3f7fffff, v19
	v_sub_f32_e32 v16, v17, v16
	s_delay_alu instid0(VALU_DEP_2) | instskip(NEXT) | instid1(VALU_DEP_1)
	v_cmp_neq_f32_e64 s6, 0, v18
	v_cndmask_b32_e64 v16, 0x7f800000, v16, s6
.LBB14_47:                              ;   in Loop: Header=BB14_4 Depth=1
	s_or_b32 exec_lo, exec_lo, s9
.LBB14_48:                              ;   in Loop: Header=BB14_4 Depth=1
	s_and_not1_saveexec_b32 s8, s8
; %bb.49:                               ;   in Loop: Header=BB14_4 Depth=1
	v_cmp_eq_f16_e64 s6, 1.0, v14
	v_cmp_eq_f16_e64 s7, 2.0, v14
	s_delay_alu instid0(VALU_DEP_1) | instskip(NEXT) | instid1(SALU_CYCLE_1)
	s_or_b32 s6, s6, s7
	v_cndmask_b32_e64 v16, v16, 0, s6
; %bb.50:                               ;   in Loop: Header=BB14_4 Depth=1
	s_or_b32 exec_lo, exec_lo, s8
	v_cvt_f32_f16_e32 v17, v12
                                        ; implicit-def: $vgpr18
	s_mov_b32 s7, exec_lo
	s_delay_alu instid0(VALU_DEP_1)
	v_and_b32_e32 v19, 0x7fffffff, v17
	v_cmpx_ngt_f32_e64 0x3c800000, |v17|
	s_xor_b32 s8, exec_lo, s7
	s_cbranch_execz .LBB14_80
; %bb.51:                               ;   in Loop: Header=BB14_4 Depth=1
                                        ; implicit-def: $vgpr18
	s_mov_b32 s7, exec_lo
	v_cmpx_nlt_f32_e64 |v17|, 2.0
	s_xor_b32 s9, exec_lo, s7
	s_cbranch_execz .LBB14_61
; %bb.52:                               ;   in Loop: Header=BB14_4 Depth=1
	s_mov_b32 s7, exec_lo
                                        ; implicit-def: $vgpr18
	v_cmpx_ngt_f32_e64 0x41000000, |v17|
	s_xor_b32 s7, exec_lo, s7
	s_cbranch_execz .LBB14_58
; %bb.53:                               ;   in Loop: Header=BB14_4 Depth=1
	s_mov_b32 s10, exec_lo
                                        ; implicit-def: $vgpr18
	v_cmpx_ngt_f32_e64 0x5c800000, |v17|
	s_xor_b32 s10, exec_lo, s10
	s_cbranch_execz .LBB14_55
; %bb.54:                               ;   in Loop: Header=BB14_4 Depth=1
	v_cmp_gt_f32_e64 s38, 0x800000, |v17|
	s_delay_alu instid0(VALU_DEP_1) | instskip(NEXT) | instid1(VALU_DEP_1)
	v_cndmask_b32_e64 v18, 1.0, 0x4f800000, s38
	v_mul_f32_e64 v18, |v17|, v18
	s_delay_alu instid0(VALU_DEP_1) | instskip(SKIP_3) | instid1(VALU_DEP_2)
	v_log_f32_e32 v18, v18
	s_waitcnt_depctr 0xfff
	v_mul_f32_e32 v20, 0x3f317217, v18
	v_cmp_gt_f32_e64 s6, 0x7f800000, |v18|
	v_fma_f32 v21, 0x3f317217, v18, -v20
	s_delay_alu instid0(VALU_DEP_1) | instskip(NEXT) | instid1(VALU_DEP_1)
	v_fmac_f32_e32 v21, 0x3377d1cf, v18
	v_add_f32_e32 v20, v20, v21
	s_delay_alu instid0(VALU_DEP_1) | instskip(SKIP_1) | instid1(VALU_DEP_1)
	v_cndmask_b32_e64 v18, v18, v20, s6
	v_cndmask_b32_e64 v20, 0, 0x41b17218, s38
	v_sub_f32_e32 v18, v18, v20
	s_delay_alu instid0(VALU_DEP_1)
	v_fma_f32 v18, |v17|, v18, -|v17|
.LBB14_55:                              ;   in Loop: Header=BB14_4 Depth=1
	s_and_not1_saveexec_b32 s10, s10
	s_cbranch_execz .LBB14_57
; %bb.56:                               ;   in Loop: Header=BB14_4 Depth=1
	v_cmp_gt_f32_e64 s38, 0x800000, |v17|
	v_rcp_f32_e64 v20, |v17|
	s_delay_alu instid0(VALU_DEP_1) | instskip(NEXT) | instid1(VALU_DEP_1)
	v_cndmask_b32_e64 v18, 1.0, 0x4f800000, s38
	v_mul_f32_e64 v18, |v17|, v18
	s_delay_alu instid0(VALU_DEP_1) | instskip(SKIP_3) | instid1(VALU_DEP_2)
	v_log_f32_e32 v18, v18
	s_waitcnt_depctr 0xfff
	v_dual_mul_f32 v21, v20, v20 :: v_dual_mul_f32 v22, 0x3f317217, v18
	v_cmp_gt_f32_e64 s6, 0x7f800000, |v18|
	v_fma_f32 v24, 0x3f317217, v18, -v22
	s_delay_alu instid0(VALU_DEP_1) | instskip(NEXT) | instid1(VALU_DEP_1)
	v_fmac_f32_e32 v24, 0x3377d1cf, v18
	v_dual_fmaak_f32 v23, s24, v21, 0x3a5b3dd2 :: v_dual_add_f32 v22, v22, v24
	s_delay_alu instid0(VALU_DEP_1) | instskip(SKIP_1) | instid1(VALU_DEP_1)
	v_cndmask_b32_e64 v18, v18, v22, s6
	v_cndmask_b32_e64 v22, 0, 0x41b17218, s38
	v_dual_fmaak_f32 v23, v21, v23, 0xba1c065c :: v_dual_sub_f32 v22, v18, v22
	s_delay_alu instid0(VALU_DEP_1) | instskip(NEXT) | instid1(VALU_DEP_1)
	v_fmaak_f32 v23, v21, v23, 0x3a500cfd
	v_fmaak_f32 v23, v21, v23, 0xbb360b61
	s_delay_alu instid0(VALU_DEP_1) | instskip(NEXT) | instid1(VALU_DEP_1)
	v_fmaak_f32 v21, v21, v23, 0x3daaaaab
	v_dual_fmaak_f32 v18, v20, v21, 0x3ed67f1d :: v_dual_add_f32 v21, -1.0, v22
	v_add_f32_e64 v20, |v17|, -0.5
	s_delay_alu instid0(VALU_DEP_1)
	v_fmac_f32_e32 v18, v20, v21
.LBB14_57:                              ;   in Loop: Header=BB14_4 Depth=1
	s_or_b32 exec_lo, exec_lo, s10
.LBB14_58:                              ;   in Loop: Header=BB14_4 Depth=1
	s_and_not1_saveexec_b32 s10, s7
	s_cbranch_execz .LBB14_60
; %bb.59:                               ;   in Loop: Header=BB14_4 Depth=1
	v_cvt_i32_f32_e32 v18, v19
	s_delay_alu instid0(VALU_DEP_1) | instskip(SKIP_1) | instid1(VALU_DEP_2)
	v_cvt_f32_i32_e32 v20, v18
	v_cmp_lt_i32_e64 s6, 2, v18
	v_sub_f32_e64 v20, |v17|, v20
	s_delay_alu instid0(VALU_DEP_1) | instskip(SKIP_2) | instid1(VALU_DEP_3)
	v_add_f32_e32 v21, 2.0, v20
	v_add_f32_e32 v22, 0x40400000, v20
	v_add_f32_e32 v23, 4.0, v20
	v_cndmask_b32_e64 v21, 1.0, v21, s6
	v_cmp_lt_i32_e64 s6, 3, v18
	s_delay_alu instid0(VALU_DEP_1) | instskip(SKIP_1) | instid1(VALU_DEP_2)
	v_cndmask_b32_e64 v22, 1.0, v22, s6
	v_cmp_lt_i32_e64 s6, 4, v18
	v_dual_add_f32 v24, 0x40a00000, v20 :: v_dual_mul_f32 v21, v21, v22
	s_delay_alu instid0(VALU_DEP_2) | instskip(SKIP_1) | instid1(VALU_DEP_2)
	v_cndmask_b32_e64 v23, 1.0, v23, s6
	v_cmp_lt_i32_e64 s6, 5, v18
	v_mul_f32_e32 v21, v23, v21
	s_delay_alu instid0(VALU_DEP_2) | instskip(SKIP_3) | instid1(VALU_DEP_4)
	v_cndmask_b32_e64 v24, 1.0, v24, s6
	v_add_f32_e32 v22, 0x40c00000, v20
	v_cmp_lt_i32_e64 s6, 6, v18
	v_fmaak_f32 v23, s25, v20, 0x3af135b4
	v_mul_f32_e32 v21, v24, v21
	s_delay_alu instid0(VALU_DEP_3) | instskip(NEXT) | instid1(VALU_DEP_1)
	v_cndmask_b32_e64 v18, 1.0, v22, s6
	v_mul_f32_e32 v18, v18, v21
	s_delay_alu instid0(VALU_DEP_1) | instskip(NEXT) | instid1(VALU_DEP_1)
	v_cmp_gt_f32_e64 s6, 0x800000, v18
	v_cndmask_b32_e64 v22, 1.0, 0x4f800000, s6
	s_delay_alu instid0(VALU_DEP_1) | instskip(SKIP_1) | instid1(VALU_DEP_2)
	v_mul_f32_e32 v18, v18, v22
	v_fmaak_f32 v22, v20, v23, 0x3cda40e4
	v_log_f32_e32 v18, v18
	s_waitcnt_depctr 0xfff
	v_mul_f32_e32 v23, 0x3f317217, v18
	v_cmp_gt_f32_e64 s7, 0x7f800000, |v18|
	s_delay_alu instid0(VALU_DEP_2) | instskip(NEXT) | instid1(VALU_DEP_1)
	v_fma_f32 v24, 0x3f317217, v18, -v23
	v_fmac_f32_e32 v24, 0x3377d1cf, v18
	s_delay_alu instid0(VALU_DEP_1) | instskip(NEXT) | instid1(VALU_DEP_1)
	v_dual_add_f32 v23, v23, v24 :: v_dual_fmaak_f32 v22, v20, v22, 0x3e15dce6
	v_cndmask_b32_e64 v18, v18, v23, s7
	s_delay_alu instid0(VALU_DEP_2) | instskip(NEXT) | instid1(VALU_DEP_1)
	v_fmaak_f32 v22, v20, v22, 0x3ea6cc7a
	v_fmaak_f32 v22, v20, v22, 0x3e5c245a
	s_delay_alu instid0(VALU_DEP_1) | instskip(NEXT) | instid1(VALU_DEP_1)
	v_fmaak_f32 v22, v20, v22, 0xbd9e233f
	v_dual_fmaak_f32 v21, s26, v20, 0x3a4beed6 :: v_dual_mul_f32 v22, v20, v22
	s_delay_alu instid0(VALU_DEP_1) | instskip(NEXT) | instid1(VALU_DEP_1)
	v_fmaak_f32 v21, v20, v21, 0x3c98bf54
	v_fmaak_f32 v21, v20, v21, 0x3e300f6e
	s_delay_alu instid0(VALU_DEP_1) | instskip(NEXT) | instid1(VALU_DEP_1)
	v_fmaak_f32 v21, v20, v21, 0x3f38d0c5
	v_fmaak_f32 v21, v20, v21, 0x3fb22d3b
	s_delay_alu instid0(VALU_DEP_1) | instskip(NEXT) | instid1(VALU_DEP_1)
	v_fma_f32 v21, v20, v21, 1.0
	v_rcp_f32_e32 v21, v21
	s_waitcnt_depctr 0xfff
	v_mul_f32_e32 v21, v22, v21
	v_cndmask_b32_e64 v22, 0, 0x41b17218, s6
	s_delay_alu instid0(VALU_DEP_1) | instskip(NEXT) | instid1(VALU_DEP_1)
	v_dual_fmac_f32 v21, 0.5, v20 :: v_dual_sub_f32 v18, v18, v22
	v_add_f32_e32 v18, v18, v21
.LBB14_60:                              ;   in Loop: Header=BB14_4 Depth=1
	s_or_b32 exec_lo, exec_lo, s10
.LBB14_61:                              ;   in Loop: Header=BB14_4 Depth=1
	s_and_not1_saveexec_b32 s9, s9
	s_cbranch_execz .LBB14_79
; %bb.62:                               ;   in Loop: Header=BB14_4 Depth=1
                                        ; implicit-def: $vgpr18
                                        ; implicit-def: $vgpr21
                                        ; implicit-def: $vgpr20
	s_mov_b32 s7, exec_lo
	v_cmpx_ge_f32_e64 0x3f666666, |v17|
	s_xor_b32 s10, exec_lo, s7
	s_cbranch_execz .LBB14_64
; %bb.63:                               ;   in Loop: Header=BB14_4 Depth=1
	v_cmp_gt_f32_e64 s7, 0x800000, |v17|
	v_sub_f32_e64 v22, 1.0, |v17|
	v_cmp_gt_f32_e64 s6, 0x3f3b4a23, |v17|
	s_delay_alu instid0(VALU_DEP_3) | instskip(SKIP_1) | instid1(VALU_DEP_2)
	v_cndmask_b32_e64 v18, 1.0, 0x4f800000, s7
	v_cndmask_b32_e64 v23, 0, 0x41b17218, s7
	v_mul_f32_e64 v18, |v17|, v18
	s_delay_alu instid0(VALU_DEP_1) | instskip(SKIP_3) | instid1(VALU_DEP_2)
	v_log_f32_e32 v18, v18
	s_waitcnt_depctr 0xfff
	v_mul_f32_e32 v20, 0x3f317217, v18
	v_cmp_gt_f32_e64 s7, 0x7f800000, |v18|
	v_fma_f32 v21, 0x3f317217, v18, -v20
	s_delay_alu instid0(VALU_DEP_1) | instskip(NEXT) | instid1(VALU_DEP_1)
	v_fmac_f32_e32 v21, 0x3377d1cf, v18
	v_add_f32_e32 v20, v20, v21
	v_add_f32_e64 v21, 0xbeec5b0c, |v17|
	s_delay_alu instid0(VALU_DEP_2) | instskip(NEXT) | instid1(VALU_DEP_2)
	v_cndmask_b32_e64 v18, v18, v20, s7
	v_cndmask_b32_e64 v20, v22, v21, s6
	;; [unrolled: 1-line block ×3, first 2 shown]
	v_cmp_gt_f32_e64 s6, 0x3e6d3309, |v17|
	s_delay_alu instid0(VALU_DEP_4) | instskip(NEXT) | instid1(VALU_DEP_2)
	v_sub_f32_e32 v18, v18, v23
	v_cndmask_b32_e64 v20, v20, |v17|, s6
	s_delay_alu instid0(VALU_DEP_4) | instskip(NEXT) | instid1(VALU_DEP_3)
	v_cndmask_b32_e64 v21, v21, 2, s6
	v_xor_b32_e32 v18, 0x80000000, v18
.LBB14_64:                              ;   in Loop: Header=BB14_4 Depth=1
	s_and_not1_saveexec_b32 s7, s10
; %bb.65:                               ;   in Loop: Header=BB14_4 Depth=1
	v_sub_f32_e64 v18, 2.0, |v17|
	v_add_f32_e64 v20, 0xbfbb16c3, |v17|
	v_cmp_gt_f32_e64 s6, 0x3fdda512, |v17|
	v_add_f32_e64 v21, |v17|, -1.0
	s_delay_alu instid0(VALU_DEP_2) | instskip(SKIP_2) | instid1(VALU_DEP_2)
	v_cndmask_b32_e64 v20, v18, v20, s6
	v_cndmask_b32_e64 v18, v18, 1.0, s6
	v_cmp_gt_f32_e64 s6, 0x3f9d70a4, |v17|
	v_cvt_i32_f32_e32 v18, v18
	s_delay_alu instid0(VALU_DEP_2) | instskip(NEXT) | instid1(VALU_DEP_2)
	v_cndmask_b32_e64 v20, v20, v21, s6
	v_cndmask_b32_e64 v21, v18, 2, s6
	v_mov_b32_e32 v18, 0
; %bb.66:                               ;   in Loop: Header=BB14_4 Depth=1
	s_or_b32 exec_lo, exec_lo, s7
	s_delay_alu instid0(SALU_CYCLE_1) | instskip(NEXT) | instid1(VALU_DEP_2)
	s_mov_b32 s7, exec_lo
	v_cmpx_lt_i32_e32 0, v21
	s_xor_b32 s7, exec_lo, s7
	s_cbranch_execz .LBB14_74
; %bb.67:                               ;   in Loop: Header=BB14_4 Depth=1
	s_mov_b32 s10, exec_lo
	v_cmpx_lt_i32_e32 1, v21
	s_xor_b32 s10, exec_lo, s10
	s_cbranch_execz .LBB14_71
; %bb.68:                               ;   in Loop: Header=BB14_4 Depth=1
	s_mov_b32 s38, exec_lo
	v_cmpx_eq_u32_e32 2, v21
	s_cbranch_execz .LBB14_70
; %bb.69:                               ;   in Loop: Header=BB14_4 Depth=1
	v_fmaak_f32 v22, s27, v20, 0x3e6a7578
	s_delay_alu instid0(VALU_DEP_1) | instskip(NEXT) | instid1(VALU_DEP_1)
	v_fmaak_f32 v22, v20, v22, 0x3f7a4bb2
	v_fmaak_f32 v22, v20, v22, 0x3fba3ae7
	s_delay_alu instid0(VALU_DEP_1) | instskip(NEXT) | instid1(VALU_DEP_1)
	v_fmaak_f32 v22, v20, v22, 0x3f2200f4
	v_fmaak_f32 v22, v20, v22, 0xbd9e233f
	s_delay_alu instid0(VALU_DEP_1) | instskip(NEXT) | instid1(VALU_DEP_1)
	v_dual_fmaak_f32 v21, s28, v20, 0x3dd572af :: v_dual_mul_f32 v22, v20, v22
	v_fmaak_f32 v21, v20, v21, 0x3f44efdf
	s_delay_alu instid0(VALU_DEP_1) | instskip(NEXT) | instid1(VALU_DEP_1)
	v_fmaak_f32 v21, v20, v21, 0x4008392d
	v_fmaak_f32 v21, v20, v21, 0x401d2ebe
	s_delay_alu instid0(VALU_DEP_1) | instskip(NEXT) | instid1(VALU_DEP_1)
	v_fma_f32 v21, v20, v21, 1.0
	v_rcp_f32_e32 v21, v21
	s_waitcnt_depctr 0xfff
	v_mul_f32_e32 v21, v22, v21
	s_delay_alu instid0(VALU_DEP_1) | instskip(NEXT) | instid1(VALU_DEP_1)
	v_fmac_f32_e32 v21, -0.5, v20
	v_add_f32_e32 v18, v18, v21
.LBB14_70:                              ;   in Loop: Header=BB14_4 Depth=1
	s_or_b32 exec_lo, exec_lo, s38
                                        ; implicit-def: $vgpr20
.LBB14_71:                              ;   in Loop: Header=BB14_4 Depth=1
	s_and_not1_saveexec_b32 s6, s10
	s_cbranch_execz .LBB14_73
; %bb.72:                               ;   in Loop: Header=BB14_4 Depth=1
	v_mul_f32_e32 v21, v20, v20
	s_delay_alu instid0(VALU_DEP_1) | instskip(NEXT) | instid1(VALU_DEP_1)
	v_mul_f32_e32 v22, v20, v21
	v_fmaak_f32 v24, s31, v22, 0xba0d3085
	v_fmaak_f32 v23, s30, v22, 0x3a66f867
	;; [unrolled: 1-line block ×3, first 2 shown]
	s_delay_alu instid0(VALU_DEP_3) | instskip(NEXT) | instid1(VALU_DEP_3)
	v_fmaak_f32 v24, v22, v24, 0x3b141699
	v_fmaak_f32 v23, v22, v23, 0xbb7177fe
	s_delay_alu instid0(VALU_DEP_3) | instskip(NEXT) | instid1(VALU_DEP_3)
	v_fmaak_f32 v25, v22, v25, 0x3bc7e707
	v_fmaak_f32 v24, v22, v24, 0xbc28fcfe
	;; [unrolled: 3-line block ×4, first 2 shown]
	s_delay_alu instid0(VALU_DEP_1) | instskip(NEXT) | instid1(VALU_DEP_1)
	v_dual_fmac_f32 v23, v20, v24 :: v_dual_fmaak_f32 v20, v22, v25, 0x3ef7b95e
	v_fma_f32 v22, v22, -v23, 0xa2863e55
	s_delay_alu instid0(VALU_DEP_1) | instskip(NEXT) | instid1(VALU_DEP_1)
	v_fma_f32 v20, v21, v20, -v22
	v_add_f32_e32 v20, 0xbdf8cdce, v20
	s_delay_alu instid0(VALU_DEP_1)
	v_add_f32_e32 v18, v18, v20
.LBB14_73:                              ;   in Loop: Header=BB14_4 Depth=1
	s_or_b32 exec_lo, exec_lo, s6
                                        ; implicit-def: $vgpr21
                                        ; implicit-def: $vgpr20
.LBB14_74:                              ;   in Loop: Header=BB14_4 Depth=1
	s_and_not1_saveexec_b32 s7, s7
	s_cbranch_execz .LBB14_78
; %bb.75:                               ;   in Loop: Header=BB14_4 Depth=1
	s_mov_b32 s10, exec_lo
	v_cmpx_eq_u32_e32 0, v21
	s_cbranch_execz .LBB14_77
; %bb.76:                               ;   in Loop: Header=BB14_4 Depth=1
	v_mul_f32_e32 v21, v20, v20
	s_delay_alu instid0(VALU_DEP_1) | instskip(NEXT) | instid1(VALU_DEP_1)
	v_fmaak_f32 v23, s33, v21, 0x39679767
	v_fmaak_f32 v23, v21, v23, 0x3a9c54a1
	s_delay_alu instid0(VALU_DEP_1) | instskip(NEXT) | instid1(VALU_DEP_1)
	v_fmaak_f32 v23, v21, v23, 0x3bf2027e
	v_fmaak_f32 v23, v21, v23, 0x3d89f001
	s_delay_alu instid0(VALU_DEP_1) | instskip(SKIP_1) | instid1(VALU_DEP_1)
	v_fmaak_f32 v23, v21, v23, 0x3d9e233f
	v_fmaak_f32 v22, s34, v21, 0x38e28445
	;; [unrolled: 1-line block ×3, first 2 shown]
	s_delay_alu instid0(VALU_DEP_1) | instskip(NEXT) | instid1(VALU_DEP_1)
	v_fmaak_f32 v22, v21, v22, 0x3b3d6ec6
	v_fmaak_f32 v22, v21, v22, 0x3ca89915
	s_delay_alu instid0(VALU_DEP_1) | instskip(NEXT) | instid1(VALU_DEP_1)
	v_fmaak_f32 v22, v21, v22, 0x3ea51a66
	v_mul_f32_e32 v21, v21, v22
	s_delay_alu instid0(VALU_DEP_1) | instskip(NEXT) | instid1(VALU_DEP_1)
	v_fmac_f32_e32 v21, v20, v23
	v_fmac_f32_e32 v21, -0.5, v20
	s_delay_alu instid0(VALU_DEP_1)
	v_add_f32_e32 v18, v18, v21
.LBB14_77:                              ;   in Loop: Header=BB14_4 Depth=1
	s_or_b32 exec_lo, exec_lo, s10
.LBB14_78:                              ;   in Loop: Header=BB14_4 Depth=1
	s_delay_alu instid0(SALU_CYCLE_1)
	s_or_b32 exec_lo, exec_lo, s7
.LBB14_79:                              ;   in Loop: Header=BB14_4 Depth=1
	s_delay_alu instid0(SALU_CYCLE_1)
	s_or_b32 exec_lo, exec_lo, s9
.LBB14_80:                              ;   in Loop: Header=BB14_4 Depth=1
	s_and_not1_saveexec_b32 s7, s8
	s_cbranch_execz .LBB14_82
; %bb.81:                               ;   in Loop: Header=BB14_4 Depth=1
	v_cmp_gt_f32_e64 s8, 0x800000, |v17|
	v_fma_f32 v22, |v17|, s35, 0xbecd26ab
	s_delay_alu instid0(VALU_DEP_2) | instskip(NEXT) | instid1(VALU_DEP_1)
	v_cndmask_b32_e64 v18, 1.0, 0x4f800000, s8
	v_mul_f32_e64 v18, |v17|, v18
	s_delay_alu instid0(VALU_DEP_1) | instskip(SKIP_3) | instid1(VALU_DEP_2)
	v_log_f32_e32 v18, v18
	s_waitcnt_depctr 0xfff
	v_mul_f32_e32 v20, 0x3f317217, v18
	v_cmp_gt_f32_e64 s6, 0x7f800000, |v18|
	v_fma_f32 v21, 0x3f317217, v18, -v20
	s_delay_alu instid0(VALU_DEP_1) | instskip(NEXT) | instid1(VALU_DEP_1)
	v_fmac_f32_e32 v21, 0x3377d1cf, v18
	v_add_f32_e32 v20, v20, v21
	v_fma_f32 v21, |v17|, v22, 0x3f528d33
	s_delay_alu instid0(VALU_DEP_2) | instskip(SKIP_1) | instid1(VALU_DEP_3)
	v_cndmask_b32_e64 v18, v18, v20, s6
	v_cndmask_b32_e64 v20, 0, 0x41b17218, s8
	v_fma_f32 v21, |v17|, v21, 0xbf13c468
	s_delay_alu instid0(VALU_DEP_2) | instskip(NEXT) | instid1(VALU_DEP_1)
	v_sub_f32_e32 v18, v18, v20
	v_fma_f32 v18, |v17|, v21, -v18
.LBB14_82:                              ;   in Loop: Header=BB14_4 Depth=1
	s_or_b32 exec_lo, exec_lo, s7
	v_cmp_le_f16_e64 s6, 0, v12
	s_mov_b32 s8, exec_lo
	v_cmpx_nle_f16_e32 0, v12
	s_xor_b32 s9, exec_lo, s8
	s_cbranch_execz .LBB14_86
; %bb.83:                               ;   in Loop: Header=BB14_4 Depth=1
	v_cmp_gt_f32_e64 s7, 0x4b000000, |v17|
	v_cmp_lt_f32_e64 s8, 0x35000000, |v17|
	s_delay_alu instid0(VALU_DEP_1) | instskip(NEXT) | instid1(SALU_CYCLE_1)
	s_and_b32 s7, s7, s8
	s_and_saveexec_b32 s10, s7
	s_cbranch_execz .LBB14_85
; %bb.84:                               ;   in Loop: Header=BB14_4 Depth=1
	v_mul_f32_e64 v20, |v17|, 0.5
	v_xor_b32_e32 v19, v19, v17
	s_delay_alu instid0(VALU_DEP_2) | instskip(SKIP_1) | instid1(VALU_DEP_2)
	v_floor_f32_e32 v21, v20
	v_cmp_neq_f32_e64 s7, 0x7f800000, v20
	v_sub_f32_e32 v21, v20, v21
	s_delay_alu instid0(VALU_DEP_1) | instskip(NEXT) | instid1(VALU_DEP_1)
	v_min_f32_e32 v21, 0x3f7fffff, v21
	v_add_f32_e32 v21, v21, v21
	s_delay_alu instid0(VALU_DEP_1) | instskip(SKIP_1) | instid1(VALU_DEP_1)
	v_cndmask_b32_e64 v20, 0, v21, s7
	v_cmp_gt_f32_e64 s7, |v17|, 1.0
	v_cndmask_b32_e64 v20, |v17|, v20, s7
	s_delay_alu instid0(VALU_DEP_1) | instskip(NEXT) | instid1(VALU_DEP_1)
	v_add_f32_e32 v21, v20, v20
	v_rndne_f32_e32 v21, v21
	s_delay_alu instid0(VALU_DEP_1) | instskip(SKIP_1) | instid1(VALU_DEP_2)
	v_fmac_f32_e32 v20, -0.5, v21
	v_cvt_i32_f32_e32 v21, v21
	v_mul_f32_e32 v22, v20, v20
	s_delay_alu instid0(VALU_DEP_1) | instskip(SKIP_1) | instid1(VALU_DEP_2)
	v_fmaak_f32 v23, s36, v22, 0xbf1f24be
	v_fmaak_f32 v24, s37, v22, 0x3e642e9d
	;; [unrolled: 1-line block ×3, first 2 shown]
	s_delay_alu instid0(VALU_DEP_2) | instskip(NEXT) | instid1(VALU_DEP_2)
	v_dual_fmaak_f32 v24, v22, v24, 0xbfaad1da :: v_dual_mul_f32 v25, v20, v22
	v_fmaak_f32 v23, v22, v23, 0xc0a55e0e
	s_delay_alu instid0(VALU_DEP_1) | instskip(NEXT) | instid1(VALU_DEP_1)
	v_dual_fmaak_f32 v24, v22, v24, 0x4081e0d3 :: v_dual_mul_f32 v23, v25, v23
	v_dual_fmaak_f32 v24, v22, v24, 0xc09de9e6 :: v_dual_and_b32 v25, 1, v21
	v_lshlrev_b32_e32 v21, 30, v21
	s_delay_alu instid0(VALU_DEP_3) | instskip(NEXT) | instid1(VALU_DEP_3)
	v_fmac_f32_e32 v23, 0x40490fdb, v20
	v_fma_f32 v20, v22, v24, 1.0
	s_delay_alu instid0(VALU_DEP_4) | instskip(NEXT) | instid1(VALU_DEP_4)
	v_cmp_eq_u32_e64 s7, 0, v25
	v_and_b32_e32 v21, 0x80000000, v21
	s_delay_alu instid0(VALU_DEP_2) | instskip(NEXT) | instid1(VALU_DEP_1)
	v_cndmask_b32_e64 v20, v20, v23, s7
	v_xor3_b32 v19, v19, v21, v20
	s_delay_alu instid0(VALU_DEP_1) | instskip(NEXT) | instid1(VALU_DEP_1)
	v_mul_f32_e32 v19, v17, v19
	v_frexp_mant_f32_e64 v20, |v19|
	v_frexp_exp_i32_f32_e32 v19, v19
	s_delay_alu instid0(VALU_DEP_2) | instskip(NEXT) | instid1(VALU_DEP_1)
	v_rcp_f32_e32 v20, v20
	v_sub_nc_u32_e32 v19, 2, v19
	s_waitcnt_depctr 0xfff
	v_mul_f32_e32 v20, 0x3f490fdb, v20
	s_delay_alu instid0(VALU_DEP_1) | instskip(NEXT) | instid1(VALU_DEP_1)
	v_ldexp_f32 v19, v20, v19
	v_cmp_gt_f32_e64 s7, 0x800000, v19
	s_delay_alu instid0(VALU_DEP_1) | instskip(NEXT) | instid1(VALU_DEP_1)
	v_cndmask_b32_e64 v20, 1.0, 0x4f800000, s7
	v_mul_f32_e32 v19, v19, v20
	s_delay_alu instid0(VALU_DEP_1) | instskip(SKIP_3) | instid1(VALU_DEP_2)
	v_log_f32_e32 v19, v19
	s_waitcnt_depctr 0xfff
	v_mul_f32_e32 v20, 0x3f317217, v19
	v_cmp_gt_f32_e64 s8, 0x7f800000, |v19|
	v_fma_f32 v21, 0x3f317217, v19, -v20
	s_delay_alu instid0(VALU_DEP_1) | instskip(NEXT) | instid1(VALU_DEP_1)
	v_fmac_f32_e32 v21, 0x3377d1cf, v19
	v_add_f32_e32 v20, v20, v21
	v_floor_f32_e32 v21, v17
	s_delay_alu instid0(VALU_DEP_2) | instskip(SKIP_1) | instid1(VALU_DEP_3)
	v_cndmask_b32_e64 v19, v19, v20, s8
	v_cndmask_b32_e64 v20, 0, 0x41b17218, s7
	v_sub_f32_e32 v21, v17, v21
	s_delay_alu instid0(VALU_DEP_1) | instskip(NEXT) | instid1(VALU_DEP_1)
	v_dual_sub_f32 v19, v19, v20 :: v_dual_min_f32 v20, 0x3f7fffff, v21
	v_sub_f32_e32 v18, v19, v18
	s_delay_alu instid0(VALU_DEP_2) | instskip(NEXT) | instid1(VALU_DEP_1)
	v_cmp_neq_f32_e64 s7, 0, v20
	v_cndmask_b32_e64 v18, 0x7f800000, v18, s7
.LBB14_85:                              ;   in Loop: Header=BB14_4 Depth=1
	s_or_b32 exec_lo, exec_lo, s10
.LBB14_86:                              ;   in Loop: Header=BB14_4 Depth=1
	s_and_not1_saveexec_b32 s9, s9
; %bb.87:                               ;   in Loop: Header=BB14_4 Depth=1
	v_cmp_eq_f16_e64 s7, 1.0, v12
	v_cmp_eq_f16_e64 s8, 2.0, v12
	s_delay_alu instid0(VALU_DEP_1) | instskip(NEXT) | instid1(SALU_CYCLE_1)
	s_or_b32 s7, s7, s8
	v_cndmask_b32_e64 v18, v18, 0, s7
; %bb.88:                               ;   in Loop: Header=BB14_4 Depth=1
	s_or_b32 exec_lo, exec_lo, s9
	v_cvt_f32_f16_e32 v19, v13
                                        ; implicit-def: $vgpr20
	s_mov_b32 s8, exec_lo
	s_delay_alu instid0(VALU_DEP_1)
	v_and_b32_e32 v21, 0x7fffffff, v19
	v_cmpx_ngt_f32_e64 0x3c800000, |v19|
	s_xor_b32 s9, exec_lo, s8
	s_cbranch_execz .LBB14_118
; %bb.89:                               ;   in Loop: Header=BB14_4 Depth=1
                                        ; implicit-def: $vgpr20
	s_mov_b32 s8, exec_lo
	v_cmpx_nlt_f32_e64 |v19|, 2.0
	s_xor_b32 s10, exec_lo, s8
	s_cbranch_execz .LBB14_99
; %bb.90:                               ;   in Loop: Header=BB14_4 Depth=1
	s_mov_b32 s8, exec_lo
                                        ; implicit-def: $vgpr20
	v_cmpx_ngt_f32_e64 0x41000000, |v19|
	s_xor_b32 s8, exec_lo, s8
	s_cbranch_execz .LBB14_96
; %bb.91:                               ;   in Loop: Header=BB14_4 Depth=1
	s_mov_b32 s38, exec_lo
                                        ; implicit-def: $vgpr20
	v_cmpx_ngt_f32_e64 0x5c800000, |v19|
	s_xor_b32 s38, exec_lo, s38
	s_cbranch_execz .LBB14_93
; %bb.92:                               ;   in Loop: Header=BB14_4 Depth=1
	v_cmp_gt_f32_e64 s39, 0x800000, |v19|
	s_delay_alu instid0(VALU_DEP_1) | instskip(NEXT) | instid1(VALU_DEP_1)
	v_cndmask_b32_e64 v20, 1.0, 0x4f800000, s39
	v_mul_f32_e64 v20, |v19|, v20
	s_delay_alu instid0(VALU_DEP_1) | instskip(SKIP_3) | instid1(VALU_DEP_2)
	v_log_f32_e32 v20, v20
	s_waitcnt_depctr 0xfff
	v_mul_f32_e32 v22, 0x3f317217, v20
	v_cmp_gt_f32_e64 s7, 0x7f800000, |v20|
	v_fma_f32 v23, 0x3f317217, v20, -v22
	s_delay_alu instid0(VALU_DEP_1) | instskip(NEXT) | instid1(VALU_DEP_1)
	v_fmac_f32_e32 v23, 0x3377d1cf, v20
	v_add_f32_e32 v22, v22, v23
	s_delay_alu instid0(VALU_DEP_1) | instskip(SKIP_1) | instid1(VALU_DEP_1)
	v_cndmask_b32_e64 v20, v20, v22, s7
	v_cndmask_b32_e64 v22, 0, 0x41b17218, s39
	v_sub_f32_e32 v20, v20, v22
	s_delay_alu instid0(VALU_DEP_1)
	v_fma_f32 v20, |v19|, v20, -|v19|
.LBB14_93:                              ;   in Loop: Header=BB14_4 Depth=1
	s_and_not1_saveexec_b32 s38, s38
	s_cbranch_execz .LBB14_95
; %bb.94:                               ;   in Loop: Header=BB14_4 Depth=1
	v_cmp_gt_f32_e64 s39, 0x800000, |v19|
	v_rcp_f32_e64 v22, |v19|
	s_delay_alu instid0(VALU_DEP_1) | instskip(NEXT) | instid1(VALU_DEP_1)
	v_cndmask_b32_e64 v20, 1.0, 0x4f800000, s39
	v_mul_f32_e64 v20, |v19|, v20
	s_delay_alu instid0(VALU_DEP_1) | instskip(SKIP_3) | instid1(VALU_DEP_2)
	v_log_f32_e32 v20, v20
	s_waitcnt_depctr 0xfff
	v_dual_mul_f32 v23, v22, v22 :: v_dual_mul_f32 v24, 0x3f317217, v20
	v_cmp_gt_f32_e64 s7, 0x7f800000, |v20|
	v_fma_f32 v26, 0x3f317217, v20, -v24
	s_delay_alu instid0(VALU_DEP_1) | instskip(NEXT) | instid1(VALU_DEP_1)
	v_fmac_f32_e32 v26, 0x3377d1cf, v20
	v_dual_fmaak_f32 v25, s24, v23, 0x3a5b3dd2 :: v_dual_add_f32 v24, v24, v26
	s_delay_alu instid0(VALU_DEP_1) | instskip(SKIP_1) | instid1(VALU_DEP_1)
	v_cndmask_b32_e64 v20, v20, v24, s7
	v_cndmask_b32_e64 v24, 0, 0x41b17218, s39
	v_dual_fmaak_f32 v25, v23, v25, 0xba1c065c :: v_dual_sub_f32 v24, v20, v24
	s_delay_alu instid0(VALU_DEP_1) | instskip(NEXT) | instid1(VALU_DEP_1)
	v_fmaak_f32 v25, v23, v25, 0x3a500cfd
	v_fmaak_f32 v25, v23, v25, 0xbb360b61
	s_delay_alu instid0(VALU_DEP_1) | instskip(NEXT) | instid1(VALU_DEP_1)
	v_fmaak_f32 v23, v23, v25, 0x3daaaaab
	v_dual_fmaak_f32 v20, v22, v23, 0x3ed67f1d :: v_dual_add_f32 v23, -1.0, v24
	v_add_f32_e64 v22, |v19|, -0.5
	s_delay_alu instid0(VALU_DEP_1)
	v_fmac_f32_e32 v20, v22, v23
.LBB14_95:                              ;   in Loop: Header=BB14_4 Depth=1
	s_or_b32 exec_lo, exec_lo, s38
.LBB14_96:                              ;   in Loop: Header=BB14_4 Depth=1
	s_and_not1_saveexec_b32 s38, s8
	s_cbranch_execz .LBB14_98
; %bb.97:                               ;   in Loop: Header=BB14_4 Depth=1
	v_cvt_i32_f32_e32 v20, v21
	s_delay_alu instid0(VALU_DEP_1) | instskip(SKIP_1) | instid1(VALU_DEP_2)
	v_cvt_f32_i32_e32 v22, v20
	v_cmp_lt_i32_e64 s7, 2, v20
	v_sub_f32_e64 v22, |v19|, v22
	s_delay_alu instid0(VALU_DEP_1) | instskip(SKIP_2) | instid1(VALU_DEP_3)
	v_add_f32_e32 v23, 2.0, v22
	v_add_f32_e32 v24, 0x40400000, v22
	v_add_f32_e32 v25, 4.0, v22
	v_cndmask_b32_e64 v23, 1.0, v23, s7
	v_cmp_lt_i32_e64 s7, 3, v20
	s_delay_alu instid0(VALU_DEP_1) | instskip(SKIP_1) | instid1(VALU_DEP_2)
	v_cndmask_b32_e64 v24, 1.0, v24, s7
	v_cmp_lt_i32_e64 s7, 4, v20
	v_dual_add_f32 v26, 0x40a00000, v22 :: v_dual_mul_f32 v23, v23, v24
	s_delay_alu instid0(VALU_DEP_2) | instskip(SKIP_1) | instid1(VALU_DEP_2)
	v_cndmask_b32_e64 v25, 1.0, v25, s7
	v_cmp_lt_i32_e64 s7, 5, v20
	v_mul_f32_e32 v23, v25, v23
	s_delay_alu instid0(VALU_DEP_2) | instskip(SKIP_3) | instid1(VALU_DEP_4)
	v_cndmask_b32_e64 v26, 1.0, v26, s7
	v_add_f32_e32 v24, 0x40c00000, v22
	v_cmp_lt_i32_e64 s7, 6, v20
	v_fmaak_f32 v25, s25, v22, 0x3af135b4
	v_mul_f32_e32 v23, v26, v23
	s_delay_alu instid0(VALU_DEP_3) | instskip(NEXT) | instid1(VALU_DEP_1)
	v_cndmask_b32_e64 v20, 1.0, v24, s7
	v_mul_f32_e32 v20, v20, v23
	s_delay_alu instid0(VALU_DEP_1) | instskip(NEXT) | instid1(VALU_DEP_1)
	v_cmp_gt_f32_e64 s7, 0x800000, v20
	v_cndmask_b32_e64 v24, 1.0, 0x4f800000, s7
	s_delay_alu instid0(VALU_DEP_1) | instskip(SKIP_1) | instid1(VALU_DEP_2)
	v_mul_f32_e32 v20, v20, v24
	v_fmaak_f32 v24, v22, v25, 0x3cda40e4
	v_log_f32_e32 v20, v20
	s_waitcnt_depctr 0xfff
	v_mul_f32_e32 v25, 0x3f317217, v20
	v_cmp_gt_f32_e64 s8, 0x7f800000, |v20|
	s_delay_alu instid0(VALU_DEP_2) | instskip(NEXT) | instid1(VALU_DEP_1)
	v_fma_f32 v26, 0x3f317217, v20, -v25
	v_fmac_f32_e32 v26, 0x3377d1cf, v20
	s_delay_alu instid0(VALU_DEP_1) | instskip(NEXT) | instid1(VALU_DEP_1)
	v_dual_add_f32 v25, v25, v26 :: v_dual_fmaak_f32 v24, v22, v24, 0x3e15dce6
	v_cndmask_b32_e64 v20, v20, v25, s8
	s_delay_alu instid0(VALU_DEP_2) | instskip(NEXT) | instid1(VALU_DEP_1)
	v_fmaak_f32 v24, v22, v24, 0x3ea6cc7a
	v_fmaak_f32 v24, v22, v24, 0x3e5c245a
	s_delay_alu instid0(VALU_DEP_1) | instskip(NEXT) | instid1(VALU_DEP_1)
	v_fmaak_f32 v24, v22, v24, 0xbd9e233f
	v_dual_fmaak_f32 v23, s26, v22, 0x3a4beed6 :: v_dual_mul_f32 v24, v22, v24
	s_delay_alu instid0(VALU_DEP_1) | instskip(NEXT) | instid1(VALU_DEP_1)
	v_fmaak_f32 v23, v22, v23, 0x3c98bf54
	v_fmaak_f32 v23, v22, v23, 0x3e300f6e
	s_delay_alu instid0(VALU_DEP_1) | instskip(NEXT) | instid1(VALU_DEP_1)
	v_fmaak_f32 v23, v22, v23, 0x3f38d0c5
	v_fmaak_f32 v23, v22, v23, 0x3fb22d3b
	s_delay_alu instid0(VALU_DEP_1) | instskip(NEXT) | instid1(VALU_DEP_1)
	v_fma_f32 v23, v22, v23, 1.0
	v_rcp_f32_e32 v23, v23
	s_waitcnt_depctr 0xfff
	v_mul_f32_e32 v23, v24, v23
	v_cndmask_b32_e64 v24, 0, 0x41b17218, s7
	s_delay_alu instid0(VALU_DEP_1) | instskip(NEXT) | instid1(VALU_DEP_1)
	v_dual_fmac_f32 v23, 0.5, v22 :: v_dual_sub_f32 v20, v20, v24
	v_add_f32_e32 v20, v20, v23
.LBB14_98:                              ;   in Loop: Header=BB14_4 Depth=1
	s_or_b32 exec_lo, exec_lo, s38
.LBB14_99:                              ;   in Loop: Header=BB14_4 Depth=1
	s_and_not1_saveexec_b32 s10, s10
	s_cbranch_execz .LBB14_117
; %bb.100:                              ;   in Loop: Header=BB14_4 Depth=1
                                        ; implicit-def: $vgpr20
                                        ; implicit-def: $vgpr23
                                        ; implicit-def: $vgpr22
	s_mov_b32 s8, exec_lo
	v_cmpx_ge_f32_e64 0x3f666666, |v19|
	s_xor_b32 s38, exec_lo, s8
	s_cbranch_execz .LBB14_102
; %bb.101:                              ;   in Loop: Header=BB14_4 Depth=1
	v_cmp_gt_f32_e64 s8, 0x800000, |v19|
	v_sub_f32_e64 v24, 1.0, |v19|
	v_cmp_gt_f32_e64 s7, 0x3f3b4a23, |v19|
	s_delay_alu instid0(VALU_DEP_3) | instskip(SKIP_1) | instid1(VALU_DEP_2)
	v_cndmask_b32_e64 v20, 1.0, 0x4f800000, s8
	v_cndmask_b32_e64 v25, 0, 0x41b17218, s8
	v_mul_f32_e64 v20, |v19|, v20
	s_delay_alu instid0(VALU_DEP_1) | instskip(SKIP_3) | instid1(VALU_DEP_2)
	v_log_f32_e32 v20, v20
	s_waitcnt_depctr 0xfff
	v_mul_f32_e32 v22, 0x3f317217, v20
	v_cmp_gt_f32_e64 s8, 0x7f800000, |v20|
	v_fma_f32 v23, 0x3f317217, v20, -v22
	s_delay_alu instid0(VALU_DEP_1) | instskip(NEXT) | instid1(VALU_DEP_1)
	v_fmac_f32_e32 v23, 0x3377d1cf, v20
	v_add_f32_e32 v22, v22, v23
	v_add_f32_e64 v23, 0xbeec5b0c, |v19|
	s_delay_alu instid0(VALU_DEP_2) | instskip(NEXT) | instid1(VALU_DEP_2)
	v_cndmask_b32_e64 v20, v20, v22, s8
	v_cndmask_b32_e64 v22, v24, v23, s7
	;; [unrolled: 1-line block ×3, first 2 shown]
	v_cmp_gt_f32_e64 s7, 0x3e6d3309, |v19|
	s_delay_alu instid0(VALU_DEP_4) | instskip(NEXT) | instid1(VALU_DEP_2)
	v_sub_f32_e32 v20, v20, v25
	v_cndmask_b32_e64 v22, v22, |v19|, s7
	s_delay_alu instid0(VALU_DEP_4) | instskip(NEXT) | instid1(VALU_DEP_3)
	v_cndmask_b32_e64 v23, v23, 2, s7
	v_xor_b32_e32 v20, 0x80000000, v20
.LBB14_102:                             ;   in Loop: Header=BB14_4 Depth=1
	s_and_not1_saveexec_b32 s8, s38
; %bb.103:                              ;   in Loop: Header=BB14_4 Depth=1
	v_sub_f32_e64 v20, 2.0, |v19|
	v_add_f32_e64 v22, 0xbfbb16c3, |v19|
	v_cmp_gt_f32_e64 s7, 0x3fdda512, |v19|
	v_add_f32_e64 v23, |v19|, -1.0
	s_delay_alu instid0(VALU_DEP_2) | instskip(SKIP_2) | instid1(VALU_DEP_2)
	v_cndmask_b32_e64 v22, v20, v22, s7
	v_cndmask_b32_e64 v20, v20, 1.0, s7
	v_cmp_gt_f32_e64 s7, 0x3f9d70a4, |v19|
	v_cvt_i32_f32_e32 v20, v20
	s_delay_alu instid0(VALU_DEP_2) | instskip(NEXT) | instid1(VALU_DEP_2)
	v_cndmask_b32_e64 v22, v22, v23, s7
	v_cndmask_b32_e64 v23, v20, 2, s7
	v_mov_b32_e32 v20, 0
; %bb.104:                              ;   in Loop: Header=BB14_4 Depth=1
	s_or_b32 exec_lo, exec_lo, s8
	s_delay_alu instid0(SALU_CYCLE_1) | instskip(NEXT) | instid1(VALU_DEP_2)
	s_mov_b32 s8, exec_lo
	v_cmpx_lt_i32_e32 0, v23
	s_xor_b32 s8, exec_lo, s8
	s_cbranch_execz .LBB14_112
; %bb.105:                              ;   in Loop: Header=BB14_4 Depth=1
	s_mov_b32 s38, exec_lo
	v_cmpx_lt_i32_e32 1, v23
	s_xor_b32 s38, exec_lo, s38
	s_cbranch_execz .LBB14_109
; %bb.106:                              ;   in Loop: Header=BB14_4 Depth=1
	s_mov_b32 s39, exec_lo
	v_cmpx_eq_u32_e32 2, v23
	s_cbranch_execz .LBB14_108
; %bb.107:                              ;   in Loop: Header=BB14_4 Depth=1
	v_fmaak_f32 v24, s27, v22, 0x3e6a7578
	s_delay_alu instid0(VALU_DEP_1) | instskip(NEXT) | instid1(VALU_DEP_1)
	v_fmaak_f32 v24, v22, v24, 0x3f7a4bb2
	v_fmaak_f32 v24, v22, v24, 0x3fba3ae7
	s_delay_alu instid0(VALU_DEP_1) | instskip(NEXT) | instid1(VALU_DEP_1)
	v_fmaak_f32 v24, v22, v24, 0x3f2200f4
	v_fmaak_f32 v24, v22, v24, 0xbd9e233f
	s_delay_alu instid0(VALU_DEP_1) | instskip(NEXT) | instid1(VALU_DEP_1)
	v_dual_fmaak_f32 v23, s28, v22, 0x3dd572af :: v_dual_mul_f32 v24, v22, v24
	v_fmaak_f32 v23, v22, v23, 0x3f44efdf
	s_delay_alu instid0(VALU_DEP_1) | instskip(NEXT) | instid1(VALU_DEP_1)
	v_fmaak_f32 v23, v22, v23, 0x4008392d
	v_fmaak_f32 v23, v22, v23, 0x401d2ebe
	s_delay_alu instid0(VALU_DEP_1) | instskip(NEXT) | instid1(VALU_DEP_1)
	v_fma_f32 v23, v22, v23, 1.0
	v_rcp_f32_e32 v23, v23
	s_waitcnt_depctr 0xfff
	v_mul_f32_e32 v23, v24, v23
	s_delay_alu instid0(VALU_DEP_1) | instskip(NEXT) | instid1(VALU_DEP_1)
	v_fmac_f32_e32 v23, -0.5, v22
	v_add_f32_e32 v20, v20, v23
.LBB14_108:                             ;   in Loop: Header=BB14_4 Depth=1
	s_or_b32 exec_lo, exec_lo, s39
                                        ; implicit-def: $vgpr22
.LBB14_109:                             ;   in Loop: Header=BB14_4 Depth=1
	s_and_not1_saveexec_b32 s7, s38
	s_cbranch_execz .LBB14_111
; %bb.110:                              ;   in Loop: Header=BB14_4 Depth=1
	v_mul_f32_e32 v23, v22, v22
	s_delay_alu instid0(VALU_DEP_1) | instskip(NEXT) | instid1(VALU_DEP_1)
	v_mul_f32_e32 v24, v22, v23
	v_fmaak_f32 v26, s31, v24, 0xba0d3085
	v_fmaak_f32 v25, s30, v24, 0x3a66f867
	;; [unrolled: 1-line block ×3, first 2 shown]
	s_delay_alu instid0(VALU_DEP_3) | instskip(NEXT) | instid1(VALU_DEP_3)
	v_fmaak_f32 v26, v24, v26, 0x3b141699
	v_fmaak_f32 v25, v24, v25, 0xbb7177fe
	s_delay_alu instid0(VALU_DEP_3) | instskip(NEXT) | instid1(VALU_DEP_3)
	v_fmaak_f32 v27, v24, v27, 0x3bc7e707
	v_fmaak_f32 v26, v24, v26, 0xbc28fcfe
	;; [unrolled: 3-line block ×4, first 2 shown]
	s_delay_alu instid0(VALU_DEP_1) | instskip(NEXT) | instid1(VALU_DEP_1)
	v_dual_fmac_f32 v25, v22, v26 :: v_dual_fmaak_f32 v22, v24, v27, 0x3ef7b95e
	v_fma_f32 v24, v24, -v25, 0xa2863e55
	s_delay_alu instid0(VALU_DEP_1) | instskip(NEXT) | instid1(VALU_DEP_1)
	v_fma_f32 v22, v23, v22, -v24
	v_add_f32_e32 v22, 0xbdf8cdce, v22
	s_delay_alu instid0(VALU_DEP_1)
	v_add_f32_e32 v20, v20, v22
.LBB14_111:                             ;   in Loop: Header=BB14_4 Depth=1
	s_or_b32 exec_lo, exec_lo, s7
                                        ; implicit-def: $vgpr23
                                        ; implicit-def: $vgpr22
.LBB14_112:                             ;   in Loop: Header=BB14_4 Depth=1
	s_and_not1_saveexec_b32 s8, s8
	s_cbranch_execz .LBB14_116
; %bb.113:                              ;   in Loop: Header=BB14_4 Depth=1
	s_mov_b32 s38, exec_lo
	v_cmpx_eq_u32_e32 0, v23
	s_cbranch_execz .LBB14_115
; %bb.114:                              ;   in Loop: Header=BB14_4 Depth=1
	v_mul_f32_e32 v23, v22, v22
	s_delay_alu instid0(VALU_DEP_1) | instskip(NEXT) | instid1(VALU_DEP_1)
	v_fmaak_f32 v25, s33, v23, 0x39679767
	v_fmaak_f32 v25, v23, v25, 0x3a9c54a1
	s_delay_alu instid0(VALU_DEP_1) | instskip(NEXT) | instid1(VALU_DEP_1)
	v_fmaak_f32 v25, v23, v25, 0x3bf2027e
	v_fmaak_f32 v25, v23, v25, 0x3d89f001
	s_delay_alu instid0(VALU_DEP_1) | instskip(SKIP_1) | instid1(VALU_DEP_1)
	v_fmaak_f32 v25, v23, v25, 0x3d9e233f
	v_fmaak_f32 v24, s34, v23, 0x38e28445
	;; [unrolled: 1-line block ×3, first 2 shown]
	s_delay_alu instid0(VALU_DEP_1) | instskip(NEXT) | instid1(VALU_DEP_1)
	v_fmaak_f32 v24, v23, v24, 0x3b3d6ec6
	v_fmaak_f32 v24, v23, v24, 0x3ca89915
	s_delay_alu instid0(VALU_DEP_1) | instskip(NEXT) | instid1(VALU_DEP_1)
	v_fmaak_f32 v24, v23, v24, 0x3ea51a66
	v_mul_f32_e32 v23, v23, v24
	s_delay_alu instid0(VALU_DEP_1) | instskip(NEXT) | instid1(VALU_DEP_1)
	v_fmac_f32_e32 v23, v22, v25
	v_fmac_f32_e32 v23, -0.5, v22
	s_delay_alu instid0(VALU_DEP_1)
	v_add_f32_e32 v20, v20, v23
.LBB14_115:                             ;   in Loop: Header=BB14_4 Depth=1
	s_or_b32 exec_lo, exec_lo, s38
.LBB14_116:                             ;   in Loop: Header=BB14_4 Depth=1
	s_delay_alu instid0(SALU_CYCLE_1)
	s_or_b32 exec_lo, exec_lo, s8
.LBB14_117:                             ;   in Loop: Header=BB14_4 Depth=1
	s_delay_alu instid0(SALU_CYCLE_1)
	s_or_b32 exec_lo, exec_lo, s10
.LBB14_118:                             ;   in Loop: Header=BB14_4 Depth=1
	s_and_not1_saveexec_b32 s8, s9
	s_cbranch_execz .LBB14_120
; %bb.119:                              ;   in Loop: Header=BB14_4 Depth=1
	v_cmp_gt_f32_e64 s9, 0x800000, |v19|
	v_fma_f32 v24, |v19|, s35, 0xbecd26ab
	s_delay_alu instid0(VALU_DEP_2) | instskip(NEXT) | instid1(VALU_DEP_1)
	v_cndmask_b32_e64 v20, 1.0, 0x4f800000, s9
	v_mul_f32_e64 v20, |v19|, v20
	s_delay_alu instid0(VALU_DEP_1) | instskip(SKIP_3) | instid1(VALU_DEP_2)
	v_log_f32_e32 v20, v20
	s_waitcnt_depctr 0xfff
	v_mul_f32_e32 v22, 0x3f317217, v20
	v_cmp_gt_f32_e64 s7, 0x7f800000, |v20|
	v_fma_f32 v23, 0x3f317217, v20, -v22
	s_delay_alu instid0(VALU_DEP_1) | instskip(NEXT) | instid1(VALU_DEP_1)
	v_fmac_f32_e32 v23, 0x3377d1cf, v20
	v_add_f32_e32 v22, v22, v23
	v_fma_f32 v23, |v19|, v24, 0x3f528d33
	s_delay_alu instid0(VALU_DEP_2) | instskip(SKIP_1) | instid1(VALU_DEP_3)
	v_cndmask_b32_e64 v20, v20, v22, s7
	v_cndmask_b32_e64 v22, 0, 0x41b17218, s9
	v_fma_f32 v23, |v19|, v23, 0xbf13c468
	s_delay_alu instid0(VALU_DEP_2) | instskip(NEXT) | instid1(VALU_DEP_1)
	v_sub_f32_e32 v20, v20, v22
	v_fma_f32 v20, |v19|, v23, -v20
.LBB14_120:                             ;   in Loop: Header=BB14_4 Depth=1
	s_or_b32 exec_lo, exec_lo, s8
	v_cmp_le_f16_e64 s7, 0, v13
	s_mov_b32 s9, exec_lo
	v_cmpx_nle_f16_e32 0, v13
	s_xor_b32 s10, exec_lo, s9
	s_cbranch_execz .LBB14_124
; %bb.121:                              ;   in Loop: Header=BB14_4 Depth=1
	v_cmp_gt_f32_e64 s8, 0x4b000000, |v19|
	v_cmp_lt_f32_e64 s9, 0x35000000, |v19|
	s_delay_alu instid0(VALU_DEP_1) | instskip(NEXT) | instid1(SALU_CYCLE_1)
	s_and_b32 s8, s8, s9
	s_and_saveexec_b32 s38, s8
	s_cbranch_execz .LBB14_123
; %bb.122:                              ;   in Loop: Header=BB14_4 Depth=1
	v_mul_f32_e64 v22, |v19|, 0.5
	v_xor_b32_e32 v21, v21, v19
	s_delay_alu instid0(VALU_DEP_2) | instskip(SKIP_1) | instid1(VALU_DEP_2)
	v_floor_f32_e32 v23, v22
	v_cmp_neq_f32_e64 s8, 0x7f800000, v22
	v_sub_f32_e32 v23, v22, v23
	s_delay_alu instid0(VALU_DEP_1) | instskip(NEXT) | instid1(VALU_DEP_1)
	v_min_f32_e32 v23, 0x3f7fffff, v23
	v_add_f32_e32 v23, v23, v23
	s_delay_alu instid0(VALU_DEP_1) | instskip(SKIP_1) | instid1(VALU_DEP_1)
	v_cndmask_b32_e64 v22, 0, v23, s8
	v_cmp_gt_f32_e64 s8, |v19|, 1.0
	v_cndmask_b32_e64 v22, |v19|, v22, s8
	s_delay_alu instid0(VALU_DEP_1) | instskip(NEXT) | instid1(VALU_DEP_1)
	v_add_f32_e32 v23, v22, v22
	v_rndne_f32_e32 v23, v23
	s_delay_alu instid0(VALU_DEP_1) | instskip(SKIP_1) | instid1(VALU_DEP_2)
	v_fmac_f32_e32 v22, -0.5, v23
	v_cvt_i32_f32_e32 v23, v23
	v_mul_f32_e32 v24, v22, v22
	s_delay_alu instid0(VALU_DEP_1) | instskip(SKIP_1) | instid1(VALU_DEP_2)
	v_fmaak_f32 v25, s36, v24, 0xbf1f24be
	v_fmaak_f32 v26, s37, v24, 0x3e642e9d
	;; [unrolled: 1-line block ×3, first 2 shown]
	s_delay_alu instid0(VALU_DEP_2) | instskip(NEXT) | instid1(VALU_DEP_2)
	v_dual_fmaak_f32 v26, v24, v26, 0xbfaad1da :: v_dual_mul_f32 v27, v22, v24
	v_fmaak_f32 v25, v24, v25, 0xc0a55e0e
	s_delay_alu instid0(VALU_DEP_1) | instskip(NEXT) | instid1(VALU_DEP_1)
	v_dual_fmaak_f32 v26, v24, v26, 0x4081e0d3 :: v_dual_mul_f32 v25, v27, v25
	v_dual_fmaak_f32 v26, v24, v26, 0xc09de9e6 :: v_dual_and_b32 v27, 1, v23
	v_lshlrev_b32_e32 v23, 30, v23
	s_delay_alu instid0(VALU_DEP_3) | instskip(NEXT) | instid1(VALU_DEP_3)
	v_fmac_f32_e32 v25, 0x40490fdb, v22
	v_fma_f32 v22, v24, v26, 1.0
	s_delay_alu instid0(VALU_DEP_4) | instskip(NEXT) | instid1(VALU_DEP_4)
	v_cmp_eq_u32_e64 s8, 0, v27
	v_and_b32_e32 v23, 0x80000000, v23
	s_delay_alu instid0(VALU_DEP_2) | instskip(NEXT) | instid1(VALU_DEP_1)
	v_cndmask_b32_e64 v22, v22, v25, s8
	v_xor3_b32 v21, v21, v23, v22
	s_delay_alu instid0(VALU_DEP_1) | instskip(NEXT) | instid1(VALU_DEP_1)
	v_mul_f32_e32 v21, v19, v21
	v_frexp_mant_f32_e64 v22, |v21|
	v_frexp_exp_i32_f32_e32 v21, v21
	s_delay_alu instid0(VALU_DEP_2) | instskip(NEXT) | instid1(VALU_DEP_1)
	v_rcp_f32_e32 v22, v22
	v_sub_nc_u32_e32 v21, 2, v21
	s_waitcnt_depctr 0xfff
	v_mul_f32_e32 v22, 0x3f490fdb, v22
	s_delay_alu instid0(VALU_DEP_1) | instskip(NEXT) | instid1(VALU_DEP_1)
	v_ldexp_f32 v21, v22, v21
	v_cmp_gt_f32_e64 s8, 0x800000, v21
	s_delay_alu instid0(VALU_DEP_1) | instskip(NEXT) | instid1(VALU_DEP_1)
	v_cndmask_b32_e64 v22, 1.0, 0x4f800000, s8
	v_mul_f32_e32 v21, v21, v22
	s_delay_alu instid0(VALU_DEP_1) | instskip(SKIP_3) | instid1(VALU_DEP_2)
	v_log_f32_e32 v21, v21
	s_waitcnt_depctr 0xfff
	v_mul_f32_e32 v22, 0x3f317217, v21
	v_cmp_gt_f32_e64 s9, 0x7f800000, |v21|
	v_fma_f32 v23, 0x3f317217, v21, -v22
	s_delay_alu instid0(VALU_DEP_1) | instskip(NEXT) | instid1(VALU_DEP_1)
	v_fmac_f32_e32 v23, 0x3377d1cf, v21
	v_add_f32_e32 v22, v22, v23
	v_floor_f32_e32 v23, v19
	s_delay_alu instid0(VALU_DEP_2) | instskip(SKIP_1) | instid1(VALU_DEP_3)
	v_cndmask_b32_e64 v21, v21, v22, s9
	v_cndmask_b32_e64 v22, 0, 0x41b17218, s8
	v_sub_f32_e32 v23, v19, v23
	s_delay_alu instid0(VALU_DEP_1) | instskip(NEXT) | instid1(VALU_DEP_1)
	v_dual_sub_f32 v21, v21, v22 :: v_dual_min_f32 v22, 0x3f7fffff, v23
	v_sub_f32_e32 v20, v21, v20
	s_delay_alu instid0(VALU_DEP_2) | instskip(NEXT) | instid1(VALU_DEP_1)
	v_cmp_neq_f32_e64 s8, 0, v22
	v_cndmask_b32_e64 v20, 0x7f800000, v20, s8
.LBB14_123:                             ;   in Loop: Header=BB14_4 Depth=1
	s_or_b32 exec_lo, exec_lo, s38
.LBB14_124:                             ;   in Loop: Header=BB14_4 Depth=1
	s_and_not1_saveexec_b32 s10, s10
; %bb.125:                              ;   in Loop: Header=BB14_4 Depth=1
	v_cmp_eq_f16_e64 s8, 1.0, v13
	v_cmp_eq_f16_e64 s9, 2.0, v13
	s_delay_alu instid0(VALU_DEP_1) | instskip(NEXT) | instid1(SALU_CYCLE_1)
	s_or_b32 s8, s8, s9
	v_cndmask_b32_e64 v20, v20, 0, s8
; %bb.126:                              ;   in Loop: Header=BB14_4 Depth=1
	s_or_b32 exec_lo, exec_lo, s10
	v_cvt_f32_f16_e32 v21, v11
                                        ; implicit-def: $vgpr23
	s_mov_b32 s9, exec_lo
	s_delay_alu instid0(VALU_DEP_1)
	v_and_b32_e32 v22, 0x7fffffff, v21
	v_cmpx_ngt_f32_e64 0x3c800000, |v21|
	s_xor_b32 s10, exec_lo, s9
	s_cbranch_execz .LBB14_156
; %bb.127:                              ;   in Loop: Header=BB14_4 Depth=1
                                        ; implicit-def: $vgpr23
	s_mov_b32 s9, exec_lo
	v_cmpx_nlt_f32_e64 |v21|, 2.0
	s_xor_b32 s38, exec_lo, s9
	s_cbranch_execz .LBB14_137
; %bb.128:                              ;   in Loop: Header=BB14_4 Depth=1
	s_mov_b32 s9, exec_lo
                                        ; implicit-def: $vgpr23
	v_cmpx_ngt_f32_e64 0x41000000, |v21|
	s_xor_b32 s9, exec_lo, s9
	s_cbranch_execz .LBB14_134
; %bb.129:                              ;   in Loop: Header=BB14_4 Depth=1
	s_mov_b32 s39, exec_lo
                                        ; implicit-def: $vgpr23
	v_cmpx_ngt_f32_e64 0x5c800000, |v21|
	s_xor_b32 s39, exec_lo, s39
	s_cbranch_execz .LBB14_131
; %bb.130:                              ;   in Loop: Header=BB14_4 Depth=1
	v_cmp_gt_f32_e64 s40, 0x800000, |v21|
	s_delay_alu instid0(VALU_DEP_1) | instskip(NEXT) | instid1(VALU_DEP_1)
	v_cndmask_b32_e64 v23, 1.0, 0x4f800000, s40
	v_mul_f32_e64 v23, |v21|, v23
	s_delay_alu instid0(VALU_DEP_1) | instskip(SKIP_3) | instid1(VALU_DEP_2)
	v_log_f32_e32 v23, v23
	s_waitcnt_depctr 0xfff
	v_mul_f32_e32 v24, 0x3f317217, v23
	v_cmp_gt_f32_e64 s8, 0x7f800000, |v23|
	v_fma_f32 v25, 0x3f317217, v23, -v24
	s_delay_alu instid0(VALU_DEP_1) | instskip(NEXT) | instid1(VALU_DEP_1)
	v_fmac_f32_e32 v25, 0x3377d1cf, v23
	v_add_f32_e32 v24, v24, v25
	s_delay_alu instid0(VALU_DEP_1) | instskip(SKIP_1) | instid1(VALU_DEP_1)
	v_cndmask_b32_e64 v23, v23, v24, s8
	v_cndmask_b32_e64 v24, 0, 0x41b17218, s40
	v_sub_f32_e32 v23, v23, v24
	s_delay_alu instid0(VALU_DEP_1)
	v_fma_f32 v23, |v21|, v23, -|v21|
.LBB14_131:                             ;   in Loop: Header=BB14_4 Depth=1
	s_and_not1_saveexec_b32 s39, s39
	s_cbranch_execz .LBB14_133
; %bb.132:                              ;   in Loop: Header=BB14_4 Depth=1
	v_cmp_gt_f32_e64 s40, 0x800000, |v21|
	v_rcp_f32_e64 v24, |v21|
	s_delay_alu instid0(VALU_DEP_1) | instskip(NEXT) | instid1(VALU_DEP_1)
	v_cndmask_b32_e64 v23, 1.0, 0x4f800000, s40
	v_mul_f32_e64 v23, |v21|, v23
	s_delay_alu instid0(VALU_DEP_1) | instskip(SKIP_3) | instid1(VALU_DEP_2)
	v_log_f32_e32 v23, v23
	s_waitcnt_depctr 0xfff
	v_dual_mul_f32 v25, v24, v24 :: v_dual_mul_f32 v26, 0x3f317217, v23
	v_cmp_gt_f32_e64 s8, 0x7f800000, |v23|
	v_fma_f32 v28, 0x3f317217, v23, -v26
	s_delay_alu instid0(VALU_DEP_1) | instskip(NEXT) | instid1(VALU_DEP_1)
	v_fmac_f32_e32 v28, 0x3377d1cf, v23
	v_dual_fmaak_f32 v27, s24, v25, 0x3a5b3dd2 :: v_dual_add_f32 v26, v26, v28
	s_delay_alu instid0(VALU_DEP_1) | instskip(SKIP_1) | instid1(VALU_DEP_1)
	v_cndmask_b32_e64 v23, v23, v26, s8
	v_cndmask_b32_e64 v26, 0, 0x41b17218, s40
	v_dual_fmaak_f32 v27, v25, v27, 0xba1c065c :: v_dual_sub_f32 v26, v23, v26
	s_delay_alu instid0(VALU_DEP_1) | instskip(NEXT) | instid1(VALU_DEP_1)
	v_fmaak_f32 v27, v25, v27, 0x3a500cfd
	v_fmaak_f32 v27, v25, v27, 0xbb360b61
	s_delay_alu instid0(VALU_DEP_1) | instskip(NEXT) | instid1(VALU_DEP_1)
	v_fmaak_f32 v25, v25, v27, 0x3daaaaab
	v_fmaak_f32 v23, v24, v25, 0x3ed67f1d
	v_add_f32_e64 v24, |v21|, -0.5
	v_add_f32_e32 v25, -1.0, v26
	s_delay_alu instid0(VALU_DEP_1)
	v_fmac_f32_e32 v23, v24, v25
.LBB14_133:                             ;   in Loop: Header=BB14_4 Depth=1
	s_or_b32 exec_lo, exec_lo, s39
.LBB14_134:                             ;   in Loop: Header=BB14_4 Depth=1
	s_and_not1_saveexec_b32 s39, s9
	s_cbranch_execz .LBB14_136
; %bb.135:                              ;   in Loop: Header=BB14_4 Depth=1
	v_cvt_i32_f32_e32 v23, v22
	s_delay_alu instid0(VALU_DEP_1) | instskip(SKIP_1) | instid1(VALU_DEP_2)
	v_cvt_f32_i32_e32 v24, v23
	v_cmp_lt_i32_e64 s8, 2, v23
	v_sub_f32_e64 v24, |v21|, v24
	s_delay_alu instid0(VALU_DEP_1) | instskip(SKIP_2) | instid1(VALU_DEP_3)
	v_add_f32_e32 v25, 2.0, v24
	v_add_f32_e32 v26, 0x40400000, v24
	v_add_f32_e32 v27, 4.0, v24
	v_cndmask_b32_e64 v25, 1.0, v25, s8
	v_cmp_lt_i32_e64 s8, 3, v23
	s_delay_alu instid0(VALU_DEP_1) | instskip(SKIP_1) | instid1(VALU_DEP_2)
	v_cndmask_b32_e64 v26, 1.0, v26, s8
	v_cmp_lt_i32_e64 s8, 4, v23
	v_dual_add_f32 v28, 0x40a00000, v24 :: v_dual_mul_f32 v25, v25, v26
	s_delay_alu instid0(VALU_DEP_2) | instskip(SKIP_1) | instid1(VALU_DEP_2)
	v_cndmask_b32_e64 v27, 1.0, v27, s8
	v_cmp_lt_i32_e64 s8, 5, v23
	v_mul_f32_e32 v25, v27, v25
	s_delay_alu instid0(VALU_DEP_2) | instskip(SKIP_3) | instid1(VALU_DEP_4)
	v_cndmask_b32_e64 v28, 1.0, v28, s8
	v_add_f32_e32 v26, 0x40c00000, v24
	v_cmp_lt_i32_e64 s8, 6, v23
	v_fmaak_f32 v27, s25, v24, 0x3af135b4
	v_mul_f32_e32 v25, v28, v25
	s_delay_alu instid0(VALU_DEP_3) | instskip(NEXT) | instid1(VALU_DEP_1)
	v_cndmask_b32_e64 v23, 1.0, v26, s8
	v_mul_f32_e32 v23, v23, v25
	s_delay_alu instid0(VALU_DEP_1) | instskip(NEXT) | instid1(VALU_DEP_1)
	v_cmp_gt_f32_e64 s8, 0x800000, v23
	v_cndmask_b32_e64 v26, 1.0, 0x4f800000, s8
	s_delay_alu instid0(VALU_DEP_1) | instskip(NEXT) | instid1(VALU_DEP_1)
	v_dual_mul_f32 v23, v23, v26 :: v_dual_fmaak_f32 v26, v24, v27, 0x3cda40e4
	v_log_f32_e32 v23, v23
	s_delay_alu instid0(VALU_DEP_1) | instskip(NEXT) | instid1(VALU_DEP_1)
	v_fmaak_f32 v26, v24, v26, 0x3e15dce6
	v_fmaak_f32 v26, v24, v26, 0x3ea6cc7a
	s_waitcnt_depctr 0xfff
	v_mul_f32_e32 v27, 0x3f317217, v23
	v_cmp_gt_f32_e64 s9, 0x7f800000, |v23|
	s_delay_alu instid0(VALU_DEP_2) | instskip(NEXT) | instid1(VALU_DEP_1)
	v_fma_f32 v28, 0x3f317217, v23, -v27
	v_fmac_f32_e32 v28, 0x3377d1cf, v23
	s_delay_alu instid0(VALU_DEP_1) | instskip(NEXT) | instid1(VALU_DEP_1)
	v_dual_fmaak_f32 v26, v24, v26, 0x3e5c245a :: v_dual_add_f32 v27, v27, v28
	v_fmaak_f32 v26, v24, v26, 0xbd9e233f
	v_fmaak_f32 v25, s26, v24, 0x3a4beed6
	s_delay_alu instid0(VALU_DEP_3) | instskip(NEXT) | instid1(VALU_DEP_3)
	v_cndmask_b32_e64 v23, v23, v27, s9
	v_mul_f32_e32 v26, v24, v26
	s_delay_alu instid0(VALU_DEP_3) | instskip(NEXT) | instid1(VALU_DEP_1)
	v_fmaak_f32 v25, v24, v25, 0x3c98bf54
	v_fmaak_f32 v25, v24, v25, 0x3e300f6e
	s_delay_alu instid0(VALU_DEP_1) | instskip(NEXT) | instid1(VALU_DEP_1)
	v_fmaak_f32 v25, v24, v25, 0x3f38d0c5
	v_fmaak_f32 v25, v24, v25, 0x3fb22d3b
	s_delay_alu instid0(VALU_DEP_1) | instskip(NEXT) | instid1(VALU_DEP_1)
	v_fma_f32 v25, v24, v25, 1.0
	v_rcp_f32_e32 v25, v25
	s_waitcnt_depctr 0xfff
	v_mul_f32_e32 v25, v26, v25
	v_cndmask_b32_e64 v26, 0, 0x41b17218, s8
	s_delay_alu instid0(VALU_DEP_2) | instskip(NEXT) | instid1(VALU_DEP_2)
	v_fmac_f32_e32 v25, 0.5, v24
	v_sub_f32_e32 v23, v23, v26
	s_delay_alu instid0(VALU_DEP_1)
	v_add_f32_e32 v23, v23, v25
.LBB14_136:                             ;   in Loop: Header=BB14_4 Depth=1
	s_or_b32 exec_lo, exec_lo, s39
.LBB14_137:                             ;   in Loop: Header=BB14_4 Depth=1
	s_and_not1_saveexec_b32 s38, s38
	s_cbranch_execz .LBB14_155
; %bb.138:                              ;   in Loop: Header=BB14_4 Depth=1
                                        ; implicit-def: $vgpr23
                                        ; implicit-def: $vgpr25
                                        ; implicit-def: $vgpr24
	s_mov_b32 s9, exec_lo
	v_cmpx_ge_f32_e64 0x3f666666, |v21|
	s_xor_b32 s39, exec_lo, s9
	s_cbranch_execz .LBB14_140
; %bb.139:                              ;   in Loop: Header=BB14_4 Depth=1
	v_cmp_gt_f32_e64 s9, 0x800000, |v21|
	v_sub_f32_e64 v26, 1.0, |v21|
	v_cmp_gt_f32_e64 s8, 0x3f3b4a23, |v21|
	s_delay_alu instid0(VALU_DEP_3) | instskip(SKIP_1) | instid1(VALU_DEP_2)
	v_cndmask_b32_e64 v23, 1.0, 0x4f800000, s9
	v_cndmask_b32_e64 v27, 0, 0x41b17218, s9
	v_mul_f32_e64 v23, |v21|, v23
	s_delay_alu instid0(VALU_DEP_1) | instskip(SKIP_3) | instid1(VALU_DEP_2)
	v_log_f32_e32 v23, v23
	s_waitcnt_depctr 0xfff
	v_mul_f32_e32 v24, 0x3f317217, v23
	v_cmp_gt_f32_e64 s9, 0x7f800000, |v23|
	v_fma_f32 v25, 0x3f317217, v23, -v24
	s_delay_alu instid0(VALU_DEP_1) | instskip(NEXT) | instid1(VALU_DEP_1)
	v_fmac_f32_e32 v25, 0x3377d1cf, v23
	v_add_f32_e32 v24, v24, v25
	v_add_f32_e64 v25, 0xbeec5b0c, |v21|
	s_delay_alu instid0(VALU_DEP_2) | instskip(NEXT) | instid1(VALU_DEP_2)
	v_cndmask_b32_e64 v23, v23, v24, s9
	v_cndmask_b32_e64 v24, v26, v25, s8
	;; [unrolled: 1-line block ×3, first 2 shown]
	v_cmp_gt_f32_e64 s8, 0x3e6d3309, |v21|
	s_delay_alu instid0(VALU_DEP_4) | instskip(NEXT) | instid1(VALU_DEP_2)
	v_sub_f32_e32 v23, v23, v27
	v_cndmask_b32_e64 v24, v24, |v21|, s8
	s_delay_alu instid0(VALU_DEP_4) | instskip(NEXT) | instid1(VALU_DEP_3)
	v_cndmask_b32_e64 v25, v25, 2, s8
	v_xor_b32_e32 v23, 0x80000000, v23
.LBB14_140:                             ;   in Loop: Header=BB14_4 Depth=1
	s_and_not1_saveexec_b32 s9, s39
; %bb.141:                              ;   in Loop: Header=BB14_4 Depth=1
	v_sub_f32_e64 v23, 2.0, |v21|
	v_add_f32_e64 v24, 0xbfbb16c3, |v21|
	v_cmp_gt_f32_e64 s8, 0x3fdda512, |v21|
	v_add_f32_e64 v25, |v21|, -1.0
	s_delay_alu instid0(VALU_DEP_2) | instskip(SKIP_2) | instid1(VALU_DEP_2)
	v_cndmask_b32_e64 v24, v23, v24, s8
	v_cndmask_b32_e64 v23, v23, 1.0, s8
	v_cmp_gt_f32_e64 s8, 0x3f9d70a4, |v21|
	v_cvt_i32_f32_e32 v23, v23
	s_delay_alu instid0(VALU_DEP_2) | instskip(NEXT) | instid1(VALU_DEP_2)
	v_cndmask_b32_e64 v24, v24, v25, s8
	v_cndmask_b32_e64 v25, v23, 2, s8
	v_mov_b32_e32 v23, 0
; %bb.142:                              ;   in Loop: Header=BB14_4 Depth=1
	s_or_b32 exec_lo, exec_lo, s9
	s_delay_alu instid0(SALU_CYCLE_1) | instskip(NEXT) | instid1(VALU_DEP_2)
	s_mov_b32 s9, exec_lo
	v_cmpx_lt_i32_e32 0, v25
	s_xor_b32 s9, exec_lo, s9
	s_cbranch_execz .LBB14_150
; %bb.143:                              ;   in Loop: Header=BB14_4 Depth=1
	s_mov_b32 s39, exec_lo
	v_cmpx_lt_i32_e32 1, v25
	s_xor_b32 s39, exec_lo, s39
	s_cbranch_execz .LBB14_147
; %bb.144:                              ;   in Loop: Header=BB14_4 Depth=1
	s_mov_b32 s40, exec_lo
	v_cmpx_eq_u32_e32 2, v25
	s_cbranch_execz .LBB14_146
; %bb.145:                              ;   in Loop: Header=BB14_4 Depth=1
	v_fmaak_f32 v26, s27, v24, 0x3e6a7578
	s_delay_alu instid0(VALU_DEP_1) | instskip(NEXT) | instid1(VALU_DEP_1)
	v_fmaak_f32 v26, v24, v26, 0x3f7a4bb2
	v_fmaak_f32 v26, v24, v26, 0x3fba3ae7
	s_delay_alu instid0(VALU_DEP_1) | instskip(NEXT) | instid1(VALU_DEP_1)
	v_fmaak_f32 v26, v24, v26, 0x3f2200f4
	v_fmaak_f32 v26, v24, v26, 0xbd9e233f
	s_delay_alu instid0(VALU_DEP_1) | instskip(NEXT) | instid1(VALU_DEP_1)
	v_dual_fmaak_f32 v25, s28, v24, 0x3dd572af :: v_dual_mul_f32 v26, v24, v26
	v_fmaak_f32 v25, v24, v25, 0x3f44efdf
	s_delay_alu instid0(VALU_DEP_1) | instskip(NEXT) | instid1(VALU_DEP_1)
	v_fmaak_f32 v25, v24, v25, 0x4008392d
	v_fmaak_f32 v25, v24, v25, 0x401d2ebe
	s_delay_alu instid0(VALU_DEP_1) | instskip(NEXT) | instid1(VALU_DEP_1)
	v_fma_f32 v25, v24, v25, 1.0
	v_rcp_f32_e32 v25, v25
	s_waitcnt_depctr 0xfff
	v_mul_f32_e32 v25, v26, v25
	s_delay_alu instid0(VALU_DEP_1) | instskip(NEXT) | instid1(VALU_DEP_1)
	v_fmac_f32_e32 v25, -0.5, v24
	v_add_f32_e32 v23, v23, v25
.LBB14_146:                             ;   in Loop: Header=BB14_4 Depth=1
	s_or_b32 exec_lo, exec_lo, s40
                                        ; implicit-def: $vgpr24
.LBB14_147:                             ;   in Loop: Header=BB14_4 Depth=1
	s_and_not1_saveexec_b32 s8, s39
	s_cbranch_execz .LBB14_149
; %bb.148:                              ;   in Loop: Header=BB14_4 Depth=1
	v_mul_f32_e32 v25, v24, v24
	s_delay_alu instid0(VALU_DEP_1) | instskip(NEXT) | instid1(VALU_DEP_1)
	v_mul_f32_e32 v26, v24, v25
	v_fmaak_f32 v27, s30, v26, 0x3a66f867
	v_fmaak_f32 v28, s31, v26, 0xba0d3085
	;; [unrolled: 1-line block ×3, first 2 shown]
	s_delay_alu instid0(VALU_DEP_3) | instskip(NEXT) | instid1(VALU_DEP_3)
	v_fmaak_f32 v27, v26, v27, 0xbb7177fe
	v_fmaak_f32 v28, v26, v28, 0x3b141699
	s_delay_alu instid0(VALU_DEP_3) | instskip(NEXT) | instid1(VALU_DEP_3)
	v_fmaak_f32 v29, v26, v29, 0x3bc7e707
	v_fmaak_f32 v27, v26, v27, 0x3c93373d
	;; [unrolled: 3-line block ×4, first 2 shown]
	s_delay_alu instid0(VALU_DEP_1) | instskip(NEXT) | instid1(VALU_DEP_1)
	v_dual_fmac_f32 v27, v24, v28 :: v_dual_fmaak_f32 v24, v26, v29, 0x3ef7b95e
	v_fma_f32 v26, v26, -v27, 0xa2863e55
	s_delay_alu instid0(VALU_DEP_1) | instskip(NEXT) | instid1(VALU_DEP_1)
	v_fma_f32 v24, v25, v24, -v26
	v_add_f32_e32 v24, 0xbdf8cdce, v24
	s_delay_alu instid0(VALU_DEP_1)
	v_add_f32_e32 v23, v23, v24
.LBB14_149:                             ;   in Loop: Header=BB14_4 Depth=1
	s_or_b32 exec_lo, exec_lo, s8
                                        ; implicit-def: $vgpr25
                                        ; implicit-def: $vgpr24
.LBB14_150:                             ;   in Loop: Header=BB14_4 Depth=1
	s_and_not1_saveexec_b32 s9, s9
	s_cbranch_execz .LBB14_154
; %bb.151:                              ;   in Loop: Header=BB14_4 Depth=1
	s_mov_b32 s39, exec_lo
	v_cmpx_eq_u32_e32 0, v25
	s_cbranch_execz .LBB14_153
; %bb.152:                              ;   in Loop: Header=BB14_4 Depth=1
	v_mul_f32_e32 v25, v24, v24
	s_delay_alu instid0(VALU_DEP_1) | instskip(NEXT) | instid1(VALU_DEP_1)
	v_fmaak_f32 v27, s33, v25, 0x39679767
	v_fmaak_f32 v27, v25, v27, 0x3a9c54a1
	s_delay_alu instid0(VALU_DEP_1) | instskip(NEXT) | instid1(VALU_DEP_1)
	v_fmaak_f32 v27, v25, v27, 0x3bf2027e
	v_fmaak_f32 v27, v25, v27, 0x3d89f001
	s_delay_alu instid0(VALU_DEP_1) | instskip(SKIP_1) | instid1(VALU_DEP_1)
	v_fmaak_f32 v27, v25, v27, 0x3d9e233f
	v_fmaak_f32 v26, s34, v25, 0x38e28445
	;; [unrolled: 1-line block ×3, first 2 shown]
	s_delay_alu instid0(VALU_DEP_1) | instskip(NEXT) | instid1(VALU_DEP_1)
	v_fmaak_f32 v26, v25, v26, 0x3b3d6ec6
	v_fmaak_f32 v26, v25, v26, 0x3ca89915
	s_delay_alu instid0(VALU_DEP_1) | instskip(NEXT) | instid1(VALU_DEP_1)
	v_fmaak_f32 v26, v25, v26, 0x3ea51a66
	v_mul_f32_e32 v25, v25, v26
	s_delay_alu instid0(VALU_DEP_1) | instskip(NEXT) | instid1(VALU_DEP_1)
	v_fmac_f32_e32 v25, v24, v27
	v_fmac_f32_e32 v25, -0.5, v24
	s_delay_alu instid0(VALU_DEP_1)
	v_add_f32_e32 v23, v23, v25
.LBB14_153:                             ;   in Loop: Header=BB14_4 Depth=1
	s_or_b32 exec_lo, exec_lo, s39
.LBB14_154:                             ;   in Loop: Header=BB14_4 Depth=1
	s_delay_alu instid0(SALU_CYCLE_1)
	s_or_b32 exec_lo, exec_lo, s9
.LBB14_155:                             ;   in Loop: Header=BB14_4 Depth=1
	s_delay_alu instid0(SALU_CYCLE_1)
	s_or_b32 exec_lo, exec_lo, s38
.LBB14_156:                             ;   in Loop: Header=BB14_4 Depth=1
	s_and_not1_saveexec_b32 s9, s10
	s_cbranch_execz .LBB14_158
; %bb.157:                              ;   in Loop: Header=BB14_4 Depth=1
	v_cmp_gt_f32_e64 s10, 0x800000, |v21|
	v_fma_f32 v26, |v21|, s35, 0xbecd26ab
	s_delay_alu instid0(VALU_DEP_2) | instskip(NEXT) | instid1(VALU_DEP_1)
	v_cndmask_b32_e64 v23, 1.0, 0x4f800000, s10
	v_mul_f32_e64 v23, |v21|, v23
	s_delay_alu instid0(VALU_DEP_1) | instskip(SKIP_3) | instid1(VALU_DEP_2)
	v_log_f32_e32 v23, v23
	s_waitcnt_depctr 0xfff
	v_mul_f32_e32 v24, 0x3f317217, v23
	v_cmp_gt_f32_e64 s8, 0x7f800000, |v23|
	v_fma_f32 v25, 0x3f317217, v23, -v24
	s_delay_alu instid0(VALU_DEP_1) | instskip(NEXT) | instid1(VALU_DEP_1)
	v_fmac_f32_e32 v25, 0x3377d1cf, v23
	v_add_f32_e32 v24, v24, v25
	v_fma_f32 v25, |v21|, v26, 0x3f528d33
	s_delay_alu instid0(VALU_DEP_2) | instskip(SKIP_1) | instid1(VALU_DEP_3)
	v_cndmask_b32_e64 v23, v23, v24, s8
	v_cndmask_b32_e64 v24, 0, 0x41b17218, s10
	v_fma_f32 v25, |v21|, v25, 0xbf13c468
	s_delay_alu instid0(VALU_DEP_2) | instskip(NEXT) | instid1(VALU_DEP_1)
	v_sub_f32_e32 v23, v23, v24
	v_fma_f32 v23, |v21|, v25, -v23
.LBB14_158:                             ;   in Loop: Header=BB14_4 Depth=1
	s_or_b32 exec_lo, exec_lo, s9
	v_cmp_le_f16_e64 s8, 0, v11
	s_mov_b32 s10, exec_lo
	v_cmpx_nle_f16_e32 0, v11
	s_xor_b32 s38, exec_lo, s10
	s_cbranch_execnz .LBB14_164
; %bb.159:                              ;   in Loop: Header=BB14_4 Depth=1
	s_and_not1_saveexec_b32 s38, s38
	s_cbranch_execnz .LBB14_167
.LBB14_160:                             ;   in Loop: Header=BB14_4 Depth=1
	s_or_b32 exec_lo, exec_lo, s38
	s_and_saveexec_b32 s9, s4
	s_delay_alu instid0(SALU_CYCLE_1)
	s_xor_b32 s9, exec_lo, s9
	s_cbranch_execnz .LBB14_168
.LBB14_161:                             ;   in Loop: Header=BB14_4 Depth=1
	s_or_b32 exec_lo, exec_lo, s9
	s_and_saveexec_b32 s4, s3
	s_cbranch_execnz .LBB14_169
.LBB14_162:                             ;   in Loop: Header=BB14_4 Depth=1
	s_or_b32 exec_lo, exec_lo, s4
	s_and_saveexec_b32 s3, s2
	s_cbranch_execnz .LBB14_170
.LBB14_163:                             ;   in Loop: Header=BB14_4 Depth=1
	s_or_b32 exec_lo, exec_lo, s3
	s_and_saveexec_b32 s2, vcc_lo
	s_cbranch_execz .LBB14_3
	s_branch .LBB14_171
.LBB14_164:                             ;   in Loop: Header=BB14_4 Depth=1
	v_cmp_gt_f32_e64 s9, 0x4b000000, |v21|
	v_cmp_lt_f32_e64 s10, 0x35000000, |v21|
	s_delay_alu instid0(VALU_DEP_1) | instskip(NEXT) | instid1(SALU_CYCLE_1)
	s_and_b32 s9, s9, s10
	s_and_saveexec_b32 s39, s9
	s_cbranch_execz .LBB14_166
; %bb.165:                              ;   in Loop: Header=BB14_4 Depth=1
	v_mul_f32_e64 v24, |v21|, 0.5
	v_xor_b32_e32 v22, v22, v21
	s_delay_alu instid0(VALU_DEP_2) | instskip(SKIP_1) | instid1(VALU_DEP_2)
	v_floor_f32_e32 v25, v24
	v_cmp_neq_f32_e64 s9, 0x7f800000, v24
	v_sub_f32_e32 v25, v24, v25
	s_delay_alu instid0(VALU_DEP_1) | instskip(NEXT) | instid1(VALU_DEP_1)
	v_min_f32_e32 v25, 0x3f7fffff, v25
	v_add_f32_e32 v25, v25, v25
	s_delay_alu instid0(VALU_DEP_1) | instskip(SKIP_1) | instid1(VALU_DEP_1)
	v_cndmask_b32_e64 v24, 0, v25, s9
	v_cmp_gt_f32_e64 s9, |v21|, 1.0
	v_cndmask_b32_e64 v24, |v21|, v24, s9
	s_delay_alu instid0(VALU_DEP_1) | instskip(NEXT) | instid1(VALU_DEP_1)
	v_add_f32_e32 v25, v24, v24
	v_rndne_f32_e32 v25, v25
	s_delay_alu instid0(VALU_DEP_1) | instskip(SKIP_1) | instid1(VALU_DEP_2)
	v_fmac_f32_e32 v24, -0.5, v25
	v_cvt_i32_f32_e32 v25, v25
	v_mul_f32_e32 v26, v24, v24
	s_delay_alu instid0(VALU_DEP_1) | instskip(SKIP_1) | instid1(VALU_DEP_2)
	v_fmaak_f32 v27, s36, v26, 0xbf1f24be
	v_fmaak_f32 v28, s37, v26, 0x3e642e9d
	;; [unrolled: 1-line block ×3, first 2 shown]
	s_delay_alu instid0(VALU_DEP_2) | instskip(NEXT) | instid1(VALU_DEP_2)
	v_dual_fmaak_f32 v28, v26, v28, 0xbfaad1da :: v_dual_mul_f32 v29, v24, v26
	v_fmaak_f32 v27, v26, v27, 0xc0a55e0e
	s_delay_alu instid0(VALU_DEP_1) | instskip(NEXT) | instid1(VALU_DEP_1)
	v_dual_fmaak_f32 v28, v26, v28, 0x4081e0d3 :: v_dual_mul_f32 v27, v29, v27
	v_dual_fmaak_f32 v28, v26, v28, 0xc09de9e6 :: v_dual_and_b32 v29, 1, v25
	v_lshlrev_b32_e32 v25, 30, v25
	s_delay_alu instid0(VALU_DEP_3) | instskip(NEXT) | instid1(VALU_DEP_3)
	v_fmac_f32_e32 v27, 0x40490fdb, v24
	v_fma_f32 v24, v26, v28, 1.0
	s_delay_alu instid0(VALU_DEP_4) | instskip(NEXT) | instid1(VALU_DEP_4)
	v_cmp_eq_u32_e64 s9, 0, v29
	v_and_b32_e32 v25, 0x80000000, v25
	s_delay_alu instid0(VALU_DEP_2) | instskip(NEXT) | instid1(VALU_DEP_1)
	v_cndmask_b32_e64 v24, v24, v27, s9
	v_xor3_b32 v22, v22, v25, v24
	s_delay_alu instid0(VALU_DEP_1) | instskip(NEXT) | instid1(VALU_DEP_1)
	v_mul_f32_e32 v22, v21, v22
	v_frexp_mant_f32_e64 v24, |v22|
	v_frexp_exp_i32_f32_e32 v22, v22
	s_delay_alu instid0(VALU_DEP_2) | instskip(NEXT) | instid1(VALU_DEP_1)
	v_rcp_f32_e32 v24, v24
	v_sub_nc_u32_e32 v22, 2, v22
	s_waitcnt_depctr 0xfff
	v_mul_f32_e32 v24, 0x3f490fdb, v24
	s_delay_alu instid0(VALU_DEP_1) | instskip(NEXT) | instid1(VALU_DEP_1)
	v_ldexp_f32 v22, v24, v22
	v_cmp_gt_f32_e64 s9, 0x800000, v22
	s_delay_alu instid0(VALU_DEP_1) | instskip(NEXT) | instid1(VALU_DEP_1)
	v_cndmask_b32_e64 v24, 1.0, 0x4f800000, s9
	v_mul_f32_e32 v22, v22, v24
	s_delay_alu instid0(VALU_DEP_1) | instskip(SKIP_3) | instid1(VALU_DEP_2)
	v_log_f32_e32 v22, v22
	s_waitcnt_depctr 0xfff
	v_mul_f32_e32 v24, 0x3f317217, v22
	v_cmp_gt_f32_e64 s10, 0x7f800000, |v22|
	v_fma_f32 v25, 0x3f317217, v22, -v24
	s_delay_alu instid0(VALU_DEP_1) | instskip(NEXT) | instid1(VALU_DEP_1)
	v_fmac_f32_e32 v25, 0x3377d1cf, v22
	v_add_f32_e32 v24, v24, v25
	v_floor_f32_e32 v25, v21
	s_delay_alu instid0(VALU_DEP_2) | instskip(NEXT) | instid1(VALU_DEP_2)
	v_cndmask_b32_e64 v22, v22, v24, s10
	v_sub_f32_e32 v25, v21, v25
	v_cndmask_b32_e64 v24, 0, 0x41b17218, s9
	s_delay_alu instid0(VALU_DEP_1) | instskip(NEXT) | instid1(VALU_DEP_3)
	v_sub_f32_e32 v22, v22, v24
	v_min_f32_e32 v24, 0x3f7fffff, v25
	s_delay_alu instid0(VALU_DEP_2) | instskip(NEXT) | instid1(VALU_DEP_2)
	v_sub_f32_e32 v22, v22, v23
	v_cmp_neq_f32_e64 s9, 0, v24
	s_delay_alu instid0(VALU_DEP_1)
	v_cndmask_b32_e64 v23, 0x7f800000, v22, s9
.LBB14_166:                             ;   in Loop: Header=BB14_4 Depth=1
	s_or_b32 exec_lo, exec_lo, s39
	s_and_not1_saveexec_b32 s38, s38
	s_cbranch_execz .LBB14_160
.LBB14_167:                             ;   in Loop: Header=BB14_4 Depth=1
	v_cmp_eq_f16_e64 s9, 1.0, v11
	v_cmp_eq_f16_e64 s10, 2.0, v11
	s_delay_alu instid0(VALU_DEP_1) | instskip(NEXT) | instid1(SALU_CYCLE_1)
	s_or_b32 s9, s9, s10
	v_cndmask_b32_e64 v23, v23, 0, s9
	s_or_b32 exec_lo, exec_lo, s38
	s_and_saveexec_b32 s9, s4
	s_delay_alu instid0(SALU_CYCLE_1)
	s_xor_b32 s9, exec_lo, s9
	s_cbranch_execz .LBB14_161
.LBB14_168:                             ;   in Loop: Header=BB14_4 Depth=1
	v_cmp_gt_f32_e64 s4, 0x4b000000, |v15|
	v_cvt_f16_f32_e32 v16, v16
	s_delay_alu instid0(VALU_DEP_2)
	s_or_b32 s4, s5, s4
	s_delay_alu instid0(VALU_DEP_1) | instid1(SALU_CYCLE_1)
	v_cndmask_b32_e64 v16, 0x7c00, v16, s4
	v_cmp_class_f32_e64 s4, v15, 0x264
	s_delay_alu instid0(VALU_DEP_1) | instskip(SKIP_1) | instid1(VALU_DEP_1)
	v_cndmask_b32_e64 v15, v16, 0x7c00, s4
	v_cmp_u_f16_e64 s4, v14, v14
	v_cndmask_b32_e64 v14, v15, v14, s4
	global_store_b16 v[1:2], v14, off
	s_or_b32 exec_lo, exec_lo, s9
	s_and_saveexec_b32 s4, s3
	s_cbranch_execz .LBB14_162
.LBB14_169:                             ;   in Loop: Header=BB14_4 Depth=1
	v_cmp_gt_f32_e64 s3, 0x4b000000, |v17|
	v_cvt_f16_f32_e32 v14, v18
	s_delay_alu instid0(VALU_DEP_2)
	s_or_b32 s3, s6, s3
	s_delay_alu instid0(VALU_DEP_1) | instid1(SALU_CYCLE_1)
	v_cndmask_b32_e64 v14, 0x7c00, v14, s3
	v_cmp_class_f32_e64 s3, v17, 0x264
	s_delay_alu instid0(VALU_DEP_1) | instskip(SKIP_1) | instid1(VALU_DEP_1)
	v_cndmask_b32_e64 v14, v14, 0x7c00, s3
	v_cmp_u_f16_e64 s3, v12, v12
	v_cndmask_b32_e64 v12, v14, v12, s3
	global_store_b16 v[3:4], v12, off
	s_or_b32 exec_lo, exec_lo, s4
	s_and_saveexec_b32 s3, s2
	s_cbranch_execz .LBB14_163
.LBB14_170:                             ;   in Loop: Header=BB14_4 Depth=1
	v_cmp_gt_f32_e64 s2, 0x4b000000, |v19|
	v_cvt_f16_f32_e32 v12, v20
	s_delay_alu instid0(VALU_DEP_2)
	s_or_b32 s2, s7, s2
	s_delay_alu instid0(VALU_DEP_1) | instid1(SALU_CYCLE_1)
	v_cndmask_b32_e64 v12, 0x7c00, v12, s2
	v_cmp_class_f32_e64 s2, v19, 0x264
	s_delay_alu instid0(VALU_DEP_1) | instskip(SKIP_1) | instid1(VALU_DEP_1)
	v_cndmask_b32_e64 v12, v12, 0x7c00, s2
	v_cmp_u_f16_e64 s2, v13, v13
	v_cndmask_b32_e64 v14, v12, v13, s2
	v_add_co_u32 v12, s2, v1, s11
	s_delay_alu instid0(VALU_DEP_1)
	v_add_co_ci_u32_e64 v13, s2, 0, v2, s2
	global_store_b16 v[12:13], v14, off
	s_or_b32 exec_lo, exec_lo, s3
	s_and_saveexec_b32 s2, vcc_lo
	s_cbranch_execz .LBB14_3
.LBB14_171:                             ;   in Loop: Header=BB14_4 Depth=1
	v_cmp_gt_f32_e64 s3, 0x4b000000, |v21|
	v_cvt_f16_f32_e32 v12, v23
	s_delay_alu instid0(VALU_DEP_2) | instskip(SKIP_1) | instid1(VALU_DEP_2)
	s_or_b32 vcc_lo, s8, s3
	v_cmp_class_f32_e64 s3, v21, 0x264
	v_cndmask_b32_e32 v12, 0x7c00, v12, vcc_lo
	v_cmp_u_f16_e32 vcc_lo, v11, v11
	s_delay_alu instid0(VALU_DEP_2) | instskip(NEXT) | instid1(VALU_DEP_1)
	v_cndmask_b32_e64 v12, v12, 0x7c00, s3
	v_cndmask_b32_e32 v13, v12, v11, vcc_lo
	v_add_co_u32 v11, vcc_lo, v1, s22
	v_add_co_ci_u32_e32 v12, vcc_lo, 0, v2, vcc_lo
	global_store_b16 v[11:12], v13, off
	s_branch .LBB14_3
.LBB14_172:
	s_cbranch_execz .LBB14_174
	s_branch .LBB14_329
.LBB14_173:
.LBB14_174:
	v_dual_mov_b32 v2, 0 :: v_dual_lshlrev_b32 v1, 2, v0
	s_mov_b32 s5, 0
	s_mov_b32 s2, exec_lo
	s_delay_alu instid0(VALU_DEP_1)
	v_cmpx_gt_i64_e64 s[12:13], v[1:2]
	s_cbranch_execz .LBB14_329
; %bb.175:
	s_load_b32 s0, s[0:1], 0xd3c
	v_lshlrev_b32_e32 v3, 3, v0
	s_mov_b32 s6, 0xbad5c4e8
	s_mov_b32 s7, 0x3805ff67
	;; [unrolled: 1-line block ×10, first 2 shown]
	s_waitcnt lgkmcnt(0)
	s_and_b32 s0, s0, 0xffff
	s_delay_alu instid0(SALU_CYCLE_1) | instskip(SKIP_4) | instid1(VALU_DEP_1)
	s_lshl_b32 s21, s0, 2
	s_add_u32 s1, s14, s16
	v_add_lshl_u32 v1, v0, s0, 2
	s_addc_u32 s2, s15, s17
	v_add_co_u32 v0, s1, s1, v3
	v_add_co_ci_u32_e64 v4, null, s2, 0, s1
	s_lshl_b32 s14, s0, 3
	s_delay_alu instid0(VALU_DEP_2) | instskip(NEXT) | instid1(VALU_DEP_2)
	v_add_co_u32 v3, vcc_lo, v0, 4
	v_add_co_ci_u32_e32 v4, vcc_lo, 0, v4, vcc_lo
	s_mov_b32 s15, 0x383c2c75
	s_mov_b32 s16, 0x3e8a8991
	;; [unrolled: 1-line block ×3, first 2 shown]
	s_branch .LBB14_177
.LBB14_176:                             ;   in Loop: Header=BB14_177 Depth=1
	s_or_b32 exec_lo, exec_lo, s23
	v_cmp_gt_f32_e64 s3, 0x4b000000, |v11|
	v_cvt_f16_f32_e32 v12, v12
	v_cmp_gt_f32_e64 s4, 0x4b000000, |v9|
	v_cvt_f16_f32_e32 v10, v10
	v_cmp_class_f32_e64 s23, v11, 0x264
	s_or_b32 s1, s1, s3
	v_cmp_gt_f32_e64 s3, 0x4b000000, |v14|
	v_cndmask_b32_e64 v12, 0x7c00, v12, s1
	s_or_b32 s0, s0, s4
	v_cmp_gt_f32_e64 s1, 0x4b000000, |v0|
	v_cndmask_b32_e64 v10, 0x7c00, v10, s0
	v_cmp_u_f16_e64 s0, v6, v6
	v_cndmask_b32_e64 v11, v12, 0x7c00, s23
	v_cvt_f16_f32_e32 v12, v16
	v_cvt_f16_f32_e32 v7, v7
	s_or_b32 vcc_lo, vcc_lo, s1
	s_delay_alu instid0(VALU_DEP_3) | instskip(SKIP_1) | instid1(VALU_DEP_2)
	v_cndmask_b32_e64 v6, v11, v6, s0
	s_or_b32 s0, s2, s3
	v_cndmask_b32_e32 v7, 0x7c00, v7, vcc_lo
	v_cndmask_b32_e64 v11, 0x7c00, v12, s0
	v_cmp_class_f32_e64 s0, v9, 0x264
	v_cmp_u_f16_e32 vcc_lo, v8, v8
	s_delay_alu instid0(VALU_DEP_2) | instskip(SKIP_1) | instid1(VALU_DEP_1)
	v_cndmask_b32_e64 v9, v10, 0x7c00, s0
	v_cmp_class_f32_e64 s0, v14, 0x264
	v_cndmask_b32_e64 v10, v11, 0x7c00, s0
	v_cmp_class_f32_e64 s0, v0, 0x264
	s_delay_alu instid0(VALU_DEP_1)
	v_cndmask_b32_e64 v0, v7, 0x7c00, s0
	v_cndmask_b32_e32 v7, v9, v8, vcc_lo
	v_cmp_u_f16_e32 vcc_lo, v13, v13
	v_cmp_lt_u64_e64 s0, 0xffff, v[1:2]
	v_cndmask_b32_e32 v8, v10, v13, vcc_lo
	v_cmp_u_f16_e32 vcc_lo, v5, v5
	s_delay_alu instid0(VALU_DEP_2) | instskip(SKIP_2) | instid1(VALU_DEP_2)
	v_perm_b32 v6, v8, v6, 0x5040100
	v_cndmask_b32_e32 v0, v0, v5, vcc_lo
	v_cmp_le_i64_e32 vcc_lo, s[12:13], v[1:2]
	v_perm_b32 v5, v7, v0, 0x5040100
	s_or_b32 s0, vcc_lo, s0
	v_add_co_u32 v1, vcc_lo, v1, s21
	v_add_co_ci_u32_e32 v2, vcc_lo, 0, v2, vcc_lo
	global_store_b64 v[3:4], v[5:6], off offset:-4
	v_add_co_u32 v3, vcc_lo, v3, s14
	v_add_co_ci_u32_e32 v4, vcc_lo, 0, v4, vcc_lo
	s_and_b32 s0, exec_lo, s0
	s_delay_alu instid0(SALU_CYCLE_1) | instskip(NEXT) | instid1(SALU_CYCLE_1)
	s_or_b32 s5, s0, s5
	s_and_not1_b32 exec_lo, exec_lo, s5
	s_cbranch_execz .LBB14_329
.LBB14_177:                             ; =>This Inner Loop Header: Depth=1
	global_load_b64 v[5:6], v[3:4], off offset:-4
	s_mov_b32 s1, exec_lo
                                        ; implicit-def: $vgpr7
	s_waitcnt vmcnt(0)
	v_cvt_f32_f16_e32 v0, v5
	s_delay_alu instid0(VALU_DEP_1)
	v_and_b32_e32 v8, 0x7fffffff, v0
	v_cmpx_ngt_f32_e64 0x3c800000, |v0|
	s_xor_b32 s1, exec_lo, s1
	s_cbranch_execz .LBB14_207
; %bb.178:                              ;   in Loop: Header=BB14_177 Depth=1
	s_mov_b32 s2, exec_lo
                                        ; implicit-def: $vgpr7
	v_cmpx_nlt_f32_e64 |v0|, 2.0
	s_xor_b32 s2, exec_lo, s2
	s_cbranch_execz .LBB14_188
; %bb.179:                              ;   in Loop: Header=BB14_177 Depth=1
	v_cmp_ngt_f32_e64 s0, 0x41000000, |v0|
                                        ; implicit-def: $vgpr7
	s_delay_alu instid0(VALU_DEP_1) | instskip(NEXT) | instid1(SALU_CYCLE_1)
	s_and_saveexec_b32 s3, s0
	s_xor_b32 s0, exec_lo, s3
	s_cbranch_execz .LBB14_185
; %bb.180:                              ;   in Loop: Header=BB14_177 Depth=1
	v_cmp_ngt_f32_e64 s3, 0x5c800000, |v0|
                                        ; implicit-def: $vgpr7
	s_delay_alu instid0(VALU_DEP_1) | instskip(NEXT) | instid1(SALU_CYCLE_1)
	s_and_saveexec_b32 s4, s3
	s_xor_b32 s3, exec_lo, s4
	s_cbranch_execz .LBB14_182
; %bb.181:                              ;   in Loop: Header=BB14_177 Depth=1
	v_cmp_gt_f32_e64 s4, 0x800000, |v0|
	s_delay_alu instid0(VALU_DEP_1) | instskip(NEXT) | instid1(VALU_DEP_1)
	v_cndmask_b32_e64 v7, 1.0, 0x4f800000, s4
	v_mul_f32_e64 v7, |v0|, v7
	s_delay_alu instid0(VALU_DEP_1) | instskip(SKIP_3) | instid1(VALU_DEP_2)
	v_log_f32_e32 v7, v7
	s_waitcnt_depctr 0xfff
	v_mul_f32_e32 v9, 0x3f317217, v7
	v_cmp_gt_f32_e64 vcc_lo, 0x7f800000, |v7|
	v_fma_f32 v10, 0x3f317217, v7, -v9
	s_delay_alu instid0(VALU_DEP_1) | instskip(NEXT) | instid1(VALU_DEP_1)
	v_fmac_f32_e32 v10, 0x3377d1cf, v7
	v_add_f32_e32 v9, v9, v10
	s_delay_alu instid0(VALU_DEP_1) | instskip(SKIP_1) | instid1(VALU_DEP_1)
	v_cndmask_b32_e32 v7, v7, v9, vcc_lo
	v_cndmask_b32_e64 v9, 0, 0x41b17218, s4
	v_sub_f32_e32 v7, v7, v9
	s_delay_alu instid0(VALU_DEP_1)
	v_fma_f32 v7, |v0|, v7, -|v0|
.LBB14_182:                             ;   in Loop: Header=BB14_177 Depth=1
	s_and_not1_saveexec_b32 s3, s3
	s_cbranch_execz .LBB14_184
; %bb.183:                              ;   in Loop: Header=BB14_177 Depth=1
	v_cmp_gt_f32_e64 s4, 0x800000, |v0|
	v_rcp_f32_e64 v9, |v0|
	s_delay_alu instid0(VALU_DEP_1) | instskip(NEXT) | instid1(VALU_DEP_1)
	v_cndmask_b32_e64 v7, 1.0, 0x4f800000, s4
	v_mul_f32_e64 v7, |v0|, v7
	s_delay_alu instid0(VALU_DEP_1) | instskip(SKIP_3) | instid1(VALU_DEP_2)
	v_log_f32_e32 v7, v7
	s_waitcnt_depctr 0xfff
	v_dual_mul_f32 v10, v9, v9 :: v_dual_mul_f32 v11, 0x3f317217, v7
	v_cmp_gt_f32_e64 vcc_lo, 0x7f800000, |v7|
	v_fma_f32 v13, 0x3f317217, v7, -v11
	s_delay_alu instid0(VALU_DEP_1) | instskip(NEXT) | instid1(VALU_DEP_1)
	v_fmac_f32_e32 v13, 0x3377d1cf, v7
	v_dual_fmaak_f32 v12, s6, v10, 0x3a5b3dd2 :: v_dual_add_f32 v11, v11, v13
	s_delay_alu instid0(VALU_DEP_1) | instskip(SKIP_1) | instid1(VALU_DEP_1)
	v_dual_fmaak_f32 v12, v10, v12, 0xba1c065c :: v_dual_cndmask_b32 v7, v7, v11
	v_cndmask_b32_e64 v11, 0, 0x41b17218, s4
	v_dual_fmaak_f32 v12, v10, v12, 0x3a500cfd :: v_dual_sub_f32 v11, v7, v11
	s_delay_alu instid0(VALU_DEP_1) | instskip(NEXT) | instid1(VALU_DEP_1)
	v_fmaak_f32 v12, v10, v12, 0xbb360b61
	v_fmaak_f32 v10, v10, v12, 0x3daaaaab
	s_delay_alu instid0(VALU_DEP_1) | instskip(SKIP_1) | instid1(VALU_DEP_1)
	v_dual_fmaak_f32 v7, v9, v10, 0x3ed67f1d :: v_dual_add_f32 v10, -1.0, v11
	v_add_f32_e64 v9, |v0|, -0.5
	v_fmac_f32_e32 v7, v9, v10
.LBB14_184:                             ;   in Loop: Header=BB14_177 Depth=1
	s_or_b32 exec_lo, exec_lo, s3
.LBB14_185:                             ;   in Loop: Header=BB14_177 Depth=1
	s_and_not1_saveexec_b32 s3, s0
	s_cbranch_execz .LBB14_187
; %bb.186:                              ;   in Loop: Header=BB14_177 Depth=1
	v_cvt_i32_f32_e32 v7, v8
	s_delay_alu instid0(VALU_DEP_1) | instskip(SKIP_1) | instid1(VALU_DEP_2)
	v_cvt_f32_i32_e32 v9, v7
	v_cmp_lt_i32_e32 vcc_lo, 2, v7
	v_sub_f32_e64 v9, |v0|, v9
	s_delay_alu instid0(VALU_DEP_1) | instskip(SKIP_1) | instid1(VALU_DEP_1)
	v_add_f32_e32 v11, 0x40400000, v9
	v_add_f32_e32 v10, 2.0, v9
	v_cndmask_b32_e32 v10, 1.0, v10, vcc_lo
	v_cmp_lt_i32_e32 vcc_lo, 3, v7
	s_delay_alu instid0(VALU_DEP_4) | instskip(SKIP_1) | instid1(VALU_DEP_2)
	v_cndmask_b32_e32 v11, 1.0, v11, vcc_lo
	v_cmp_lt_i32_e32 vcc_lo, 4, v7
	v_dual_mul_f32 v10, v10, v11 :: v_dual_add_f32 v11, 0x40c00000, v9
	v_add_f32_e32 v12, 4.0, v9
	s_delay_alu instid0(VALU_DEP_1) | instskip(SKIP_1) | instid1(VALU_DEP_2)
	v_dual_add_f32 v13, 0x40a00000, v9 :: v_dual_cndmask_b32 v12, 1.0, v12
	v_cmp_lt_i32_e32 vcc_lo, 5, v7
	v_dual_mul_f32 v10, v12, v10 :: v_dual_cndmask_b32 v13, 1.0, v13
	v_cmp_lt_i32_e32 vcc_lo, 6, v7
	v_fmaak_f32 v12, s7, v9, 0x3af135b4
	s_delay_alu instid0(VALU_DEP_3) | instskip(NEXT) | instid1(VALU_DEP_1)
	v_dual_mul_f32 v10, v13, v10 :: v_dual_cndmask_b32 v7, 1.0, v11
	v_dual_mul_f32 v7, v7, v10 :: v_dual_fmaak_f32 v10, s8, v9, 0x3a4beed6
	s_delay_alu instid0(VALU_DEP_1) | instskip(SKIP_1) | instid1(VALU_DEP_1)
	v_cmp_gt_f32_e32 vcc_lo, 0x800000, v7
	v_cndmask_b32_e64 v11, 1.0, 0x4f800000, vcc_lo
	v_mul_f32_e32 v7, v7, v11
	v_fmaak_f32 v11, v9, v12, 0x3cda40e4
	s_delay_alu instid0(VALU_DEP_2) | instskip(SKIP_3) | instid1(VALU_DEP_2)
	v_log_f32_e32 v7, v7
	s_waitcnt_depctr 0xfff
	v_mul_f32_e32 v12, 0x3f317217, v7
	v_cmp_gt_f32_e64 s0, 0x7f800000, |v7|
	v_fma_f32 v13, 0x3f317217, v7, -v12
	s_delay_alu instid0(VALU_DEP_1) | instskip(NEXT) | instid1(VALU_DEP_1)
	v_fmac_f32_e32 v13, 0x3377d1cf, v7
	v_dual_add_f32 v12, v12, v13 :: v_dual_fmaak_f32 v11, v9, v11, 0x3e15dce6
	s_delay_alu instid0(VALU_DEP_1) | instskip(SKIP_1) | instid1(VALU_DEP_3)
	v_cndmask_b32_e64 v7, v7, v12, s0
	v_fmaak_f32 v10, v9, v10, 0x3c98bf54
	v_fmaak_f32 v11, v9, v11, 0x3ea6cc7a
	s_delay_alu instid0(VALU_DEP_2) | instskip(NEXT) | instid1(VALU_DEP_2)
	v_fmaak_f32 v10, v9, v10, 0x3e300f6e
	v_fmaak_f32 v11, v9, v11, 0x3e5c245a
	s_delay_alu instid0(VALU_DEP_2) | instskip(NEXT) | instid1(VALU_DEP_2)
	;; [unrolled: 3-line block ×3, first 2 shown]
	v_fmaak_f32 v10, v9, v10, 0x3fb22d3b
	v_mul_f32_e32 v11, v9, v11
	s_delay_alu instid0(VALU_DEP_2) | instskip(NEXT) | instid1(VALU_DEP_1)
	v_fma_f32 v10, v9, v10, 1.0
	v_rcp_f32_e32 v10, v10
	s_waitcnt_depctr 0xfff
	v_mul_f32_e32 v10, v11, v10
	v_cndmask_b32_e64 v11, 0, 0x41b17218, vcc_lo
	s_delay_alu instid0(VALU_DEP_1) | instskip(NEXT) | instid1(VALU_DEP_1)
	v_dual_fmac_f32 v10, 0.5, v9 :: v_dual_sub_f32 v7, v7, v11
	v_add_f32_e32 v7, v7, v10
.LBB14_187:                             ;   in Loop: Header=BB14_177 Depth=1
	s_or_b32 exec_lo, exec_lo, s3
.LBB14_188:                             ;   in Loop: Header=BB14_177 Depth=1
	s_and_not1_saveexec_b32 s2, s2
	s_cbranch_execz .LBB14_206
; %bb.189:                              ;   in Loop: Header=BB14_177 Depth=1
	s_mov_b32 s3, exec_lo
                                        ; implicit-def: $vgpr7
                                        ; implicit-def: $vgpr10
                                        ; implicit-def: $vgpr9
	v_cmpx_ge_f32_e64 0x3f666666, |v0|
	s_xor_b32 s3, exec_lo, s3
	s_cbranch_execz .LBB14_191
; %bb.190:                              ;   in Loop: Header=BB14_177 Depth=1
	v_cmp_gt_f32_e64 s0, 0x800000, |v0|
	v_sub_f32_e64 v11, 1.0, |v0|
	v_cmp_gt_f32_e64 vcc_lo, 0x3f3b4a23, |v0|
	s_delay_alu instid0(VALU_DEP_3) | instskip(SKIP_1) | instid1(VALU_DEP_2)
	v_cndmask_b32_e64 v7, 1.0, 0x4f800000, s0
	v_cndmask_b32_e64 v12, 0, 0x41b17218, s0
	v_mul_f32_e64 v7, |v0|, v7
	s_delay_alu instid0(VALU_DEP_1) | instskip(SKIP_3) | instid1(VALU_DEP_2)
	v_log_f32_e32 v7, v7
	s_waitcnt_depctr 0xfff
	v_mul_f32_e32 v9, 0x3f317217, v7
	v_cmp_gt_f32_e64 s0, 0x7f800000, |v7|
	v_fma_f32 v10, 0x3f317217, v7, -v9
	s_delay_alu instid0(VALU_DEP_1) | instskip(NEXT) | instid1(VALU_DEP_1)
	v_fmac_f32_e32 v10, 0x3377d1cf, v7
	v_add_f32_e32 v9, v9, v10
	v_add_f32_e64 v10, 0xbeec5b0c, |v0|
	s_delay_alu instid0(VALU_DEP_2) | instskip(NEXT) | instid1(VALU_DEP_2)
	v_cndmask_b32_e64 v7, v7, v9, s0
	v_cndmask_b32_e32 v9, v11, v10, vcc_lo
	v_cndmask_b32_e64 v10, 0, 1, vcc_lo
	v_cmp_gt_f32_e64 s0, 0x3e6d3309, |v0|
	s_delay_alu instid0(VALU_DEP_4) | instskip(NEXT) | instid1(VALU_DEP_2)
	v_sub_f32_e32 v7, v7, v12
	v_cndmask_b32_e64 v9, v9, |v0|, s0
	s_delay_alu instid0(VALU_DEP_4) | instskip(NEXT) | instid1(VALU_DEP_3)
	v_cndmask_b32_e64 v10, v10, 2, s0
	v_xor_b32_e32 v7, 0x80000000, v7
.LBB14_191:                             ;   in Loop: Header=BB14_177 Depth=1
	s_and_not1_saveexec_b32 s0, s3
; %bb.192:                              ;   in Loop: Header=BB14_177 Depth=1
	v_sub_f32_e64 v7, 2.0, |v0|
	v_add_f32_e64 v9, 0xbfbb16c3, |v0|
	v_cmp_gt_f32_e64 vcc_lo, 0x3fdda512, |v0|
	v_add_f32_e64 v10, |v0|, -1.0
	s_delay_alu instid0(VALU_DEP_3) | instskip(NEXT) | instid1(VALU_DEP_3)
	v_cndmask_b32_e32 v9, v7, v9, vcc_lo
	v_cndmask_b32_e64 v7, v7, 1.0, vcc_lo
	v_cmp_gt_f32_e64 vcc_lo, 0x3f9d70a4, |v0|
	s_delay_alu instid0(VALU_DEP_2) | instskip(NEXT) | instid1(VALU_DEP_4)
	v_cvt_i32_f32_e32 v7, v7
	v_cndmask_b32_e32 v9, v9, v10, vcc_lo
	s_delay_alu instid0(VALU_DEP_2)
	v_cndmask_b32_e64 v10, v7, 2, vcc_lo
	v_mov_b32_e32 v7, 0
; %bb.193:                              ;   in Loop: Header=BB14_177 Depth=1
	s_or_b32 exec_lo, exec_lo, s0
	s_delay_alu instid0(SALU_CYCLE_1) | instskip(NEXT) | instid1(VALU_DEP_2)
	s_mov_b32 s0, exec_lo
	v_cmpx_lt_i32_e32 0, v10
	s_xor_b32 s0, exec_lo, s0
	s_cbranch_execz .LBB14_201
; %bb.194:                              ;   in Loop: Header=BB14_177 Depth=1
	s_mov_b32 s3, exec_lo
	v_cmpx_lt_i32_e32 1, v10
	s_xor_b32 s3, exec_lo, s3
	s_cbranch_execz .LBB14_198
; %bb.195:                              ;   in Loop: Header=BB14_177 Depth=1
	s_mov_b32 s4, exec_lo
	v_cmpx_eq_u32_e32 2, v10
	s_cbranch_execz .LBB14_197
; %bb.196:                              ;   in Loop: Header=BB14_177 Depth=1
	v_fmaak_f32 v11, s9, v9, 0x3e6a7578
	s_delay_alu instid0(VALU_DEP_1) | instskip(NEXT) | instid1(VALU_DEP_1)
	v_fmaak_f32 v11, v9, v11, 0x3f7a4bb2
	v_fmaak_f32 v11, v9, v11, 0x3fba3ae7
	s_delay_alu instid0(VALU_DEP_1) | instskip(NEXT) | instid1(VALU_DEP_1)
	v_fmaak_f32 v11, v9, v11, 0x3f2200f4
	v_fmaak_f32 v11, v9, v11, 0xbd9e233f
	s_delay_alu instid0(VALU_DEP_1) | instskip(NEXT) | instid1(VALU_DEP_1)
	v_dual_fmaak_f32 v10, s10, v9, 0x3dd572af :: v_dual_mul_f32 v11, v9, v11
	v_fmaak_f32 v10, v9, v10, 0x3f44efdf
	s_delay_alu instid0(VALU_DEP_1) | instskip(NEXT) | instid1(VALU_DEP_1)
	v_fmaak_f32 v10, v9, v10, 0x4008392d
	v_fmaak_f32 v10, v9, v10, 0x401d2ebe
	s_delay_alu instid0(VALU_DEP_1) | instskip(NEXT) | instid1(VALU_DEP_1)
	v_fma_f32 v10, v9, v10, 1.0
	v_rcp_f32_e32 v10, v10
	s_waitcnt_depctr 0xfff
	v_mul_f32_e32 v10, v11, v10
	s_delay_alu instid0(VALU_DEP_1) | instskip(NEXT) | instid1(VALU_DEP_1)
	v_fmac_f32_e32 v10, -0.5, v9
	v_add_f32_e32 v7, v7, v10
.LBB14_197:                             ;   in Loop: Header=BB14_177 Depth=1
	s_or_b32 exec_lo, exec_lo, s4
                                        ; implicit-def: $vgpr9
.LBB14_198:                             ;   in Loop: Header=BB14_177 Depth=1
	s_and_not1_saveexec_b32 s3, s3
	s_cbranch_execz .LBB14_200
; %bb.199:                              ;   in Loop: Header=BB14_177 Depth=1
	v_mul_f32_e32 v10, v9, v9
	s_delay_alu instid0(VALU_DEP_1) | instskip(NEXT) | instid1(VALU_DEP_1)
	v_mul_f32_e32 v11, v9, v10
	v_fmaak_f32 v13, s19, v11, 0xba0d3085
	v_fmaak_f32 v12, s18, v11, 0x3a66f867
	;; [unrolled: 1-line block ×3, first 2 shown]
	s_delay_alu instid0(VALU_DEP_3) | instskip(NEXT) | instid1(VALU_DEP_3)
	v_fmaak_f32 v13, v11, v13, 0x3b141699
	v_fmaak_f32 v12, v11, v12, 0xbb7177fe
	s_delay_alu instid0(VALU_DEP_3) | instskip(NEXT) | instid1(VALU_DEP_3)
	v_fmaak_f32 v14, v11, v14, 0x3bc7e707
	v_fmaak_f32 v13, v11, v13, 0xbc28fcfe
	;; [unrolled: 3-line block ×4, first 2 shown]
	s_delay_alu instid0(VALU_DEP_1) | instskip(NEXT) | instid1(VALU_DEP_1)
	v_dual_fmac_f32 v12, v9, v13 :: v_dual_fmaak_f32 v9, v11, v14, 0x3ef7b95e
	v_fma_f32 v11, v11, -v12, 0xa2863e55
	s_delay_alu instid0(VALU_DEP_1) | instskip(NEXT) | instid1(VALU_DEP_1)
	v_fma_f32 v9, v10, v9, -v11
	v_add_f32_e32 v9, 0xbdf8cdce, v9
	s_delay_alu instid0(VALU_DEP_1)
	v_add_f32_e32 v7, v7, v9
.LBB14_200:                             ;   in Loop: Header=BB14_177 Depth=1
	s_or_b32 exec_lo, exec_lo, s3
                                        ; implicit-def: $vgpr10
                                        ; implicit-def: $vgpr9
.LBB14_201:                             ;   in Loop: Header=BB14_177 Depth=1
	s_and_not1_saveexec_b32 s0, s0
	s_cbranch_execz .LBB14_205
; %bb.202:                              ;   in Loop: Header=BB14_177 Depth=1
	s_mov_b32 s3, exec_lo
	v_cmpx_eq_u32_e32 0, v10
	s_cbranch_execz .LBB14_204
; %bb.203:                              ;   in Loop: Header=BB14_177 Depth=1
	v_mul_f32_e32 v10, v9, v9
	s_delay_alu instid0(VALU_DEP_1) | instskip(NEXT) | instid1(VALU_DEP_1)
	v_fmaak_f32 v12, s20, v10, 0x39679767
	v_fmaak_f32 v12, v10, v12, 0x3a9c54a1
	s_delay_alu instid0(VALU_DEP_1) | instskip(NEXT) | instid1(VALU_DEP_1)
	v_fmaak_f32 v12, v10, v12, 0x3bf2027e
	v_fmaak_f32 v12, v10, v12, 0x3d89f001
	s_delay_alu instid0(VALU_DEP_1) | instskip(SKIP_1) | instid1(VALU_DEP_1)
	v_fmaak_f32 v12, v10, v12, 0x3d9e233f
	v_fmaak_f32 v11, s15, v10, 0x38e28445
	;; [unrolled: 1-line block ×3, first 2 shown]
	s_delay_alu instid0(VALU_DEP_1) | instskip(NEXT) | instid1(VALU_DEP_1)
	v_fmaak_f32 v11, v10, v11, 0x3b3d6ec6
	v_fmaak_f32 v11, v10, v11, 0x3ca89915
	s_delay_alu instid0(VALU_DEP_1) | instskip(NEXT) | instid1(VALU_DEP_1)
	v_fmaak_f32 v11, v10, v11, 0x3ea51a66
	v_mul_f32_e32 v10, v10, v11
	s_delay_alu instid0(VALU_DEP_1) | instskip(NEXT) | instid1(VALU_DEP_1)
	v_fmac_f32_e32 v10, v9, v12
	v_fmac_f32_e32 v10, -0.5, v9
	s_delay_alu instid0(VALU_DEP_1)
	v_add_f32_e32 v7, v7, v10
.LBB14_204:                             ;   in Loop: Header=BB14_177 Depth=1
	s_or_b32 exec_lo, exec_lo, s3
.LBB14_205:                             ;   in Loop: Header=BB14_177 Depth=1
	s_delay_alu instid0(SALU_CYCLE_1)
	s_or_b32 exec_lo, exec_lo, s0
.LBB14_206:                             ;   in Loop: Header=BB14_177 Depth=1
	s_delay_alu instid0(SALU_CYCLE_1)
	s_or_b32 exec_lo, exec_lo, s2
.LBB14_207:                             ;   in Loop: Header=BB14_177 Depth=1
	s_and_not1_saveexec_b32 s0, s1
	s_cbranch_execz .LBB14_209
; %bb.208:                              ;   in Loop: Header=BB14_177 Depth=1
	v_cmp_gt_f32_e64 s1, 0x800000, |v0|
	v_fma_f32 v11, |v0|, s16, 0xbecd26ab
	s_delay_alu instid0(VALU_DEP_2) | instskip(NEXT) | instid1(VALU_DEP_1)
	v_cndmask_b32_e64 v7, 1.0, 0x4f800000, s1
	v_mul_f32_e64 v7, |v0|, v7
	s_delay_alu instid0(VALU_DEP_1) | instskip(SKIP_3) | instid1(VALU_DEP_2)
	v_log_f32_e32 v7, v7
	s_waitcnt_depctr 0xfff
	v_mul_f32_e32 v9, 0x3f317217, v7
	v_cmp_gt_f32_e64 vcc_lo, 0x7f800000, |v7|
	v_fma_f32 v10, 0x3f317217, v7, -v9
	s_delay_alu instid0(VALU_DEP_1) | instskip(NEXT) | instid1(VALU_DEP_1)
	v_fmac_f32_e32 v10, 0x3377d1cf, v7
	v_add_f32_e32 v9, v9, v10
	v_fma_f32 v10, |v0|, v11, 0x3f528d33
	s_delay_alu instid0(VALU_DEP_2) | instskip(SKIP_1) | instid1(VALU_DEP_3)
	v_cndmask_b32_e32 v7, v7, v9, vcc_lo
	v_cndmask_b32_e64 v9, 0, 0x41b17218, s1
	v_fma_f32 v10, |v0|, v10, 0xbf13c468
	s_delay_alu instid0(VALU_DEP_2) | instskip(NEXT) | instid1(VALU_DEP_1)
	v_sub_f32_e32 v7, v7, v9
	v_fma_f32 v7, |v0|, v10, -v7
.LBB14_209:                             ;   in Loop: Header=BB14_177 Depth=1
	s_or_b32 exec_lo, exec_lo, s0
	v_cmp_le_f16_e32 vcc_lo, 0, v5
	s_mov_b32 s1, exec_lo
	v_cmpx_nle_f16_e32 0, v5
	s_xor_b32 s2, exec_lo, s1
	s_cbranch_execz .LBB14_213
; %bb.210:                              ;   in Loop: Header=BB14_177 Depth=1
	v_cmp_gt_f32_e64 s0, 0x4b000000, |v0|
	v_cmp_lt_f32_e64 s1, 0x35000000, |v0|
	s_delay_alu instid0(VALU_DEP_1) | instskip(NEXT) | instid1(SALU_CYCLE_1)
	s_and_b32 s0, s0, s1
	s_and_saveexec_b32 s3, s0
	s_cbranch_execz .LBB14_212
; %bb.211:                              ;   in Loop: Header=BB14_177 Depth=1
	v_mul_f32_e64 v9, |v0|, 0.5
	v_xor_b32_e32 v8, v8, v0
	s_delay_alu instid0(VALU_DEP_2) | instskip(SKIP_1) | instid1(VALU_DEP_2)
	v_floor_f32_e32 v10, v9
	v_cmp_neq_f32_e64 s0, 0x7f800000, v9
	v_sub_f32_e32 v10, v9, v10
	s_delay_alu instid0(VALU_DEP_1) | instskip(NEXT) | instid1(VALU_DEP_1)
	v_min_f32_e32 v10, 0x3f7fffff, v10
	v_add_f32_e32 v10, v10, v10
	s_delay_alu instid0(VALU_DEP_1) | instskip(SKIP_1) | instid1(VALU_DEP_1)
	v_cndmask_b32_e64 v9, 0, v10, s0
	v_cmp_gt_f32_e64 s0, |v0|, 1.0
	v_cndmask_b32_e64 v9, |v0|, v9, s0
	s_delay_alu instid0(VALU_DEP_1) | instskip(NEXT) | instid1(VALU_DEP_1)
	v_add_f32_e32 v10, v9, v9
	v_rndne_f32_e32 v10, v10
	s_delay_alu instid0(VALU_DEP_1) | instskip(SKIP_1) | instid1(VALU_DEP_2)
	v_fmac_f32_e32 v9, -0.5, v10
	v_cvt_i32_f32_e32 v10, v10
	v_mul_f32_e32 v11, v9, v9
	s_delay_alu instid0(VALU_DEP_1) | instskip(SKIP_1) | instid1(VALU_DEP_2)
	v_fmaak_f32 v12, s17, v11, 0xbf1f24be
	v_fmaak_f32 v13, s22, v11, 0x3e642e9d
	;; [unrolled: 1-line block ×3, first 2 shown]
	s_delay_alu instid0(VALU_DEP_2) | instskip(NEXT) | instid1(VALU_DEP_2)
	v_dual_fmaak_f32 v13, v11, v13, 0xbfaad1da :: v_dual_mul_f32 v14, v9, v11
	v_fmaak_f32 v12, v11, v12, 0xc0a55e0e
	s_delay_alu instid0(VALU_DEP_1) | instskip(NEXT) | instid1(VALU_DEP_1)
	v_dual_fmaak_f32 v13, v11, v13, 0x4081e0d3 :: v_dual_mul_f32 v12, v14, v12
	v_dual_fmaak_f32 v13, v11, v13, 0xc09de9e6 :: v_dual_and_b32 v14, 1, v10
	v_lshlrev_b32_e32 v10, 30, v10
	s_delay_alu instid0(VALU_DEP_3) | instskip(NEXT) | instid1(VALU_DEP_3)
	v_fmac_f32_e32 v12, 0x40490fdb, v9
	v_fma_f32 v9, v11, v13, 1.0
	s_delay_alu instid0(VALU_DEP_4) | instskip(NEXT) | instid1(VALU_DEP_4)
	v_cmp_eq_u32_e64 s0, 0, v14
	v_and_b32_e32 v10, 0x80000000, v10
	s_delay_alu instid0(VALU_DEP_2) | instskip(NEXT) | instid1(VALU_DEP_1)
	v_cndmask_b32_e64 v9, v9, v12, s0
	v_xor3_b32 v8, v8, v10, v9
	s_delay_alu instid0(VALU_DEP_1) | instskip(NEXT) | instid1(VALU_DEP_1)
	v_mul_f32_e32 v8, v0, v8
	v_frexp_mant_f32_e64 v9, |v8|
	v_frexp_exp_i32_f32_e32 v8, v8
	s_delay_alu instid0(VALU_DEP_2) | instskip(NEXT) | instid1(VALU_DEP_1)
	v_rcp_f32_e32 v9, v9
	v_sub_nc_u32_e32 v8, 2, v8
	s_waitcnt_depctr 0xfff
	v_mul_f32_e32 v9, 0x3f490fdb, v9
	s_delay_alu instid0(VALU_DEP_1) | instskip(NEXT) | instid1(VALU_DEP_1)
	v_ldexp_f32 v8, v9, v8
	v_cmp_gt_f32_e64 s0, 0x800000, v8
	s_delay_alu instid0(VALU_DEP_1) | instskip(NEXT) | instid1(VALU_DEP_1)
	v_cndmask_b32_e64 v9, 1.0, 0x4f800000, s0
	v_mul_f32_e32 v8, v8, v9
	s_delay_alu instid0(VALU_DEP_1) | instskip(SKIP_3) | instid1(VALU_DEP_2)
	v_log_f32_e32 v8, v8
	s_waitcnt_depctr 0xfff
	v_mul_f32_e32 v9, 0x3f317217, v8
	v_cmp_gt_f32_e64 s1, 0x7f800000, |v8|
	v_fma_f32 v10, 0x3f317217, v8, -v9
	s_delay_alu instid0(VALU_DEP_1) | instskip(NEXT) | instid1(VALU_DEP_1)
	v_fmac_f32_e32 v10, 0x3377d1cf, v8
	v_add_f32_e32 v9, v9, v10
	v_floor_f32_e32 v10, v0
	s_delay_alu instid0(VALU_DEP_2) | instskip(SKIP_1) | instid1(VALU_DEP_3)
	v_cndmask_b32_e64 v8, v8, v9, s1
	v_cndmask_b32_e64 v9, 0, 0x41b17218, s0
	v_sub_f32_e32 v10, v0, v10
	s_delay_alu instid0(VALU_DEP_1) | instskip(NEXT) | instid1(VALU_DEP_1)
	v_dual_sub_f32 v8, v8, v9 :: v_dual_min_f32 v9, 0x3f7fffff, v10
	v_sub_f32_e32 v7, v8, v7
	s_delay_alu instid0(VALU_DEP_2) | instskip(NEXT) | instid1(VALU_DEP_1)
	v_cmp_neq_f32_e64 s0, 0, v9
	v_cndmask_b32_e64 v7, 0x7f800000, v7, s0
.LBB14_212:                             ;   in Loop: Header=BB14_177 Depth=1
	s_or_b32 exec_lo, exec_lo, s3
.LBB14_213:                             ;   in Loop: Header=BB14_177 Depth=1
	s_and_not1_saveexec_b32 s2, s2
; %bb.214:                              ;   in Loop: Header=BB14_177 Depth=1
	v_cmp_eq_f16_e64 s0, 1.0, v5
	v_cmp_eq_f16_e64 s1, 2.0, v5
	s_delay_alu instid0(VALU_DEP_1) | instskip(NEXT) | instid1(SALU_CYCLE_1)
	s_or_b32 s0, s0, s1
	v_cndmask_b32_e64 v7, v7, 0, s0
; %bb.215:                              ;   in Loop: Header=BB14_177 Depth=1
	s_or_b32 exec_lo, exec_lo, s2
	v_lshrrev_b32_e32 v8, 16, v5
                                        ; implicit-def: $vgpr10
	s_mov_b32 s1, exec_lo
	s_delay_alu instid0(VALU_DEP_1) | instskip(NEXT) | instid1(VALU_DEP_1)
	v_cvt_f32_f16_e32 v9, v8
	v_and_b32_e32 v11, 0x7fffffff, v9
	v_cmpx_ngt_f32_e64 0x3c800000, |v9|
	s_xor_b32 s2, exec_lo, s1
	s_cbranch_execz .LBB14_245
; %bb.216:                              ;   in Loop: Header=BB14_177 Depth=1
                                        ; implicit-def: $vgpr10
	s_mov_b32 s1, exec_lo
	v_cmpx_nlt_f32_e64 |v9|, 2.0
	s_xor_b32 s3, exec_lo, s1
	s_cbranch_execz .LBB14_226
; %bb.217:                              ;   in Loop: Header=BB14_177 Depth=1
	s_mov_b32 s1, exec_lo
                                        ; implicit-def: $vgpr10
	v_cmpx_ngt_f32_e64 0x41000000, |v9|
	s_xor_b32 s1, exec_lo, s1
	s_cbranch_execz .LBB14_223
; %bb.218:                              ;   in Loop: Header=BB14_177 Depth=1
	s_mov_b32 s4, exec_lo
                                        ; implicit-def: $vgpr10
	v_cmpx_ngt_f32_e64 0x5c800000, |v9|
	s_xor_b32 s4, exec_lo, s4
	s_cbranch_execz .LBB14_220
; %bb.219:                              ;   in Loop: Header=BB14_177 Depth=1
	v_cmp_gt_f32_e64 s23, 0x800000, |v9|
	s_delay_alu instid0(VALU_DEP_1) | instskip(NEXT) | instid1(VALU_DEP_1)
	v_cndmask_b32_e64 v10, 1.0, 0x4f800000, s23
	v_mul_f32_e64 v10, |v9|, v10
	s_delay_alu instid0(VALU_DEP_1) | instskip(SKIP_3) | instid1(VALU_DEP_2)
	v_log_f32_e32 v10, v10
	s_waitcnt_depctr 0xfff
	v_mul_f32_e32 v12, 0x3f317217, v10
	v_cmp_gt_f32_e64 s0, 0x7f800000, |v10|
	v_fma_f32 v13, 0x3f317217, v10, -v12
	s_delay_alu instid0(VALU_DEP_1) | instskip(NEXT) | instid1(VALU_DEP_1)
	v_fmac_f32_e32 v13, 0x3377d1cf, v10
	v_add_f32_e32 v12, v12, v13
	s_delay_alu instid0(VALU_DEP_1) | instskip(SKIP_1) | instid1(VALU_DEP_1)
	v_cndmask_b32_e64 v10, v10, v12, s0
	v_cndmask_b32_e64 v12, 0, 0x41b17218, s23
	v_sub_f32_e32 v10, v10, v12
	s_delay_alu instid0(VALU_DEP_1)
	v_fma_f32 v10, |v9|, v10, -|v9|
.LBB14_220:                             ;   in Loop: Header=BB14_177 Depth=1
	s_and_not1_saveexec_b32 s4, s4
	s_cbranch_execz .LBB14_222
; %bb.221:                              ;   in Loop: Header=BB14_177 Depth=1
	v_cmp_gt_f32_e64 s23, 0x800000, |v9|
	v_rcp_f32_e64 v12, |v9|
	s_delay_alu instid0(VALU_DEP_1) | instskip(NEXT) | instid1(VALU_DEP_1)
	v_cndmask_b32_e64 v10, 1.0, 0x4f800000, s23
	v_mul_f32_e64 v10, |v9|, v10
	s_delay_alu instid0(VALU_DEP_1) | instskip(SKIP_3) | instid1(VALU_DEP_2)
	v_log_f32_e32 v10, v10
	s_waitcnt_depctr 0xfff
	v_dual_mul_f32 v13, v12, v12 :: v_dual_mul_f32 v14, 0x3f317217, v10
	v_cmp_gt_f32_e64 s0, 0x7f800000, |v10|
	v_fma_f32 v16, 0x3f317217, v10, -v14
	s_delay_alu instid0(VALU_DEP_1) | instskip(NEXT) | instid1(VALU_DEP_1)
	v_fmac_f32_e32 v16, 0x3377d1cf, v10
	v_dual_fmaak_f32 v15, s6, v13, 0x3a5b3dd2 :: v_dual_add_f32 v14, v14, v16
	s_delay_alu instid0(VALU_DEP_1) | instskip(SKIP_1) | instid1(VALU_DEP_1)
	v_cndmask_b32_e64 v10, v10, v14, s0
	v_cndmask_b32_e64 v14, 0, 0x41b17218, s23
	v_dual_fmaak_f32 v15, v13, v15, 0xba1c065c :: v_dual_sub_f32 v14, v10, v14
	s_delay_alu instid0(VALU_DEP_1) | instskip(NEXT) | instid1(VALU_DEP_1)
	v_fmaak_f32 v15, v13, v15, 0x3a500cfd
	v_fmaak_f32 v15, v13, v15, 0xbb360b61
	s_delay_alu instid0(VALU_DEP_1) | instskip(NEXT) | instid1(VALU_DEP_1)
	v_fmaak_f32 v13, v13, v15, 0x3daaaaab
	v_dual_fmaak_f32 v10, v12, v13, 0x3ed67f1d :: v_dual_add_f32 v13, -1.0, v14
	v_add_f32_e64 v12, |v9|, -0.5
	s_delay_alu instid0(VALU_DEP_1)
	v_fmac_f32_e32 v10, v12, v13
.LBB14_222:                             ;   in Loop: Header=BB14_177 Depth=1
	s_or_b32 exec_lo, exec_lo, s4
.LBB14_223:                             ;   in Loop: Header=BB14_177 Depth=1
	s_and_not1_saveexec_b32 s4, s1
	s_cbranch_execz .LBB14_225
; %bb.224:                              ;   in Loop: Header=BB14_177 Depth=1
	v_cvt_i32_f32_e32 v10, v11
	s_delay_alu instid0(VALU_DEP_1) | instskip(SKIP_1) | instid1(VALU_DEP_2)
	v_cvt_f32_i32_e32 v12, v10
	v_cmp_lt_i32_e64 s0, 2, v10
	v_sub_f32_e64 v12, |v9|, v12
	s_delay_alu instid0(VALU_DEP_1) | instskip(SKIP_2) | instid1(VALU_DEP_3)
	v_add_f32_e32 v13, 2.0, v12
	v_add_f32_e32 v14, 0x40400000, v12
	v_add_f32_e32 v15, 4.0, v12
	v_cndmask_b32_e64 v13, 1.0, v13, s0
	v_cmp_lt_i32_e64 s0, 3, v10
	s_delay_alu instid0(VALU_DEP_1) | instskip(SKIP_1) | instid1(VALU_DEP_2)
	v_cndmask_b32_e64 v14, 1.0, v14, s0
	v_cmp_lt_i32_e64 s0, 4, v10
	v_dual_add_f32 v16, 0x40a00000, v12 :: v_dual_mul_f32 v13, v13, v14
	s_delay_alu instid0(VALU_DEP_2) | instskip(SKIP_1) | instid1(VALU_DEP_2)
	v_cndmask_b32_e64 v15, 1.0, v15, s0
	v_cmp_lt_i32_e64 s0, 5, v10
	v_mul_f32_e32 v13, v15, v13
	s_delay_alu instid0(VALU_DEP_2) | instskip(SKIP_3) | instid1(VALU_DEP_4)
	v_cndmask_b32_e64 v16, 1.0, v16, s0
	v_add_f32_e32 v14, 0x40c00000, v12
	v_cmp_lt_i32_e64 s0, 6, v10
	v_fmaak_f32 v15, s7, v12, 0x3af135b4
	v_mul_f32_e32 v13, v16, v13
	s_delay_alu instid0(VALU_DEP_3) | instskip(NEXT) | instid1(VALU_DEP_1)
	v_cndmask_b32_e64 v10, 1.0, v14, s0
	v_mul_f32_e32 v10, v10, v13
	s_delay_alu instid0(VALU_DEP_1) | instskip(NEXT) | instid1(VALU_DEP_1)
	v_cmp_gt_f32_e64 s0, 0x800000, v10
	v_cndmask_b32_e64 v14, 1.0, 0x4f800000, s0
	s_delay_alu instid0(VALU_DEP_1) | instskip(SKIP_1) | instid1(VALU_DEP_2)
	v_mul_f32_e32 v10, v10, v14
	v_fmaak_f32 v14, v12, v15, 0x3cda40e4
	v_log_f32_e32 v10, v10
	s_waitcnt_depctr 0xfff
	v_mul_f32_e32 v15, 0x3f317217, v10
	v_cmp_gt_f32_e64 s1, 0x7f800000, |v10|
	s_delay_alu instid0(VALU_DEP_2) | instskip(NEXT) | instid1(VALU_DEP_1)
	v_fma_f32 v16, 0x3f317217, v10, -v15
	v_fmac_f32_e32 v16, 0x3377d1cf, v10
	s_delay_alu instid0(VALU_DEP_1) | instskip(NEXT) | instid1(VALU_DEP_1)
	v_dual_add_f32 v15, v15, v16 :: v_dual_fmaak_f32 v14, v12, v14, 0x3e15dce6
	v_cndmask_b32_e64 v10, v10, v15, s1
	s_delay_alu instid0(VALU_DEP_2) | instskip(NEXT) | instid1(VALU_DEP_1)
	v_fmaak_f32 v14, v12, v14, 0x3ea6cc7a
	v_fmaak_f32 v14, v12, v14, 0x3e5c245a
	s_delay_alu instid0(VALU_DEP_1) | instskip(NEXT) | instid1(VALU_DEP_1)
	v_fmaak_f32 v14, v12, v14, 0xbd9e233f
	v_dual_fmaak_f32 v13, s8, v12, 0x3a4beed6 :: v_dual_mul_f32 v14, v12, v14
	s_delay_alu instid0(VALU_DEP_1) | instskip(NEXT) | instid1(VALU_DEP_1)
	v_fmaak_f32 v13, v12, v13, 0x3c98bf54
	v_fmaak_f32 v13, v12, v13, 0x3e300f6e
	s_delay_alu instid0(VALU_DEP_1) | instskip(NEXT) | instid1(VALU_DEP_1)
	v_fmaak_f32 v13, v12, v13, 0x3f38d0c5
	v_fmaak_f32 v13, v12, v13, 0x3fb22d3b
	s_delay_alu instid0(VALU_DEP_1) | instskip(NEXT) | instid1(VALU_DEP_1)
	v_fma_f32 v13, v12, v13, 1.0
	v_rcp_f32_e32 v13, v13
	s_waitcnt_depctr 0xfff
	v_mul_f32_e32 v13, v14, v13
	v_cndmask_b32_e64 v14, 0, 0x41b17218, s0
	s_delay_alu instid0(VALU_DEP_1) | instskip(NEXT) | instid1(VALU_DEP_1)
	v_dual_fmac_f32 v13, 0.5, v12 :: v_dual_sub_f32 v10, v10, v14
	v_add_f32_e32 v10, v10, v13
.LBB14_225:                             ;   in Loop: Header=BB14_177 Depth=1
	s_or_b32 exec_lo, exec_lo, s4
.LBB14_226:                             ;   in Loop: Header=BB14_177 Depth=1
	s_and_not1_saveexec_b32 s3, s3
	s_cbranch_execz .LBB14_244
; %bb.227:                              ;   in Loop: Header=BB14_177 Depth=1
                                        ; implicit-def: $vgpr10
                                        ; implicit-def: $vgpr13
                                        ; implicit-def: $vgpr12
	s_mov_b32 s1, exec_lo
	v_cmpx_ge_f32_e64 0x3f666666, |v9|
	s_xor_b32 s4, exec_lo, s1
	s_cbranch_execz .LBB14_229
; %bb.228:                              ;   in Loop: Header=BB14_177 Depth=1
	v_cmp_gt_f32_e64 s1, 0x800000, |v9|
	v_sub_f32_e64 v14, 1.0, |v9|
	v_cmp_gt_f32_e64 s0, 0x3f3b4a23, |v9|
	s_delay_alu instid0(VALU_DEP_3) | instskip(SKIP_1) | instid1(VALU_DEP_2)
	v_cndmask_b32_e64 v10, 1.0, 0x4f800000, s1
	v_cndmask_b32_e64 v15, 0, 0x41b17218, s1
	v_mul_f32_e64 v10, |v9|, v10
	s_delay_alu instid0(VALU_DEP_1) | instskip(SKIP_3) | instid1(VALU_DEP_2)
	v_log_f32_e32 v10, v10
	s_waitcnt_depctr 0xfff
	v_mul_f32_e32 v12, 0x3f317217, v10
	v_cmp_gt_f32_e64 s1, 0x7f800000, |v10|
	v_fma_f32 v13, 0x3f317217, v10, -v12
	s_delay_alu instid0(VALU_DEP_1) | instskip(NEXT) | instid1(VALU_DEP_1)
	v_fmac_f32_e32 v13, 0x3377d1cf, v10
	v_add_f32_e32 v12, v12, v13
	v_add_f32_e64 v13, 0xbeec5b0c, |v9|
	s_delay_alu instid0(VALU_DEP_2) | instskip(NEXT) | instid1(VALU_DEP_2)
	v_cndmask_b32_e64 v10, v10, v12, s1
	v_cndmask_b32_e64 v12, v14, v13, s0
	;; [unrolled: 1-line block ×3, first 2 shown]
	v_cmp_gt_f32_e64 s0, 0x3e6d3309, |v9|
	s_delay_alu instid0(VALU_DEP_4) | instskip(NEXT) | instid1(VALU_DEP_2)
	v_sub_f32_e32 v10, v10, v15
	v_cndmask_b32_e64 v12, v12, |v9|, s0
	s_delay_alu instid0(VALU_DEP_4) | instskip(NEXT) | instid1(VALU_DEP_3)
	v_cndmask_b32_e64 v13, v13, 2, s0
	v_xor_b32_e32 v10, 0x80000000, v10
.LBB14_229:                             ;   in Loop: Header=BB14_177 Depth=1
	s_and_not1_saveexec_b32 s1, s4
; %bb.230:                              ;   in Loop: Header=BB14_177 Depth=1
	v_sub_f32_e64 v10, 2.0, |v9|
	v_add_f32_e64 v12, 0xbfbb16c3, |v9|
	v_cmp_gt_f32_e64 s0, 0x3fdda512, |v9|
	v_add_f32_e64 v13, |v9|, -1.0
	s_delay_alu instid0(VALU_DEP_2) | instskip(SKIP_2) | instid1(VALU_DEP_2)
	v_cndmask_b32_e64 v12, v10, v12, s0
	v_cndmask_b32_e64 v10, v10, 1.0, s0
	v_cmp_gt_f32_e64 s0, 0x3f9d70a4, |v9|
	v_cvt_i32_f32_e32 v10, v10
	s_delay_alu instid0(VALU_DEP_2) | instskip(NEXT) | instid1(VALU_DEP_2)
	v_cndmask_b32_e64 v12, v12, v13, s0
	v_cndmask_b32_e64 v13, v10, 2, s0
	v_mov_b32_e32 v10, 0
; %bb.231:                              ;   in Loop: Header=BB14_177 Depth=1
	s_or_b32 exec_lo, exec_lo, s1
	s_delay_alu instid0(SALU_CYCLE_1) | instskip(NEXT) | instid1(VALU_DEP_2)
	s_mov_b32 s1, exec_lo
	v_cmpx_lt_i32_e32 0, v13
	s_xor_b32 s1, exec_lo, s1
	s_cbranch_execz .LBB14_239
; %bb.232:                              ;   in Loop: Header=BB14_177 Depth=1
	s_mov_b32 s4, exec_lo
	v_cmpx_lt_i32_e32 1, v13
	s_xor_b32 s4, exec_lo, s4
	s_cbranch_execz .LBB14_236
; %bb.233:                              ;   in Loop: Header=BB14_177 Depth=1
	s_mov_b32 s23, exec_lo
	v_cmpx_eq_u32_e32 2, v13
	s_cbranch_execz .LBB14_235
; %bb.234:                              ;   in Loop: Header=BB14_177 Depth=1
	v_fmaak_f32 v14, s9, v12, 0x3e6a7578
	s_delay_alu instid0(VALU_DEP_1) | instskip(NEXT) | instid1(VALU_DEP_1)
	v_fmaak_f32 v14, v12, v14, 0x3f7a4bb2
	v_fmaak_f32 v14, v12, v14, 0x3fba3ae7
	s_delay_alu instid0(VALU_DEP_1) | instskip(NEXT) | instid1(VALU_DEP_1)
	v_fmaak_f32 v14, v12, v14, 0x3f2200f4
	v_fmaak_f32 v14, v12, v14, 0xbd9e233f
	s_delay_alu instid0(VALU_DEP_1) | instskip(NEXT) | instid1(VALU_DEP_1)
	v_dual_fmaak_f32 v13, s10, v12, 0x3dd572af :: v_dual_mul_f32 v14, v12, v14
	v_fmaak_f32 v13, v12, v13, 0x3f44efdf
	s_delay_alu instid0(VALU_DEP_1) | instskip(NEXT) | instid1(VALU_DEP_1)
	v_fmaak_f32 v13, v12, v13, 0x4008392d
	v_fmaak_f32 v13, v12, v13, 0x401d2ebe
	s_delay_alu instid0(VALU_DEP_1) | instskip(NEXT) | instid1(VALU_DEP_1)
	v_fma_f32 v13, v12, v13, 1.0
	v_rcp_f32_e32 v13, v13
	s_waitcnt_depctr 0xfff
	v_mul_f32_e32 v13, v14, v13
	s_delay_alu instid0(VALU_DEP_1) | instskip(NEXT) | instid1(VALU_DEP_1)
	v_fmac_f32_e32 v13, -0.5, v12
	v_add_f32_e32 v10, v10, v13
.LBB14_235:                             ;   in Loop: Header=BB14_177 Depth=1
	s_or_b32 exec_lo, exec_lo, s23
                                        ; implicit-def: $vgpr12
.LBB14_236:                             ;   in Loop: Header=BB14_177 Depth=1
	s_and_not1_saveexec_b32 s0, s4
	s_cbranch_execz .LBB14_238
; %bb.237:                              ;   in Loop: Header=BB14_177 Depth=1
	v_mul_f32_e32 v13, v12, v12
	s_delay_alu instid0(VALU_DEP_1) | instskip(NEXT) | instid1(VALU_DEP_1)
	v_mul_f32_e32 v14, v12, v13
	v_fmaak_f32 v16, s19, v14, 0xba0d3085
	v_fmaak_f32 v15, s18, v14, 0x3a66f867
	;; [unrolled: 1-line block ×3, first 2 shown]
	s_delay_alu instid0(VALU_DEP_3) | instskip(NEXT) | instid1(VALU_DEP_3)
	v_fmaak_f32 v16, v14, v16, 0x3b141699
	v_fmaak_f32 v15, v14, v15, 0xbb7177fe
	s_delay_alu instid0(VALU_DEP_3) | instskip(NEXT) | instid1(VALU_DEP_3)
	v_fmaak_f32 v17, v14, v17, 0x3bc7e707
	v_fmaak_f32 v16, v14, v16, 0xbc28fcfe
	s_delay_alu instid0(VALU_DEP_3) | instskip(NEXT) | instid1(VALU_DEP_3)
	v_fmaak_f32 v15, v14, v15, 0x3c93373d
	v_fmaak_f32 v17, v14, v17, 0xbd064d47
	s_delay_alu instid0(VALU_DEP_3) | instskip(NEXT) | instid1(VALU_DEP_3)
	v_fmaak_f32 v16, v14, v16, 0x3d845a15
	v_fmaak_f32 v15, v14, v15, 0xbe17213c
	s_delay_alu instid0(VALU_DEP_1) | instskip(NEXT) | instid1(VALU_DEP_1)
	v_dual_fmac_f32 v15, v12, v16 :: v_dual_fmaak_f32 v12, v14, v17, 0x3ef7b95e
	v_fma_f32 v14, v14, -v15, 0xa2863e55
	s_delay_alu instid0(VALU_DEP_1) | instskip(NEXT) | instid1(VALU_DEP_1)
	v_fma_f32 v12, v13, v12, -v14
	v_add_f32_e32 v12, 0xbdf8cdce, v12
	s_delay_alu instid0(VALU_DEP_1)
	v_add_f32_e32 v10, v10, v12
.LBB14_238:                             ;   in Loop: Header=BB14_177 Depth=1
	s_or_b32 exec_lo, exec_lo, s0
                                        ; implicit-def: $vgpr13
                                        ; implicit-def: $vgpr12
.LBB14_239:                             ;   in Loop: Header=BB14_177 Depth=1
	s_and_not1_saveexec_b32 s1, s1
	s_cbranch_execz .LBB14_243
; %bb.240:                              ;   in Loop: Header=BB14_177 Depth=1
	s_mov_b32 s4, exec_lo
	v_cmpx_eq_u32_e32 0, v13
	s_cbranch_execz .LBB14_242
; %bb.241:                              ;   in Loop: Header=BB14_177 Depth=1
	v_mul_f32_e32 v13, v12, v12
	s_delay_alu instid0(VALU_DEP_1) | instskip(NEXT) | instid1(VALU_DEP_1)
	v_fmaak_f32 v15, s20, v13, 0x39679767
	v_fmaak_f32 v15, v13, v15, 0x3a9c54a1
	s_delay_alu instid0(VALU_DEP_1) | instskip(NEXT) | instid1(VALU_DEP_1)
	v_fmaak_f32 v15, v13, v15, 0x3bf2027e
	v_fmaak_f32 v15, v13, v15, 0x3d89f001
	s_delay_alu instid0(VALU_DEP_1) | instskip(SKIP_1) | instid1(VALU_DEP_1)
	v_fmaak_f32 v15, v13, v15, 0x3d9e233f
	v_fmaak_f32 v14, s15, v13, 0x38e28445
	;; [unrolled: 1-line block ×3, first 2 shown]
	s_delay_alu instid0(VALU_DEP_1) | instskip(NEXT) | instid1(VALU_DEP_1)
	v_fmaak_f32 v14, v13, v14, 0x3b3d6ec6
	v_fmaak_f32 v14, v13, v14, 0x3ca89915
	s_delay_alu instid0(VALU_DEP_1) | instskip(NEXT) | instid1(VALU_DEP_1)
	v_fmaak_f32 v14, v13, v14, 0x3ea51a66
	v_mul_f32_e32 v13, v13, v14
	s_delay_alu instid0(VALU_DEP_1) | instskip(NEXT) | instid1(VALU_DEP_1)
	v_fmac_f32_e32 v13, v12, v15
	v_fmac_f32_e32 v13, -0.5, v12
	s_delay_alu instid0(VALU_DEP_1)
	v_add_f32_e32 v10, v10, v13
.LBB14_242:                             ;   in Loop: Header=BB14_177 Depth=1
	s_or_b32 exec_lo, exec_lo, s4
.LBB14_243:                             ;   in Loop: Header=BB14_177 Depth=1
	s_delay_alu instid0(SALU_CYCLE_1)
	s_or_b32 exec_lo, exec_lo, s1
.LBB14_244:                             ;   in Loop: Header=BB14_177 Depth=1
	s_delay_alu instid0(SALU_CYCLE_1)
	s_or_b32 exec_lo, exec_lo, s3
.LBB14_245:                             ;   in Loop: Header=BB14_177 Depth=1
	s_and_not1_saveexec_b32 s1, s2
	s_cbranch_execz .LBB14_247
; %bb.246:                              ;   in Loop: Header=BB14_177 Depth=1
	v_cmp_gt_f32_e64 s2, 0x800000, |v9|
	v_fma_f32 v14, |v9|, s16, 0xbecd26ab
	s_delay_alu instid0(VALU_DEP_2) | instskip(NEXT) | instid1(VALU_DEP_1)
	v_cndmask_b32_e64 v10, 1.0, 0x4f800000, s2
	v_mul_f32_e64 v10, |v9|, v10
	s_delay_alu instid0(VALU_DEP_1) | instskip(SKIP_3) | instid1(VALU_DEP_2)
	v_log_f32_e32 v10, v10
	s_waitcnt_depctr 0xfff
	v_mul_f32_e32 v12, 0x3f317217, v10
	v_cmp_gt_f32_e64 s0, 0x7f800000, |v10|
	v_fma_f32 v13, 0x3f317217, v10, -v12
	s_delay_alu instid0(VALU_DEP_1) | instskip(NEXT) | instid1(VALU_DEP_1)
	v_fmac_f32_e32 v13, 0x3377d1cf, v10
	v_add_f32_e32 v12, v12, v13
	v_fma_f32 v13, |v9|, v14, 0x3f528d33
	s_delay_alu instid0(VALU_DEP_2) | instskip(SKIP_1) | instid1(VALU_DEP_3)
	v_cndmask_b32_e64 v10, v10, v12, s0
	v_cndmask_b32_e64 v12, 0, 0x41b17218, s2
	v_fma_f32 v13, |v9|, v13, 0xbf13c468
	s_delay_alu instid0(VALU_DEP_2) | instskip(NEXT) | instid1(VALU_DEP_1)
	v_sub_f32_e32 v10, v10, v12
	v_fma_f32 v10, |v9|, v13, -v10
.LBB14_247:                             ;   in Loop: Header=BB14_177 Depth=1
	s_or_b32 exec_lo, exec_lo, s1
	v_cmp_le_f16_e64 s0, 0, v8
	s_mov_b32 s2, exec_lo
	v_cmpx_nle_f16_e32 0, v8
	s_xor_b32 s3, exec_lo, s2
	s_cbranch_execz .LBB14_251
; %bb.248:                              ;   in Loop: Header=BB14_177 Depth=1
	v_cmp_gt_f32_e64 s1, 0x4b000000, |v9|
	v_cmp_lt_f32_e64 s2, 0x35000000, |v9|
	s_delay_alu instid0(VALU_DEP_1) | instskip(NEXT) | instid1(SALU_CYCLE_1)
	s_and_b32 s1, s1, s2
	s_and_saveexec_b32 s4, s1
	s_cbranch_execz .LBB14_250
; %bb.249:                              ;   in Loop: Header=BB14_177 Depth=1
	v_mul_f32_e64 v12, |v9|, 0.5
	v_xor_b32_e32 v11, v11, v9
	s_delay_alu instid0(VALU_DEP_2) | instskip(SKIP_1) | instid1(VALU_DEP_2)
	v_floor_f32_e32 v13, v12
	v_cmp_neq_f32_e64 s1, 0x7f800000, v12
	v_sub_f32_e32 v13, v12, v13
	s_delay_alu instid0(VALU_DEP_1) | instskip(NEXT) | instid1(VALU_DEP_1)
	v_min_f32_e32 v13, 0x3f7fffff, v13
	v_add_f32_e32 v13, v13, v13
	s_delay_alu instid0(VALU_DEP_1) | instskip(SKIP_1) | instid1(VALU_DEP_1)
	v_cndmask_b32_e64 v12, 0, v13, s1
	v_cmp_gt_f32_e64 s1, |v9|, 1.0
	v_cndmask_b32_e64 v12, |v9|, v12, s1
	s_delay_alu instid0(VALU_DEP_1) | instskip(NEXT) | instid1(VALU_DEP_1)
	v_add_f32_e32 v13, v12, v12
	v_rndne_f32_e32 v13, v13
	s_delay_alu instid0(VALU_DEP_1) | instskip(SKIP_1) | instid1(VALU_DEP_2)
	v_fmac_f32_e32 v12, -0.5, v13
	v_cvt_i32_f32_e32 v13, v13
	v_mul_f32_e32 v14, v12, v12
	s_delay_alu instid0(VALU_DEP_1) | instskip(SKIP_1) | instid1(VALU_DEP_2)
	v_fmaak_f32 v15, s17, v14, 0xbf1f24be
	v_fmaak_f32 v16, s22, v14, 0x3e642e9d
	;; [unrolled: 1-line block ×3, first 2 shown]
	s_delay_alu instid0(VALU_DEP_2) | instskip(NEXT) | instid1(VALU_DEP_2)
	v_dual_fmaak_f32 v16, v14, v16, 0xbfaad1da :: v_dual_mul_f32 v17, v12, v14
	v_fmaak_f32 v15, v14, v15, 0xc0a55e0e
	s_delay_alu instid0(VALU_DEP_1) | instskip(NEXT) | instid1(VALU_DEP_1)
	v_dual_fmaak_f32 v16, v14, v16, 0x4081e0d3 :: v_dual_mul_f32 v15, v17, v15
	v_dual_fmaak_f32 v16, v14, v16, 0xc09de9e6 :: v_dual_and_b32 v17, 1, v13
	v_lshlrev_b32_e32 v13, 30, v13
	s_delay_alu instid0(VALU_DEP_3) | instskip(NEXT) | instid1(VALU_DEP_3)
	v_fmac_f32_e32 v15, 0x40490fdb, v12
	v_fma_f32 v12, v14, v16, 1.0
	s_delay_alu instid0(VALU_DEP_4) | instskip(NEXT) | instid1(VALU_DEP_4)
	v_cmp_eq_u32_e64 s1, 0, v17
	v_and_b32_e32 v13, 0x80000000, v13
	s_delay_alu instid0(VALU_DEP_2) | instskip(NEXT) | instid1(VALU_DEP_1)
	v_cndmask_b32_e64 v12, v12, v15, s1
	v_xor3_b32 v11, v11, v13, v12
	s_delay_alu instid0(VALU_DEP_1) | instskip(NEXT) | instid1(VALU_DEP_1)
	v_mul_f32_e32 v11, v9, v11
	v_frexp_mant_f32_e64 v12, |v11|
	v_frexp_exp_i32_f32_e32 v11, v11
	s_delay_alu instid0(VALU_DEP_2) | instskip(NEXT) | instid1(VALU_DEP_1)
	v_rcp_f32_e32 v12, v12
	v_sub_nc_u32_e32 v11, 2, v11
	s_waitcnt_depctr 0xfff
	v_mul_f32_e32 v12, 0x3f490fdb, v12
	s_delay_alu instid0(VALU_DEP_1) | instskip(NEXT) | instid1(VALU_DEP_1)
	v_ldexp_f32 v11, v12, v11
	v_cmp_gt_f32_e64 s1, 0x800000, v11
	s_delay_alu instid0(VALU_DEP_1) | instskip(NEXT) | instid1(VALU_DEP_1)
	v_cndmask_b32_e64 v12, 1.0, 0x4f800000, s1
	v_mul_f32_e32 v11, v11, v12
	s_delay_alu instid0(VALU_DEP_1) | instskip(SKIP_3) | instid1(VALU_DEP_2)
	v_log_f32_e32 v11, v11
	s_waitcnt_depctr 0xfff
	v_mul_f32_e32 v12, 0x3f317217, v11
	v_cmp_gt_f32_e64 s2, 0x7f800000, |v11|
	v_fma_f32 v13, 0x3f317217, v11, -v12
	s_delay_alu instid0(VALU_DEP_1) | instskip(NEXT) | instid1(VALU_DEP_1)
	v_fmac_f32_e32 v13, 0x3377d1cf, v11
	v_add_f32_e32 v12, v12, v13
	v_floor_f32_e32 v13, v9
	s_delay_alu instid0(VALU_DEP_2) | instskip(SKIP_1) | instid1(VALU_DEP_3)
	v_cndmask_b32_e64 v11, v11, v12, s2
	v_cndmask_b32_e64 v12, 0, 0x41b17218, s1
	v_sub_f32_e32 v13, v9, v13
	s_delay_alu instid0(VALU_DEP_1) | instskip(NEXT) | instid1(VALU_DEP_1)
	v_dual_sub_f32 v11, v11, v12 :: v_dual_min_f32 v12, 0x3f7fffff, v13
	v_sub_f32_e32 v10, v11, v10
	s_delay_alu instid0(VALU_DEP_2) | instskip(NEXT) | instid1(VALU_DEP_1)
	v_cmp_neq_f32_e64 s1, 0, v12
	v_cndmask_b32_e64 v10, 0x7f800000, v10, s1
.LBB14_250:                             ;   in Loop: Header=BB14_177 Depth=1
	s_or_b32 exec_lo, exec_lo, s4
.LBB14_251:                             ;   in Loop: Header=BB14_177 Depth=1
	s_and_not1_saveexec_b32 s3, s3
; %bb.252:                              ;   in Loop: Header=BB14_177 Depth=1
	v_cmp_eq_f16_e64 s1, 1.0, v8
	v_cmp_eq_f16_e64 s2, 2.0, v8
	s_delay_alu instid0(VALU_DEP_1) | instskip(NEXT) | instid1(SALU_CYCLE_1)
	s_or_b32 s1, s1, s2
	v_cndmask_b32_e64 v10, v10, 0, s1
; %bb.253:                              ;   in Loop: Header=BB14_177 Depth=1
	s_or_b32 exec_lo, exec_lo, s3
	v_cvt_f32_f16_e32 v11, v6
                                        ; implicit-def: $vgpr12
	s_mov_b32 s2, exec_lo
	s_delay_alu instid0(VALU_DEP_1)
	v_and_b32_e32 v13, 0x7fffffff, v11
	v_cmpx_ngt_f32_e64 0x3c800000, |v11|
	s_xor_b32 s3, exec_lo, s2
	s_cbranch_execz .LBB14_283
; %bb.254:                              ;   in Loop: Header=BB14_177 Depth=1
                                        ; implicit-def: $vgpr12
	s_mov_b32 s2, exec_lo
	v_cmpx_nlt_f32_e64 |v11|, 2.0
	s_xor_b32 s4, exec_lo, s2
	s_cbranch_execz .LBB14_264
; %bb.255:                              ;   in Loop: Header=BB14_177 Depth=1
	s_mov_b32 s2, exec_lo
                                        ; implicit-def: $vgpr12
	v_cmpx_ngt_f32_e64 0x41000000, |v11|
	s_xor_b32 s2, exec_lo, s2
	s_cbranch_execz .LBB14_261
; %bb.256:                              ;   in Loop: Header=BB14_177 Depth=1
	s_mov_b32 s23, exec_lo
                                        ; implicit-def: $vgpr12
	v_cmpx_ngt_f32_e64 0x5c800000, |v11|
	s_xor_b32 s23, exec_lo, s23
	s_cbranch_execz .LBB14_258
; %bb.257:                              ;   in Loop: Header=BB14_177 Depth=1
	v_cmp_gt_f32_e64 s24, 0x800000, |v11|
	s_delay_alu instid0(VALU_DEP_1) | instskip(NEXT) | instid1(VALU_DEP_1)
	v_cndmask_b32_e64 v12, 1.0, 0x4f800000, s24
	v_mul_f32_e64 v12, |v11|, v12
	s_delay_alu instid0(VALU_DEP_1) | instskip(SKIP_3) | instid1(VALU_DEP_2)
	v_log_f32_e32 v12, v12
	s_waitcnt_depctr 0xfff
	v_mul_f32_e32 v14, 0x3f317217, v12
	v_cmp_gt_f32_e64 s1, 0x7f800000, |v12|
	v_fma_f32 v15, 0x3f317217, v12, -v14
	s_delay_alu instid0(VALU_DEP_1) | instskip(NEXT) | instid1(VALU_DEP_1)
	v_fmac_f32_e32 v15, 0x3377d1cf, v12
	v_add_f32_e32 v14, v14, v15
	s_delay_alu instid0(VALU_DEP_1) | instskip(SKIP_1) | instid1(VALU_DEP_1)
	v_cndmask_b32_e64 v12, v12, v14, s1
	v_cndmask_b32_e64 v14, 0, 0x41b17218, s24
	v_sub_f32_e32 v12, v12, v14
	s_delay_alu instid0(VALU_DEP_1)
	v_fma_f32 v12, |v11|, v12, -|v11|
.LBB14_258:                             ;   in Loop: Header=BB14_177 Depth=1
	s_and_not1_saveexec_b32 s23, s23
	s_cbranch_execz .LBB14_260
; %bb.259:                              ;   in Loop: Header=BB14_177 Depth=1
	v_cmp_gt_f32_e64 s24, 0x800000, |v11|
	v_rcp_f32_e64 v14, |v11|
	s_delay_alu instid0(VALU_DEP_1) | instskip(NEXT) | instid1(VALU_DEP_1)
	v_cndmask_b32_e64 v12, 1.0, 0x4f800000, s24
	v_mul_f32_e64 v12, |v11|, v12
	s_delay_alu instid0(VALU_DEP_1) | instskip(SKIP_3) | instid1(VALU_DEP_2)
	v_log_f32_e32 v12, v12
	s_waitcnt_depctr 0xfff
	v_dual_mul_f32 v15, v14, v14 :: v_dual_mul_f32 v16, 0x3f317217, v12
	v_cmp_gt_f32_e64 s1, 0x7f800000, |v12|
	v_fma_f32 v18, 0x3f317217, v12, -v16
	s_delay_alu instid0(VALU_DEP_1) | instskip(NEXT) | instid1(VALU_DEP_1)
	v_fmac_f32_e32 v18, 0x3377d1cf, v12
	v_dual_fmaak_f32 v17, s6, v15, 0x3a5b3dd2 :: v_dual_add_f32 v16, v16, v18
	s_delay_alu instid0(VALU_DEP_1) | instskip(SKIP_1) | instid1(VALU_DEP_1)
	v_cndmask_b32_e64 v12, v12, v16, s1
	v_cndmask_b32_e64 v16, 0, 0x41b17218, s24
	v_dual_fmaak_f32 v17, v15, v17, 0xba1c065c :: v_dual_sub_f32 v16, v12, v16
	s_delay_alu instid0(VALU_DEP_1) | instskip(NEXT) | instid1(VALU_DEP_1)
	v_fmaak_f32 v17, v15, v17, 0x3a500cfd
	v_fmaak_f32 v17, v15, v17, 0xbb360b61
	s_delay_alu instid0(VALU_DEP_1) | instskip(NEXT) | instid1(VALU_DEP_1)
	v_fmaak_f32 v15, v15, v17, 0x3daaaaab
	v_dual_fmaak_f32 v12, v14, v15, 0x3ed67f1d :: v_dual_add_f32 v15, -1.0, v16
	v_add_f32_e64 v14, |v11|, -0.5
	s_delay_alu instid0(VALU_DEP_1)
	v_fmac_f32_e32 v12, v14, v15
.LBB14_260:                             ;   in Loop: Header=BB14_177 Depth=1
	s_or_b32 exec_lo, exec_lo, s23
.LBB14_261:                             ;   in Loop: Header=BB14_177 Depth=1
	s_and_not1_saveexec_b32 s23, s2
	s_cbranch_execz .LBB14_263
; %bb.262:                              ;   in Loop: Header=BB14_177 Depth=1
	v_cvt_i32_f32_e32 v12, v13
	s_delay_alu instid0(VALU_DEP_1) | instskip(SKIP_1) | instid1(VALU_DEP_2)
	v_cvt_f32_i32_e32 v14, v12
	v_cmp_lt_i32_e64 s1, 2, v12
	v_sub_f32_e64 v14, |v11|, v14
	s_delay_alu instid0(VALU_DEP_1) | instskip(SKIP_2) | instid1(VALU_DEP_3)
	v_add_f32_e32 v15, 2.0, v14
	v_add_f32_e32 v16, 0x40400000, v14
	v_add_f32_e32 v17, 4.0, v14
	v_cndmask_b32_e64 v15, 1.0, v15, s1
	v_cmp_lt_i32_e64 s1, 3, v12
	s_delay_alu instid0(VALU_DEP_1) | instskip(SKIP_1) | instid1(VALU_DEP_2)
	v_cndmask_b32_e64 v16, 1.0, v16, s1
	v_cmp_lt_i32_e64 s1, 4, v12
	v_dual_add_f32 v18, 0x40a00000, v14 :: v_dual_mul_f32 v15, v15, v16
	s_delay_alu instid0(VALU_DEP_2) | instskip(SKIP_1) | instid1(VALU_DEP_2)
	v_cndmask_b32_e64 v17, 1.0, v17, s1
	v_cmp_lt_i32_e64 s1, 5, v12
	v_mul_f32_e32 v15, v17, v15
	s_delay_alu instid0(VALU_DEP_2) | instskip(SKIP_3) | instid1(VALU_DEP_4)
	v_cndmask_b32_e64 v18, 1.0, v18, s1
	v_add_f32_e32 v16, 0x40c00000, v14
	v_cmp_lt_i32_e64 s1, 6, v12
	v_fmaak_f32 v17, s7, v14, 0x3af135b4
	v_mul_f32_e32 v15, v18, v15
	s_delay_alu instid0(VALU_DEP_3) | instskip(NEXT) | instid1(VALU_DEP_1)
	v_cndmask_b32_e64 v12, 1.0, v16, s1
	v_mul_f32_e32 v12, v12, v15
	s_delay_alu instid0(VALU_DEP_1) | instskip(NEXT) | instid1(VALU_DEP_1)
	v_cmp_gt_f32_e64 s1, 0x800000, v12
	v_cndmask_b32_e64 v16, 1.0, 0x4f800000, s1
	s_delay_alu instid0(VALU_DEP_1) | instskip(SKIP_1) | instid1(VALU_DEP_2)
	v_mul_f32_e32 v12, v12, v16
	v_fmaak_f32 v16, v14, v17, 0x3cda40e4
	v_log_f32_e32 v12, v12
	s_waitcnt_depctr 0xfff
	v_mul_f32_e32 v17, 0x3f317217, v12
	v_cmp_gt_f32_e64 s2, 0x7f800000, |v12|
	s_delay_alu instid0(VALU_DEP_2) | instskip(NEXT) | instid1(VALU_DEP_1)
	v_fma_f32 v18, 0x3f317217, v12, -v17
	v_fmac_f32_e32 v18, 0x3377d1cf, v12
	s_delay_alu instid0(VALU_DEP_1) | instskip(NEXT) | instid1(VALU_DEP_1)
	v_dual_add_f32 v17, v17, v18 :: v_dual_fmaak_f32 v16, v14, v16, 0x3e15dce6
	v_cndmask_b32_e64 v12, v12, v17, s2
	s_delay_alu instid0(VALU_DEP_2) | instskip(NEXT) | instid1(VALU_DEP_1)
	v_fmaak_f32 v16, v14, v16, 0x3ea6cc7a
	v_fmaak_f32 v16, v14, v16, 0x3e5c245a
	s_delay_alu instid0(VALU_DEP_1) | instskip(NEXT) | instid1(VALU_DEP_1)
	v_fmaak_f32 v16, v14, v16, 0xbd9e233f
	v_dual_fmaak_f32 v15, s8, v14, 0x3a4beed6 :: v_dual_mul_f32 v16, v14, v16
	s_delay_alu instid0(VALU_DEP_1) | instskip(NEXT) | instid1(VALU_DEP_1)
	v_fmaak_f32 v15, v14, v15, 0x3c98bf54
	v_fmaak_f32 v15, v14, v15, 0x3e300f6e
	s_delay_alu instid0(VALU_DEP_1) | instskip(NEXT) | instid1(VALU_DEP_1)
	v_fmaak_f32 v15, v14, v15, 0x3f38d0c5
	v_fmaak_f32 v15, v14, v15, 0x3fb22d3b
	s_delay_alu instid0(VALU_DEP_1) | instskip(NEXT) | instid1(VALU_DEP_1)
	v_fma_f32 v15, v14, v15, 1.0
	v_rcp_f32_e32 v15, v15
	s_waitcnt_depctr 0xfff
	v_mul_f32_e32 v15, v16, v15
	v_cndmask_b32_e64 v16, 0, 0x41b17218, s1
	s_delay_alu instid0(VALU_DEP_1) | instskip(NEXT) | instid1(VALU_DEP_1)
	v_dual_fmac_f32 v15, 0.5, v14 :: v_dual_sub_f32 v12, v12, v16
	v_add_f32_e32 v12, v12, v15
.LBB14_263:                             ;   in Loop: Header=BB14_177 Depth=1
	s_or_b32 exec_lo, exec_lo, s23
.LBB14_264:                             ;   in Loop: Header=BB14_177 Depth=1
	s_and_not1_saveexec_b32 s4, s4
	s_cbranch_execz .LBB14_282
; %bb.265:                              ;   in Loop: Header=BB14_177 Depth=1
                                        ; implicit-def: $vgpr12
                                        ; implicit-def: $vgpr15
                                        ; implicit-def: $vgpr14
	s_mov_b32 s2, exec_lo
	v_cmpx_ge_f32_e64 0x3f666666, |v11|
	s_xor_b32 s23, exec_lo, s2
	s_cbranch_execz .LBB14_267
; %bb.266:                              ;   in Loop: Header=BB14_177 Depth=1
	v_cmp_gt_f32_e64 s2, 0x800000, |v11|
	v_sub_f32_e64 v16, 1.0, |v11|
	v_cmp_gt_f32_e64 s1, 0x3f3b4a23, |v11|
	s_delay_alu instid0(VALU_DEP_3) | instskip(SKIP_1) | instid1(VALU_DEP_2)
	v_cndmask_b32_e64 v12, 1.0, 0x4f800000, s2
	v_cndmask_b32_e64 v17, 0, 0x41b17218, s2
	v_mul_f32_e64 v12, |v11|, v12
	s_delay_alu instid0(VALU_DEP_1) | instskip(SKIP_3) | instid1(VALU_DEP_2)
	v_log_f32_e32 v12, v12
	s_waitcnt_depctr 0xfff
	v_mul_f32_e32 v14, 0x3f317217, v12
	v_cmp_gt_f32_e64 s2, 0x7f800000, |v12|
	v_fma_f32 v15, 0x3f317217, v12, -v14
	s_delay_alu instid0(VALU_DEP_1) | instskip(NEXT) | instid1(VALU_DEP_1)
	v_fmac_f32_e32 v15, 0x3377d1cf, v12
	v_add_f32_e32 v14, v14, v15
	v_add_f32_e64 v15, 0xbeec5b0c, |v11|
	s_delay_alu instid0(VALU_DEP_2) | instskip(NEXT) | instid1(VALU_DEP_2)
	v_cndmask_b32_e64 v12, v12, v14, s2
	v_cndmask_b32_e64 v14, v16, v15, s1
	;; [unrolled: 1-line block ×3, first 2 shown]
	v_cmp_gt_f32_e64 s1, 0x3e6d3309, |v11|
	s_delay_alu instid0(VALU_DEP_4) | instskip(NEXT) | instid1(VALU_DEP_2)
	v_sub_f32_e32 v12, v12, v17
	v_cndmask_b32_e64 v14, v14, |v11|, s1
	s_delay_alu instid0(VALU_DEP_4) | instskip(NEXT) | instid1(VALU_DEP_3)
	v_cndmask_b32_e64 v15, v15, 2, s1
	v_xor_b32_e32 v12, 0x80000000, v12
.LBB14_267:                             ;   in Loop: Header=BB14_177 Depth=1
	s_and_not1_saveexec_b32 s2, s23
; %bb.268:                              ;   in Loop: Header=BB14_177 Depth=1
	v_sub_f32_e64 v12, 2.0, |v11|
	v_add_f32_e64 v14, 0xbfbb16c3, |v11|
	v_cmp_gt_f32_e64 s1, 0x3fdda512, |v11|
	v_add_f32_e64 v15, |v11|, -1.0
	s_delay_alu instid0(VALU_DEP_2) | instskip(SKIP_2) | instid1(VALU_DEP_2)
	v_cndmask_b32_e64 v14, v12, v14, s1
	v_cndmask_b32_e64 v12, v12, 1.0, s1
	v_cmp_gt_f32_e64 s1, 0x3f9d70a4, |v11|
	v_cvt_i32_f32_e32 v12, v12
	s_delay_alu instid0(VALU_DEP_2) | instskip(NEXT) | instid1(VALU_DEP_2)
	v_cndmask_b32_e64 v14, v14, v15, s1
	v_cndmask_b32_e64 v15, v12, 2, s1
	v_mov_b32_e32 v12, 0
; %bb.269:                              ;   in Loop: Header=BB14_177 Depth=1
	s_or_b32 exec_lo, exec_lo, s2
	s_delay_alu instid0(SALU_CYCLE_1) | instskip(NEXT) | instid1(VALU_DEP_2)
	s_mov_b32 s2, exec_lo
	v_cmpx_lt_i32_e32 0, v15
	s_xor_b32 s2, exec_lo, s2
	s_cbranch_execz .LBB14_277
; %bb.270:                              ;   in Loop: Header=BB14_177 Depth=1
	s_mov_b32 s23, exec_lo
	v_cmpx_lt_i32_e32 1, v15
	s_xor_b32 s23, exec_lo, s23
	s_cbranch_execz .LBB14_274
; %bb.271:                              ;   in Loop: Header=BB14_177 Depth=1
	s_mov_b32 s24, exec_lo
	v_cmpx_eq_u32_e32 2, v15
	s_cbranch_execz .LBB14_273
; %bb.272:                              ;   in Loop: Header=BB14_177 Depth=1
	v_fmaak_f32 v16, s9, v14, 0x3e6a7578
	s_delay_alu instid0(VALU_DEP_1) | instskip(NEXT) | instid1(VALU_DEP_1)
	v_fmaak_f32 v16, v14, v16, 0x3f7a4bb2
	v_fmaak_f32 v16, v14, v16, 0x3fba3ae7
	s_delay_alu instid0(VALU_DEP_1) | instskip(NEXT) | instid1(VALU_DEP_1)
	v_fmaak_f32 v16, v14, v16, 0x3f2200f4
	v_fmaak_f32 v16, v14, v16, 0xbd9e233f
	s_delay_alu instid0(VALU_DEP_1) | instskip(NEXT) | instid1(VALU_DEP_1)
	v_dual_fmaak_f32 v15, s10, v14, 0x3dd572af :: v_dual_mul_f32 v16, v14, v16
	v_fmaak_f32 v15, v14, v15, 0x3f44efdf
	s_delay_alu instid0(VALU_DEP_1) | instskip(NEXT) | instid1(VALU_DEP_1)
	v_fmaak_f32 v15, v14, v15, 0x4008392d
	v_fmaak_f32 v15, v14, v15, 0x401d2ebe
	s_delay_alu instid0(VALU_DEP_1) | instskip(NEXT) | instid1(VALU_DEP_1)
	v_fma_f32 v15, v14, v15, 1.0
	v_rcp_f32_e32 v15, v15
	s_waitcnt_depctr 0xfff
	v_mul_f32_e32 v15, v16, v15
	s_delay_alu instid0(VALU_DEP_1) | instskip(NEXT) | instid1(VALU_DEP_1)
	v_fmac_f32_e32 v15, -0.5, v14
	v_add_f32_e32 v12, v12, v15
.LBB14_273:                             ;   in Loop: Header=BB14_177 Depth=1
	s_or_b32 exec_lo, exec_lo, s24
                                        ; implicit-def: $vgpr14
.LBB14_274:                             ;   in Loop: Header=BB14_177 Depth=1
	s_and_not1_saveexec_b32 s1, s23
	s_cbranch_execz .LBB14_276
; %bb.275:                              ;   in Loop: Header=BB14_177 Depth=1
	v_mul_f32_e32 v15, v14, v14
	s_delay_alu instid0(VALU_DEP_1) | instskip(NEXT) | instid1(VALU_DEP_1)
	v_mul_f32_e32 v16, v14, v15
	v_fmaak_f32 v18, s19, v16, 0xba0d3085
	v_fmaak_f32 v17, s18, v16, 0x3a66f867
	;; [unrolled: 1-line block ×3, first 2 shown]
	s_delay_alu instid0(VALU_DEP_3) | instskip(NEXT) | instid1(VALU_DEP_3)
	v_fmaak_f32 v18, v16, v18, 0x3b141699
	v_fmaak_f32 v17, v16, v17, 0xbb7177fe
	s_delay_alu instid0(VALU_DEP_3) | instskip(NEXT) | instid1(VALU_DEP_3)
	v_fmaak_f32 v19, v16, v19, 0x3bc7e707
	v_fmaak_f32 v18, v16, v18, 0xbc28fcfe
	;; [unrolled: 3-line block ×4, first 2 shown]
	s_delay_alu instid0(VALU_DEP_1) | instskip(NEXT) | instid1(VALU_DEP_1)
	v_dual_fmac_f32 v17, v14, v18 :: v_dual_fmaak_f32 v14, v16, v19, 0x3ef7b95e
	v_fma_f32 v16, v16, -v17, 0xa2863e55
	s_delay_alu instid0(VALU_DEP_1) | instskip(NEXT) | instid1(VALU_DEP_1)
	v_fma_f32 v14, v15, v14, -v16
	v_add_f32_e32 v14, 0xbdf8cdce, v14
	s_delay_alu instid0(VALU_DEP_1)
	v_add_f32_e32 v12, v12, v14
.LBB14_276:                             ;   in Loop: Header=BB14_177 Depth=1
	s_or_b32 exec_lo, exec_lo, s1
                                        ; implicit-def: $vgpr15
                                        ; implicit-def: $vgpr14
.LBB14_277:                             ;   in Loop: Header=BB14_177 Depth=1
	s_and_not1_saveexec_b32 s2, s2
	s_cbranch_execz .LBB14_281
; %bb.278:                              ;   in Loop: Header=BB14_177 Depth=1
	s_mov_b32 s23, exec_lo
	v_cmpx_eq_u32_e32 0, v15
	s_cbranch_execz .LBB14_280
; %bb.279:                              ;   in Loop: Header=BB14_177 Depth=1
	v_mul_f32_e32 v15, v14, v14
	s_delay_alu instid0(VALU_DEP_1) | instskip(NEXT) | instid1(VALU_DEP_1)
	v_fmaak_f32 v17, s20, v15, 0x39679767
	v_fmaak_f32 v17, v15, v17, 0x3a9c54a1
	s_delay_alu instid0(VALU_DEP_1) | instskip(NEXT) | instid1(VALU_DEP_1)
	v_fmaak_f32 v17, v15, v17, 0x3bf2027e
	v_fmaak_f32 v17, v15, v17, 0x3d89f001
	s_delay_alu instid0(VALU_DEP_1) | instskip(SKIP_1) | instid1(VALU_DEP_1)
	v_fmaak_f32 v17, v15, v17, 0x3d9e233f
	v_fmaak_f32 v16, s15, v15, 0x38e28445
	;; [unrolled: 1-line block ×3, first 2 shown]
	s_delay_alu instid0(VALU_DEP_1) | instskip(NEXT) | instid1(VALU_DEP_1)
	v_fmaak_f32 v16, v15, v16, 0x3b3d6ec6
	v_fmaak_f32 v16, v15, v16, 0x3ca89915
	s_delay_alu instid0(VALU_DEP_1) | instskip(NEXT) | instid1(VALU_DEP_1)
	v_fmaak_f32 v16, v15, v16, 0x3ea51a66
	v_mul_f32_e32 v15, v15, v16
	s_delay_alu instid0(VALU_DEP_1) | instskip(NEXT) | instid1(VALU_DEP_1)
	v_fmac_f32_e32 v15, v14, v17
	v_fmac_f32_e32 v15, -0.5, v14
	s_delay_alu instid0(VALU_DEP_1)
	v_add_f32_e32 v12, v12, v15
.LBB14_280:                             ;   in Loop: Header=BB14_177 Depth=1
	s_or_b32 exec_lo, exec_lo, s23
.LBB14_281:                             ;   in Loop: Header=BB14_177 Depth=1
	s_delay_alu instid0(SALU_CYCLE_1)
	s_or_b32 exec_lo, exec_lo, s2
.LBB14_282:                             ;   in Loop: Header=BB14_177 Depth=1
	s_delay_alu instid0(SALU_CYCLE_1)
	s_or_b32 exec_lo, exec_lo, s4
.LBB14_283:                             ;   in Loop: Header=BB14_177 Depth=1
	s_and_not1_saveexec_b32 s2, s3
	s_cbranch_execz .LBB14_285
; %bb.284:                              ;   in Loop: Header=BB14_177 Depth=1
	v_cmp_gt_f32_e64 s3, 0x800000, |v11|
	v_fma_f32 v16, |v11|, s16, 0xbecd26ab
	s_delay_alu instid0(VALU_DEP_2) | instskip(NEXT) | instid1(VALU_DEP_1)
	v_cndmask_b32_e64 v12, 1.0, 0x4f800000, s3
	v_mul_f32_e64 v12, |v11|, v12
	s_delay_alu instid0(VALU_DEP_1) | instskip(SKIP_3) | instid1(VALU_DEP_2)
	v_log_f32_e32 v12, v12
	s_waitcnt_depctr 0xfff
	v_mul_f32_e32 v14, 0x3f317217, v12
	v_cmp_gt_f32_e64 s1, 0x7f800000, |v12|
	v_fma_f32 v15, 0x3f317217, v12, -v14
	s_delay_alu instid0(VALU_DEP_1) | instskip(NEXT) | instid1(VALU_DEP_1)
	v_fmac_f32_e32 v15, 0x3377d1cf, v12
	v_add_f32_e32 v14, v14, v15
	v_fma_f32 v15, |v11|, v16, 0x3f528d33
	s_delay_alu instid0(VALU_DEP_2) | instskip(SKIP_1) | instid1(VALU_DEP_3)
	v_cndmask_b32_e64 v12, v12, v14, s1
	v_cndmask_b32_e64 v14, 0, 0x41b17218, s3
	v_fma_f32 v15, |v11|, v15, 0xbf13c468
	s_delay_alu instid0(VALU_DEP_2) | instskip(NEXT) | instid1(VALU_DEP_1)
	v_sub_f32_e32 v12, v12, v14
	v_fma_f32 v12, |v11|, v15, -v12
.LBB14_285:                             ;   in Loop: Header=BB14_177 Depth=1
	s_or_b32 exec_lo, exec_lo, s2
	v_cmp_le_f16_e64 s1, 0, v6
	s_mov_b32 s3, exec_lo
	v_cmpx_nle_f16_e32 0, v6
	s_xor_b32 s4, exec_lo, s3
	s_cbranch_execz .LBB14_289
; %bb.286:                              ;   in Loop: Header=BB14_177 Depth=1
	v_cmp_gt_f32_e64 s2, 0x4b000000, |v11|
	v_cmp_lt_f32_e64 s3, 0x35000000, |v11|
	s_delay_alu instid0(VALU_DEP_1) | instskip(NEXT) | instid1(SALU_CYCLE_1)
	s_and_b32 s2, s2, s3
	s_and_saveexec_b32 s23, s2
	s_cbranch_execz .LBB14_288
; %bb.287:                              ;   in Loop: Header=BB14_177 Depth=1
	v_mul_f32_e64 v14, |v11|, 0.5
	v_xor_b32_e32 v13, v13, v11
	s_delay_alu instid0(VALU_DEP_2) | instskip(SKIP_1) | instid1(VALU_DEP_2)
	v_floor_f32_e32 v15, v14
	v_cmp_neq_f32_e64 s2, 0x7f800000, v14
	v_sub_f32_e32 v15, v14, v15
	s_delay_alu instid0(VALU_DEP_1) | instskip(NEXT) | instid1(VALU_DEP_1)
	v_min_f32_e32 v15, 0x3f7fffff, v15
	v_add_f32_e32 v15, v15, v15
	s_delay_alu instid0(VALU_DEP_1) | instskip(SKIP_1) | instid1(VALU_DEP_1)
	v_cndmask_b32_e64 v14, 0, v15, s2
	v_cmp_gt_f32_e64 s2, |v11|, 1.0
	v_cndmask_b32_e64 v14, |v11|, v14, s2
	s_delay_alu instid0(VALU_DEP_1) | instskip(NEXT) | instid1(VALU_DEP_1)
	v_add_f32_e32 v15, v14, v14
	v_rndne_f32_e32 v15, v15
	s_delay_alu instid0(VALU_DEP_1) | instskip(SKIP_1) | instid1(VALU_DEP_2)
	v_fmac_f32_e32 v14, -0.5, v15
	v_cvt_i32_f32_e32 v15, v15
	v_mul_f32_e32 v16, v14, v14
	s_delay_alu instid0(VALU_DEP_1) | instskip(SKIP_1) | instid1(VALU_DEP_2)
	v_fmaak_f32 v17, s17, v16, 0xbf1f24be
	v_fmaak_f32 v18, s22, v16, 0x3e642e9d
	;; [unrolled: 1-line block ×3, first 2 shown]
	s_delay_alu instid0(VALU_DEP_2) | instskip(NEXT) | instid1(VALU_DEP_2)
	v_dual_fmaak_f32 v18, v16, v18, 0xbfaad1da :: v_dual_mul_f32 v19, v14, v16
	v_fmaak_f32 v17, v16, v17, 0xc0a55e0e
	s_delay_alu instid0(VALU_DEP_1) | instskip(NEXT) | instid1(VALU_DEP_1)
	v_dual_fmaak_f32 v18, v16, v18, 0x4081e0d3 :: v_dual_mul_f32 v17, v19, v17
	v_dual_fmaak_f32 v18, v16, v18, 0xc09de9e6 :: v_dual_and_b32 v19, 1, v15
	v_lshlrev_b32_e32 v15, 30, v15
	s_delay_alu instid0(VALU_DEP_3) | instskip(NEXT) | instid1(VALU_DEP_3)
	v_fmac_f32_e32 v17, 0x40490fdb, v14
	v_fma_f32 v14, v16, v18, 1.0
	s_delay_alu instid0(VALU_DEP_4) | instskip(NEXT) | instid1(VALU_DEP_4)
	v_cmp_eq_u32_e64 s2, 0, v19
	v_and_b32_e32 v15, 0x80000000, v15
	s_delay_alu instid0(VALU_DEP_2) | instskip(NEXT) | instid1(VALU_DEP_1)
	v_cndmask_b32_e64 v14, v14, v17, s2
	v_xor3_b32 v13, v13, v15, v14
	s_delay_alu instid0(VALU_DEP_1) | instskip(NEXT) | instid1(VALU_DEP_1)
	v_mul_f32_e32 v13, v11, v13
	v_frexp_mant_f32_e64 v14, |v13|
	v_frexp_exp_i32_f32_e32 v13, v13
	s_delay_alu instid0(VALU_DEP_2) | instskip(NEXT) | instid1(VALU_DEP_1)
	v_rcp_f32_e32 v14, v14
	v_sub_nc_u32_e32 v13, 2, v13
	s_waitcnt_depctr 0xfff
	v_mul_f32_e32 v14, 0x3f490fdb, v14
	s_delay_alu instid0(VALU_DEP_1) | instskip(NEXT) | instid1(VALU_DEP_1)
	v_ldexp_f32 v13, v14, v13
	v_cmp_gt_f32_e64 s2, 0x800000, v13
	s_delay_alu instid0(VALU_DEP_1) | instskip(NEXT) | instid1(VALU_DEP_1)
	v_cndmask_b32_e64 v14, 1.0, 0x4f800000, s2
	v_mul_f32_e32 v13, v13, v14
	s_delay_alu instid0(VALU_DEP_1) | instskip(SKIP_3) | instid1(VALU_DEP_2)
	v_log_f32_e32 v13, v13
	s_waitcnt_depctr 0xfff
	v_mul_f32_e32 v14, 0x3f317217, v13
	v_cmp_gt_f32_e64 s3, 0x7f800000, |v13|
	v_fma_f32 v15, 0x3f317217, v13, -v14
	s_delay_alu instid0(VALU_DEP_1) | instskip(NEXT) | instid1(VALU_DEP_1)
	v_fmac_f32_e32 v15, 0x3377d1cf, v13
	v_add_f32_e32 v14, v14, v15
	v_floor_f32_e32 v15, v11
	s_delay_alu instid0(VALU_DEP_2) | instskip(SKIP_1) | instid1(VALU_DEP_3)
	v_cndmask_b32_e64 v13, v13, v14, s3
	v_cndmask_b32_e64 v14, 0, 0x41b17218, s2
	v_sub_f32_e32 v15, v11, v15
	s_delay_alu instid0(VALU_DEP_1) | instskip(NEXT) | instid1(VALU_DEP_1)
	v_dual_sub_f32 v13, v13, v14 :: v_dual_min_f32 v14, 0x3f7fffff, v15
	v_sub_f32_e32 v12, v13, v12
	s_delay_alu instid0(VALU_DEP_2) | instskip(NEXT) | instid1(VALU_DEP_1)
	v_cmp_neq_f32_e64 s2, 0, v14
	v_cndmask_b32_e64 v12, 0x7f800000, v12, s2
.LBB14_288:                             ;   in Loop: Header=BB14_177 Depth=1
	s_or_b32 exec_lo, exec_lo, s23
.LBB14_289:                             ;   in Loop: Header=BB14_177 Depth=1
	s_and_not1_saveexec_b32 s4, s4
; %bb.290:                              ;   in Loop: Header=BB14_177 Depth=1
	v_cmp_eq_f16_e64 s2, 1.0, v6
	v_cmp_eq_f16_e64 s3, 2.0, v6
	s_delay_alu instid0(VALU_DEP_1) | instskip(NEXT) | instid1(SALU_CYCLE_1)
	s_or_b32 s2, s2, s3
	v_cndmask_b32_e64 v12, v12, 0, s2
; %bb.291:                              ;   in Loop: Header=BB14_177 Depth=1
	s_or_b32 exec_lo, exec_lo, s4
	v_lshrrev_b32_e32 v13, 16, v6
                                        ; implicit-def: $vgpr16
	s_mov_b32 s3, exec_lo
	s_delay_alu instid0(VALU_DEP_1) | instskip(NEXT) | instid1(VALU_DEP_1)
	v_cvt_f32_f16_e32 v14, v13
	v_and_b32_e32 v15, 0x7fffffff, v14
	v_cmpx_ngt_f32_e64 0x3c800000, |v14|
	s_xor_b32 s4, exec_lo, s3
	s_cbranch_execz .LBB14_321
; %bb.292:                              ;   in Loop: Header=BB14_177 Depth=1
                                        ; implicit-def: $vgpr16
	s_mov_b32 s3, exec_lo
	v_cmpx_nlt_f32_e64 |v14|, 2.0
	s_xor_b32 s23, exec_lo, s3
	s_cbranch_execz .LBB14_302
; %bb.293:                              ;   in Loop: Header=BB14_177 Depth=1
	s_mov_b32 s3, exec_lo
                                        ; implicit-def: $vgpr16
	v_cmpx_ngt_f32_e64 0x41000000, |v14|
	s_xor_b32 s3, exec_lo, s3
	s_cbranch_execz .LBB14_299
; %bb.294:                              ;   in Loop: Header=BB14_177 Depth=1
	s_mov_b32 s24, exec_lo
                                        ; implicit-def: $vgpr16
	v_cmpx_ngt_f32_e64 0x5c800000, |v14|
	s_xor_b32 s24, exec_lo, s24
	s_cbranch_execz .LBB14_296
; %bb.295:                              ;   in Loop: Header=BB14_177 Depth=1
	v_cmp_gt_f32_e64 s25, 0x800000, |v14|
	s_delay_alu instid0(VALU_DEP_1) | instskip(NEXT) | instid1(VALU_DEP_1)
	v_cndmask_b32_e64 v16, 1.0, 0x4f800000, s25
	v_mul_f32_e64 v16, |v14|, v16
	s_delay_alu instid0(VALU_DEP_1) | instskip(SKIP_3) | instid1(VALU_DEP_2)
	v_log_f32_e32 v16, v16
	s_waitcnt_depctr 0xfff
	v_mul_f32_e32 v17, 0x3f317217, v16
	v_cmp_gt_f32_e64 s2, 0x7f800000, |v16|
	v_fma_f32 v18, 0x3f317217, v16, -v17
	s_delay_alu instid0(VALU_DEP_1) | instskip(NEXT) | instid1(VALU_DEP_1)
	v_fmac_f32_e32 v18, 0x3377d1cf, v16
	v_add_f32_e32 v17, v17, v18
	s_delay_alu instid0(VALU_DEP_1) | instskip(SKIP_1) | instid1(VALU_DEP_1)
	v_cndmask_b32_e64 v16, v16, v17, s2
	v_cndmask_b32_e64 v17, 0, 0x41b17218, s25
	v_sub_f32_e32 v16, v16, v17
	s_delay_alu instid0(VALU_DEP_1)
	v_fma_f32 v16, |v14|, v16, -|v14|
.LBB14_296:                             ;   in Loop: Header=BB14_177 Depth=1
	s_and_not1_saveexec_b32 s24, s24
	s_cbranch_execz .LBB14_298
; %bb.297:                              ;   in Loop: Header=BB14_177 Depth=1
	v_cmp_gt_f32_e64 s25, 0x800000, |v14|
	v_rcp_f32_e64 v17, |v14|
	s_delay_alu instid0(VALU_DEP_1) | instskip(NEXT) | instid1(VALU_DEP_1)
	v_cndmask_b32_e64 v16, 1.0, 0x4f800000, s25
	v_mul_f32_e64 v16, |v14|, v16
	s_delay_alu instid0(VALU_DEP_1) | instskip(SKIP_3) | instid1(VALU_DEP_2)
	v_log_f32_e32 v16, v16
	s_waitcnt_depctr 0xfff
	v_dual_mul_f32 v18, v17, v17 :: v_dual_mul_f32 v19, 0x3f317217, v16
	v_cmp_gt_f32_e64 s2, 0x7f800000, |v16|
	v_fma_f32 v21, 0x3f317217, v16, -v19
	s_delay_alu instid0(VALU_DEP_1) | instskip(NEXT) | instid1(VALU_DEP_1)
	v_fmac_f32_e32 v21, 0x3377d1cf, v16
	v_dual_fmaak_f32 v20, s6, v18, 0x3a5b3dd2 :: v_dual_add_f32 v19, v19, v21
	s_delay_alu instid0(VALU_DEP_1) | instskip(SKIP_1) | instid1(VALU_DEP_1)
	v_cndmask_b32_e64 v16, v16, v19, s2
	v_cndmask_b32_e64 v19, 0, 0x41b17218, s25
	v_dual_fmaak_f32 v20, v18, v20, 0xba1c065c :: v_dual_sub_f32 v19, v16, v19
	s_delay_alu instid0(VALU_DEP_1) | instskip(NEXT) | instid1(VALU_DEP_1)
	v_fmaak_f32 v20, v18, v20, 0x3a500cfd
	v_fmaak_f32 v20, v18, v20, 0xbb360b61
	s_delay_alu instid0(VALU_DEP_1) | instskip(NEXT) | instid1(VALU_DEP_1)
	v_fmaak_f32 v18, v18, v20, 0x3daaaaab
	v_fmaak_f32 v16, v17, v18, 0x3ed67f1d
	v_add_f32_e64 v17, |v14|, -0.5
	v_add_f32_e32 v18, -1.0, v19
	s_delay_alu instid0(VALU_DEP_1)
	v_fmac_f32_e32 v16, v17, v18
.LBB14_298:                             ;   in Loop: Header=BB14_177 Depth=1
	s_or_b32 exec_lo, exec_lo, s24
.LBB14_299:                             ;   in Loop: Header=BB14_177 Depth=1
	s_and_not1_saveexec_b32 s24, s3
	s_cbranch_execz .LBB14_301
; %bb.300:                              ;   in Loop: Header=BB14_177 Depth=1
	v_cvt_i32_f32_e32 v16, v15
	s_delay_alu instid0(VALU_DEP_1) | instskip(SKIP_1) | instid1(VALU_DEP_2)
	v_cvt_f32_i32_e32 v17, v16
	v_cmp_lt_i32_e64 s2, 2, v16
	v_sub_f32_e64 v17, |v14|, v17
	s_delay_alu instid0(VALU_DEP_1) | instskip(SKIP_2) | instid1(VALU_DEP_3)
	v_add_f32_e32 v18, 2.0, v17
	v_add_f32_e32 v19, 0x40400000, v17
	v_add_f32_e32 v20, 4.0, v17
	v_cndmask_b32_e64 v18, 1.0, v18, s2
	v_cmp_lt_i32_e64 s2, 3, v16
	s_delay_alu instid0(VALU_DEP_1) | instskip(SKIP_1) | instid1(VALU_DEP_2)
	v_cndmask_b32_e64 v19, 1.0, v19, s2
	v_cmp_lt_i32_e64 s2, 4, v16
	v_dual_add_f32 v21, 0x40a00000, v17 :: v_dual_mul_f32 v18, v18, v19
	s_delay_alu instid0(VALU_DEP_2) | instskip(SKIP_1) | instid1(VALU_DEP_2)
	v_cndmask_b32_e64 v20, 1.0, v20, s2
	v_cmp_lt_i32_e64 s2, 5, v16
	v_mul_f32_e32 v18, v20, v18
	s_delay_alu instid0(VALU_DEP_2) | instskip(SKIP_3) | instid1(VALU_DEP_4)
	v_cndmask_b32_e64 v21, 1.0, v21, s2
	v_add_f32_e32 v19, 0x40c00000, v17
	v_cmp_lt_i32_e64 s2, 6, v16
	v_fmaak_f32 v20, s7, v17, 0x3af135b4
	v_mul_f32_e32 v18, v21, v18
	s_delay_alu instid0(VALU_DEP_3) | instskip(NEXT) | instid1(VALU_DEP_1)
	v_cndmask_b32_e64 v16, 1.0, v19, s2
	v_mul_f32_e32 v16, v16, v18
	s_delay_alu instid0(VALU_DEP_1) | instskip(NEXT) | instid1(VALU_DEP_1)
	v_cmp_gt_f32_e64 s2, 0x800000, v16
	v_cndmask_b32_e64 v19, 1.0, 0x4f800000, s2
	s_delay_alu instid0(VALU_DEP_1) | instskip(NEXT) | instid1(VALU_DEP_1)
	v_dual_mul_f32 v16, v16, v19 :: v_dual_fmaak_f32 v19, v17, v20, 0x3cda40e4
	v_log_f32_e32 v16, v16
	s_delay_alu instid0(VALU_DEP_1) | instskip(NEXT) | instid1(VALU_DEP_1)
	v_fmaak_f32 v19, v17, v19, 0x3e15dce6
	v_fmaak_f32 v19, v17, v19, 0x3ea6cc7a
	s_waitcnt_depctr 0xfff
	v_mul_f32_e32 v20, 0x3f317217, v16
	v_cmp_gt_f32_e64 s3, 0x7f800000, |v16|
	s_delay_alu instid0(VALU_DEP_2) | instskip(NEXT) | instid1(VALU_DEP_1)
	v_fma_f32 v21, 0x3f317217, v16, -v20
	v_fmac_f32_e32 v21, 0x3377d1cf, v16
	s_delay_alu instid0(VALU_DEP_1) | instskip(NEXT) | instid1(VALU_DEP_1)
	v_dual_fmaak_f32 v19, v17, v19, 0x3e5c245a :: v_dual_add_f32 v20, v20, v21
	v_fmaak_f32 v19, v17, v19, 0xbd9e233f
	v_fmaak_f32 v18, s8, v17, 0x3a4beed6
	s_delay_alu instid0(VALU_DEP_3) | instskip(NEXT) | instid1(VALU_DEP_3)
	v_cndmask_b32_e64 v16, v16, v20, s3
	v_mul_f32_e32 v19, v17, v19
	s_delay_alu instid0(VALU_DEP_3) | instskip(NEXT) | instid1(VALU_DEP_1)
	v_fmaak_f32 v18, v17, v18, 0x3c98bf54
	v_fmaak_f32 v18, v17, v18, 0x3e300f6e
	s_delay_alu instid0(VALU_DEP_1) | instskip(NEXT) | instid1(VALU_DEP_1)
	v_fmaak_f32 v18, v17, v18, 0x3f38d0c5
	v_fmaak_f32 v18, v17, v18, 0x3fb22d3b
	s_delay_alu instid0(VALU_DEP_1) | instskip(NEXT) | instid1(VALU_DEP_1)
	v_fma_f32 v18, v17, v18, 1.0
	v_rcp_f32_e32 v18, v18
	s_waitcnt_depctr 0xfff
	v_mul_f32_e32 v18, v19, v18
	v_cndmask_b32_e64 v19, 0, 0x41b17218, s2
	s_delay_alu instid0(VALU_DEP_2) | instskip(NEXT) | instid1(VALU_DEP_2)
	v_fmac_f32_e32 v18, 0.5, v17
	v_sub_f32_e32 v16, v16, v19
	s_delay_alu instid0(VALU_DEP_1)
	v_add_f32_e32 v16, v16, v18
.LBB14_301:                             ;   in Loop: Header=BB14_177 Depth=1
	s_or_b32 exec_lo, exec_lo, s24
.LBB14_302:                             ;   in Loop: Header=BB14_177 Depth=1
	s_and_not1_saveexec_b32 s23, s23
	s_cbranch_execz .LBB14_320
; %bb.303:                              ;   in Loop: Header=BB14_177 Depth=1
                                        ; implicit-def: $vgpr16
                                        ; implicit-def: $vgpr18
                                        ; implicit-def: $vgpr17
	s_mov_b32 s3, exec_lo
	v_cmpx_ge_f32_e64 0x3f666666, |v14|
	s_xor_b32 s24, exec_lo, s3
	s_cbranch_execz .LBB14_305
; %bb.304:                              ;   in Loop: Header=BB14_177 Depth=1
	v_cmp_gt_f32_e64 s3, 0x800000, |v14|
	v_sub_f32_e64 v19, 1.0, |v14|
	v_cmp_gt_f32_e64 s2, 0x3f3b4a23, |v14|
	s_delay_alu instid0(VALU_DEP_3) | instskip(SKIP_1) | instid1(VALU_DEP_2)
	v_cndmask_b32_e64 v16, 1.0, 0x4f800000, s3
	v_cndmask_b32_e64 v20, 0, 0x41b17218, s3
	v_mul_f32_e64 v16, |v14|, v16
	s_delay_alu instid0(VALU_DEP_1) | instskip(SKIP_3) | instid1(VALU_DEP_2)
	v_log_f32_e32 v16, v16
	s_waitcnt_depctr 0xfff
	v_mul_f32_e32 v17, 0x3f317217, v16
	v_cmp_gt_f32_e64 s3, 0x7f800000, |v16|
	v_fma_f32 v18, 0x3f317217, v16, -v17
	s_delay_alu instid0(VALU_DEP_1) | instskip(NEXT) | instid1(VALU_DEP_1)
	v_fmac_f32_e32 v18, 0x3377d1cf, v16
	v_add_f32_e32 v17, v17, v18
	v_add_f32_e64 v18, 0xbeec5b0c, |v14|
	s_delay_alu instid0(VALU_DEP_2) | instskip(NEXT) | instid1(VALU_DEP_2)
	v_cndmask_b32_e64 v16, v16, v17, s3
	v_cndmask_b32_e64 v17, v19, v18, s2
	;; [unrolled: 1-line block ×3, first 2 shown]
	v_cmp_gt_f32_e64 s2, 0x3e6d3309, |v14|
	s_delay_alu instid0(VALU_DEP_4) | instskip(NEXT) | instid1(VALU_DEP_2)
	v_sub_f32_e32 v16, v16, v20
	v_cndmask_b32_e64 v17, v17, |v14|, s2
	s_delay_alu instid0(VALU_DEP_4) | instskip(NEXT) | instid1(VALU_DEP_3)
	v_cndmask_b32_e64 v18, v18, 2, s2
	v_xor_b32_e32 v16, 0x80000000, v16
.LBB14_305:                             ;   in Loop: Header=BB14_177 Depth=1
	s_and_not1_saveexec_b32 s3, s24
; %bb.306:                              ;   in Loop: Header=BB14_177 Depth=1
	v_sub_f32_e64 v16, 2.0, |v14|
	v_add_f32_e64 v17, 0xbfbb16c3, |v14|
	v_cmp_gt_f32_e64 s2, 0x3fdda512, |v14|
	v_add_f32_e64 v18, |v14|, -1.0
	s_delay_alu instid0(VALU_DEP_2) | instskip(SKIP_2) | instid1(VALU_DEP_2)
	v_cndmask_b32_e64 v17, v16, v17, s2
	v_cndmask_b32_e64 v16, v16, 1.0, s2
	v_cmp_gt_f32_e64 s2, 0x3f9d70a4, |v14|
	v_cvt_i32_f32_e32 v16, v16
	s_delay_alu instid0(VALU_DEP_2) | instskip(NEXT) | instid1(VALU_DEP_2)
	v_cndmask_b32_e64 v17, v17, v18, s2
	v_cndmask_b32_e64 v18, v16, 2, s2
	v_mov_b32_e32 v16, 0
; %bb.307:                              ;   in Loop: Header=BB14_177 Depth=1
	s_or_b32 exec_lo, exec_lo, s3
	s_delay_alu instid0(SALU_CYCLE_1) | instskip(NEXT) | instid1(VALU_DEP_2)
	s_mov_b32 s3, exec_lo
	v_cmpx_lt_i32_e32 0, v18
	s_xor_b32 s3, exec_lo, s3
	s_cbranch_execz .LBB14_315
; %bb.308:                              ;   in Loop: Header=BB14_177 Depth=1
	s_mov_b32 s24, exec_lo
	v_cmpx_lt_i32_e32 1, v18
	s_xor_b32 s24, exec_lo, s24
	s_cbranch_execz .LBB14_312
; %bb.309:                              ;   in Loop: Header=BB14_177 Depth=1
	s_mov_b32 s25, exec_lo
	v_cmpx_eq_u32_e32 2, v18
	s_cbranch_execz .LBB14_311
; %bb.310:                              ;   in Loop: Header=BB14_177 Depth=1
	v_fmaak_f32 v19, s9, v17, 0x3e6a7578
	s_delay_alu instid0(VALU_DEP_1) | instskip(NEXT) | instid1(VALU_DEP_1)
	v_fmaak_f32 v19, v17, v19, 0x3f7a4bb2
	v_fmaak_f32 v19, v17, v19, 0x3fba3ae7
	s_delay_alu instid0(VALU_DEP_1) | instskip(NEXT) | instid1(VALU_DEP_1)
	v_fmaak_f32 v19, v17, v19, 0x3f2200f4
	v_fmaak_f32 v19, v17, v19, 0xbd9e233f
	s_delay_alu instid0(VALU_DEP_1) | instskip(NEXT) | instid1(VALU_DEP_1)
	v_dual_fmaak_f32 v18, s10, v17, 0x3dd572af :: v_dual_mul_f32 v19, v17, v19
	v_fmaak_f32 v18, v17, v18, 0x3f44efdf
	s_delay_alu instid0(VALU_DEP_1) | instskip(NEXT) | instid1(VALU_DEP_1)
	v_fmaak_f32 v18, v17, v18, 0x4008392d
	v_fmaak_f32 v18, v17, v18, 0x401d2ebe
	s_delay_alu instid0(VALU_DEP_1) | instskip(NEXT) | instid1(VALU_DEP_1)
	v_fma_f32 v18, v17, v18, 1.0
	v_rcp_f32_e32 v18, v18
	s_waitcnt_depctr 0xfff
	v_mul_f32_e32 v18, v19, v18
	s_delay_alu instid0(VALU_DEP_1) | instskip(NEXT) | instid1(VALU_DEP_1)
	v_fmac_f32_e32 v18, -0.5, v17
	v_add_f32_e32 v16, v16, v18
.LBB14_311:                             ;   in Loop: Header=BB14_177 Depth=1
	s_or_b32 exec_lo, exec_lo, s25
                                        ; implicit-def: $vgpr17
.LBB14_312:                             ;   in Loop: Header=BB14_177 Depth=1
	s_and_not1_saveexec_b32 s2, s24
	s_cbranch_execz .LBB14_314
; %bb.313:                              ;   in Loop: Header=BB14_177 Depth=1
	v_mul_f32_e32 v18, v17, v17
	s_delay_alu instid0(VALU_DEP_1) | instskip(NEXT) | instid1(VALU_DEP_1)
	v_mul_f32_e32 v19, v17, v18
	v_fmaak_f32 v20, s18, v19, 0x3a66f867
	v_fmaak_f32 v21, s19, v19, 0xba0d3085
	;; [unrolled: 1-line block ×3, first 2 shown]
	s_delay_alu instid0(VALU_DEP_3) | instskip(NEXT) | instid1(VALU_DEP_3)
	v_fmaak_f32 v20, v19, v20, 0xbb7177fe
	v_fmaak_f32 v21, v19, v21, 0x3b141699
	s_delay_alu instid0(VALU_DEP_3) | instskip(NEXT) | instid1(VALU_DEP_3)
	v_fmaak_f32 v22, v19, v22, 0x3bc7e707
	v_fmaak_f32 v20, v19, v20, 0x3c93373d
	;; [unrolled: 3-line block ×4, first 2 shown]
	s_delay_alu instid0(VALU_DEP_1) | instskip(NEXT) | instid1(VALU_DEP_1)
	v_dual_fmac_f32 v20, v17, v21 :: v_dual_fmaak_f32 v17, v19, v22, 0x3ef7b95e
	v_fma_f32 v19, v19, -v20, 0xa2863e55
	s_delay_alu instid0(VALU_DEP_1) | instskip(NEXT) | instid1(VALU_DEP_1)
	v_fma_f32 v17, v18, v17, -v19
	v_add_f32_e32 v17, 0xbdf8cdce, v17
	s_delay_alu instid0(VALU_DEP_1)
	v_add_f32_e32 v16, v16, v17
.LBB14_314:                             ;   in Loop: Header=BB14_177 Depth=1
	s_or_b32 exec_lo, exec_lo, s2
                                        ; implicit-def: $vgpr18
                                        ; implicit-def: $vgpr17
.LBB14_315:                             ;   in Loop: Header=BB14_177 Depth=1
	s_and_not1_saveexec_b32 s3, s3
	s_cbranch_execz .LBB14_319
; %bb.316:                              ;   in Loop: Header=BB14_177 Depth=1
	s_mov_b32 s24, exec_lo
	v_cmpx_eq_u32_e32 0, v18
	s_cbranch_execz .LBB14_318
; %bb.317:                              ;   in Loop: Header=BB14_177 Depth=1
	v_mul_f32_e32 v18, v17, v17
	s_delay_alu instid0(VALU_DEP_1) | instskip(NEXT) | instid1(VALU_DEP_1)
	v_fmaak_f32 v20, s20, v18, 0x39679767
	v_fmaak_f32 v20, v18, v20, 0x3a9c54a1
	s_delay_alu instid0(VALU_DEP_1) | instskip(NEXT) | instid1(VALU_DEP_1)
	v_fmaak_f32 v20, v18, v20, 0x3bf2027e
	v_fmaak_f32 v20, v18, v20, 0x3d89f001
	s_delay_alu instid0(VALU_DEP_1) | instskip(SKIP_1) | instid1(VALU_DEP_1)
	v_fmaak_f32 v20, v18, v20, 0x3d9e233f
	v_fmaak_f32 v19, s15, v18, 0x38e28445
	;; [unrolled: 1-line block ×3, first 2 shown]
	s_delay_alu instid0(VALU_DEP_1) | instskip(NEXT) | instid1(VALU_DEP_1)
	v_fmaak_f32 v19, v18, v19, 0x3b3d6ec6
	v_fmaak_f32 v19, v18, v19, 0x3ca89915
	s_delay_alu instid0(VALU_DEP_1) | instskip(NEXT) | instid1(VALU_DEP_1)
	v_fmaak_f32 v19, v18, v19, 0x3ea51a66
	v_mul_f32_e32 v18, v18, v19
	s_delay_alu instid0(VALU_DEP_1) | instskip(NEXT) | instid1(VALU_DEP_1)
	v_fmac_f32_e32 v18, v17, v20
	v_fmac_f32_e32 v18, -0.5, v17
	s_delay_alu instid0(VALU_DEP_1)
	v_add_f32_e32 v16, v16, v18
.LBB14_318:                             ;   in Loop: Header=BB14_177 Depth=1
	s_or_b32 exec_lo, exec_lo, s24
.LBB14_319:                             ;   in Loop: Header=BB14_177 Depth=1
	s_delay_alu instid0(SALU_CYCLE_1)
	s_or_b32 exec_lo, exec_lo, s3
.LBB14_320:                             ;   in Loop: Header=BB14_177 Depth=1
	s_delay_alu instid0(SALU_CYCLE_1)
	s_or_b32 exec_lo, exec_lo, s23
.LBB14_321:                             ;   in Loop: Header=BB14_177 Depth=1
	s_and_not1_saveexec_b32 s3, s4
	s_cbranch_execz .LBB14_323
; %bb.322:                              ;   in Loop: Header=BB14_177 Depth=1
	v_cmp_gt_f32_e64 s4, 0x800000, |v14|
	v_fma_f32 v19, |v14|, s16, 0xbecd26ab
	s_delay_alu instid0(VALU_DEP_2) | instskip(NEXT) | instid1(VALU_DEP_1)
	v_cndmask_b32_e64 v16, 1.0, 0x4f800000, s4
	v_mul_f32_e64 v16, |v14|, v16
	s_delay_alu instid0(VALU_DEP_1) | instskip(SKIP_3) | instid1(VALU_DEP_2)
	v_log_f32_e32 v16, v16
	s_waitcnt_depctr 0xfff
	v_mul_f32_e32 v17, 0x3f317217, v16
	v_cmp_gt_f32_e64 s2, 0x7f800000, |v16|
	v_fma_f32 v18, 0x3f317217, v16, -v17
	s_delay_alu instid0(VALU_DEP_1) | instskip(NEXT) | instid1(VALU_DEP_1)
	v_fmac_f32_e32 v18, 0x3377d1cf, v16
	v_add_f32_e32 v17, v17, v18
	v_fma_f32 v18, |v14|, v19, 0x3f528d33
	s_delay_alu instid0(VALU_DEP_2) | instskip(SKIP_1) | instid1(VALU_DEP_3)
	v_cndmask_b32_e64 v16, v16, v17, s2
	v_cndmask_b32_e64 v17, 0, 0x41b17218, s4
	v_fma_f32 v18, |v14|, v18, 0xbf13c468
	s_delay_alu instid0(VALU_DEP_2) | instskip(NEXT) | instid1(VALU_DEP_1)
	v_sub_f32_e32 v16, v16, v17
	v_fma_f32 v16, |v14|, v18, -v16
.LBB14_323:                             ;   in Loop: Header=BB14_177 Depth=1
	s_or_b32 exec_lo, exec_lo, s3
	v_cmp_le_f16_e64 s2, 0, v13
	s_mov_b32 s4, exec_lo
	v_cmpx_nle_f16_e32 0, v13
	s_xor_b32 s23, exec_lo, s4
	s_cbranch_execz .LBB14_327
; %bb.324:                              ;   in Loop: Header=BB14_177 Depth=1
	v_cmp_gt_f32_e64 s3, 0x4b000000, |v14|
	v_cmp_lt_f32_e64 s4, 0x35000000, |v14|
	s_delay_alu instid0(VALU_DEP_1) | instskip(NEXT) | instid1(SALU_CYCLE_1)
	s_and_b32 s3, s3, s4
	s_and_saveexec_b32 s24, s3
	s_cbranch_execz .LBB14_326
; %bb.325:                              ;   in Loop: Header=BB14_177 Depth=1
	v_mul_f32_e64 v17, |v14|, 0.5
	v_xor_b32_e32 v15, v15, v14
	s_delay_alu instid0(VALU_DEP_2) | instskip(SKIP_1) | instid1(VALU_DEP_2)
	v_floor_f32_e32 v18, v17
	v_cmp_neq_f32_e64 s3, 0x7f800000, v17
	v_sub_f32_e32 v18, v17, v18
	s_delay_alu instid0(VALU_DEP_1) | instskip(NEXT) | instid1(VALU_DEP_1)
	v_min_f32_e32 v18, 0x3f7fffff, v18
	v_add_f32_e32 v18, v18, v18
	s_delay_alu instid0(VALU_DEP_1) | instskip(SKIP_1) | instid1(VALU_DEP_1)
	v_cndmask_b32_e64 v17, 0, v18, s3
	v_cmp_gt_f32_e64 s3, |v14|, 1.0
	v_cndmask_b32_e64 v17, |v14|, v17, s3
	s_delay_alu instid0(VALU_DEP_1) | instskip(NEXT) | instid1(VALU_DEP_1)
	v_add_f32_e32 v18, v17, v17
	v_rndne_f32_e32 v18, v18
	s_delay_alu instid0(VALU_DEP_1) | instskip(SKIP_1) | instid1(VALU_DEP_2)
	v_fmac_f32_e32 v17, -0.5, v18
	v_cvt_i32_f32_e32 v18, v18
	v_mul_f32_e32 v19, v17, v17
	s_delay_alu instid0(VALU_DEP_1) | instskip(SKIP_1) | instid1(VALU_DEP_2)
	v_fmaak_f32 v20, s17, v19, 0xbf1f24be
	v_fmaak_f32 v21, s22, v19, 0x3e642e9d
	;; [unrolled: 1-line block ×3, first 2 shown]
	s_delay_alu instid0(VALU_DEP_2) | instskip(NEXT) | instid1(VALU_DEP_2)
	v_dual_fmaak_f32 v21, v19, v21, 0xbfaad1da :: v_dual_mul_f32 v22, v17, v19
	v_fmaak_f32 v20, v19, v20, 0xc0a55e0e
	s_delay_alu instid0(VALU_DEP_1) | instskip(NEXT) | instid1(VALU_DEP_1)
	v_dual_fmaak_f32 v21, v19, v21, 0x4081e0d3 :: v_dual_mul_f32 v20, v22, v20
	v_dual_fmaak_f32 v21, v19, v21, 0xc09de9e6 :: v_dual_and_b32 v22, 1, v18
	v_lshlrev_b32_e32 v18, 30, v18
	s_delay_alu instid0(VALU_DEP_3) | instskip(NEXT) | instid1(VALU_DEP_3)
	v_fmac_f32_e32 v20, 0x40490fdb, v17
	v_fma_f32 v17, v19, v21, 1.0
	s_delay_alu instid0(VALU_DEP_4) | instskip(NEXT) | instid1(VALU_DEP_4)
	v_cmp_eq_u32_e64 s3, 0, v22
	v_and_b32_e32 v18, 0x80000000, v18
	s_delay_alu instid0(VALU_DEP_2) | instskip(NEXT) | instid1(VALU_DEP_1)
	v_cndmask_b32_e64 v17, v17, v20, s3
	v_xor3_b32 v15, v15, v18, v17
	s_delay_alu instid0(VALU_DEP_1) | instskip(NEXT) | instid1(VALU_DEP_1)
	v_mul_f32_e32 v15, v14, v15
	v_frexp_mant_f32_e64 v17, |v15|
	v_frexp_exp_i32_f32_e32 v15, v15
	s_delay_alu instid0(VALU_DEP_2) | instskip(NEXT) | instid1(VALU_DEP_1)
	v_rcp_f32_e32 v17, v17
	v_sub_nc_u32_e32 v15, 2, v15
	s_waitcnt_depctr 0xfff
	v_mul_f32_e32 v17, 0x3f490fdb, v17
	s_delay_alu instid0(VALU_DEP_1) | instskip(NEXT) | instid1(VALU_DEP_1)
	v_ldexp_f32 v15, v17, v15
	v_cmp_gt_f32_e64 s3, 0x800000, v15
	s_delay_alu instid0(VALU_DEP_1) | instskip(NEXT) | instid1(VALU_DEP_1)
	v_cndmask_b32_e64 v17, 1.0, 0x4f800000, s3
	v_mul_f32_e32 v15, v15, v17
	s_delay_alu instid0(VALU_DEP_1) | instskip(SKIP_3) | instid1(VALU_DEP_2)
	v_log_f32_e32 v15, v15
	s_waitcnt_depctr 0xfff
	v_mul_f32_e32 v17, 0x3f317217, v15
	v_cmp_gt_f32_e64 s4, 0x7f800000, |v15|
	v_fma_f32 v18, 0x3f317217, v15, -v17
	s_delay_alu instid0(VALU_DEP_1) | instskip(NEXT) | instid1(VALU_DEP_1)
	v_fmac_f32_e32 v18, 0x3377d1cf, v15
	v_add_f32_e32 v17, v17, v18
	v_floor_f32_e32 v18, v14
	s_delay_alu instid0(VALU_DEP_2) | instskip(NEXT) | instid1(VALU_DEP_2)
	v_cndmask_b32_e64 v15, v15, v17, s4
	v_sub_f32_e32 v18, v14, v18
	v_cndmask_b32_e64 v17, 0, 0x41b17218, s3
	s_delay_alu instid0(VALU_DEP_1) | instskip(NEXT) | instid1(VALU_DEP_3)
	v_sub_f32_e32 v15, v15, v17
	v_min_f32_e32 v17, 0x3f7fffff, v18
	s_delay_alu instid0(VALU_DEP_2) | instskip(NEXT) | instid1(VALU_DEP_2)
	v_sub_f32_e32 v15, v15, v16
	v_cmp_neq_f32_e64 s3, 0, v17
	s_delay_alu instid0(VALU_DEP_1)
	v_cndmask_b32_e64 v16, 0x7f800000, v15, s3
.LBB14_326:                             ;   in Loop: Header=BB14_177 Depth=1
	s_or_b32 exec_lo, exec_lo, s24
.LBB14_327:                             ;   in Loop: Header=BB14_177 Depth=1
	s_and_not1_saveexec_b32 s23, s23
	s_cbranch_execz .LBB14_176
; %bb.328:                              ;   in Loop: Header=BB14_177 Depth=1
	v_cmp_eq_f16_e64 s3, 1.0, v13
	v_cmp_eq_f16_e64 s4, 2.0, v13
	s_delay_alu instid0(VALU_DEP_1) | instskip(NEXT) | instid1(SALU_CYCLE_1)
	s_or_b32 s3, s3, s4
	v_cndmask_b32_e64 v16, v16, 0, s3
	s_branch .LBB14_176
.LBB14_329:
	s_nop 0
	s_sendmsg sendmsg(MSG_DEALLOC_VGPRS)
	s_endpgm
	.section	.rodata,"a",@progbits
	.p2align	6, 0x0
	.amdhsa_kernel _ZN2at6native12_GLOBAL__N_125multi_tensor_apply_kernelINS1_18TensorListMetadataILi1EEENS1_14UnaryOpFunctorIN3c104HalfELi1ELi1ELi0EEEJNS0_6LgammaIfEEEEEvT_T0_DpT1_
		.amdhsa_group_segment_fixed_size 0
		.amdhsa_private_segment_fixed_size 0
		.amdhsa_kernarg_size 3632
		.amdhsa_user_sgpr_count 15
		.amdhsa_user_sgpr_dispatch_ptr 0
		.amdhsa_user_sgpr_queue_ptr 0
		.amdhsa_user_sgpr_kernarg_segment_ptr 1
		.amdhsa_user_sgpr_dispatch_id 0
		.amdhsa_user_sgpr_private_segment_size 0
		.amdhsa_wavefront_size32 1
		.amdhsa_uses_dynamic_stack 0
		.amdhsa_enable_private_segment 0
		.amdhsa_system_sgpr_workgroup_id_x 1
		.amdhsa_system_sgpr_workgroup_id_y 0
		.amdhsa_system_sgpr_workgroup_id_z 0
		.amdhsa_system_sgpr_workgroup_info 0
		.amdhsa_system_vgpr_workitem_id 0
		.amdhsa_next_free_vgpr 30
		.amdhsa_next_free_sgpr 41
		.amdhsa_reserve_vcc 1
		.amdhsa_float_round_mode_32 0
		.amdhsa_float_round_mode_16_64 0
		.amdhsa_float_denorm_mode_32 3
		.amdhsa_float_denorm_mode_16_64 3
		.amdhsa_dx10_clamp 1
		.amdhsa_ieee_mode 1
		.amdhsa_fp16_overflow 0
		.amdhsa_workgroup_processor_mode 1
		.amdhsa_memory_ordered 1
		.amdhsa_forward_progress 0
		.amdhsa_shared_vgpr_count 0
		.amdhsa_exception_fp_ieee_invalid_op 0
		.amdhsa_exception_fp_denorm_src 0
		.amdhsa_exception_fp_ieee_div_zero 0
		.amdhsa_exception_fp_ieee_overflow 0
		.amdhsa_exception_fp_ieee_underflow 0
		.amdhsa_exception_fp_ieee_inexact 0
		.amdhsa_exception_int_div_zero 0
	.end_amdhsa_kernel
	.section	.text._ZN2at6native12_GLOBAL__N_125multi_tensor_apply_kernelINS1_18TensorListMetadataILi1EEENS1_14UnaryOpFunctorIN3c104HalfELi1ELi1ELi0EEEJNS0_6LgammaIfEEEEEvT_T0_DpT1_,"axG",@progbits,_ZN2at6native12_GLOBAL__N_125multi_tensor_apply_kernelINS1_18TensorListMetadataILi1EEENS1_14UnaryOpFunctorIN3c104HalfELi1ELi1ELi0EEEJNS0_6LgammaIfEEEEEvT_T0_DpT1_,comdat
.Lfunc_end14:
	.size	_ZN2at6native12_GLOBAL__N_125multi_tensor_apply_kernelINS1_18TensorListMetadataILi1EEENS1_14UnaryOpFunctorIN3c104HalfELi1ELi1ELi0EEEJNS0_6LgammaIfEEEEEvT_T0_DpT1_, .Lfunc_end14-_ZN2at6native12_GLOBAL__N_125multi_tensor_apply_kernelINS1_18TensorListMetadataILi1EEENS1_14UnaryOpFunctorIN3c104HalfELi1ELi1ELi0EEEJNS0_6LgammaIfEEEEEvT_T0_DpT1_
                                        ; -- End function
	.section	.AMDGPU.csdata,"",@progbits
; Kernel info:
; codeLenInByte = 22392
; NumSgprs: 43
; NumVgprs: 30
; ScratchSize: 0
; MemoryBound: 0
; FloatMode: 240
; IeeeMode: 1
; LDSByteSize: 0 bytes/workgroup (compile time only)
; SGPRBlocks: 5
; VGPRBlocks: 3
; NumSGPRsForWavesPerEU: 43
; NumVGPRsForWavesPerEU: 30
; Occupancy: 16
; WaveLimiterHint : 0
; COMPUTE_PGM_RSRC2:SCRATCH_EN: 0
; COMPUTE_PGM_RSRC2:USER_SGPR: 15
; COMPUTE_PGM_RSRC2:TRAP_HANDLER: 0
; COMPUTE_PGM_RSRC2:TGID_X_EN: 1
; COMPUTE_PGM_RSRC2:TGID_Y_EN: 0
; COMPUTE_PGM_RSRC2:TGID_Z_EN: 0
; COMPUTE_PGM_RSRC2:TIDIG_COMP_CNT: 0
	.section	.text._ZN2at6native12_GLOBAL__N_125multi_tensor_apply_kernelINS1_18TensorListMetadataILi1EEENS1_14UnaryOpFunctorIN3c108BFloat16ELi1ELi1ELi0EEEJNS0_6LgammaIfEEEEEvT_T0_DpT1_,"axG",@progbits,_ZN2at6native12_GLOBAL__N_125multi_tensor_apply_kernelINS1_18TensorListMetadataILi1EEENS1_14UnaryOpFunctorIN3c108BFloat16ELi1ELi1ELi0EEEJNS0_6LgammaIfEEEEEvT_T0_DpT1_,comdat
	.globl	_ZN2at6native12_GLOBAL__N_125multi_tensor_apply_kernelINS1_18TensorListMetadataILi1EEENS1_14UnaryOpFunctorIN3c108BFloat16ELi1ELi1ELi0EEEJNS0_6LgammaIfEEEEEvT_T0_DpT1_ ; -- Begin function _ZN2at6native12_GLOBAL__N_125multi_tensor_apply_kernelINS1_18TensorListMetadataILi1EEENS1_14UnaryOpFunctorIN3c108BFloat16ELi1ELi1ELi0EEEJNS0_6LgammaIfEEEEEvT_T0_DpT1_
	.p2align	8
	.type	_ZN2at6native12_GLOBAL__N_125multi_tensor_apply_kernelINS1_18TensorListMetadataILi1EEENS1_14UnaryOpFunctorIN3c108BFloat16ELi1ELi1ELi0EEEJNS0_6LgammaIfEEEEEvT_T0_DpT1_,@function
_ZN2at6native12_GLOBAL__N_125multi_tensor_apply_kernelINS1_18TensorListMetadataILi1EEENS1_14UnaryOpFunctorIN3c108BFloat16ELi1ELi1ELi0EEEJNS0_6LgammaIfEEEEEvT_T0_DpT1_: ; @_ZN2at6native12_GLOBAL__N_125multi_tensor_apply_kernelINS1_18TensorListMetadataILi1EEENS1_14UnaryOpFunctorIN3c108BFloat16ELi1ELi1ELi0EEEJNS0_6LgammaIfEEEEEvT_T0_DpT1_
; %bb.0:
	v_mov_b32_e32 v1, s15
	s_add_u32 s2, s0, s15
	s_mul_hi_u32 s3, s15, 3
	s_mul_i32 s15, s15, 3
	s_addc_u32 s4, s1, 0
	global_load_u8 v1, v1, s[0:1] offset:1760
	s_add_u32 s2, s2, s15
	s_addc_u32 s3, s4, s3
	s_mov_b32 s7, 0
	s_load_b32 s2, s[2:3], 0x820
	s_waitcnt vmcnt(0)
	v_readfirstlane_b32 s5, v1
	s_delay_alu instid0(VALU_DEP_1)
	s_lshl_b32 s3, s5, 3
	s_clause 0x1
	s_load_b64 s[14:15], s[0:1], s3 offset:0x0
	s_load_b64 s[4:5], s[0:1], s3 offset:0x370
	s_waitcnt lgkmcnt(0)
	s_ashr_i32 s3, s2, 31
	s_delay_alu instid0(SALU_CYCLE_1)
	s_lshl_b64 s[16:17], s[2:3], 17
	s_lshl_b64 s[2:3], s[2:3], 16
	s_and_b32 s6, s14, 7
	s_sub_u32 s12, s4, s2
	s_subb_u32 s13, s5, s3
	s_and_b32 s2, s4, 3
	s_mov_b32 s3, s7
	s_delay_alu instid0(SALU_CYCLE_1) | instskip(NEXT) | instid1(SALU_CYCLE_1)
	s_or_b64 s[2:3], s[6:7], s[2:3]
	s_cmp_eq_u64 s[2:3], 0
	s_cbranch_scc1 .LBB15_173
; %bb.1:
	v_cmp_lt_i64_e64 s2, s[12:13], 1
	s_delay_alu instid0(VALU_DEP_1)
	s_and_b32 vcc_lo, exec_lo, s2
	s_cbranch_vccnz .LBB15_172
; %bb.2:
	s_load_b32 s2, s[0:1], 0xd3c
	v_cmp_gt_u64_e64 s3, 0x10000, s[12:13]
	v_lshlrev_b32_e32 v1, 1, v0
	s_mov_b64 s[20:21], 0
	s_mov_b32 s24, 0xbad5c4e8
	s_mov_b32 s25, 0x3805ff67
	s_mov_b32 s26, 0x36f5d7bd
	s_mov_b32 s27, 0x3c5b3c5e
	s_mov_b32 s28, 0x3b52d5db
	s_mov_b32 s29, 0x39a57b6b
	s_mov_b32 s30, 0xb9a3f927
	s_mov_b32 s31, 0x39afe9f7
	s_mov_b32 s33, 0x37d383a2
	s_mov_b32 s34, 0x383c2c75
	s_mov_b32 s35, 0x3e8a8991
	s_mov_b32 s36, 0x3e75aa41
	s_mov_b32 s37, 0x3d4be544
	s_waitcnt lgkmcnt(0)
	s_and_b32 s2, s2, 0xffff
	s_and_b32 s3, s3, exec_lo
	v_add_co_u32 v5, s5, v0, s2
	s_cselect_b32 s19, s13, 0
	s_cselect_b32 s18, s12, 0x10000
	s_lshl_b32 s3, s2, 1
	s_mul_i32 s4, s2, 3
	s_lshl_b32 s11, s2, 2
	v_add_co_ci_u32_e64 v6, null, 0, 0, s5
	s_add_u32 s5, s14, s16
	s_mul_i32 s22, s2, 6
	s_addc_u32 s6, s15, s17
	s_lshl_b32 s23, s2, 3
	v_add_co_u32 v7, s2, s4, v0
	v_lshlrev_b32_e32 v3, 1, v5
	v_add_co_ci_u32_e64 v8, null, 0, 0, s2
	v_add_co_u32 v9, s2, s3, v0
	s_delay_alu instid0(VALU_DEP_1) | instskip(SKIP_1) | instid1(VALU_DEP_1)
	v_add_co_ci_u32_e64 v10, null, 0, 0, s2
	v_add_co_u32 v1, s2, s5, v1
	v_add_co_ci_u32_e64 v2, null, s6, 0, s2
	v_add_co_u32 v3, s2, s5, v3
	s_delay_alu instid0(VALU_DEP_1)
	v_add_co_ci_u32_e64 v4, null, s6, 0, s2
	s_branch .LBB15_4
.LBB15_3:                               ;   in Loop: Header=BB15_4 Depth=1
	s_or_b32 exec_lo, exec_lo, s2
	s_add_u32 s20, s20, s11
	s_addc_u32 s21, s21, 0
	v_add_co_u32 v1, vcc_lo, v1, s23
	v_cmp_ge_i64_e64 s2, s[20:21], s[12:13]
	v_cmp_lt_u64_e64 s3, 0xffff, s[20:21]
	v_add_co_ci_u32_e32 v2, vcc_lo, 0, v2, vcc_lo
	v_add_co_u32 v3, vcc_lo, v3, s23
	v_add_co_ci_u32_e32 v4, vcc_lo, 0, v4, vcc_lo
	s_delay_alu instid0(VALU_DEP_4) | instskip(NEXT) | instid1(SALU_CYCLE_1)
	s_or_b32 s2, s2, s3
	s_and_b32 vcc_lo, exec_lo, s2
	s_cbranch_vccnz .LBB15_172
.LBB15_4:                               ; =>This Inner Loop Header: Depth=1
	v_add_co_u32 v11, s2, v0, s20
	s_delay_alu instid0(VALU_DEP_1) | instskip(NEXT) | instid1(VALU_DEP_1)
	v_add_co_ci_u32_e64 v12, null, 0, s21, s2
	v_cmp_gt_u64_e64 s4, s[18:19], v[11:12]
	v_mov_b32_e32 v11, 0
	s_delay_alu instid0(VALU_DEP_2)
	s_and_saveexec_b32 s2, s4
	s_cbranch_execz .LBB15_6
; %bb.5:                                ;   in Loop: Header=BB15_4 Depth=1
	global_load_u16 v11, v[1:2], off
.LBB15_6:                               ;   in Loop: Header=BB15_4 Depth=1
	s_or_b32 exec_lo, exec_lo, s2
	v_add_co_u32 v12, vcc_lo, v5, s20
	v_add_co_ci_u32_e32 v13, vcc_lo, s21, v6, vcc_lo
	s_delay_alu instid0(VALU_DEP_1) | instskip(SKIP_1) | instid1(VALU_DEP_2)
	v_cmp_gt_u64_e64 s3, s[18:19], v[12:13]
	v_mov_b32_e32 v13, 0
	s_and_saveexec_b32 s2, s3
	s_cbranch_execz .LBB15_8
; %bb.7:                                ;   in Loop: Header=BB15_4 Depth=1
	global_load_u16 v13, v[3:4], off
.LBB15_8:                               ;   in Loop: Header=BB15_4 Depth=1
	s_or_b32 exec_lo, exec_lo, s2
	v_add_co_u32 v14, vcc_lo, v9, s20
	v_add_co_ci_u32_e32 v15, vcc_lo, s21, v10, vcc_lo
	v_mov_b32_e32 v16, 0
	s_delay_alu instid0(VALU_DEP_2) | instskip(SKIP_1) | instid1(VALU_DEP_2)
	v_cmp_gt_u64_e64 s2, s[18:19], v[14:15]
	v_mov_b32_e32 v14, 0
	s_and_saveexec_b32 s5, s2
	s_cbranch_execz .LBB15_10
; %bb.9:                                ;   in Loop: Header=BB15_4 Depth=1
	v_add_co_u32 v15, vcc_lo, v1, s11
	v_add_co_ci_u32_e32 v16, vcc_lo, 0, v2, vcc_lo
	global_load_u16 v16, v[15:16], off
.LBB15_10:                              ;   in Loop: Header=BB15_4 Depth=1
	s_or_b32 exec_lo, exec_lo, s5
	v_add_co_u32 v17, vcc_lo, v7, s20
	v_add_co_ci_u32_e32 v18, vcc_lo, s21, v8, vcc_lo
	s_delay_alu instid0(VALU_DEP_1)
	v_cmp_gt_u64_e32 vcc_lo, s[18:19], v[17:18]
	s_and_saveexec_b32 s6, vcc_lo
	s_cbranch_execz .LBB15_12
; %bb.11:                               ;   in Loop: Header=BB15_4 Depth=1
	v_add_co_u32 v14, s5, v1, s22
	s_delay_alu instid0(VALU_DEP_1)
	v_add_co_ci_u32_e64 v15, s5, 0, v2, s5
	global_load_u16 v14, v[14:15], off
.LBB15_12:                              ;   in Loop: Header=BB15_4 Depth=1
	s_or_b32 exec_lo, exec_lo, s6
	s_waitcnt vmcnt(0)
	v_lshlrev_b32_e32 v11, 16, v11
                                        ; implicit-def: $vgpr12
	s_mov_b32 s6, exec_lo
	s_delay_alu instid0(VALU_DEP_1)
	v_and_b32_e32 v15, 0x7fffffff, v11
	v_cmpx_ngt_f32_e64 0x3c800000, |v11|
	s_xor_b32 s7, exec_lo, s6
	s_cbranch_execz .LBB15_42
; %bb.13:                               ;   in Loop: Header=BB15_4 Depth=1
                                        ; implicit-def: $vgpr12
	s_mov_b32 s6, exec_lo
	v_cmpx_nlt_f32_e64 |v11|, 2.0
	s_xor_b32 s8, exec_lo, s6
	s_cbranch_execz .LBB15_23
; %bb.14:                               ;   in Loop: Header=BB15_4 Depth=1
	s_mov_b32 s6, exec_lo
                                        ; implicit-def: $vgpr12
	v_cmpx_ngt_f32_e64 0x41000000, |v11|
	s_xor_b32 s6, exec_lo, s6
	s_cbranch_execz .LBB15_20
; %bb.15:                               ;   in Loop: Header=BB15_4 Depth=1
	s_mov_b32 s9, exec_lo
                                        ; implicit-def: $vgpr12
	v_cmpx_ngt_f32_e64 0x5c800000, |v11|
	s_xor_b32 s9, exec_lo, s9
	s_cbranch_execz .LBB15_17
; %bb.16:                               ;   in Loop: Header=BB15_4 Depth=1
	v_cmp_gt_f32_e64 s10, 0x800000, |v11|
	s_delay_alu instid0(VALU_DEP_1) | instskip(NEXT) | instid1(VALU_DEP_1)
	v_cndmask_b32_e64 v12, 1.0, 0x4f800000, s10
	v_mul_f32_e64 v12, |v11|, v12
	s_delay_alu instid0(VALU_DEP_1) | instskip(SKIP_3) | instid1(VALU_DEP_2)
	v_log_f32_e32 v12, v12
	s_waitcnt_depctr 0xfff
	v_mul_f32_e32 v17, 0x3f317217, v12
	v_cmp_gt_f32_e64 s5, 0x7f800000, |v12|
	v_fma_f32 v18, 0x3f317217, v12, -v17
	s_delay_alu instid0(VALU_DEP_1) | instskip(NEXT) | instid1(VALU_DEP_1)
	v_fmac_f32_e32 v18, 0x3377d1cf, v12
	v_add_f32_e32 v17, v17, v18
	s_delay_alu instid0(VALU_DEP_1) | instskip(SKIP_1) | instid1(VALU_DEP_1)
	v_cndmask_b32_e64 v12, v12, v17, s5
	v_cndmask_b32_e64 v17, 0, 0x41b17218, s10
	v_sub_f32_e32 v12, v12, v17
	s_delay_alu instid0(VALU_DEP_1)
	v_fma_f32 v12, |v11|, v12, -|v11|
.LBB15_17:                              ;   in Loop: Header=BB15_4 Depth=1
	s_and_not1_saveexec_b32 s9, s9
	s_cbranch_execz .LBB15_19
; %bb.18:                               ;   in Loop: Header=BB15_4 Depth=1
	v_cmp_gt_f32_e64 s10, 0x800000, |v11|
	v_rcp_f32_e64 v17, |v11|
	s_delay_alu instid0(VALU_DEP_1) | instskip(NEXT) | instid1(VALU_DEP_1)
	v_cndmask_b32_e64 v12, 1.0, 0x4f800000, s10
	v_mul_f32_e64 v12, |v11|, v12
	s_delay_alu instid0(VALU_DEP_1) | instskip(SKIP_3) | instid1(VALU_DEP_2)
	v_log_f32_e32 v12, v12
	s_waitcnt_depctr 0xfff
	v_dual_mul_f32 v18, v17, v17 :: v_dual_mul_f32 v19, 0x3f317217, v12
	v_cmp_gt_f32_e64 s5, 0x7f800000, |v12|
	v_fma_f32 v21, 0x3f317217, v12, -v19
	s_delay_alu instid0(VALU_DEP_1) | instskip(NEXT) | instid1(VALU_DEP_1)
	v_fmac_f32_e32 v21, 0x3377d1cf, v12
	v_dual_fmaak_f32 v20, s24, v18, 0x3a5b3dd2 :: v_dual_add_f32 v19, v19, v21
	s_delay_alu instid0(VALU_DEP_1) | instskip(SKIP_1) | instid1(VALU_DEP_1)
	v_cndmask_b32_e64 v12, v12, v19, s5
	v_cndmask_b32_e64 v19, 0, 0x41b17218, s10
	v_dual_fmaak_f32 v20, v18, v20, 0xba1c065c :: v_dual_sub_f32 v19, v12, v19
	s_delay_alu instid0(VALU_DEP_1) | instskip(NEXT) | instid1(VALU_DEP_1)
	v_fmaak_f32 v20, v18, v20, 0x3a500cfd
	v_fmaak_f32 v20, v18, v20, 0xbb360b61
	s_delay_alu instid0(VALU_DEP_1) | instskip(NEXT) | instid1(VALU_DEP_1)
	v_fmaak_f32 v18, v18, v20, 0x3daaaaab
	v_fmaak_f32 v12, v17, v18, 0x3ed67f1d
	v_add_f32_e64 v17, |v11|, -0.5
	v_add_f32_e32 v18, -1.0, v19
	s_delay_alu instid0(VALU_DEP_1)
	v_fmac_f32_e32 v12, v17, v18
.LBB15_19:                              ;   in Loop: Header=BB15_4 Depth=1
	s_or_b32 exec_lo, exec_lo, s9
.LBB15_20:                              ;   in Loop: Header=BB15_4 Depth=1
	s_and_not1_saveexec_b32 s9, s6
	s_cbranch_execz .LBB15_22
; %bb.21:                               ;   in Loop: Header=BB15_4 Depth=1
	v_cvt_i32_f32_e32 v12, v15
	s_delay_alu instid0(VALU_DEP_1) | instskip(SKIP_1) | instid1(VALU_DEP_2)
	v_cvt_f32_i32_e32 v17, v12
	v_cmp_lt_i32_e64 s5, 2, v12
	v_sub_f32_e64 v17, |v11|, v17
	s_delay_alu instid0(VALU_DEP_1) | instskip(SKIP_2) | instid1(VALU_DEP_3)
	v_add_f32_e32 v18, 2.0, v17
	v_add_f32_e32 v19, 0x40400000, v17
	v_add_f32_e32 v20, 4.0, v17
	v_cndmask_b32_e64 v18, 1.0, v18, s5
	v_cmp_lt_i32_e64 s5, 3, v12
	s_delay_alu instid0(VALU_DEP_1) | instskip(SKIP_1) | instid1(VALU_DEP_2)
	v_cndmask_b32_e64 v19, 1.0, v19, s5
	v_cmp_lt_i32_e64 s5, 4, v12
	v_dual_add_f32 v21, 0x40a00000, v17 :: v_dual_mul_f32 v18, v18, v19
	s_delay_alu instid0(VALU_DEP_2) | instskip(SKIP_1) | instid1(VALU_DEP_2)
	v_cndmask_b32_e64 v20, 1.0, v20, s5
	v_cmp_lt_i32_e64 s5, 5, v12
	v_mul_f32_e32 v18, v20, v18
	s_delay_alu instid0(VALU_DEP_2) | instskip(SKIP_3) | instid1(VALU_DEP_4)
	v_cndmask_b32_e64 v21, 1.0, v21, s5
	v_add_f32_e32 v19, 0x40c00000, v17
	v_cmp_lt_i32_e64 s5, 6, v12
	v_fmaak_f32 v20, s25, v17, 0x3af135b4
	v_mul_f32_e32 v18, v21, v18
	s_delay_alu instid0(VALU_DEP_3) | instskip(NEXT) | instid1(VALU_DEP_1)
	v_cndmask_b32_e64 v12, 1.0, v19, s5
	v_mul_f32_e32 v12, v12, v18
	s_delay_alu instid0(VALU_DEP_1) | instskip(NEXT) | instid1(VALU_DEP_1)
	v_cmp_gt_f32_e64 s5, 0x800000, v12
	v_cndmask_b32_e64 v19, 1.0, 0x4f800000, s5
	s_delay_alu instid0(VALU_DEP_1) | instskip(NEXT) | instid1(VALU_DEP_1)
	v_dual_mul_f32 v12, v12, v19 :: v_dual_fmaak_f32 v19, v17, v20, 0x3cda40e4
	v_log_f32_e32 v12, v12
	s_delay_alu instid0(VALU_DEP_1) | instskip(NEXT) | instid1(VALU_DEP_1)
	v_fmaak_f32 v19, v17, v19, 0x3e15dce6
	v_fmaak_f32 v19, v17, v19, 0x3ea6cc7a
	s_waitcnt_depctr 0xfff
	v_mul_f32_e32 v20, 0x3f317217, v12
	v_cmp_gt_f32_e64 s6, 0x7f800000, |v12|
	s_delay_alu instid0(VALU_DEP_2) | instskip(NEXT) | instid1(VALU_DEP_1)
	v_fma_f32 v21, 0x3f317217, v12, -v20
	v_fmac_f32_e32 v21, 0x3377d1cf, v12
	s_delay_alu instid0(VALU_DEP_1) | instskip(NEXT) | instid1(VALU_DEP_1)
	v_dual_fmaak_f32 v19, v17, v19, 0x3e5c245a :: v_dual_add_f32 v20, v20, v21
	v_fmaak_f32 v19, v17, v19, 0xbd9e233f
	v_fmaak_f32 v18, s26, v17, 0x3a4beed6
	s_delay_alu instid0(VALU_DEP_3) | instskip(NEXT) | instid1(VALU_DEP_3)
	v_cndmask_b32_e64 v12, v12, v20, s6
	v_mul_f32_e32 v19, v17, v19
	s_delay_alu instid0(VALU_DEP_3) | instskip(NEXT) | instid1(VALU_DEP_1)
	v_fmaak_f32 v18, v17, v18, 0x3c98bf54
	v_fmaak_f32 v18, v17, v18, 0x3e300f6e
	s_delay_alu instid0(VALU_DEP_1) | instskip(NEXT) | instid1(VALU_DEP_1)
	v_fmaak_f32 v18, v17, v18, 0x3f38d0c5
	v_fmaak_f32 v18, v17, v18, 0x3fb22d3b
	s_delay_alu instid0(VALU_DEP_1) | instskip(NEXT) | instid1(VALU_DEP_1)
	v_fma_f32 v18, v17, v18, 1.0
	v_rcp_f32_e32 v18, v18
	s_waitcnt_depctr 0xfff
	v_mul_f32_e32 v18, v19, v18
	v_cndmask_b32_e64 v19, 0, 0x41b17218, s5
	s_delay_alu instid0(VALU_DEP_2) | instskip(NEXT) | instid1(VALU_DEP_2)
	v_fmac_f32_e32 v18, 0.5, v17
	v_sub_f32_e32 v12, v12, v19
	s_delay_alu instid0(VALU_DEP_1)
	v_add_f32_e32 v12, v12, v18
.LBB15_22:                              ;   in Loop: Header=BB15_4 Depth=1
	s_or_b32 exec_lo, exec_lo, s9
.LBB15_23:                              ;   in Loop: Header=BB15_4 Depth=1
	s_and_not1_saveexec_b32 s8, s8
	s_cbranch_execz .LBB15_41
; %bb.24:                               ;   in Loop: Header=BB15_4 Depth=1
                                        ; implicit-def: $vgpr12
                                        ; implicit-def: $vgpr18
                                        ; implicit-def: $vgpr17
	s_mov_b32 s6, exec_lo
	v_cmpx_ge_f32_e64 0x3f666666, |v11|
	s_xor_b32 s9, exec_lo, s6
	s_cbranch_execz .LBB15_26
; %bb.25:                               ;   in Loop: Header=BB15_4 Depth=1
	v_cmp_gt_f32_e64 s6, 0x800000, |v11|
	v_sub_f32_e64 v19, 1.0, |v11|
	v_cmp_gt_f32_e64 s5, 0x3f3b4a23, |v11|
	s_delay_alu instid0(VALU_DEP_3) | instskip(SKIP_1) | instid1(VALU_DEP_2)
	v_cndmask_b32_e64 v12, 1.0, 0x4f800000, s6
	v_cndmask_b32_e64 v20, 0, 0x41b17218, s6
	v_mul_f32_e64 v12, |v11|, v12
	s_delay_alu instid0(VALU_DEP_1) | instskip(SKIP_3) | instid1(VALU_DEP_2)
	v_log_f32_e32 v12, v12
	s_waitcnt_depctr 0xfff
	v_mul_f32_e32 v17, 0x3f317217, v12
	v_cmp_gt_f32_e64 s6, 0x7f800000, |v12|
	v_fma_f32 v18, 0x3f317217, v12, -v17
	s_delay_alu instid0(VALU_DEP_1) | instskip(NEXT) | instid1(VALU_DEP_1)
	v_fmac_f32_e32 v18, 0x3377d1cf, v12
	v_add_f32_e32 v17, v17, v18
	v_add_f32_e64 v18, 0xbeec5b0c, |v11|
	s_delay_alu instid0(VALU_DEP_2) | instskip(NEXT) | instid1(VALU_DEP_2)
	v_cndmask_b32_e64 v12, v12, v17, s6
	v_cndmask_b32_e64 v17, v19, v18, s5
	;; [unrolled: 1-line block ×3, first 2 shown]
	v_cmp_gt_f32_e64 s5, 0x3e6d3309, |v11|
	s_delay_alu instid0(VALU_DEP_4) | instskip(NEXT) | instid1(VALU_DEP_2)
	v_sub_f32_e32 v12, v12, v20
	v_cndmask_b32_e64 v17, v17, |v11|, s5
	s_delay_alu instid0(VALU_DEP_4) | instskip(NEXT) | instid1(VALU_DEP_3)
	v_cndmask_b32_e64 v18, v18, 2, s5
	v_xor_b32_e32 v12, 0x80000000, v12
.LBB15_26:                              ;   in Loop: Header=BB15_4 Depth=1
	s_and_not1_saveexec_b32 s6, s9
; %bb.27:                               ;   in Loop: Header=BB15_4 Depth=1
	v_sub_f32_e64 v12, 2.0, |v11|
	v_add_f32_e64 v17, 0xbfbb16c3, |v11|
	v_cmp_gt_f32_e64 s5, 0x3fdda512, |v11|
	v_add_f32_e64 v18, |v11|, -1.0
	s_delay_alu instid0(VALU_DEP_2) | instskip(SKIP_2) | instid1(VALU_DEP_2)
	v_cndmask_b32_e64 v17, v12, v17, s5
	v_cndmask_b32_e64 v12, v12, 1.0, s5
	v_cmp_gt_f32_e64 s5, 0x3f9d70a4, |v11|
	v_cvt_i32_f32_e32 v12, v12
	s_delay_alu instid0(VALU_DEP_2) | instskip(NEXT) | instid1(VALU_DEP_2)
	v_cndmask_b32_e64 v17, v17, v18, s5
	v_cndmask_b32_e64 v18, v12, 2, s5
	v_mov_b32_e32 v12, 0
; %bb.28:                               ;   in Loop: Header=BB15_4 Depth=1
	s_or_b32 exec_lo, exec_lo, s6
	s_delay_alu instid0(SALU_CYCLE_1) | instskip(NEXT) | instid1(VALU_DEP_2)
	s_mov_b32 s6, exec_lo
	v_cmpx_lt_i32_e32 0, v18
	s_xor_b32 s6, exec_lo, s6
	s_cbranch_execz .LBB15_36
; %bb.29:                               ;   in Loop: Header=BB15_4 Depth=1
	s_mov_b32 s9, exec_lo
	v_cmpx_lt_i32_e32 1, v18
	s_xor_b32 s9, exec_lo, s9
	s_cbranch_execz .LBB15_33
; %bb.30:                               ;   in Loop: Header=BB15_4 Depth=1
	s_mov_b32 s10, exec_lo
	v_cmpx_eq_u32_e32 2, v18
	s_cbranch_execz .LBB15_32
; %bb.31:                               ;   in Loop: Header=BB15_4 Depth=1
	v_fmaak_f32 v19, s27, v17, 0x3e6a7578
	s_delay_alu instid0(VALU_DEP_1) | instskip(NEXT) | instid1(VALU_DEP_1)
	v_fmaak_f32 v19, v17, v19, 0x3f7a4bb2
	v_fmaak_f32 v19, v17, v19, 0x3fba3ae7
	s_delay_alu instid0(VALU_DEP_1) | instskip(NEXT) | instid1(VALU_DEP_1)
	v_fmaak_f32 v19, v17, v19, 0x3f2200f4
	v_fmaak_f32 v19, v17, v19, 0xbd9e233f
	s_delay_alu instid0(VALU_DEP_1) | instskip(NEXT) | instid1(VALU_DEP_1)
	v_dual_fmaak_f32 v18, s28, v17, 0x3dd572af :: v_dual_mul_f32 v19, v17, v19
	v_fmaak_f32 v18, v17, v18, 0x3f44efdf
	s_delay_alu instid0(VALU_DEP_1) | instskip(NEXT) | instid1(VALU_DEP_1)
	v_fmaak_f32 v18, v17, v18, 0x4008392d
	v_fmaak_f32 v18, v17, v18, 0x401d2ebe
	s_delay_alu instid0(VALU_DEP_1) | instskip(NEXT) | instid1(VALU_DEP_1)
	v_fma_f32 v18, v17, v18, 1.0
	v_rcp_f32_e32 v18, v18
	s_waitcnt_depctr 0xfff
	v_mul_f32_e32 v18, v19, v18
	s_delay_alu instid0(VALU_DEP_1) | instskip(NEXT) | instid1(VALU_DEP_1)
	v_fmac_f32_e32 v18, -0.5, v17
	v_add_f32_e32 v12, v12, v18
.LBB15_32:                              ;   in Loop: Header=BB15_4 Depth=1
	s_or_b32 exec_lo, exec_lo, s10
                                        ; implicit-def: $vgpr17
.LBB15_33:                              ;   in Loop: Header=BB15_4 Depth=1
	s_and_not1_saveexec_b32 s5, s9
	s_cbranch_execz .LBB15_35
; %bb.34:                               ;   in Loop: Header=BB15_4 Depth=1
	v_mul_f32_e32 v18, v17, v17
	s_delay_alu instid0(VALU_DEP_1) | instskip(NEXT) | instid1(VALU_DEP_1)
	v_mul_f32_e32 v19, v17, v18
	v_fmaak_f32 v20, s30, v19, 0x3a66f867
	v_fmaak_f32 v21, s31, v19, 0xba0d3085
	;; [unrolled: 1-line block ×3, first 2 shown]
	s_delay_alu instid0(VALU_DEP_3) | instskip(NEXT) | instid1(VALU_DEP_3)
	v_fmaak_f32 v20, v19, v20, 0xbb7177fe
	v_fmaak_f32 v21, v19, v21, 0x3b141699
	s_delay_alu instid0(VALU_DEP_3) | instskip(NEXT) | instid1(VALU_DEP_3)
	v_fmaak_f32 v22, v19, v22, 0x3bc7e707
	v_fmaak_f32 v20, v19, v20, 0x3c93373d
	;; [unrolled: 3-line block ×4, first 2 shown]
	s_delay_alu instid0(VALU_DEP_1) | instskip(NEXT) | instid1(VALU_DEP_1)
	v_dual_fmac_f32 v20, v17, v21 :: v_dual_fmaak_f32 v17, v19, v22, 0x3ef7b95e
	v_fma_f32 v19, v19, -v20, 0xa2863e55
	s_delay_alu instid0(VALU_DEP_1) | instskip(NEXT) | instid1(VALU_DEP_1)
	v_fma_f32 v17, v18, v17, -v19
	v_add_f32_e32 v17, 0xbdf8cdce, v17
	s_delay_alu instid0(VALU_DEP_1)
	v_add_f32_e32 v12, v12, v17
.LBB15_35:                              ;   in Loop: Header=BB15_4 Depth=1
	s_or_b32 exec_lo, exec_lo, s5
                                        ; implicit-def: $vgpr18
                                        ; implicit-def: $vgpr17
.LBB15_36:                              ;   in Loop: Header=BB15_4 Depth=1
	s_and_not1_saveexec_b32 s6, s6
	s_cbranch_execz .LBB15_40
; %bb.37:                               ;   in Loop: Header=BB15_4 Depth=1
	s_mov_b32 s9, exec_lo
	v_cmpx_eq_u32_e32 0, v18
	s_cbranch_execz .LBB15_39
; %bb.38:                               ;   in Loop: Header=BB15_4 Depth=1
	v_mul_f32_e32 v18, v17, v17
	s_delay_alu instid0(VALU_DEP_1) | instskip(NEXT) | instid1(VALU_DEP_1)
	v_fmaak_f32 v20, s33, v18, 0x39679767
	v_fmaak_f32 v20, v18, v20, 0x3a9c54a1
	s_delay_alu instid0(VALU_DEP_1) | instskip(NEXT) | instid1(VALU_DEP_1)
	v_fmaak_f32 v20, v18, v20, 0x3bf2027e
	v_fmaak_f32 v20, v18, v20, 0x3d89f001
	s_delay_alu instid0(VALU_DEP_1) | instskip(SKIP_1) | instid1(VALU_DEP_1)
	v_fmaak_f32 v20, v18, v20, 0x3d9e233f
	v_fmaak_f32 v19, s34, v18, 0x38e28445
	v_fmaak_f32 v19, v18, v19, 0x3a05b634
	s_delay_alu instid0(VALU_DEP_1) | instskip(NEXT) | instid1(VALU_DEP_1)
	v_fmaak_f32 v19, v18, v19, 0x3b3d6ec6
	v_fmaak_f32 v19, v18, v19, 0x3ca89915
	s_delay_alu instid0(VALU_DEP_1) | instskip(NEXT) | instid1(VALU_DEP_1)
	v_fmaak_f32 v19, v18, v19, 0x3ea51a66
	v_mul_f32_e32 v18, v18, v19
	s_delay_alu instid0(VALU_DEP_1) | instskip(NEXT) | instid1(VALU_DEP_1)
	v_fmac_f32_e32 v18, v17, v20
	v_fmac_f32_e32 v18, -0.5, v17
	s_delay_alu instid0(VALU_DEP_1)
	v_add_f32_e32 v12, v12, v18
.LBB15_39:                              ;   in Loop: Header=BB15_4 Depth=1
	s_or_b32 exec_lo, exec_lo, s9
.LBB15_40:                              ;   in Loop: Header=BB15_4 Depth=1
	s_delay_alu instid0(SALU_CYCLE_1)
	s_or_b32 exec_lo, exec_lo, s6
.LBB15_41:                              ;   in Loop: Header=BB15_4 Depth=1
	s_delay_alu instid0(SALU_CYCLE_1)
	s_or_b32 exec_lo, exec_lo, s8
.LBB15_42:                              ;   in Loop: Header=BB15_4 Depth=1
	s_and_not1_saveexec_b32 s6, s7
	s_cbranch_execz .LBB15_44
; %bb.43:                               ;   in Loop: Header=BB15_4 Depth=1
	v_cmp_gt_f32_e64 s7, 0x800000, |v11|
	v_fma_f32 v19, |v11|, s35, 0xbecd26ab
	s_delay_alu instid0(VALU_DEP_2) | instskip(NEXT) | instid1(VALU_DEP_1)
	v_cndmask_b32_e64 v12, 1.0, 0x4f800000, s7
	v_mul_f32_e64 v12, |v11|, v12
	s_delay_alu instid0(VALU_DEP_1) | instskip(SKIP_3) | instid1(VALU_DEP_2)
	v_log_f32_e32 v12, v12
	s_waitcnt_depctr 0xfff
	v_mul_f32_e32 v17, 0x3f317217, v12
	v_cmp_gt_f32_e64 s5, 0x7f800000, |v12|
	v_fma_f32 v18, 0x3f317217, v12, -v17
	s_delay_alu instid0(VALU_DEP_1) | instskip(NEXT) | instid1(VALU_DEP_1)
	v_fmac_f32_e32 v18, 0x3377d1cf, v12
	v_add_f32_e32 v17, v17, v18
	v_fma_f32 v18, |v11|, v19, 0x3f528d33
	s_delay_alu instid0(VALU_DEP_2) | instskip(SKIP_1) | instid1(VALU_DEP_3)
	v_cndmask_b32_e64 v12, v12, v17, s5
	v_cndmask_b32_e64 v17, 0, 0x41b17218, s7
	v_fma_f32 v18, |v11|, v18, 0xbf13c468
	s_delay_alu instid0(VALU_DEP_2) | instskip(NEXT) | instid1(VALU_DEP_1)
	v_sub_f32_e32 v12, v12, v17
	v_fma_f32 v12, |v11|, v18, -v12
.LBB15_44:                              ;   in Loop: Header=BB15_4 Depth=1
	s_or_b32 exec_lo, exec_lo, s6
	v_cmp_le_f32_e64 s5, 0, v11
	s_mov_b32 s7, exec_lo
	v_cmpx_nle_f32_e32 0, v11
	s_xor_b32 s8, exec_lo, s7
	s_cbranch_execz .LBB15_48
; %bb.45:                               ;   in Loop: Header=BB15_4 Depth=1
	v_cmp_gt_f32_e64 s6, 0x4b000000, |v11|
	v_cmp_lt_f32_e64 s7, 0x35000000, |v11|
	s_delay_alu instid0(VALU_DEP_1) | instskip(NEXT) | instid1(SALU_CYCLE_1)
	s_and_b32 s6, s6, s7
	s_and_saveexec_b32 s9, s6
	s_cbranch_execz .LBB15_47
; %bb.46:                               ;   in Loop: Header=BB15_4 Depth=1
	v_mul_f32_e64 v17, |v11|, 0.5
	s_delay_alu instid0(VALU_DEP_1) | instskip(SKIP_1) | instid1(VALU_DEP_2)
	v_floor_f32_e32 v18, v17
	v_cmp_neq_f32_e64 s6, 0x7f800000, v17
	v_sub_f32_e32 v18, v17, v18
	s_delay_alu instid0(VALU_DEP_1) | instskip(NEXT) | instid1(VALU_DEP_1)
	v_min_f32_e32 v18, 0x3f7fffff, v18
	v_add_f32_e32 v18, v18, v18
	s_delay_alu instid0(VALU_DEP_1) | instskip(SKIP_1) | instid1(VALU_DEP_1)
	v_cndmask_b32_e64 v17, 0, v18, s6
	v_cmp_gt_f32_e64 s6, |v11|, 1.0
	v_cndmask_b32_e64 v17, |v11|, v17, s6
	s_delay_alu instid0(VALU_DEP_1) | instskip(NEXT) | instid1(VALU_DEP_1)
	v_add_f32_e32 v18, v17, v17
	v_rndne_f32_e32 v18, v18
	s_delay_alu instid0(VALU_DEP_1) | instskip(SKIP_1) | instid1(VALU_DEP_2)
	v_fmac_f32_e32 v17, -0.5, v18
	v_cvt_i32_f32_e32 v18, v18
	v_mul_f32_e32 v19, v17, v17
	s_delay_alu instid0(VALU_DEP_1) | instskip(SKIP_1) | instid1(VALU_DEP_2)
	v_fmaak_f32 v20, s36, v19, 0xbf1f24be
	v_fmaak_f32 v21, s37, v19, 0x3e642e9d
	;; [unrolled: 1-line block ×3, first 2 shown]
	s_delay_alu instid0(VALU_DEP_2) | instskip(NEXT) | instid1(VALU_DEP_2)
	v_dual_fmaak_f32 v21, v19, v21, 0xbfaad1da :: v_dual_mul_f32 v22, v17, v19
	v_fmaak_f32 v20, v19, v20, 0xc0a55e0e
	s_delay_alu instid0(VALU_DEP_1) | instskip(NEXT) | instid1(VALU_DEP_1)
	v_dual_fmaak_f32 v21, v19, v21, 0x4081e0d3 :: v_dual_mul_f32 v20, v22, v20
	v_dual_fmaak_f32 v21, v19, v21, 0xc09de9e6 :: v_dual_and_b32 v22, 1, v18
	v_lshlrev_b32_e32 v18, 30, v18
	s_delay_alu instid0(VALU_DEP_3) | instskip(NEXT) | instid1(VALU_DEP_3)
	v_fmac_f32_e32 v20, 0x40490fdb, v17
	v_fma_f32 v17, v19, v21, 1.0
	s_delay_alu instid0(VALU_DEP_4) | instskip(NEXT) | instid1(VALU_DEP_4)
	v_cmp_eq_u32_e64 s6, 0, v22
	v_and_or_b32 v15, 0x80000000, v18, v15
	s_delay_alu instid0(VALU_DEP_2) | instskip(NEXT) | instid1(VALU_DEP_1)
	v_cndmask_b32_e64 v17, v17, v20, s6
	v_xor3_b32 v15, v15, v17, v11
	s_delay_alu instid0(VALU_DEP_1) | instskip(NEXT) | instid1(VALU_DEP_1)
	v_mul_f32_e32 v15, v11, v15
	v_frexp_mant_f32_e64 v17, |v15|
	v_frexp_exp_i32_f32_e32 v15, v15
	s_delay_alu instid0(VALU_DEP_2) | instskip(NEXT) | instid1(VALU_DEP_1)
	v_rcp_f32_e32 v17, v17
	v_sub_nc_u32_e32 v15, 2, v15
	s_waitcnt_depctr 0xfff
	v_mul_f32_e32 v17, 0x3f490fdb, v17
	s_delay_alu instid0(VALU_DEP_1) | instskip(NEXT) | instid1(VALU_DEP_1)
	v_ldexp_f32 v15, v17, v15
	v_cmp_gt_f32_e64 s6, 0x800000, v15
	s_delay_alu instid0(VALU_DEP_1) | instskip(NEXT) | instid1(VALU_DEP_1)
	v_cndmask_b32_e64 v17, 1.0, 0x4f800000, s6
	v_mul_f32_e32 v15, v15, v17
	s_delay_alu instid0(VALU_DEP_1) | instskip(SKIP_3) | instid1(VALU_DEP_2)
	v_log_f32_e32 v15, v15
	s_waitcnt_depctr 0xfff
	v_mul_f32_e32 v17, 0x3f317217, v15
	v_cmp_gt_f32_e64 s7, 0x7f800000, |v15|
	v_fma_f32 v18, 0x3f317217, v15, -v17
	s_delay_alu instid0(VALU_DEP_1) | instskip(NEXT) | instid1(VALU_DEP_1)
	v_fmac_f32_e32 v18, 0x3377d1cf, v15
	v_add_f32_e32 v17, v17, v18
	v_floor_f32_e32 v18, v11
	s_delay_alu instid0(VALU_DEP_2) | instskip(SKIP_1) | instid1(VALU_DEP_3)
	v_cndmask_b32_e64 v15, v15, v17, s7
	v_cndmask_b32_e64 v17, 0, 0x41b17218, s6
	v_sub_f32_e32 v18, v11, v18
	s_delay_alu instid0(VALU_DEP_2) | instskip(NEXT) | instid1(VALU_DEP_1)
	v_sub_f32_e32 v15, v15, v17
	v_dual_min_f32 v17, 0x3f7fffff, v18 :: v_dual_sub_f32 v12, v15, v12
	s_delay_alu instid0(VALU_DEP_1) | instskip(NEXT) | instid1(VALU_DEP_1)
	v_cmp_neq_f32_e64 s6, 0, v17
	v_cndmask_b32_e64 v12, 0x7f800000, v12, s6
.LBB15_47:                              ;   in Loop: Header=BB15_4 Depth=1
	s_or_b32 exec_lo, exec_lo, s9
.LBB15_48:                              ;   in Loop: Header=BB15_4 Depth=1
	s_and_not1_saveexec_b32 s8, s8
; %bb.49:                               ;   in Loop: Header=BB15_4 Depth=1
	v_cmp_eq_f32_e64 s6, 1.0, v11
	v_cmp_eq_f32_e64 s7, 2.0, v11
	s_delay_alu instid0(VALU_DEP_1) | instskip(NEXT) | instid1(SALU_CYCLE_1)
	s_or_b32 s6, s6, s7
	v_cndmask_b32_e64 v12, v12, 0, s6
; %bb.50:                               ;   in Loop: Header=BB15_4 Depth=1
	s_or_b32 exec_lo, exec_lo, s8
	v_lshlrev_b32_e32 v13, 16, v13
                                        ; implicit-def: $vgpr15
	s_mov_b32 s7, exec_lo
	s_delay_alu instid0(VALU_DEP_1)
	v_and_b32_e32 v17, 0x7fffffff, v13
	v_cmpx_ngt_f32_e64 0x3c800000, |v13|
	s_xor_b32 s8, exec_lo, s7
	s_cbranch_execz .LBB15_80
; %bb.51:                               ;   in Loop: Header=BB15_4 Depth=1
                                        ; implicit-def: $vgpr15
	s_mov_b32 s7, exec_lo
	v_cmpx_nlt_f32_e64 |v13|, 2.0
	s_xor_b32 s9, exec_lo, s7
	s_cbranch_execz .LBB15_61
; %bb.52:                               ;   in Loop: Header=BB15_4 Depth=1
	s_mov_b32 s7, exec_lo
                                        ; implicit-def: $vgpr15
	v_cmpx_ngt_f32_e64 0x41000000, |v13|
	s_xor_b32 s7, exec_lo, s7
	s_cbranch_execz .LBB15_58
; %bb.53:                               ;   in Loop: Header=BB15_4 Depth=1
	s_mov_b32 s10, exec_lo
                                        ; implicit-def: $vgpr15
	v_cmpx_ngt_f32_e64 0x5c800000, |v13|
	s_xor_b32 s10, exec_lo, s10
	s_cbranch_execz .LBB15_55
; %bb.54:                               ;   in Loop: Header=BB15_4 Depth=1
	v_cmp_gt_f32_e64 s38, 0x800000, |v13|
	s_delay_alu instid0(VALU_DEP_1) | instskip(NEXT) | instid1(VALU_DEP_1)
	v_cndmask_b32_e64 v15, 1.0, 0x4f800000, s38
	v_mul_f32_e64 v15, |v13|, v15
	s_delay_alu instid0(VALU_DEP_1) | instskip(SKIP_3) | instid1(VALU_DEP_2)
	v_log_f32_e32 v15, v15
	s_waitcnt_depctr 0xfff
	v_mul_f32_e32 v18, 0x3f317217, v15
	v_cmp_gt_f32_e64 s6, 0x7f800000, |v15|
	v_fma_f32 v19, 0x3f317217, v15, -v18
	s_delay_alu instid0(VALU_DEP_1) | instskip(NEXT) | instid1(VALU_DEP_1)
	v_fmac_f32_e32 v19, 0x3377d1cf, v15
	v_add_f32_e32 v18, v18, v19
	s_delay_alu instid0(VALU_DEP_1) | instskip(SKIP_1) | instid1(VALU_DEP_1)
	v_cndmask_b32_e64 v15, v15, v18, s6
	v_cndmask_b32_e64 v18, 0, 0x41b17218, s38
	v_sub_f32_e32 v15, v15, v18
	s_delay_alu instid0(VALU_DEP_1)
	v_fma_f32 v15, |v13|, v15, -|v13|
.LBB15_55:                              ;   in Loop: Header=BB15_4 Depth=1
	s_and_not1_saveexec_b32 s10, s10
	s_cbranch_execz .LBB15_57
; %bb.56:                               ;   in Loop: Header=BB15_4 Depth=1
	v_cmp_gt_f32_e64 s38, 0x800000, |v13|
	v_rcp_f32_e64 v18, |v13|
	s_delay_alu instid0(VALU_DEP_1) | instskip(NEXT) | instid1(VALU_DEP_1)
	v_cndmask_b32_e64 v15, 1.0, 0x4f800000, s38
	v_mul_f32_e64 v15, |v13|, v15
	s_delay_alu instid0(VALU_DEP_1) | instskip(SKIP_3) | instid1(VALU_DEP_2)
	v_log_f32_e32 v15, v15
	s_waitcnt_depctr 0xfff
	v_dual_mul_f32 v19, v18, v18 :: v_dual_mul_f32 v20, 0x3f317217, v15
	v_cmp_gt_f32_e64 s6, 0x7f800000, |v15|
	v_fma_f32 v22, 0x3f317217, v15, -v20
	s_delay_alu instid0(VALU_DEP_1) | instskip(NEXT) | instid1(VALU_DEP_1)
	v_fmac_f32_e32 v22, 0x3377d1cf, v15
	v_dual_fmaak_f32 v21, s24, v19, 0x3a5b3dd2 :: v_dual_add_f32 v20, v20, v22
	s_delay_alu instid0(VALU_DEP_1) | instskip(NEXT) | instid1(VALU_DEP_2)
	v_fmaak_f32 v21, v19, v21, 0xba1c065c
	v_cndmask_b32_e64 v15, v15, v20, s6
	s_delay_alu instid0(VALU_DEP_2) | instskip(SKIP_1) | instid1(VALU_DEP_2)
	v_fmaak_f32 v21, v19, v21, 0x3a500cfd
	v_cndmask_b32_e64 v20, 0, 0x41b17218, s38
	v_fmaak_f32 v21, v19, v21, 0xbb360b61
	s_delay_alu instid0(VALU_DEP_1) | instskip(NEXT) | instid1(VALU_DEP_1)
	v_fmaak_f32 v19, v19, v21, 0x3daaaaab
	v_dual_sub_f32 v20, v15, v20 :: v_dual_fmaak_f32 v15, v18, v19, 0x3ed67f1d
	v_add_f32_e64 v18, |v13|, -0.5
	s_delay_alu instid0(VALU_DEP_2) | instskip(NEXT) | instid1(VALU_DEP_1)
	v_add_f32_e32 v19, -1.0, v20
	v_fmac_f32_e32 v15, v18, v19
.LBB15_57:                              ;   in Loop: Header=BB15_4 Depth=1
	s_or_b32 exec_lo, exec_lo, s10
.LBB15_58:                              ;   in Loop: Header=BB15_4 Depth=1
	s_and_not1_saveexec_b32 s10, s7
	s_cbranch_execz .LBB15_60
; %bb.59:                               ;   in Loop: Header=BB15_4 Depth=1
	v_cvt_i32_f32_e32 v15, v17
	s_delay_alu instid0(VALU_DEP_1) | instskip(SKIP_1) | instid1(VALU_DEP_2)
	v_cvt_f32_i32_e32 v18, v15
	v_cmp_lt_i32_e64 s6, 2, v15
	v_sub_f32_e64 v18, |v13|, v18
	s_delay_alu instid0(VALU_DEP_1) | instskip(SKIP_2) | instid1(VALU_DEP_3)
	v_add_f32_e32 v19, 2.0, v18
	v_add_f32_e32 v20, 0x40400000, v18
	v_add_f32_e32 v21, 4.0, v18
	v_cndmask_b32_e64 v19, 1.0, v19, s6
	v_cmp_lt_i32_e64 s6, 3, v15
	s_delay_alu instid0(VALU_DEP_1) | instskip(SKIP_1) | instid1(VALU_DEP_2)
	v_cndmask_b32_e64 v20, 1.0, v20, s6
	v_cmp_lt_i32_e64 s6, 4, v15
	v_dual_add_f32 v22, 0x40a00000, v18 :: v_dual_mul_f32 v19, v19, v20
	s_delay_alu instid0(VALU_DEP_2) | instskip(SKIP_1) | instid1(VALU_DEP_2)
	v_cndmask_b32_e64 v21, 1.0, v21, s6
	v_cmp_lt_i32_e64 s6, 5, v15
	v_mul_f32_e32 v19, v21, v19
	s_delay_alu instid0(VALU_DEP_2) | instskip(SKIP_3) | instid1(VALU_DEP_4)
	v_cndmask_b32_e64 v22, 1.0, v22, s6
	v_add_f32_e32 v20, 0x40c00000, v18
	v_cmp_lt_i32_e64 s6, 6, v15
	v_fmaak_f32 v21, s25, v18, 0x3af135b4
	v_mul_f32_e32 v19, v22, v19
	s_delay_alu instid0(VALU_DEP_3) | instskip(NEXT) | instid1(VALU_DEP_1)
	v_cndmask_b32_e64 v15, 1.0, v20, s6
	v_mul_f32_e32 v15, v15, v19
	s_delay_alu instid0(VALU_DEP_1) | instskip(NEXT) | instid1(VALU_DEP_1)
	v_cmp_gt_f32_e64 s6, 0x800000, v15
	v_cndmask_b32_e64 v20, 1.0, 0x4f800000, s6
	s_delay_alu instid0(VALU_DEP_1) | instskip(NEXT) | instid1(VALU_DEP_1)
	v_dual_mul_f32 v15, v15, v20 :: v_dual_fmaak_f32 v20, v18, v21, 0x3cda40e4
	v_log_f32_e32 v15, v15
	s_delay_alu instid0(VALU_DEP_1) | instskip(NEXT) | instid1(VALU_DEP_1)
	v_fmaak_f32 v20, v18, v20, 0x3e15dce6
	v_fmaak_f32 v20, v18, v20, 0x3ea6cc7a
	s_waitcnt_depctr 0xfff
	v_mul_f32_e32 v21, 0x3f317217, v15
	v_cmp_gt_f32_e64 s7, 0x7f800000, |v15|
	s_delay_alu instid0(VALU_DEP_2) | instskip(NEXT) | instid1(VALU_DEP_1)
	v_fma_f32 v22, 0x3f317217, v15, -v21
	v_fmac_f32_e32 v22, 0x3377d1cf, v15
	s_delay_alu instid0(VALU_DEP_1) | instskip(NEXT) | instid1(VALU_DEP_1)
	v_dual_fmaak_f32 v20, v18, v20, 0x3e5c245a :: v_dual_add_f32 v21, v21, v22
	v_fmaak_f32 v20, v18, v20, 0xbd9e233f
	v_fmaak_f32 v19, s26, v18, 0x3a4beed6
	s_delay_alu instid0(VALU_DEP_3) | instskip(NEXT) | instid1(VALU_DEP_3)
	v_cndmask_b32_e64 v15, v15, v21, s7
	v_mul_f32_e32 v20, v18, v20
	s_delay_alu instid0(VALU_DEP_3) | instskip(NEXT) | instid1(VALU_DEP_1)
	v_fmaak_f32 v19, v18, v19, 0x3c98bf54
	v_fmaak_f32 v19, v18, v19, 0x3e300f6e
	s_delay_alu instid0(VALU_DEP_1) | instskip(NEXT) | instid1(VALU_DEP_1)
	v_fmaak_f32 v19, v18, v19, 0x3f38d0c5
	v_fmaak_f32 v19, v18, v19, 0x3fb22d3b
	s_delay_alu instid0(VALU_DEP_1) | instskip(NEXT) | instid1(VALU_DEP_1)
	v_fma_f32 v19, v18, v19, 1.0
	v_rcp_f32_e32 v19, v19
	s_waitcnt_depctr 0xfff
	v_mul_f32_e32 v19, v20, v19
	v_cndmask_b32_e64 v20, 0, 0x41b17218, s6
	s_delay_alu instid0(VALU_DEP_2) | instskip(NEXT) | instid1(VALU_DEP_2)
	v_fmac_f32_e32 v19, 0.5, v18
	v_sub_f32_e32 v15, v15, v20
	s_delay_alu instid0(VALU_DEP_1)
	v_add_f32_e32 v15, v15, v19
.LBB15_60:                              ;   in Loop: Header=BB15_4 Depth=1
	s_or_b32 exec_lo, exec_lo, s10
.LBB15_61:                              ;   in Loop: Header=BB15_4 Depth=1
	s_and_not1_saveexec_b32 s9, s9
	s_cbranch_execz .LBB15_79
; %bb.62:                               ;   in Loop: Header=BB15_4 Depth=1
                                        ; implicit-def: $vgpr15
                                        ; implicit-def: $vgpr19
                                        ; implicit-def: $vgpr18
	s_mov_b32 s7, exec_lo
	v_cmpx_ge_f32_e64 0x3f666666, |v13|
	s_xor_b32 s10, exec_lo, s7
	s_cbranch_execz .LBB15_64
; %bb.63:                               ;   in Loop: Header=BB15_4 Depth=1
	v_cmp_gt_f32_e64 s7, 0x800000, |v13|
	v_sub_f32_e64 v20, 1.0, |v13|
	v_cmp_gt_f32_e64 s6, 0x3f3b4a23, |v13|
	s_delay_alu instid0(VALU_DEP_3) | instskip(SKIP_1) | instid1(VALU_DEP_2)
	v_cndmask_b32_e64 v15, 1.0, 0x4f800000, s7
	v_cndmask_b32_e64 v21, 0, 0x41b17218, s7
	v_mul_f32_e64 v15, |v13|, v15
	s_delay_alu instid0(VALU_DEP_1) | instskip(SKIP_3) | instid1(VALU_DEP_2)
	v_log_f32_e32 v15, v15
	s_waitcnt_depctr 0xfff
	v_mul_f32_e32 v18, 0x3f317217, v15
	v_cmp_gt_f32_e64 s7, 0x7f800000, |v15|
	v_fma_f32 v19, 0x3f317217, v15, -v18
	s_delay_alu instid0(VALU_DEP_1) | instskip(NEXT) | instid1(VALU_DEP_1)
	v_fmac_f32_e32 v19, 0x3377d1cf, v15
	v_add_f32_e32 v18, v18, v19
	v_add_f32_e64 v19, 0xbeec5b0c, |v13|
	s_delay_alu instid0(VALU_DEP_2) | instskip(NEXT) | instid1(VALU_DEP_2)
	v_cndmask_b32_e64 v15, v15, v18, s7
	v_cndmask_b32_e64 v18, v20, v19, s6
	;; [unrolled: 1-line block ×3, first 2 shown]
	v_cmp_gt_f32_e64 s6, 0x3e6d3309, |v13|
	s_delay_alu instid0(VALU_DEP_4) | instskip(NEXT) | instid1(VALU_DEP_2)
	v_sub_f32_e32 v15, v15, v21
	v_cndmask_b32_e64 v18, v18, |v13|, s6
	s_delay_alu instid0(VALU_DEP_4) | instskip(NEXT) | instid1(VALU_DEP_3)
	v_cndmask_b32_e64 v19, v19, 2, s6
	v_xor_b32_e32 v15, 0x80000000, v15
.LBB15_64:                              ;   in Loop: Header=BB15_4 Depth=1
	s_and_not1_saveexec_b32 s7, s10
; %bb.65:                               ;   in Loop: Header=BB15_4 Depth=1
	v_sub_f32_e64 v15, 2.0, |v13|
	v_add_f32_e64 v18, 0xbfbb16c3, |v13|
	v_cmp_gt_f32_e64 s6, 0x3fdda512, |v13|
	v_add_f32_e64 v19, |v13|, -1.0
	s_delay_alu instid0(VALU_DEP_2) | instskip(SKIP_2) | instid1(VALU_DEP_2)
	v_cndmask_b32_e64 v18, v15, v18, s6
	v_cndmask_b32_e64 v15, v15, 1.0, s6
	v_cmp_gt_f32_e64 s6, 0x3f9d70a4, |v13|
	v_cvt_i32_f32_e32 v15, v15
	s_delay_alu instid0(VALU_DEP_2) | instskip(NEXT) | instid1(VALU_DEP_2)
	v_cndmask_b32_e64 v18, v18, v19, s6
	v_cndmask_b32_e64 v19, v15, 2, s6
	v_mov_b32_e32 v15, 0
; %bb.66:                               ;   in Loop: Header=BB15_4 Depth=1
	s_or_b32 exec_lo, exec_lo, s7
	s_delay_alu instid0(SALU_CYCLE_1) | instskip(NEXT) | instid1(VALU_DEP_2)
	s_mov_b32 s7, exec_lo
	v_cmpx_lt_i32_e32 0, v19
	s_xor_b32 s7, exec_lo, s7
	s_cbranch_execz .LBB15_74
; %bb.67:                               ;   in Loop: Header=BB15_4 Depth=1
	s_mov_b32 s10, exec_lo
	v_cmpx_lt_i32_e32 1, v19
	s_xor_b32 s10, exec_lo, s10
	s_cbranch_execz .LBB15_71
; %bb.68:                               ;   in Loop: Header=BB15_4 Depth=1
	s_mov_b32 s38, exec_lo
	v_cmpx_eq_u32_e32 2, v19
	s_cbranch_execz .LBB15_70
; %bb.69:                               ;   in Loop: Header=BB15_4 Depth=1
	v_fmaak_f32 v20, s27, v18, 0x3e6a7578
	s_delay_alu instid0(VALU_DEP_1) | instskip(NEXT) | instid1(VALU_DEP_1)
	v_fmaak_f32 v20, v18, v20, 0x3f7a4bb2
	v_fmaak_f32 v20, v18, v20, 0x3fba3ae7
	s_delay_alu instid0(VALU_DEP_1) | instskip(NEXT) | instid1(VALU_DEP_1)
	v_fmaak_f32 v20, v18, v20, 0x3f2200f4
	v_fmaak_f32 v20, v18, v20, 0xbd9e233f
	s_delay_alu instid0(VALU_DEP_1) | instskip(NEXT) | instid1(VALU_DEP_1)
	v_dual_fmaak_f32 v19, s28, v18, 0x3dd572af :: v_dual_mul_f32 v20, v18, v20
	v_fmaak_f32 v19, v18, v19, 0x3f44efdf
	s_delay_alu instid0(VALU_DEP_1) | instskip(NEXT) | instid1(VALU_DEP_1)
	v_fmaak_f32 v19, v18, v19, 0x4008392d
	v_fmaak_f32 v19, v18, v19, 0x401d2ebe
	s_delay_alu instid0(VALU_DEP_1) | instskip(NEXT) | instid1(VALU_DEP_1)
	v_fma_f32 v19, v18, v19, 1.0
	v_rcp_f32_e32 v19, v19
	s_waitcnt_depctr 0xfff
	v_mul_f32_e32 v19, v20, v19
	s_delay_alu instid0(VALU_DEP_1) | instskip(NEXT) | instid1(VALU_DEP_1)
	v_fmac_f32_e32 v19, -0.5, v18
	v_add_f32_e32 v15, v15, v19
.LBB15_70:                              ;   in Loop: Header=BB15_4 Depth=1
	s_or_b32 exec_lo, exec_lo, s38
                                        ; implicit-def: $vgpr18
.LBB15_71:                              ;   in Loop: Header=BB15_4 Depth=1
	s_and_not1_saveexec_b32 s6, s10
	s_cbranch_execz .LBB15_73
; %bb.72:                               ;   in Loop: Header=BB15_4 Depth=1
	v_mul_f32_e32 v19, v18, v18
	s_delay_alu instid0(VALU_DEP_1) | instskip(NEXT) | instid1(VALU_DEP_1)
	v_mul_f32_e32 v20, v18, v19
	v_fmaak_f32 v21, s30, v20, 0x3a66f867
	v_fmaak_f32 v22, s31, v20, 0xba0d3085
	;; [unrolled: 1-line block ×3, first 2 shown]
	s_delay_alu instid0(VALU_DEP_3) | instskip(NEXT) | instid1(VALU_DEP_3)
	v_fmaak_f32 v21, v20, v21, 0xbb7177fe
	v_fmaak_f32 v22, v20, v22, 0x3b141699
	s_delay_alu instid0(VALU_DEP_3) | instskip(NEXT) | instid1(VALU_DEP_3)
	v_fmaak_f32 v23, v20, v23, 0x3bc7e707
	v_fmaak_f32 v21, v20, v21, 0x3c93373d
	;; [unrolled: 3-line block ×4, first 2 shown]
	s_delay_alu instid0(VALU_DEP_1) | instskip(NEXT) | instid1(VALU_DEP_1)
	v_dual_fmac_f32 v21, v18, v22 :: v_dual_fmaak_f32 v18, v20, v23, 0x3ef7b95e
	v_fma_f32 v20, v20, -v21, 0xa2863e55
	s_delay_alu instid0(VALU_DEP_1) | instskip(NEXT) | instid1(VALU_DEP_1)
	v_fma_f32 v18, v19, v18, -v20
	v_add_f32_e32 v18, 0xbdf8cdce, v18
	s_delay_alu instid0(VALU_DEP_1)
	v_add_f32_e32 v15, v15, v18
.LBB15_73:                              ;   in Loop: Header=BB15_4 Depth=1
	s_or_b32 exec_lo, exec_lo, s6
                                        ; implicit-def: $vgpr19
                                        ; implicit-def: $vgpr18
.LBB15_74:                              ;   in Loop: Header=BB15_4 Depth=1
	s_and_not1_saveexec_b32 s7, s7
	s_cbranch_execz .LBB15_78
; %bb.75:                               ;   in Loop: Header=BB15_4 Depth=1
	s_mov_b32 s10, exec_lo
	v_cmpx_eq_u32_e32 0, v19
	s_cbranch_execz .LBB15_77
; %bb.76:                               ;   in Loop: Header=BB15_4 Depth=1
	v_mul_f32_e32 v19, v18, v18
	s_delay_alu instid0(VALU_DEP_1) | instskip(NEXT) | instid1(VALU_DEP_1)
	v_fmaak_f32 v21, s33, v19, 0x39679767
	v_fmaak_f32 v21, v19, v21, 0x3a9c54a1
	s_delay_alu instid0(VALU_DEP_1) | instskip(NEXT) | instid1(VALU_DEP_1)
	v_fmaak_f32 v21, v19, v21, 0x3bf2027e
	v_fmaak_f32 v21, v19, v21, 0x3d89f001
	s_delay_alu instid0(VALU_DEP_1) | instskip(SKIP_1) | instid1(VALU_DEP_1)
	v_fmaak_f32 v21, v19, v21, 0x3d9e233f
	v_fmaak_f32 v20, s34, v19, 0x38e28445
	;; [unrolled: 1-line block ×3, first 2 shown]
	s_delay_alu instid0(VALU_DEP_1) | instskip(NEXT) | instid1(VALU_DEP_1)
	v_fmaak_f32 v20, v19, v20, 0x3b3d6ec6
	v_fmaak_f32 v20, v19, v20, 0x3ca89915
	s_delay_alu instid0(VALU_DEP_1) | instskip(NEXT) | instid1(VALU_DEP_1)
	v_fmaak_f32 v20, v19, v20, 0x3ea51a66
	v_mul_f32_e32 v19, v19, v20
	s_delay_alu instid0(VALU_DEP_1) | instskip(NEXT) | instid1(VALU_DEP_1)
	v_fmac_f32_e32 v19, v18, v21
	v_fmac_f32_e32 v19, -0.5, v18
	s_delay_alu instid0(VALU_DEP_1)
	v_add_f32_e32 v15, v15, v19
.LBB15_77:                              ;   in Loop: Header=BB15_4 Depth=1
	s_or_b32 exec_lo, exec_lo, s10
.LBB15_78:                              ;   in Loop: Header=BB15_4 Depth=1
	s_delay_alu instid0(SALU_CYCLE_1)
	s_or_b32 exec_lo, exec_lo, s7
.LBB15_79:                              ;   in Loop: Header=BB15_4 Depth=1
	s_delay_alu instid0(SALU_CYCLE_1)
	s_or_b32 exec_lo, exec_lo, s9
.LBB15_80:                              ;   in Loop: Header=BB15_4 Depth=1
	s_and_not1_saveexec_b32 s7, s8
	s_cbranch_execz .LBB15_82
; %bb.81:                               ;   in Loop: Header=BB15_4 Depth=1
	v_cmp_gt_f32_e64 s8, 0x800000, |v13|
	v_fma_f32 v20, |v13|, s35, 0xbecd26ab
	s_delay_alu instid0(VALU_DEP_2) | instskip(NEXT) | instid1(VALU_DEP_1)
	v_cndmask_b32_e64 v15, 1.0, 0x4f800000, s8
	v_mul_f32_e64 v15, |v13|, v15
	s_delay_alu instid0(VALU_DEP_1) | instskip(SKIP_3) | instid1(VALU_DEP_2)
	v_log_f32_e32 v15, v15
	s_waitcnt_depctr 0xfff
	v_mul_f32_e32 v18, 0x3f317217, v15
	v_cmp_gt_f32_e64 s6, 0x7f800000, |v15|
	v_fma_f32 v19, 0x3f317217, v15, -v18
	s_delay_alu instid0(VALU_DEP_1) | instskip(NEXT) | instid1(VALU_DEP_1)
	v_fmac_f32_e32 v19, 0x3377d1cf, v15
	v_add_f32_e32 v18, v18, v19
	v_fma_f32 v19, |v13|, v20, 0x3f528d33
	s_delay_alu instid0(VALU_DEP_2) | instskip(SKIP_1) | instid1(VALU_DEP_3)
	v_cndmask_b32_e64 v15, v15, v18, s6
	v_cndmask_b32_e64 v18, 0, 0x41b17218, s8
	v_fma_f32 v19, |v13|, v19, 0xbf13c468
	s_delay_alu instid0(VALU_DEP_2) | instskip(NEXT) | instid1(VALU_DEP_1)
	v_sub_f32_e32 v15, v15, v18
	v_fma_f32 v15, |v13|, v19, -v15
.LBB15_82:                              ;   in Loop: Header=BB15_4 Depth=1
	s_or_b32 exec_lo, exec_lo, s7
	v_cmp_le_f32_e64 s6, 0, v13
	s_mov_b32 s8, exec_lo
	v_cmpx_nle_f32_e32 0, v13
	s_xor_b32 s9, exec_lo, s8
	s_cbranch_execz .LBB15_86
; %bb.83:                               ;   in Loop: Header=BB15_4 Depth=1
	v_cmp_gt_f32_e64 s7, 0x4b000000, |v13|
	v_cmp_lt_f32_e64 s8, 0x35000000, |v13|
	s_delay_alu instid0(VALU_DEP_1) | instskip(NEXT) | instid1(SALU_CYCLE_1)
	s_and_b32 s7, s7, s8
	s_and_saveexec_b32 s10, s7
	s_cbranch_execz .LBB15_85
; %bb.84:                               ;   in Loop: Header=BB15_4 Depth=1
	v_mul_f32_e64 v18, |v13|, 0.5
	s_delay_alu instid0(VALU_DEP_1) | instskip(SKIP_1) | instid1(VALU_DEP_2)
	v_floor_f32_e32 v19, v18
	v_cmp_neq_f32_e64 s7, 0x7f800000, v18
	v_sub_f32_e32 v19, v18, v19
	s_delay_alu instid0(VALU_DEP_1) | instskip(NEXT) | instid1(VALU_DEP_1)
	v_min_f32_e32 v19, 0x3f7fffff, v19
	v_add_f32_e32 v19, v19, v19
	s_delay_alu instid0(VALU_DEP_1) | instskip(SKIP_1) | instid1(VALU_DEP_1)
	v_cndmask_b32_e64 v18, 0, v19, s7
	v_cmp_gt_f32_e64 s7, |v13|, 1.0
	v_cndmask_b32_e64 v18, |v13|, v18, s7
	s_delay_alu instid0(VALU_DEP_1) | instskip(NEXT) | instid1(VALU_DEP_1)
	v_add_f32_e32 v19, v18, v18
	v_rndne_f32_e32 v19, v19
	s_delay_alu instid0(VALU_DEP_1) | instskip(SKIP_1) | instid1(VALU_DEP_2)
	v_fmac_f32_e32 v18, -0.5, v19
	v_cvt_i32_f32_e32 v19, v19
	v_mul_f32_e32 v20, v18, v18
	s_delay_alu instid0(VALU_DEP_1) | instskip(SKIP_1) | instid1(VALU_DEP_2)
	v_fmaak_f32 v21, s36, v20, 0xbf1f24be
	v_fmaak_f32 v22, s37, v20, 0x3e642e9d
	;; [unrolled: 1-line block ×3, first 2 shown]
	s_delay_alu instid0(VALU_DEP_2) | instskip(NEXT) | instid1(VALU_DEP_2)
	v_dual_fmaak_f32 v22, v20, v22, 0xbfaad1da :: v_dual_mul_f32 v23, v18, v20
	v_fmaak_f32 v21, v20, v21, 0xc0a55e0e
	s_delay_alu instid0(VALU_DEP_1) | instskip(NEXT) | instid1(VALU_DEP_1)
	v_dual_fmaak_f32 v22, v20, v22, 0x4081e0d3 :: v_dual_mul_f32 v21, v23, v21
	v_dual_fmaak_f32 v22, v20, v22, 0xc09de9e6 :: v_dual_and_b32 v23, 1, v19
	v_lshlrev_b32_e32 v19, 30, v19
	s_delay_alu instid0(VALU_DEP_3) | instskip(NEXT) | instid1(VALU_DEP_3)
	v_fmac_f32_e32 v21, 0x40490fdb, v18
	v_fma_f32 v18, v20, v22, 1.0
	s_delay_alu instid0(VALU_DEP_4) | instskip(NEXT) | instid1(VALU_DEP_4)
	v_cmp_eq_u32_e64 s7, 0, v23
	v_and_or_b32 v17, 0x80000000, v19, v17
	s_delay_alu instid0(VALU_DEP_2) | instskip(NEXT) | instid1(VALU_DEP_1)
	v_cndmask_b32_e64 v18, v18, v21, s7
	v_xor3_b32 v17, v17, v18, v13
	s_delay_alu instid0(VALU_DEP_1) | instskip(NEXT) | instid1(VALU_DEP_1)
	v_mul_f32_e32 v17, v13, v17
	v_frexp_mant_f32_e64 v18, |v17|
	v_frexp_exp_i32_f32_e32 v17, v17
	s_delay_alu instid0(VALU_DEP_2) | instskip(NEXT) | instid1(VALU_DEP_1)
	v_rcp_f32_e32 v18, v18
	v_sub_nc_u32_e32 v17, 2, v17
	s_waitcnt_depctr 0xfff
	v_mul_f32_e32 v18, 0x3f490fdb, v18
	s_delay_alu instid0(VALU_DEP_1) | instskip(NEXT) | instid1(VALU_DEP_1)
	v_ldexp_f32 v17, v18, v17
	v_cmp_gt_f32_e64 s7, 0x800000, v17
	s_delay_alu instid0(VALU_DEP_1) | instskip(NEXT) | instid1(VALU_DEP_1)
	v_cndmask_b32_e64 v18, 1.0, 0x4f800000, s7
	v_mul_f32_e32 v17, v17, v18
	s_delay_alu instid0(VALU_DEP_1) | instskip(SKIP_3) | instid1(VALU_DEP_2)
	v_log_f32_e32 v17, v17
	s_waitcnt_depctr 0xfff
	v_mul_f32_e32 v18, 0x3f317217, v17
	v_cmp_gt_f32_e64 s8, 0x7f800000, |v17|
	v_fma_f32 v19, 0x3f317217, v17, -v18
	s_delay_alu instid0(VALU_DEP_1) | instskip(NEXT) | instid1(VALU_DEP_1)
	v_fmac_f32_e32 v19, 0x3377d1cf, v17
	v_add_f32_e32 v18, v18, v19
	v_floor_f32_e32 v19, v13
	s_delay_alu instid0(VALU_DEP_2) | instskip(SKIP_1) | instid1(VALU_DEP_3)
	v_cndmask_b32_e64 v17, v17, v18, s8
	v_cndmask_b32_e64 v18, 0, 0x41b17218, s7
	v_sub_f32_e32 v19, v13, v19
	s_delay_alu instid0(VALU_DEP_1) | instskip(NEXT) | instid1(VALU_DEP_1)
	v_dual_sub_f32 v17, v17, v18 :: v_dual_min_f32 v18, 0x3f7fffff, v19
	v_sub_f32_e32 v15, v17, v15
	s_delay_alu instid0(VALU_DEP_2) | instskip(NEXT) | instid1(VALU_DEP_1)
	v_cmp_neq_f32_e64 s7, 0, v18
	v_cndmask_b32_e64 v15, 0x7f800000, v15, s7
.LBB15_85:                              ;   in Loop: Header=BB15_4 Depth=1
	s_or_b32 exec_lo, exec_lo, s10
.LBB15_86:                              ;   in Loop: Header=BB15_4 Depth=1
	s_and_not1_saveexec_b32 s9, s9
; %bb.87:                               ;   in Loop: Header=BB15_4 Depth=1
	v_cmp_eq_f32_e64 s7, 1.0, v13
	v_cmp_eq_f32_e64 s8, 2.0, v13
	s_delay_alu instid0(VALU_DEP_1) | instskip(NEXT) | instid1(SALU_CYCLE_1)
	s_or_b32 s7, s7, s8
	v_cndmask_b32_e64 v15, v15, 0, s7
; %bb.88:                               ;   in Loop: Header=BB15_4 Depth=1
	s_or_b32 exec_lo, exec_lo, s9
	v_lshlrev_b32_e32 v16, 16, v16
                                        ; implicit-def: $vgpr17
	s_mov_b32 s8, exec_lo
	s_delay_alu instid0(VALU_DEP_1)
	v_and_b32_e32 v18, 0x7fffffff, v16
	v_cmpx_ngt_f32_e64 0x3c800000, |v16|
	s_xor_b32 s9, exec_lo, s8
	s_cbranch_execz .LBB15_118
; %bb.89:                               ;   in Loop: Header=BB15_4 Depth=1
                                        ; implicit-def: $vgpr17
	s_mov_b32 s8, exec_lo
	v_cmpx_nlt_f32_e64 |v16|, 2.0
	s_xor_b32 s10, exec_lo, s8
	s_cbranch_execz .LBB15_99
; %bb.90:                               ;   in Loop: Header=BB15_4 Depth=1
	s_mov_b32 s8, exec_lo
                                        ; implicit-def: $vgpr17
	v_cmpx_ngt_f32_e64 0x41000000, |v16|
	s_xor_b32 s8, exec_lo, s8
	s_cbranch_execz .LBB15_96
; %bb.91:                               ;   in Loop: Header=BB15_4 Depth=1
	s_mov_b32 s38, exec_lo
                                        ; implicit-def: $vgpr17
	v_cmpx_ngt_f32_e64 0x5c800000, |v16|
	s_xor_b32 s38, exec_lo, s38
	s_cbranch_execz .LBB15_93
; %bb.92:                               ;   in Loop: Header=BB15_4 Depth=1
	v_cmp_gt_f32_e64 s39, 0x800000, |v16|
	s_delay_alu instid0(VALU_DEP_1) | instskip(NEXT) | instid1(VALU_DEP_1)
	v_cndmask_b32_e64 v17, 1.0, 0x4f800000, s39
	v_mul_f32_e64 v17, |v16|, v17
	s_delay_alu instid0(VALU_DEP_1) | instskip(SKIP_3) | instid1(VALU_DEP_2)
	v_log_f32_e32 v17, v17
	s_waitcnt_depctr 0xfff
	v_mul_f32_e32 v19, 0x3f317217, v17
	v_cmp_gt_f32_e64 s7, 0x7f800000, |v17|
	v_fma_f32 v20, 0x3f317217, v17, -v19
	s_delay_alu instid0(VALU_DEP_1) | instskip(NEXT) | instid1(VALU_DEP_1)
	v_fmac_f32_e32 v20, 0x3377d1cf, v17
	v_add_f32_e32 v19, v19, v20
	s_delay_alu instid0(VALU_DEP_1) | instskip(SKIP_1) | instid1(VALU_DEP_1)
	v_cndmask_b32_e64 v17, v17, v19, s7
	v_cndmask_b32_e64 v19, 0, 0x41b17218, s39
	v_sub_f32_e32 v17, v17, v19
	s_delay_alu instid0(VALU_DEP_1)
	v_fma_f32 v17, |v16|, v17, -|v16|
.LBB15_93:                              ;   in Loop: Header=BB15_4 Depth=1
	s_and_not1_saveexec_b32 s38, s38
	s_cbranch_execz .LBB15_95
; %bb.94:                               ;   in Loop: Header=BB15_4 Depth=1
	v_cmp_gt_f32_e64 s39, 0x800000, |v16|
	v_rcp_f32_e64 v19, |v16|
	s_delay_alu instid0(VALU_DEP_1) | instskip(NEXT) | instid1(VALU_DEP_1)
	v_cndmask_b32_e64 v17, 1.0, 0x4f800000, s39
	v_mul_f32_e64 v17, |v16|, v17
	s_delay_alu instid0(VALU_DEP_1) | instskip(SKIP_3) | instid1(VALU_DEP_2)
	v_log_f32_e32 v17, v17
	s_waitcnt_depctr 0xfff
	v_dual_mul_f32 v20, v19, v19 :: v_dual_mul_f32 v21, 0x3f317217, v17
	v_cmp_gt_f32_e64 s7, 0x7f800000, |v17|
	v_fma_f32 v23, 0x3f317217, v17, -v21
	s_delay_alu instid0(VALU_DEP_1) | instskip(NEXT) | instid1(VALU_DEP_1)
	v_fmac_f32_e32 v23, 0x3377d1cf, v17
	v_dual_fmaak_f32 v22, s24, v20, 0x3a5b3dd2 :: v_dual_add_f32 v21, v21, v23
	s_delay_alu instid0(VALU_DEP_1) | instskip(SKIP_1) | instid1(VALU_DEP_1)
	v_cndmask_b32_e64 v17, v17, v21, s7
	v_cndmask_b32_e64 v21, 0, 0x41b17218, s39
	v_dual_fmaak_f32 v22, v20, v22, 0xba1c065c :: v_dual_sub_f32 v21, v17, v21
	s_delay_alu instid0(VALU_DEP_1) | instskip(NEXT) | instid1(VALU_DEP_1)
	v_fmaak_f32 v22, v20, v22, 0x3a500cfd
	v_fmaak_f32 v22, v20, v22, 0xbb360b61
	s_delay_alu instid0(VALU_DEP_1) | instskip(NEXT) | instid1(VALU_DEP_1)
	v_fmaak_f32 v20, v20, v22, 0x3daaaaab
	v_dual_fmaak_f32 v17, v19, v20, 0x3ed67f1d :: v_dual_add_f32 v20, -1.0, v21
	v_add_f32_e64 v19, |v16|, -0.5
	s_delay_alu instid0(VALU_DEP_1)
	v_fmac_f32_e32 v17, v19, v20
.LBB15_95:                              ;   in Loop: Header=BB15_4 Depth=1
	s_or_b32 exec_lo, exec_lo, s38
.LBB15_96:                              ;   in Loop: Header=BB15_4 Depth=1
	s_and_not1_saveexec_b32 s38, s8
	s_cbranch_execz .LBB15_98
; %bb.97:                               ;   in Loop: Header=BB15_4 Depth=1
	v_cvt_i32_f32_e32 v17, v18
	s_delay_alu instid0(VALU_DEP_1) | instskip(SKIP_1) | instid1(VALU_DEP_2)
	v_cvt_f32_i32_e32 v19, v17
	v_cmp_lt_i32_e64 s7, 2, v17
	v_sub_f32_e64 v19, |v16|, v19
	s_delay_alu instid0(VALU_DEP_1) | instskip(SKIP_2) | instid1(VALU_DEP_3)
	v_add_f32_e32 v20, 2.0, v19
	v_add_f32_e32 v21, 0x40400000, v19
	v_add_f32_e32 v22, 4.0, v19
	v_cndmask_b32_e64 v20, 1.0, v20, s7
	v_cmp_lt_i32_e64 s7, 3, v17
	s_delay_alu instid0(VALU_DEP_1) | instskip(SKIP_1) | instid1(VALU_DEP_2)
	v_cndmask_b32_e64 v21, 1.0, v21, s7
	v_cmp_lt_i32_e64 s7, 4, v17
	v_dual_add_f32 v23, 0x40a00000, v19 :: v_dual_mul_f32 v20, v20, v21
	s_delay_alu instid0(VALU_DEP_2) | instskip(SKIP_1) | instid1(VALU_DEP_2)
	v_cndmask_b32_e64 v22, 1.0, v22, s7
	v_cmp_lt_i32_e64 s7, 5, v17
	v_mul_f32_e32 v20, v22, v20
	s_delay_alu instid0(VALU_DEP_2) | instskip(SKIP_3) | instid1(VALU_DEP_4)
	v_cndmask_b32_e64 v23, 1.0, v23, s7
	v_add_f32_e32 v21, 0x40c00000, v19
	v_cmp_lt_i32_e64 s7, 6, v17
	v_fmaak_f32 v22, s25, v19, 0x3af135b4
	v_mul_f32_e32 v20, v23, v20
	s_delay_alu instid0(VALU_DEP_3) | instskip(NEXT) | instid1(VALU_DEP_1)
	v_cndmask_b32_e64 v17, 1.0, v21, s7
	v_mul_f32_e32 v17, v17, v20
	s_delay_alu instid0(VALU_DEP_1) | instskip(NEXT) | instid1(VALU_DEP_1)
	v_cmp_gt_f32_e64 s7, 0x800000, v17
	v_cndmask_b32_e64 v21, 1.0, 0x4f800000, s7
	s_delay_alu instid0(VALU_DEP_1) | instskip(SKIP_1) | instid1(VALU_DEP_2)
	v_mul_f32_e32 v17, v17, v21
	v_fmaak_f32 v21, v19, v22, 0x3cda40e4
	v_log_f32_e32 v17, v17
	s_waitcnt_depctr 0xfff
	v_mul_f32_e32 v22, 0x3f317217, v17
	v_cmp_gt_f32_e64 s8, 0x7f800000, |v17|
	s_delay_alu instid0(VALU_DEP_2) | instskip(NEXT) | instid1(VALU_DEP_1)
	v_fma_f32 v23, 0x3f317217, v17, -v22
	v_fmac_f32_e32 v23, 0x3377d1cf, v17
	s_delay_alu instid0(VALU_DEP_1) | instskip(NEXT) | instid1(VALU_DEP_1)
	v_dual_add_f32 v22, v22, v23 :: v_dual_fmaak_f32 v21, v19, v21, 0x3e15dce6
	v_cndmask_b32_e64 v17, v17, v22, s8
	s_delay_alu instid0(VALU_DEP_2) | instskip(NEXT) | instid1(VALU_DEP_1)
	v_fmaak_f32 v21, v19, v21, 0x3ea6cc7a
	v_fmaak_f32 v21, v19, v21, 0x3e5c245a
	s_delay_alu instid0(VALU_DEP_1) | instskip(NEXT) | instid1(VALU_DEP_1)
	v_fmaak_f32 v21, v19, v21, 0xbd9e233f
	v_dual_fmaak_f32 v20, s26, v19, 0x3a4beed6 :: v_dual_mul_f32 v21, v19, v21
	s_delay_alu instid0(VALU_DEP_1) | instskip(NEXT) | instid1(VALU_DEP_1)
	v_fmaak_f32 v20, v19, v20, 0x3c98bf54
	v_fmaak_f32 v20, v19, v20, 0x3e300f6e
	s_delay_alu instid0(VALU_DEP_1) | instskip(NEXT) | instid1(VALU_DEP_1)
	v_fmaak_f32 v20, v19, v20, 0x3f38d0c5
	v_fmaak_f32 v20, v19, v20, 0x3fb22d3b
	s_delay_alu instid0(VALU_DEP_1) | instskip(NEXT) | instid1(VALU_DEP_1)
	v_fma_f32 v20, v19, v20, 1.0
	v_rcp_f32_e32 v20, v20
	s_waitcnt_depctr 0xfff
	v_mul_f32_e32 v20, v21, v20
	v_cndmask_b32_e64 v21, 0, 0x41b17218, s7
	s_delay_alu instid0(VALU_DEP_1) | instskip(NEXT) | instid1(VALU_DEP_1)
	v_dual_fmac_f32 v20, 0.5, v19 :: v_dual_sub_f32 v17, v17, v21
	v_add_f32_e32 v17, v17, v20
.LBB15_98:                              ;   in Loop: Header=BB15_4 Depth=1
	s_or_b32 exec_lo, exec_lo, s38
.LBB15_99:                              ;   in Loop: Header=BB15_4 Depth=1
	s_and_not1_saveexec_b32 s10, s10
	s_cbranch_execz .LBB15_117
; %bb.100:                              ;   in Loop: Header=BB15_4 Depth=1
                                        ; implicit-def: $vgpr17
                                        ; implicit-def: $vgpr20
                                        ; implicit-def: $vgpr19
	s_mov_b32 s8, exec_lo
	v_cmpx_ge_f32_e64 0x3f666666, |v16|
	s_xor_b32 s38, exec_lo, s8
	s_cbranch_execz .LBB15_102
; %bb.101:                              ;   in Loop: Header=BB15_4 Depth=1
	v_cmp_gt_f32_e64 s8, 0x800000, |v16|
	v_sub_f32_e64 v21, 1.0, |v16|
	v_cmp_gt_f32_e64 s7, 0x3f3b4a23, |v16|
	s_delay_alu instid0(VALU_DEP_3) | instskip(SKIP_1) | instid1(VALU_DEP_2)
	v_cndmask_b32_e64 v17, 1.0, 0x4f800000, s8
	v_cndmask_b32_e64 v22, 0, 0x41b17218, s8
	v_mul_f32_e64 v17, |v16|, v17
	s_delay_alu instid0(VALU_DEP_1) | instskip(SKIP_3) | instid1(VALU_DEP_2)
	v_log_f32_e32 v17, v17
	s_waitcnt_depctr 0xfff
	v_mul_f32_e32 v19, 0x3f317217, v17
	v_cmp_gt_f32_e64 s8, 0x7f800000, |v17|
	v_fma_f32 v20, 0x3f317217, v17, -v19
	s_delay_alu instid0(VALU_DEP_1) | instskip(NEXT) | instid1(VALU_DEP_1)
	v_fmac_f32_e32 v20, 0x3377d1cf, v17
	v_add_f32_e32 v19, v19, v20
	v_add_f32_e64 v20, 0xbeec5b0c, |v16|
	s_delay_alu instid0(VALU_DEP_2) | instskip(NEXT) | instid1(VALU_DEP_2)
	v_cndmask_b32_e64 v17, v17, v19, s8
	v_cndmask_b32_e64 v19, v21, v20, s7
	;; [unrolled: 1-line block ×3, first 2 shown]
	v_cmp_gt_f32_e64 s7, 0x3e6d3309, |v16|
	s_delay_alu instid0(VALU_DEP_4) | instskip(NEXT) | instid1(VALU_DEP_2)
	v_sub_f32_e32 v17, v17, v22
	v_cndmask_b32_e64 v19, v19, |v16|, s7
	s_delay_alu instid0(VALU_DEP_4) | instskip(NEXT) | instid1(VALU_DEP_3)
	v_cndmask_b32_e64 v20, v20, 2, s7
	v_xor_b32_e32 v17, 0x80000000, v17
.LBB15_102:                             ;   in Loop: Header=BB15_4 Depth=1
	s_and_not1_saveexec_b32 s8, s38
; %bb.103:                              ;   in Loop: Header=BB15_4 Depth=1
	v_sub_f32_e64 v17, 2.0, |v16|
	v_add_f32_e64 v19, 0xbfbb16c3, |v16|
	v_cmp_gt_f32_e64 s7, 0x3fdda512, |v16|
	v_add_f32_e64 v20, |v16|, -1.0
	s_delay_alu instid0(VALU_DEP_2) | instskip(SKIP_2) | instid1(VALU_DEP_2)
	v_cndmask_b32_e64 v19, v17, v19, s7
	v_cndmask_b32_e64 v17, v17, 1.0, s7
	v_cmp_gt_f32_e64 s7, 0x3f9d70a4, |v16|
	v_cvt_i32_f32_e32 v17, v17
	s_delay_alu instid0(VALU_DEP_2) | instskip(NEXT) | instid1(VALU_DEP_2)
	v_cndmask_b32_e64 v19, v19, v20, s7
	v_cndmask_b32_e64 v20, v17, 2, s7
	v_mov_b32_e32 v17, 0
; %bb.104:                              ;   in Loop: Header=BB15_4 Depth=1
	s_or_b32 exec_lo, exec_lo, s8
	s_delay_alu instid0(SALU_CYCLE_1) | instskip(NEXT) | instid1(VALU_DEP_2)
	s_mov_b32 s8, exec_lo
	v_cmpx_lt_i32_e32 0, v20
	s_xor_b32 s8, exec_lo, s8
	s_cbranch_execz .LBB15_112
; %bb.105:                              ;   in Loop: Header=BB15_4 Depth=1
	s_mov_b32 s38, exec_lo
	v_cmpx_lt_i32_e32 1, v20
	s_xor_b32 s38, exec_lo, s38
	s_cbranch_execz .LBB15_109
; %bb.106:                              ;   in Loop: Header=BB15_4 Depth=1
	s_mov_b32 s39, exec_lo
	v_cmpx_eq_u32_e32 2, v20
	s_cbranch_execz .LBB15_108
; %bb.107:                              ;   in Loop: Header=BB15_4 Depth=1
	v_fmaak_f32 v21, s27, v19, 0x3e6a7578
	s_delay_alu instid0(VALU_DEP_1) | instskip(NEXT) | instid1(VALU_DEP_1)
	v_fmaak_f32 v21, v19, v21, 0x3f7a4bb2
	v_fmaak_f32 v21, v19, v21, 0x3fba3ae7
	s_delay_alu instid0(VALU_DEP_1) | instskip(NEXT) | instid1(VALU_DEP_1)
	v_fmaak_f32 v21, v19, v21, 0x3f2200f4
	v_fmaak_f32 v21, v19, v21, 0xbd9e233f
	s_delay_alu instid0(VALU_DEP_1) | instskip(NEXT) | instid1(VALU_DEP_1)
	v_dual_fmaak_f32 v20, s28, v19, 0x3dd572af :: v_dual_mul_f32 v21, v19, v21
	v_fmaak_f32 v20, v19, v20, 0x3f44efdf
	s_delay_alu instid0(VALU_DEP_1) | instskip(NEXT) | instid1(VALU_DEP_1)
	v_fmaak_f32 v20, v19, v20, 0x4008392d
	v_fmaak_f32 v20, v19, v20, 0x401d2ebe
	s_delay_alu instid0(VALU_DEP_1) | instskip(NEXT) | instid1(VALU_DEP_1)
	v_fma_f32 v20, v19, v20, 1.0
	v_rcp_f32_e32 v20, v20
	s_waitcnt_depctr 0xfff
	v_mul_f32_e32 v20, v21, v20
	s_delay_alu instid0(VALU_DEP_1) | instskip(NEXT) | instid1(VALU_DEP_1)
	v_fmac_f32_e32 v20, -0.5, v19
	v_add_f32_e32 v17, v17, v20
.LBB15_108:                             ;   in Loop: Header=BB15_4 Depth=1
	s_or_b32 exec_lo, exec_lo, s39
                                        ; implicit-def: $vgpr19
.LBB15_109:                             ;   in Loop: Header=BB15_4 Depth=1
	s_and_not1_saveexec_b32 s7, s38
	s_cbranch_execz .LBB15_111
; %bb.110:                              ;   in Loop: Header=BB15_4 Depth=1
	v_mul_f32_e32 v20, v19, v19
	s_delay_alu instid0(VALU_DEP_1) | instskip(NEXT) | instid1(VALU_DEP_1)
	v_mul_f32_e32 v21, v19, v20
	v_fmaak_f32 v23, s31, v21, 0xba0d3085
	v_fmaak_f32 v22, s30, v21, 0x3a66f867
	;; [unrolled: 1-line block ×3, first 2 shown]
	s_delay_alu instid0(VALU_DEP_3) | instskip(NEXT) | instid1(VALU_DEP_3)
	v_fmaak_f32 v23, v21, v23, 0x3b141699
	v_fmaak_f32 v22, v21, v22, 0xbb7177fe
	s_delay_alu instid0(VALU_DEP_3) | instskip(NEXT) | instid1(VALU_DEP_3)
	v_fmaak_f32 v24, v21, v24, 0x3bc7e707
	v_fmaak_f32 v23, v21, v23, 0xbc28fcfe
	;; [unrolled: 3-line block ×4, first 2 shown]
	s_delay_alu instid0(VALU_DEP_1) | instskip(NEXT) | instid1(VALU_DEP_1)
	v_dual_fmac_f32 v22, v19, v23 :: v_dual_fmaak_f32 v19, v21, v24, 0x3ef7b95e
	v_fma_f32 v21, v21, -v22, 0xa2863e55
	s_delay_alu instid0(VALU_DEP_1) | instskip(NEXT) | instid1(VALU_DEP_1)
	v_fma_f32 v19, v20, v19, -v21
	v_add_f32_e32 v19, 0xbdf8cdce, v19
	s_delay_alu instid0(VALU_DEP_1)
	v_add_f32_e32 v17, v17, v19
.LBB15_111:                             ;   in Loop: Header=BB15_4 Depth=1
	s_or_b32 exec_lo, exec_lo, s7
                                        ; implicit-def: $vgpr20
                                        ; implicit-def: $vgpr19
.LBB15_112:                             ;   in Loop: Header=BB15_4 Depth=1
	s_and_not1_saveexec_b32 s8, s8
	s_cbranch_execz .LBB15_116
; %bb.113:                              ;   in Loop: Header=BB15_4 Depth=1
	s_mov_b32 s38, exec_lo
	v_cmpx_eq_u32_e32 0, v20
	s_cbranch_execz .LBB15_115
; %bb.114:                              ;   in Loop: Header=BB15_4 Depth=1
	v_mul_f32_e32 v20, v19, v19
	s_delay_alu instid0(VALU_DEP_1) | instskip(NEXT) | instid1(VALU_DEP_1)
	v_fmaak_f32 v22, s33, v20, 0x39679767
	v_fmaak_f32 v22, v20, v22, 0x3a9c54a1
	s_delay_alu instid0(VALU_DEP_1) | instskip(NEXT) | instid1(VALU_DEP_1)
	v_fmaak_f32 v22, v20, v22, 0x3bf2027e
	v_fmaak_f32 v22, v20, v22, 0x3d89f001
	s_delay_alu instid0(VALU_DEP_1) | instskip(SKIP_1) | instid1(VALU_DEP_1)
	v_fmaak_f32 v22, v20, v22, 0x3d9e233f
	v_fmaak_f32 v21, s34, v20, 0x38e28445
	;; [unrolled: 1-line block ×3, first 2 shown]
	s_delay_alu instid0(VALU_DEP_1) | instskip(NEXT) | instid1(VALU_DEP_1)
	v_fmaak_f32 v21, v20, v21, 0x3b3d6ec6
	v_fmaak_f32 v21, v20, v21, 0x3ca89915
	s_delay_alu instid0(VALU_DEP_1) | instskip(NEXT) | instid1(VALU_DEP_1)
	v_fmaak_f32 v21, v20, v21, 0x3ea51a66
	v_mul_f32_e32 v20, v20, v21
	s_delay_alu instid0(VALU_DEP_1) | instskip(NEXT) | instid1(VALU_DEP_1)
	v_fmac_f32_e32 v20, v19, v22
	v_fmac_f32_e32 v20, -0.5, v19
	s_delay_alu instid0(VALU_DEP_1)
	v_add_f32_e32 v17, v17, v20
.LBB15_115:                             ;   in Loop: Header=BB15_4 Depth=1
	s_or_b32 exec_lo, exec_lo, s38
.LBB15_116:                             ;   in Loop: Header=BB15_4 Depth=1
	s_delay_alu instid0(SALU_CYCLE_1)
	s_or_b32 exec_lo, exec_lo, s8
.LBB15_117:                             ;   in Loop: Header=BB15_4 Depth=1
	s_delay_alu instid0(SALU_CYCLE_1)
	s_or_b32 exec_lo, exec_lo, s10
.LBB15_118:                             ;   in Loop: Header=BB15_4 Depth=1
	s_and_not1_saveexec_b32 s8, s9
	s_cbranch_execz .LBB15_120
; %bb.119:                              ;   in Loop: Header=BB15_4 Depth=1
	v_cmp_gt_f32_e64 s9, 0x800000, |v16|
	v_fma_f32 v21, |v16|, s35, 0xbecd26ab
	s_delay_alu instid0(VALU_DEP_2) | instskip(NEXT) | instid1(VALU_DEP_1)
	v_cndmask_b32_e64 v17, 1.0, 0x4f800000, s9
	v_mul_f32_e64 v17, |v16|, v17
	s_delay_alu instid0(VALU_DEP_1) | instskip(SKIP_3) | instid1(VALU_DEP_2)
	v_log_f32_e32 v17, v17
	s_waitcnt_depctr 0xfff
	v_mul_f32_e32 v19, 0x3f317217, v17
	v_cmp_gt_f32_e64 s7, 0x7f800000, |v17|
	v_fma_f32 v20, 0x3f317217, v17, -v19
	s_delay_alu instid0(VALU_DEP_1) | instskip(NEXT) | instid1(VALU_DEP_1)
	v_fmac_f32_e32 v20, 0x3377d1cf, v17
	v_add_f32_e32 v19, v19, v20
	v_fma_f32 v20, |v16|, v21, 0x3f528d33
	s_delay_alu instid0(VALU_DEP_2) | instskip(SKIP_1) | instid1(VALU_DEP_3)
	v_cndmask_b32_e64 v17, v17, v19, s7
	v_cndmask_b32_e64 v19, 0, 0x41b17218, s9
	v_fma_f32 v20, |v16|, v20, 0xbf13c468
	s_delay_alu instid0(VALU_DEP_2) | instskip(NEXT) | instid1(VALU_DEP_1)
	v_sub_f32_e32 v17, v17, v19
	v_fma_f32 v17, |v16|, v20, -v17
.LBB15_120:                             ;   in Loop: Header=BB15_4 Depth=1
	s_or_b32 exec_lo, exec_lo, s8
	v_cmp_le_f32_e64 s7, 0, v16
	s_mov_b32 s9, exec_lo
	v_cmpx_nle_f32_e32 0, v16
	s_xor_b32 s10, exec_lo, s9
	s_cbranch_execz .LBB15_124
; %bb.121:                              ;   in Loop: Header=BB15_4 Depth=1
	v_cmp_gt_f32_e64 s8, 0x4b000000, |v16|
	v_cmp_lt_f32_e64 s9, 0x35000000, |v16|
	s_delay_alu instid0(VALU_DEP_1) | instskip(NEXT) | instid1(SALU_CYCLE_1)
	s_and_b32 s8, s8, s9
	s_and_saveexec_b32 s38, s8
	s_cbranch_execz .LBB15_123
; %bb.122:                              ;   in Loop: Header=BB15_4 Depth=1
	v_mul_f32_e64 v19, |v16|, 0.5
	s_delay_alu instid0(VALU_DEP_1) | instskip(SKIP_1) | instid1(VALU_DEP_2)
	v_floor_f32_e32 v20, v19
	v_cmp_neq_f32_e64 s8, 0x7f800000, v19
	v_sub_f32_e32 v20, v19, v20
	s_delay_alu instid0(VALU_DEP_1) | instskip(NEXT) | instid1(VALU_DEP_1)
	v_min_f32_e32 v20, 0x3f7fffff, v20
	v_add_f32_e32 v20, v20, v20
	s_delay_alu instid0(VALU_DEP_1) | instskip(SKIP_1) | instid1(VALU_DEP_1)
	v_cndmask_b32_e64 v19, 0, v20, s8
	v_cmp_gt_f32_e64 s8, |v16|, 1.0
	v_cndmask_b32_e64 v19, |v16|, v19, s8
	s_delay_alu instid0(VALU_DEP_1) | instskip(NEXT) | instid1(VALU_DEP_1)
	v_add_f32_e32 v20, v19, v19
	v_rndne_f32_e32 v20, v20
	s_delay_alu instid0(VALU_DEP_1) | instskip(SKIP_1) | instid1(VALU_DEP_2)
	v_fmac_f32_e32 v19, -0.5, v20
	v_cvt_i32_f32_e32 v20, v20
	v_mul_f32_e32 v21, v19, v19
	s_delay_alu instid0(VALU_DEP_1) | instskip(SKIP_1) | instid1(VALU_DEP_2)
	v_fmaak_f32 v22, s36, v21, 0xbf1f24be
	v_fmaak_f32 v23, s37, v21, 0x3e642e9d
	;; [unrolled: 1-line block ×3, first 2 shown]
	s_delay_alu instid0(VALU_DEP_2) | instskip(NEXT) | instid1(VALU_DEP_2)
	v_dual_fmaak_f32 v23, v21, v23, 0xbfaad1da :: v_dual_mul_f32 v24, v19, v21
	v_fmaak_f32 v22, v21, v22, 0xc0a55e0e
	s_delay_alu instid0(VALU_DEP_1) | instskip(NEXT) | instid1(VALU_DEP_1)
	v_dual_fmaak_f32 v23, v21, v23, 0x4081e0d3 :: v_dual_mul_f32 v22, v24, v22
	v_dual_fmaak_f32 v23, v21, v23, 0xc09de9e6 :: v_dual_and_b32 v24, 1, v20
	v_lshlrev_b32_e32 v20, 30, v20
	s_delay_alu instid0(VALU_DEP_3) | instskip(NEXT) | instid1(VALU_DEP_3)
	v_fmac_f32_e32 v22, 0x40490fdb, v19
	v_fma_f32 v19, v21, v23, 1.0
	s_delay_alu instid0(VALU_DEP_4) | instskip(NEXT) | instid1(VALU_DEP_4)
	v_cmp_eq_u32_e64 s8, 0, v24
	v_and_or_b32 v18, 0x80000000, v20, v18
	s_delay_alu instid0(VALU_DEP_2) | instskip(NEXT) | instid1(VALU_DEP_1)
	v_cndmask_b32_e64 v19, v19, v22, s8
	v_xor3_b32 v18, v18, v19, v16
	s_delay_alu instid0(VALU_DEP_1) | instskip(NEXT) | instid1(VALU_DEP_1)
	v_mul_f32_e32 v18, v16, v18
	v_frexp_mant_f32_e64 v19, |v18|
	v_frexp_exp_i32_f32_e32 v18, v18
	s_delay_alu instid0(VALU_DEP_2) | instskip(NEXT) | instid1(VALU_DEP_1)
	v_rcp_f32_e32 v19, v19
	v_sub_nc_u32_e32 v18, 2, v18
	s_waitcnt_depctr 0xfff
	v_mul_f32_e32 v19, 0x3f490fdb, v19
	s_delay_alu instid0(VALU_DEP_1) | instskip(NEXT) | instid1(VALU_DEP_1)
	v_ldexp_f32 v18, v19, v18
	v_cmp_gt_f32_e64 s8, 0x800000, v18
	s_delay_alu instid0(VALU_DEP_1) | instskip(NEXT) | instid1(VALU_DEP_1)
	v_cndmask_b32_e64 v19, 1.0, 0x4f800000, s8
	v_mul_f32_e32 v18, v18, v19
	s_delay_alu instid0(VALU_DEP_1) | instskip(SKIP_3) | instid1(VALU_DEP_2)
	v_log_f32_e32 v18, v18
	s_waitcnt_depctr 0xfff
	v_mul_f32_e32 v19, 0x3f317217, v18
	v_cmp_gt_f32_e64 s9, 0x7f800000, |v18|
	v_fma_f32 v20, 0x3f317217, v18, -v19
	s_delay_alu instid0(VALU_DEP_1) | instskip(NEXT) | instid1(VALU_DEP_1)
	v_fmac_f32_e32 v20, 0x3377d1cf, v18
	v_add_f32_e32 v19, v19, v20
	v_floor_f32_e32 v20, v16
	s_delay_alu instid0(VALU_DEP_2) | instskip(SKIP_1) | instid1(VALU_DEP_3)
	v_cndmask_b32_e64 v18, v18, v19, s9
	v_cndmask_b32_e64 v19, 0, 0x41b17218, s8
	v_sub_f32_e32 v20, v16, v20
	s_delay_alu instid0(VALU_DEP_1) | instskip(NEXT) | instid1(VALU_DEP_1)
	v_dual_sub_f32 v18, v18, v19 :: v_dual_min_f32 v19, 0x3f7fffff, v20
	v_sub_f32_e32 v17, v18, v17
	s_delay_alu instid0(VALU_DEP_2) | instskip(NEXT) | instid1(VALU_DEP_1)
	v_cmp_neq_f32_e64 s8, 0, v19
	v_cndmask_b32_e64 v17, 0x7f800000, v17, s8
.LBB15_123:                             ;   in Loop: Header=BB15_4 Depth=1
	s_or_b32 exec_lo, exec_lo, s38
.LBB15_124:                             ;   in Loop: Header=BB15_4 Depth=1
	s_and_not1_saveexec_b32 s10, s10
; %bb.125:                              ;   in Loop: Header=BB15_4 Depth=1
	v_cmp_eq_f32_e64 s8, 1.0, v16
	v_cmp_eq_f32_e64 s9, 2.0, v16
	s_delay_alu instid0(VALU_DEP_1) | instskip(NEXT) | instid1(SALU_CYCLE_1)
	s_or_b32 s8, s8, s9
	v_cndmask_b32_e64 v17, v17, 0, s8
; %bb.126:                              ;   in Loop: Header=BB15_4 Depth=1
	s_or_b32 exec_lo, exec_lo, s10
	v_lshlrev_b32_e32 v14, 16, v14
                                        ; implicit-def: $vgpr19
	s_mov_b32 s9, exec_lo
	s_delay_alu instid0(VALU_DEP_1)
	v_and_b32_e32 v18, 0x7fffffff, v14
	v_cmpx_ngt_f32_e64 0x3c800000, |v14|
	s_xor_b32 s10, exec_lo, s9
	s_cbranch_execz .LBB15_156
; %bb.127:                              ;   in Loop: Header=BB15_4 Depth=1
                                        ; implicit-def: $vgpr19
	s_mov_b32 s9, exec_lo
	v_cmpx_nlt_f32_e64 |v14|, 2.0
	s_xor_b32 s38, exec_lo, s9
	s_cbranch_execz .LBB15_137
; %bb.128:                              ;   in Loop: Header=BB15_4 Depth=1
	s_mov_b32 s9, exec_lo
                                        ; implicit-def: $vgpr19
	v_cmpx_ngt_f32_e64 0x41000000, |v14|
	s_xor_b32 s9, exec_lo, s9
	s_cbranch_execz .LBB15_134
; %bb.129:                              ;   in Loop: Header=BB15_4 Depth=1
	s_mov_b32 s39, exec_lo
                                        ; implicit-def: $vgpr19
	v_cmpx_ngt_f32_e64 0x5c800000, |v14|
	s_xor_b32 s39, exec_lo, s39
	s_cbranch_execz .LBB15_131
; %bb.130:                              ;   in Loop: Header=BB15_4 Depth=1
	v_cmp_gt_f32_e64 s40, 0x800000, |v14|
	s_delay_alu instid0(VALU_DEP_1) | instskip(NEXT) | instid1(VALU_DEP_1)
	v_cndmask_b32_e64 v19, 1.0, 0x4f800000, s40
	v_mul_f32_e64 v19, |v14|, v19
	s_delay_alu instid0(VALU_DEP_1) | instskip(SKIP_3) | instid1(VALU_DEP_2)
	v_log_f32_e32 v19, v19
	s_waitcnt_depctr 0xfff
	v_mul_f32_e32 v20, 0x3f317217, v19
	v_cmp_gt_f32_e64 s8, 0x7f800000, |v19|
	v_fma_f32 v21, 0x3f317217, v19, -v20
	s_delay_alu instid0(VALU_DEP_1) | instskip(NEXT) | instid1(VALU_DEP_1)
	v_fmac_f32_e32 v21, 0x3377d1cf, v19
	v_add_f32_e32 v20, v20, v21
	s_delay_alu instid0(VALU_DEP_1) | instskip(SKIP_1) | instid1(VALU_DEP_1)
	v_cndmask_b32_e64 v19, v19, v20, s8
	v_cndmask_b32_e64 v20, 0, 0x41b17218, s40
	v_sub_f32_e32 v19, v19, v20
	s_delay_alu instid0(VALU_DEP_1)
	v_fma_f32 v19, |v14|, v19, -|v14|
.LBB15_131:                             ;   in Loop: Header=BB15_4 Depth=1
	s_and_not1_saveexec_b32 s39, s39
	s_cbranch_execz .LBB15_133
; %bb.132:                              ;   in Loop: Header=BB15_4 Depth=1
	v_cmp_gt_f32_e64 s40, 0x800000, |v14|
	v_rcp_f32_e64 v20, |v14|
	s_delay_alu instid0(VALU_DEP_1) | instskip(NEXT) | instid1(VALU_DEP_1)
	v_cndmask_b32_e64 v19, 1.0, 0x4f800000, s40
	v_mul_f32_e64 v19, |v14|, v19
	s_delay_alu instid0(VALU_DEP_1) | instskip(SKIP_3) | instid1(VALU_DEP_2)
	v_log_f32_e32 v19, v19
	s_waitcnt_depctr 0xfff
	v_dual_mul_f32 v21, v20, v20 :: v_dual_mul_f32 v22, 0x3f317217, v19
	v_cmp_gt_f32_e64 s8, 0x7f800000, |v19|
	v_fma_f32 v24, 0x3f317217, v19, -v22
	s_delay_alu instid0(VALU_DEP_1) | instskip(NEXT) | instid1(VALU_DEP_1)
	v_fmac_f32_e32 v24, 0x3377d1cf, v19
	v_dual_fmaak_f32 v23, s24, v21, 0x3a5b3dd2 :: v_dual_add_f32 v22, v22, v24
	s_delay_alu instid0(VALU_DEP_1) | instskip(SKIP_1) | instid1(VALU_DEP_1)
	v_cndmask_b32_e64 v19, v19, v22, s8
	v_cndmask_b32_e64 v22, 0, 0x41b17218, s40
	v_dual_fmaak_f32 v23, v21, v23, 0xba1c065c :: v_dual_sub_f32 v22, v19, v22
	s_delay_alu instid0(VALU_DEP_1) | instskip(NEXT) | instid1(VALU_DEP_1)
	v_fmaak_f32 v23, v21, v23, 0x3a500cfd
	v_fmaak_f32 v23, v21, v23, 0xbb360b61
	s_delay_alu instid0(VALU_DEP_1) | instskip(NEXT) | instid1(VALU_DEP_1)
	v_fmaak_f32 v21, v21, v23, 0x3daaaaab
	v_fmaak_f32 v19, v20, v21, 0x3ed67f1d
	v_add_f32_e64 v20, |v14|, -0.5
	v_add_f32_e32 v21, -1.0, v22
	s_delay_alu instid0(VALU_DEP_1)
	v_fmac_f32_e32 v19, v20, v21
.LBB15_133:                             ;   in Loop: Header=BB15_4 Depth=1
	s_or_b32 exec_lo, exec_lo, s39
.LBB15_134:                             ;   in Loop: Header=BB15_4 Depth=1
	s_and_not1_saveexec_b32 s39, s9
	s_cbranch_execz .LBB15_136
; %bb.135:                              ;   in Loop: Header=BB15_4 Depth=1
	v_cvt_i32_f32_e32 v19, v18
	s_delay_alu instid0(VALU_DEP_1) | instskip(SKIP_1) | instid1(VALU_DEP_2)
	v_cvt_f32_i32_e32 v20, v19
	v_cmp_lt_i32_e64 s8, 2, v19
	v_sub_f32_e64 v20, |v14|, v20
	s_delay_alu instid0(VALU_DEP_1) | instskip(SKIP_2) | instid1(VALU_DEP_3)
	v_add_f32_e32 v21, 2.0, v20
	v_add_f32_e32 v22, 0x40400000, v20
	v_add_f32_e32 v23, 4.0, v20
	v_cndmask_b32_e64 v21, 1.0, v21, s8
	v_cmp_lt_i32_e64 s8, 3, v19
	s_delay_alu instid0(VALU_DEP_1) | instskip(SKIP_1) | instid1(VALU_DEP_2)
	v_cndmask_b32_e64 v22, 1.0, v22, s8
	v_cmp_lt_i32_e64 s8, 4, v19
	v_dual_add_f32 v24, 0x40a00000, v20 :: v_dual_mul_f32 v21, v21, v22
	s_delay_alu instid0(VALU_DEP_2) | instskip(SKIP_1) | instid1(VALU_DEP_2)
	v_cndmask_b32_e64 v23, 1.0, v23, s8
	v_cmp_lt_i32_e64 s8, 5, v19
	v_mul_f32_e32 v21, v23, v21
	s_delay_alu instid0(VALU_DEP_2) | instskip(SKIP_3) | instid1(VALU_DEP_4)
	v_cndmask_b32_e64 v24, 1.0, v24, s8
	v_add_f32_e32 v22, 0x40c00000, v20
	v_cmp_lt_i32_e64 s8, 6, v19
	v_fmaak_f32 v23, s25, v20, 0x3af135b4
	v_mul_f32_e32 v21, v24, v21
	s_delay_alu instid0(VALU_DEP_3) | instskip(NEXT) | instid1(VALU_DEP_1)
	v_cndmask_b32_e64 v19, 1.0, v22, s8
	v_mul_f32_e32 v19, v19, v21
	s_delay_alu instid0(VALU_DEP_1) | instskip(NEXT) | instid1(VALU_DEP_1)
	v_cmp_gt_f32_e64 s8, 0x800000, v19
	v_cndmask_b32_e64 v22, 1.0, 0x4f800000, s8
	s_delay_alu instid0(VALU_DEP_1) | instskip(NEXT) | instid1(VALU_DEP_1)
	v_dual_mul_f32 v19, v19, v22 :: v_dual_fmaak_f32 v22, v20, v23, 0x3cda40e4
	v_log_f32_e32 v19, v19
	s_delay_alu instid0(VALU_DEP_1) | instskip(NEXT) | instid1(VALU_DEP_1)
	v_fmaak_f32 v22, v20, v22, 0x3e15dce6
	v_fmaak_f32 v22, v20, v22, 0x3ea6cc7a
	s_waitcnt_depctr 0xfff
	v_mul_f32_e32 v23, 0x3f317217, v19
	v_cmp_gt_f32_e64 s9, 0x7f800000, |v19|
	s_delay_alu instid0(VALU_DEP_2) | instskip(NEXT) | instid1(VALU_DEP_1)
	v_fma_f32 v24, 0x3f317217, v19, -v23
	v_fmac_f32_e32 v24, 0x3377d1cf, v19
	s_delay_alu instid0(VALU_DEP_1) | instskip(NEXT) | instid1(VALU_DEP_1)
	v_dual_fmaak_f32 v22, v20, v22, 0x3e5c245a :: v_dual_add_f32 v23, v23, v24
	v_fmaak_f32 v22, v20, v22, 0xbd9e233f
	v_fmaak_f32 v21, s26, v20, 0x3a4beed6
	s_delay_alu instid0(VALU_DEP_3) | instskip(NEXT) | instid1(VALU_DEP_3)
	v_cndmask_b32_e64 v19, v19, v23, s9
	v_mul_f32_e32 v22, v20, v22
	s_delay_alu instid0(VALU_DEP_3) | instskip(NEXT) | instid1(VALU_DEP_1)
	v_fmaak_f32 v21, v20, v21, 0x3c98bf54
	v_fmaak_f32 v21, v20, v21, 0x3e300f6e
	s_delay_alu instid0(VALU_DEP_1) | instskip(NEXT) | instid1(VALU_DEP_1)
	v_fmaak_f32 v21, v20, v21, 0x3f38d0c5
	v_fmaak_f32 v21, v20, v21, 0x3fb22d3b
	s_delay_alu instid0(VALU_DEP_1) | instskip(NEXT) | instid1(VALU_DEP_1)
	v_fma_f32 v21, v20, v21, 1.0
	v_rcp_f32_e32 v21, v21
	s_waitcnt_depctr 0xfff
	v_mul_f32_e32 v21, v22, v21
	v_cndmask_b32_e64 v22, 0, 0x41b17218, s8
	s_delay_alu instid0(VALU_DEP_2) | instskip(NEXT) | instid1(VALU_DEP_2)
	v_fmac_f32_e32 v21, 0.5, v20
	v_sub_f32_e32 v19, v19, v22
	s_delay_alu instid0(VALU_DEP_1)
	v_add_f32_e32 v19, v19, v21
.LBB15_136:                             ;   in Loop: Header=BB15_4 Depth=1
	s_or_b32 exec_lo, exec_lo, s39
.LBB15_137:                             ;   in Loop: Header=BB15_4 Depth=1
	s_and_not1_saveexec_b32 s38, s38
	s_cbranch_execz .LBB15_155
; %bb.138:                              ;   in Loop: Header=BB15_4 Depth=1
                                        ; implicit-def: $vgpr19
                                        ; implicit-def: $vgpr21
                                        ; implicit-def: $vgpr20
	s_mov_b32 s9, exec_lo
	v_cmpx_ge_f32_e64 0x3f666666, |v14|
	s_xor_b32 s39, exec_lo, s9
	s_cbranch_execz .LBB15_140
; %bb.139:                              ;   in Loop: Header=BB15_4 Depth=1
	v_cmp_gt_f32_e64 s9, 0x800000, |v14|
	v_sub_f32_e64 v22, 1.0, |v14|
	v_cmp_gt_f32_e64 s8, 0x3f3b4a23, |v14|
	s_delay_alu instid0(VALU_DEP_3) | instskip(SKIP_1) | instid1(VALU_DEP_2)
	v_cndmask_b32_e64 v19, 1.0, 0x4f800000, s9
	v_cndmask_b32_e64 v23, 0, 0x41b17218, s9
	v_mul_f32_e64 v19, |v14|, v19
	s_delay_alu instid0(VALU_DEP_1) | instskip(SKIP_3) | instid1(VALU_DEP_2)
	v_log_f32_e32 v19, v19
	s_waitcnt_depctr 0xfff
	v_mul_f32_e32 v20, 0x3f317217, v19
	v_cmp_gt_f32_e64 s9, 0x7f800000, |v19|
	v_fma_f32 v21, 0x3f317217, v19, -v20
	s_delay_alu instid0(VALU_DEP_1) | instskip(NEXT) | instid1(VALU_DEP_1)
	v_fmac_f32_e32 v21, 0x3377d1cf, v19
	v_add_f32_e32 v20, v20, v21
	v_add_f32_e64 v21, 0xbeec5b0c, |v14|
	s_delay_alu instid0(VALU_DEP_2) | instskip(NEXT) | instid1(VALU_DEP_2)
	v_cndmask_b32_e64 v19, v19, v20, s9
	v_cndmask_b32_e64 v20, v22, v21, s8
	;; [unrolled: 1-line block ×3, first 2 shown]
	v_cmp_gt_f32_e64 s8, 0x3e6d3309, |v14|
	s_delay_alu instid0(VALU_DEP_4) | instskip(NEXT) | instid1(VALU_DEP_2)
	v_sub_f32_e32 v19, v19, v23
	v_cndmask_b32_e64 v20, v20, |v14|, s8
	s_delay_alu instid0(VALU_DEP_4) | instskip(NEXT) | instid1(VALU_DEP_3)
	v_cndmask_b32_e64 v21, v21, 2, s8
	v_xor_b32_e32 v19, 0x80000000, v19
.LBB15_140:                             ;   in Loop: Header=BB15_4 Depth=1
	s_and_not1_saveexec_b32 s9, s39
; %bb.141:                              ;   in Loop: Header=BB15_4 Depth=1
	v_sub_f32_e64 v19, 2.0, |v14|
	v_add_f32_e64 v20, 0xbfbb16c3, |v14|
	v_cmp_gt_f32_e64 s8, 0x3fdda512, |v14|
	v_add_f32_e64 v21, |v14|, -1.0
	s_delay_alu instid0(VALU_DEP_2) | instskip(SKIP_2) | instid1(VALU_DEP_2)
	v_cndmask_b32_e64 v20, v19, v20, s8
	v_cndmask_b32_e64 v19, v19, 1.0, s8
	v_cmp_gt_f32_e64 s8, 0x3f9d70a4, |v14|
	v_cvt_i32_f32_e32 v19, v19
	s_delay_alu instid0(VALU_DEP_2) | instskip(NEXT) | instid1(VALU_DEP_2)
	v_cndmask_b32_e64 v20, v20, v21, s8
	v_cndmask_b32_e64 v21, v19, 2, s8
	v_mov_b32_e32 v19, 0
; %bb.142:                              ;   in Loop: Header=BB15_4 Depth=1
	s_or_b32 exec_lo, exec_lo, s9
	s_delay_alu instid0(SALU_CYCLE_1) | instskip(NEXT) | instid1(VALU_DEP_2)
	s_mov_b32 s9, exec_lo
	v_cmpx_lt_i32_e32 0, v21
	s_xor_b32 s9, exec_lo, s9
	s_cbranch_execz .LBB15_150
; %bb.143:                              ;   in Loop: Header=BB15_4 Depth=1
	s_mov_b32 s39, exec_lo
	v_cmpx_lt_i32_e32 1, v21
	s_xor_b32 s39, exec_lo, s39
	s_cbranch_execz .LBB15_147
; %bb.144:                              ;   in Loop: Header=BB15_4 Depth=1
	s_mov_b32 s40, exec_lo
	v_cmpx_eq_u32_e32 2, v21
	s_cbranch_execz .LBB15_146
; %bb.145:                              ;   in Loop: Header=BB15_4 Depth=1
	v_fmaak_f32 v22, s27, v20, 0x3e6a7578
	s_delay_alu instid0(VALU_DEP_1) | instskip(NEXT) | instid1(VALU_DEP_1)
	v_fmaak_f32 v22, v20, v22, 0x3f7a4bb2
	v_fmaak_f32 v22, v20, v22, 0x3fba3ae7
	s_delay_alu instid0(VALU_DEP_1) | instskip(NEXT) | instid1(VALU_DEP_1)
	v_fmaak_f32 v22, v20, v22, 0x3f2200f4
	v_fmaak_f32 v22, v20, v22, 0xbd9e233f
	s_delay_alu instid0(VALU_DEP_1) | instskip(NEXT) | instid1(VALU_DEP_1)
	v_dual_fmaak_f32 v21, s28, v20, 0x3dd572af :: v_dual_mul_f32 v22, v20, v22
	v_fmaak_f32 v21, v20, v21, 0x3f44efdf
	s_delay_alu instid0(VALU_DEP_1) | instskip(NEXT) | instid1(VALU_DEP_1)
	v_fmaak_f32 v21, v20, v21, 0x4008392d
	v_fmaak_f32 v21, v20, v21, 0x401d2ebe
	s_delay_alu instid0(VALU_DEP_1) | instskip(NEXT) | instid1(VALU_DEP_1)
	v_fma_f32 v21, v20, v21, 1.0
	v_rcp_f32_e32 v21, v21
	s_waitcnt_depctr 0xfff
	v_mul_f32_e32 v21, v22, v21
	s_delay_alu instid0(VALU_DEP_1) | instskip(NEXT) | instid1(VALU_DEP_1)
	v_fmac_f32_e32 v21, -0.5, v20
	v_add_f32_e32 v19, v19, v21
.LBB15_146:                             ;   in Loop: Header=BB15_4 Depth=1
	s_or_b32 exec_lo, exec_lo, s40
                                        ; implicit-def: $vgpr20
.LBB15_147:                             ;   in Loop: Header=BB15_4 Depth=1
	s_and_not1_saveexec_b32 s8, s39
	s_cbranch_execz .LBB15_149
; %bb.148:                              ;   in Loop: Header=BB15_4 Depth=1
	v_mul_f32_e32 v21, v20, v20
	s_delay_alu instid0(VALU_DEP_1) | instskip(NEXT) | instid1(VALU_DEP_1)
	v_mul_f32_e32 v22, v20, v21
	v_fmaak_f32 v23, s30, v22, 0x3a66f867
	v_fmaak_f32 v24, s31, v22, 0xba0d3085
	;; [unrolled: 1-line block ×3, first 2 shown]
	s_delay_alu instid0(VALU_DEP_3) | instskip(NEXT) | instid1(VALU_DEP_3)
	v_fmaak_f32 v23, v22, v23, 0xbb7177fe
	v_fmaak_f32 v24, v22, v24, 0x3b141699
	s_delay_alu instid0(VALU_DEP_3) | instskip(NEXT) | instid1(VALU_DEP_3)
	v_fmaak_f32 v25, v22, v25, 0x3bc7e707
	v_fmaak_f32 v23, v22, v23, 0x3c93373d
	;; [unrolled: 3-line block ×4, first 2 shown]
	s_delay_alu instid0(VALU_DEP_1) | instskip(NEXT) | instid1(VALU_DEP_1)
	v_dual_fmac_f32 v23, v20, v24 :: v_dual_fmaak_f32 v20, v22, v25, 0x3ef7b95e
	v_fma_f32 v22, v22, -v23, 0xa2863e55
	s_delay_alu instid0(VALU_DEP_1) | instskip(NEXT) | instid1(VALU_DEP_1)
	v_fma_f32 v20, v21, v20, -v22
	v_add_f32_e32 v20, 0xbdf8cdce, v20
	s_delay_alu instid0(VALU_DEP_1)
	v_add_f32_e32 v19, v19, v20
.LBB15_149:                             ;   in Loop: Header=BB15_4 Depth=1
	s_or_b32 exec_lo, exec_lo, s8
                                        ; implicit-def: $vgpr21
                                        ; implicit-def: $vgpr20
.LBB15_150:                             ;   in Loop: Header=BB15_4 Depth=1
	s_and_not1_saveexec_b32 s9, s9
	s_cbranch_execz .LBB15_154
; %bb.151:                              ;   in Loop: Header=BB15_4 Depth=1
	s_mov_b32 s39, exec_lo
	v_cmpx_eq_u32_e32 0, v21
	s_cbranch_execz .LBB15_153
; %bb.152:                              ;   in Loop: Header=BB15_4 Depth=1
	v_mul_f32_e32 v21, v20, v20
	s_delay_alu instid0(VALU_DEP_1) | instskip(NEXT) | instid1(VALU_DEP_1)
	v_fmaak_f32 v23, s33, v21, 0x39679767
	v_fmaak_f32 v23, v21, v23, 0x3a9c54a1
	s_delay_alu instid0(VALU_DEP_1) | instskip(NEXT) | instid1(VALU_DEP_1)
	v_fmaak_f32 v23, v21, v23, 0x3bf2027e
	v_fmaak_f32 v23, v21, v23, 0x3d89f001
	s_delay_alu instid0(VALU_DEP_1) | instskip(SKIP_1) | instid1(VALU_DEP_1)
	v_fmaak_f32 v23, v21, v23, 0x3d9e233f
	v_fmaak_f32 v22, s34, v21, 0x38e28445
	;; [unrolled: 1-line block ×3, first 2 shown]
	s_delay_alu instid0(VALU_DEP_1) | instskip(NEXT) | instid1(VALU_DEP_1)
	v_fmaak_f32 v22, v21, v22, 0x3b3d6ec6
	v_fmaak_f32 v22, v21, v22, 0x3ca89915
	s_delay_alu instid0(VALU_DEP_1) | instskip(NEXT) | instid1(VALU_DEP_1)
	v_fmaak_f32 v22, v21, v22, 0x3ea51a66
	v_mul_f32_e32 v21, v21, v22
	s_delay_alu instid0(VALU_DEP_1) | instskip(NEXT) | instid1(VALU_DEP_1)
	v_fmac_f32_e32 v21, v20, v23
	v_fmac_f32_e32 v21, -0.5, v20
	s_delay_alu instid0(VALU_DEP_1)
	v_add_f32_e32 v19, v19, v21
.LBB15_153:                             ;   in Loop: Header=BB15_4 Depth=1
	s_or_b32 exec_lo, exec_lo, s39
.LBB15_154:                             ;   in Loop: Header=BB15_4 Depth=1
	s_delay_alu instid0(SALU_CYCLE_1)
	s_or_b32 exec_lo, exec_lo, s9
.LBB15_155:                             ;   in Loop: Header=BB15_4 Depth=1
	s_delay_alu instid0(SALU_CYCLE_1)
	s_or_b32 exec_lo, exec_lo, s38
.LBB15_156:                             ;   in Loop: Header=BB15_4 Depth=1
	s_and_not1_saveexec_b32 s9, s10
	s_cbranch_execz .LBB15_158
; %bb.157:                              ;   in Loop: Header=BB15_4 Depth=1
	v_cmp_gt_f32_e64 s10, 0x800000, |v14|
	v_fma_f32 v22, |v14|, s35, 0xbecd26ab
	s_delay_alu instid0(VALU_DEP_2) | instskip(NEXT) | instid1(VALU_DEP_1)
	v_cndmask_b32_e64 v19, 1.0, 0x4f800000, s10
	v_mul_f32_e64 v19, |v14|, v19
	s_delay_alu instid0(VALU_DEP_1) | instskip(SKIP_3) | instid1(VALU_DEP_2)
	v_log_f32_e32 v19, v19
	s_waitcnt_depctr 0xfff
	v_mul_f32_e32 v20, 0x3f317217, v19
	v_cmp_gt_f32_e64 s8, 0x7f800000, |v19|
	v_fma_f32 v21, 0x3f317217, v19, -v20
	s_delay_alu instid0(VALU_DEP_1) | instskip(NEXT) | instid1(VALU_DEP_1)
	v_fmac_f32_e32 v21, 0x3377d1cf, v19
	v_add_f32_e32 v20, v20, v21
	v_fma_f32 v21, |v14|, v22, 0x3f528d33
	s_delay_alu instid0(VALU_DEP_2) | instskip(SKIP_1) | instid1(VALU_DEP_3)
	v_cndmask_b32_e64 v19, v19, v20, s8
	v_cndmask_b32_e64 v20, 0, 0x41b17218, s10
	v_fma_f32 v21, |v14|, v21, 0xbf13c468
	s_delay_alu instid0(VALU_DEP_2) | instskip(NEXT) | instid1(VALU_DEP_1)
	v_sub_f32_e32 v19, v19, v20
	v_fma_f32 v19, |v14|, v21, -v19
.LBB15_158:                             ;   in Loop: Header=BB15_4 Depth=1
	s_or_b32 exec_lo, exec_lo, s9
	v_cmp_le_f32_e64 s8, 0, v14
	s_mov_b32 s10, exec_lo
	v_cmpx_nle_f32_e32 0, v14
	s_xor_b32 s38, exec_lo, s10
	s_cbranch_execnz .LBB15_164
; %bb.159:                              ;   in Loop: Header=BB15_4 Depth=1
	s_and_not1_saveexec_b32 s38, s38
	s_cbranch_execnz .LBB15_167
.LBB15_160:                             ;   in Loop: Header=BB15_4 Depth=1
	s_or_b32 exec_lo, exec_lo, s38
	s_and_saveexec_b32 s9, s4
	s_delay_alu instid0(SALU_CYCLE_1)
	s_xor_b32 s9, exec_lo, s9
	s_cbranch_execnz .LBB15_168
.LBB15_161:                             ;   in Loop: Header=BB15_4 Depth=1
	s_or_b32 exec_lo, exec_lo, s9
	s_and_saveexec_b32 s4, s3
	s_cbranch_execnz .LBB15_169
.LBB15_162:                             ;   in Loop: Header=BB15_4 Depth=1
	s_or_b32 exec_lo, exec_lo, s4
	s_and_saveexec_b32 s3, s2
	s_cbranch_execnz .LBB15_170
.LBB15_163:                             ;   in Loop: Header=BB15_4 Depth=1
	s_or_b32 exec_lo, exec_lo, s3
	s_and_saveexec_b32 s2, vcc_lo
	s_cbranch_execz .LBB15_3
	s_branch .LBB15_171
.LBB15_164:                             ;   in Loop: Header=BB15_4 Depth=1
	v_cmp_gt_f32_e64 s9, 0x4b000000, |v14|
	v_cmp_lt_f32_e64 s10, 0x35000000, |v14|
	s_delay_alu instid0(VALU_DEP_1) | instskip(NEXT) | instid1(SALU_CYCLE_1)
	s_and_b32 s9, s9, s10
	s_and_saveexec_b32 s39, s9
	s_cbranch_execz .LBB15_166
; %bb.165:                              ;   in Loop: Header=BB15_4 Depth=1
	v_mul_f32_e64 v20, |v14|, 0.5
	s_delay_alu instid0(VALU_DEP_1) | instskip(SKIP_1) | instid1(VALU_DEP_2)
	v_floor_f32_e32 v21, v20
	v_cmp_neq_f32_e64 s9, 0x7f800000, v20
	v_sub_f32_e32 v21, v20, v21
	s_delay_alu instid0(VALU_DEP_1) | instskip(NEXT) | instid1(VALU_DEP_1)
	v_min_f32_e32 v21, 0x3f7fffff, v21
	v_add_f32_e32 v21, v21, v21
	s_delay_alu instid0(VALU_DEP_1) | instskip(SKIP_1) | instid1(VALU_DEP_1)
	v_cndmask_b32_e64 v20, 0, v21, s9
	v_cmp_gt_f32_e64 s9, |v14|, 1.0
	v_cndmask_b32_e64 v20, |v14|, v20, s9
	s_delay_alu instid0(VALU_DEP_1) | instskip(NEXT) | instid1(VALU_DEP_1)
	v_add_f32_e32 v21, v20, v20
	v_rndne_f32_e32 v21, v21
	s_delay_alu instid0(VALU_DEP_1) | instskip(SKIP_1) | instid1(VALU_DEP_2)
	v_fmac_f32_e32 v20, -0.5, v21
	v_cvt_i32_f32_e32 v21, v21
	v_mul_f32_e32 v22, v20, v20
	s_delay_alu instid0(VALU_DEP_1) | instskip(SKIP_1) | instid1(VALU_DEP_2)
	v_fmaak_f32 v23, s36, v22, 0xbf1f24be
	v_fmaak_f32 v24, s37, v22, 0x3e642e9d
	;; [unrolled: 1-line block ×3, first 2 shown]
	s_delay_alu instid0(VALU_DEP_2) | instskip(NEXT) | instid1(VALU_DEP_2)
	v_dual_fmaak_f32 v24, v22, v24, 0xbfaad1da :: v_dual_mul_f32 v25, v20, v22
	v_fmaak_f32 v23, v22, v23, 0xc0a55e0e
	s_delay_alu instid0(VALU_DEP_1) | instskip(NEXT) | instid1(VALU_DEP_1)
	v_dual_fmaak_f32 v24, v22, v24, 0x4081e0d3 :: v_dual_mul_f32 v23, v25, v23
	v_dual_fmaak_f32 v24, v22, v24, 0xc09de9e6 :: v_dual_and_b32 v25, 1, v21
	v_lshlrev_b32_e32 v21, 30, v21
	s_delay_alu instid0(VALU_DEP_3) | instskip(NEXT) | instid1(VALU_DEP_3)
	v_fmac_f32_e32 v23, 0x40490fdb, v20
	v_fma_f32 v20, v22, v24, 1.0
	s_delay_alu instid0(VALU_DEP_4) | instskip(NEXT) | instid1(VALU_DEP_4)
	v_cmp_eq_u32_e64 s9, 0, v25
	v_and_or_b32 v18, 0x80000000, v21, v18
	s_delay_alu instid0(VALU_DEP_2) | instskip(NEXT) | instid1(VALU_DEP_1)
	v_cndmask_b32_e64 v20, v20, v23, s9
	v_xor3_b32 v18, v18, v20, v14
	s_delay_alu instid0(VALU_DEP_1) | instskip(NEXT) | instid1(VALU_DEP_1)
	v_mul_f32_e32 v18, v14, v18
	v_frexp_mant_f32_e64 v20, |v18|
	v_frexp_exp_i32_f32_e32 v18, v18
	s_delay_alu instid0(VALU_DEP_2) | instskip(NEXT) | instid1(VALU_DEP_1)
	v_rcp_f32_e32 v20, v20
	v_sub_nc_u32_e32 v18, 2, v18
	s_waitcnt_depctr 0xfff
	v_mul_f32_e32 v20, 0x3f490fdb, v20
	s_delay_alu instid0(VALU_DEP_1) | instskip(NEXT) | instid1(VALU_DEP_1)
	v_ldexp_f32 v18, v20, v18
	v_cmp_gt_f32_e64 s9, 0x800000, v18
	s_delay_alu instid0(VALU_DEP_1) | instskip(NEXT) | instid1(VALU_DEP_1)
	v_cndmask_b32_e64 v20, 1.0, 0x4f800000, s9
	v_mul_f32_e32 v18, v18, v20
	s_delay_alu instid0(VALU_DEP_1) | instskip(SKIP_3) | instid1(VALU_DEP_2)
	v_log_f32_e32 v18, v18
	s_waitcnt_depctr 0xfff
	v_mul_f32_e32 v20, 0x3f317217, v18
	v_cmp_gt_f32_e64 s10, 0x7f800000, |v18|
	v_fma_f32 v21, 0x3f317217, v18, -v20
	s_delay_alu instid0(VALU_DEP_1) | instskip(NEXT) | instid1(VALU_DEP_1)
	v_fmac_f32_e32 v21, 0x3377d1cf, v18
	v_add_f32_e32 v20, v20, v21
	v_floor_f32_e32 v21, v14
	s_delay_alu instid0(VALU_DEP_2) | instskip(SKIP_1) | instid1(VALU_DEP_3)
	v_cndmask_b32_e64 v18, v18, v20, s10
	v_cndmask_b32_e64 v20, 0, 0x41b17218, s9
	v_sub_f32_e32 v21, v14, v21
	s_delay_alu instid0(VALU_DEP_2) | instskip(NEXT) | instid1(VALU_DEP_2)
	v_sub_f32_e32 v18, v18, v20
	v_min_f32_e32 v20, 0x3f7fffff, v21
	s_delay_alu instid0(VALU_DEP_2) | instskip(NEXT) | instid1(VALU_DEP_2)
	v_sub_f32_e32 v18, v18, v19
	v_cmp_neq_f32_e64 s9, 0, v20
	s_delay_alu instid0(VALU_DEP_1)
	v_cndmask_b32_e64 v19, 0x7f800000, v18, s9
.LBB15_166:                             ;   in Loop: Header=BB15_4 Depth=1
	s_or_b32 exec_lo, exec_lo, s39
	s_and_not1_saveexec_b32 s38, s38
	s_cbranch_execz .LBB15_160
.LBB15_167:                             ;   in Loop: Header=BB15_4 Depth=1
	v_cmp_eq_f32_e64 s9, 1.0, v14
	v_cmp_eq_f32_e64 s10, 2.0, v14
	s_delay_alu instid0(VALU_DEP_1) | instskip(NEXT) | instid1(SALU_CYCLE_1)
	s_or_b32 s9, s9, s10
	v_cndmask_b32_e64 v19, v19, 0, s9
	s_or_b32 exec_lo, exec_lo, s38
	s_and_saveexec_b32 s9, s4
	s_delay_alu instid0(SALU_CYCLE_1)
	s_xor_b32 s9, exec_lo, s9
	s_cbranch_execz .LBB15_161
.LBB15_168:                             ;   in Loop: Header=BB15_4 Depth=1
	v_cmp_gt_f32_e64 s4, 0x4b000000, |v11|
	s_delay_alu instid0(VALU_DEP_1) | instskip(NEXT) | instid1(SALU_CYCLE_1)
	s_or_b32 s4, s5, s4
	v_cndmask_b32_e64 v12, 0x7f800000, v12, s4
	v_cmp_class_f32_e64 s4, v11, 0x264
	s_delay_alu instid0(VALU_DEP_1) | instskip(SKIP_1) | instid1(VALU_DEP_1)
	v_cndmask_b32_e64 v12, v12, 0x7f800000, s4
	v_cmp_u_f32_e64 s4, v11, v11
	v_cndmask_b32_e64 v11, v12, v11, s4
	s_delay_alu instid0(VALU_DEP_1) | instskip(SKIP_1) | instid1(VALU_DEP_2)
	v_bfe_u32 v12, v11, 16, 1
	v_cmp_o_f32_e64 s4, v11, v11
	v_add3_u32 v12, v11, v12, 0x7fff
	s_delay_alu instid0(VALU_DEP_1) | instskip(NEXT) | instid1(VALU_DEP_1)
	v_lshrrev_b32_e32 v12, 16, v12
	v_cndmask_b32_e64 v11, 0x7fc0, v12, s4
	global_store_b16 v[1:2], v11, off
	s_or_b32 exec_lo, exec_lo, s9
	s_and_saveexec_b32 s4, s3
	s_cbranch_execz .LBB15_162
.LBB15_169:                             ;   in Loop: Header=BB15_4 Depth=1
	v_cmp_gt_f32_e64 s3, 0x4b000000, |v13|
	s_delay_alu instid0(VALU_DEP_1) | instskip(NEXT) | instid1(SALU_CYCLE_1)
	s_or_b32 s3, s6, s3
	v_cndmask_b32_e64 v11, 0x7f800000, v15, s3
	v_cmp_class_f32_e64 s3, v13, 0x264
	s_delay_alu instid0(VALU_DEP_1) | instskip(SKIP_1) | instid1(VALU_DEP_1)
	v_cndmask_b32_e64 v11, v11, 0x7f800000, s3
	v_cmp_u_f32_e64 s3, v13, v13
	v_cndmask_b32_e64 v11, v11, v13, s3
	s_delay_alu instid0(VALU_DEP_1) | instskip(SKIP_1) | instid1(VALU_DEP_2)
	v_bfe_u32 v12, v11, 16, 1
	v_cmp_o_f32_e64 s3, v11, v11
	v_add3_u32 v12, v11, v12, 0x7fff
	s_delay_alu instid0(VALU_DEP_1) | instskip(NEXT) | instid1(VALU_DEP_1)
	v_lshrrev_b32_e32 v12, 16, v12
	v_cndmask_b32_e64 v11, 0x7fc0, v12, s3
	global_store_b16 v[3:4], v11, off
	s_or_b32 exec_lo, exec_lo, s4
	s_and_saveexec_b32 s3, s2
	s_cbranch_execz .LBB15_163
.LBB15_170:                             ;   in Loop: Header=BB15_4 Depth=1
	v_cmp_gt_f32_e64 s2, 0x4b000000, |v16|
	s_delay_alu instid0(VALU_DEP_1) | instskip(NEXT) | instid1(SALU_CYCLE_1)
	s_or_b32 s2, s7, s2
	v_cndmask_b32_e64 v11, 0x7f800000, v17, s2
	v_cmp_class_f32_e64 s2, v16, 0x264
	s_delay_alu instid0(VALU_DEP_1) | instskip(SKIP_1) | instid1(VALU_DEP_1)
	v_cndmask_b32_e64 v11, v11, 0x7f800000, s2
	v_cmp_u_f32_e64 s2, v16, v16
	v_cndmask_b32_e64 v11, v11, v16, s2
	s_delay_alu instid0(VALU_DEP_1) | instskip(SKIP_1) | instid1(VALU_DEP_2)
	v_bfe_u32 v12, v11, 16, 1
	v_cmp_o_f32_e64 s2, v11, v11
	v_add3_u32 v12, v11, v12, 0x7fff
	s_delay_alu instid0(VALU_DEP_1) | instskip(NEXT) | instid1(VALU_DEP_1)
	v_lshrrev_b32_e32 v12, 16, v12
	v_cndmask_b32_e64 v13, 0x7fc0, v12, s2
	v_add_co_u32 v11, s2, v1, s11
	s_delay_alu instid0(VALU_DEP_1)
	v_add_co_ci_u32_e64 v12, s2, 0, v2, s2
	global_store_b16 v[11:12], v13, off
	s_or_b32 exec_lo, exec_lo, s3
	s_and_saveexec_b32 s2, vcc_lo
	s_cbranch_execz .LBB15_3
.LBB15_171:                             ;   in Loop: Header=BB15_4 Depth=1
	v_cmp_gt_f32_e64 s3, 0x4b000000, |v14|
	s_delay_alu instid0(VALU_DEP_1) | instskip(SKIP_3) | instid1(VALU_DEP_2)
	s_or_b32 vcc_lo, s8, s3
	v_cmp_class_f32_e64 s3, v14, 0x264
	v_cndmask_b32_e32 v11, 0x7f800000, v19, vcc_lo
	v_cmp_u_f32_e32 vcc_lo, v14, v14
	v_cndmask_b32_e64 v11, v11, 0x7f800000, s3
	s_delay_alu instid0(VALU_DEP_1) | instskip(NEXT) | instid1(VALU_DEP_1)
	v_cndmask_b32_e32 v11, v11, v14, vcc_lo
	v_bfe_u32 v12, v11, 16, 1
	v_cmp_o_f32_e32 vcc_lo, v11, v11
	s_delay_alu instid0(VALU_DEP_2) | instskip(NEXT) | instid1(VALU_DEP_1)
	v_add3_u32 v12, v11, v12, 0x7fff
	v_lshrrev_b32_e32 v12, 16, v12
	s_delay_alu instid0(VALU_DEP_1)
	v_cndmask_b32_e32 v13, 0x7fc0, v12, vcc_lo
	v_add_co_u32 v11, vcc_lo, v1, s22
	v_add_co_ci_u32_e32 v12, vcc_lo, 0, v2, vcc_lo
	global_store_b16 v[11:12], v13, off
	s_branch .LBB15_3
.LBB15_172:
	s_cbranch_execz .LBB15_174
	s_branch .LBB15_329
.LBB15_173:
.LBB15_174:
	v_dual_mov_b32 v2, 0 :: v_dual_lshlrev_b32 v1, 2, v0
	s_mov_b32 s5, 0
	s_mov_b32 s2, exec_lo
	s_delay_alu instid0(VALU_DEP_1)
	v_cmpx_gt_i64_e64 s[12:13], v[1:2]
	s_cbranch_execz .LBB15_329
; %bb.175:
	s_load_b32 s0, s[0:1], 0xd3c
	v_lshlrev_b32_e32 v3, 3, v0
	s_mov_b32 s6, 0xbad5c4e8
	s_mov_b32 s7, 0x3805ff67
	s_mov_b32 s8, 0x36f5d7bd
	s_mov_b32 s9, 0x3c5b3c5e
	s_mov_b32 s10, 0x3b52d5db
	s_mov_b32 s11, 0x39a57b6b
	s_mov_b32 s18, 0xb9a3f927
	s_mov_b32 s19, 0x39afe9f7
	s_mov_b32 s20, 0x37d383a2
	s_mov_b32 s21, 0x3e75aa41
	s_mov_b32 s22, 0x3d4be544
	s_waitcnt lgkmcnt(0)
	s_and_b32 s0, s0, 0xffff
	s_add_u32 s1, s14, s16
	s_addc_u32 s2, s15, s17
	s_lshl_b32 s14, s0, 3
	v_add_lshl_u32 v1, v0, s0, 2
	s_lshl_b32 s15, s0, 2
	v_add_co_u32 v3, s0, s1, v3
	s_delay_alu instid0(VALU_DEP_1)
	v_add_co_ci_u32_e64 v4, null, s2, 0, s0
	s_mov_b32 s16, 0x383c2c75
	s_mov_b32 s17, 0x3e8a8991
	s_branch .LBB15_177
.LBB15_176:                             ;   in Loop: Header=BB15_177 Depth=1
	s_or_b32 exec_lo, exec_lo, s23
	v_cmp_gt_f32_e64 s3, 0x4b000000, |v5|
	v_cmp_gt_f32_e64 s4, 0x4b000000, |v8|
	;; [unrolled: 1-line block ×3, first 2 shown]
	s_delay_alu instid0(VALU_DEP_3) | instskip(NEXT) | instid1(VALU_DEP_2)
	s_or_b32 s1, s1, s3
	s_or_b32 s0, s0, s4
	v_cndmask_b32_e64 v10, 0x7f800000, v10, s1
	v_cmp_gt_f32_e64 s1, 0x4b000000, |v6|
	v_cndmask_b32_e64 v9, 0x7f800000, v9, s0
	v_cmp_class_f32_e64 s0, v5, 0x264
	s_or_b32 vcc_lo, vcc_lo, s23
	v_cndmask_b32_e32 v7, 0x7f800000, v7, vcc_lo
	s_or_b32 vcc_lo, s2, s1
	s_delay_alu instid0(VALU_DEP_2) | instskip(SKIP_3) | instid1(VALU_DEP_1)
	v_cndmask_b32_e64 v10, v10, 0x7f800000, s0
	v_cndmask_b32_e32 v11, 0x7f800000, v12, vcc_lo
	v_cmp_u_f32_e32 vcc_lo, v5, v5
	v_cmp_class_f32_e64 s0, v8, 0x264
	v_cndmask_b32_e64 v9, v9, 0x7f800000, s0
	v_cndmask_b32_e32 v5, v10, v5, vcc_lo
	v_cmp_class_f32_e64 s0, v0, 0x264
	v_cmp_u_f32_e32 vcc_lo, v8, v8
	s_delay_alu instid0(VALU_DEP_2)
	v_cndmask_b32_e64 v7, v7, 0x7f800000, s0
	v_cndmask_b32_e32 v8, v9, v8, vcc_lo
	v_cmp_u_f32_e32 vcc_lo, v0, v0
	v_cmp_class_f32_e64 s0, v6, 0x264
	v_bfe_u32 v9, v5, 16, 1
	v_cndmask_b32_e32 v0, v7, v0, vcc_lo
	v_bfe_u32 v7, v8, 16, 1
	s_delay_alu instid0(VALU_DEP_4)
	v_cndmask_b32_e64 v10, v11, 0x7f800000, s0
	v_cmp_u_f32_e32 vcc_lo, v6, v6
	v_add3_u32 v9, v5, v9, 0x7fff
	v_cmp_lt_u64_e64 s0, 0xffff, v[1:2]
	v_add3_u32 v7, v8, v7, 0x7fff
	v_cndmask_b32_e32 v6, v10, v6, vcc_lo
	v_cmp_o_f32_e32 vcc_lo, v8, v8
	v_lshrrev_b32_e32 v9, 16, v9
	s_delay_alu instid0(VALU_DEP_4) | instskip(SKIP_2) | instid1(VALU_DEP_3)
	v_and_b32_e32 v7, 0xffff0000, v7
	v_bfe_u32 v10, v0, 16, 1
	v_bfe_u32 v11, v6, 16, 1
	v_cndmask_b32_e32 v7, 0x7fc00000, v7, vcc_lo
	s_delay_alu instid0(VALU_DEP_3) | instskip(NEXT) | instid1(VALU_DEP_3)
	v_add3_u32 v10, v0, v10, 0x7fff
	v_add3_u32 v11, v6, v11, 0x7fff
	v_cmp_o_f32_e32 vcc_lo, v0, v0
	s_delay_alu instid0(VALU_DEP_3) | instskip(NEXT) | instid1(VALU_DEP_3)
	v_lshrrev_b32_e32 v10, 16, v10
	v_and_b32_e32 v11, 0xffff0000, v11
	s_delay_alu instid0(VALU_DEP_2) | instskip(SKIP_1) | instid1(VALU_DEP_2)
	v_cndmask_b32_e32 v0, 0x7fc0, v10, vcc_lo
	v_cmp_o_f32_e32 vcc_lo, v6, v6
	v_or_b32_e32 v0, v7, v0
	s_delay_alu instid0(VALU_DEP_4) | instskip(SKIP_3) | instid1(VALU_DEP_2)
	v_cndmask_b32_e32 v6, 0x7fc00000, v11, vcc_lo
	v_cmp_o_f32_e32 vcc_lo, v5, v5
	v_cndmask_b32_e32 v5, 0x7fc0, v9, vcc_lo
	v_cmp_le_i64_e32 vcc_lo, s[12:13], v[1:2]
	v_or3_b32 v6, 0, v5, v6
	v_or3_b32 v5, v0, 0, 0
	s_or_b32 s0, vcc_lo, s0
	s_delay_alu instid0(SALU_CYCLE_1)
	s_and_b32 s0, exec_lo, s0
	global_store_b64 v[3:4], v[5:6], off
	v_add_co_u32 v3, vcc_lo, v3, s14
	v_add_co_ci_u32_e32 v4, vcc_lo, 0, v4, vcc_lo
	v_add_co_u32 v1, vcc_lo, v1, s15
	v_add_co_ci_u32_e32 v2, vcc_lo, 0, v2, vcc_lo
	s_or_b32 s5, s0, s5
	s_delay_alu instid0(SALU_CYCLE_1)
	s_and_not1_b32 exec_lo, exec_lo, s5
	s_cbranch_execz .LBB15_329
.LBB15_177:                             ; =>This Inner Loop Header: Depth=1
	global_load_b64 v[5:6], v[3:4], off
	s_mov_b32 s1, exec_lo
                                        ; implicit-def: $vgpr7
	s_waitcnt vmcnt(0)
	v_lshlrev_b32_e32 v0, 16, v5
	s_delay_alu instid0(VALU_DEP_1)
	v_and_b32_e32 v8, 0x7fffffff, v0
	v_cmpx_ngt_f32_e64 0x3c800000, |v0|
	s_xor_b32 s1, exec_lo, s1
	s_cbranch_execz .LBB15_207
; %bb.178:                              ;   in Loop: Header=BB15_177 Depth=1
	s_mov_b32 s2, exec_lo
                                        ; implicit-def: $vgpr7
	v_cmpx_nlt_f32_e64 |v0|, 2.0
	s_xor_b32 s2, exec_lo, s2
	s_cbranch_execz .LBB15_188
; %bb.179:                              ;   in Loop: Header=BB15_177 Depth=1
	v_cmp_ngt_f32_e64 s0, 0x41000000, |v0|
                                        ; implicit-def: $vgpr7
	s_delay_alu instid0(VALU_DEP_1) | instskip(NEXT) | instid1(SALU_CYCLE_1)
	s_and_saveexec_b32 s3, s0
	s_xor_b32 s0, exec_lo, s3
	s_cbranch_execz .LBB15_185
; %bb.180:                              ;   in Loop: Header=BB15_177 Depth=1
	v_cmp_ngt_f32_e64 s3, 0x5c800000, |v0|
                                        ; implicit-def: $vgpr7
	s_delay_alu instid0(VALU_DEP_1) | instskip(NEXT) | instid1(SALU_CYCLE_1)
	s_and_saveexec_b32 s4, s3
	s_xor_b32 s3, exec_lo, s4
	s_cbranch_execz .LBB15_182
; %bb.181:                              ;   in Loop: Header=BB15_177 Depth=1
	v_cmp_gt_f32_e64 s4, 0x800000, |v0|
	s_delay_alu instid0(VALU_DEP_1) | instskip(NEXT) | instid1(VALU_DEP_1)
	v_cndmask_b32_e64 v7, 1.0, 0x4f800000, s4
	v_mul_f32_e64 v7, |v0|, v7
	s_delay_alu instid0(VALU_DEP_1) | instskip(SKIP_3) | instid1(VALU_DEP_2)
	v_log_f32_e32 v7, v7
	s_waitcnt_depctr 0xfff
	v_mul_f32_e32 v9, 0x3f317217, v7
	v_cmp_gt_f32_e64 vcc_lo, 0x7f800000, |v7|
	v_fma_f32 v10, 0x3f317217, v7, -v9
	s_delay_alu instid0(VALU_DEP_1) | instskip(NEXT) | instid1(VALU_DEP_1)
	v_fmac_f32_e32 v10, 0x3377d1cf, v7
	v_add_f32_e32 v9, v9, v10
	s_delay_alu instid0(VALU_DEP_1) | instskip(SKIP_1) | instid1(VALU_DEP_1)
	v_cndmask_b32_e32 v7, v7, v9, vcc_lo
	v_cndmask_b32_e64 v9, 0, 0x41b17218, s4
	v_sub_f32_e32 v7, v7, v9
	s_delay_alu instid0(VALU_DEP_1)
	v_fma_f32 v7, |v0|, v7, -|v0|
.LBB15_182:                             ;   in Loop: Header=BB15_177 Depth=1
	s_and_not1_saveexec_b32 s3, s3
	s_cbranch_execz .LBB15_184
; %bb.183:                              ;   in Loop: Header=BB15_177 Depth=1
	v_cmp_gt_f32_e64 s4, 0x800000, |v0|
	v_rcp_f32_e64 v9, |v0|
	s_delay_alu instid0(VALU_DEP_1) | instskip(NEXT) | instid1(VALU_DEP_1)
	v_cndmask_b32_e64 v7, 1.0, 0x4f800000, s4
	v_mul_f32_e64 v7, |v0|, v7
	s_delay_alu instid0(VALU_DEP_1) | instskip(SKIP_3) | instid1(VALU_DEP_2)
	v_log_f32_e32 v7, v7
	s_waitcnt_depctr 0xfff
	v_dual_mul_f32 v10, v9, v9 :: v_dual_mul_f32 v11, 0x3f317217, v7
	v_cmp_gt_f32_e64 vcc_lo, 0x7f800000, |v7|
	v_fma_f32 v13, 0x3f317217, v7, -v11
	s_delay_alu instid0(VALU_DEP_1) | instskip(NEXT) | instid1(VALU_DEP_1)
	v_fmac_f32_e32 v13, 0x3377d1cf, v7
	v_dual_fmaak_f32 v12, s6, v10, 0x3a5b3dd2 :: v_dual_add_f32 v11, v11, v13
	s_delay_alu instid0(VALU_DEP_1) | instskip(SKIP_1) | instid1(VALU_DEP_1)
	v_dual_fmaak_f32 v12, v10, v12, 0xba1c065c :: v_dual_cndmask_b32 v7, v7, v11
	v_cndmask_b32_e64 v11, 0, 0x41b17218, s4
	v_dual_fmaak_f32 v12, v10, v12, 0x3a500cfd :: v_dual_sub_f32 v11, v7, v11
	s_delay_alu instid0(VALU_DEP_1) | instskip(NEXT) | instid1(VALU_DEP_1)
	v_fmaak_f32 v12, v10, v12, 0xbb360b61
	v_fmaak_f32 v10, v10, v12, 0x3daaaaab
	s_delay_alu instid0(VALU_DEP_1) | instskip(SKIP_1) | instid1(VALU_DEP_1)
	v_dual_fmaak_f32 v7, v9, v10, 0x3ed67f1d :: v_dual_add_f32 v10, -1.0, v11
	v_add_f32_e64 v9, |v0|, -0.5
	v_fmac_f32_e32 v7, v9, v10
.LBB15_184:                             ;   in Loop: Header=BB15_177 Depth=1
	s_or_b32 exec_lo, exec_lo, s3
.LBB15_185:                             ;   in Loop: Header=BB15_177 Depth=1
	s_and_not1_saveexec_b32 s3, s0
	s_cbranch_execz .LBB15_187
; %bb.186:                              ;   in Loop: Header=BB15_177 Depth=1
	v_cvt_i32_f32_e32 v7, v8
	s_delay_alu instid0(VALU_DEP_1) | instskip(SKIP_1) | instid1(VALU_DEP_2)
	v_cvt_f32_i32_e32 v9, v7
	v_cmp_lt_i32_e32 vcc_lo, 2, v7
	v_sub_f32_e64 v9, |v0|, v9
	s_delay_alu instid0(VALU_DEP_1) | instskip(SKIP_1) | instid1(VALU_DEP_1)
	v_add_f32_e32 v11, 0x40400000, v9
	v_add_f32_e32 v10, 2.0, v9
	v_cndmask_b32_e32 v10, 1.0, v10, vcc_lo
	v_cmp_lt_i32_e32 vcc_lo, 3, v7
	s_delay_alu instid0(VALU_DEP_4) | instskip(SKIP_1) | instid1(VALU_DEP_2)
	v_cndmask_b32_e32 v11, 1.0, v11, vcc_lo
	v_cmp_lt_i32_e32 vcc_lo, 4, v7
	v_dual_mul_f32 v10, v10, v11 :: v_dual_add_f32 v11, 0x40c00000, v9
	v_add_f32_e32 v12, 4.0, v9
	s_delay_alu instid0(VALU_DEP_1) | instskip(SKIP_1) | instid1(VALU_DEP_2)
	v_dual_add_f32 v13, 0x40a00000, v9 :: v_dual_cndmask_b32 v12, 1.0, v12
	v_cmp_lt_i32_e32 vcc_lo, 5, v7
	v_dual_mul_f32 v10, v12, v10 :: v_dual_cndmask_b32 v13, 1.0, v13
	v_cmp_lt_i32_e32 vcc_lo, 6, v7
	v_fmaak_f32 v12, s7, v9, 0x3af135b4
	s_delay_alu instid0(VALU_DEP_3) | instskip(NEXT) | instid1(VALU_DEP_1)
	v_dual_mul_f32 v10, v13, v10 :: v_dual_cndmask_b32 v7, 1.0, v11
	v_dual_mul_f32 v7, v7, v10 :: v_dual_fmaak_f32 v10, s8, v9, 0x3a4beed6
	s_delay_alu instid0(VALU_DEP_1) | instskip(SKIP_1) | instid1(VALU_DEP_1)
	v_cmp_gt_f32_e32 vcc_lo, 0x800000, v7
	v_cndmask_b32_e64 v11, 1.0, 0x4f800000, vcc_lo
	v_mul_f32_e32 v7, v7, v11
	v_fmaak_f32 v11, v9, v12, 0x3cda40e4
	s_delay_alu instid0(VALU_DEP_2) | instskip(SKIP_3) | instid1(VALU_DEP_2)
	v_log_f32_e32 v7, v7
	s_waitcnt_depctr 0xfff
	v_mul_f32_e32 v12, 0x3f317217, v7
	v_cmp_gt_f32_e64 s0, 0x7f800000, |v7|
	v_fma_f32 v13, 0x3f317217, v7, -v12
	s_delay_alu instid0(VALU_DEP_1) | instskip(NEXT) | instid1(VALU_DEP_1)
	v_fmac_f32_e32 v13, 0x3377d1cf, v7
	v_dual_add_f32 v12, v12, v13 :: v_dual_fmaak_f32 v11, v9, v11, 0x3e15dce6
	s_delay_alu instid0(VALU_DEP_1) | instskip(SKIP_1) | instid1(VALU_DEP_3)
	v_cndmask_b32_e64 v7, v7, v12, s0
	v_fmaak_f32 v10, v9, v10, 0x3c98bf54
	v_fmaak_f32 v11, v9, v11, 0x3ea6cc7a
	s_delay_alu instid0(VALU_DEP_2) | instskip(NEXT) | instid1(VALU_DEP_2)
	v_fmaak_f32 v10, v9, v10, 0x3e300f6e
	v_fmaak_f32 v11, v9, v11, 0x3e5c245a
	s_delay_alu instid0(VALU_DEP_2) | instskip(NEXT) | instid1(VALU_DEP_2)
	;; [unrolled: 3-line block ×3, first 2 shown]
	v_fmaak_f32 v10, v9, v10, 0x3fb22d3b
	v_mul_f32_e32 v11, v9, v11
	s_delay_alu instid0(VALU_DEP_2) | instskip(NEXT) | instid1(VALU_DEP_1)
	v_fma_f32 v10, v9, v10, 1.0
	v_rcp_f32_e32 v10, v10
	s_waitcnt_depctr 0xfff
	v_mul_f32_e32 v10, v11, v10
	v_cndmask_b32_e64 v11, 0, 0x41b17218, vcc_lo
	s_delay_alu instid0(VALU_DEP_1) | instskip(NEXT) | instid1(VALU_DEP_1)
	v_dual_fmac_f32 v10, 0.5, v9 :: v_dual_sub_f32 v7, v7, v11
	v_add_f32_e32 v7, v7, v10
.LBB15_187:                             ;   in Loop: Header=BB15_177 Depth=1
	s_or_b32 exec_lo, exec_lo, s3
.LBB15_188:                             ;   in Loop: Header=BB15_177 Depth=1
	s_and_not1_saveexec_b32 s2, s2
	s_cbranch_execz .LBB15_206
; %bb.189:                              ;   in Loop: Header=BB15_177 Depth=1
	s_mov_b32 s3, exec_lo
                                        ; implicit-def: $vgpr7
                                        ; implicit-def: $vgpr10
                                        ; implicit-def: $vgpr9
	v_cmpx_ge_f32_e64 0x3f666666, |v0|
	s_xor_b32 s3, exec_lo, s3
	s_cbranch_execz .LBB15_191
; %bb.190:                              ;   in Loop: Header=BB15_177 Depth=1
	v_cmp_gt_f32_e64 s0, 0x800000, |v0|
	v_sub_f32_e64 v11, 1.0, |v0|
	v_cmp_gt_f32_e64 vcc_lo, 0x3f3b4a23, |v0|
	s_delay_alu instid0(VALU_DEP_3) | instskip(SKIP_1) | instid1(VALU_DEP_2)
	v_cndmask_b32_e64 v7, 1.0, 0x4f800000, s0
	v_cndmask_b32_e64 v12, 0, 0x41b17218, s0
	v_mul_f32_e64 v7, |v0|, v7
	s_delay_alu instid0(VALU_DEP_1) | instskip(SKIP_3) | instid1(VALU_DEP_2)
	v_log_f32_e32 v7, v7
	s_waitcnt_depctr 0xfff
	v_mul_f32_e32 v9, 0x3f317217, v7
	v_cmp_gt_f32_e64 s0, 0x7f800000, |v7|
	v_fma_f32 v10, 0x3f317217, v7, -v9
	s_delay_alu instid0(VALU_DEP_1) | instskip(NEXT) | instid1(VALU_DEP_1)
	v_fmac_f32_e32 v10, 0x3377d1cf, v7
	v_add_f32_e32 v9, v9, v10
	v_add_f32_e64 v10, 0xbeec5b0c, |v0|
	s_delay_alu instid0(VALU_DEP_2) | instskip(NEXT) | instid1(VALU_DEP_2)
	v_cndmask_b32_e64 v7, v7, v9, s0
	v_cndmask_b32_e32 v9, v11, v10, vcc_lo
	v_cndmask_b32_e64 v10, 0, 1, vcc_lo
	v_cmp_gt_f32_e64 s0, 0x3e6d3309, |v0|
	s_delay_alu instid0(VALU_DEP_4) | instskip(NEXT) | instid1(VALU_DEP_2)
	v_sub_f32_e32 v7, v7, v12
	v_cndmask_b32_e64 v9, v9, |v0|, s0
	s_delay_alu instid0(VALU_DEP_4) | instskip(NEXT) | instid1(VALU_DEP_3)
	v_cndmask_b32_e64 v10, v10, 2, s0
	v_xor_b32_e32 v7, 0x80000000, v7
.LBB15_191:                             ;   in Loop: Header=BB15_177 Depth=1
	s_and_not1_saveexec_b32 s0, s3
; %bb.192:                              ;   in Loop: Header=BB15_177 Depth=1
	v_sub_f32_e64 v7, 2.0, |v0|
	v_add_f32_e64 v9, 0xbfbb16c3, |v0|
	v_cmp_gt_f32_e64 vcc_lo, 0x3fdda512, |v0|
	v_add_f32_e64 v10, |v0|, -1.0
	s_delay_alu instid0(VALU_DEP_3) | instskip(NEXT) | instid1(VALU_DEP_3)
	v_cndmask_b32_e32 v9, v7, v9, vcc_lo
	v_cndmask_b32_e64 v7, v7, 1.0, vcc_lo
	v_cmp_gt_f32_e64 vcc_lo, 0x3f9d70a4, |v0|
	s_delay_alu instid0(VALU_DEP_2) | instskip(NEXT) | instid1(VALU_DEP_4)
	v_cvt_i32_f32_e32 v7, v7
	v_cndmask_b32_e32 v9, v9, v10, vcc_lo
	s_delay_alu instid0(VALU_DEP_2)
	v_cndmask_b32_e64 v10, v7, 2, vcc_lo
	v_mov_b32_e32 v7, 0
; %bb.193:                              ;   in Loop: Header=BB15_177 Depth=1
	s_or_b32 exec_lo, exec_lo, s0
	s_delay_alu instid0(SALU_CYCLE_1) | instskip(NEXT) | instid1(VALU_DEP_2)
	s_mov_b32 s0, exec_lo
	v_cmpx_lt_i32_e32 0, v10
	s_xor_b32 s0, exec_lo, s0
	s_cbranch_execz .LBB15_201
; %bb.194:                              ;   in Loop: Header=BB15_177 Depth=1
	s_mov_b32 s3, exec_lo
	v_cmpx_lt_i32_e32 1, v10
	s_xor_b32 s3, exec_lo, s3
	s_cbranch_execz .LBB15_198
; %bb.195:                              ;   in Loop: Header=BB15_177 Depth=1
	s_mov_b32 s4, exec_lo
	v_cmpx_eq_u32_e32 2, v10
	s_cbranch_execz .LBB15_197
; %bb.196:                              ;   in Loop: Header=BB15_177 Depth=1
	v_fmaak_f32 v11, s9, v9, 0x3e6a7578
	s_delay_alu instid0(VALU_DEP_1) | instskip(NEXT) | instid1(VALU_DEP_1)
	v_fmaak_f32 v11, v9, v11, 0x3f7a4bb2
	v_fmaak_f32 v11, v9, v11, 0x3fba3ae7
	s_delay_alu instid0(VALU_DEP_1) | instskip(NEXT) | instid1(VALU_DEP_1)
	v_fmaak_f32 v11, v9, v11, 0x3f2200f4
	v_fmaak_f32 v11, v9, v11, 0xbd9e233f
	s_delay_alu instid0(VALU_DEP_1) | instskip(NEXT) | instid1(VALU_DEP_1)
	v_dual_fmaak_f32 v10, s10, v9, 0x3dd572af :: v_dual_mul_f32 v11, v9, v11
	v_fmaak_f32 v10, v9, v10, 0x3f44efdf
	s_delay_alu instid0(VALU_DEP_1) | instskip(NEXT) | instid1(VALU_DEP_1)
	v_fmaak_f32 v10, v9, v10, 0x4008392d
	v_fmaak_f32 v10, v9, v10, 0x401d2ebe
	s_delay_alu instid0(VALU_DEP_1) | instskip(NEXT) | instid1(VALU_DEP_1)
	v_fma_f32 v10, v9, v10, 1.0
	v_rcp_f32_e32 v10, v10
	s_waitcnt_depctr 0xfff
	v_mul_f32_e32 v10, v11, v10
	s_delay_alu instid0(VALU_DEP_1) | instskip(NEXT) | instid1(VALU_DEP_1)
	v_fmac_f32_e32 v10, -0.5, v9
	v_add_f32_e32 v7, v7, v10
.LBB15_197:                             ;   in Loop: Header=BB15_177 Depth=1
	s_or_b32 exec_lo, exec_lo, s4
                                        ; implicit-def: $vgpr9
.LBB15_198:                             ;   in Loop: Header=BB15_177 Depth=1
	s_and_not1_saveexec_b32 s3, s3
	s_cbranch_execz .LBB15_200
; %bb.199:                              ;   in Loop: Header=BB15_177 Depth=1
	v_mul_f32_e32 v10, v9, v9
	s_delay_alu instid0(VALU_DEP_1) | instskip(NEXT) | instid1(VALU_DEP_1)
	v_mul_f32_e32 v11, v9, v10
	v_fmaak_f32 v13, s19, v11, 0xba0d3085
	v_fmaak_f32 v12, s18, v11, 0x3a66f867
	;; [unrolled: 1-line block ×3, first 2 shown]
	s_delay_alu instid0(VALU_DEP_3) | instskip(NEXT) | instid1(VALU_DEP_3)
	v_fmaak_f32 v13, v11, v13, 0x3b141699
	v_fmaak_f32 v12, v11, v12, 0xbb7177fe
	s_delay_alu instid0(VALU_DEP_3) | instskip(NEXT) | instid1(VALU_DEP_3)
	v_fmaak_f32 v14, v11, v14, 0x3bc7e707
	v_fmaak_f32 v13, v11, v13, 0xbc28fcfe
	;; [unrolled: 3-line block ×4, first 2 shown]
	s_delay_alu instid0(VALU_DEP_1) | instskip(NEXT) | instid1(VALU_DEP_1)
	v_dual_fmac_f32 v12, v9, v13 :: v_dual_fmaak_f32 v9, v11, v14, 0x3ef7b95e
	v_fma_f32 v11, v11, -v12, 0xa2863e55
	s_delay_alu instid0(VALU_DEP_1) | instskip(NEXT) | instid1(VALU_DEP_1)
	v_fma_f32 v9, v10, v9, -v11
	v_add_f32_e32 v9, 0xbdf8cdce, v9
	s_delay_alu instid0(VALU_DEP_1)
	v_add_f32_e32 v7, v7, v9
.LBB15_200:                             ;   in Loop: Header=BB15_177 Depth=1
	s_or_b32 exec_lo, exec_lo, s3
                                        ; implicit-def: $vgpr10
                                        ; implicit-def: $vgpr9
.LBB15_201:                             ;   in Loop: Header=BB15_177 Depth=1
	s_and_not1_saveexec_b32 s0, s0
	s_cbranch_execz .LBB15_205
; %bb.202:                              ;   in Loop: Header=BB15_177 Depth=1
	s_mov_b32 s3, exec_lo
	v_cmpx_eq_u32_e32 0, v10
	s_cbranch_execz .LBB15_204
; %bb.203:                              ;   in Loop: Header=BB15_177 Depth=1
	v_mul_f32_e32 v10, v9, v9
	s_delay_alu instid0(VALU_DEP_1) | instskip(NEXT) | instid1(VALU_DEP_1)
	v_fmaak_f32 v12, s20, v10, 0x39679767
	v_fmaak_f32 v12, v10, v12, 0x3a9c54a1
	s_delay_alu instid0(VALU_DEP_1) | instskip(NEXT) | instid1(VALU_DEP_1)
	v_fmaak_f32 v12, v10, v12, 0x3bf2027e
	v_fmaak_f32 v12, v10, v12, 0x3d89f001
	s_delay_alu instid0(VALU_DEP_1) | instskip(SKIP_1) | instid1(VALU_DEP_1)
	v_fmaak_f32 v12, v10, v12, 0x3d9e233f
	v_fmaak_f32 v11, s16, v10, 0x38e28445
	;; [unrolled: 1-line block ×3, first 2 shown]
	s_delay_alu instid0(VALU_DEP_1) | instskip(NEXT) | instid1(VALU_DEP_1)
	v_fmaak_f32 v11, v10, v11, 0x3b3d6ec6
	v_fmaak_f32 v11, v10, v11, 0x3ca89915
	s_delay_alu instid0(VALU_DEP_1) | instskip(NEXT) | instid1(VALU_DEP_1)
	v_fmaak_f32 v11, v10, v11, 0x3ea51a66
	v_mul_f32_e32 v10, v10, v11
	s_delay_alu instid0(VALU_DEP_1) | instskip(NEXT) | instid1(VALU_DEP_1)
	v_fmac_f32_e32 v10, v9, v12
	v_fmac_f32_e32 v10, -0.5, v9
	s_delay_alu instid0(VALU_DEP_1)
	v_add_f32_e32 v7, v7, v10
.LBB15_204:                             ;   in Loop: Header=BB15_177 Depth=1
	s_or_b32 exec_lo, exec_lo, s3
.LBB15_205:                             ;   in Loop: Header=BB15_177 Depth=1
	s_delay_alu instid0(SALU_CYCLE_1)
	s_or_b32 exec_lo, exec_lo, s0
.LBB15_206:                             ;   in Loop: Header=BB15_177 Depth=1
	s_delay_alu instid0(SALU_CYCLE_1)
	s_or_b32 exec_lo, exec_lo, s2
.LBB15_207:                             ;   in Loop: Header=BB15_177 Depth=1
	s_and_not1_saveexec_b32 s0, s1
	s_cbranch_execz .LBB15_209
; %bb.208:                              ;   in Loop: Header=BB15_177 Depth=1
	v_cmp_gt_f32_e64 s1, 0x800000, |v0|
	v_fma_f32 v11, |v0|, s17, 0xbecd26ab
	s_delay_alu instid0(VALU_DEP_2) | instskip(NEXT) | instid1(VALU_DEP_1)
	v_cndmask_b32_e64 v7, 1.0, 0x4f800000, s1
	v_mul_f32_e64 v7, |v0|, v7
	s_delay_alu instid0(VALU_DEP_1) | instskip(SKIP_3) | instid1(VALU_DEP_2)
	v_log_f32_e32 v7, v7
	s_waitcnt_depctr 0xfff
	v_mul_f32_e32 v9, 0x3f317217, v7
	v_cmp_gt_f32_e64 vcc_lo, 0x7f800000, |v7|
	v_fma_f32 v10, 0x3f317217, v7, -v9
	s_delay_alu instid0(VALU_DEP_1) | instskip(NEXT) | instid1(VALU_DEP_1)
	v_fmac_f32_e32 v10, 0x3377d1cf, v7
	v_add_f32_e32 v9, v9, v10
	v_fma_f32 v10, |v0|, v11, 0x3f528d33
	s_delay_alu instid0(VALU_DEP_2) | instskip(SKIP_1) | instid1(VALU_DEP_3)
	v_cndmask_b32_e32 v7, v7, v9, vcc_lo
	v_cndmask_b32_e64 v9, 0, 0x41b17218, s1
	v_fma_f32 v10, |v0|, v10, 0xbf13c468
	s_delay_alu instid0(VALU_DEP_2) | instskip(NEXT) | instid1(VALU_DEP_1)
	v_sub_f32_e32 v7, v7, v9
	v_fma_f32 v7, |v0|, v10, -v7
.LBB15_209:                             ;   in Loop: Header=BB15_177 Depth=1
	s_or_b32 exec_lo, exec_lo, s0
	v_cmp_le_f32_e32 vcc_lo, 0, v0
	s_mov_b32 s1, exec_lo
	v_cmpx_nle_f32_e32 0, v0
	s_xor_b32 s2, exec_lo, s1
	s_cbranch_execz .LBB15_213
; %bb.210:                              ;   in Loop: Header=BB15_177 Depth=1
	v_cmp_gt_f32_e64 s0, 0x4b000000, |v0|
	v_cmp_lt_f32_e64 s1, 0x35000000, |v0|
	s_delay_alu instid0(VALU_DEP_1) | instskip(NEXT) | instid1(SALU_CYCLE_1)
	s_and_b32 s0, s0, s1
	s_and_saveexec_b32 s3, s0
	s_cbranch_execz .LBB15_212
; %bb.211:                              ;   in Loop: Header=BB15_177 Depth=1
	v_mul_f32_e64 v9, |v0|, 0.5
	s_delay_alu instid0(VALU_DEP_1) | instskip(SKIP_1) | instid1(VALU_DEP_2)
	v_floor_f32_e32 v10, v9
	v_cmp_neq_f32_e64 s0, 0x7f800000, v9
	v_sub_f32_e32 v10, v9, v10
	s_delay_alu instid0(VALU_DEP_1) | instskip(NEXT) | instid1(VALU_DEP_1)
	v_min_f32_e32 v10, 0x3f7fffff, v10
	v_add_f32_e32 v10, v10, v10
	s_delay_alu instid0(VALU_DEP_1) | instskip(SKIP_1) | instid1(VALU_DEP_1)
	v_cndmask_b32_e64 v9, 0, v10, s0
	v_cmp_gt_f32_e64 s0, |v0|, 1.0
	v_cndmask_b32_e64 v9, |v0|, v9, s0
	s_delay_alu instid0(VALU_DEP_1) | instskip(NEXT) | instid1(VALU_DEP_1)
	v_add_f32_e32 v10, v9, v9
	v_rndne_f32_e32 v10, v10
	s_delay_alu instid0(VALU_DEP_1) | instskip(SKIP_1) | instid1(VALU_DEP_2)
	v_fmac_f32_e32 v9, -0.5, v10
	v_cvt_i32_f32_e32 v10, v10
	v_mul_f32_e32 v11, v9, v9
	s_delay_alu instid0(VALU_DEP_1) | instskip(SKIP_1) | instid1(VALU_DEP_2)
	v_fmaak_f32 v12, s21, v11, 0xbf1f24be
	v_fmaak_f32 v13, s22, v11, 0x3e642e9d
	;; [unrolled: 1-line block ×3, first 2 shown]
	s_delay_alu instid0(VALU_DEP_2) | instskip(NEXT) | instid1(VALU_DEP_2)
	v_dual_fmaak_f32 v13, v11, v13, 0xbfaad1da :: v_dual_mul_f32 v14, v9, v11
	v_fmaak_f32 v12, v11, v12, 0xc0a55e0e
	s_delay_alu instid0(VALU_DEP_1) | instskip(NEXT) | instid1(VALU_DEP_1)
	v_dual_fmaak_f32 v13, v11, v13, 0x4081e0d3 :: v_dual_mul_f32 v12, v14, v12
	v_dual_fmaak_f32 v13, v11, v13, 0xc09de9e6 :: v_dual_and_b32 v14, 1, v10
	v_lshlrev_b32_e32 v10, 30, v10
	s_delay_alu instid0(VALU_DEP_3) | instskip(NEXT) | instid1(VALU_DEP_3)
	v_fmac_f32_e32 v12, 0x40490fdb, v9
	v_fma_f32 v9, v11, v13, 1.0
	s_delay_alu instid0(VALU_DEP_4) | instskip(NEXT) | instid1(VALU_DEP_4)
	v_cmp_eq_u32_e64 s0, 0, v14
	v_and_or_b32 v8, 0x80000000, v10, v8
	s_delay_alu instid0(VALU_DEP_2) | instskip(NEXT) | instid1(VALU_DEP_1)
	v_cndmask_b32_e64 v9, v9, v12, s0
	v_xor3_b32 v8, v8, v9, v0
	s_delay_alu instid0(VALU_DEP_1) | instskip(NEXT) | instid1(VALU_DEP_1)
	v_mul_f32_e32 v8, v0, v8
	v_frexp_mant_f32_e64 v9, |v8|
	v_frexp_exp_i32_f32_e32 v8, v8
	s_delay_alu instid0(VALU_DEP_2) | instskip(NEXT) | instid1(VALU_DEP_1)
	v_rcp_f32_e32 v9, v9
	v_sub_nc_u32_e32 v8, 2, v8
	s_waitcnt_depctr 0xfff
	v_mul_f32_e32 v9, 0x3f490fdb, v9
	s_delay_alu instid0(VALU_DEP_1) | instskip(NEXT) | instid1(VALU_DEP_1)
	v_ldexp_f32 v8, v9, v8
	v_cmp_gt_f32_e64 s0, 0x800000, v8
	s_delay_alu instid0(VALU_DEP_1) | instskip(NEXT) | instid1(VALU_DEP_1)
	v_cndmask_b32_e64 v9, 1.0, 0x4f800000, s0
	v_mul_f32_e32 v8, v8, v9
	s_delay_alu instid0(VALU_DEP_1) | instskip(SKIP_3) | instid1(VALU_DEP_2)
	v_log_f32_e32 v8, v8
	s_waitcnt_depctr 0xfff
	v_mul_f32_e32 v9, 0x3f317217, v8
	v_cmp_gt_f32_e64 s1, 0x7f800000, |v8|
	v_fma_f32 v10, 0x3f317217, v8, -v9
	s_delay_alu instid0(VALU_DEP_1) | instskip(NEXT) | instid1(VALU_DEP_1)
	v_fmac_f32_e32 v10, 0x3377d1cf, v8
	v_add_f32_e32 v9, v9, v10
	v_floor_f32_e32 v10, v0
	s_delay_alu instid0(VALU_DEP_2) | instskip(SKIP_1) | instid1(VALU_DEP_3)
	v_cndmask_b32_e64 v8, v8, v9, s1
	v_cndmask_b32_e64 v9, 0, 0x41b17218, s0
	v_sub_f32_e32 v10, v0, v10
	s_delay_alu instid0(VALU_DEP_1) | instskip(NEXT) | instid1(VALU_DEP_1)
	v_dual_sub_f32 v8, v8, v9 :: v_dual_min_f32 v9, 0x3f7fffff, v10
	v_sub_f32_e32 v7, v8, v7
	s_delay_alu instid0(VALU_DEP_2) | instskip(NEXT) | instid1(VALU_DEP_1)
	v_cmp_neq_f32_e64 s0, 0, v9
	v_cndmask_b32_e64 v7, 0x7f800000, v7, s0
.LBB15_212:                             ;   in Loop: Header=BB15_177 Depth=1
	s_or_b32 exec_lo, exec_lo, s3
.LBB15_213:                             ;   in Loop: Header=BB15_177 Depth=1
	s_and_not1_saveexec_b32 s2, s2
; %bb.214:                              ;   in Loop: Header=BB15_177 Depth=1
	v_cmp_eq_f32_e64 s0, 1.0, v0
	v_cmp_eq_f32_e64 s1, 2.0, v0
	s_delay_alu instid0(VALU_DEP_1) | instskip(NEXT) | instid1(SALU_CYCLE_1)
	s_or_b32 s0, s0, s1
	v_cndmask_b32_e64 v7, v7, 0, s0
; %bb.215:                              ;   in Loop: Header=BB15_177 Depth=1
	s_or_b32 exec_lo, exec_lo, s2
	v_and_b32_e32 v8, 0xffff0000, v5
                                        ; implicit-def: $vgpr9
	s_mov_b32 s1, exec_lo
	s_delay_alu instid0(VALU_DEP_1)
	v_and_b32_e32 v10, 0x7fffffff, v8
	v_cmpx_ngt_f32_e64 0x3c800000, |v8|
	s_xor_b32 s2, exec_lo, s1
	s_cbranch_execz .LBB15_245
; %bb.216:                              ;   in Loop: Header=BB15_177 Depth=1
                                        ; implicit-def: $vgpr9
	s_mov_b32 s1, exec_lo
	v_cmpx_nlt_f32_e64 |v8|, 2.0
	s_xor_b32 s3, exec_lo, s1
	s_cbranch_execz .LBB15_226
; %bb.217:                              ;   in Loop: Header=BB15_177 Depth=1
	s_mov_b32 s1, exec_lo
                                        ; implicit-def: $vgpr9
	v_cmpx_ngt_f32_e64 0x41000000, |v8|
	s_xor_b32 s1, exec_lo, s1
	s_cbranch_execz .LBB15_223
; %bb.218:                              ;   in Loop: Header=BB15_177 Depth=1
	s_mov_b32 s4, exec_lo
                                        ; implicit-def: $vgpr9
	v_cmpx_ngt_f32_e64 0x5c800000, |v8|
	s_xor_b32 s4, exec_lo, s4
	s_cbranch_execz .LBB15_220
; %bb.219:                              ;   in Loop: Header=BB15_177 Depth=1
	v_cmp_gt_f32_e64 s23, 0x800000, |v8|
	s_delay_alu instid0(VALU_DEP_1) | instskip(NEXT) | instid1(VALU_DEP_1)
	v_cndmask_b32_e64 v9, 1.0, 0x4f800000, s23
	v_mul_f32_e64 v9, |v8|, v9
	s_delay_alu instid0(VALU_DEP_1) | instskip(SKIP_3) | instid1(VALU_DEP_2)
	v_log_f32_e32 v9, v9
	s_waitcnt_depctr 0xfff
	v_mul_f32_e32 v11, 0x3f317217, v9
	v_cmp_gt_f32_e64 s0, 0x7f800000, |v9|
	v_fma_f32 v12, 0x3f317217, v9, -v11
	s_delay_alu instid0(VALU_DEP_1) | instskip(NEXT) | instid1(VALU_DEP_1)
	v_fmac_f32_e32 v12, 0x3377d1cf, v9
	v_add_f32_e32 v11, v11, v12
	s_delay_alu instid0(VALU_DEP_1) | instskip(SKIP_1) | instid1(VALU_DEP_1)
	v_cndmask_b32_e64 v9, v9, v11, s0
	v_cndmask_b32_e64 v11, 0, 0x41b17218, s23
	v_sub_f32_e32 v9, v9, v11
	s_delay_alu instid0(VALU_DEP_1)
	v_fma_f32 v9, |v8|, v9, -|v8|
.LBB15_220:                             ;   in Loop: Header=BB15_177 Depth=1
	s_and_not1_saveexec_b32 s4, s4
	s_cbranch_execz .LBB15_222
; %bb.221:                              ;   in Loop: Header=BB15_177 Depth=1
	v_cmp_gt_f32_e64 s23, 0x800000, |v8|
	v_rcp_f32_e64 v11, |v8|
	s_delay_alu instid0(VALU_DEP_1) | instskip(NEXT) | instid1(VALU_DEP_1)
	v_cndmask_b32_e64 v9, 1.0, 0x4f800000, s23
	v_mul_f32_e64 v9, |v8|, v9
	s_delay_alu instid0(VALU_DEP_1) | instskip(SKIP_3) | instid1(VALU_DEP_2)
	v_log_f32_e32 v9, v9
	s_waitcnt_depctr 0xfff
	v_dual_mul_f32 v12, v11, v11 :: v_dual_mul_f32 v13, 0x3f317217, v9
	v_cmp_gt_f32_e64 s0, 0x7f800000, |v9|
	v_fma_f32 v15, 0x3f317217, v9, -v13
	s_delay_alu instid0(VALU_DEP_1) | instskip(NEXT) | instid1(VALU_DEP_1)
	v_fmac_f32_e32 v15, 0x3377d1cf, v9
	v_dual_fmaak_f32 v14, s6, v12, 0x3a5b3dd2 :: v_dual_add_f32 v13, v13, v15
	s_delay_alu instid0(VALU_DEP_1) | instskip(SKIP_1) | instid1(VALU_DEP_1)
	v_cndmask_b32_e64 v9, v9, v13, s0
	v_cndmask_b32_e64 v13, 0, 0x41b17218, s23
	v_dual_fmaak_f32 v14, v12, v14, 0xba1c065c :: v_dual_sub_f32 v13, v9, v13
	s_delay_alu instid0(VALU_DEP_1) | instskip(NEXT) | instid1(VALU_DEP_1)
	v_fmaak_f32 v14, v12, v14, 0x3a500cfd
	v_fmaak_f32 v14, v12, v14, 0xbb360b61
	s_delay_alu instid0(VALU_DEP_1) | instskip(NEXT) | instid1(VALU_DEP_1)
	v_fmaak_f32 v12, v12, v14, 0x3daaaaab
	v_dual_fmaak_f32 v9, v11, v12, 0x3ed67f1d :: v_dual_add_f32 v12, -1.0, v13
	v_add_f32_e64 v11, |v8|, -0.5
	s_delay_alu instid0(VALU_DEP_1)
	v_fmac_f32_e32 v9, v11, v12
.LBB15_222:                             ;   in Loop: Header=BB15_177 Depth=1
	s_or_b32 exec_lo, exec_lo, s4
.LBB15_223:                             ;   in Loop: Header=BB15_177 Depth=1
	s_and_not1_saveexec_b32 s4, s1
	s_cbranch_execz .LBB15_225
; %bb.224:                              ;   in Loop: Header=BB15_177 Depth=1
	v_cvt_i32_f32_e32 v9, v10
	s_delay_alu instid0(VALU_DEP_1) | instskip(SKIP_1) | instid1(VALU_DEP_2)
	v_cvt_f32_i32_e32 v11, v9
	v_cmp_lt_i32_e64 s0, 2, v9
	v_sub_f32_e64 v11, |v8|, v11
	s_delay_alu instid0(VALU_DEP_1) | instskip(SKIP_2) | instid1(VALU_DEP_3)
	v_add_f32_e32 v12, 2.0, v11
	v_add_f32_e32 v13, 0x40400000, v11
	v_add_f32_e32 v14, 4.0, v11
	v_cndmask_b32_e64 v12, 1.0, v12, s0
	v_cmp_lt_i32_e64 s0, 3, v9
	s_delay_alu instid0(VALU_DEP_1) | instskip(SKIP_1) | instid1(VALU_DEP_2)
	v_cndmask_b32_e64 v13, 1.0, v13, s0
	v_cmp_lt_i32_e64 s0, 4, v9
	v_dual_add_f32 v15, 0x40a00000, v11 :: v_dual_mul_f32 v12, v12, v13
	s_delay_alu instid0(VALU_DEP_2) | instskip(SKIP_1) | instid1(VALU_DEP_2)
	v_cndmask_b32_e64 v14, 1.0, v14, s0
	v_cmp_lt_i32_e64 s0, 5, v9
	v_mul_f32_e32 v12, v14, v12
	s_delay_alu instid0(VALU_DEP_2) | instskip(SKIP_3) | instid1(VALU_DEP_4)
	v_cndmask_b32_e64 v15, 1.0, v15, s0
	v_add_f32_e32 v13, 0x40c00000, v11
	v_cmp_lt_i32_e64 s0, 6, v9
	v_fmaak_f32 v14, s7, v11, 0x3af135b4
	v_mul_f32_e32 v12, v15, v12
	s_delay_alu instid0(VALU_DEP_3) | instskip(NEXT) | instid1(VALU_DEP_1)
	v_cndmask_b32_e64 v9, 1.0, v13, s0
	v_mul_f32_e32 v9, v9, v12
	s_delay_alu instid0(VALU_DEP_1) | instskip(NEXT) | instid1(VALU_DEP_1)
	v_cmp_gt_f32_e64 s0, 0x800000, v9
	v_cndmask_b32_e64 v13, 1.0, 0x4f800000, s0
	s_delay_alu instid0(VALU_DEP_1) | instskip(SKIP_1) | instid1(VALU_DEP_2)
	v_mul_f32_e32 v9, v9, v13
	v_fmaak_f32 v13, v11, v14, 0x3cda40e4
	v_log_f32_e32 v9, v9
	s_waitcnt_depctr 0xfff
	v_mul_f32_e32 v14, 0x3f317217, v9
	v_cmp_gt_f32_e64 s1, 0x7f800000, |v9|
	s_delay_alu instid0(VALU_DEP_2) | instskip(NEXT) | instid1(VALU_DEP_1)
	v_fma_f32 v15, 0x3f317217, v9, -v14
	v_fmac_f32_e32 v15, 0x3377d1cf, v9
	s_delay_alu instid0(VALU_DEP_1) | instskip(NEXT) | instid1(VALU_DEP_1)
	v_dual_add_f32 v14, v14, v15 :: v_dual_fmaak_f32 v13, v11, v13, 0x3e15dce6
	v_cndmask_b32_e64 v9, v9, v14, s1
	s_delay_alu instid0(VALU_DEP_2) | instskip(NEXT) | instid1(VALU_DEP_1)
	v_fmaak_f32 v13, v11, v13, 0x3ea6cc7a
	v_fmaak_f32 v13, v11, v13, 0x3e5c245a
	s_delay_alu instid0(VALU_DEP_1) | instskip(NEXT) | instid1(VALU_DEP_1)
	v_fmaak_f32 v13, v11, v13, 0xbd9e233f
	v_dual_fmaak_f32 v12, s8, v11, 0x3a4beed6 :: v_dual_mul_f32 v13, v11, v13
	s_delay_alu instid0(VALU_DEP_1) | instskip(NEXT) | instid1(VALU_DEP_1)
	v_fmaak_f32 v12, v11, v12, 0x3c98bf54
	v_fmaak_f32 v12, v11, v12, 0x3e300f6e
	s_delay_alu instid0(VALU_DEP_1) | instskip(NEXT) | instid1(VALU_DEP_1)
	v_fmaak_f32 v12, v11, v12, 0x3f38d0c5
	v_fmaak_f32 v12, v11, v12, 0x3fb22d3b
	s_delay_alu instid0(VALU_DEP_1) | instskip(NEXT) | instid1(VALU_DEP_1)
	v_fma_f32 v12, v11, v12, 1.0
	v_rcp_f32_e32 v12, v12
	s_waitcnt_depctr 0xfff
	v_mul_f32_e32 v12, v13, v12
	v_cndmask_b32_e64 v13, 0, 0x41b17218, s0
	s_delay_alu instid0(VALU_DEP_1) | instskip(NEXT) | instid1(VALU_DEP_1)
	v_dual_fmac_f32 v12, 0.5, v11 :: v_dual_sub_f32 v9, v9, v13
	v_add_f32_e32 v9, v9, v12
.LBB15_225:                             ;   in Loop: Header=BB15_177 Depth=1
	s_or_b32 exec_lo, exec_lo, s4
.LBB15_226:                             ;   in Loop: Header=BB15_177 Depth=1
	s_and_not1_saveexec_b32 s3, s3
	s_cbranch_execz .LBB15_244
; %bb.227:                              ;   in Loop: Header=BB15_177 Depth=1
                                        ; implicit-def: $vgpr9
                                        ; implicit-def: $vgpr12
                                        ; implicit-def: $vgpr11
	s_mov_b32 s1, exec_lo
	v_cmpx_ge_f32_e64 0x3f666666, |v8|
	s_xor_b32 s4, exec_lo, s1
	s_cbranch_execz .LBB15_229
; %bb.228:                              ;   in Loop: Header=BB15_177 Depth=1
	v_cmp_gt_f32_e64 s1, 0x800000, |v8|
	v_sub_f32_e64 v13, 1.0, |v8|
	v_cmp_gt_f32_e64 s0, 0x3f3b4a23, |v8|
	s_delay_alu instid0(VALU_DEP_3) | instskip(SKIP_1) | instid1(VALU_DEP_2)
	v_cndmask_b32_e64 v9, 1.0, 0x4f800000, s1
	v_cndmask_b32_e64 v14, 0, 0x41b17218, s1
	v_mul_f32_e64 v9, |v8|, v9
	s_delay_alu instid0(VALU_DEP_1) | instskip(SKIP_3) | instid1(VALU_DEP_2)
	v_log_f32_e32 v9, v9
	s_waitcnt_depctr 0xfff
	v_mul_f32_e32 v11, 0x3f317217, v9
	v_cmp_gt_f32_e64 s1, 0x7f800000, |v9|
	v_fma_f32 v12, 0x3f317217, v9, -v11
	s_delay_alu instid0(VALU_DEP_1) | instskip(NEXT) | instid1(VALU_DEP_1)
	v_fmac_f32_e32 v12, 0x3377d1cf, v9
	v_add_f32_e32 v11, v11, v12
	v_add_f32_e64 v12, 0xbeec5b0c, |v8|
	s_delay_alu instid0(VALU_DEP_2) | instskip(NEXT) | instid1(VALU_DEP_2)
	v_cndmask_b32_e64 v9, v9, v11, s1
	v_cndmask_b32_e64 v11, v13, v12, s0
	;; [unrolled: 1-line block ×3, first 2 shown]
	v_cmp_gt_f32_e64 s0, 0x3e6d3309, |v8|
	s_delay_alu instid0(VALU_DEP_4) | instskip(NEXT) | instid1(VALU_DEP_2)
	v_sub_f32_e32 v9, v9, v14
	v_cndmask_b32_e64 v11, v11, |v8|, s0
	s_delay_alu instid0(VALU_DEP_4) | instskip(NEXT) | instid1(VALU_DEP_3)
	v_cndmask_b32_e64 v12, v12, 2, s0
	v_xor_b32_e32 v9, 0x80000000, v9
.LBB15_229:                             ;   in Loop: Header=BB15_177 Depth=1
	s_and_not1_saveexec_b32 s1, s4
; %bb.230:                              ;   in Loop: Header=BB15_177 Depth=1
	v_sub_f32_e64 v9, 2.0, |v8|
	v_add_f32_e64 v11, 0xbfbb16c3, |v8|
	v_cmp_gt_f32_e64 s0, 0x3fdda512, |v8|
	v_add_f32_e64 v12, |v8|, -1.0
	s_delay_alu instid0(VALU_DEP_2) | instskip(SKIP_2) | instid1(VALU_DEP_2)
	v_cndmask_b32_e64 v11, v9, v11, s0
	v_cndmask_b32_e64 v9, v9, 1.0, s0
	v_cmp_gt_f32_e64 s0, 0x3f9d70a4, |v8|
	v_cvt_i32_f32_e32 v9, v9
	s_delay_alu instid0(VALU_DEP_2) | instskip(NEXT) | instid1(VALU_DEP_2)
	v_cndmask_b32_e64 v11, v11, v12, s0
	v_cndmask_b32_e64 v12, v9, 2, s0
	v_mov_b32_e32 v9, 0
; %bb.231:                              ;   in Loop: Header=BB15_177 Depth=1
	s_or_b32 exec_lo, exec_lo, s1
	s_delay_alu instid0(SALU_CYCLE_1) | instskip(NEXT) | instid1(VALU_DEP_2)
	s_mov_b32 s1, exec_lo
	v_cmpx_lt_i32_e32 0, v12
	s_xor_b32 s1, exec_lo, s1
	s_cbranch_execz .LBB15_239
; %bb.232:                              ;   in Loop: Header=BB15_177 Depth=1
	s_mov_b32 s4, exec_lo
	v_cmpx_lt_i32_e32 1, v12
	s_xor_b32 s4, exec_lo, s4
	s_cbranch_execz .LBB15_236
; %bb.233:                              ;   in Loop: Header=BB15_177 Depth=1
	s_mov_b32 s23, exec_lo
	v_cmpx_eq_u32_e32 2, v12
	s_cbranch_execz .LBB15_235
; %bb.234:                              ;   in Loop: Header=BB15_177 Depth=1
	v_fmaak_f32 v13, s9, v11, 0x3e6a7578
	s_delay_alu instid0(VALU_DEP_1) | instskip(NEXT) | instid1(VALU_DEP_1)
	v_fmaak_f32 v13, v11, v13, 0x3f7a4bb2
	v_fmaak_f32 v13, v11, v13, 0x3fba3ae7
	s_delay_alu instid0(VALU_DEP_1) | instskip(NEXT) | instid1(VALU_DEP_1)
	v_fmaak_f32 v13, v11, v13, 0x3f2200f4
	v_fmaak_f32 v13, v11, v13, 0xbd9e233f
	s_delay_alu instid0(VALU_DEP_1) | instskip(NEXT) | instid1(VALU_DEP_1)
	v_dual_fmaak_f32 v12, s10, v11, 0x3dd572af :: v_dual_mul_f32 v13, v11, v13
	v_fmaak_f32 v12, v11, v12, 0x3f44efdf
	s_delay_alu instid0(VALU_DEP_1) | instskip(NEXT) | instid1(VALU_DEP_1)
	v_fmaak_f32 v12, v11, v12, 0x4008392d
	v_fmaak_f32 v12, v11, v12, 0x401d2ebe
	s_delay_alu instid0(VALU_DEP_1) | instskip(NEXT) | instid1(VALU_DEP_1)
	v_fma_f32 v12, v11, v12, 1.0
	v_rcp_f32_e32 v12, v12
	s_waitcnt_depctr 0xfff
	v_mul_f32_e32 v12, v13, v12
	s_delay_alu instid0(VALU_DEP_1) | instskip(NEXT) | instid1(VALU_DEP_1)
	v_fmac_f32_e32 v12, -0.5, v11
	v_add_f32_e32 v9, v9, v12
.LBB15_235:                             ;   in Loop: Header=BB15_177 Depth=1
	s_or_b32 exec_lo, exec_lo, s23
                                        ; implicit-def: $vgpr11
.LBB15_236:                             ;   in Loop: Header=BB15_177 Depth=1
	s_and_not1_saveexec_b32 s0, s4
	s_cbranch_execz .LBB15_238
; %bb.237:                              ;   in Loop: Header=BB15_177 Depth=1
	v_mul_f32_e32 v12, v11, v11
	s_delay_alu instid0(VALU_DEP_1) | instskip(NEXT) | instid1(VALU_DEP_1)
	v_mul_f32_e32 v13, v11, v12
	v_fmaak_f32 v15, s19, v13, 0xba0d3085
	v_fmaak_f32 v14, s18, v13, 0x3a66f867
	;; [unrolled: 1-line block ×3, first 2 shown]
	s_delay_alu instid0(VALU_DEP_3) | instskip(NEXT) | instid1(VALU_DEP_3)
	v_fmaak_f32 v15, v13, v15, 0x3b141699
	v_fmaak_f32 v14, v13, v14, 0xbb7177fe
	s_delay_alu instid0(VALU_DEP_3) | instskip(NEXT) | instid1(VALU_DEP_3)
	v_fmaak_f32 v16, v13, v16, 0x3bc7e707
	v_fmaak_f32 v15, v13, v15, 0xbc28fcfe
	;; [unrolled: 3-line block ×4, first 2 shown]
	s_delay_alu instid0(VALU_DEP_1) | instskip(NEXT) | instid1(VALU_DEP_1)
	v_dual_fmac_f32 v14, v11, v15 :: v_dual_fmaak_f32 v11, v13, v16, 0x3ef7b95e
	v_fma_f32 v13, v13, -v14, 0xa2863e55
	s_delay_alu instid0(VALU_DEP_1) | instskip(NEXT) | instid1(VALU_DEP_1)
	v_fma_f32 v11, v12, v11, -v13
	v_add_f32_e32 v11, 0xbdf8cdce, v11
	s_delay_alu instid0(VALU_DEP_1)
	v_add_f32_e32 v9, v9, v11
.LBB15_238:                             ;   in Loop: Header=BB15_177 Depth=1
	s_or_b32 exec_lo, exec_lo, s0
                                        ; implicit-def: $vgpr12
                                        ; implicit-def: $vgpr11
.LBB15_239:                             ;   in Loop: Header=BB15_177 Depth=1
	s_and_not1_saveexec_b32 s1, s1
	s_cbranch_execz .LBB15_243
; %bb.240:                              ;   in Loop: Header=BB15_177 Depth=1
	s_mov_b32 s4, exec_lo
	v_cmpx_eq_u32_e32 0, v12
	s_cbranch_execz .LBB15_242
; %bb.241:                              ;   in Loop: Header=BB15_177 Depth=1
	v_mul_f32_e32 v12, v11, v11
	s_delay_alu instid0(VALU_DEP_1) | instskip(NEXT) | instid1(VALU_DEP_1)
	v_fmaak_f32 v14, s20, v12, 0x39679767
	v_fmaak_f32 v14, v12, v14, 0x3a9c54a1
	s_delay_alu instid0(VALU_DEP_1) | instskip(NEXT) | instid1(VALU_DEP_1)
	v_fmaak_f32 v14, v12, v14, 0x3bf2027e
	v_fmaak_f32 v14, v12, v14, 0x3d89f001
	s_delay_alu instid0(VALU_DEP_1) | instskip(SKIP_1) | instid1(VALU_DEP_1)
	v_fmaak_f32 v14, v12, v14, 0x3d9e233f
	v_fmaak_f32 v13, s16, v12, 0x38e28445
	;; [unrolled: 1-line block ×3, first 2 shown]
	s_delay_alu instid0(VALU_DEP_1) | instskip(NEXT) | instid1(VALU_DEP_1)
	v_fmaak_f32 v13, v12, v13, 0x3b3d6ec6
	v_fmaak_f32 v13, v12, v13, 0x3ca89915
	s_delay_alu instid0(VALU_DEP_1) | instskip(NEXT) | instid1(VALU_DEP_1)
	v_fmaak_f32 v13, v12, v13, 0x3ea51a66
	v_mul_f32_e32 v12, v12, v13
	s_delay_alu instid0(VALU_DEP_1) | instskip(NEXT) | instid1(VALU_DEP_1)
	v_fmac_f32_e32 v12, v11, v14
	v_fmac_f32_e32 v12, -0.5, v11
	s_delay_alu instid0(VALU_DEP_1)
	v_add_f32_e32 v9, v9, v12
.LBB15_242:                             ;   in Loop: Header=BB15_177 Depth=1
	s_or_b32 exec_lo, exec_lo, s4
.LBB15_243:                             ;   in Loop: Header=BB15_177 Depth=1
	s_delay_alu instid0(SALU_CYCLE_1)
	s_or_b32 exec_lo, exec_lo, s1
.LBB15_244:                             ;   in Loop: Header=BB15_177 Depth=1
	s_delay_alu instid0(SALU_CYCLE_1)
	s_or_b32 exec_lo, exec_lo, s3
.LBB15_245:                             ;   in Loop: Header=BB15_177 Depth=1
	s_and_not1_saveexec_b32 s1, s2
	s_cbranch_execz .LBB15_247
; %bb.246:                              ;   in Loop: Header=BB15_177 Depth=1
	v_cmp_gt_f32_e64 s2, 0x800000, |v8|
	v_fma_f32 v13, |v8|, s17, 0xbecd26ab
	s_delay_alu instid0(VALU_DEP_2) | instskip(NEXT) | instid1(VALU_DEP_1)
	v_cndmask_b32_e64 v9, 1.0, 0x4f800000, s2
	v_mul_f32_e64 v9, |v8|, v9
	s_delay_alu instid0(VALU_DEP_1) | instskip(SKIP_3) | instid1(VALU_DEP_2)
	v_log_f32_e32 v9, v9
	s_waitcnt_depctr 0xfff
	v_mul_f32_e32 v11, 0x3f317217, v9
	v_cmp_gt_f32_e64 s0, 0x7f800000, |v9|
	v_fma_f32 v12, 0x3f317217, v9, -v11
	s_delay_alu instid0(VALU_DEP_1) | instskip(NEXT) | instid1(VALU_DEP_1)
	v_fmac_f32_e32 v12, 0x3377d1cf, v9
	v_add_f32_e32 v11, v11, v12
	v_fma_f32 v12, |v8|, v13, 0x3f528d33
	s_delay_alu instid0(VALU_DEP_2) | instskip(SKIP_1) | instid1(VALU_DEP_3)
	v_cndmask_b32_e64 v9, v9, v11, s0
	v_cndmask_b32_e64 v11, 0, 0x41b17218, s2
	v_fma_f32 v12, |v8|, v12, 0xbf13c468
	s_delay_alu instid0(VALU_DEP_2) | instskip(NEXT) | instid1(VALU_DEP_1)
	v_sub_f32_e32 v9, v9, v11
	v_fma_f32 v9, |v8|, v12, -v9
.LBB15_247:                             ;   in Loop: Header=BB15_177 Depth=1
	s_or_b32 exec_lo, exec_lo, s1
	v_cmp_le_f32_e64 s0, 0, v8
	s_mov_b32 s2, exec_lo
	v_cmpx_nle_f32_e32 0, v8
	s_xor_b32 s3, exec_lo, s2
	s_cbranch_execz .LBB15_251
; %bb.248:                              ;   in Loop: Header=BB15_177 Depth=1
	v_cmp_gt_f32_e64 s1, 0x4b000000, |v8|
	v_cmp_lt_f32_e64 s2, 0x35000000, |v8|
	s_delay_alu instid0(VALU_DEP_1) | instskip(NEXT) | instid1(SALU_CYCLE_1)
	s_and_b32 s1, s1, s2
	s_and_saveexec_b32 s4, s1
	s_cbranch_execz .LBB15_250
; %bb.249:                              ;   in Loop: Header=BB15_177 Depth=1
	v_mul_f32_e64 v11, |v8|, 0.5
	s_delay_alu instid0(VALU_DEP_1) | instskip(SKIP_1) | instid1(VALU_DEP_2)
	v_floor_f32_e32 v12, v11
	v_cmp_neq_f32_e64 s1, 0x7f800000, v11
	v_sub_f32_e32 v12, v11, v12
	s_delay_alu instid0(VALU_DEP_1) | instskip(NEXT) | instid1(VALU_DEP_1)
	v_min_f32_e32 v12, 0x3f7fffff, v12
	v_add_f32_e32 v12, v12, v12
	s_delay_alu instid0(VALU_DEP_1) | instskip(SKIP_1) | instid1(VALU_DEP_1)
	v_cndmask_b32_e64 v11, 0, v12, s1
	v_cmp_gt_f32_e64 s1, |v8|, 1.0
	v_cndmask_b32_e64 v11, |v8|, v11, s1
	s_delay_alu instid0(VALU_DEP_1) | instskip(NEXT) | instid1(VALU_DEP_1)
	v_add_f32_e32 v12, v11, v11
	v_rndne_f32_e32 v12, v12
	s_delay_alu instid0(VALU_DEP_1) | instskip(SKIP_1) | instid1(VALU_DEP_2)
	v_fmac_f32_e32 v11, -0.5, v12
	v_cvt_i32_f32_e32 v12, v12
	v_mul_f32_e32 v13, v11, v11
	s_delay_alu instid0(VALU_DEP_1) | instskip(SKIP_1) | instid1(VALU_DEP_2)
	v_fmaak_f32 v14, s21, v13, 0xbf1f24be
	v_fmaak_f32 v15, s22, v13, 0x3e642e9d
	;; [unrolled: 1-line block ×3, first 2 shown]
	s_delay_alu instid0(VALU_DEP_2) | instskip(NEXT) | instid1(VALU_DEP_2)
	v_dual_fmaak_f32 v15, v13, v15, 0xbfaad1da :: v_dual_mul_f32 v16, v11, v13
	v_fmaak_f32 v14, v13, v14, 0xc0a55e0e
	s_delay_alu instid0(VALU_DEP_1) | instskip(NEXT) | instid1(VALU_DEP_1)
	v_dual_fmaak_f32 v15, v13, v15, 0x4081e0d3 :: v_dual_mul_f32 v14, v16, v14
	v_dual_fmaak_f32 v15, v13, v15, 0xc09de9e6 :: v_dual_and_b32 v16, 1, v12
	v_lshlrev_b32_e32 v12, 30, v12
	s_delay_alu instid0(VALU_DEP_3) | instskip(NEXT) | instid1(VALU_DEP_3)
	v_fmac_f32_e32 v14, 0x40490fdb, v11
	v_fma_f32 v11, v13, v15, 1.0
	s_delay_alu instid0(VALU_DEP_4) | instskip(NEXT) | instid1(VALU_DEP_4)
	v_cmp_eq_u32_e64 s1, 0, v16
	v_and_or_b32 v10, 0x80000000, v12, v10
	s_delay_alu instid0(VALU_DEP_2) | instskip(NEXT) | instid1(VALU_DEP_1)
	v_cndmask_b32_e64 v11, v11, v14, s1
	v_xor3_b32 v10, v10, v11, v8
	s_delay_alu instid0(VALU_DEP_1) | instskip(NEXT) | instid1(VALU_DEP_1)
	v_mul_f32_e32 v10, v8, v10
	v_frexp_mant_f32_e64 v11, |v10|
	v_frexp_exp_i32_f32_e32 v10, v10
	s_delay_alu instid0(VALU_DEP_2) | instskip(NEXT) | instid1(VALU_DEP_1)
	v_rcp_f32_e32 v11, v11
	v_sub_nc_u32_e32 v10, 2, v10
	s_waitcnt_depctr 0xfff
	v_mul_f32_e32 v11, 0x3f490fdb, v11
	s_delay_alu instid0(VALU_DEP_1) | instskip(NEXT) | instid1(VALU_DEP_1)
	v_ldexp_f32 v10, v11, v10
	v_cmp_gt_f32_e64 s1, 0x800000, v10
	s_delay_alu instid0(VALU_DEP_1) | instskip(NEXT) | instid1(VALU_DEP_1)
	v_cndmask_b32_e64 v11, 1.0, 0x4f800000, s1
	v_mul_f32_e32 v10, v10, v11
	s_delay_alu instid0(VALU_DEP_1) | instskip(SKIP_3) | instid1(VALU_DEP_2)
	v_log_f32_e32 v10, v10
	s_waitcnt_depctr 0xfff
	v_mul_f32_e32 v11, 0x3f317217, v10
	v_cmp_gt_f32_e64 s2, 0x7f800000, |v10|
	v_fma_f32 v12, 0x3f317217, v10, -v11
	s_delay_alu instid0(VALU_DEP_1) | instskip(NEXT) | instid1(VALU_DEP_1)
	v_fmac_f32_e32 v12, 0x3377d1cf, v10
	v_add_f32_e32 v11, v11, v12
	v_floor_f32_e32 v12, v8
	s_delay_alu instid0(VALU_DEP_2) | instskip(SKIP_1) | instid1(VALU_DEP_3)
	v_cndmask_b32_e64 v10, v10, v11, s2
	v_cndmask_b32_e64 v11, 0, 0x41b17218, s1
	v_sub_f32_e32 v12, v8, v12
	s_delay_alu instid0(VALU_DEP_1) | instskip(NEXT) | instid1(VALU_DEP_1)
	v_dual_sub_f32 v10, v10, v11 :: v_dual_min_f32 v11, 0x3f7fffff, v12
	v_sub_f32_e32 v9, v10, v9
	s_delay_alu instid0(VALU_DEP_2) | instskip(NEXT) | instid1(VALU_DEP_1)
	v_cmp_neq_f32_e64 s1, 0, v11
	v_cndmask_b32_e64 v9, 0x7f800000, v9, s1
.LBB15_250:                             ;   in Loop: Header=BB15_177 Depth=1
	s_or_b32 exec_lo, exec_lo, s4
.LBB15_251:                             ;   in Loop: Header=BB15_177 Depth=1
	s_and_not1_saveexec_b32 s3, s3
; %bb.252:                              ;   in Loop: Header=BB15_177 Depth=1
	v_cmp_eq_f32_e64 s1, 1.0, v8
	v_cmp_eq_f32_e64 s2, 2.0, v8
	s_delay_alu instid0(VALU_DEP_1) | instskip(NEXT) | instid1(SALU_CYCLE_1)
	s_or_b32 s1, s1, s2
	v_cndmask_b32_e64 v9, v9, 0, s1
; %bb.253:                              ;   in Loop: Header=BB15_177 Depth=1
	s_or_b32 exec_lo, exec_lo, s3
	v_alignbit_b32 v5, v6, v5, 16
                                        ; implicit-def: $vgpr10
	s_mov_b32 s2, exec_lo
	s_delay_alu instid0(VALU_DEP_1) | instskip(NEXT) | instid1(VALU_DEP_1)
	v_and_b32_e32 v5, 0xffff0000, v5
	v_and_b32_e32 v11, 0x7fffffff, v5
	v_cmpx_ngt_f32_e64 0x3c800000, |v5|
	s_xor_b32 s3, exec_lo, s2
	s_cbranch_execz .LBB15_283
; %bb.254:                              ;   in Loop: Header=BB15_177 Depth=1
                                        ; implicit-def: $vgpr10
	s_mov_b32 s2, exec_lo
	v_cmpx_nlt_f32_e64 |v5|, 2.0
	s_xor_b32 s4, exec_lo, s2
	s_cbranch_execz .LBB15_264
; %bb.255:                              ;   in Loop: Header=BB15_177 Depth=1
	s_mov_b32 s2, exec_lo
                                        ; implicit-def: $vgpr10
	v_cmpx_ngt_f32_e64 0x41000000, |v5|
	s_xor_b32 s2, exec_lo, s2
	s_cbranch_execz .LBB15_261
; %bb.256:                              ;   in Loop: Header=BB15_177 Depth=1
	s_mov_b32 s23, exec_lo
                                        ; implicit-def: $vgpr10
	v_cmpx_ngt_f32_e64 0x5c800000, |v5|
	s_xor_b32 s23, exec_lo, s23
	s_cbranch_execz .LBB15_258
; %bb.257:                              ;   in Loop: Header=BB15_177 Depth=1
	v_cmp_gt_f32_e64 s24, 0x800000, |v5|
	s_delay_alu instid0(VALU_DEP_1) | instskip(NEXT) | instid1(VALU_DEP_1)
	v_cndmask_b32_e64 v10, 1.0, 0x4f800000, s24
	v_mul_f32_e64 v10, |v5|, v10
	s_delay_alu instid0(VALU_DEP_1) | instskip(SKIP_3) | instid1(VALU_DEP_2)
	v_log_f32_e32 v10, v10
	s_waitcnt_depctr 0xfff
	v_mul_f32_e32 v12, 0x3f317217, v10
	v_cmp_gt_f32_e64 s1, 0x7f800000, |v10|
	v_fma_f32 v13, 0x3f317217, v10, -v12
	s_delay_alu instid0(VALU_DEP_1) | instskip(NEXT) | instid1(VALU_DEP_1)
	v_fmac_f32_e32 v13, 0x3377d1cf, v10
	v_add_f32_e32 v12, v12, v13
	s_delay_alu instid0(VALU_DEP_1) | instskip(SKIP_1) | instid1(VALU_DEP_1)
	v_cndmask_b32_e64 v10, v10, v12, s1
	v_cndmask_b32_e64 v12, 0, 0x41b17218, s24
	v_sub_f32_e32 v10, v10, v12
	s_delay_alu instid0(VALU_DEP_1)
	v_fma_f32 v10, |v5|, v10, -|v5|
.LBB15_258:                             ;   in Loop: Header=BB15_177 Depth=1
	s_and_not1_saveexec_b32 s23, s23
	s_cbranch_execz .LBB15_260
; %bb.259:                              ;   in Loop: Header=BB15_177 Depth=1
	v_cmp_gt_f32_e64 s24, 0x800000, |v5|
	v_rcp_f32_e64 v12, |v5|
	s_delay_alu instid0(VALU_DEP_1) | instskip(NEXT) | instid1(VALU_DEP_1)
	v_cndmask_b32_e64 v10, 1.0, 0x4f800000, s24
	v_mul_f32_e64 v10, |v5|, v10
	s_delay_alu instid0(VALU_DEP_1) | instskip(SKIP_3) | instid1(VALU_DEP_2)
	v_log_f32_e32 v10, v10
	s_waitcnt_depctr 0xfff
	v_dual_mul_f32 v13, v12, v12 :: v_dual_mul_f32 v14, 0x3f317217, v10
	v_cmp_gt_f32_e64 s1, 0x7f800000, |v10|
	v_fma_f32 v16, 0x3f317217, v10, -v14
	s_delay_alu instid0(VALU_DEP_1) | instskip(NEXT) | instid1(VALU_DEP_1)
	v_fmac_f32_e32 v16, 0x3377d1cf, v10
	v_dual_fmaak_f32 v15, s6, v13, 0x3a5b3dd2 :: v_dual_add_f32 v14, v14, v16
	s_delay_alu instid0(VALU_DEP_1) | instskip(SKIP_1) | instid1(VALU_DEP_1)
	v_cndmask_b32_e64 v10, v10, v14, s1
	v_cndmask_b32_e64 v14, 0, 0x41b17218, s24
	v_dual_fmaak_f32 v15, v13, v15, 0xba1c065c :: v_dual_sub_f32 v14, v10, v14
	s_delay_alu instid0(VALU_DEP_1) | instskip(NEXT) | instid1(VALU_DEP_1)
	v_fmaak_f32 v15, v13, v15, 0x3a500cfd
	v_fmaak_f32 v15, v13, v15, 0xbb360b61
	s_delay_alu instid0(VALU_DEP_1) | instskip(NEXT) | instid1(VALU_DEP_1)
	v_fmaak_f32 v13, v13, v15, 0x3daaaaab
	v_dual_fmaak_f32 v10, v12, v13, 0x3ed67f1d :: v_dual_add_f32 v13, -1.0, v14
	v_add_f32_e64 v12, |v5|, -0.5
	s_delay_alu instid0(VALU_DEP_1)
	v_fmac_f32_e32 v10, v12, v13
.LBB15_260:                             ;   in Loop: Header=BB15_177 Depth=1
	s_or_b32 exec_lo, exec_lo, s23
.LBB15_261:                             ;   in Loop: Header=BB15_177 Depth=1
	s_and_not1_saveexec_b32 s23, s2
	s_cbranch_execz .LBB15_263
; %bb.262:                              ;   in Loop: Header=BB15_177 Depth=1
	v_cvt_i32_f32_e32 v10, v11
	s_delay_alu instid0(VALU_DEP_1) | instskip(SKIP_1) | instid1(VALU_DEP_2)
	v_cvt_f32_i32_e32 v12, v10
	v_cmp_lt_i32_e64 s1, 2, v10
	v_sub_f32_e64 v12, |v5|, v12
	s_delay_alu instid0(VALU_DEP_1) | instskip(SKIP_2) | instid1(VALU_DEP_3)
	v_add_f32_e32 v13, 2.0, v12
	v_add_f32_e32 v14, 0x40400000, v12
	v_add_f32_e32 v15, 4.0, v12
	v_cndmask_b32_e64 v13, 1.0, v13, s1
	v_cmp_lt_i32_e64 s1, 3, v10
	s_delay_alu instid0(VALU_DEP_1) | instskip(SKIP_1) | instid1(VALU_DEP_2)
	v_cndmask_b32_e64 v14, 1.0, v14, s1
	v_cmp_lt_i32_e64 s1, 4, v10
	v_dual_add_f32 v16, 0x40a00000, v12 :: v_dual_mul_f32 v13, v13, v14
	s_delay_alu instid0(VALU_DEP_2) | instskip(SKIP_1) | instid1(VALU_DEP_2)
	v_cndmask_b32_e64 v15, 1.0, v15, s1
	v_cmp_lt_i32_e64 s1, 5, v10
	v_mul_f32_e32 v13, v15, v13
	s_delay_alu instid0(VALU_DEP_2) | instskip(SKIP_3) | instid1(VALU_DEP_4)
	v_cndmask_b32_e64 v16, 1.0, v16, s1
	v_add_f32_e32 v14, 0x40c00000, v12
	v_cmp_lt_i32_e64 s1, 6, v10
	v_fmaak_f32 v15, s7, v12, 0x3af135b4
	v_mul_f32_e32 v13, v16, v13
	s_delay_alu instid0(VALU_DEP_3) | instskip(NEXT) | instid1(VALU_DEP_1)
	v_cndmask_b32_e64 v10, 1.0, v14, s1
	v_mul_f32_e32 v10, v10, v13
	s_delay_alu instid0(VALU_DEP_1) | instskip(NEXT) | instid1(VALU_DEP_1)
	v_cmp_gt_f32_e64 s1, 0x800000, v10
	v_cndmask_b32_e64 v14, 1.0, 0x4f800000, s1
	s_delay_alu instid0(VALU_DEP_1) | instskip(SKIP_1) | instid1(VALU_DEP_2)
	v_mul_f32_e32 v10, v10, v14
	v_fmaak_f32 v14, v12, v15, 0x3cda40e4
	v_log_f32_e32 v10, v10
	s_waitcnt_depctr 0xfff
	v_mul_f32_e32 v15, 0x3f317217, v10
	v_cmp_gt_f32_e64 s2, 0x7f800000, |v10|
	s_delay_alu instid0(VALU_DEP_2) | instskip(NEXT) | instid1(VALU_DEP_1)
	v_fma_f32 v16, 0x3f317217, v10, -v15
	v_fmac_f32_e32 v16, 0x3377d1cf, v10
	s_delay_alu instid0(VALU_DEP_1) | instskip(NEXT) | instid1(VALU_DEP_1)
	v_dual_add_f32 v15, v15, v16 :: v_dual_fmaak_f32 v14, v12, v14, 0x3e15dce6
	v_cndmask_b32_e64 v10, v10, v15, s2
	s_delay_alu instid0(VALU_DEP_2) | instskip(NEXT) | instid1(VALU_DEP_1)
	v_fmaak_f32 v14, v12, v14, 0x3ea6cc7a
	v_fmaak_f32 v14, v12, v14, 0x3e5c245a
	s_delay_alu instid0(VALU_DEP_1) | instskip(NEXT) | instid1(VALU_DEP_1)
	v_fmaak_f32 v14, v12, v14, 0xbd9e233f
	v_dual_fmaak_f32 v13, s8, v12, 0x3a4beed6 :: v_dual_mul_f32 v14, v12, v14
	s_delay_alu instid0(VALU_DEP_1) | instskip(NEXT) | instid1(VALU_DEP_1)
	v_fmaak_f32 v13, v12, v13, 0x3c98bf54
	v_fmaak_f32 v13, v12, v13, 0x3e300f6e
	s_delay_alu instid0(VALU_DEP_1) | instskip(NEXT) | instid1(VALU_DEP_1)
	v_fmaak_f32 v13, v12, v13, 0x3f38d0c5
	v_fmaak_f32 v13, v12, v13, 0x3fb22d3b
	s_delay_alu instid0(VALU_DEP_1) | instskip(NEXT) | instid1(VALU_DEP_1)
	v_fma_f32 v13, v12, v13, 1.0
	v_rcp_f32_e32 v13, v13
	s_waitcnt_depctr 0xfff
	v_mul_f32_e32 v13, v14, v13
	v_cndmask_b32_e64 v14, 0, 0x41b17218, s1
	s_delay_alu instid0(VALU_DEP_1) | instskip(NEXT) | instid1(VALU_DEP_1)
	v_dual_fmac_f32 v13, 0.5, v12 :: v_dual_sub_f32 v10, v10, v14
	v_add_f32_e32 v10, v10, v13
.LBB15_263:                             ;   in Loop: Header=BB15_177 Depth=1
	s_or_b32 exec_lo, exec_lo, s23
.LBB15_264:                             ;   in Loop: Header=BB15_177 Depth=1
	s_and_not1_saveexec_b32 s4, s4
	s_cbranch_execz .LBB15_282
; %bb.265:                              ;   in Loop: Header=BB15_177 Depth=1
                                        ; implicit-def: $vgpr10
                                        ; implicit-def: $vgpr13
                                        ; implicit-def: $vgpr12
	s_mov_b32 s2, exec_lo
	v_cmpx_ge_f32_e64 0x3f666666, |v5|
	s_xor_b32 s23, exec_lo, s2
	s_cbranch_execz .LBB15_267
; %bb.266:                              ;   in Loop: Header=BB15_177 Depth=1
	v_cmp_gt_f32_e64 s2, 0x800000, |v5|
	v_sub_f32_e64 v14, 1.0, |v5|
	v_cmp_gt_f32_e64 s1, 0x3f3b4a23, |v5|
	s_delay_alu instid0(VALU_DEP_3) | instskip(SKIP_1) | instid1(VALU_DEP_2)
	v_cndmask_b32_e64 v10, 1.0, 0x4f800000, s2
	v_cndmask_b32_e64 v15, 0, 0x41b17218, s2
	v_mul_f32_e64 v10, |v5|, v10
	s_delay_alu instid0(VALU_DEP_1) | instskip(SKIP_3) | instid1(VALU_DEP_2)
	v_log_f32_e32 v10, v10
	s_waitcnt_depctr 0xfff
	v_mul_f32_e32 v12, 0x3f317217, v10
	v_cmp_gt_f32_e64 s2, 0x7f800000, |v10|
	v_fma_f32 v13, 0x3f317217, v10, -v12
	s_delay_alu instid0(VALU_DEP_1) | instskip(NEXT) | instid1(VALU_DEP_1)
	v_fmac_f32_e32 v13, 0x3377d1cf, v10
	v_add_f32_e32 v12, v12, v13
	v_add_f32_e64 v13, 0xbeec5b0c, |v5|
	s_delay_alu instid0(VALU_DEP_2) | instskip(NEXT) | instid1(VALU_DEP_2)
	v_cndmask_b32_e64 v10, v10, v12, s2
	v_cndmask_b32_e64 v12, v14, v13, s1
	;; [unrolled: 1-line block ×3, first 2 shown]
	v_cmp_gt_f32_e64 s1, 0x3e6d3309, |v5|
	s_delay_alu instid0(VALU_DEP_4) | instskip(NEXT) | instid1(VALU_DEP_2)
	v_sub_f32_e32 v10, v10, v15
	v_cndmask_b32_e64 v12, v12, |v5|, s1
	s_delay_alu instid0(VALU_DEP_4) | instskip(NEXT) | instid1(VALU_DEP_3)
	v_cndmask_b32_e64 v13, v13, 2, s1
	v_xor_b32_e32 v10, 0x80000000, v10
.LBB15_267:                             ;   in Loop: Header=BB15_177 Depth=1
	s_and_not1_saveexec_b32 s2, s23
; %bb.268:                              ;   in Loop: Header=BB15_177 Depth=1
	v_sub_f32_e64 v10, 2.0, |v5|
	v_add_f32_e64 v12, 0xbfbb16c3, |v5|
	v_cmp_gt_f32_e64 s1, 0x3fdda512, |v5|
	v_add_f32_e64 v13, |v5|, -1.0
	s_delay_alu instid0(VALU_DEP_2) | instskip(SKIP_2) | instid1(VALU_DEP_2)
	v_cndmask_b32_e64 v12, v10, v12, s1
	v_cndmask_b32_e64 v10, v10, 1.0, s1
	v_cmp_gt_f32_e64 s1, 0x3f9d70a4, |v5|
	v_cvt_i32_f32_e32 v10, v10
	s_delay_alu instid0(VALU_DEP_2) | instskip(NEXT) | instid1(VALU_DEP_2)
	v_cndmask_b32_e64 v12, v12, v13, s1
	v_cndmask_b32_e64 v13, v10, 2, s1
	v_mov_b32_e32 v10, 0
; %bb.269:                              ;   in Loop: Header=BB15_177 Depth=1
	s_or_b32 exec_lo, exec_lo, s2
	s_delay_alu instid0(SALU_CYCLE_1) | instskip(NEXT) | instid1(VALU_DEP_2)
	s_mov_b32 s2, exec_lo
	v_cmpx_lt_i32_e32 0, v13
	s_xor_b32 s2, exec_lo, s2
	s_cbranch_execz .LBB15_277
; %bb.270:                              ;   in Loop: Header=BB15_177 Depth=1
	s_mov_b32 s23, exec_lo
	v_cmpx_lt_i32_e32 1, v13
	s_xor_b32 s23, exec_lo, s23
	s_cbranch_execz .LBB15_274
; %bb.271:                              ;   in Loop: Header=BB15_177 Depth=1
	s_mov_b32 s24, exec_lo
	v_cmpx_eq_u32_e32 2, v13
	s_cbranch_execz .LBB15_273
; %bb.272:                              ;   in Loop: Header=BB15_177 Depth=1
	v_fmaak_f32 v14, s9, v12, 0x3e6a7578
	s_delay_alu instid0(VALU_DEP_1) | instskip(NEXT) | instid1(VALU_DEP_1)
	v_fmaak_f32 v14, v12, v14, 0x3f7a4bb2
	v_fmaak_f32 v14, v12, v14, 0x3fba3ae7
	s_delay_alu instid0(VALU_DEP_1) | instskip(NEXT) | instid1(VALU_DEP_1)
	v_fmaak_f32 v14, v12, v14, 0x3f2200f4
	v_fmaak_f32 v14, v12, v14, 0xbd9e233f
	s_delay_alu instid0(VALU_DEP_1) | instskip(NEXT) | instid1(VALU_DEP_1)
	v_dual_fmaak_f32 v13, s10, v12, 0x3dd572af :: v_dual_mul_f32 v14, v12, v14
	v_fmaak_f32 v13, v12, v13, 0x3f44efdf
	s_delay_alu instid0(VALU_DEP_1) | instskip(NEXT) | instid1(VALU_DEP_1)
	v_fmaak_f32 v13, v12, v13, 0x4008392d
	v_fmaak_f32 v13, v12, v13, 0x401d2ebe
	s_delay_alu instid0(VALU_DEP_1) | instskip(NEXT) | instid1(VALU_DEP_1)
	v_fma_f32 v13, v12, v13, 1.0
	v_rcp_f32_e32 v13, v13
	s_waitcnt_depctr 0xfff
	v_mul_f32_e32 v13, v14, v13
	s_delay_alu instid0(VALU_DEP_1) | instskip(NEXT) | instid1(VALU_DEP_1)
	v_fmac_f32_e32 v13, -0.5, v12
	v_add_f32_e32 v10, v10, v13
.LBB15_273:                             ;   in Loop: Header=BB15_177 Depth=1
	s_or_b32 exec_lo, exec_lo, s24
                                        ; implicit-def: $vgpr12
.LBB15_274:                             ;   in Loop: Header=BB15_177 Depth=1
	s_and_not1_saveexec_b32 s1, s23
	s_cbranch_execz .LBB15_276
; %bb.275:                              ;   in Loop: Header=BB15_177 Depth=1
	v_mul_f32_e32 v13, v12, v12
	s_delay_alu instid0(VALU_DEP_1) | instskip(NEXT) | instid1(VALU_DEP_1)
	v_mul_f32_e32 v14, v12, v13
	v_fmaak_f32 v16, s19, v14, 0xba0d3085
	v_fmaak_f32 v15, s18, v14, 0x3a66f867
	;; [unrolled: 1-line block ×3, first 2 shown]
	s_delay_alu instid0(VALU_DEP_3) | instskip(NEXT) | instid1(VALU_DEP_3)
	v_fmaak_f32 v16, v14, v16, 0x3b141699
	v_fmaak_f32 v15, v14, v15, 0xbb7177fe
	s_delay_alu instid0(VALU_DEP_3) | instskip(NEXT) | instid1(VALU_DEP_3)
	v_fmaak_f32 v17, v14, v17, 0x3bc7e707
	v_fmaak_f32 v16, v14, v16, 0xbc28fcfe
	s_delay_alu instid0(VALU_DEP_3) | instskip(NEXT) | instid1(VALU_DEP_3)
	v_fmaak_f32 v15, v14, v15, 0x3c93373d
	v_fmaak_f32 v17, v14, v17, 0xbd064d47
	s_delay_alu instid0(VALU_DEP_3) | instskip(NEXT) | instid1(VALU_DEP_3)
	v_fmaak_f32 v16, v14, v16, 0x3d845a15
	v_fmaak_f32 v15, v14, v15, 0xbe17213c
	s_delay_alu instid0(VALU_DEP_1) | instskip(NEXT) | instid1(VALU_DEP_1)
	v_dual_fmac_f32 v15, v12, v16 :: v_dual_fmaak_f32 v12, v14, v17, 0x3ef7b95e
	v_fma_f32 v14, v14, -v15, 0xa2863e55
	s_delay_alu instid0(VALU_DEP_1) | instskip(NEXT) | instid1(VALU_DEP_1)
	v_fma_f32 v12, v13, v12, -v14
	v_add_f32_e32 v12, 0xbdf8cdce, v12
	s_delay_alu instid0(VALU_DEP_1)
	v_add_f32_e32 v10, v10, v12
.LBB15_276:                             ;   in Loop: Header=BB15_177 Depth=1
	s_or_b32 exec_lo, exec_lo, s1
                                        ; implicit-def: $vgpr13
                                        ; implicit-def: $vgpr12
.LBB15_277:                             ;   in Loop: Header=BB15_177 Depth=1
	s_and_not1_saveexec_b32 s2, s2
	s_cbranch_execz .LBB15_281
; %bb.278:                              ;   in Loop: Header=BB15_177 Depth=1
	s_mov_b32 s23, exec_lo
	v_cmpx_eq_u32_e32 0, v13
	s_cbranch_execz .LBB15_280
; %bb.279:                              ;   in Loop: Header=BB15_177 Depth=1
	v_mul_f32_e32 v13, v12, v12
	s_delay_alu instid0(VALU_DEP_1) | instskip(NEXT) | instid1(VALU_DEP_1)
	v_fmaak_f32 v15, s20, v13, 0x39679767
	v_fmaak_f32 v15, v13, v15, 0x3a9c54a1
	s_delay_alu instid0(VALU_DEP_1) | instskip(NEXT) | instid1(VALU_DEP_1)
	v_fmaak_f32 v15, v13, v15, 0x3bf2027e
	v_fmaak_f32 v15, v13, v15, 0x3d89f001
	s_delay_alu instid0(VALU_DEP_1) | instskip(SKIP_1) | instid1(VALU_DEP_1)
	v_fmaak_f32 v15, v13, v15, 0x3d9e233f
	v_fmaak_f32 v14, s16, v13, 0x38e28445
	;; [unrolled: 1-line block ×3, first 2 shown]
	s_delay_alu instid0(VALU_DEP_1) | instskip(NEXT) | instid1(VALU_DEP_1)
	v_fmaak_f32 v14, v13, v14, 0x3b3d6ec6
	v_fmaak_f32 v14, v13, v14, 0x3ca89915
	s_delay_alu instid0(VALU_DEP_1) | instskip(NEXT) | instid1(VALU_DEP_1)
	v_fmaak_f32 v14, v13, v14, 0x3ea51a66
	v_mul_f32_e32 v13, v13, v14
	s_delay_alu instid0(VALU_DEP_1) | instskip(NEXT) | instid1(VALU_DEP_1)
	v_fmac_f32_e32 v13, v12, v15
	v_fmac_f32_e32 v13, -0.5, v12
	s_delay_alu instid0(VALU_DEP_1)
	v_add_f32_e32 v10, v10, v13
.LBB15_280:                             ;   in Loop: Header=BB15_177 Depth=1
	s_or_b32 exec_lo, exec_lo, s23
.LBB15_281:                             ;   in Loop: Header=BB15_177 Depth=1
	s_delay_alu instid0(SALU_CYCLE_1)
	s_or_b32 exec_lo, exec_lo, s2
.LBB15_282:                             ;   in Loop: Header=BB15_177 Depth=1
	s_delay_alu instid0(SALU_CYCLE_1)
	s_or_b32 exec_lo, exec_lo, s4
.LBB15_283:                             ;   in Loop: Header=BB15_177 Depth=1
	s_and_not1_saveexec_b32 s2, s3
	s_cbranch_execz .LBB15_285
; %bb.284:                              ;   in Loop: Header=BB15_177 Depth=1
	v_cmp_gt_f32_e64 s3, 0x800000, |v5|
	v_fma_f32 v14, |v5|, s17, 0xbecd26ab
	s_delay_alu instid0(VALU_DEP_2) | instskip(NEXT) | instid1(VALU_DEP_1)
	v_cndmask_b32_e64 v10, 1.0, 0x4f800000, s3
	v_mul_f32_e64 v10, |v5|, v10
	s_delay_alu instid0(VALU_DEP_1) | instskip(SKIP_3) | instid1(VALU_DEP_2)
	v_log_f32_e32 v10, v10
	s_waitcnt_depctr 0xfff
	v_mul_f32_e32 v12, 0x3f317217, v10
	v_cmp_gt_f32_e64 s1, 0x7f800000, |v10|
	v_fma_f32 v13, 0x3f317217, v10, -v12
	s_delay_alu instid0(VALU_DEP_1) | instskip(NEXT) | instid1(VALU_DEP_1)
	v_fmac_f32_e32 v13, 0x3377d1cf, v10
	v_add_f32_e32 v12, v12, v13
	v_fma_f32 v13, |v5|, v14, 0x3f528d33
	s_delay_alu instid0(VALU_DEP_2) | instskip(SKIP_1) | instid1(VALU_DEP_3)
	v_cndmask_b32_e64 v10, v10, v12, s1
	v_cndmask_b32_e64 v12, 0, 0x41b17218, s3
	v_fma_f32 v13, |v5|, v13, 0xbf13c468
	s_delay_alu instid0(VALU_DEP_2) | instskip(NEXT) | instid1(VALU_DEP_1)
	v_sub_f32_e32 v10, v10, v12
	v_fma_f32 v10, |v5|, v13, -v10
.LBB15_285:                             ;   in Loop: Header=BB15_177 Depth=1
	s_or_b32 exec_lo, exec_lo, s2
	v_cmp_le_f32_e64 s1, 0, v5
	s_mov_b32 s3, exec_lo
	v_cmpx_nle_f32_e32 0, v5
	s_xor_b32 s4, exec_lo, s3
	s_cbranch_execz .LBB15_289
; %bb.286:                              ;   in Loop: Header=BB15_177 Depth=1
	v_cmp_gt_f32_e64 s2, 0x4b000000, |v5|
	v_cmp_lt_f32_e64 s3, 0x35000000, |v5|
	s_delay_alu instid0(VALU_DEP_1) | instskip(NEXT) | instid1(SALU_CYCLE_1)
	s_and_b32 s2, s2, s3
	s_and_saveexec_b32 s23, s2
	s_cbranch_execz .LBB15_288
; %bb.287:                              ;   in Loop: Header=BB15_177 Depth=1
	v_mul_f32_e64 v12, |v5|, 0.5
	s_delay_alu instid0(VALU_DEP_1) | instskip(SKIP_1) | instid1(VALU_DEP_2)
	v_floor_f32_e32 v13, v12
	v_cmp_neq_f32_e64 s2, 0x7f800000, v12
	v_sub_f32_e32 v13, v12, v13
	s_delay_alu instid0(VALU_DEP_1) | instskip(NEXT) | instid1(VALU_DEP_1)
	v_min_f32_e32 v13, 0x3f7fffff, v13
	v_add_f32_e32 v13, v13, v13
	s_delay_alu instid0(VALU_DEP_1) | instskip(SKIP_1) | instid1(VALU_DEP_1)
	v_cndmask_b32_e64 v12, 0, v13, s2
	v_cmp_gt_f32_e64 s2, |v5|, 1.0
	v_cndmask_b32_e64 v12, |v5|, v12, s2
	s_delay_alu instid0(VALU_DEP_1) | instskip(NEXT) | instid1(VALU_DEP_1)
	v_add_f32_e32 v13, v12, v12
	v_rndne_f32_e32 v13, v13
	s_delay_alu instid0(VALU_DEP_1) | instskip(SKIP_1) | instid1(VALU_DEP_2)
	v_fmac_f32_e32 v12, -0.5, v13
	v_cvt_i32_f32_e32 v13, v13
	v_mul_f32_e32 v14, v12, v12
	s_delay_alu instid0(VALU_DEP_1) | instskip(SKIP_1) | instid1(VALU_DEP_2)
	v_fmaak_f32 v15, s21, v14, 0xbf1f24be
	v_fmaak_f32 v16, s22, v14, 0x3e642e9d
	;; [unrolled: 1-line block ×3, first 2 shown]
	s_delay_alu instid0(VALU_DEP_2) | instskip(NEXT) | instid1(VALU_DEP_2)
	v_dual_fmaak_f32 v16, v14, v16, 0xbfaad1da :: v_dual_mul_f32 v17, v12, v14
	v_fmaak_f32 v15, v14, v15, 0xc0a55e0e
	s_delay_alu instid0(VALU_DEP_1) | instskip(NEXT) | instid1(VALU_DEP_1)
	v_dual_fmaak_f32 v16, v14, v16, 0x4081e0d3 :: v_dual_mul_f32 v15, v17, v15
	v_dual_fmaak_f32 v16, v14, v16, 0xc09de9e6 :: v_dual_and_b32 v17, 1, v13
	v_lshlrev_b32_e32 v13, 30, v13
	s_delay_alu instid0(VALU_DEP_3) | instskip(NEXT) | instid1(VALU_DEP_3)
	v_fmac_f32_e32 v15, 0x40490fdb, v12
	v_fma_f32 v12, v14, v16, 1.0
	s_delay_alu instid0(VALU_DEP_4) | instskip(NEXT) | instid1(VALU_DEP_4)
	v_cmp_eq_u32_e64 s2, 0, v17
	v_and_or_b32 v11, 0x80000000, v13, v11
	s_delay_alu instid0(VALU_DEP_2) | instskip(NEXT) | instid1(VALU_DEP_1)
	v_cndmask_b32_e64 v12, v12, v15, s2
	v_xor3_b32 v11, v11, v12, v5
	s_delay_alu instid0(VALU_DEP_1) | instskip(NEXT) | instid1(VALU_DEP_1)
	v_mul_f32_e32 v11, v5, v11
	v_frexp_mant_f32_e64 v12, |v11|
	v_frexp_exp_i32_f32_e32 v11, v11
	s_delay_alu instid0(VALU_DEP_2) | instskip(NEXT) | instid1(VALU_DEP_1)
	v_rcp_f32_e32 v12, v12
	v_sub_nc_u32_e32 v11, 2, v11
	s_waitcnt_depctr 0xfff
	v_mul_f32_e32 v12, 0x3f490fdb, v12
	s_delay_alu instid0(VALU_DEP_1) | instskip(NEXT) | instid1(VALU_DEP_1)
	v_ldexp_f32 v11, v12, v11
	v_cmp_gt_f32_e64 s2, 0x800000, v11
	s_delay_alu instid0(VALU_DEP_1) | instskip(NEXT) | instid1(VALU_DEP_1)
	v_cndmask_b32_e64 v12, 1.0, 0x4f800000, s2
	v_mul_f32_e32 v11, v11, v12
	s_delay_alu instid0(VALU_DEP_1) | instskip(SKIP_3) | instid1(VALU_DEP_2)
	v_log_f32_e32 v11, v11
	s_waitcnt_depctr 0xfff
	v_mul_f32_e32 v12, 0x3f317217, v11
	v_cmp_gt_f32_e64 s3, 0x7f800000, |v11|
	v_fma_f32 v13, 0x3f317217, v11, -v12
	s_delay_alu instid0(VALU_DEP_1) | instskip(NEXT) | instid1(VALU_DEP_1)
	v_fmac_f32_e32 v13, 0x3377d1cf, v11
	v_add_f32_e32 v12, v12, v13
	v_floor_f32_e32 v13, v5
	s_delay_alu instid0(VALU_DEP_2) | instskip(SKIP_1) | instid1(VALU_DEP_3)
	v_cndmask_b32_e64 v11, v11, v12, s3
	v_cndmask_b32_e64 v12, 0, 0x41b17218, s2
	v_sub_f32_e32 v13, v5, v13
	s_delay_alu instid0(VALU_DEP_1) | instskip(NEXT) | instid1(VALU_DEP_1)
	v_dual_sub_f32 v11, v11, v12 :: v_dual_min_f32 v12, 0x3f7fffff, v13
	v_sub_f32_e32 v10, v11, v10
	s_delay_alu instid0(VALU_DEP_2) | instskip(NEXT) | instid1(VALU_DEP_1)
	v_cmp_neq_f32_e64 s2, 0, v12
	v_cndmask_b32_e64 v10, 0x7f800000, v10, s2
.LBB15_288:                             ;   in Loop: Header=BB15_177 Depth=1
	s_or_b32 exec_lo, exec_lo, s23
.LBB15_289:                             ;   in Loop: Header=BB15_177 Depth=1
	s_and_not1_saveexec_b32 s4, s4
; %bb.290:                              ;   in Loop: Header=BB15_177 Depth=1
	v_cmp_eq_f32_e64 s2, 1.0, v5
	v_cmp_eq_f32_e64 s3, 2.0, v5
	s_delay_alu instid0(VALU_DEP_1) | instskip(NEXT) | instid1(SALU_CYCLE_1)
	s_or_b32 s2, s2, s3
	v_cndmask_b32_e64 v10, v10, 0, s2
; %bb.291:                              ;   in Loop: Header=BB15_177 Depth=1
	s_or_b32 exec_lo, exec_lo, s4
	v_and_b32_e32 v6, 0xffff0000, v6
                                        ; implicit-def: $vgpr12
	s_mov_b32 s3, exec_lo
	s_delay_alu instid0(VALU_DEP_1)
	v_and_b32_e32 v11, 0x7fffffff, v6
	v_cmpx_ngt_f32_e64 0x3c800000, |v6|
	s_xor_b32 s4, exec_lo, s3
	s_cbranch_execz .LBB15_321
; %bb.292:                              ;   in Loop: Header=BB15_177 Depth=1
                                        ; implicit-def: $vgpr12
	s_mov_b32 s3, exec_lo
	v_cmpx_nlt_f32_e64 |v6|, 2.0
	s_xor_b32 s23, exec_lo, s3
	s_cbranch_execz .LBB15_302
; %bb.293:                              ;   in Loop: Header=BB15_177 Depth=1
	s_mov_b32 s3, exec_lo
                                        ; implicit-def: $vgpr12
	v_cmpx_ngt_f32_e64 0x41000000, |v6|
	s_xor_b32 s3, exec_lo, s3
	s_cbranch_execz .LBB15_299
; %bb.294:                              ;   in Loop: Header=BB15_177 Depth=1
	s_mov_b32 s24, exec_lo
                                        ; implicit-def: $vgpr12
	v_cmpx_ngt_f32_e64 0x5c800000, |v6|
	s_xor_b32 s24, exec_lo, s24
	s_cbranch_execz .LBB15_296
; %bb.295:                              ;   in Loop: Header=BB15_177 Depth=1
	v_cmp_gt_f32_e64 s25, 0x800000, |v6|
	s_delay_alu instid0(VALU_DEP_1) | instskip(NEXT) | instid1(VALU_DEP_1)
	v_cndmask_b32_e64 v12, 1.0, 0x4f800000, s25
	v_mul_f32_e64 v12, |v6|, v12
	s_delay_alu instid0(VALU_DEP_1) | instskip(SKIP_3) | instid1(VALU_DEP_2)
	v_log_f32_e32 v12, v12
	s_waitcnt_depctr 0xfff
	v_mul_f32_e32 v13, 0x3f317217, v12
	v_cmp_gt_f32_e64 s2, 0x7f800000, |v12|
	v_fma_f32 v14, 0x3f317217, v12, -v13
	s_delay_alu instid0(VALU_DEP_1) | instskip(NEXT) | instid1(VALU_DEP_1)
	v_fmac_f32_e32 v14, 0x3377d1cf, v12
	v_add_f32_e32 v13, v13, v14
	s_delay_alu instid0(VALU_DEP_1) | instskip(SKIP_1) | instid1(VALU_DEP_1)
	v_cndmask_b32_e64 v12, v12, v13, s2
	v_cndmask_b32_e64 v13, 0, 0x41b17218, s25
	v_sub_f32_e32 v12, v12, v13
	s_delay_alu instid0(VALU_DEP_1)
	v_fma_f32 v12, |v6|, v12, -|v6|
.LBB15_296:                             ;   in Loop: Header=BB15_177 Depth=1
	s_and_not1_saveexec_b32 s24, s24
	s_cbranch_execz .LBB15_298
; %bb.297:                              ;   in Loop: Header=BB15_177 Depth=1
	v_cmp_gt_f32_e64 s25, 0x800000, |v6|
	v_rcp_f32_e64 v13, |v6|
	s_delay_alu instid0(VALU_DEP_1) | instskip(NEXT) | instid1(VALU_DEP_1)
	v_cndmask_b32_e64 v12, 1.0, 0x4f800000, s25
	v_mul_f32_e64 v12, |v6|, v12
	s_delay_alu instid0(VALU_DEP_1) | instskip(SKIP_3) | instid1(VALU_DEP_2)
	v_log_f32_e32 v12, v12
	s_waitcnt_depctr 0xfff
	v_dual_mul_f32 v14, v13, v13 :: v_dual_mul_f32 v15, 0x3f317217, v12
	v_cmp_gt_f32_e64 s2, 0x7f800000, |v12|
	v_fma_f32 v17, 0x3f317217, v12, -v15
	s_delay_alu instid0(VALU_DEP_1) | instskip(NEXT) | instid1(VALU_DEP_1)
	v_fmac_f32_e32 v17, 0x3377d1cf, v12
	v_dual_fmaak_f32 v16, s6, v14, 0x3a5b3dd2 :: v_dual_add_f32 v15, v15, v17
	s_delay_alu instid0(VALU_DEP_1) | instskip(SKIP_1) | instid1(VALU_DEP_1)
	v_cndmask_b32_e64 v12, v12, v15, s2
	v_cndmask_b32_e64 v15, 0, 0x41b17218, s25
	v_dual_fmaak_f32 v16, v14, v16, 0xba1c065c :: v_dual_sub_f32 v15, v12, v15
	s_delay_alu instid0(VALU_DEP_1) | instskip(NEXT) | instid1(VALU_DEP_1)
	v_fmaak_f32 v16, v14, v16, 0x3a500cfd
	v_fmaak_f32 v16, v14, v16, 0xbb360b61
	s_delay_alu instid0(VALU_DEP_1) | instskip(NEXT) | instid1(VALU_DEP_1)
	v_fmaak_f32 v14, v14, v16, 0x3daaaaab
	v_fmaak_f32 v12, v13, v14, 0x3ed67f1d
	v_add_f32_e64 v13, |v6|, -0.5
	v_add_f32_e32 v14, -1.0, v15
	s_delay_alu instid0(VALU_DEP_1)
	v_fmac_f32_e32 v12, v13, v14
.LBB15_298:                             ;   in Loop: Header=BB15_177 Depth=1
	s_or_b32 exec_lo, exec_lo, s24
.LBB15_299:                             ;   in Loop: Header=BB15_177 Depth=1
	s_and_not1_saveexec_b32 s24, s3
	s_cbranch_execz .LBB15_301
; %bb.300:                              ;   in Loop: Header=BB15_177 Depth=1
	v_cvt_i32_f32_e32 v12, v11
	s_delay_alu instid0(VALU_DEP_1) | instskip(SKIP_1) | instid1(VALU_DEP_2)
	v_cvt_f32_i32_e32 v13, v12
	v_cmp_lt_i32_e64 s2, 2, v12
	v_sub_f32_e64 v13, |v6|, v13
	s_delay_alu instid0(VALU_DEP_1) | instskip(SKIP_2) | instid1(VALU_DEP_3)
	v_add_f32_e32 v14, 2.0, v13
	v_add_f32_e32 v15, 0x40400000, v13
	v_add_f32_e32 v16, 4.0, v13
	v_cndmask_b32_e64 v14, 1.0, v14, s2
	v_cmp_lt_i32_e64 s2, 3, v12
	s_delay_alu instid0(VALU_DEP_1) | instskip(SKIP_1) | instid1(VALU_DEP_2)
	v_cndmask_b32_e64 v15, 1.0, v15, s2
	v_cmp_lt_i32_e64 s2, 4, v12
	v_dual_add_f32 v17, 0x40a00000, v13 :: v_dual_mul_f32 v14, v14, v15
	s_delay_alu instid0(VALU_DEP_2) | instskip(SKIP_1) | instid1(VALU_DEP_2)
	v_cndmask_b32_e64 v16, 1.0, v16, s2
	v_cmp_lt_i32_e64 s2, 5, v12
	v_mul_f32_e32 v14, v16, v14
	s_delay_alu instid0(VALU_DEP_2) | instskip(SKIP_3) | instid1(VALU_DEP_4)
	v_cndmask_b32_e64 v17, 1.0, v17, s2
	v_add_f32_e32 v15, 0x40c00000, v13
	v_cmp_lt_i32_e64 s2, 6, v12
	v_fmaak_f32 v16, s7, v13, 0x3af135b4
	v_mul_f32_e32 v14, v17, v14
	s_delay_alu instid0(VALU_DEP_3) | instskip(NEXT) | instid1(VALU_DEP_1)
	v_cndmask_b32_e64 v12, 1.0, v15, s2
	v_mul_f32_e32 v12, v12, v14
	s_delay_alu instid0(VALU_DEP_1) | instskip(NEXT) | instid1(VALU_DEP_1)
	v_cmp_gt_f32_e64 s2, 0x800000, v12
	v_cndmask_b32_e64 v15, 1.0, 0x4f800000, s2
	s_delay_alu instid0(VALU_DEP_1) | instskip(NEXT) | instid1(VALU_DEP_1)
	v_dual_mul_f32 v12, v12, v15 :: v_dual_fmaak_f32 v15, v13, v16, 0x3cda40e4
	v_log_f32_e32 v12, v12
	s_delay_alu instid0(VALU_DEP_1) | instskip(NEXT) | instid1(VALU_DEP_1)
	v_fmaak_f32 v15, v13, v15, 0x3e15dce6
	v_fmaak_f32 v15, v13, v15, 0x3ea6cc7a
	s_waitcnt_depctr 0xfff
	v_mul_f32_e32 v16, 0x3f317217, v12
	v_cmp_gt_f32_e64 s3, 0x7f800000, |v12|
	s_delay_alu instid0(VALU_DEP_2) | instskip(NEXT) | instid1(VALU_DEP_1)
	v_fma_f32 v17, 0x3f317217, v12, -v16
	v_fmac_f32_e32 v17, 0x3377d1cf, v12
	s_delay_alu instid0(VALU_DEP_1) | instskip(NEXT) | instid1(VALU_DEP_1)
	v_dual_fmaak_f32 v15, v13, v15, 0x3e5c245a :: v_dual_add_f32 v16, v16, v17
	v_fmaak_f32 v15, v13, v15, 0xbd9e233f
	v_fmaak_f32 v14, s8, v13, 0x3a4beed6
	s_delay_alu instid0(VALU_DEP_3) | instskip(NEXT) | instid1(VALU_DEP_3)
	v_cndmask_b32_e64 v12, v12, v16, s3
	v_mul_f32_e32 v15, v13, v15
	s_delay_alu instid0(VALU_DEP_3) | instskip(NEXT) | instid1(VALU_DEP_1)
	v_fmaak_f32 v14, v13, v14, 0x3c98bf54
	v_fmaak_f32 v14, v13, v14, 0x3e300f6e
	s_delay_alu instid0(VALU_DEP_1) | instskip(NEXT) | instid1(VALU_DEP_1)
	v_fmaak_f32 v14, v13, v14, 0x3f38d0c5
	v_fmaak_f32 v14, v13, v14, 0x3fb22d3b
	s_delay_alu instid0(VALU_DEP_1) | instskip(NEXT) | instid1(VALU_DEP_1)
	v_fma_f32 v14, v13, v14, 1.0
	v_rcp_f32_e32 v14, v14
	s_waitcnt_depctr 0xfff
	v_mul_f32_e32 v14, v15, v14
	v_cndmask_b32_e64 v15, 0, 0x41b17218, s2
	s_delay_alu instid0(VALU_DEP_2) | instskip(NEXT) | instid1(VALU_DEP_2)
	v_fmac_f32_e32 v14, 0.5, v13
	v_sub_f32_e32 v12, v12, v15
	s_delay_alu instid0(VALU_DEP_1)
	v_add_f32_e32 v12, v12, v14
.LBB15_301:                             ;   in Loop: Header=BB15_177 Depth=1
	s_or_b32 exec_lo, exec_lo, s24
.LBB15_302:                             ;   in Loop: Header=BB15_177 Depth=1
	s_and_not1_saveexec_b32 s23, s23
	s_cbranch_execz .LBB15_320
; %bb.303:                              ;   in Loop: Header=BB15_177 Depth=1
                                        ; implicit-def: $vgpr12
                                        ; implicit-def: $vgpr14
                                        ; implicit-def: $vgpr13
	s_mov_b32 s3, exec_lo
	v_cmpx_ge_f32_e64 0x3f666666, |v6|
	s_xor_b32 s24, exec_lo, s3
	s_cbranch_execz .LBB15_305
; %bb.304:                              ;   in Loop: Header=BB15_177 Depth=1
	v_cmp_gt_f32_e64 s3, 0x800000, |v6|
	v_sub_f32_e64 v15, 1.0, |v6|
	v_cmp_gt_f32_e64 s2, 0x3f3b4a23, |v6|
	s_delay_alu instid0(VALU_DEP_3) | instskip(SKIP_1) | instid1(VALU_DEP_2)
	v_cndmask_b32_e64 v12, 1.0, 0x4f800000, s3
	v_cndmask_b32_e64 v16, 0, 0x41b17218, s3
	v_mul_f32_e64 v12, |v6|, v12
	s_delay_alu instid0(VALU_DEP_1) | instskip(SKIP_3) | instid1(VALU_DEP_2)
	v_log_f32_e32 v12, v12
	s_waitcnt_depctr 0xfff
	v_mul_f32_e32 v13, 0x3f317217, v12
	v_cmp_gt_f32_e64 s3, 0x7f800000, |v12|
	v_fma_f32 v14, 0x3f317217, v12, -v13
	s_delay_alu instid0(VALU_DEP_1) | instskip(NEXT) | instid1(VALU_DEP_1)
	v_fmac_f32_e32 v14, 0x3377d1cf, v12
	v_add_f32_e32 v13, v13, v14
	v_add_f32_e64 v14, 0xbeec5b0c, |v6|
	s_delay_alu instid0(VALU_DEP_2) | instskip(NEXT) | instid1(VALU_DEP_2)
	v_cndmask_b32_e64 v12, v12, v13, s3
	v_cndmask_b32_e64 v13, v15, v14, s2
	v_cndmask_b32_e64 v14, 0, 1, s2
	v_cmp_gt_f32_e64 s2, 0x3e6d3309, |v6|
	s_delay_alu instid0(VALU_DEP_4) | instskip(NEXT) | instid1(VALU_DEP_2)
	v_sub_f32_e32 v12, v12, v16
	v_cndmask_b32_e64 v13, v13, |v6|, s2
	s_delay_alu instid0(VALU_DEP_4) | instskip(NEXT) | instid1(VALU_DEP_3)
	v_cndmask_b32_e64 v14, v14, 2, s2
	v_xor_b32_e32 v12, 0x80000000, v12
.LBB15_305:                             ;   in Loop: Header=BB15_177 Depth=1
	s_and_not1_saveexec_b32 s3, s24
; %bb.306:                              ;   in Loop: Header=BB15_177 Depth=1
	v_sub_f32_e64 v12, 2.0, |v6|
	v_add_f32_e64 v13, 0xbfbb16c3, |v6|
	v_cmp_gt_f32_e64 s2, 0x3fdda512, |v6|
	v_add_f32_e64 v14, |v6|, -1.0
	s_delay_alu instid0(VALU_DEP_2) | instskip(SKIP_2) | instid1(VALU_DEP_2)
	v_cndmask_b32_e64 v13, v12, v13, s2
	v_cndmask_b32_e64 v12, v12, 1.0, s2
	v_cmp_gt_f32_e64 s2, 0x3f9d70a4, |v6|
	v_cvt_i32_f32_e32 v12, v12
	s_delay_alu instid0(VALU_DEP_2) | instskip(NEXT) | instid1(VALU_DEP_2)
	v_cndmask_b32_e64 v13, v13, v14, s2
	v_cndmask_b32_e64 v14, v12, 2, s2
	v_mov_b32_e32 v12, 0
; %bb.307:                              ;   in Loop: Header=BB15_177 Depth=1
	s_or_b32 exec_lo, exec_lo, s3
	s_delay_alu instid0(SALU_CYCLE_1) | instskip(NEXT) | instid1(VALU_DEP_2)
	s_mov_b32 s3, exec_lo
	v_cmpx_lt_i32_e32 0, v14
	s_xor_b32 s3, exec_lo, s3
	s_cbranch_execz .LBB15_315
; %bb.308:                              ;   in Loop: Header=BB15_177 Depth=1
	s_mov_b32 s24, exec_lo
	v_cmpx_lt_i32_e32 1, v14
	s_xor_b32 s24, exec_lo, s24
	s_cbranch_execz .LBB15_312
; %bb.309:                              ;   in Loop: Header=BB15_177 Depth=1
	s_mov_b32 s25, exec_lo
	v_cmpx_eq_u32_e32 2, v14
	s_cbranch_execz .LBB15_311
; %bb.310:                              ;   in Loop: Header=BB15_177 Depth=1
	v_fmaak_f32 v15, s9, v13, 0x3e6a7578
	s_delay_alu instid0(VALU_DEP_1) | instskip(NEXT) | instid1(VALU_DEP_1)
	v_fmaak_f32 v15, v13, v15, 0x3f7a4bb2
	v_fmaak_f32 v15, v13, v15, 0x3fba3ae7
	s_delay_alu instid0(VALU_DEP_1) | instskip(NEXT) | instid1(VALU_DEP_1)
	v_fmaak_f32 v15, v13, v15, 0x3f2200f4
	v_fmaak_f32 v15, v13, v15, 0xbd9e233f
	s_delay_alu instid0(VALU_DEP_1) | instskip(NEXT) | instid1(VALU_DEP_1)
	v_dual_fmaak_f32 v14, s10, v13, 0x3dd572af :: v_dual_mul_f32 v15, v13, v15
	v_fmaak_f32 v14, v13, v14, 0x3f44efdf
	s_delay_alu instid0(VALU_DEP_1) | instskip(NEXT) | instid1(VALU_DEP_1)
	v_fmaak_f32 v14, v13, v14, 0x4008392d
	v_fmaak_f32 v14, v13, v14, 0x401d2ebe
	s_delay_alu instid0(VALU_DEP_1) | instskip(NEXT) | instid1(VALU_DEP_1)
	v_fma_f32 v14, v13, v14, 1.0
	v_rcp_f32_e32 v14, v14
	s_waitcnt_depctr 0xfff
	v_mul_f32_e32 v14, v15, v14
	s_delay_alu instid0(VALU_DEP_1) | instskip(NEXT) | instid1(VALU_DEP_1)
	v_fmac_f32_e32 v14, -0.5, v13
	v_add_f32_e32 v12, v12, v14
.LBB15_311:                             ;   in Loop: Header=BB15_177 Depth=1
	s_or_b32 exec_lo, exec_lo, s25
                                        ; implicit-def: $vgpr13
.LBB15_312:                             ;   in Loop: Header=BB15_177 Depth=1
	s_and_not1_saveexec_b32 s2, s24
	s_cbranch_execz .LBB15_314
; %bb.313:                              ;   in Loop: Header=BB15_177 Depth=1
	v_mul_f32_e32 v14, v13, v13
	s_delay_alu instid0(VALU_DEP_1) | instskip(NEXT) | instid1(VALU_DEP_1)
	v_mul_f32_e32 v15, v13, v14
	v_fmaak_f32 v16, s18, v15, 0x3a66f867
	v_fmaak_f32 v17, s19, v15, 0xba0d3085
	;; [unrolled: 1-line block ×3, first 2 shown]
	s_delay_alu instid0(VALU_DEP_3) | instskip(NEXT) | instid1(VALU_DEP_3)
	v_fmaak_f32 v16, v15, v16, 0xbb7177fe
	v_fmaak_f32 v17, v15, v17, 0x3b141699
	s_delay_alu instid0(VALU_DEP_3) | instskip(NEXT) | instid1(VALU_DEP_3)
	v_fmaak_f32 v18, v15, v18, 0x3bc7e707
	v_fmaak_f32 v16, v15, v16, 0x3c93373d
	;; [unrolled: 3-line block ×4, first 2 shown]
	s_delay_alu instid0(VALU_DEP_1) | instskip(NEXT) | instid1(VALU_DEP_1)
	v_dual_fmac_f32 v16, v13, v17 :: v_dual_fmaak_f32 v13, v15, v18, 0x3ef7b95e
	v_fma_f32 v15, v15, -v16, 0xa2863e55
	s_delay_alu instid0(VALU_DEP_1) | instskip(NEXT) | instid1(VALU_DEP_1)
	v_fma_f32 v13, v14, v13, -v15
	v_add_f32_e32 v13, 0xbdf8cdce, v13
	s_delay_alu instid0(VALU_DEP_1)
	v_add_f32_e32 v12, v12, v13
.LBB15_314:                             ;   in Loop: Header=BB15_177 Depth=1
	s_or_b32 exec_lo, exec_lo, s2
                                        ; implicit-def: $vgpr14
                                        ; implicit-def: $vgpr13
.LBB15_315:                             ;   in Loop: Header=BB15_177 Depth=1
	s_and_not1_saveexec_b32 s3, s3
	s_cbranch_execz .LBB15_319
; %bb.316:                              ;   in Loop: Header=BB15_177 Depth=1
	s_mov_b32 s24, exec_lo
	v_cmpx_eq_u32_e32 0, v14
	s_cbranch_execz .LBB15_318
; %bb.317:                              ;   in Loop: Header=BB15_177 Depth=1
	v_mul_f32_e32 v14, v13, v13
	s_delay_alu instid0(VALU_DEP_1) | instskip(NEXT) | instid1(VALU_DEP_1)
	v_fmaak_f32 v16, s20, v14, 0x39679767
	v_fmaak_f32 v16, v14, v16, 0x3a9c54a1
	s_delay_alu instid0(VALU_DEP_1) | instskip(NEXT) | instid1(VALU_DEP_1)
	v_fmaak_f32 v16, v14, v16, 0x3bf2027e
	v_fmaak_f32 v16, v14, v16, 0x3d89f001
	s_delay_alu instid0(VALU_DEP_1) | instskip(SKIP_1) | instid1(VALU_DEP_1)
	v_fmaak_f32 v16, v14, v16, 0x3d9e233f
	v_fmaak_f32 v15, s16, v14, 0x38e28445
	;; [unrolled: 1-line block ×3, first 2 shown]
	s_delay_alu instid0(VALU_DEP_1) | instskip(NEXT) | instid1(VALU_DEP_1)
	v_fmaak_f32 v15, v14, v15, 0x3b3d6ec6
	v_fmaak_f32 v15, v14, v15, 0x3ca89915
	s_delay_alu instid0(VALU_DEP_1) | instskip(NEXT) | instid1(VALU_DEP_1)
	v_fmaak_f32 v15, v14, v15, 0x3ea51a66
	v_mul_f32_e32 v14, v14, v15
	s_delay_alu instid0(VALU_DEP_1) | instskip(NEXT) | instid1(VALU_DEP_1)
	v_fmac_f32_e32 v14, v13, v16
	v_fmac_f32_e32 v14, -0.5, v13
	s_delay_alu instid0(VALU_DEP_1)
	v_add_f32_e32 v12, v12, v14
.LBB15_318:                             ;   in Loop: Header=BB15_177 Depth=1
	s_or_b32 exec_lo, exec_lo, s24
.LBB15_319:                             ;   in Loop: Header=BB15_177 Depth=1
	s_delay_alu instid0(SALU_CYCLE_1)
	s_or_b32 exec_lo, exec_lo, s3
.LBB15_320:                             ;   in Loop: Header=BB15_177 Depth=1
	s_delay_alu instid0(SALU_CYCLE_1)
	s_or_b32 exec_lo, exec_lo, s23
.LBB15_321:                             ;   in Loop: Header=BB15_177 Depth=1
	s_and_not1_saveexec_b32 s3, s4
	s_cbranch_execz .LBB15_323
; %bb.322:                              ;   in Loop: Header=BB15_177 Depth=1
	v_cmp_gt_f32_e64 s4, 0x800000, |v6|
	v_fma_f32 v15, |v6|, s17, 0xbecd26ab
	s_delay_alu instid0(VALU_DEP_2) | instskip(NEXT) | instid1(VALU_DEP_1)
	v_cndmask_b32_e64 v12, 1.0, 0x4f800000, s4
	v_mul_f32_e64 v12, |v6|, v12
	s_delay_alu instid0(VALU_DEP_1) | instskip(SKIP_3) | instid1(VALU_DEP_2)
	v_log_f32_e32 v12, v12
	s_waitcnt_depctr 0xfff
	v_mul_f32_e32 v13, 0x3f317217, v12
	v_cmp_gt_f32_e64 s2, 0x7f800000, |v12|
	v_fma_f32 v14, 0x3f317217, v12, -v13
	s_delay_alu instid0(VALU_DEP_1) | instskip(NEXT) | instid1(VALU_DEP_1)
	v_fmac_f32_e32 v14, 0x3377d1cf, v12
	v_add_f32_e32 v13, v13, v14
	v_fma_f32 v14, |v6|, v15, 0x3f528d33
	s_delay_alu instid0(VALU_DEP_2) | instskip(SKIP_1) | instid1(VALU_DEP_3)
	v_cndmask_b32_e64 v12, v12, v13, s2
	v_cndmask_b32_e64 v13, 0, 0x41b17218, s4
	v_fma_f32 v14, |v6|, v14, 0xbf13c468
	s_delay_alu instid0(VALU_DEP_2) | instskip(NEXT) | instid1(VALU_DEP_1)
	v_sub_f32_e32 v12, v12, v13
	v_fma_f32 v12, |v6|, v14, -v12
.LBB15_323:                             ;   in Loop: Header=BB15_177 Depth=1
	s_or_b32 exec_lo, exec_lo, s3
	v_cmp_le_f32_e64 s2, 0, v6
	s_mov_b32 s4, exec_lo
	v_cmpx_nle_f32_e32 0, v6
	s_xor_b32 s23, exec_lo, s4
	s_cbranch_execz .LBB15_327
; %bb.324:                              ;   in Loop: Header=BB15_177 Depth=1
	v_cmp_gt_f32_e64 s3, 0x4b000000, |v6|
	v_cmp_lt_f32_e64 s4, 0x35000000, |v6|
	s_delay_alu instid0(VALU_DEP_1) | instskip(NEXT) | instid1(SALU_CYCLE_1)
	s_and_b32 s3, s3, s4
	s_and_saveexec_b32 s24, s3
	s_cbranch_execz .LBB15_326
; %bb.325:                              ;   in Loop: Header=BB15_177 Depth=1
	v_mul_f32_e64 v13, |v6|, 0.5
	s_delay_alu instid0(VALU_DEP_1) | instskip(SKIP_1) | instid1(VALU_DEP_2)
	v_floor_f32_e32 v14, v13
	v_cmp_neq_f32_e64 s3, 0x7f800000, v13
	v_sub_f32_e32 v14, v13, v14
	s_delay_alu instid0(VALU_DEP_1) | instskip(NEXT) | instid1(VALU_DEP_1)
	v_min_f32_e32 v14, 0x3f7fffff, v14
	v_add_f32_e32 v14, v14, v14
	s_delay_alu instid0(VALU_DEP_1) | instskip(SKIP_1) | instid1(VALU_DEP_1)
	v_cndmask_b32_e64 v13, 0, v14, s3
	v_cmp_gt_f32_e64 s3, |v6|, 1.0
	v_cndmask_b32_e64 v13, |v6|, v13, s3
	s_delay_alu instid0(VALU_DEP_1) | instskip(NEXT) | instid1(VALU_DEP_1)
	v_add_f32_e32 v14, v13, v13
	v_rndne_f32_e32 v14, v14
	s_delay_alu instid0(VALU_DEP_1) | instskip(SKIP_1) | instid1(VALU_DEP_2)
	v_fmac_f32_e32 v13, -0.5, v14
	v_cvt_i32_f32_e32 v14, v14
	v_mul_f32_e32 v15, v13, v13
	s_delay_alu instid0(VALU_DEP_1) | instskip(SKIP_1) | instid1(VALU_DEP_2)
	v_fmaak_f32 v16, s21, v15, 0xbf1f24be
	v_fmaak_f32 v17, s22, v15, 0x3e642e9d
	;; [unrolled: 1-line block ×3, first 2 shown]
	s_delay_alu instid0(VALU_DEP_2) | instskip(NEXT) | instid1(VALU_DEP_2)
	v_dual_fmaak_f32 v17, v15, v17, 0xbfaad1da :: v_dual_mul_f32 v18, v13, v15
	v_fmaak_f32 v16, v15, v16, 0xc0a55e0e
	s_delay_alu instid0(VALU_DEP_1) | instskip(NEXT) | instid1(VALU_DEP_1)
	v_dual_fmaak_f32 v17, v15, v17, 0x4081e0d3 :: v_dual_mul_f32 v16, v18, v16
	v_dual_fmaak_f32 v17, v15, v17, 0xc09de9e6 :: v_dual_and_b32 v18, 1, v14
	v_lshlrev_b32_e32 v14, 30, v14
	s_delay_alu instid0(VALU_DEP_3) | instskip(NEXT) | instid1(VALU_DEP_3)
	v_fmac_f32_e32 v16, 0x40490fdb, v13
	v_fma_f32 v13, v15, v17, 1.0
	s_delay_alu instid0(VALU_DEP_4) | instskip(NEXT) | instid1(VALU_DEP_4)
	v_cmp_eq_u32_e64 s3, 0, v18
	v_and_or_b32 v11, 0x80000000, v14, v11
	s_delay_alu instid0(VALU_DEP_2) | instskip(NEXT) | instid1(VALU_DEP_1)
	v_cndmask_b32_e64 v13, v13, v16, s3
	v_xor3_b32 v11, v11, v13, v6
	s_delay_alu instid0(VALU_DEP_1) | instskip(NEXT) | instid1(VALU_DEP_1)
	v_mul_f32_e32 v11, v6, v11
	v_frexp_mant_f32_e64 v13, |v11|
	v_frexp_exp_i32_f32_e32 v11, v11
	s_delay_alu instid0(VALU_DEP_2) | instskip(NEXT) | instid1(VALU_DEP_1)
	v_rcp_f32_e32 v13, v13
	v_sub_nc_u32_e32 v11, 2, v11
	s_waitcnt_depctr 0xfff
	v_mul_f32_e32 v13, 0x3f490fdb, v13
	s_delay_alu instid0(VALU_DEP_1) | instskip(NEXT) | instid1(VALU_DEP_1)
	v_ldexp_f32 v11, v13, v11
	v_cmp_gt_f32_e64 s3, 0x800000, v11
	s_delay_alu instid0(VALU_DEP_1) | instskip(NEXT) | instid1(VALU_DEP_1)
	v_cndmask_b32_e64 v13, 1.0, 0x4f800000, s3
	v_mul_f32_e32 v11, v11, v13
	s_delay_alu instid0(VALU_DEP_1) | instskip(SKIP_3) | instid1(VALU_DEP_2)
	v_log_f32_e32 v11, v11
	s_waitcnt_depctr 0xfff
	v_mul_f32_e32 v13, 0x3f317217, v11
	v_cmp_gt_f32_e64 s4, 0x7f800000, |v11|
	v_fma_f32 v14, 0x3f317217, v11, -v13
	s_delay_alu instid0(VALU_DEP_1) | instskip(NEXT) | instid1(VALU_DEP_1)
	v_fmac_f32_e32 v14, 0x3377d1cf, v11
	v_add_f32_e32 v13, v13, v14
	v_floor_f32_e32 v14, v6
	s_delay_alu instid0(VALU_DEP_2) | instskip(SKIP_1) | instid1(VALU_DEP_1)
	v_cndmask_b32_e64 v11, v11, v13, s4
	v_cndmask_b32_e64 v13, 0, 0x41b17218, s3
	v_dual_sub_f32 v14, v6, v14 :: v_dual_sub_f32 v11, v11, v13
	s_delay_alu instid0(VALU_DEP_1) | instskip(NEXT) | instid1(VALU_DEP_2)
	v_min_f32_e32 v13, 0x3f7fffff, v14
	v_sub_f32_e32 v11, v11, v12
	s_delay_alu instid0(VALU_DEP_2) | instskip(NEXT) | instid1(VALU_DEP_1)
	v_cmp_neq_f32_e64 s3, 0, v13
	v_cndmask_b32_e64 v12, 0x7f800000, v11, s3
.LBB15_326:                             ;   in Loop: Header=BB15_177 Depth=1
	s_or_b32 exec_lo, exec_lo, s24
.LBB15_327:                             ;   in Loop: Header=BB15_177 Depth=1
	s_and_not1_saveexec_b32 s23, s23
	s_cbranch_execz .LBB15_176
; %bb.328:                              ;   in Loop: Header=BB15_177 Depth=1
	v_cmp_eq_f32_e64 s3, 1.0, v6
	v_cmp_eq_f32_e64 s4, 2.0, v6
	s_delay_alu instid0(VALU_DEP_1) | instskip(NEXT) | instid1(SALU_CYCLE_1)
	s_or_b32 s3, s3, s4
	v_cndmask_b32_e64 v12, v12, 0, s3
	s_branch .LBB15_176
.LBB15_329:
	s_nop 0
	s_sendmsg sendmsg(MSG_DEALLOC_VGPRS)
	s_endpgm
	.section	.rodata,"a",@progbits
	.p2align	6, 0x0
	.amdhsa_kernel _ZN2at6native12_GLOBAL__N_125multi_tensor_apply_kernelINS1_18TensorListMetadataILi1EEENS1_14UnaryOpFunctorIN3c108BFloat16ELi1ELi1ELi0EEEJNS0_6LgammaIfEEEEEvT_T0_DpT1_
		.amdhsa_group_segment_fixed_size 0
		.amdhsa_private_segment_fixed_size 0
		.amdhsa_kernarg_size 3632
		.amdhsa_user_sgpr_count 15
		.amdhsa_user_sgpr_dispatch_ptr 0
		.amdhsa_user_sgpr_queue_ptr 0
		.amdhsa_user_sgpr_kernarg_segment_ptr 1
		.amdhsa_user_sgpr_dispatch_id 0
		.amdhsa_user_sgpr_private_segment_size 0
		.amdhsa_wavefront_size32 1
		.amdhsa_uses_dynamic_stack 0
		.amdhsa_enable_private_segment 0
		.amdhsa_system_sgpr_workgroup_id_x 1
		.amdhsa_system_sgpr_workgroup_id_y 0
		.amdhsa_system_sgpr_workgroup_id_z 0
		.amdhsa_system_sgpr_workgroup_info 0
		.amdhsa_system_vgpr_workitem_id 0
		.amdhsa_next_free_vgpr 26
		.amdhsa_next_free_sgpr 41
		.amdhsa_reserve_vcc 1
		.amdhsa_float_round_mode_32 0
		.amdhsa_float_round_mode_16_64 0
		.amdhsa_float_denorm_mode_32 3
		.amdhsa_float_denorm_mode_16_64 3
		.amdhsa_dx10_clamp 1
		.amdhsa_ieee_mode 1
		.amdhsa_fp16_overflow 0
		.amdhsa_workgroup_processor_mode 1
		.amdhsa_memory_ordered 1
		.amdhsa_forward_progress 0
		.amdhsa_shared_vgpr_count 0
		.amdhsa_exception_fp_ieee_invalid_op 0
		.amdhsa_exception_fp_denorm_src 0
		.amdhsa_exception_fp_ieee_div_zero 0
		.amdhsa_exception_fp_ieee_overflow 0
		.amdhsa_exception_fp_ieee_underflow 0
		.amdhsa_exception_fp_ieee_inexact 0
		.amdhsa_exception_int_div_zero 0
	.end_amdhsa_kernel
	.section	.text._ZN2at6native12_GLOBAL__N_125multi_tensor_apply_kernelINS1_18TensorListMetadataILi1EEENS1_14UnaryOpFunctorIN3c108BFloat16ELi1ELi1ELi0EEEJNS0_6LgammaIfEEEEEvT_T0_DpT1_,"axG",@progbits,_ZN2at6native12_GLOBAL__N_125multi_tensor_apply_kernelINS1_18TensorListMetadataILi1EEENS1_14UnaryOpFunctorIN3c108BFloat16ELi1ELi1ELi0EEEJNS0_6LgammaIfEEEEEvT_T0_DpT1_,comdat
.Lfunc_end15:
	.size	_ZN2at6native12_GLOBAL__N_125multi_tensor_apply_kernelINS1_18TensorListMetadataILi1EEENS1_14UnaryOpFunctorIN3c108BFloat16ELi1ELi1ELi0EEEJNS0_6LgammaIfEEEEEvT_T0_DpT1_, .Lfunc_end15-_ZN2at6native12_GLOBAL__N_125multi_tensor_apply_kernelINS1_18TensorListMetadataILi1EEENS1_14UnaryOpFunctorIN3c108BFloat16ELi1ELi1ELi0EEEJNS0_6LgammaIfEEEEEvT_T0_DpT1_
                                        ; -- End function
	.section	.AMDGPU.csdata,"",@progbits
; Kernel info:
; codeLenInByte = 22708
; NumSgprs: 43
; NumVgprs: 26
; ScratchSize: 0
; MemoryBound: 0
; FloatMode: 240
; IeeeMode: 1
; LDSByteSize: 0 bytes/workgroup (compile time only)
; SGPRBlocks: 5
; VGPRBlocks: 3
; NumSGPRsForWavesPerEU: 43
; NumVGPRsForWavesPerEU: 26
; Occupancy: 16
; WaveLimiterHint : 0
; COMPUTE_PGM_RSRC2:SCRATCH_EN: 0
; COMPUTE_PGM_RSRC2:USER_SGPR: 15
; COMPUTE_PGM_RSRC2:TRAP_HANDLER: 0
; COMPUTE_PGM_RSRC2:TGID_X_EN: 1
; COMPUTE_PGM_RSRC2:TGID_Y_EN: 0
; COMPUTE_PGM_RSRC2:TGID_Z_EN: 0
; COMPUTE_PGM_RSRC2:TIDIG_COMP_CNT: 0
	.section	.text._ZN2at6native12_GLOBAL__N_125multi_tensor_apply_kernelINS1_18TensorListMetadataILi2EEENS1_14UnaryOpFunctorIdLi2ELi1ELi1EEEJNS0_6TruncfIdEEEEEvT_T0_DpT1_,"axG",@progbits,_ZN2at6native12_GLOBAL__N_125multi_tensor_apply_kernelINS1_18TensorListMetadataILi2EEENS1_14UnaryOpFunctorIdLi2ELi1ELi1EEEJNS0_6TruncfIdEEEEEvT_T0_DpT1_,comdat
	.globl	_ZN2at6native12_GLOBAL__N_125multi_tensor_apply_kernelINS1_18TensorListMetadataILi2EEENS1_14UnaryOpFunctorIdLi2ELi1ELi1EEEJNS0_6TruncfIdEEEEEvT_T0_DpT1_ ; -- Begin function _ZN2at6native12_GLOBAL__N_125multi_tensor_apply_kernelINS1_18TensorListMetadataILi2EEENS1_14UnaryOpFunctorIdLi2ELi1ELi1EEEJNS0_6TruncfIdEEEEEvT_T0_DpT1_
	.p2align	8
	.type	_ZN2at6native12_GLOBAL__N_125multi_tensor_apply_kernelINS1_18TensorListMetadataILi2EEENS1_14UnaryOpFunctorIdLi2ELi1ELi1EEEJNS0_6TruncfIdEEEEEvT_T0_DpT1_,@function
_ZN2at6native12_GLOBAL__N_125multi_tensor_apply_kernelINS1_18TensorListMetadataILi2EEENS1_14UnaryOpFunctorIdLi2ELi1ELi1EEEJNS0_6TruncfIdEEEEEvT_T0_DpT1_: ; @_ZN2at6native12_GLOBAL__N_125multi_tensor_apply_kernelINS1_18TensorListMetadataILi2EEENS1_14UnaryOpFunctorIdLi2ELi1ELi1EEEJNS0_6TruncfIdEEEEEvT_T0_DpT1_
; %bb.0:
	v_mov_b32_e32 v1, s15
	s_add_u32 s2, s0, s15
	s_mul_hi_u32 s3, s15, 3
	s_mul_i32 s15, s15, 3
	s_addc_u32 s4, s1, 0
	global_load_u8 v1, v1, s[0:1] offset:1536
	s_add_u32 s2, s2, s15
	s_addc_u32 s3, s4, s3
	s_mov_b32 s17, 0
	s_load_b32 s2, s[2:3], 0x740
	s_mov_b32 s19, s17
	s_mov_b32 s21, s17
	s_waitcnt vmcnt(0)
	v_readfirstlane_b32 s5, v1
	s_delay_alu instid0(VALU_DEP_1)
	s_lshl_b32 s3, s5, 3
	s_clause 0x2
	s_load_b64 s[10:11], s[0:1], s3 offset:0x0
	s_load_b64 s[12:13], s[0:1], s3 offset:0x200
	;; [unrolled: 1-line block ×3, first 2 shown]
	s_waitcnt lgkmcnt(0)
	s_ashr_i32 s3, s2, 31
	s_delay_alu instid0(SALU_CYCLE_1) | instskip(NEXT) | instid1(SALU_CYCLE_1)
	s_lshl_b64 s[4:5], s[2:3], 19
	s_add_u32 s8, s10, s4
	s_addc_u32 s9, s11, s5
	s_and_b32 s16, s8, 31
	s_add_u32 s14, s12, s4
	s_addc_u32 s15, s13, s5
	s_and_b32 s18, s6, 3
	s_and_b32 s20, s14, 31
	s_or_b64 s[16:17], s[16:17], s[18:19]
	s_lshl_b64 s[2:3], s[2:3], 16
	s_or_b64 s[16:17], s[20:21], s[16:17]
	s_sub_u32 s6, s6, s2
	s_subb_u32 s7, s7, s3
	s_cmp_eq_u64 s[16:17], 0
	s_mov_b32 s2, -1
	s_cbranch_scc0 .LBB16_5
; %bb.1:
	v_dual_mov_b32 v2, 0 :: v_dual_lshlrev_b32 v1, 2, v0
	s_mov_b32 s16, exec_lo
	s_delay_alu instid0(VALU_DEP_1)
	v_cmpx_gt_i64_e64 s[6:7], v[1:2]
	s_cbranch_execz .LBB16_4
; %bb.2:
	s_load_b32 s2, s[0:1], 0xc5c
	v_lshlrev_b32_e32 v3, 5, v0
	s_mov_b32 s17, 0
	s_waitcnt lgkmcnt(0)
	s_and_b32 s2, s2, 0xffff
	s_delay_alu instid0(SALU_CYCLE_1)
	v_add_lshl_u32 v1, v0, s2, 2
	s_lshl_b32 s18, s2, 2
	s_lshl_b32 s19, s2, 5
	s_set_inst_prefetch_distance 0x1
	.p2align	6
.LBB16_3:                               ; =>This Inner Loop Header: Depth=1
	v_add_co_u32 v8, s2, s8, v3
	s_delay_alu instid0(VALU_DEP_1)
	v_add_co_ci_u32_e64 v9, null, s9, 0, s2
	v_cmp_le_i64_e32 vcc_lo, s[6:7], v[1:2]
	v_cmp_lt_u64_e64 s2, 0xffff, v[1:2]
	v_add_co_u32 v12, s3, s14, v3
	s_clause 0x1
	global_load_b128 v[4:7], v[8:9], off
	global_load_b128 v[8:11], v[8:9], off offset:16
	v_add_co_ci_u32_e64 v13, null, s15, 0, s3
	s_or_b32 s2, vcc_lo, s2
	s_add_u32 s8, s8, s19
	v_add_co_u32 v1, s3, v1, s18
	s_addc_u32 s9, s9, 0
	s_add_u32 s14, s14, s19
	v_add_co_ci_u32_e64 v2, s3, 0, v2, s3
	s_addc_u32 s15, s15, 0
	s_and_b32 s2, exec_lo, s2
	s_delay_alu instid0(SALU_CYCLE_1)
	s_or_b32 s17, s2, s17
	s_waitcnt vmcnt(1)
	v_trunc_f64_e32 v[4:5], v[4:5]
	v_trunc_f64_e32 v[6:7], v[6:7]
	s_waitcnt vmcnt(0)
	v_trunc_f64_e32 v[8:9], v[8:9]
	v_trunc_f64_e32 v[10:11], v[10:11]
	s_clause 0x1
	global_store_b128 v[12:13], v[4:7], off
	global_store_b128 v[12:13], v[8:11], off offset:16
	s_and_not1_b32 exec_lo, exec_lo, s17
	s_cbranch_execnz .LBB16_3
.LBB16_4:
	s_set_inst_prefetch_distance 0x2
	s_or_b32 exec_lo, exec_lo, s16
	s_mov_b32 s2, 0
.LBB16_5:
	s_delay_alu instid0(SALU_CYCLE_1)
	s_and_not1_b32 vcc_lo, exec_lo, s2
	s_cbranch_vccnz .LBB16_25
; %bb.6:
	v_cmp_lt_i64_e64 s2, s[6:7], 1
	s_delay_alu instid0(VALU_DEP_1)
	s_and_b32 vcc_lo, exec_lo, s2
	s_cbranch_vccnz .LBB16_25
; %bb.7:
	s_load_b32 s0, s[0:1], 0xc5c
	v_dual_mov_b32 v2, 0 :: v_dual_lshlrev_b32 v1, 3, v0
	v_cmp_gt_u64_e64 s1, 0x10000, s[6:7]
	s_delay_alu instid0(VALU_DEP_2) | instskip(NEXT) | instid1(VALU_DEP_1)
	v_add_co_u32 v9, s2, s10, v1
	v_add_co_ci_u32_e64 v10, null, s11, 0, s2
	v_add_co_u32 v11, s2, s12, v1
	s_delay_alu instid0(VALU_DEP_1)
	v_add_co_ci_u32_e64 v12, null, s13, 0, s2
	s_waitcnt lgkmcnt(0)
	s_and_b32 s0, s0, 0xffff
	s_and_b32 s1, s1, exec_lo
	v_mad_u64_u32 v[3:4], null, s0, 24, v[1:2]
	s_cselect_b32 s9, s7, 0
	s_cselect_b32 s8, s6, 0x10000
	s_lshl_b32 s3, s0, 4
	s_mul_i32 s2, s0, 3
	v_add_co_u32 v1, s3, s3, v1
	s_delay_alu instid0(VALU_DEP_2) | instskip(NEXT) | instid1(VALU_DEP_3)
	v_add_co_u32 v13, vcc_lo, s10, v3
	v_add_co_ci_u32_e32 v14, vcc_lo, s11, v4, vcc_lo
	v_add_co_u32 v17, s2, s2, v0
	v_add_co_u32 v15, vcc_lo, s12, v3
	v_add_co_ci_u32_e64 v2, null, 0, 0, s3
	v_add_co_ci_u32_e64 v18, null, 0, 0, s2
	v_add_co_u32 v21, s2, v0, s0
	v_add_co_ci_u32_e32 v16, vcc_lo, s13, v4, vcc_lo
	v_add_co_u32 v19, vcc_lo, s10, v1
	v_add_co_ci_u32_e32 v20, vcc_lo, s11, v2, vcc_lo
	v_add_co_u32 v22, vcc_lo, s12, v1
	v_lshlrev_b32_e32 v1, 3, v21
	s_lshl_b32 s1, s0, 1
	v_add_co_ci_u32_e32 v23, vcc_lo, s13, v2, vcc_lo
	v_add_co_u32 v25, s1, s1, v0
	s_delay_alu instid0(VALU_DEP_1) | instskip(SKIP_1) | instid1(VALU_DEP_1)
	v_add_co_ci_u32_e64 v26, null, 0, 0, s1
	v_add_co_u32 v27, s1, s10, v1
	v_add_co_ci_u32_e64 v28, null, s11, 0, s1
	v_add_co_u32 v29, s1, s12, v1
	v_add_co_ci_u32_e64 v24, null, 0, 0, s2
	v_add_co_ci_u32_e64 v30, null, s13, 0, s1
	s_lshl_b32 s12, s0, 2
	s_lshl_b32 s13, s0, 5
	s_mov_b64 s[10:11], 0
	s_branch .LBB16_9
.LBB16_8:                               ;   in Loop: Header=BB16_9 Depth=1
	s_or_b32 exec_lo, exec_lo, s0
	v_add_co_u32 v9, vcc_lo, v9, s13
	v_add_co_ci_u32_e32 v10, vcc_lo, 0, v10, vcc_lo
	v_add_co_u32 v11, vcc_lo, v11, s13
	v_add_co_ci_u32_e32 v12, vcc_lo, 0, v12, vcc_lo
	;; [unrolled: 2-line block ×5, first 2 shown]
	s_add_u32 s10, s10, s12
	v_add_co_u32 v22, vcc_lo, v22, s13
	s_addc_u32 s11, s11, 0
	v_add_co_ci_u32_e32 v23, vcc_lo, 0, v23, vcc_lo
	v_cmp_ge_i64_e64 s0, s[10:11], s[6:7]
	v_cmp_lt_u64_e64 s1, 0xffff, s[10:11]
	v_add_co_u32 v27, vcc_lo, v27, s13
	v_add_co_ci_u32_e32 v28, vcc_lo, 0, v28, vcc_lo
	v_add_co_u32 v29, vcc_lo, v29, s13
	v_add_co_ci_u32_e32 v30, vcc_lo, 0, v30, vcc_lo
	s_or_b32 s0, s0, s1
	s_delay_alu instid0(SALU_CYCLE_1)
	s_and_b32 vcc_lo, exec_lo, s0
	s_cbranch_vccnz .LBB16_25
.LBB16_9:                               ; =>This Inner Loop Header: Depth=1
	s_waitcnt vmcnt(0)
	v_add_co_u32 v3, s0, v0, s10
	s_delay_alu instid0(VALU_DEP_1) | instskip(SKIP_2) | instid1(VALU_DEP_3)
	v_add_co_ci_u32_e64 v4, null, 0, s11, s0
	v_mov_b32_e32 v1, 0
	v_mov_b32_e32 v2, 0
	v_cmp_gt_u64_e32 vcc_lo, s[8:9], v[3:4]
	s_delay_alu instid0(VALU_DEP_2)
	v_dual_mov_b32 v4, v2 :: v_dual_mov_b32 v3, v1
	s_and_saveexec_b32 s1, vcc_lo
	s_cbranch_execz .LBB16_11
; %bb.10:                               ;   in Loop: Header=BB16_9 Depth=1
	v_add_co_u32 v3, s0, v9, s4
	s_delay_alu instid0(VALU_DEP_1)
	v_add_co_ci_u32_e64 v4, s0, s5, v10, s0
	global_load_b64 v[3:4], v[3:4], off
.LBB16_11:                              ;   in Loop: Header=BB16_9 Depth=1
	s_or_b32 exec_lo, exec_lo, s1
	v_add_co_u32 v5, s0, v21, s10
	s_delay_alu instid0(VALU_DEP_1) | instskip(NEXT) | instid1(VALU_DEP_1)
	v_add_co_ci_u32_e64 v6, s0, s11, v24, s0
	v_cmp_gt_u64_e64 s0, s[8:9], v[5:6]
	s_delay_alu instid0(VALU_DEP_1)
	s_and_saveexec_b32 s2, s0
	s_cbranch_execz .LBB16_13
; %bb.12:                               ;   in Loop: Header=BB16_9 Depth=1
	v_add_co_u32 v1, s1, v27, s4
	s_delay_alu instid0(VALU_DEP_1)
	v_add_co_ci_u32_e64 v2, s1, s5, v28, s1
	global_load_b64 v[1:2], v[1:2], off
.LBB16_13:                              ;   in Loop: Header=BB16_9 Depth=1
	s_or_b32 exec_lo, exec_lo, s2
	v_add_co_u32 v7, s1, v25, s10
	s_delay_alu instid0(VALU_DEP_1) | instskip(SKIP_2) | instid1(VALU_DEP_3)
	v_add_co_ci_u32_e64 v8, s1, s11, v26, s1
	v_mov_b32_e32 v5, 0
	v_mov_b32_e32 v6, 0
	v_cmp_gt_u64_e64 s1, s[8:9], v[7:8]
	s_delay_alu instid0(VALU_DEP_2) | instskip(NEXT) | instid1(VALU_DEP_2)
	v_dual_mov_b32 v8, v6 :: v_dual_mov_b32 v7, v5
	s_and_saveexec_b32 s3, s1
	s_cbranch_execz .LBB16_15
; %bb.14:                               ;   in Loop: Header=BB16_9 Depth=1
	v_add_co_u32 v7, s2, v19, s4
	s_delay_alu instid0(VALU_DEP_1)
	v_add_co_ci_u32_e64 v8, s2, s5, v20, s2
	global_load_b64 v[7:8], v[7:8], off
.LBB16_15:                              ;   in Loop: Header=BB16_9 Depth=1
	s_or_b32 exec_lo, exec_lo, s3
	v_add_co_u32 v31, s2, v17, s10
	s_delay_alu instid0(VALU_DEP_1) | instskip(NEXT) | instid1(VALU_DEP_1)
	v_add_co_ci_u32_e64 v32, s2, s11, v18, s2
	v_cmp_gt_u64_e64 s2, s[8:9], v[31:32]
	s_delay_alu instid0(VALU_DEP_1)
	s_and_saveexec_b32 s14, s2
	s_cbranch_execnz .LBB16_20
; %bb.16:                               ;   in Loop: Header=BB16_9 Depth=1
	s_or_b32 exec_lo, exec_lo, s14
	s_and_saveexec_b32 s3, vcc_lo
	s_cbranch_execnz .LBB16_21
.LBB16_17:                              ;   in Loop: Header=BB16_9 Depth=1
	s_or_b32 exec_lo, exec_lo, s3
	s_and_saveexec_b32 s3, s0
	s_cbranch_execnz .LBB16_22
.LBB16_18:                              ;   in Loop: Header=BB16_9 Depth=1
	s_or_b32 exec_lo, exec_lo, s3
	s_and_saveexec_b32 s0, s1
	s_cbranch_execnz .LBB16_23
.LBB16_19:                              ;   in Loop: Header=BB16_9 Depth=1
	s_or_b32 exec_lo, exec_lo, s0
	s_and_saveexec_b32 s0, s2
	s_cbranch_execz .LBB16_8
	s_branch .LBB16_24
.LBB16_20:                              ;   in Loop: Header=BB16_9 Depth=1
	v_add_co_u32 v5, s3, v13, s4
	s_delay_alu instid0(VALU_DEP_1)
	v_add_co_ci_u32_e64 v6, s3, s5, v14, s3
	global_load_b64 v[5:6], v[5:6], off
	s_or_b32 exec_lo, exec_lo, s14
	s_and_saveexec_b32 s3, vcc_lo
	s_cbranch_execz .LBB16_17
.LBB16_21:                              ;   in Loop: Header=BB16_9 Depth=1
	s_waitcnt vmcnt(0)
	v_trunc_f64_e32 v[3:4], v[3:4]
	v_add_co_u32 v31, vcc_lo, v11, s4
	v_add_co_ci_u32_e32 v32, vcc_lo, s5, v12, vcc_lo
	global_store_b64 v[31:32], v[3:4], off
	s_or_b32 exec_lo, exec_lo, s3
	s_and_saveexec_b32 s3, s0
	s_cbranch_execz .LBB16_18
.LBB16_22:                              ;   in Loop: Header=BB16_9 Depth=1
	s_waitcnt vmcnt(0)
	v_trunc_f64_e32 v[1:2], v[1:2]
	v_add_co_u32 v3, vcc_lo, v29, s4
	v_add_co_ci_u32_e32 v4, vcc_lo, s5, v30, vcc_lo
	global_store_b64 v[3:4], v[1:2], off
	s_or_b32 exec_lo, exec_lo, s3
	s_and_saveexec_b32 s0, s1
	s_cbranch_execz .LBB16_19
.LBB16_23:                              ;   in Loop: Header=BB16_9 Depth=1
	s_waitcnt vmcnt(0)
	v_trunc_f64_e32 v[1:2], v[7:8]
	v_add_co_u32 v3, vcc_lo, v22, s4
	v_add_co_ci_u32_e32 v4, vcc_lo, s5, v23, vcc_lo
	global_store_b64 v[3:4], v[1:2], off
	s_or_b32 exec_lo, exec_lo, s0
	s_and_saveexec_b32 s0, s2
	s_cbranch_execz .LBB16_8
.LBB16_24:                              ;   in Loop: Header=BB16_9 Depth=1
	s_waitcnt vmcnt(0)
	v_trunc_f64_e32 v[1:2], v[5:6]
	v_add_co_u32 v3, vcc_lo, v15, s4
	v_add_co_ci_u32_e32 v4, vcc_lo, s5, v16, vcc_lo
	global_store_b64 v[3:4], v[1:2], off
	s_branch .LBB16_8
.LBB16_25:
	s_nop 0
	s_sendmsg sendmsg(MSG_DEALLOC_VGPRS)
	s_endpgm
	.section	.rodata,"a",@progbits
	.p2align	6, 0x0
	.amdhsa_kernel _ZN2at6native12_GLOBAL__N_125multi_tensor_apply_kernelINS1_18TensorListMetadataILi2EEENS1_14UnaryOpFunctorIdLi2ELi1ELi1EEEJNS0_6TruncfIdEEEEEvT_T0_DpT1_
		.amdhsa_group_segment_fixed_size 0
		.amdhsa_private_segment_fixed_size 0
		.amdhsa_kernarg_size 3408
		.amdhsa_user_sgpr_count 15
		.amdhsa_user_sgpr_dispatch_ptr 0
		.amdhsa_user_sgpr_queue_ptr 0
		.amdhsa_user_sgpr_kernarg_segment_ptr 1
		.amdhsa_user_sgpr_dispatch_id 0
		.amdhsa_user_sgpr_private_segment_size 0
		.amdhsa_wavefront_size32 1
		.amdhsa_uses_dynamic_stack 0
		.amdhsa_enable_private_segment 0
		.amdhsa_system_sgpr_workgroup_id_x 1
		.amdhsa_system_sgpr_workgroup_id_y 0
		.amdhsa_system_sgpr_workgroup_id_z 0
		.amdhsa_system_sgpr_workgroup_info 0
		.amdhsa_system_vgpr_workitem_id 0
		.amdhsa_next_free_vgpr 33
		.amdhsa_next_free_sgpr 22
		.amdhsa_reserve_vcc 1
		.amdhsa_float_round_mode_32 0
		.amdhsa_float_round_mode_16_64 0
		.amdhsa_float_denorm_mode_32 3
		.amdhsa_float_denorm_mode_16_64 3
		.amdhsa_dx10_clamp 1
		.amdhsa_ieee_mode 1
		.amdhsa_fp16_overflow 0
		.amdhsa_workgroup_processor_mode 1
		.amdhsa_memory_ordered 1
		.amdhsa_forward_progress 0
		.amdhsa_shared_vgpr_count 0
		.amdhsa_exception_fp_ieee_invalid_op 0
		.amdhsa_exception_fp_denorm_src 0
		.amdhsa_exception_fp_ieee_div_zero 0
		.amdhsa_exception_fp_ieee_overflow 0
		.amdhsa_exception_fp_ieee_underflow 0
		.amdhsa_exception_fp_ieee_inexact 0
		.amdhsa_exception_int_div_zero 0
	.end_amdhsa_kernel
	.section	.text._ZN2at6native12_GLOBAL__N_125multi_tensor_apply_kernelINS1_18TensorListMetadataILi2EEENS1_14UnaryOpFunctorIdLi2ELi1ELi1EEEJNS0_6TruncfIdEEEEEvT_T0_DpT1_,"axG",@progbits,_ZN2at6native12_GLOBAL__N_125multi_tensor_apply_kernelINS1_18TensorListMetadataILi2EEENS1_14UnaryOpFunctorIdLi2ELi1ELi1EEEJNS0_6TruncfIdEEEEEvT_T0_DpT1_,comdat
.Lfunc_end16:
	.size	_ZN2at6native12_GLOBAL__N_125multi_tensor_apply_kernelINS1_18TensorListMetadataILi2EEENS1_14UnaryOpFunctorIdLi2ELi1ELi1EEEJNS0_6TruncfIdEEEEEvT_T0_DpT1_, .Lfunc_end16-_ZN2at6native12_GLOBAL__N_125multi_tensor_apply_kernelINS1_18TensorListMetadataILi2EEENS1_14UnaryOpFunctorIdLi2ELi1ELi1EEEJNS0_6TruncfIdEEEEEvT_T0_DpT1_
                                        ; -- End function
	.section	.AMDGPU.csdata,"",@progbits
; Kernel info:
; codeLenInByte = 1448
; NumSgprs: 24
; NumVgprs: 33
; ScratchSize: 0
; MemoryBound: 0
; FloatMode: 240
; IeeeMode: 1
; LDSByteSize: 0 bytes/workgroup (compile time only)
; SGPRBlocks: 2
; VGPRBlocks: 4
; NumSGPRsForWavesPerEU: 24
; NumVGPRsForWavesPerEU: 33
; Occupancy: 16
; WaveLimiterHint : 0
; COMPUTE_PGM_RSRC2:SCRATCH_EN: 0
; COMPUTE_PGM_RSRC2:USER_SGPR: 15
; COMPUTE_PGM_RSRC2:TRAP_HANDLER: 0
; COMPUTE_PGM_RSRC2:TGID_X_EN: 1
; COMPUTE_PGM_RSRC2:TGID_Y_EN: 0
; COMPUTE_PGM_RSRC2:TGID_Z_EN: 0
; COMPUTE_PGM_RSRC2:TIDIG_COMP_CNT: 0
	.section	.text._ZN2at6native12_GLOBAL__N_125multi_tensor_apply_kernelINS1_18TensorListMetadataILi2EEENS1_14UnaryOpFunctorIfLi2ELi1ELi1EEEJNS0_6TruncfIfEEEEEvT_T0_DpT1_,"axG",@progbits,_ZN2at6native12_GLOBAL__N_125multi_tensor_apply_kernelINS1_18TensorListMetadataILi2EEENS1_14UnaryOpFunctorIfLi2ELi1ELi1EEEJNS0_6TruncfIfEEEEEvT_T0_DpT1_,comdat
	.globl	_ZN2at6native12_GLOBAL__N_125multi_tensor_apply_kernelINS1_18TensorListMetadataILi2EEENS1_14UnaryOpFunctorIfLi2ELi1ELi1EEEJNS0_6TruncfIfEEEEEvT_T0_DpT1_ ; -- Begin function _ZN2at6native12_GLOBAL__N_125multi_tensor_apply_kernelINS1_18TensorListMetadataILi2EEENS1_14UnaryOpFunctorIfLi2ELi1ELi1EEEJNS0_6TruncfIfEEEEEvT_T0_DpT1_
	.p2align	8
	.type	_ZN2at6native12_GLOBAL__N_125multi_tensor_apply_kernelINS1_18TensorListMetadataILi2EEENS1_14UnaryOpFunctorIfLi2ELi1ELi1EEEJNS0_6TruncfIfEEEEEvT_T0_DpT1_,@function
_ZN2at6native12_GLOBAL__N_125multi_tensor_apply_kernelINS1_18TensorListMetadataILi2EEENS1_14UnaryOpFunctorIfLi2ELi1ELi1EEEJNS0_6TruncfIfEEEEEvT_T0_DpT1_: ; @_ZN2at6native12_GLOBAL__N_125multi_tensor_apply_kernelINS1_18TensorListMetadataILi2EEENS1_14UnaryOpFunctorIfLi2ELi1ELi1EEEJNS0_6TruncfIfEEEEEvT_T0_DpT1_
; %bb.0:
	v_mov_b32_e32 v1, s15
	s_add_u32 s2, s0, s15
	s_mul_hi_u32 s3, s15, 3
	s_mul_i32 s15, s15, 3
	s_addc_u32 s4, s1, 0
	global_load_u8 v1, v1, s[0:1] offset:1536
	s_add_u32 s2, s2, s15
	s_addc_u32 s3, s4, s3
	s_mov_b32 s17, 0
	s_load_b32 s2, s[2:3], 0x740
	s_mov_b32 s19, s17
	s_mov_b32 s21, s17
	s_waitcnt vmcnt(0)
	v_readfirstlane_b32 s5, v1
	s_delay_alu instid0(VALU_DEP_1)
	s_lshl_b32 s3, s5, 3
	s_clause 0x2
	s_load_b64 s[10:11], s[0:1], s3 offset:0x0
	s_load_b64 s[12:13], s[0:1], s3 offset:0x200
	;; [unrolled: 1-line block ×3, first 2 shown]
	s_waitcnt lgkmcnt(0)
	s_ashr_i32 s3, s2, 31
	s_delay_alu instid0(SALU_CYCLE_1) | instskip(NEXT) | instid1(SALU_CYCLE_1)
	s_lshl_b64 s[4:5], s[2:3], 18
	s_add_u32 s8, s10, s4
	s_addc_u32 s9, s11, s5
	s_and_b32 s16, s8, 15
	s_add_u32 s14, s12, s4
	s_addc_u32 s15, s13, s5
	s_and_b32 s18, s6, 3
	s_and_b32 s20, s14, 15
	s_or_b64 s[16:17], s[16:17], s[18:19]
	s_lshl_b64 s[2:3], s[2:3], 16
	s_or_b64 s[16:17], s[20:21], s[16:17]
	s_sub_u32 s6, s6, s2
	s_subb_u32 s7, s7, s3
	s_cmp_eq_u64 s[16:17], 0
	s_mov_b32 s2, -1
	s_cbranch_scc0 .LBB17_5
; %bb.1:
	v_dual_mov_b32 v2, 0 :: v_dual_lshlrev_b32 v1, 2, v0
	s_mov_b32 s16, exec_lo
	s_delay_alu instid0(VALU_DEP_1)
	v_cmpx_gt_i64_e64 s[6:7], v[1:2]
	s_cbranch_execz .LBB17_4
; %bb.2:
	s_load_b32 s2, s[0:1], 0xc5c
	v_lshlrev_b32_e32 v3, 4, v0
	s_mov_b32 s17, 0
	s_waitcnt lgkmcnt(0)
	s_and_b32 s2, s2, 0xffff
	s_delay_alu instid0(SALU_CYCLE_1)
	v_add_lshl_u32 v1, v0, s2, 2
	s_lshl_b32 s18, s2, 2
	s_lshl_b32 s19, s2, 4
	s_set_inst_prefetch_distance 0x1
	.p2align	6
.LBB17_3:                               ; =>This Inner Loop Header: Depth=1
	v_add_co_u32 v4, s2, s8, v3
	s_delay_alu instid0(VALU_DEP_1)
	v_add_co_ci_u32_e64 v5, null, s9, 0, s2
	v_cmp_le_i64_e32 vcc_lo, s[6:7], v[1:2]
	v_cmp_lt_u64_e64 s2, 0xffff, v[1:2]
	v_add_co_u32 v8, s3, s14, v3
	global_load_b128 v[4:7], v[4:5], off
	v_add_co_ci_u32_e64 v9, null, s15, 0, s3
	s_or_b32 s2, vcc_lo, s2
	s_add_u32 s8, s8, s19
	v_add_co_u32 v1, s3, v1, s18
	s_addc_u32 s9, s9, 0
	s_add_u32 s14, s14, s19
	v_add_co_ci_u32_e64 v2, s3, 0, v2, s3
	s_addc_u32 s15, s15, 0
	s_and_b32 s2, exec_lo, s2
	s_delay_alu instid0(SALU_CYCLE_1)
	s_or_b32 s17, s2, s17
	s_waitcnt vmcnt(0)
	v_trunc_f32_e32 v4, v4
	v_trunc_f32_e32 v5, v5
	;; [unrolled: 1-line block ×4, first 2 shown]
	global_store_b128 v[8:9], v[4:7], off
	s_and_not1_b32 exec_lo, exec_lo, s17
	s_cbranch_execnz .LBB17_3
.LBB17_4:
	s_set_inst_prefetch_distance 0x2
	s_or_b32 exec_lo, exec_lo, s16
	s_mov_b32 s2, 0
.LBB17_5:
	s_delay_alu instid0(SALU_CYCLE_1)
	s_and_not1_b32 vcc_lo, exec_lo, s2
	s_cbranch_vccnz .LBB17_25
; %bb.6:
	v_cmp_lt_i64_e64 s2, s[6:7], 1
	s_delay_alu instid0(VALU_DEP_1)
	s_and_b32 vcc_lo, exec_lo, s2
	s_cbranch_vccnz .LBB17_25
; %bb.7:
	s_load_b32 s0, s[0:1], 0xc5c
	v_dual_mov_b32 v10, 0 :: v_dual_lshlrev_b32 v9, 2, v0
	v_cmp_gt_u64_e64 s1, 0x10000, s[6:7]
	s_delay_alu instid0(VALU_DEP_2) | instskip(NEXT) | instid1(VALU_DEP_1)
	v_add_co_u32 v1, s2, s10, v9
	v_add_co_ci_u32_e64 v2, null, s11, 0, s2
	v_add_co_u32 v3, s2, s12, v9
	s_delay_alu instid0(VALU_DEP_1)
	v_add_co_ci_u32_e64 v4, null, s13, 0, s2
	s_waitcnt lgkmcnt(0)
	s_and_b32 s0, s0, 0xffff
	s_and_b32 s1, s1, exec_lo
	v_mad_u64_u32 v[7:8], null, s0, 12, v[9:10]
	s_cselect_b32 s9, s7, 0
	s_cselect_b32 s8, s6, 0x10000
	s_mul_i32 s2, s0, 3
	s_lshl_b32 s3, s0, 3
	s_lshl_b32 s1, s0, 1
	v_add_co_u32 v14, s3, s3, v9
	v_add_co_u32 v9, s2, s2, v0
	s_delay_alu instid0(VALU_DEP_1) | instskip(SKIP_3) | instid1(VALU_DEP_3)
	v_add_co_ci_u32_e64 v10, null, 0, 0, s2
	v_add_co_u32 v13, s2, v0, s0
	v_add_co_u32 v5, vcc_lo, s10, v7
	v_add_co_ci_u32_e32 v6, vcc_lo, s11, v8, vcc_lo
	v_lshlrev_b32_e32 v21, 2, v13
	v_add_co_u32 v7, vcc_lo, s12, v7
	v_add_co_ci_u32_e64 v15, null, 0, 0, s3
	v_add_co_ci_u32_e32 v8, vcc_lo, s13, v8, vcc_lo
	v_add_co_u32 v17, s1, s1, v0
	v_add_co_u32 v11, vcc_lo, s10, v14
	v_add_co_ci_u32_e64 v18, null, 0, 0, s1
	v_add_co_u32 v19, s1, s10, v21
	v_add_co_ci_u32_e32 v12, vcc_lo, s11, v15, vcc_lo
	v_add_co_u32 v14, vcc_lo, s12, v14
	v_add_co_ci_u32_e64 v20, null, s11, 0, s1
	v_add_co_u32 v21, s1, s12, v21
	v_add_co_ci_u32_e32 v15, vcc_lo, s13, v15, vcc_lo
	v_add_co_ci_u32_e64 v16, null, 0, 0, s2
	v_add_co_ci_u32_e64 v22, null, s13, 0, s1
	s_lshl_b32 s12, s0, 2
	s_lshl_b32 s13, s0, 4
	s_mov_b64 s[10:11], 0
	s_branch .LBB17_9
.LBB17_8:                               ;   in Loop: Header=BB17_9 Depth=1
	s_or_b32 exec_lo, exec_lo, s0
	v_add_co_u32 v1, vcc_lo, v1, s13
	v_add_co_ci_u32_e32 v2, vcc_lo, 0, v2, vcc_lo
	v_add_co_u32 v3, vcc_lo, v3, s13
	v_add_co_ci_u32_e32 v4, vcc_lo, 0, v4, vcc_lo
	;; [unrolled: 2-line block ×5, first 2 shown]
	s_add_u32 s10, s10, s12
	v_add_co_u32 v14, vcc_lo, v14, s13
	s_addc_u32 s11, s11, 0
	v_add_co_ci_u32_e32 v15, vcc_lo, 0, v15, vcc_lo
	v_cmp_ge_i64_e64 s0, s[10:11], s[6:7]
	v_cmp_lt_u64_e64 s1, 0xffff, s[10:11]
	v_add_co_u32 v19, vcc_lo, v19, s13
	v_add_co_ci_u32_e32 v20, vcc_lo, 0, v20, vcc_lo
	v_add_co_u32 v21, vcc_lo, v21, s13
	v_add_co_ci_u32_e32 v22, vcc_lo, 0, v22, vcc_lo
	s_or_b32 s0, s0, s1
	s_delay_alu instid0(SALU_CYCLE_1)
	s_and_b32 vcc_lo, exec_lo, s0
	s_cbranch_vccnz .LBB17_25
.LBB17_9:                               ; =>This Inner Loop Header: Depth=1
	s_waitcnt vmcnt(0)
	v_add_co_u32 v23, s0, v0, s10
	s_delay_alu instid0(VALU_DEP_1) | instskip(NEXT) | instid1(VALU_DEP_1)
	v_add_co_ci_u32_e64 v24, null, 0, s11, s0
	v_cmp_gt_u64_e32 vcc_lo, s[8:9], v[23:24]
	v_mov_b32_e32 v23, 0
	s_and_saveexec_b32 s1, vcc_lo
	s_cbranch_execz .LBB17_11
; %bb.10:                               ;   in Loop: Header=BB17_9 Depth=1
	v_add_co_u32 v23, s0, v1, s4
	s_delay_alu instid0(VALU_DEP_1)
	v_add_co_ci_u32_e64 v24, s0, s5, v2, s0
	global_load_b32 v23, v[23:24], off
.LBB17_11:                              ;   in Loop: Header=BB17_9 Depth=1
	s_or_b32 exec_lo, exec_lo, s1
	v_add_co_u32 v24, s0, v13, s10
	s_delay_alu instid0(VALU_DEP_1) | instskip(NEXT) | instid1(VALU_DEP_1)
	v_add_co_ci_u32_e64 v25, s0, s11, v16, s0
	v_cmp_gt_u64_e64 s0, s[8:9], v[24:25]
	v_mov_b32_e32 v25, 0
	s_delay_alu instid0(VALU_DEP_2)
	s_and_saveexec_b32 s2, s0
	s_cbranch_execz .LBB17_13
; %bb.12:                               ;   in Loop: Header=BB17_9 Depth=1
	v_add_co_u32 v24, s1, v19, s4
	s_delay_alu instid0(VALU_DEP_1)
	v_add_co_ci_u32_e64 v25, s1, s5, v20, s1
	global_load_b32 v25, v[24:25], off
.LBB17_13:                              ;   in Loop: Header=BB17_9 Depth=1
	s_or_b32 exec_lo, exec_lo, s2
	v_add_co_u32 v26, s1, v17, s10
	s_delay_alu instid0(VALU_DEP_1) | instskip(SKIP_1) | instid1(VALU_DEP_2)
	v_add_co_ci_u32_e64 v27, s1, s11, v18, s1
	v_mov_b32_e32 v24, 0
	v_cmp_gt_u64_e64 s1, s[8:9], v[26:27]
	v_mov_b32_e32 v26, 0
	s_delay_alu instid0(VALU_DEP_2)
	s_and_saveexec_b32 s3, s1
	s_cbranch_execz .LBB17_15
; %bb.14:                               ;   in Loop: Header=BB17_9 Depth=1
	v_add_co_u32 v26, s2, v11, s4
	s_delay_alu instid0(VALU_DEP_1)
	v_add_co_ci_u32_e64 v27, s2, s5, v12, s2
	global_load_b32 v26, v[26:27], off
.LBB17_15:                              ;   in Loop: Header=BB17_9 Depth=1
	s_or_b32 exec_lo, exec_lo, s3
	v_add_co_u32 v27, s2, v9, s10
	s_delay_alu instid0(VALU_DEP_1) | instskip(NEXT) | instid1(VALU_DEP_1)
	v_add_co_ci_u32_e64 v28, s2, s11, v10, s2
	v_cmp_gt_u64_e64 s2, s[8:9], v[27:28]
	s_delay_alu instid0(VALU_DEP_1)
	s_and_saveexec_b32 s14, s2
	s_cbranch_execnz .LBB17_20
; %bb.16:                               ;   in Loop: Header=BB17_9 Depth=1
	s_or_b32 exec_lo, exec_lo, s14
	s_and_saveexec_b32 s3, vcc_lo
	s_cbranch_execnz .LBB17_21
.LBB17_17:                              ;   in Loop: Header=BB17_9 Depth=1
	s_or_b32 exec_lo, exec_lo, s3
	s_and_saveexec_b32 s3, s0
	s_cbranch_execnz .LBB17_22
.LBB17_18:                              ;   in Loop: Header=BB17_9 Depth=1
	s_or_b32 exec_lo, exec_lo, s3
	s_and_saveexec_b32 s0, s1
	s_cbranch_execnz .LBB17_23
.LBB17_19:                              ;   in Loop: Header=BB17_9 Depth=1
	s_or_b32 exec_lo, exec_lo, s0
	s_and_saveexec_b32 s0, s2
	s_cbranch_execz .LBB17_8
	s_branch .LBB17_24
.LBB17_20:                              ;   in Loop: Header=BB17_9 Depth=1
	v_add_co_u32 v27, s3, v5, s4
	s_delay_alu instid0(VALU_DEP_1)
	v_add_co_ci_u32_e64 v28, s3, s5, v6, s3
	global_load_b32 v24, v[27:28], off
	s_or_b32 exec_lo, exec_lo, s14
	s_and_saveexec_b32 s3, vcc_lo
	s_cbranch_execz .LBB17_17
.LBB17_21:                              ;   in Loop: Header=BB17_9 Depth=1
	v_add_co_u32 v27, vcc_lo, v3, s4
	v_add_co_ci_u32_e32 v28, vcc_lo, s5, v4, vcc_lo
	s_waitcnt vmcnt(0)
	v_trunc_f32_e32 v23, v23
	global_store_b32 v[27:28], v23, off
	s_or_b32 exec_lo, exec_lo, s3
	s_and_saveexec_b32 s3, s0
	s_cbranch_execz .LBB17_18
.LBB17_22:                              ;   in Loop: Header=BB17_9 Depth=1
	v_add_co_u32 v27, vcc_lo, v21, s4
	s_waitcnt vmcnt(0)
	v_trunc_f32_e32 v23, v25
	v_add_co_ci_u32_e32 v28, vcc_lo, s5, v22, vcc_lo
	global_store_b32 v[27:28], v23, off
	s_or_b32 exec_lo, exec_lo, s3
	s_and_saveexec_b32 s0, s1
	s_cbranch_execz .LBB17_19
.LBB17_23:                              ;   in Loop: Header=BB17_9 Depth=1
	s_waitcnt vmcnt(0)
	v_add_co_u32 v25, vcc_lo, v14, s4
	v_trunc_f32_e32 v23, v26
	v_add_co_ci_u32_e32 v26, vcc_lo, s5, v15, vcc_lo
	global_store_b32 v[25:26], v23, off
	s_or_b32 exec_lo, exec_lo, s0
	s_and_saveexec_b32 s0, s2
	s_cbranch_execz .LBB17_8
.LBB17_24:                              ;   in Loop: Header=BB17_9 Depth=1
	s_waitcnt vmcnt(0)
	v_add_co_u32 v23, vcc_lo, v7, s4
	v_trunc_f32_e32 v25, v24
	v_add_co_ci_u32_e32 v24, vcc_lo, s5, v8, vcc_lo
	global_store_b32 v[23:24], v25, off
	s_branch .LBB17_8
.LBB17_25:
	s_nop 0
	s_sendmsg sendmsg(MSG_DEALLOC_VGPRS)
	s_endpgm
	.section	.rodata,"a",@progbits
	.p2align	6, 0x0
	.amdhsa_kernel _ZN2at6native12_GLOBAL__N_125multi_tensor_apply_kernelINS1_18TensorListMetadataILi2EEENS1_14UnaryOpFunctorIfLi2ELi1ELi1EEEJNS0_6TruncfIfEEEEEvT_T0_DpT1_
		.amdhsa_group_segment_fixed_size 0
		.amdhsa_private_segment_fixed_size 0
		.amdhsa_kernarg_size 3408
		.amdhsa_user_sgpr_count 15
		.amdhsa_user_sgpr_dispatch_ptr 0
		.amdhsa_user_sgpr_queue_ptr 0
		.amdhsa_user_sgpr_kernarg_segment_ptr 1
		.amdhsa_user_sgpr_dispatch_id 0
		.amdhsa_user_sgpr_private_segment_size 0
		.amdhsa_wavefront_size32 1
		.amdhsa_uses_dynamic_stack 0
		.amdhsa_enable_private_segment 0
		.amdhsa_system_sgpr_workgroup_id_x 1
		.amdhsa_system_sgpr_workgroup_id_y 0
		.amdhsa_system_sgpr_workgroup_id_z 0
		.amdhsa_system_sgpr_workgroup_info 0
		.amdhsa_system_vgpr_workitem_id 0
		.amdhsa_next_free_vgpr 29
		.amdhsa_next_free_sgpr 22
		.amdhsa_reserve_vcc 1
		.amdhsa_float_round_mode_32 0
		.amdhsa_float_round_mode_16_64 0
		.amdhsa_float_denorm_mode_32 3
		.amdhsa_float_denorm_mode_16_64 3
		.amdhsa_dx10_clamp 1
		.amdhsa_ieee_mode 1
		.amdhsa_fp16_overflow 0
		.amdhsa_workgroup_processor_mode 1
		.amdhsa_memory_ordered 1
		.amdhsa_forward_progress 0
		.amdhsa_shared_vgpr_count 0
		.amdhsa_exception_fp_ieee_invalid_op 0
		.amdhsa_exception_fp_denorm_src 0
		.amdhsa_exception_fp_ieee_div_zero 0
		.amdhsa_exception_fp_ieee_overflow 0
		.amdhsa_exception_fp_ieee_underflow 0
		.amdhsa_exception_fp_ieee_inexact 0
		.amdhsa_exception_int_div_zero 0
	.end_amdhsa_kernel
	.section	.text._ZN2at6native12_GLOBAL__N_125multi_tensor_apply_kernelINS1_18TensorListMetadataILi2EEENS1_14UnaryOpFunctorIfLi2ELi1ELi1EEEJNS0_6TruncfIfEEEEEvT_T0_DpT1_,"axG",@progbits,_ZN2at6native12_GLOBAL__N_125multi_tensor_apply_kernelINS1_18TensorListMetadataILi2EEENS1_14UnaryOpFunctorIfLi2ELi1ELi1EEEJNS0_6TruncfIfEEEEEvT_T0_DpT1_,comdat
.Lfunc_end17:
	.size	_ZN2at6native12_GLOBAL__N_125multi_tensor_apply_kernelINS1_18TensorListMetadataILi2EEENS1_14UnaryOpFunctorIfLi2ELi1ELi1EEEJNS0_6TruncfIfEEEEEvT_T0_DpT1_, .Lfunc_end17-_ZN2at6native12_GLOBAL__N_125multi_tensor_apply_kernelINS1_18TensorListMetadataILi2EEENS1_14UnaryOpFunctorIfLi2ELi1ELi1EEEJNS0_6TruncfIfEEEEEvT_T0_DpT1_
                                        ; -- End function
	.section	.AMDGPU.csdata,"",@progbits
; Kernel info:
; codeLenInByte = 1396
; NumSgprs: 24
; NumVgprs: 29
; ScratchSize: 0
; MemoryBound: 0
; FloatMode: 240
; IeeeMode: 1
; LDSByteSize: 0 bytes/workgroup (compile time only)
; SGPRBlocks: 2
; VGPRBlocks: 3
; NumSGPRsForWavesPerEU: 24
; NumVGPRsForWavesPerEU: 29
; Occupancy: 16
; WaveLimiterHint : 0
; COMPUTE_PGM_RSRC2:SCRATCH_EN: 0
; COMPUTE_PGM_RSRC2:USER_SGPR: 15
; COMPUTE_PGM_RSRC2:TRAP_HANDLER: 0
; COMPUTE_PGM_RSRC2:TGID_X_EN: 1
; COMPUTE_PGM_RSRC2:TGID_Y_EN: 0
; COMPUTE_PGM_RSRC2:TGID_Z_EN: 0
; COMPUTE_PGM_RSRC2:TIDIG_COMP_CNT: 0
	.section	.text._ZN2at6native12_GLOBAL__N_125multi_tensor_apply_kernelINS1_18TensorListMetadataILi2EEENS1_14UnaryOpFunctorIN3c104HalfELi2ELi1ELi1EEEJNS0_6TruncfIfEEEEEvT_T0_DpT1_,"axG",@progbits,_ZN2at6native12_GLOBAL__N_125multi_tensor_apply_kernelINS1_18TensorListMetadataILi2EEENS1_14UnaryOpFunctorIN3c104HalfELi2ELi1ELi1EEEJNS0_6TruncfIfEEEEEvT_T0_DpT1_,comdat
	.globl	_ZN2at6native12_GLOBAL__N_125multi_tensor_apply_kernelINS1_18TensorListMetadataILi2EEENS1_14UnaryOpFunctorIN3c104HalfELi2ELi1ELi1EEEJNS0_6TruncfIfEEEEEvT_T0_DpT1_ ; -- Begin function _ZN2at6native12_GLOBAL__N_125multi_tensor_apply_kernelINS1_18TensorListMetadataILi2EEENS1_14UnaryOpFunctorIN3c104HalfELi2ELi1ELi1EEEJNS0_6TruncfIfEEEEEvT_T0_DpT1_
	.p2align	8
	.type	_ZN2at6native12_GLOBAL__N_125multi_tensor_apply_kernelINS1_18TensorListMetadataILi2EEENS1_14UnaryOpFunctorIN3c104HalfELi2ELi1ELi1EEEJNS0_6TruncfIfEEEEEvT_T0_DpT1_,@function
_ZN2at6native12_GLOBAL__N_125multi_tensor_apply_kernelINS1_18TensorListMetadataILi2EEENS1_14UnaryOpFunctorIN3c104HalfELi2ELi1ELi1EEEJNS0_6TruncfIfEEEEEvT_T0_DpT1_: ; @_ZN2at6native12_GLOBAL__N_125multi_tensor_apply_kernelINS1_18TensorListMetadataILi2EEENS1_14UnaryOpFunctorIN3c104HalfELi2ELi1ELi1EEEJNS0_6TruncfIfEEEEEvT_T0_DpT1_
; %bb.0:
	v_mov_b32_e32 v1, s15
	s_add_u32 s2, s0, s15
	s_mul_hi_u32 s3, s15, 3
	s_mul_i32 s15, s15, 3
	s_addc_u32 s4, s1, 0
	global_load_u8 v1, v1, s[0:1] offset:1536
	s_add_u32 s2, s2, s15
	s_addc_u32 s3, s4, s3
	s_mov_b32 s17, 0
	s_load_b32 s2, s[2:3], 0x740
	s_mov_b32 s19, s17
	s_mov_b32 s21, s17
	s_waitcnt vmcnt(0)
	v_readfirstlane_b32 s5, v1
	s_delay_alu instid0(VALU_DEP_1)
	s_lshl_b32 s3, s5, 3
	s_clause 0x2
	s_load_b64 s[10:11], s[0:1], s3 offset:0x0
	s_load_b64 s[12:13], s[0:1], s3 offset:0x200
	;; [unrolled: 1-line block ×3, first 2 shown]
	s_waitcnt lgkmcnt(0)
	s_ashr_i32 s3, s2, 31
	s_delay_alu instid0(SALU_CYCLE_1) | instskip(NEXT) | instid1(SALU_CYCLE_1)
	s_lshl_b64 s[4:5], s[2:3], 17
	s_add_u32 s8, s10, s4
	s_addc_u32 s9, s11, s5
	s_and_b32 s16, s8, 7
	s_add_u32 s14, s12, s4
	s_addc_u32 s15, s13, s5
	s_and_b32 s18, s6, 3
	s_and_b32 s20, s14, 7
	s_or_b64 s[16:17], s[16:17], s[18:19]
	s_lshl_b64 s[2:3], s[2:3], 16
	s_or_b64 s[16:17], s[20:21], s[16:17]
	s_sub_u32 s6, s6, s2
	s_subb_u32 s7, s7, s3
	s_cmp_eq_u64 s[16:17], 0
	s_mov_b32 s2, -1
	s_cbranch_scc0 .LBB18_5
; %bb.1:
	v_dual_mov_b32 v2, 0 :: v_dual_lshlrev_b32 v1, 2, v0
	s_mov_b32 s16, exec_lo
	s_delay_alu instid0(VALU_DEP_1)
	v_cmpx_gt_i64_e64 s[6:7], v[1:2]
	s_cbranch_execz .LBB18_4
; %bb.2:
	s_load_b32 s2, s[0:1], 0xc5c
	v_lshlrev_b32_e32 v3, 3, v0
	s_mov_b32 s17, 0
	s_waitcnt lgkmcnt(0)
	s_and_b32 s2, s2, 0xffff
	s_delay_alu instid0(SALU_CYCLE_1)
	v_add_lshl_u32 v1, v0, s2, 2
	s_lshl_b32 s18, s2, 2
	s_lshl_b32 s19, s2, 3
	s_set_inst_prefetch_distance 0x1
	.p2align	6
.LBB18_3:                               ; =>This Inner Loop Header: Depth=1
	v_add_co_u32 v4, s2, s8, v3
	s_delay_alu instid0(VALU_DEP_1)
	v_add_co_ci_u32_e64 v5, null, s9, 0, s2
	v_cmp_le_i64_e32 vcc_lo, s[6:7], v[1:2]
	v_cmp_lt_u64_e64 s2, 0xffff, v[1:2]
	v_add_co_u32 v6, s3, s14, v3
	global_load_b64 v[4:5], v[4:5], off
	v_add_co_ci_u32_e64 v7, null, s15, 0, s3
	s_or_b32 s2, vcc_lo, s2
	s_add_u32 s8, s8, s19
	v_add_co_u32 v1, s3, v1, s18
	s_addc_u32 s9, s9, 0
	s_add_u32 s14, s14, s19
	v_add_co_ci_u32_e64 v2, s3, 0, v2, s3
	s_addc_u32 s15, s15, 0
	s_and_b32 s2, exec_lo, s2
	s_delay_alu instid0(SALU_CYCLE_1)
	s_or_b32 s17, s2, s17
	s_waitcnt vmcnt(0)
	v_lshrrev_b32_e32 v8, 16, v5
	v_lshrrev_b32_e32 v9, 16, v4
	v_trunc_f16_e32 v4, v4
	v_trunc_f16_e32 v5, v5
	s_delay_alu instid0(VALU_DEP_4) | instskip(NEXT) | instid1(VALU_DEP_4)
	v_trunc_f16_e32 v8, v8
	v_trunc_f16_e32 v9, v9
	s_delay_alu instid0(VALU_DEP_2) | instskip(NEXT) | instid1(VALU_DEP_2)
	v_pack_b32_f16 v5, v5, v8
	v_pack_b32_f16 v4, v4, v9
	global_store_b64 v[6:7], v[4:5], off
	s_and_not1_b32 exec_lo, exec_lo, s17
	s_cbranch_execnz .LBB18_3
.LBB18_4:
	s_set_inst_prefetch_distance 0x2
	s_or_b32 exec_lo, exec_lo, s16
	s_mov_b32 s2, 0
.LBB18_5:
	s_delay_alu instid0(SALU_CYCLE_1)
	s_and_not1_b32 vcc_lo, exec_lo, s2
	s_cbranch_vccnz .LBB18_25
; %bb.6:
	v_cmp_lt_i64_e64 s2, s[6:7], 1
	s_delay_alu instid0(VALU_DEP_1)
	s_and_b32 vcc_lo, exec_lo, s2
	s_cbranch_vccnz .LBB18_25
; %bb.7:
	s_load_b32 s0, s[0:1], 0xc5c
	v_dual_mov_b32 v10, 0 :: v_dual_lshlrev_b32 v9, 1, v0
	v_cmp_gt_u64_e64 s1, 0x10000, s[6:7]
	s_delay_alu instid0(VALU_DEP_2) | instskip(NEXT) | instid1(VALU_DEP_1)
	v_add_co_u32 v1, s2, s10, v9
	v_add_co_ci_u32_e64 v2, null, s11, 0, s2
	v_add_co_u32 v3, s2, s12, v9
	s_delay_alu instid0(VALU_DEP_1)
	v_add_co_ci_u32_e64 v4, null, s13, 0, s2
	s_waitcnt lgkmcnt(0)
	s_and_b32 s0, s0, 0xffff
	s_and_b32 s1, s1, exec_lo
	v_mad_u64_u32 v[7:8], null, s0, 6, v[9:10]
	s_cselect_b32 s9, s7, 0
	s_cselect_b32 s8, s6, 0x10000
	s_mul_i32 s2, s0, 3
	s_lshl_b32 s14, s0, 2
	s_lshl_b32 s1, s0, 1
	v_add_co_u32 v14, s3, s14, v9
	v_add_co_u32 v9, s2, s2, v0
	s_delay_alu instid0(VALU_DEP_1) | instskip(SKIP_3) | instid1(VALU_DEP_3)
	v_add_co_ci_u32_e64 v10, null, 0, 0, s2
	v_add_co_u32 v13, s2, v0, s0
	v_add_co_u32 v5, vcc_lo, s10, v7
	v_add_co_ci_u32_e32 v6, vcc_lo, s11, v8, vcc_lo
	v_lshlrev_b32_e32 v21, 1, v13
	v_add_co_u32 v7, vcc_lo, s12, v7
	v_add_co_ci_u32_e64 v15, null, 0, 0, s3
	v_add_co_ci_u32_e32 v8, vcc_lo, s13, v8, vcc_lo
	v_add_co_u32 v17, s1, s1, v0
	v_add_co_u32 v11, vcc_lo, s10, v14
	v_add_co_ci_u32_e64 v18, null, 0, 0, s1
	v_add_co_u32 v19, s1, s10, v21
	v_add_co_ci_u32_e32 v12, vcc_lo, s11, v15, vcc_lo
	v_add_co_u32 v14, vcc_lo, s12, v14
	v_add_co_ci_u32_e64 v20, null, s11, 0, s1
	v_add_co_u32 v21, s1, s12, v21
	v_add_co_ci_u32_e32 v15, vcc_lo, s13, v15, vcc_lo
	v_add_co_ci_u32_e64 v16, null, 0, 0, s2
	v_add_co_ci_u32_e64 v22, null, s13, 0, s1
	s_lshl_b32 s12, s0, 3
	s_mov_b64 s[10:11], 0
	s_branch .LBB18_9
.LBB18_8:                               ;   in Loop: Header=BB18_9 Depth=1
	s_or_b32 exec_lo, exec_lo, s0
	v_add_co_u32 v1, vcc_lo, v1, s12
	v_add_co_ci_u32_e32 v2, vcc_lo, 0, v2, vcc_lo
	v_add_co_u32 v3, vcc_lo, v3, s12
	v_add_co_ci_u32_e32 v4, vcc_lo, 0, v4, vcc_lo
	;; [unrolled: 2-line block ×5, first 2 shown]
	s_add_u32 s10, s10, s14
	v_add_co_u32 v14, vcc_lo, v14, s12
	s_addc_u32 s11, s11, 0
	v_add_co_ci_u32_e32 v15, vcc_lo, 0, v15, vcc_lo
	v_cmp_ge_i64_e64 s0, s[10:11], s[6:7]
	v_cmp_lt_u64_e64 s1, 0xffff, s[10:11]
	v_add_co_u32 v19, vcc_lo, v19, s12
	v_add_co_ci_u32_e32 v20, vcc_lo, 0, v20, vcc_lo
	v_add_co_u32 v21, vcc_lo, v21, s12
	v_add_co_ci_u32_e32 v22, vcc_lo, 0, v22, vcc_lo
	s_or_b32 s0, s0, s1
	s_delay_alu instid0(SALU_CYCLE_1)
	s_and_b32 vcc_lo, exec_lo, s0
	s_cbranch_vccnz .LBB18_25
.LBB18_9:                               ; =>This Inner Loop Header: Depth=1
	s_waitcnt vmcnt(0)
	v_add_co_u32 v23, s0, v0, s10
	s_delay_alu instid0(VALU_DEP_1) | instskip(NEXT) | instid1(VALU_DEP_1)
	v_add_co_ci_u32_e64 v24, null, 0, s11, s0
	v_cmp_gt_u64_e32 vcc_lo, s[8:9], v[23:24]
	v_mov_b32_e32 v23, 0
	s_and_saveexec_b32 s1, vcc_lo
	s_cbranch_execz .LBB18_11
; %bb.10:                               ;   in Loop: Header=BB18_9 Depth=1
	v_add_co_u32 v23, s0, v1, s4
	s_delay_alu instid0(VALU_DEP_1)
	v_add_co_ci_u32_e64 v24, s0, s5, v2, s0
	global_load_u16 v23, v[23:24], off
.LBB18_11:                              ;   in Loop: Header=BB18_9 Depth=1
	s_or_b32 exec_lo, exec_lo, s1
	v_add_co_u32 v24, s0, v13, s10
	s_delay_alu instid0(VALU_DEP_1) | instskip(NEXT) | instid1(VALU_DEP_1)
	v_add_co_ci_u32_e64 v25, s0, s11, v16, s0
	v_cmp_gt_u64_e64 s0, s[8:9], v[24:25]
	v_mov_b32_e32 v25, 0
	s_delay_alu instid0(VALU_DEP_2)
	s_and_saveexec_b32 s2, s0
	s_cbranch_execz .LBB18_13
; %bb.12:                               ;   in Loop: Header=BB18_9 Depth=1
	v_add_co_u32 v24, s1, v19, s4
	s_delay_alu instid0(VALU_DEP_1)
	v_add_co_ci_u32_e64 v25, s1, s5, v20, s1
	global_load_u16 v25, v[24:25], off
.LBB18_13:                              ;   in Loop: Header=BB18_9 Depth=1
	s_or_b32 exec_lo, exec_lo, s2
	v_add_co_u32 v26, s1, v17, s10
	s_delay_alu instid0(VALU_DEP_1) | instskip(SKIP_1) | instid1(VALU_DEP_2)
	v_add_co_ci_u32_e64 v27, s1, s11, v18, s1
	v_mov_b32_e32 v24, 0
	v_cmp_gt_u64_e64 s1, s[8:9], v[26:27]
	v_mov_b32_e32 v26, 0
	s_delay_alu instid0(VALU_DEP_2)
	s_and_saveexec_b32 s3, s1
	s_cbranch_execz .LBB18_15
; %bb.14:                               ;   in Loop: Header=BB18_9 Depth=1
	v_add_co_u32 v26, s2, v11, s4
	s_delay_alu instid0(VALU_DEP_1)
	v_add_co_ci_u32_e64 v27, s2, s5, v12, s2
	global_load_u16 v26, v[26:27], off
.LBB18_15:                              ;   in Loop: Header=BB18_9 Depth=1
	s_or_b32 exec_lo, exec_lo, s3
	v_add_co_u32 v27, s2, v9, s10
	s_delay_alu instid0(VALU_DEP_1) | instskip(NEXT) | instid1(VALU_DEP_1)
	v_add_co_ci_u32_e64 v28, s2, s11, v10, s2
	v_cmp_gt_u64_e64 s2, s[8:9], v[27:28]
	s_delay_alu instid0(VALU_DEP_1)
	s_and_saveexec_b32 s13, s2
	s_cbranch_execnz .LBB18_20
; %bb.16:                               ;   in Loop: Header=BB18_9 Depth=1
	s_or_b32 exec_lo, exec_lo, s13
	s_and_saveexec_b32 s3, vcc_lo
	s_cbranch_execnz .LBB18_21
.LBB18_17:                              ;   in Loop: Header=BB18_9 Depth=1
	s_or_b32 exec_lo, exec_lo, s3
	s_and_saveexec_b32 s3, s0
	s_cbranch_execnz .LBB18_22
.LBB18_18:                              ;   in Loop: Header=BB18_9 Depth=1
	s_or_b32 exec_lo, exec_lo, s3
	s_and_saveexec_b32 s0, s1
	s_cbranch_execnz .LBB18_23
.LBB18_19:                              ;   in Loop: Header=BB18_9 Depth=1
	s_or_b32 exec_lo, exec_lo, s0
	s_and_saveexec_b32 s0, s2
	s_cbranch_execz .LBB18_8
	s_branch .LBB18_24
.LBB18_20:                              ;   in Loop: Header=BB18_9 Depth=1
	v_add_co_u32 v27, s3, v5, s4
	s_delay_alu instid0(VALU_DEP_1)
	v_add_co_ci_u32_e64 v28, s3, s5, v6, s3
	global_load_u16 v24, v[27:28], off
	s_or_b32 exec_lo, exec_lo, s13
	s_and_saveexec_b32 s3, vcc_lo
	s_cbranch_execz .LBB18_17
.LBB18_21:                              ;   in Loop: Header=BB18_9 Depth=1
	v_add_co_u32 v27, vcc_lo, v3, s4
	v_add_co_ci_u32_e32 v28, vcc_lo, s5, v4, vcc_lo
	s_waitcnt vmcnt(0)
	v_trunc_f16_e32 v23, v23
	global_store_b16 v[27:28], v23, off
	s_or_b32 exec_lo, exec_lo, s3
	s_and_saveexec_b32 s3, s0
	s_cbranch_execz .LBB18_18
.LBB18_22:                              ;   in Loop: Header=BB18_9 Depth=1
	v_add_co_u32 v27, vcc_lo, v21, s4
	s_waitcnt vmcnt(0)
	v_trunc_f16_e32 v23, v25
	v_add_co_ci_u32_e32 v28, vcc_lo, s5, v22, vcc_lo
	global_store_b16 v[27:28], v23, off
	s_or_b32 exec_lo, exec_lo, s3
	s_and_saveexec_b32 s0, s1
	s_cbranch_execz .LBB18_19
.LBB18_23:                              ;   in Loop: Header=BB18_9 Depth=1
	s_waitcnt vmcnt(0)
	v_add_co_u32 v25, vcc_lo, v14, s4
	v_trunc_f16_e32 v23, v26
	v_add_co_ci_u32_e32 v26, vcc_lo, s5, v15, vcc_lo
	global_store_b16 v[25:26], v23, off
	s_or_b32 exec_lo, exec_lo, s0
	s_and_saveexec_b32 s0, s2
	s_cbranch_execz .LBB18_8
.LBB18_24:                              ;   in Loop: Header=BB18_9 Depth=1
	s_waitcnt vmcnt(0)
	v_add_co_u32 v23, vcc_lo, v7, s4
	v_trunc_f16_e32 v25, v24
	v_add_co_ci_u32_e32 v24, vcc_lo, s5, v8, vcc_lo
	global_store_b16 v[23:24], v25, off
	s_branch .LBB18_8
.LBB18_25:
	s_nop 0
	s_sendmsg sendmsg(MSG_DEALLOC_VGPRS)
	s_endpgm
	.section	.rodata,"a",@progbits
	.p2align	6, 0x0
	.amdhsa_kernel _ZN2at6native12_GLOBAL__N_125multi_tensor_apply_kernelINS1_18TensorListMetadataILi2EEENS1_14UnaryOpFunctorIN3c104HalfELi2ELi1ELi1EEEJNS0_6TruncfIfEEEEEvT_T0_DpT1_
		.amdhsa_group_segment_fixed_size 0
		.amdhsa_private_segment_fixed_size 0
		.amdhsa_kernarg_size 3408
		.amdhsa_user_sgpr_count 15
		.amdhsa_user_sgpr_dispatch_ptr 0
		.amdhsa_user_sgpr_queue_ptr 0
		.amdhsa_user_sgpr_kernarg_segment_ptr 1
		.amdhsa_user_sgpr_dispatch_id 0
		.amdhsa_user_sgpr_private_segment_size 0
		.amdhsa_wavefront_size32 1
		.amdhsa_uses_dynamic_stack 0
		.amdhsa_enable_private_segment 0
		.amdhsa_system_sgpr_workgroup_id_x 1
		.amdhsa_system_sgpr_workgroup_id_y 0
		.amdhsa_system_sgpr_workgroup_id_z 0
		.amdhsa_system_sgpr_workgroup_info 0
		.amdhsa_system_vgpr_workitem_id 0
		.amdhsa_next_free_vgpr 29
		.amdhsa_next_free_sgpr 22
		.amdhsa_reserve_vcc 1
		.amdhsa_float_round_mode_32 0
		.amdhsa_float_round_mode_16_64 0
		.amdhsa_float_denorm_mode_32 3
		.amdhsa_float_denorm_mode_16_64 3
		.amdhsa_dx10_clamp 1
		.amdhsa_ieee_mode 1
		.amdhsa_fp16_overflow 0
		.amdhsa_workgroup_processor_mode 1
		.amdhsa_memory_ordered 1
		.amdhsa_forward_progress 0
		.amdhsa_shared_vgpr_count 0
		.amdhsa_exception_fp_ieee_invalid_op 0
		.amdhsa_exception_fp_denorm_src 0
		.amdhsa_exception_fp_ieee_div_zero 0
		.amdhsa_exception_fp_ieee_overflow 0
		.amdhsa_exception_fp_ieee_underflow 0
		.amdhsa_exception_fp_ieee_inexact 0
		.amdhsa_exception_int_div_zero 0
	.end_amdhsa_kernel
	.section	.text._ZN2at6native12_GLOBAL__N_125multi_tensor_apply_kernelINS1_18TensorListMetadataILi2EEENS1_14UnaryOpFunctorIN3c104HalfELi2ELi1ELi1EEEJNS0_6TruncfIfEEEEEvT_T0_DpT1_,"axG",@progbits,_ZN2at6native12_GLOBAL__N_125multi_tensor_apply_kernelINS1_18TensorListMetadataILi2EEENS1_14UnaryOpFunctorIN3c104HalfELi2ELi1ELi1EEEJNS0_6TruncfIfEEEEEvT_T0_DpT1_,comdat
.Lfunc_end18:
	.size	_ZN2at6native12_GLOBAL__N_125multi_tensor_apply_kernelINS1_18TensorListMetadataILi2EEENS1_14UnaryOpFunctorIN3c104HalfELi2ELi1ELi1EEEJNS0_6TruncfIfEEEEEvT_T0_DpT1_, .Lfunc_end18-_ZN2at6native12_GLOBAL__N_125multi_tensor_apply_kernelINS1_18TensorListMetadataILi2EEENS1_14UnaryOpFunctorIN3c104HalfELi2ELi1ELi1EEEJNS0_6TruncfIfEEEEEvT_T0_DpT1_
                                        ; -- End function
	.section	.AMDGPU.csdata,"",@progbits
; Kernel info:
; codeLenInByte = 1424
; NumSgprs: 24
; NumVgprs: 29
; ScratchSize: 0
; MemoryBound: 0
; FloatMode: 240
; IeeeMode: 1
; LDSByteSize: 0 bytes/workgroup (compile time only)
; SGPRBlocks: 2
; VGPRBlocks: 3
; NumSGPRsForWavesPerEU: 24
; NumVGPRsForWavesPerEU: 29
; Occupancy: 16
; WaveLimiterHint : 0
; COMPUTE_PGM_RSRC2:SCRATCH_EN: 0
; COMPUTE_PGM_RSRC2:USER_SGPR: 15
; COMPUTE_PGM_RSRC2:TRAP_HANDLER: 0
; COMPUTE_PGM_RSRC2:TGID_X_EN: 1
; COMPUTE_PGM_RSRC2:TGID_Y_EN: 0
; COMPUTE_PGM_RSRC2:TGID_Z_EN: 0
; COMPUTE_PGM_RSRC2:TIDIG_COMP_CNT: 0
	.section	.text._ZN2at6native12_GLOBAL__N_125multi_tensor_apply_kernelINS1_18TensorListMetadataILi2EEENS1_14UnaryOpFunctorIN3c108BFloat16ELi2ELi1ELi1EEEJNS0_6TruncfIfEEEEEvT_T0_DpT1_,"axG",@progbits,_ZN2at6native12_GLOBAL__N_125multi_tensor_apply_kernelINS1_18TensorListMetadataILi2EEENS1_14UnaryOpFunctorIN3c108BFloat16ELi2ELi1ELi1EEEJNS0_6TruncfIfEEEEEvT_T0_DpT1_,comdat
	.globl	_ZN2at6native12_GLOBAL__N_125multi_tensor_apply_kernelINS1_18TensorListMetadataILi2EEENS1_14UnaryOpFunctorIN3c108BFloat16ELi2ELi1ELi1EEEJNS0_6TruncfIfEEEEEvT_T0_DpT1_ ; -- Begin function _ZN2at6native12_GLOBAL__N_125multi_tensor_apply_kernelINS1_18TensorListMetadataILi2EEENS1_14UnaryOpFunctorIN3c108BFloat16ELi2ELi1ELi1EEEJNS0_6TruncfIfEEEEEvT_T0_DpT1_
	.p2align	8
	.type	_ZN2at6native12_GLOBAL__N_125multi_tensor_apply_kernelINS1_18TensorListMetadataILi2EEENS1_14UnaryOpFunctorIN3c108BFloat16ELi2ELi1ELi1EEEJNS0_6TruncfIfEEEEEvT_T0_DpT1_,@function
_ZN2at6native12_GLOBAL__N_125multi_tensor_apply_kernelINS1_18TensorListMetadataILi2EEENS1_14UnaryOpFunctorIN3c108BFloat16ELi2ELi1ELi1EEEJNS0_6TruncfIfEEEEEvT_T0_DpT1_: ; @_ZN2at6native12_GLOBAL__N_125multi_tensor_apply_kernelINS1_18TensorListMetadataILi2EEENS1_14UnaryOpFunctorIN3c108BFloat16ELi2ELi1ELi1EEEJNS0_6TruncfIfEEEEEvT_T0_DpT1_
; %bb.0:
	v_mov_b32_e32 v1, s15
	s_add_u32 s2, s0, s15
	s_mul_hi_u32 s3, s15, 3
	s_mul_i32 s15, s15, 3
	s_addc_u32 s4, s1, 0
	global_load_u8 v1, v1, s[0:1] offset:1536
	s_add_u32 s2, s2, s15
	s_addc_u32 s3, s4, s3
	s_mov_b32 s9, 0
	s_load_b32 s2, s[2:3], 0x740
	s_mov_b32 s17, s9
	s_mov_b32 s15, s9
	s_waitcnt vmcnt(0)
	v_readfirstlane_b32 s5, v1
	s_delay_alu instid0(VALU_DEP_1)
	s_lshl_b32 s3, s5, 3
	s_clause 0x2
	s_load_b64 s[10:11], s[0:1], s3 offset:0x0
	s_load_b64 s[12:13], s[0:1], s3 offset:0x200
	;; [unrolled: 1-line block ×3, first 2 shown]
	s_waitcnt lgkmcnt(0)
	s_ashr_i32 s3, s2, 31
	s_delay_alu instid0(SALU_CYCLE_1) | instskip(SKIP_4) | instid1(SALU_CYCLE_1)
	s_lshl_b64 s[6:7], s[2:3], 17
	s_lshl_b64 s[2:3], s[2:3], 16
	s_and_b32 s8, s10, 7
	s_and_b32 s14, s12, 7
	;; [unrolled: 1-line block ×3, first 2 shown]
	s_or_b64 s[8:9], s[8:9], s[16:17]
	s_delay_alu instid0(SALU_CYCLE_1)
	s_or_b64 s[14:15], s[14:15], s[8:9]
	s_sub_u32 s8, s4, s2
	s_subb_u32 s9, s5, s3
	s_cmp_eq_u64 s[14:15], 0
	s_mov_b32 s2, -1
	s_cbranch_scc0 .LBB19_5
; %bb.1:
	v_dual_mov_b32 v2, 0 :: v_dual_lshlrev_b32 v1, 2, v0
	s_mov_b32 s14, exec_lo
	s_delay_alu instid0(VALU_DEP_1)
	v_cmpx_gt_i64_e64 s[8:9], v[1:2]
	s_cbranch_execz .LBB19_4
; %bb.2:
	s_load_b32 s2, s[0:1], 0xc5c
	v_lshlrev_b32_e32 v1, 3, v0
	s_mov_b32 s15, 0
	s_delay_alu instid0(VALU_DEP_1) | instskip(NEXT) | instid1(VALU_DEP_1)
	v_add_co_u32 v3, s3, s6, v1
	v_add_co_ci_u32_e64 v4, null, s7, 0, s3
	s_waitcnt lgkmcnt(0)
	s_and_b32 s2, s2, 0xffff
	s_delay_alu instid0(SALU_CYCLE_1)
	v_add_lshl_u32 v1, v0, s2, 2
	s_lshl_b32 s16, s2, 3
	s_lshl_b32 s17, s2, 2
.LBB19_3:                               ; =>This Inner Loop Header: Depth=1
	v_add_co_u32 v5, vcc_lo, s10, v3
	v_add_co_ci_u32_e32 v6, vcc_lo, s11, v4, vcc_lo
	v_add_co_u32 v7, vcc_lo, s12, v3
	v_add_co_ci_u32_e32 v8, vcc_lo, s13, v4, vcc_lo
	global_load_b64 v[5:6], v[5:6], off
	v_cmp_le_i64_e32 vcc_lo, s[8:9], v[1:2]
	v_cmp_lt_u64_e64 s2, 0xffff, v[1:2]
	v_add_co_u32 v3, s3, v3, s16
	s_delay_alu instid0(VALU_DEP_1) | instskip(SKIP_1) | instid1(VALU_DEP_4)
	v_add_co_ci_u32_e64 v4, s3, 0, v4, s3
	v_add_co_u32 v1, s3, v1, s17
	s_or_b32 s2, vcc_lo, s2
	v_add_co_ci_u32_e64 v2, s3, 0, v2, s3
	s_and_b32 s2, exec_lo, s2
	s_delay_alu instid0(SALU_CYCLE_1)
	s_or_b32 s15, s2, s15
	s_waitcnt vmcnt(0)
	v_lshlrev_b32_e32 v9, 16, v5
	v_alignbit_b32 v10, v6, v5, 16
	v_and_b32_e32 v5, 0xffff0000, v5
	v_and_b32_e32 v6, 0xffff0000, v6
	s_delay_alu instid0(VALU_DEP_4) | instskip(NEXT) | instid1(VALU_DEP_4)
	v_trunc_f32_e32 v9, v9
	v_and_b32_e32 v10, 0xffff0000, v10
	s_delay_alu instid0(VALU_DEP_4) | instskip(NEXT) | instid1(VALU_DEP_4)
	v_trunc_f32_e32 v5, v5
	v_trunc_f32_e32 v6, v6
	s_delay_alu instid0(VALU_DEP_4) | instskip(NEXT) | instid1(VALU_DEP_4)
	v_bfe_u32 v11, v9, 16, 1
	v_trunc_f32_e32 v10, v10
	s_delay_alu instid0(VALU_DEP_4) | instskip(NEXT) | instid1(VALU_DEP_4)
	v_bfe_u32 v12, v5, 16, 1
	v_bfe_u32 v13, v6, 16, 1
	v_cmp_o_f32_e64 s4, v9, v9
	v_add3_u32 v11, v9, v11, 0x7fff
	v_bfe_u32 v14, v10, 16, 1
	v_add3_u32 v12, v5, v12, 0x7fff
	v_add3_u32 v13, v6, v13, 0x7fff
	v_cmp_o_f32_e64 s5, v5, v5
	v_lshrrev_b32_e32 v11, 16, v11
	v_add3_u32 v14, v10, v14, 0x7fff
	v_and_b32_e32 v12, 0xffff0000, v12
	v_and_b32_e32 v13, 0xffff0000, v13
	s_delay_alu instid0(VALU_DEP_4) | instskip(SKIP_3) | instid1(VALU_DEP_3)
	v_cndmask_b32_e64 v11, 0x7fc0, v11, s4
	v_cmp_o_f32_e64 s4, v6, v6
	v_lshrrev_b32_e32 v5, 16, v14
	v_cndmask_b32_e64 v9, 0x7fc00000, v12, s5
	v_cndmask_b32_e64 v6, 0x7fc00000, v13, s4
	v_cmp_o_f32_e64 s4, v10, v10
	s_delay_alu instid0(VALU_DEP_3) | instskip(NEXT) | instid1(VALU_DEP_2)
	v_or_b32_e32 v9, v11, v9
	v_cndmask_b32_e64 v5, 0x7fc0, v5, s4
	s_delay_alu instid0(VALU_DEP_1) | instskip(NEXT) | instid1(VALU_DEP_3)
	v_or3_b32 v6, 0, v5, v6
	v_or3_b32 v5, v9, 0, 0
	global_store_b64 v[7:8], v[5:6], off
	s_and_not1_b32 exec_lo, exec_lo, s15
	s_cbranch_execnz .LBB19_3
.LBB19_4:
	s_or_b32 exec_lo, exec_lo, s14
	s_mov_b32 s2, 0
.LBB19_5:
	s_delay_alu instid0(SALU_CYCLE_1)
	s_and_not1_b32 vcc_lo, exec_lo, s2
	s_cbranch_vccnz .LBB19_25
; %bb.6:
	v_cmp_lt_i64_e64 s2, s[8:9], 1
	s_delay_alu instid0(VALU_DEP_1)
	s_and_b32 vcc_lo, exec_lo, s2
	s_cbranch_vccnz .LBB19_25
; %bb.7:
	s_load_b32 s0, s[0:1], 0xc5c
	v_dual_mov_b32 v10, 0 :: v_dual_lshlrev_b32 v9, 1, v0
	v_cmp_gt_u64_e64 s1, 0x10000, s[8:9]
	s_delay_alu instid0(VALU_DEP_2) | instskip(NEXT) | instid1(VALU_DEP_1)
	v_add_co_u32 v1, s2, s10, v9
	v_add_co_ci_u32_e64 v2, null, s11, 0, s2
	v_add_co_u32 v3, s2, s12, v9
	s_delay_alu instid0(VALU_DEP_1)
	v_add_co_ci_u32_e64 v4, null, s13, 0, s2
	s_waitcnt lgkmcnt(0)
	s_and_b32 s0, s0, 0xffff
	s_and_b32 s1, s1, exec_lo
	v_mad_u64_u32 v[7:8], null, s0, 6, v[9:10]
	s_cselect_b32 s5, s9, 0
	s_cselect_b32 s4, s8, 0x10000
	s_mul_i32 s2, s0, 3
	s_lshl_b32 s14, s0, 2
	s_lshl_b32 s1, s0, 1
	v_add_co_u32 v14, s3, s14, v9
	v_add_co_u32 v9, s2, s2, v0
	s_delay_alu instid0(VALU_DEP_1) | instskip(SKIP_3) | instid1(VALU_DEP_3)
	v_add_co_ci_u32_e64 v10, null, 0, 0, s2
	v_add_co_u32 v13, s2, v0, s0
	v_add_co_u32 v5, vcc_lo, s10, v7
	v_add_co_ci_u32_e32 v6, vcc_lo, s11, v8, vcc_lo
	v_lshlrev_b32_e32 v21, 1, v13
	v_add_co_u32 v7, vcc_lo, s12, v7
	v_add_co_ci_u32_e64 v15, null, 0, 0, s3
	v_add_co_ci_u32_e32 v8, vcc_lo, s13, v8, vcc_lo
	v_add_co_u32 v17, s1, s1, v0
	v_add_co_u32 v11, vcc_lo, s10, v14
	v_add_co_ci_u32_e64 v18, null, 0, 0, s1
	v_add_co_u32 v19, s1, s10, v21
	v_add_co_ci_u32_e32 v12, vcc_lo, s11, v15, vcc_lo
	v_add_co_u32 v14, vcc_lo, s12, v14
	v_add_co_ci_u32_e64 v20, null, s11, 0, s1
	v_add_co_u32 v21, s1, s12, v21
	v_add_co_ci_u32_e32 v15, vcc_lo, s13, v15, vcc_lo
	v_add_co_ci_u32_e64 v16, null, 0, 0, s2
	v_add_co_ci_u32_e64 v22, null, s13, 0, s1
	s_lshl_b32 s12, s0, 3
	s_mov_b64 s[10:11], 0
	s_branch .LBB19_9
.LBB19_8:                               ;   in Loop: Header=BB19_9 Depth=1
	s_or_b32 exec_lo, exec_lo, s0
	v_add_co_u32 v1, vcc_lo, v1, s12
	v_add_co_ci_u32_e32 v2, vcc_lo, 0, v2, vcc_lo
	v_add_co_u32 v3, vcc_lo, v3, s12
	v_add_co_ci_u32_e32 v4, vcc_lo, 0, v4, vcc_lo
	;; [unrolled: 2-line block ×5, first 2 shown]
	s_add_u32 s10, s10, s14
	v_add_co_u32 v14, vcc_lo, v14, s12
	s_addc_u32 s11, s11, 0
	v_add_co_ci_u32_e32 v15, vcc_lo, 0, v15, vcc_lo
	v_cmp_ge_i64_e64 s0, s[10:11], s[8:9]
	v_cmp_lt_u64_e64 s1, 0xffff, s[10:11]
	v_add_co_u32 v19, vcc_lo, v19, s12
	v_add_co_ci_u32_e32 v20, vcc_lo, 0, v20, vcc_lo
	v_add_co_u32 v21, vcc_lo, v21, s12
	v_add_co_ci_u32_e32 v22, vcc_lo, 0, v22, vcc_lo
	s_or_b32 s0, s0, s1
	s_delay_alu instid0(SALU_CYCLE_1)
	s_and_b32 vcc_lo, exec_lo, s0
	s_cbranch_vccnz .LBB19_25
.LBB19_9:                               ; =>This Inner Loop Header: Depth=1
	s_waitcnt vmcnt(0)
	v_add_co_u32 v23, s0, v0, s10
	s_delay_alu instid0(VALU_DEP_1) | instskip(NEXT) | instid1(VALU_DEP_1)
	v_add_co_ci_u32_e64 v24, null, 0, s11, s0
	v_cmp_gt_u64_e32 vcc_lo, s[4:5], v[23:24]
	v_mov_b32_e32 v24, 0
	s_and_saveexec_b32 s1, vcc_lo
	s_cbranch_execz .LBB19_11
; %bb.10:                               ;   in Loop: Header=BB19_9 Depth=1
	v_add_co_u32 v23, s0, v1, s6
	s_delay_alu instid0(VALU_DEP_1)
	v_add_co_ci_u32_e64 v24, s0, s7, v2, s0
	global_load_u16 v24, v[23:24], off
.LBB19_11:                              ;   in Loop: Header=BB19_9 Depth=1
	s_or_b32 exec_lo, exec_lo, s1
	v_add_co_u32 v25, s0, v13, s10
	s_delay_alu instid0(VALU_DEP_1) | instskip(NEXT) | instid1(VALU_DEP_1)
	v_add_co_ci_u32_e64 v26, s0, s11, v16, s0
	v_cmp_gt_u64_e64 s0, s[4:5], v[25:26]
	v_mov_b32_e32 v25, 0
	s_delay_alu instid0(VALU_DEP_2)
	s_and_saveexec_b32 s2, s0
	s_cbranch_execz .LBB19_13
; %bb.12:                               ;   in Loop: Header=BB19_9 Depth=1
	v_add_co_u32 v25, s1, v19, s6
	s_delay_alu instid0(VALU_DEP_1)
	v_add_co_ci_u32_e64 v26, s1, s7, v20, s1
	global_load_u16 v25, v[25:26], off
.LBB19_13:                              ;   in Loop: Header=BB19_9 Depth=1
	s_or_b32 exec_lo, exec_lo, s2
	v_add_co_u32 v26, s1, v17, s10
	s_delay_alu instid0(VALU_DEP_1) | instskip(SKIP_1) | instid1(VALU_DEP_2)
	v_add_co_ci_u32_e64 v27, s1, s11, v18, s1
	v_mov_b32_e32 v23, 0
	v_cmp_gt_u64_e64 s1, s[4:5], v[26:27]
	v_mov_b32_e32 v26, 0
	s_delay_alu instid0(VALU_DEP_2)
	s_and_saveexec_b32 s3, s1
	s_cbranch_execz .LBB19_15
; %bb.14:                               ;   in Loop: Header=BB19_9 Depth=1
	v_add_co_u32 v26, s2, v11, s6
	s_delay_alu instid0(VALU_DEP_1)
	v_add_co_ci_u32_e64 v27, s2, s7, v12, s2
	global_load_u16 v26, v[26:27], off
.LBB19_15:                              ;   in Loop: Header=BB19_9 Depth=1
	s_or_b32 exec_lo, exec_lo, s3
	v_add_co_u32 v27, s2, v9, s10
	s_delay_alu instid0(VALU_DEP_1) | instskip(NEXT) | instid1(VALU_DEP_1)
	v_add_co_ci_u32_e64 v28, s2, s11, v10, s2
	v_cmp_gt_u64_e64 s2, s[4:5], v[27:28]
	s_delay_alu instid0(VALU_DEP_1)
	s_and_saveexec_b32 s13, s2
	s_cbranch_execnz .LBB19_20
; %bb.16:                               ;   in Loop: Header=BB19_9 Depth=1
	s_or_b32 exec_lo, exec_lo, s13
	s_and_saveexec_b32 s3, vcc_lo
	s_cbranch_execnz .LBB19_21
.LBB19_17:                              ;   in Loop: Header=BB19_9 Depth=1
	s_or_b32 exec_lo, exec_lo, s3
	s_and_saveexec_b32 s3, s0
	s_cbranch_execnz .LBB19_22
.LBB19_18:                              ;   in Loop: Header=BB19_9 Depth=1
	s_or_b32 exec_lo, exec_lo, s3
	s_and_saveexec_b32 s0, s1
	s_cbranch_execnz .LBB19_23
.LBB19_19:                              ;   in Loop: Header=BB19_9 Depth=1
	s_or_b32 exec_lo, exec_lo, s0
	s_and_saveexec_b32 s0, s2
	s_cbranch_execz .LBB19_8
	s_branch .LBB19_24
.LBB19_20:                              ;   in Loop: Header=BB19_9 Depth=1
	v_add_co_u32 v27, s3, v5, s6
	s_delay_alu instid0(VALU_DEP_1)
	v_add_co_ci_u32_e64 v28, s3, s7, v6, s3
	global_load_u16 v23, v[27:28], off
	s_or_b32 exec_lo, exec_lo, s13
	s_and_saveexec_b32 s3, vcc_lo
	s_cbranch_execz .LBB19_17
.LBB19_21:                              ;   in Loop: Header=BB19_9 Depth=1
	s_waitcnt vmcnt(0)
	v_lshlrev_b32_e32 v24, 16, v24
	s_delay_alu instid0(VALU_DEP_1) | instskip(NEXT) | instid1(VALU_DEP_1)
	v_trunc_f32_e32 v24, v24
	v_bfe_u32 v27, v24, 16, 1
	v_cmp_o_f32_e32 vcc_lo, v24, v24
	s_delay_alu instid0(VALU_DEP_2) | instskip(NEXT) | instid1(VALU_DEP_1)
	v_add3_u32 v27, v24, v27, 0x7fff
	v_lshrrev_b32_e32 v27, 16, v27
	s_delay_alu instid0(VALU_DEP_1)
	v_cndmask_b32_e32 v24, 0x7fc0, v27, vcc_lo
	v_add_co_u32 v27, vcc_lo, v3, s6
	v_add_co_ci_u32_e32 v28, vcc_lo, s7, v4, vcc_lo
	global_store_b16 v[27:28], v24, off
	s_or_b32 exec_lo, exec_lo, s3
	s_and_saveexec_b32 s3, s0
	s_cbranch_execz .LBB19_18
.LBB19_22:                              ;   in Loop: Header=BB19_9 Depth=1
	s_waitcnt vmcnt(0)
	v_lshlrev_b32_e32 v24, 16, v25
	s_delay_alu instid0(VALU_DEP_1) | instskip(NEXT) | instid1(VALU_DEP_1)
	v_trunc_f32_e32 v24, v24
	v_bfe_u32 v25, v24, 16, 1
	v_cmp_o_f32_e32 vcc_lo, v24, v24
	s_delay_alu instid0(VALU_DEP_2) | instskip(NEXT) | instid1(VALU_DEP_1)
	v_add3_u32 v25, v24, v25, 0x7fff
	v_lshrrev_b32_e32 v25, 16, v25
	s_delay_alu instid0(VALU_DEP_1)
	v_cndmask_b32_e32 v27, 0x7fc0, v25, vcc_lo
	v_add_co_u32 v24, vcc_lo, v21, s6
	v_add_co_ci_u32_e32 v25, vcc_lo, s7, v22, vcc_lo
	global_store_b16 v[24:25], v27, off
	s_or_b32 exec_lo, exec_lo, s3
	s_and_saveexec_b32 s0, s1
	s_cbranch_execz .LBB19_19
.LBB19_23:                              ;   in Loop: Header=BB19_9 Depth=1
	s_waitcnt vmcnt(0)
	v_lshlrev_b32_e32 v24, 16, v26
	s_delay_alu instid0(VALU_DEP_1) | instskip(NEXT) | instid1(VALU_DEP_1)
	v_trunc_f32_e32 v24, v24
	v_bfe_u32 v25, v24, 16, 1
	v_cmp_o_f32_e32 vcc_lo, v24, v24
	s_delay_alu instid0(VALU_DEP_2) | instskip(NEXT) | instid1(VALU_DEP_1)
	v_add3_u32 v25, v24, v25, 0x7fff
	v_lshrrev_b32_e32 v25, 16, v25
	s_delay_alu instid0(VALU_DEP_1)
	v_cndmask_b32_e32 v26, 0x7fc0, v25, vcc_lo
	v_add_co_u32 v24, vcc_lo, v14, s6
	v_add_co_ci_u32_e32 v25, vcc_lo, s7, v15, vcc_lo
	global_store_b16 v[24:25], v26, off
	s_or_b32 exec_lo, exec_lo, s0
	s_and_saveexec_b32 s0, s2
	s_cbranch_execz .LBB19_8
.LBB19_24:                              ;   in Loop: Header=BB19_9 Depth=1
	s_waitcnt vmcnt(0)
	v_lshlrev_b32_e32 v23, 16, v23
	s_delay_alu instid0(VALU_DEP_1) | instskip(NEXT) | instid1(VALU_DEP_1)
	v_trunc_f32_e32 v23, v23
	v_bfe_u32 v24, v23, 16, 1
	v_cmp_o_f32_e32 vcc_lo, v23, v23
	s_delay_alu instid0(VALU_DEP_2) | instskip(NEXT) | instid1(VALU_DEP_1)
	v_add3_u32 v24, v23, v24, 0x7fff
	v_lshrrev_b32_e32 v24, 16, v24
	s_delay_alu instid0(VALU_DEP_1)
	v_cndmask_b32_e32 v25, 0x7fc0, v24, vcc_lo
	v_add_co_u32 v23, vcc_lo, v7, s6
	v_add_co_ci_u32_e32 v24, vcc_lo, s7, v8, vcc_lo
	global_store_b16 v[23:24], v25, off
	s_branch .LBB19_8
.LBB19_25:
	s_nop 0
	s_sendmsg sendmsg(MSG_DEALLOC_VGPRS)
	s_endpgm
	.section	.rodata,"a",@progbits
	.p2align	6, 0x0
	.amdhsa_kernel _ZN2at6native12_GLOBAL__N_125multi_tensor_apply_kernelINS1_18TensorListMetadataILi2EEENS1_14UnaryOpFunctorIN3c108BFloat16ELi2ELi1ELi1EEEJNS0_6TruncfIfEEEEEvT_T0_DpT1_
		.amdhsa_group_segment_fixed_size 0
		.amdhsa_private_segment_fixed_size 0
		.amdhsa_kernarg_size 3408
		.amdhsa_user_sgpr_count 15
		.amdhsa_user_sgpr_dispatch_ptr 0
		.amdhsa_user_sgpr_queue_ptr 0
		.amdhsa_user_sgpr_kernarg_segment_ptr 1
		.amdhsa_user_sgpr_dispatch_id 0
		.amdhsa_user_sgpr_private_segment_size 0
		.amdhsa_wavefront_size32 1
		.amdhsa_uses_dynamic_stack 0
		.amdhsa_enable_private_segment 0
		.amdhsa_system_sgpr_workgroup_id_x 1
		.amdhsa_system_sgpr_workgroup_id_y 0
		.amdhsa_system_sgpr_workgroup_id_z 0
		.amdhsa_system_sgpr_workgroup_info 0
		.amdhsa_system_vgpr_workitem_id 0
		.amdhsa_next_free_vgpr 29
		.amdhsa_next_free_sgpr 18
		.amdhsa_reserve_vcc 1
		.amdhsa_float_round_mode_32 0
		.amdhsa_float_round_mode_16_64 0
		.amdhsa_float_denorm_mode_32 3
		.amdhsa_float_denorm_mode_16_64 3
		.amdhsa_dx10_clamp 1
		.amdhsa_ieee_mode 1
		.amdhsa_fp16_overflow 0
		.amdhsa_workgroup_processor_mode 1
		.amdhsa_memory_ordered 1
		.amdhsa_forward_progress 0
		.amdhsa_shared_vgpr_count 0
		.amdhsa_exception_fp_ieee_invalid_op 0
		.amdhsa_exception_fp_denorm_src 0
		.amdhsa_exception_fp_ieee_div_zero 0
		.amdhsa_exception_fp_ieee_overflow 0
		.amdhsa_exception_fp_ieee_underflow 0
		.amdhsa_exception_fp_ieee_inexact 0
		.amdhsa_exception_int_div_zero 0
	.end_amdhsa_kernel
	.section	.text._ZN2at6native12_GLOBAL__N_125multi_tensor_apply_kernelINS1_18TensorListMetadataILi2EEENS1_14UnaryOpFunctorIN3c108BFloat16ELi2ELi1ELi1EEEJNS0_6TruncfIfEEEEEvT_T0_DpT1_,"axG",@progbits,_ZN2at6native12_GLOBAL__N_125multi_tensor_apply_kernelINS1_18TensorListMetadataILi2EEENS1_14UnaryOpFunctorIN3c108BFloat16ELi2ELi1ELi1EEEJNS0_6TruncfIfEEEEEvT_T0_DpT1_,comdat
.Lfunc_end19:
	.size	_ZN2at6native12_GLOBAL__N_125multi_tensor_apply_kernelINS1_18TensorListMetadataILi2EEENS1_14UnaryOpFunctorIN3c108BFloat16ELi2ELi1ELi1EEEJNS0_6TruncfIfEEEEEvT_T0_DpT1_, .Lfunc_end19-_ZN2at6native12_GLOBAL__N_125multi_tensor_apply_kernelINS1_18TensorListMetadataILi2EEENS1_14UnaryOpFunctorIN3c108BFloat16ELi2ELi1ELi1EEEJNS0_6TruncfIfEEEEEvT_T0_DpT1_
                                        ; -- End function
	.section	.AMDGPU.csdata,"",@progbits
; Kernel info:
; codeLenInByte = 1860
; NumSgprs: 20
; NumVgprs: 29
; ScratchSize: 0
; MemoryBound: 0
; FloatMode: 240
; IeeeMode: 1
; LDSByteSize: 0 bytes/workgroup (compile time only)
; SGPRBlocks: 2
; VGPRBlocks: 3
; NumSGPRsForWavesPerEU: 20
; NumVGPRsForWavesPerEU: 29
; Occupancy: 16
; WaveLimiterHint : 0
; COMPUTE_PGM_RSRC2:SCRATCH_EN: 0
; COMPUTE_PGM_RSRC2:USER_SGPR: 15
; COMPUTE_PGM_RSRC2:TRAP_HANDLER: 0
; COMPUTE_PGM_RSRC2:TGID_X_EN: 1
; COMPUTE_PGM_RSRC2:TGID_Y_EN: 0
; COMPUTE_PGM_RSRC2:TGID_Z_EN: 0
; COMPUTE_PGM_RSRC2:TIDIG_COMP_CNT: 0
	.section	.text._ZN2at6native12_GLOBAL__N_125multi_tensor_apply_kernelINS1_18TensorListMetadataILi1EEENS1_14UnaryOpFunctorIdLi1ELi1ELi0EEEJNS0_6TruncfIdEEEEEvT_T0_DpT1_,"axG",@progbits,_ZN2at6native12_GLOBAL__N_125multi_tensor_apply_kernelINS1_18TensorListMetadataILi1EEENS1_14UnaryOpFunctorIdLi1ELi1ELi0EEEJNS0_6TruncfIdEEEEEvT_T0_DpT1_,comdat
	.globl	_ZN2at6native12_GLOBAL__N_125multi_tensor_apply_kernelINS1_18TensorListMetadataILi1EEENS1_14UnaryOpFunctorIdLi1ELi1ELi0EEEJNS0_6TruncfIdEEEEEvT_T0_DpT1_ ; -- Begin function _ZN2at6native12_GLOBAL__N_125multi_tensor_apply_kernelINS1_18TensorListMetadataILi1EEENS1_14UnaryOpFunctorIdLi1ELi1ELi0EEEJNS0_6TruncfIdEEEEEvT_T0_DpT1_
	.p2align	8
	.type	_ZN2at6native12_GLOBAL__N_125multi_tensor_apply_kernelINS1_18TensorListMetadataILi1EEENS1_14UnaryOpFunctorIdLi1ELi1ELi0EEEJNS0_6TruncfIdEEEEEvT_T0_DpT1_,@function
_ZN2at6native12_GLOBAL__N_125multi_tensor_apply_kernelINS1_18TensorListMetadataILi1EEENS1_14UnaryOpFunctorIdLi1ELi1ELi0EEEJNS0_6TruncfIdEEEEEvT_T0_DpT1_: ; @_ZN2at6native12_GLOBAL__N_125multi_tensor_apply_kernelINS1_18TensorListMetadataILi1EEENS1_14UnaryOpFunctorIdLi1ELi1ELi0EEEJNS0_6TruncfIdEEEEEvT_T0_DpT1_
; %bb.0:
	v_mov_b32_e32 v1, s15
	s_add_u32 s2, s0, s15
	s_mul_hi_u32 s3, s15, 3
	s_mul_i32 s15, s15, 3
	s_addc_u32 s4, s1, 0
	global_load_u8 v1, v1, s[0:1] offset:1760
	s_add_u32 s2, s2, s15
	s_addc_u32 s3, s4, s3
	s_mov_b32 s13, 0
	s_load_b32 s2, s[2:3], 0x820
	s_waitcnt vmcnt(0)
	v_readfirstlane_b32 s5, v1
	s_delay_alu instid0(VALU_DEP_1)
	s_lshl_b32 s3, s5, 3
	s_clause 0x1
	s_load_b64 s[8:9], s[0:1], s3 offset:0x0
	s_load_b64 s[4:5], s[0:1], s3 offset:0x370
	s_waitcnt lgkmcnt(0)
	s_ashr_i32 s3, s2, 31
	s_delay_alu instid0(SALU_CYCLE_1)
	s_lshl_b64 s[10:11], s[2:3], 19
	s_lshl_b64 s[2:3], s[2:3], 16
	s_and_b32 s12, s8, 31
	s_sub_u32 s6, s4, s2
	s_subb_u32 s7, s5, s3
	s_and_b32 s2, s4, 3
	s_mov_b32 s3, s13
	s_delay_alu instid0(SALU_CYCLE_1) | instskip(NEXT) | instid1(SALU_CYCLE_1)
	s_or_b64 s[2:3], s[12:13], s[2:3]
	s_cmp_eq_u64 s[2:3], 0
	s_cbranch_scc1 .LBB20_21
; %bb.1:
	v_cmp_lt_i64_e64 s2, s[6:7], 1
	s_delay_alu instid0(VALU_DEP_1)
	s_and_b32 vcc_lo, exec_lo, s2
	s_cbranch_vccnz .LBB20_20
; %bb.2:
	s_load_b32 s2, s[0:1], 0xd3c
	v_cmp_gt_u64_e64 s3, 0x10000, s[6:7]
	v_lshlrev_b32_e32 v1, 3, v0
	s_waitcnt lgkmcnt(0)
	s_and_b32 s2, s2, 0xffff
	s_delay_alu instid0(VALU_DEP_2)
	s_and_b32 s3, s3, exec_lo
	v_add_co_u32 v13, s5, v0, s2
	s_cselect_b32 s13, s7, 0
	s_cselect_b32 s12, s6, 0x10000
	s_lshl_b32 s3, s2, 1
	s_lshl_b32 s16, s2, 2
	v_lshlrev_b32_e32 v3, 3, v13
	v_add_co_ci_u32_e64 v14, null, 0, 0, s5
	s_add_u32 s5, s8, s10
	v_add_co_u32 v17, s3, s3, v0
	s_mul_i32 s4, s2, 3
	s_addc_u32 s14, s9, s11
	v_add_co_ci_u32_e64 v18, null, 0, 0, s3
	v_add_co_u32 v1, s3, s5, v1
	v_add_co_u32 v15, s4, s4, v0
	v_add_co_ci_u32_e64 v2, null, s14, 0, s3
	v_add_co_u32 v3, s3, s5, v3
	v_add_co_ci_u32_e64 v16, null, 0, 0, s4
	v_add_co_ci_u32_e64 v4, null, s14, 0, s3
	s_lshl_b32 s17, s2, 5
	s_mul_i32 s18, s2, 24
	s_lshl_b32 s19, s2, 4
	s_mov_b64 s[14:15], 0
	s_branch .LBB20_4
.LBB20_3:                               ;   in Loop: Header=BB20_4 Depth=1
	s_or_b32 exec_lo, exec_lo, s2
	s_add_u32 s14, s14, s16
	s_addc_u32 s15, s15, 0
	v_add_co_u32 v1, vcc_lo, v1, s17
	v_cmp_lt_i64_e64 s2, s[14:15], s[6:7]
	v_cmp_gt_u64_e64 s3, 0x10000, s[14:15]
	v_add_co_ci_u32_e32 v2, vcc_lo, 0, v2, vcc_lo
	v_add_co_u32 v3, vcc_lo, v3, s17
	v_add_co_ci_u32_e32 v4, vcc_lo, 0, v4, vcc_lo
	s_delay_alu instid0(VALU_DEP_4) | instskip(NEXT) | instid1(SALU_CYCLE_1)
	s_and_b32 s2, s2, s3
	s_and_b32 vcc_lo, exec_lo, s2
	s_cbranch_vccz .LBB20_20
.LBB20_4:                               ; =>This Inner Loop Header: Depth=1
	s_waitcnt vmcnt(0)
	v_add_co_u32 v7, s2, v0, s14
	s_delay_alu instid0(VALU_DEP_1) | instskip(SKIP_2) | instid1(VALU_DEP_3)
	v_add_co_ci_u32_e64 v8, null, 0, s15, s2
	v_mov_b32_e32 v5, 0
	v_mov_b32_e32 v6, 0
	v_cmp_gt_u64_e32 vcc_lo, s[12:13], v[7:8]
	s_delay_alu instid0(VALU_DEP_2)
	v_dual_mov_b32 v8, v6 :: v_dual_mov_b32 v7, v5
	s_and_saveexec_b32 s2, vcc_lo
	s_cbranch_execz .LBB20_6
; %bb.5:                                ;   in Loop: Header=BB20_4 Depth=1
	global_load_b64 v[7:8], v[1:2], off
.LBB20_6:                               ;   in Loop: Header=BB20_4 Depth=1
	s_or_b32 exec_lo, exec_lo, s2
	v_add_co_u32 v9, s2, v13, s14
	s_delay_alu instid0(VALU_DEP_1) | instskip(NEXT) | instid1(VALU_DEP_1)
	v_add_co_ci_u32_e64 v10, s2, s15, v14, s2
	v_cmp_gt_u64_e64 s2, s[12:13], v[9:10]
	s_delay_alu instid0(VALU_DEP_1)
	s_and_saveexec_b32 s3, s2
	s_cbranch_execz .LBB20_8
; %bb.7:                                ;   in Loop: Header=BB20_4 Depth=1
	global_load_b64 v[5:6], v[3:4], off
.LBB20_8:                               ;   in Loop: Header=BB20_4 Depth=1
	s_or_b32 exec_lo, exec_lo, s3
	v_add_co_u32 v11, s3, v17, s14
	s_delay_alu instid0(VALU_DEP_1) | instskip(SKIP_2) | instid1(VALU_DEP_3)
	v_add_co_ci_u32_e64 v12, s3, s15, v18, s3
	v_mov_b32_e32 v9, 0
	v_mov_b32_e32 v10, 0
	v_cmp_gt_u64_e64 s3, s[12:13], v[11:12]
	s_delay_alu instid0(VALU_DEP_2) | instskip(NEXT) | instid1(VALU_DEP_2)
	v_dual_mov_b32 v12, v10 :: v_dual_mov_b32 v11, v9
	s_and_saveexec_b32 s5, s3
	s_cbranch_execz .LBB20_10
; %bb.9:                                ;   in Loop: Header=BB20_4 Depth=1
	v_add_co_u32 v11, s4, v1, s19
	s_delay_alu instid0(VALU_DEP_1)
	v_add_co_ci_u32_e64 v12, s4, 0, v2, s4
	global_load_b64 v[11:12], v[11:12], off
.LBB20_10:                              ;   in Loop: Header=BB20_4 Depth=1
	s_or_b32 exec_lo, exec_lo, s5
	v_add_co_u32 v19, s4, v15, s14
	s_delay_alu instid0(VALU_DEP_1) | instskip(NEXT) | instid1(VALU_DEP_1)
	v_add_co_ci_u32_e64 v20, s4, s15, v16, s4
	v_cmp_gt_u64_e64 s4, s[12:13], v[19:20]
	s_delay_alu instid0(VALU_DEP_1)
	s_and_saveexec_b32 s20, s4
	s_cbranch_execnz .LBB20_15
; %bb.11:                               ;   in Loop: Header=BB20_4 Depth=1
	s_or_b32 exec_lo, exec_lo, s20
	s_and_saveexec_b32 s5, vcc_lo
	s_cbranch_execnz .LBB20_16
.LBB20_12:                              ;   in Loop: Header=BB20_4 Depth=1
	s_or_b32 exec_lo, exec_lo, s5
	s_and_saveexec_b32 s5, s2
	s_cbranch_execnz .LBB20_17
.LBB20_13:                              ;   in Loop: Header=BB20_4 Depth=1
	s_or_b32 exec_lo, exec_lo, s5
	s_and_saveexec_b32 s2, s3
	s_cbranch_execnz .LBB20_18
.LBB20_14:                              ;   in Loop: Header=BB20_4 Depth=1
	s_or_b32 exec_lo, exec_lo, s2
	s_and_saveexec_b32 s2, s4
	s_cbranch_execz .LBB20_3
	s_branch .LBB20_19
.LBB20_15:                              ;   in Loop: Header=BB20_4 Depth=1
	v_add_co_u32 v9, s5, v1, s18
	s_delay_alu instid0(VALU_DEP_1)
	v_add_co_ci_u32_e64 v10, s5, 0, v2, s5
	global_load_b64 v[9:10], v[9:10], off
	s_or_b32 exec_lo, exec_lo, s20
	s_and_saveexec_b32 s5, vcc_lo
	s_cbranch_execz .LBB20_12
.LBB20_16:                              ;   in Loop: Header=BB20_4 Depth=1
	s_waitcnt vmcnt(0)
	v_trunc_f64_e32 v[7:8], v[7:8]
	global_store_b64 v[1:2], v[7:8], off
	s_or_b32 exec_lo, exec_lo, s5
	s_and_saveexec_b32 s5, s2
	s_cbranch_execz .LBB20_13
.LBB20_17:                              ;   in Loop: Header=BB20_4 Depth=1
	s_waitcnt vmcnt(0)
	v_trunc_f64_e32 v[5:6], v[5:6]
	global_store_b64 v[3:4], v[5:6], off
	s_or_b32 exec_lo, exec_lo, s5
	s_and_saveexec_b32 s2, s3
	s_cbranch_execz .LBB20_14
.LBB20_18:                              ;   in Loop: Header=BB20_4 Depth=1
	s_waitcnt vmcnt(0)
	v_trunc_f64_e32 v[5:6], v[11:12]
	v_add_co_u32 v7, vcc_lo, v1, s19
	v_add_co_ci_u32_e32 v8, vcc_lo, 0, v2, vcc_lo
	global_store_b64 v[7:8], v[5:6], off
	s_or_b32 exec_lo, exec_lo, s2
	s_and_saveexec_b32 s2, s4
	s_cbranch_execz .LBB20_3
.LBB20_19:                              ;   in Loop: Header=BB20_4 Depth=1
	s_waitcnt vmcnt(0)
	v_trunc_f64_e32 v[5:6], v[9:10]
	v_add_co_u32 v7, vcc_lo, v1, s18
	v_add_co_ci_u32_e32 v8, vcc_lo, 0, v2, vcc_lo
	global_store_b64 v[7:8], v[5:6], off
	s_branch .LBB20_3
.LBB20_20:
	s_cbranch_execz .LBB20_22
	s_branch .LBB20_25
.LBB20_21:
.LBB20_22:
	v_dual_mov_b32 v2, 0 :: v_dual_lshlrev_b32 v1, 2, v0
	s_mov_b32 s2, 0
	s_mov_b32 s3, exec_lo
	s_delay_alu instid0(VALU_DEP_1)
	v_cmpx_gt_i64_e64 s[6:7], v[1:2]
	s_cbranch_execz .LBB20_25
; %bb.23:
	s_load_b32 s0, s[0:1], 0xd3c
	v_lshlrev_b32_e32 v1, 5, v0
	s_waitcnt lgkmcnt(0)
	s_and_b32 s0, s0, 0xffff
	s_delay_alu instid0(SALU_CYCLE_1) | instskip(SKIP_3) | instid1(VALU_DEP_1)
	s_lshl_b32 s3, s0, 2
	s_add_u32 s1, s8, s10
	s_addc_u32 s4, s9, s11
	v_add_co_u32 v3, s1, s1, v1
	v_add_co_ci_u32_e64 v4, null, s4, 0, s1
	v_add_lshl_u32 v1, v0, s0, 2
	s_delay_alu instid0(VALU_DEP_3) | instskip(NEXT) | instid1(VALU_DEP_3)
	v_add_co_u32 v3, vcc_lo, v3, 16
	v_add_co_ci_u32_e32 v4, vcc_lo, 0, v4, vcc_lo
	s_lshl_b32 s4, s0, 5
	.p2align	6
.LBB20_24:                              ; =>This Inner Loop Header: Depth=1
	s_clause 0x1
	global_load_b128 v[5:8], v[3:4], off offset:-16
	global_load_b128 v[9:12], v[3:4], off
	v_cmp_le_i64_e32 vcc_lo, s[6:7], v[1:2]
	v_cmp_lt_u64_e64 s0, 0xffff, v[1:2]
	v_add_co_u32 v1, s1, v1, s3
	s_delay_alu instid0(VALU_DEP_1) | instskip(NEXT) | instid1(VALU_DEP_3)
	v_add_co_ci_u32_e64 v2, s1, 0, v2, s1
	s_or_b32 s0, vcc_lo, s0
	s_delay_alu instid0(SALU_CYCLE_1) | instskip(NEXT) | instid1(SALU_CYCLE_1)
	s_and_b32 s0, exec_lo, s0
	s_or_b32 s2, s0, s2
	s_waitcnt vmcnt(1)
	v_trunc_f64_e32 v[5:6], v[5:6]
	v_trunc_f64_e32 v[7:8], v[7:8]
	s_waitcnt vmcnt(0)
	v_trunc_f64_e32 v[9:10], v[9:10]
	v_trunc_f64_e32 v[11:12], v[11:12]
	s_clause 0x1
	global_store_b128 v[3:4], v[5:8], off offset:-16
	global_store_b128 v[3:4], v[9:12], off
	v_add_co_u32 v3, vcc_lo, v3, s4
	v_add_co_ci_u32_e32 v4, vcc_lo, 0, v4, vcc_lo
	s_and_not1_b32 exec_lo, exec_lo, s2
	s_cbranch_execnz .LBB20_24
.LBB20_25:
	s_nop 0
	s_sendmsg sendmsg(MSG_DEALLOC_VGPRS)
	s_endpgm
	.section	.rodata,"a",@progbits
	.p2align	6, 0x0
	.amdhsa_kernel _ZN2at6native12_GLOBAL__N_125multi_tensor_apply_kernelINS1_18TensorListMetadataILi1EEENS1_14UnaryOpFunctorIdLi1ELi1ELi0EEEJNS0_6TruncfIdEEEEEvT_T0_DpT1_
		.amdhsa_group_segment_fixed_size 0
		.amdhsa_private_segment_fixed_size 0
		.amdhsa_kernarg_size 3632
		.amdhsa_user_sgpr_count 15
		.amdhsa_user_sgpr_dispatch_ptr 0
		.amdhsa_user_sgpr_queue_ptr 0
		.amdhsa_user_sgpr_kernarg_segment_ptr 1
		.amdhsa_user_sgpr_dispatch_id 0
		.amdhsa_user_sgpr_private_segment_size 0
		.amdhsa_wavefront_size32 1
		.amdhsa_uses_dynamic_stack 0
		.amdhsa_enable_private_segment 0
		.amdhsa_system_sgpr_workgroup_id_x 1
		.amdhsa_system_sgpr_workgroup_id_y 0
		.amdhsa_system_sgpr_workgroup_id_z 0
		.amdhsa_system_sgpr_workgroup_info 0
		.amdhsa_system_vgpr_workitem_id 0
		.amdhsa_next_free_vgpr 21
		.amdhsa_next_free_sgpr 21
		.amdhsa_reserve_vcc 1
		.amdhsa_float_round_mode_32 0
		.amdhsa_float_round_mode_16_64 0
		.amdhsa_float_denorm_mode_32 3
		.amdhsa_float_denorm_mode_16_64 3
		.amdhsa_dx10_clamp 1
		.amdhsa_ieee_mode 1
		.amdhsa_fp16_overflow 0
		.amdhsa_workgroup_processor_mode 1
		.amdhsa_memory_ordered 1
		.amdhsa_forward_progress 0
		.amdhsa_shared_vgpr_count 0
		.amdhsa_exception_fp_ieee_invalid_op 0
		.amdhsa_exception_fp_denorm_src 0
		.amdhsa_exception_fp_ieee_div_zero 0
		.amdhsa_exception_fp_ieee_overflow 0
		.amdhsa_exception_fp_ieee_underflow 0
		.amdhsa_exception_fp_ieee_inexact 0
		.amdhsa_exception_int_div_zero 0
	.end_amdhsa_kernel
	.section	.text._ZN2at6native12_GLOBAL__N_125multi_tensor_apply_kernelINS1_18TensorListMetadataILi1EEENS1_14UnaryOpFunctorIdLi1ELi1ELi0EEEJNS0_6TruncfIdEEEEEvT_T0_DpT1_,"axG",@progbits,_ZN2at6native12_GLOBAL__N_125multi_tensor_apply_kernelINS1_18TensorListMetadataILi1EEENS1_14UnaryOpFunctorIdLi1ELi1ELi0EEEJNS0_6TruncfIdEEEEEvT_T0_DpT1_,comdat
.Lfunc_end20:
	.size	_ZN2at6native12_GLOBAL__N_125multi_tensor_apply_kernelINS1_18TensorListMetadataILi1EEENS1_14UnaryOpFunctorIdLi1ELi1ELi0EEEJNS0_6TruncfIdEEEEEvT_T0_DpT1_, .Lfunc_end20-_ZN2at6native12_GLOBAL__N_125multi_tensor_apply_kernelINS1_18TensorListMetadataILi1EEENS1_14UnaryOpFunctorIdLi1ELi1ELi0EEEJNS0_6TruncfIdEEEEEvT_T0_DpT1_
                                        ; -- End function
	.section	.AMDGPU.csdata,"",@progbits
; Kernel info:
; codeLenInByte = 1152
; NumSgprs: 23
; NumVgprs: 21
; ScratchSize: 0
; MemoryBound: 0
; FloatMode: 240
; IeeeMode: 1
; LDSByteSize: 0 bytes/workgroup (compile time only)
; SGPRBlocks: 2
; VGPRBlocks: 2
; NumSGPRsForWavesPerEU: 23
; NumVGPRsForWavesPerEU: 21
; Occupancy: 16
; WaveLimiterHint : 0
; COMPUTE_PGM_RSRC2:SCRATCH_EN: 0
; COMPUTE_PGM_RSRC2:USER_SGPR: 15
; COMPUTE_PGM_RSRC2:TRAP_HANDLER: 0
; COMPUTE_PGM_RSRC2:TGID_X_EN: 1
; COMPUTE_PGM_RSRC2:TGID_Y_EN: 0
; COMPUTE_PGM_RSRC2:TGID_Z_EN: 0
; COMPUTE_PGM_RSRC2:TIDIG_COMP_CNT: 0
	.section	.text._ZN2at6native12_GLOBAL__N_125multi_tensor_apply_kernelINS1_18TensorListMetadataILi1EEENS1_14UnaryOpFunctorIfLi1ELi1ELi0EEEJNS0_6TruncfIfEEEEEvT_T0_DpT1_,"axG",@progbits,_ZN2at6native12_GLOBAL__N_125multi_tensor_apply_kernelINS1_18TensorListMetadataILi1EEENS1_14UnaryOpFunctorIfLi1ELi1ELi0EEEJNS0_6TruncfIfEEEEEvT_T0_DpT1_,comdat
	.globl	_ZN2at6native12_GLOBAL__N_125multi_tensor_apply_kernelINS1_18TensorListMetadataILi1EEENS1_14UnaryOpFunctorIfLi1ELi1ELi0EEEJNS0_6TruncfIfEEEEEvT_T0_DpT1_ ; -- Begin function _ZN2at6native12_GLOBAL__N_125multi_tensor_apply_kernelINS1_18TensorListMetadataILi1EEENS1_14UnaryOpFunctorIfLi1ELi1ELi0EEEJNS0_6TruncfIfEEEEEvT_T0_DpT1_
	.p2align	8
	.type	_ZN2at6native12_GLOBAL__N_125multi_tensor_apply_kernelINS1_18TensorListMetadataILi1EEENS1_14UnaryOpFunctorIfLi1ELi1ELi0EEEJNS0_6TruncfIfEEEEEvT_T0_DpT1_,@function
_ZN2at6native12_GLOBAL__N_125multi_tensor_apply_kernelINS1_18TensorListMetadataILi1EEENS1_14UnaryOpFunctorIfLi1ELi1ELi0EEEJNS0_6TruncfIfEEEEEvT_T0_DpT1_: ; @_ZN2at6native12_GLOBAL__N_125multi_tensor_apply_kernelINS1_18TensorListMetadataILi1EEENS1_14UnaryOpFunctorIfLi1ELi1ELi0EEEJNS0_6TruncfIfEEEEEvT_T0_DpT1_
; %bb.0:
	v_mov_b32_e32 v1, s15
	s_add_u32 s2, s0, s15
	s_mul_hi_u32 s3, s15, 3
	s_mul_i32 s15, s15, 3
	s_addc_u32 s4, s1, 0
	global_load_u8 v1, v1, s[0:1] offset:1760
	s_add_u32 s2, s2, s15
	s_addc_u32 s3, s4, s3
	s_mov_b32 s13, 0
	s_load_b32 s2, s[2:3], 0x820
	s_waitcnt vmcnt(0)
	v_readfirstlane_b32 s5, v1
	s_delay_alu instid0(VALU_DEP_1)
	s_lshl_b32 s3, s5, 3
	s_clause 0x1
	s_load_b64 s[8:9], s[0:1], s3 offset:0x0
	s_load_b64 s[4:5], s[0:1], s3 offset:0x370
	s_waitcnt lgkmcnt(0)
	s_ashr_i32 s3, s2, 31
	s_delay_alu instid0(SALU_CYCLE_1)
	s_lshl_b64 s[10:11], s[2:3], 18
	s_lshl_b64 s[2:3], s[2:3], 16
	s_and_b32 s12, s8, 15
	s_sub_u32 s6, s4, s2
	s_subb_u32 s7, s5, s3
	s_and_b32 s2, s4, 3
	s_mov_b32 s3, s13
	s_delay_alu instid0(SALU_CYCLE_1) | instskip(NEXT) | instid1(SALU_CYCLE_1)
	s_or_b64 s[2:3], s[12:13], s[2:3]
	s_cmp_eq_u64 s[2:3], 0
	s_cbranch_scc1 .LBB21_21
; %bb.1:
	v_cmp_lt_i64_e64 s2, s[6:7], 1
	s_delay_alu instid0(VALU_DEP_1)
	s_and_b32 vcc_lo, exec_lo, s2
	s_cbranch_vccnz .LBB21_20
; %bb.2:
	s_load_b32 s2, s[0:1], 0xd3c
	v_cmp_gt_u64_e64 s3, 0x10000, s[6:7]
	v_lshlrev_b32_e32 v1, 2, v0
	s_waitcnt lgkmcnt(0)
	s_and_b32 s2, s2, 0xffff
	s_delay_alu instid0(VALU_DEP_2)
	s_and_b32 s3, s3, exec_lo
	v_add_co_u32 v5, s5, v0, s2
	s_cselect_b32 s13, s7, 0
	s_cselect_b32 s12, s6, 0x10000
	s_lshl_b32 s3, s2, 1
	s_lshl_b32 s16, s2, 2
	v_lshlrev_b32_e32 v3, 2, v5
	v_add_co_ci_u32_e64 v6, null, 0, 0, s5
	s_add_u32 s5, s8, s10
	v_add_co_u32 v9, s3, s3, v0
	s_mul_i32 s4, s2, 3
	s_addc_u32 s14, s9, s11
	v_add_co_ci_u32_e64 v10, null, 0, 0, s3
	v_add_co_u32 v1, s3, s5, v1
	v_add_co_u32 v7, s4, s4, v0
	v_add_co_ci_u32_e64 v2, null, s14, 0, s3
	v_add_co_u32 v3, s3, s5, v3
	v_add_co_ci_u32_e64 v8, null, 0, 0, s4
	v_add_co_ci_u32_e64 v4, null, s14, 0, s3
	s_lshl_b32 s17, s2, 4
	s_mul_i32 s18, s2, 12
	s_lshl_b32 s19, s2, 3
	s_mov_b64 s[14:15], 0
	s_branch .LBB21_4
.LBB21_3:                               ;   in Loop: Header=BB21_4 Depth=1
	s_or_b32 exec_lo, exec_lo, s2
	s_add_u32 s14, s14, s16
	s_addc_u32 s15, s15, 0
	v_add_co_u32 v1, vcc_lo, v1, s17
	v_cmp_lt_i64_e64 s2, s[14:15], s[6:7]
	v_cmp_gt_u64_e64 s3, 0x10000, s[14:15]
	v_add_co_ci_u32_e32 v2, vcc_lo, 0, v2, vcc_lo
	v_add_co_u32 v3, vcc_lo, v3, s17
	v_add_co_ci_u32_e32 v4, vcc_lo, 0, v4, vcc_lo
	s_delay_alu instid0(VALU_DEP_4) | instskip(NEXT) | instid1(SALU_CYCLE_1)
	s_and_b32 s2, s2, s3
	s_and_b32 vcc_lo, exec_lo, s2
	s_cbranch_vccz .LBB21_20
.LBB21_4:                               ; =>This Inner Loop Header: Depth=1
	s_waitcnt vmcnt(0)
	v_add_co_u32 v11, s2, v0, s14
	s_delay_alu instid0(VALU_DEP_1) | instskip(NEXT) | instid1(VALU_DEP_1)
	v_add_co_ci_u32_e64 v12, null, 0, s15, s2
	v_cmp_gt_u64_e32 vcc_lo, s[12:13], v[11:12]
	v_mov_b32_e32 v11, 0
	s_and_saveexec_b32 s2, vcc_lo
	s_cbranch_execz .LBB21_6
; %bb.5:                                ;   in Loop: Header=BB21_4 Depth=1
	global_load_b32 v11, v[1:2], off
.LBB21_6:                               ;   in Loop: Header=BB21_4 Depth=1
	s_or_b32 exec_lo, exec_lo, s2
	v_add_co_u32 v12, s2, v5, s14
	s_delay_alu instid0(VALU_DEP_1) | instskip(NEXT) | instid1(VALU_DEP_1)
	v_add_co_ci_u32_e64 v13, s2, s15, v6, s2
	v_cmp_gt_u64_e64 s2, s[12:13], v[12:13]
	v_mov_b32_e32 v13, 0
	s_delay_alu instid0(VALU_DEP_2)
	s_and_saveexec_b32 s3, s2
	s_cbranch_execz .LBB21_8
; %bb.7:                                ;   in Loop: Header=BB21_4 Depth=1
	global_load_b32 v13, v[3:4], off
.LBB21_8:                               ;   in Loop: Header=BB21_4 Depth=1
	s_or_b32 exec_lo, exec_lo, s3
	v_add_co_u32 v14, s3, v9, s14
	s_delay_alu instid0(VALU_DEP_1) | instskip(SKIP_1) | instid1(VALU_DEP_2)
	v_add_co_ci_u32_e64 v15, s3, s15, v10, s3
	v_mov_b32_e32 v12, 0
	v_cmp_gt_u64_e64 s3, s[12:13], v[14:15]
	v_mov_b32_e32 v14, 0
	s_delay_alu instid0(VALU_DEP_2)
	s_and_saveexec_b32 s5, s3
	s_cbranch_execz .LBB21_10
; %bb.9:                                ;   in Loop: Header=BB21_4 Depth=1
	v_add_co_u32 v14, s4, v1, s19
	s_delay_alu instid0(VALU_DEP_1)
	v_add_co_ci_u32_e64 v15, s4, 0, v2, s4
	global_load_b32 v14, v[14:15], off
.LBB21_10:                              ;   in Loop: Header=BB21_4 Depth=1
	s_or_b32 exec_lo, exec_lo, s5
	v_add_co_u32 v15, s4, v7, s14
	s_delay_alu instid0(VALU_DEP_1) | instskip(NEXT) | instid1(VALU_DEP_1)
	v_add_co_ci_u32_e64 v16, s4, s15, v8, s4
	v_cmp_gt_u64_e64 s4, s[12:13], v[15:16]
	s_delay_alu instid0(VALU_DEP_1)
	s_and_saveexec_b32 s20, s4
	s_cbranch_execnz .LBB21_15
; %bb.11:                               ;   in Loop: Header=BB21_4 Depth=1
	s_or_b32 exec_lo, exec_lo, s20
	s_and_saveexec_b32 s5, vcc_lo
	s_cbranch_execnz .LBB21_16
.LBB21_12:                              ;   in Loop: Header=BB21_4 Depth=1
	s_or_b32 exec_lo, exec_lo, s5
	s_and_saveexec_b32 s5, s2
	s_cbranch_execnz .LBB21_17
.LBB21_13:                              ;   in Loop: Header=BB21_4 Depth=1
	s_or_b32 exec_lo, exec_lo, s5
	s_and_saveexec_b32 s2, s3
	s_cbranch_execnz .LBB21_18
.LBB21_14:                              ;   in Loop: Header=BB21_4 Depth=1
	s_or_b32 exec_lo, exec_lo, s2
	s_and_saveexec_b32 s2, s4
	s_cbranch_execz .LBB21_3
	s_branch .LBB21_19
.LBB21_15:                              ;   in Loop: Header=BB21_4 Depth=1
	v_add_co_u32 v15, s5, v1, s18
	s_delay_alu instid0(VALU_DEP_1)
	v_add_co_ci_u32_e64 v16, s5, 0, v2, s5
	global_load_b32 v12, v[15:16], off
	s_or_b32 exec_lo, exec_lo, s20
	s_and_saveexec_b32 s5, vcc_lo
	s_cbranch_execz .LBB21_12
.LBB21_16:                              ;   in Loop: Header=BB21_4 Depth=1
	s_waitcnt vmcnt(0)
	v_trunc_f32_e32 v11, v11
	global_store_b32 v[1:2], v11, off
	s_or_b32 exec_lo, exec_lo, s5
	s_and_saveexec_b32 s5, s2
	s_cbranch_execz .LBB21_13
.LBB21_17:                              ;   in Loop: Header=BB21_4 Depth=1
	s_waitcnt vmcnt(0)
	v_trunc_f32_e32 v11, v13
	global_store_b32 v[3:4], v11, off
	s_or_b32 exec_lo, exec_lo, s5
	s_and_saveexec_b32 s2, s3
	s_cbranch_execz .LBB21_14
.LBB21_18:                              ;   in Loop: Header=BB21_4 Depth=1
	s_waitcnt vmcnt(0)
	v_add_co_u32 v13, vcc_lo, v1, s19
	v_trunc_f32_e32 v11, v14
	v_add_co_ci_u32_e32 v14, vcc_lo, 0, v2, vcc_lo
	global_store_b32 v[13:14], v11, off
	s_or_b32 exec_lo, exec_lo, s2
	s_and_saveexec_b32 s2, s4
	s_cbranch_execz .LBB21_3
.LBB21_19:                              ;   in Loop: Header=BB21_4 Depth=1
	s_waitcnt vmcnt(0)
	v_add_co_u32 v11, vcc_lo, v1, s18
	v_trunc_f32_e32 v13, v12
	v_add_co_ci_u32_e32 v12, vcc_lo, 0, v2, vcc_lo
	global_store_b32 v[11:12], v13, off
	s_branch .LBB21_3
.LBB21_20:
	s_cbranch_execz .LBB21_22
	s_branch .LBB21_25
.LBB21_21:
.LBB21_22:
	v_dual_mov_b32 v2, 0 :: v_dual_lshlrev_b32 v1, 2, v0
	s_mov_b32 s2, 0
	s_mov_b32 s3, exec_lo
	s_delay_alu instid0(VALU_DEP_1)
	v_cmpx_gt_i64_e64 s[6:7], v[1:2]
	s_cbranch_execz .LBB21_25
; %bb.23:
	s_load_b32 s0, s[0:1], 0xd3c
	v_lshlrev_b32_e32 v1, 4, v0
	s_waitcnt lgkmcnt(0)
	s_and_b32 s0, s0, 0xffff
	s_delay_alu instid0(SALU_CYCLE_1) | instskip(SKIP_3) | instid1(VALU_DEP_1)
	s_lshl_b32 s3, s0, 2
	s_add_u32 s1, s8, s10
	s_addc_u32 s4, s9, s11
	v_add_co_u32 v3, s1, s1, v1
	v_add_co_ci_u32_e64 v4, null, s4, 0, s1
	v_add_lshl_u32 v1, v0, s0, 2
	s_delay_alu instid0(VALU_DEP_3) | instskip(NEXT) | instid1(VALU_DEP_3)
	v_add_co_u32 v3, vcc_lo, v3, 8
	v_add_co_ci_u32_e32 v4, vcc_lo, 0, v4, vcc_lo
	s_lshl_b32 s4, s0, 4
	.p2align	6
.LBB21_24:                              ; =>This Inner Loop Header: Depth=1
	global_load_b128 v[5:8], v[3:4], off offset:-8
	v_cmp_le_i64_e32 vcc_lo, s[6:7], v[1:2]
	v_cmp_lt_u64_e64 s0, 0xffff, v[1:2]
	v_add_co_u32 v1, s1, v1, s3
	s_delay_alu instid0(VALU_DEP_1) | instskip(NEXT) | instid1(VALU_DEP_3)
	v_add_co_ci_u32_e64 v2, s1, 0, v2, s1
	s_or_b32 s0, vcc_lo, s0
	s_delay_alu instid0(SALU_CYCLE_1) | instskip(NEXT) | instid1(SALU_CYCLE_1)
	s_and_b32 s0, exec_lo, s0
	s_or_b32 s2, s0, s2
	s_waitcnt vmcnt(0)
	v_trunc_f32_e32 v5, v5
	v_trunc_f32_e32 v6, v6
	;; [unrolled: 1-line block ×4, first 2 shown]
	global_store_b128 v[3:4], v[5:8], off offset:-8
	v_add_co_u32 v3, vcc_lo, v3, s4
	v_add_co_ci_u32_e32 v4, vcc_lo, 0, v4, vcc_lo
	s_and_not1_b32 exec_lo, exec_lo, s2
	s_cbranch_execnz .LBB21_24
.LBB21_25:
	s_nop 0
	s_sendmsg sendmsg(MSG_DEALLOC_VGPRS)
	s_endpgm
	.section	.rodata,"a",@progbits
	.p2align	6, 0x0
	.amdhsa_kernel _ZN2at6native12_GLOBAL__N_125multi_tensor_apply_kernelINS1_18TensorListMetadataILi1EEENS1_14UnaryOpFunctorIfLi1ELi1ELi0EEEJNS0_6TruncfIfEEEEEvT_T0_DpT1_
		.amdhsa_group_segment_fixed_size 0
		.amdhsa_private_segment_fixed_size 0
		.amdhsa_kernarg_size 3632
		.amdhsa_user_sgpr_count 15
		.amdhsa_user_sgpr_dispatch_ptr 0
		.amdhsa_user_sgpr_queue_ptr 0
		.amdhsa_user_sgpr_kernarg_segment_ptr 1
		.amdhsa_user_sgpr_dispatch_id 0
		.amdhsa_user_sgpr_private_segment_size 0
		.amdhsa_wavefront_size32 1
		.amdhsa_uses_dynamic_stack 0
		.amdhsa_enable_private_segment 0
		.amdhsa_system_sgpr_workgroup_id_x 1
		.amdhsa_system_sgpr_workgroup_id_y 0
		.amdhsa_system_sgpr_workgroup_id_z 0
		.amdhsa_system_sgpr_workgroup_info 0
		.amdhsa_system_vgpr_workitem_id 0
		.amdhsa_next_free_vgpr 17
		.amdhsa_next_free_sgpr 21
		.amdhsa_reserve_vcc 1
		.amdhsa_float_round_mode_32 0
		.amdhsa_float_round_mode_16_64 0
		.amdhsa_float_denorm_mode_32 3
		.amdhsa_float_denorm_mode_16_64 3
		.amdhsa_dx10_clamp 1
		.amdhsa_ieee_mode 1
		.amdhsa_fp16_overflow 0
		.amdhsa_workgroup_processor_mode 1
		.amdhsa_memory_ordered 1
		.amdhsa_forward_progress 0
		.amdhsa_shared_vgpr_count 0
		.amdhsa_exception_fp_ieee_invalid_op 0
		.amdhsa_exception_fp_denorm_src 0
		.amdhsa_exception_fp_ieee_div_zero 0
		.amdhsa_exception_fp_ieee_overflow 0
		.amdhsa_exception_fp_ieee_underflow 0
		.amdhsa_exception_fp_ieee_inexact 0
		.amdhsa_exception_int_div_zero 0
	.end_amdhsa_kernel
	.section	.text._ZN2at6native12_GLOBAL__N_125multi_tensor_apply_kernelINS1_18TensorListMetadataILi1EEENS1_14UnaryOpFunctorIfLi1ELi1ELi0EEEJNS0_6TruncfIfEEEEEvT_T0_DpT1_,"axG",@progbits,_ZN2at6native12_GLOBAL__N_125multi_tensor_apply_kernelINS1_18TensorListMetadataILi1EEENS1_14UnaryOpFunctorIfLi1ELi1ELi0EEEJNS0_6TruncfIfEEEEEvT_T0_DpT1_,comdat
.Lfunc_end21:
	.size	_ZN2at6native12_GLOBAL__N_125multi_tensor_apply_kernelINS1_18TensorListMetadataILi1EEENS1_14UnaryOpFunctorIfLi1ELi1ELi0EEEJNS0_6TruncfIfEEEEEvT_T0_DpT1_, .Lfunc_end21-_ZN2at6native12_GLOBAL__N_125multi_tensor_apply_kernelINS1_18TensorListMetadataILi1EEENS1_14UnaryOpFunctorIfLi1ELi1ELi0EEEJNS0_6TruncfIfEEEEEvT_T0_DpT1_
                                        ; -- End function
	.section	.AMDGPU.csdata,"",@progbits
; Kernel info:
; codeLenInByte = 1104
; NumSgprs: 23
; NumVgprs: 17
; ScratchSize: 0
; MemoryBound: 0
; FloatMode: 240
; IeeeMode: 1
; LDSByteSize: 0 bytes/workgroup (compile time only)
; SGPRBlocks: 2
; VGPRBlocks: 2
; NumSGPRsForWavesPerEU: 23
; NumVGPRsForWavesPerEU: 17
; Occupancy: 16
; WaveLimiterHint : 0
; COMPUTE_PGM_RSRC2:SCRATCH_EN: 0
; COMPUTE_PGM_RSRC2:USER_SGPR: 15
; COMPUTE_PGM_RSRC2:TRAP_HANDLER: 0
; COMPUTE_PGM_RSRC2:TGID_X_EN: 1
; COMPUTE_PGM_RSRC2:TGID_Y_EN: 0
; COMPUTE_PGM_RSRC2:TGID_Z_EN: 0
; COMPUTE_PGM_RSRC2:TIDIG_COMP_CNT: 0
	.section	.text._ZN2at6native12_GLOBAL__N_125multi_tensor_apply_kernelINS1_18TensorListMetadataILi1EEENS1_14UnaryOpFunctorIN3c104HalfELi1ELi1ELi0EEEJNS0_6TruncfIfEEEEEvT_T0_DpT1_,"axG",@progbits,_ZN2at6native12_GLOBAL__N_125multi_tensor_apply_kernelINS1_18TensorListMetadataILi1EEENS1_14UnaryOpFunctorIN3c104HalfELi1ELi1ELi0EEEJNS0_6TruncfIfEEEEEvT_T0_DpT1_,comdat
	.globl	_ZN2at6native12_GLOBAL__N_125multi_tensor_apply_kernelINS1_18TensorListMetadataILi1EEENS1_14UnaryOpFunctorIN3c104HalfELi1ELi1ELi0EEEJNS0_6TruncfIfEEEEEvT_T0_DpT1_ ; -- Begin function _ZN2at6native12_GLOBAL__N_125multi_tensor_apply_kernelINS1_18TensorListMetadataILi1EEENS1_14UnaryOpFunctorIN3c104HalfELi1ELi1ELi0EEEJNS0_6TruncfIfEEEEEvT_T0_DpT1_
	.p2align	8
	.type	_ZN2at6native12_GLOBAL__N_125multi_tensor_apply_kernelINS1_18TensorListMetadataILi1EEENS1_14UnaryOpFunctorIN3c104HalfELi1ELi1ELi0EEEJNS0_6TruncfIfEEEEEvT_T0_DpT1_,@function
_ZN2at6native12_GLOBAL__N_125multi_tensor_apply_kernelINS1_18TensorListMetadataILi1EEENS1_14UnaryOpFunctorIN3c104HalfELi1ELi1ELi0EEEJNS0_6TruncfIfEEEEEvT_T0_DpT1_: ; @_ZN2at6native12_GLOBAL__N_125multi_tensor_apply_kernelINS1_18TensorListMetadataILi1EEENS1_14UnaryOpFunctorIN3c104HalfELi1ELi1ELi0EEEJNS0_6TruncfIfEEEEEvT_T0_DpT1_
; %bb.0:
	v_mov_b32_e32 v1, s15
	s_add_u32 s2, s0, s15
	s_mul_hi_u32 s3, s15, 3
	s_mul_i32 s15, s15, 3
	s_addc_u32 s4, s1, 0
	global_load_u8 v1, v1, s[0:1] offset:1760
	s_add_u32 s2, s2, s15
	s_addc_u32 s3, s4, s3
	s_mov_b32 s13, 0
	s_load_b32 s2, s[2:3], 0x820
	s_waitcnt vmcnt(0)
	v_readfirstlane_b32 s5, v1
	s_delay_alu instid0(VALU_DEP_1)
	s_lshl_b32 s3, s5, 3
	s_clause 0x1
	s_load_b64 s[8:9], s[0:1], s3 offset:0x0
	s_load_b64 s[4:5], s[0:1], s3 offset:0x370
	s_waitcnt lgkmcnt(0)
	s_ashr_i32 s3, s2, 31
	s_delay_alu instid0(SALU_CYCLE_1)
	s_lshl_b64 s[10:11], s[2:3], 17
	s_lshl_b64 s[2:3], s[2:3], 16
	s_and_b32 s12, s8, 7
	s_sub_u32 s6, s4, s2
	s_subb_u32 s7, s5, s3
	s_and_b32 s2, s4, 3
	s_mov_b32 s3, s13
	s_delay_alu instid0(SALU_CYCLE_1) | instskip(NEXT) | instid1(SALU_CYCLE_1)
	s_or_b64 s[2:3], s[12:13], s[2:3]
	s_cmp_eq_u64 s[2:3], 0
	s_cbranch_scc1 .LBB22_21
; %bb.1:
	v_cmp_lt_i64_e64 s2, s[6:7], 1
	s_delay_alu instid0(VALU_DEP_1)
	s_and_b32 vcc_lo, exec_lo, s2
	s_cbranch_vccnz .LBB22_20
; %bb.2:
	s_load_b32 s2, s[0:1], 0xd3c
	v_cmp_gt_u64_e64 s3, 0x10000, s[6:7]
	v_lshlrev_b32_e32 v1, 1, v0
	s_waitcnt lgkmcnt(0)
	s_and_b32 s2, s2, 0xffff
	s_delay_alu instid0(VALU_DEP_2)
	s_and_b32 s3, s3, exec_lo
	v_add_co_u32 v5, s5, v0, s2
	s_cselect_b32 s13, s7, 0
	s_cselect_b32 s12, s6, 0x10000
	s_lshl_b32 s3, s2, 1
	s_lshl_b32 s16, s2, 2
	v_lshlrev_b32_e32 v3, 1, v5
	v_add_co_ci_u32_e64 v6, null, 0, 0, s5
	s_add_u32 s5, s8, s10
	v_add_co_u32 v9, s3, s3, v0
	s_mul_i32 s4, s2, 3
	s_addc_u32 s14, s9, s11
	v_add_co_ci_u32_e64 v10, null, 0, 0, s3
	v_add_co_u32 v1, s3, s5, v1
	v_add_co_u32 v7, s4, s4, v0
	v_add_co_ci_u32_e64 v2, null, s14, 0, s3
	v_add_co_u32 v3, s3, s5, v3
	v_add_co_ci_u32_e64 v8, null, 0, 0, s4
	v_add_co_ci_u32_e64 v4, null, s14, 0, s3
	s_lshl_b32 s17, s2, 3
	s_mul_i32 s18, s2, 6
	s_mov_b64 s[14:15], 0
	s_branch .LBB22_4
.LBB22_3:                               ;   in Loop: Header=BB22_4 Depth=1
	s_or_b32 exec_lo, exec_lo, s2
	s_add_u32 s14, s14, s16
	s_addc_u32 s15, s15, 0
	v_add_co_u32 v1, vcc_lo, v1, s17
	v_cmp_lt_i64_e64 s2, s[14:15], s[6:7]
	v_cmp_gt_u64_e64 s3, 0x10000, s[14:15]
	v_add_co_ci_u32_e32 v2, vcc_lo, 0, v2, vcc_lo
	v_add_co_u32 v3, vcc_lo, v3, s17
	v_add_co_ci_u32_e32 v4, vcc_lo, 0, v4, vcc_lo
	s_delay_alu instid0(VALU_DEP_4) | instskip(NEXT) | instid1(SALU_CYCLE_1)
	s_and_b32 s2, s2, s3
	s_and_b32 vcc_lo, exec_lo, s2
	s_cbranch_vccz .LBB22_20
.LBB22_4:                               ; =>This Inner Loop Header: Depth=1
	s_waitcnt vmcnt(0)
	v_add_co_u32 v11, s2, v0, s14
	s_delay_alu instid0(VALU_DEP_1) | instskip(NEXT) | instid1(VALU_DEP_1)
	v_add_co_ci_u32_e64 v12, null, 0, s15, s2
	v_cmp_gt_u64_e32 vcc_lo, s[12:13], v[11:12]
	v_mov_b32_e32 v11, 0
	s_and_saveexec_b32 s2, vcc_lo
	s_cbranch_execz .LBB22_6
; %bb.5:                                ;   in Loop: Header=BB22_4 Depth=1
	global_load_u16 v11, v[1:2], off
.LBB22_6:                               ;   in Loop: Header=BB22_4 Depth=1
	s_or_b32 exec_lo, exec_lo, s2
	v_add_co_u32 v12, s2, v5, s14
	s_delay_alu instid0(VALU_DEP_1) | instskip(NEXT) | instid1(VALU_DEP_1)
	v_add_co_ci_u32_e64 v13, s2, s15, v6, s2
	v_cmp_gt_u64_e64 s2, s[12:13], v[12:13]
	v_mov_b32_e32 v13, 0
	s_delay_alu instid0(VALU_DEP_2)
	s_and_saveexec_b32 s3, s2
	s_cbranch_execz .LBB22_8
; %bb.7:                                ;   in Loop: Header=BB22_4 Depth=1
	global_load_u16 v13, v[3:4], off
.LBB22_8:                               ;   in Loop: Header=BB22_4 Depth=1
	s_or_b32 exec_lo, exec_lo, s3
	v_add_co_u32 v14, s3, v9, s14
	s_delay_alu instid0(VALU_DEP_1) | instskip(SKIP_1) | instid1(VALU_DEP_2)
	v_add_co_ci_u32_e64 v15, s3, s15, v10, s3
	v_mov_b32_e32 v12, 0
	v_cmp_gt_u64_e64 s3, s[12:13], v[14:15]
	v_mov_b32_e32 v14, 0
	s_delay_alu instid0(VALU_DEP_2)
	s_and_saveexec_b32 s5, s3
	s_cbranch_execz .LBB22_10
; %bb.9:                                ;   in Loop: Header=BB22_4 Depth=1
	v_add_co_u32 v14, s4, v1, s16
	s_delay_alu instid0(VALU_DEP_1)
	v_add_co_ci_u32_e64 v15, s4, 0, v2, s4
	global_load_u16 v14, v[14:15], off
.LBB22_10:                              ;   in Loop: Header=BB22_4 Depth=1
	s_or_b32 exec_lo, exec_lo, s5
	v_add_co_u32 v15, s4, v7, s14
	s_delay_alu instid0(VALU_DEP_1) | instskip(NEXT) | instid1(VALU_DEP_1)
	v_add_co_ci_u32_e64 v16, s4, s15, v8, s4
	v_cmp_gt_u64_e64 s4, s[12:13], v[15:16]
	s_delay_alu instid0(VALU_DEP_1)
	s_and_saveexec_b32 s19, s4
	s_cbranch_execnz .LBB22_15
; %bb.11:                               ;   in Loop: Header=BB22_4 Depth=1
	s_or_b32 exec_lo, exec_lo, s19
	s_and_saveexec_b32 s5, vcc_lo
	s_cbranch_execnz .LBB22_16
.LBB22_12:                              ;   in Loop: Header=BB22_4 Depth=1
	s_or_b32 exec_lo, exec_lo, s5
	s_and_saveexec_b32 s5, s2
	s_cbranch_execnz .LBB22_17
.LBB22_13:                              ;   in Loop: Header=BB22_4 Depth=1
	s_or_b32 exec_lo, exec_lo, s5
	s_and_saveexec_b32 s2, s3
	s_cbranch_execnz .LBB22_18
.LBB22_14:                              ;   in Loop: Header=BB22_4 Depth=1
	s_or_b32 exec_lo, exec_lo, s2
	s_and_saveexec_b32 s2, s4
	s_cbranch_execz .LBB22_3
	s_branch .LBB22_19
.LBB22_15:                              ;   in Loop: Header=BB22_4 Depth=1
	v_add_co_u32 v15, s5, v1, s18
	s_delay_alu instid0(VALU_DEP_1)
	v_add_co_ci_u32_e64 v16, s5, 0, v2, s5
	global_load_u16 v12, v[15:16], off
	s_or_b32 exec_lo, exec_lo, s19
	s_and_saveexec_b32 s5, vcc_lo
	s_cbranch_execz .LBB22_12
.LBB22_16:                              ;   in Loop: Header=BB22_4 Depth=1
	s_waitcnt vmcnt(0)
	v_trunc_f16_e32 v11, v11
	global_store_b16 v[1:2], v11, off
	s_or_b32 exec_lo, exec_lo, s5
	s_and_saveexec_b32 s5, s2
	s_cbranch_execz .LBB22_13
.LBB22_17:                              ;   in Loop: Header=BB22_4 Depth=1
	s_waitcnt vmcnt(0)
	v_trunc_f16_e32 v11, v13
	global_store_b16 v[3:4], v11, off
	s_or_b32 exec_lo, exec_lo, s5
	s_and_saveexec_b32 s2, s3
	s_cbranch_execz .LBB22_14
.LBB22_18:                              ;   in Loop: Header=BB22_4 Depth=1
	s_waitcnt vmcnt(0)
	v_add_co_u32 v13, vcc_lo, v1, s16
	v_trunc_f16_e32 v11, v14
	v_add_co_ci_u32_e32 v14, vcc_lo, 0, v2, vcc_lo
	global_store_b16 v[13:14], v11, off
	s_or_b32 exec_lo, exec_lo, s2
	s_and_saveexec_b32 s2, s4
	s_cbranch_execz .LBB22_3
.LBB22_19:                              ;   in Loop: Header=BB22_4 Depth=1
	s_waitcnt vmcnt(0)
	v_add_co_u32 v11, vcc_lo, v1, s18
	v_trunc_f16_e32 v13, v12
	v_add_co_ci_u32_e32 v12, vcc_lo, 0, v2, vcc_lo
	global_store_b16 v[11:12], v13, off
	s_branch .LBB22_3
.LBB22_20:
	s_cbranch_execz .LBB22_22
	s_branch .LBB22_25
.LBB22_21:
.LBB22_22:
	v_dual_mov_b32 v2, 0 :: v_dual_lshlrev_b32 v1, 2, v0
	s_mov_b32 s2, 0
	s_mov_b32 s3, exec_lo
	s_delay_alu instid0(VALU_DEP_1)
	v_cmpx_gt_i64_e64 s[6:7], v[1:2]
	s_cbranch_execz .LBB22_25
; %bb.23:
	s_load_b32 s0, s[0:1], 0xd3c
	v_lshlrev_b32_e32 v1, 3, v0
	s_waitcnt lgkmcnt(0)
	s_and_b32 s0, s0, 0xffff
	s_delay_alu instid0(SALU_CYCLE_1) | instskip(SKIP_3) | instid1(VALU_DEP_1)
	s_lshl_b32 s3, s0, 2
	s_add_u32 s1, s8, s10
	s_addc_u32 s4, s9, s11
	v_add_co_u32 v3, s1, s1, v1
	v_add_co_ci_u32_e64 v4, null, s4, 0, s1
	v_add_lshl_u32 v1, v0, s0, 2
	s_delay_alu instid0(VALU_DEP_3) | instskip(NEXT) | instid1(VALU_DEP_3)
	v_add_co_u32 v3, vcc_lo, v3, 4
	v_add_co_ci_u32_e32 v4, vcc_lo, 0, v4, vcc_lo
	s_lshl_b32 s4, s0, 3
	.p2align	6
.LBB22_24:                              ; =>This Inner Loop Header: Depth=1
	global_load_b64 v[5:6], v[3:4], off offset:-4
	v_cmp_le_i64_e32 vcc_lo, s[6:7], v[1:2]
	v_cmp_lt_u64_e64 s0, 0xffff, v[1:2]
	v_add_co_u32 v1, s1, v1, s3
	s_delay_alu instid0(VALU_DEP_1) | instskip(NEXT) | instid1(VALU_DEP_3)
	v_add_co_ci_u32_e64 v2, s1, 0, v2, s1
	s_or_b32 s0, vcc_lo, s0
	s_delay_alu instid0(SALU_CYCLE_1) | instskip(NEXT) | instid1(SALU_CYCLE_1)
	s_and_b32 s0, exec_lo, s0
	s_or_b32 s2, s0, s2
	s_waitcnt vmcnt(0)
	v_lshrrev_b32_e32 v0, 16, v6
	v_lshrrev_b32_e32 v7, 16, v5
	v_trunc_f16_e32 v5, v5
	v_trunc_f16_e32 v6, v6
	s_delay_alu instid0(VALU_DEP_4) | instskip(NEXT) | instid1(VALU_DEP_4)
	v_trunc_f16_e32 v0, v0
	v_trunc_f16_e32 v7, v7
	s_delay_alu instid0(VALU_DEP_2) | instskip(NEXT) | instid1(VALU_DEP_2)
	v_pack_b32_f16 v6, v6, v0
	v_pack_b32_f16 v5, v5, v7
	global_store_b64 v[3:4], v[5:6], off offset:-4
	v_add_co_u32 v3, vcc_lo, v3, s4
	v_add_co_ci_u32_e32 v4, vcc_lo, 0, v4, vcc_lo
	s_and_not1_b32 exec_lo, exec_lo, s2
	s_cbranch_execnz .LBB22_24
.LBB22_25:
	s_nop 0
	s_sendmsg sendmsg(MSG_DEALLOC_VGPRS)
	s_endpgm
	.section	.rodata,"a",@progbits
	.p2align	6, 0x0
	.amdhsa_kernel _ZN2at6native12_GLOBAL__N_125multi_tensor_apply_kernelINS1_18TensorListMetadataILi1EEENS1_14UnaryOpFunctorIN3c104HalfELi1ELi1ELi0EEEJNS0_6TruncfIfEEEEEvT_T0_DpT1_
		.amdhsa_group_segment_fixed_size 0
		.amdhsa_private_segment_fixed_size 0
		.amdhsa_kernarg_size 3632
		.amdhsa_user_sgpr_count 15
		.amdhsa_user_sgpr_dispatch_ptr 0
		.amdhsa_user_sgpr_queue_ptr 0
		.amdhsa_user_sgpr_kernarg_segment_ptr 1
		.amdhsa_user_sgpr_dispatch_id 0
		.amdhsa_user_sgpr_private_segment_size 0
		.amdhsa_wavefront_size32 1
		.amdhsa_uses_dynamic_stack 0
		.amdhsa_enable_private_segment 0
		.amdhsa_system_sgpr_workgroup_id_x 1
		.amdhsa_system_sgpr_workgroup_id_y 0
		.amdhsa_system_sgpr_workgroup_id_z 0
		.amdhsa_system_sgpr_workgroup_info 0
		.amdhsa_system_vgpr_workitem_id 0
		.amdhsa_next_free_vgpr 17
		.amdhsa_next_free_sgpr 20
		.amdhsa_reserve_vcc 1
		.amdhsa_float_round_mode_32 0
		.amdhsa_float_round_mode_16_64 0
		.amdhsa_float_denorm_mode_32 3
		.amdhsa_float_denorm_mode_16_64 3
		.amdhsa_dx10_clamp 1
		.amdhsa_ieee_mode 1
		.amdhsa_fp16_overflow 0
		.amdhsa_workgroup_processor_mode 1
		.amdhsa_memory_ordered 1
		.amdhsa_forward_progress 0
		.amdhsa_shared_vgpr_count 0
		.amdhsa_exception_fp_ieee_invalid_op 0
		.amdhsa_exception_fp_denorm_src 0
		.amdhsa_exception_fp_ieee_div_zero 0
		.amdhsa_exception_fp_ieee_overflow 0
		.amdhsa_exception_fp_ieee_underflow 0
		.amdhsa_exception_fp_ieee_inexact 0
		.amdhsa_exception_int_div_zero 0
	.end_amdhsa_kernel
	.section	.text._ZN2at6native12_GLOBAL__N_125multi_tensor_apply_kernelINS1_18TensorListMetadataILi1EEENS1_14UnaryOpFunctorIN3c104HalfELi1ELi1ELi0EEEJNS0_6TruncfIfEEEEEvT_T0_DpT1_,"axG",@progbits,_ZN2at6native12_GLOBAL__N_125multi_tensor_apply_kernelINS1_18TensorListMetadataILi1EEENS1_14UnaryOpFunctorIN3c104HalfELi1ELi1ELi0EEEJNS0_6TruncfIfEEEEEvT_T0_DpT1_,comdat
.Lfunc_end22:
	.size	_ZN2at6native12_GLOBAL__N_125multi_tensor_apply_kernelINS1_18TensorListMetadataILi1EEENS1_14UnaryOpFunctorIN3c104HalfELi1ELi1ELi0EEEJNS0_6TruncfIfEEEEEvT_T0_DpT1_, .Lfunc_end22-_ZN2at6native12_GLOBAL__N_125multi_tensor_apply_kernelINS1_18TensorListMetadataILi1EEENS1_14UnaryOpFunctorIN3c104HalfELi1ELi1ELi0EEEJNS0_6TruncfIfEEEEEvT_T0_DpT1_
                                        ; -- End function
	.section	.AMDGPU.csdata,"",@progbits
; Kernel info:
; codeLenInByte = 1132
; NumSgprs: 22
; NumVgprs: 17
; ScratchSize: 0
; MemoryBound: 0
; FloatMode: 240
; IeeeMode: 1
; LDSByteSize: 0 bytes/workgroup (compile time only)
; SGPRBlocks: 2
; VGPRBlocks: 2
; NumSGPRsForWavesPerEU: 22
; NumVGPRsForWavesPerEU: 17
; Occupancy: 16
; WaveLimiterHint : 0
; COMPUTE_PGM_RSRC2:SCRATCH_EN: 0
; COMPUTE_PGM_RSRC2:USER_SGPR: 15
; COMPUTE_PGM_RSRC2:TRAP_HANDLER: 0
; COMPUTE_PGM_RSRC2:TGID_X_EN: 1
; COMPUTE_PGM_RSRC2:TGID_Y_EN: 0
; COMPUTE_PGM_RSRC2:TGID_Z_EN: 0
; COMPUTE_PGM_RSRC2:TIDIG_COMP_CNT: 0
	.section	.text._ZN2at6native12_GLOBAL__N_125multi_tensor_apply_kernelINS1_18TensorListMetadataILi1EEENS1_14UnaryOpFunctorIN3c108BFloat16ELi1ELi1ELi0EEEJNS0_6TruncfIfEEEEEvT_T0_DpT1_,"axG",@progbits,_ZN2at6native12_GLOBAL__N_125multi_tensor_apply_kernelINS1_18TensorListMetadataILi1EEENS1_14UnaryOpFunctorIN3c108BFloat16ELi1ELi1ELi0EEEJNS0_6TruncfIfEEEEEvT_T0_DpT1_,comdat
	.globl	_ZN2at6native12_GLOBAL__N_125multi_tensor_apply_kernelINS1_18TensorListMetadataILi1EEENS1_14UnaryOpFunctorIN3c108BFloat16ELi1ELi1ELi0EEEJNS0_6TruncfIfEEEEEvT_T0_DpT1_ ; -- Begin function _ZN2at6native12_GLOBAL__N_125multi_tensor_apply_kernelINS1_18TensorListMetadataILi1EEENS1_14UnaryOpFunctorIN3c108BFloat16ELi1ELi1ELi0EEEJNS0_6TruncfIfEEEEEvT_T0_DpT1_
	.p2align	8
	.type	_ZN2at6native12_GLOBAL__N_125multi_tensor_apply_kernelINS1_18TensorListMetadataILi1EEENS1_14UnaryOpFunctorIN3c108BFloat16ELi1ELi1ELi0EEEJNS0_6TruncfIfEEEEEvT_T0_DpT1_,@function
_ZN2at6native12_GLOBAL__N_125multi_tensor_apply_kernelINS1_18TensorListMetadataILi1EEENS1_14UnaryOpFunctorIN3c108BFloat16ELi1ELi1ELi0EEEJNS0_6TruncfIfEEEEEvT_T0_DpT1_: ; @_ZN2at6native12_GLOBAL__N_125multi_tensor_apply_kernelINS1_18TensorListMetadataILi1EEENS1_14UnaryOpFunctorIN3c108BFloat16ELi1ELi1ELi0EEEJNS0_6TruncfIfEEEEEvT_T0_DpT1_
; %bb.0:
	v_mov_b32_e32 v1, s15
	s_add_u32 s2, s0, s15
	s_mul_hi_u32 s3, s15, 3
	s_mul_i32 s15, s15, 3
	s_addc_u32 s4, s1, 0
	global_load_u8 v1, v1, s[0:1] offset:1760
	s_add_u32 s2, s2, s15
	s_addc_u32 s3, s4, s3
	s_mov_b32 s13, 0
	s_load_b32 s2, s[2:3], 0x820
	s_waitcnt vmcnt(0)
	v_readfirstlane_b32 s5, v1
	s_delay_alu instid0(VALU_DEP_1)
	s_lshl_b32 s3, s5, 3
	s_clause 0x1
	s_load_b64 s[8:9], s[0:1], s3 offset:0x0
	s_load_b64 s[4:5], s[0:1], s3 offset:0x370
	s_waitcnt lgkmcnt(0)
	s_ashr_i32 s3, s2, 31
	s_delay_alu instid0(SALU_CYCLE_1)
	s_lshl_b64 s[10:11], s[2:3], 17
	s_lshl_b64 s[2:3], s[2:3], 16
	s_and_b32 s12, s8, 7
	s_sub_u32 s6, s4, s2
	s_subb_u32 s7, s5, s3
	s_and_b32 s2, s4, 3
	s_mov_b32 s3, s13
	s_delay_alu instid0(SALU_CYCLE_1) | instskip(NEXT) | instid1(SALU_CYCLE_1)
	s_or_b64 s[2:3], s[12:13], s[2:3]
	s_cmp_eq_u64 s[2:3], 0
	s_cbranch_scc1 .LBB23_21
; %bb.1:
	v_cmp_lt_i64_e64 s2, s[6:7], 1
	s_delay_alu instid0(VALU_DEP_1)
	s_and_b32 vcc_lo, exec_lo, s2
	s_cbranch_vccnz .LBB23_20
; %bb.2:
	s_load_b32 s2, s[0:1], 0xd3c
	v_cmp_gt_u64_e64 s3, 0x10000, s[6:7]
	v_lshlrev_b32_e32 v1, 1, v0
	s_waitcnt lgkmcnt(0)
	s_and_b32 s2, s2, 0xffff
	s_delay_alu instid0(VALU_DEP_2)
	s_and_b32 s3, s3, exec_lo
	v_add_co_u32 v5, s5, v0, s2
	s_cselect_b32 s13, s7, 0
	s_cselect_b32 s12, s6, 0x10000
	s_lshl_b32 s3, s2, 1
	s_lshl_b32 s16, s2, 2
	v_lshlrev_b32_e32 v3, 1, v5
	v_add_co_ci_u32_e64 v6, null, 0, 0, s5
	s_add_u32 s5, s8, s10
	v_add_co_u32 v9, s3, s3, v0
	s_mul_i32 s4, s2, 3
	s_addc_u32 s14, s9, s11
	v_add_co_ci_u32_e64 v10, null, 0, 0, s3
	v_add_co_u32 v1, s3, s5, v1
	v_add_co_u32 v7, s4, s4, v0
	v_add_co_ci_u32_e64 v2, null, s14, 0, s3
	v_add_co_u32 v3, s3, s5, v3
	v_add_co_ci_u32_e64 v8, null, 0, 0, s4
	v_add_co_ci_u32_e64 v4, null, s14, 0, s3
	s_lshl_b32 s17, s2, 3
	s_mul_i32 s18, s2, 6
	s_mov_b64 s[14:15], 0
	s_branch .LBB23_4
.LBB23_3:                               ;   in Loop: Header=BB23_4 Depth=1
	s_or_b32 exec_lo, exec_lo, s2
	s_add_u32 s14, s14, s16
	s_addc_u32 s15, s15, 0
	v_add_co_u32 v1, vcc_lo, v1, s17
	v_cmp_lt_i64_e64 s2, s[14:15], s[6:7]
	v_cmp_gt_u64_e64 s3, 0x10000, s[14:15]
	v_add_co_ci_u32_e32 v2, vcc_lo, 0, v2, vcc_lo
	v_add_co_u32 v3, vcc_lo, v3, s17
	v_add_co_ci_u32_e32 v4, vcc_lo, 0, v4, vcc_lo
	s_delay_alu instid0(VALU_DEP_4) | instskip(NEXT) | instid1(SALU_CYCLE_1)
	s_and_b32 s2, s2, s3
	s_and_b32 vcc_lo, exec_lo, s2
	s_cbranch_vccz .LBB23_20
.LBB23_4:                               ; =>This Inner Loop Header: Depth=1
	s_waitcnt vmcnt(0)
	v_add_co_u32 v11, s2, v0, s14
	s_delay_alu instid0(VALU_DEP_1) | instskip(NEXT) | instid1(VALU_DEP_1)
	v_add_co_ci_u32_e64 v12, null, 0, s15, s2
	v_cmp_gt_u64_e32 vcc_lo, s[12:13], v[11:12]
	v_mov_b32_e32 v12, 0
	s_and_saveexec_b32 s2, vcc_lo
	s_cbranch_execz .LBB23_6
; %bb.5:                                ;   in Loop: Header=BB23_4 Depth=1
	global_load_u16 v12, v[1:2], off
.LBB23_6:                               ;   in Loop: Header=BB23_4 Depth=1
	s_or_b32 exec_lo, exec_lo, s2
	v_add_co_u32 v13, s2, v5, s14
	s_delay_alu instid0(VALU_DEP_1) | instskip(NEXT) | instid1(VALU_DEP_1)
	v_add_co_ci_u32_e64 v14, s2, s15, v6, s2
	v_cmp_gt_u64_e64 s2, s[12:13], v[13:14]
	v_mov_b32_e32 v13, 0
	s_delay_alu instid0(VALU_DEP_2)
	s_and_saveexec_b32 s3, s2
	s_cbranch_execz .LBB23_8
; %bb.7:                                ;   in Loop: Header=BB23_4 Depth=1
	global_load_u16 v13, v[3:4], off
.LBB23_8:                               ;   in Loop: Header=BB23_4 Depth=1
	s_or_b32 exec_lo, exec_lo, s3
	v_add_co_u32 v14, s3, v9, s14
	s_delay_alu instid0(VALU_DEP_1) | instskip(SKIP_1) | instid1(VALU_DEP_2)
	v_add_co_ci_u32_e64 v15, s3, s15, v10, s3
	v_mov_b32_e32 v11, 0
	v_cmp_gt_u64_e64 s3, s[12:13], v[14:15]
	v_mov_b32_e32 v14, 0
	s_delay_alu instid0(VALU_DEP_2)
	s_and_saveexec_b32 s5, s3
	s_cbranch_execz .LBB23_10
; %bb.9:                                ;   in Loop: Header=BB23_4 Depth=1
	v_add_co_u32 v14, s4, v1, s16
	s_delay_alu instid0(VALU_DEP_1)
	v_add_co_ci_u32_e64 v15, s4, 0, v2, s4
	global_load_u16 v14, v[14:15], off
.LBB23_10:                              ;   in Loop: Header=BB23_4 Depth=1
	s_or_b32 exec_lo, exec_lo, s5
	v_add_co_u32 v15, s4, v7, s14
	s_delay_alu instid0(VALU_DEP_1) | instskip(NEXT) | instid1(VALU_DEP_1)
	v_add_co_ci_u32_e64 v16, s4, s15, v8, s4
	v_cmp_gt_u64_e64 s4, s[12:13], v[15:16]
	s_delay_alu instid0(VALU_DEP_1)
	s_and_saveexec_b32 s19, s4
	s_cbranch_execnz .LBB23_15
; %bb.11:                               ;   in Loop: Header=BB23_4 Depth=1
	s_or_b32 exec_lo, exec_lo, s19
	s_and_saveexec_b32 s5, vcc_lo
	s_cbranch_execnz .LBB23_16
.LBB23_12:                              ;   in Loop: Header=BB23_4 Depth=1
	s_or_b32 exec_lo, exec_lo, s5
	s_and_saveexec_b32 s5, s2
	s_cbranch_execnz .LBB23_17
.LBB23_13:                              ;   in Loop: Header=BB23_4 Depth=1
	s_or_b32 exec_lo, exec_lo, s5
	s_and_saveexec_b32 s2, s3
	s_cbranch_execnz .LBB23_18
.LBB23_14:                              ;   in Loop: Header=BB23_4 Depth=1
	s_or_b32 exec_lo, exec_lo, s2
	s_and_saveexec_b32 s2, s4
	s_cbranch_execz .LBB23_3
	s_branch .LBB23_19
.LBB23_15:                              ;   in Loop: Header=BB23_4 Depth=1
	v_add_co_u32 v15, s5, v1, s18
	s_delay_alu instid0(VALU_DEP_1)
	v_add_co_ci_u32_e64 v16, s5, 0, v2, s5
	global_load_u16 v11, v[15:16], off
	s_or_b32 exec_lo, exec_lo, s19
	s_and_saveexec_b32 s5, vcc_lo
	s_cbranch_execz .LBB23_12
.LBB23_16:                              ;   in Loop: Header=BB23_4 Depth=1
	s_waitcnt vmcnt(0)
	v_lshlrev_b32_e32 v12, 16, v12
	s_delay_alu instid0(VALU_DEP_1) | instskip(NEXT) | instid1(VALU_DEP_1)
	v_trunc_f32_e32 v12, v12
	v_bfe_u32 v15, v12, 16, 1
	v_cmp_o_f32_e32 vcc_lo, v12, v12
	s_delay_alu instid0(VALU_DEP_2) | instskip(NEXT) | instid1(VALU_DEP_1)
	v_add3_u32 v15, v12, v15, 0x7fff
	v_lshrrev_b32_e32 v15, 16, v15
	s_delay_alu instid0(VALU_DEP_1)
	v_cndmask_b32_e32 v12, 0x7fc0, v15, vcc_lo
	global_store_b16 v[1:2], v12, off
	s_or_b32 exec_lo, exec_lo, s5
	s_and_saveexec_b32 s5, s2
	s_cbranch_execz .LBB23_13
.LBB23_17:                              ;   in Loop: Header=BB23_4 Depth=1
	s_waitcnt vmcnt(0)
	v_lshlrev_b32_e32 v12, 16, v13
	s_delay_alu instid0(VALU_DEP_1) | instskip(NEXT) | instid1(VALU_DEP_1)
	v_trunc_f32_e32 v12, v12
	v_bfe_u32 v13, v12, 16, 1
	v_cmp_o_f32_e32 vcc_lo, v12, v12
	s_delay_alu instid0(VALU_DEP_2) | instskip(NEXT) | instid1(VALU_DEP_1)
	v_add3_u32 v13, v12, v13, 0x7fff
	v_lshrrev_b32_e32 v13, 16, v13
	s_delay_alu instid0(VALU_DEP_1)
	v_cndmask_b32_e32 v12, 0x7fc0, v13, vcc_lo
	global_store_b16 v[3:4], v12, off
	s_or_b32 exec_lo, exec_lo, s5
	s_and_saveexec_b32 s2, s3
	s_cbranch_execz .LBB23_14
.LBB23_18:                              ;   in Loop: Header=BB23_4 Depth=1
	s_waitcnt vmcnt(0)
	v_lshlrev_b32_e32 v12, 16, v14
	s_delay_alu instid0(VALU_DEP_1) | instskip(NEXT) | instid1(VALU_DEP_1)
	v_trunc_f32_e32 v12, v12
	v_bfe_u32 v13, v12, 16, 1
	v_cmp_o_f32_e32 vcc_lo, v12, v12
	s_delay_alu instid0(VALU_DEP_2) | instskip(NEXT) | instid1(VALU_DEP_1)
	v_add3_u32 v13, v12, v13, 0x7fff
	v_lshrrev_b32_e32 v13, 16, v13
	s_delay_alu instid0(VALU_DEP_1)
	v_cndmask_b32_e32 v14, 0x7fc0, v13, vcc_lo
	v_add_co_u32 v12, vcc_lo, v1, s16
	v_add_co_ci_u32_e32 v13, vcc_lo, 0, v2, vcc_lo
	global_store_b16 v[12:13], v14, off
	s_or_b32 exec_lo, exec_lo, s2
	s_and_saveexec_b32 s2, s4
	s_cbranch_execz .LBB23_3
.LBB23_19:                              ;   in Loop: Header=BB23_4 Depth=1
	s_waitcnt vmcnt(0)
	v_lshlrev_b32_e32 v11, 16, v11
	s_delay_alu instid0(VALU_DEP_1) | instskip(NEXT) | instid1(VALU_DEP_1)
	v_trunc_f32_e32 v11, v11
	v_bfe_u32 v12, v11, 16, 1
	v_cmp_o_f32_e32 vcc_lo, v11, v11
	s_delay_alu instid0(VALU_DEP_2) | instskip(NEXT) | instid1(VALU_DEP_1)
	v_add3_u32 v12, v11, v12, 0x7fff
	v_lshrrev_b32_e32 v12, 16, v12
	s_delay_alu instid0(VALU_DEP_1)
	v_cndmask_b32_e32 v13, 0x7fc0, v12, vcc_lo
	v_add_co_u32 v11, vcc_lo, v1, s18
	v_add_co_ci_u32_e32 v12, vcc_lo, 0, v2, vcc_lo
	global_store_b16 v[11:12], v13, off
	s_branch .LBB23_3
.LBB23_20:
	s_cbranch_execz .LBB23_22
	s_branch .LBB23_25
.LBB23_21:
.LBB23_22:
	v_dual_mov_b32 v2, 0 :: v_dual_lshlrev_b32 v1, 2, v0
	s_mov_b32 s2, 0
	s_mov_b32 s3, exec_lo
	s_delay_alu instid0(VALU_DEP_1)
	v_cmpx_gt_i64_e64 s[6:7], v[1:2]
	s_cbranch_execz .LBB23_25
; %bb.23:
	s_load_b32 s0, s[0:1], 0xd3c
	v_lshlrev_b32_e32 v1, 3, v0
	s_waitcnt lgkmcnt(0)
	s_and_b32 s0, s0, 0xffff
	s_add_u32 s1, s8, s10
	s_addc_u32 s3, s9, s11
	v_add_co_u32 v3, s1, s1, v1
	s_delay_alu instid0(VALU_DEP_1)
	v_add_co_ci_u32_e64 v4, null, s3, 0, s1
	v_add_lshl_u32 v1, v0, s0, 2
	s_lshl_b32 s3, s0, 3
	s_lshl_b32 s4, s0, 2
.LBB23_24:                              ; =>This Inner Loop Header: Depth=1
	global_load_b64 v[5:6], v[3:4], off
	v_cmp_lt_u64_e64 s0, 0xffff, v[1:2]
	s_waitcnt vmcnt(0)
	v_alignbit_b32 v0, v6, v5, 16
	v_and_b32_e32 v6, 0xffff0000, v6
	v_and_b32_e32 v7, 0xffff0000, v5
	s_delay_alu instid0(VALU_DEP_3) | instskip(NEXT) | instid1(VALU_DEP_3)
	v_and_b32_e32 v0, 0xffff0000, v0
	v_trunc_f32_e32 v6, v6
	s_delay_alu instid0(VALU_DEP_3) | instskip(NEXT) | instid1(VALU_DEP_3)
	v_trunc_f32_e32 v7, v7
	v_trunc_f32_e32 v0, v0
	s_delay_alu instid0(VALU_DEP_3) | instskip(NEXT) | instid1(VALU_DEP_3)
	v_bfe_u32 v10, v6, 16, 1
	v_bfe_u32 v8, v7, 16, 1
	v_cmp_o_f32_e32 vcc_lo, v7, v7
	s_delay_alu instid0(VALU_DEP_4) | instskip(NEXT) | instid1(VALU_DEP_4)
	v_bfe_u32 v11, v0, 16, 1
	v_add3_u32 v10, v6, v10, 0x7fff
	s_delay_alu instid0(VALU_DEP_4) | instskip(NEXT) | instid1(VALU_DEP_3)
	v_add3_u32 v8, v7, v8, 0x7fff
	v_add3_u32 v11, v0, v11, 0x7fff
	s_delay_alu instid0(VALU_DEP_3) | instskip(SKIP_1) | instid1(VALU_DEP_4)
	v_and_b32_e32 v10, 0xffff0000, v10
	v_lshlrev_b32_e32 v5, 16, v5
	v_and_b32_e32 v8, 0xffff0000, v8
	s_delay_alu instid0(VALU_DEP_4) | instskip(NEXT) | instid1(VALU_DEP_3)
	v_lshrrev_b32_e32 v11, 16, v11
	v_trunc_f32_e32 v5, v5
	s_delay_alu instid0(VALU_DEP_3) | instskip(NEXT) | instid1(VALU_DEP_2)
	v_cndmask_b32_e32 v7, 0x7fc00000, v8, vcc_lo
	v_bfe_u32 v9, v5, 16, 1
	v_cmp_o_f32_e32 vcc_lo, v5, v5
	s_delay_alu instid0(VALU_DEP_2) | instskip(NEXT) | instid1(VALU_DEP_1)
	v_add3_u32 v9, v5, v9, 0x7fff
	v_lshrrev_b32_e32 v9, 16, v9
	s_delay_alu instid0(VALU_DEP_1) | instskip(SKIP_1) | instid1(VALU_DEP_2)
	v_cndmask_b32_e32 v5, 0x7fc0, v9, vcc_lo
	v_cmp_o_f32_e32 vcc_lo, v6, v6
	v_or_b32_e32 v5, v5, v7
	v_cndmask_b32_e32 v6, 0x7fc00000, v10, vcc_lo
	v_cmp_o_f32_e32 vcc_lo, v0, v0
	s_delay_alu instid0(VALU_DEP_3) | instskip(SKIP_3) | instid1(VALU_DEP_1)
	v_or3_b32 v5, v5, 0, 0
	v_cndmask_b32_e32 v0, 0x7fc0, v11, vcc_lo
	v_cmp_le_i64_e32 vcc_lo, s[6:7], v[1:2]
	v_add_co_u32 v1, s1, v1, s4
	v_add_co_ci_u32_e64 v2, s1, 0, v2, s1
	s_delay_alu instid0(VALU_DEP_4) | instskip(SKIP_1) | instid1(SALU_CYCLE_1)
	v_or3_b32 v6, 0, v0, v6
	s_or_b32 s0, vcc_lo, s0
	s_and_b32 s0, exec_lo, s0
	global_store_b64 v[3:4], v[5:6], off
	v_add_co_u32 v3, vcc_lo, v3, s3
	v_add_co_ci_u32_e32 v4, vcc_lo, 0, v4, vcc_lo
	s_or_b32 s2, s0, s2
	s_delay_alu instid0(SALU_CYCLE_1)
	s_and_not1_b32 exec_lo, exec_lo, s2
	s_cbranch_execnz .LBB23_24
.LBB23_25:
	s_nop 0
	s_sendmsg sendmsg(MSG_DEALLOC_VGPRS)
	s_endpgm
	.section	.rodata,"a",@progbits
	.p2align	6, 0x0
	.amdhsa_kernel _ZN2at6native12_GLOBAL__N_125multi_tensor_apply_kernelINS1_18TensorListMetadataILi1EEENS1_14UnaryOpFunctorIN3c108BFloat16ELi1ELi1ELi0EEEJNS0_6TruncfIfEEEEEvT_T0_DpT1_
		.amdhsa_group_segment_fixed_size 0
		.amdhsa_private_segment_fixed_size 0
		.amdhsa_kernarg_size 3632
		.amdhsa_user_sgpr_count 15
		.amdhsa_user_sgpr_dispatch_ptr 0
		.amdhsa_user_sgpr_queue_ptr 0
		.amdhsa_user_sgpr_kernarg_segment_ptr 1
		.amdhsa_user_sgpr_dispatch_id 0
		.amdhsa_user_sgpr_private_segment_size 0
		.amdhsa_wavefront_size32 1
		.amdhsa_uses_dynamic_stack 0
		.amdhsa_enable_private_segment 0
		.amdhsa_system_sgpr_workgroup_id_x 1
		.amdhsa_system_sgpr_workgroup_id_y 0
		.amdhsa_system_sgpr_workgroup_id_z 0
		.amdhsa_system_sgpr_workgroup_info 0
		.amdhsa_system_vgpr_workitem_id 0
		.amdhsa_next_free_vgpr 17
		.amdhsa_next_free_sgpr 20
		.amdhsa_reserve_vcc 1
		.amdhsa_float_round_mode_32 0
		.amdhsa_float_round_mode_16_64 0
		.amdhsa_float_denorm_mode_32 3
		.amdhsa_float_denorm_mode_16_64 3
		.amdhsa_dx10_clamp 1
		.amdhsa_ieee_mode 1
		.amdhsa_fp16_overflow 0
		.amdhsa_workgroup_processor_mode 1
		.amdhsa_memory_ordered 1
		.amdhsa_forward_progress 0
		.amdhsa_shared_vgpr_count 0
		.amdhsa_exception_fp_ieee_invalid_op 0
		.amdhsa_exception_fp_denorm_src 0
		.amdhsa_exception_fp_ieee_div_zero 0
		.amdhsa_exception_fp_ieee_overflow 0
		.amdhsa_exception_fp_ieee_underflow 0
		.amdhsa_exception_fp_ieee_inexact 0
		.amdhsa_exception_int_div_zero 0
	.end_amdhsa_kernel
	.section	.text._ZN2at6native12_GLOBAL__N_125multi_tensor_apply_kernelINS1_18TensorListMetadataILi1EEENS1_14UnaryOpFunctorIN3c108BFloat16ELi1ELi1ELi0EEEJNS0_6TruncfIfEEEEEvT_T0_DpT1_,"axG",@progbits,_ZN2at6native12_GLOBAL__N_125multi_tensor_apply_kernelINS1_18TensorListMetadataILi1EEENS1_14UnaryOpFunctorIN3c108BFloat16ELi1ELi1ELi0EEEJNS0_6TruncfIfEEEEEvT_T0_DpT1_,comdat
.Lfunc_end23:
	.size	_ZN2at6native12_GLOBAL__N_125multi_tensor_apply_kernelINS1_18TensorListMetadataILi1EEENS1_14UnaryOpFunctorIN3c108BFloat16ELi1ELi1ELi0EEEJNS0_6TruncfIfEEEEEvT_T0_DpT1_, .Lfunc_end23-_ZN2at6native12_GLOBAL__N_125multi_tensor_apply_kernelINS1_18TensorListMetadataILi1EEENS1_14UnaryOpFunctorIN3c108BFloat16ELi1ELi1ELi0EEEJNS0_6TruncfIfEEEEEvT_T0_DpT1_
                                        ; -- End function
	.section	.AMDGPU.csdata,"",@progbits
; Kernel info:
; codeLenInByte = 1544
; NumSgprs: 22
; NumVgprs: 17
; ScratchSize: 0
; MemoryBound: 0
; FloatMode: 240
; IeeeMode: 1
; LDSByteSize: 0 bytes/workgroup (compile time only)
; SGPRBlocks: 2
; VGPRBlocks: 2
; NumSGPRsForWavesPerEU: 22
; NumVGPRsForWavesPerEU: 17
; Occupancy: 16
; WaveLimiterHint : 0
; COMPUTE_PGM_RSRC2:SCRATCH_EN: 0
; COMPUTE_PGM_RSRC2:USER_SGPR: 15
; COMPUTE_PGM_RSRC2:TRAP_HANDLER: 0
; COMPUTE_PGM_RSRC2:TGID_X_EN: 1
; COMPUTE_PGM_RSRC2:TGID_Y_EN: 0
; COMPUTE_PGM_RSRC2:TGID_Z_EN: 0
; COMPUTE_PGM_RSRC2:TIDIG_COMP_CNT: 0
	.section	.text._ZN2at6native12_GLOBAL__N_125multi_tensor_apply_kernelINS1_18TensorListMetadataILi2EEENS1_14UnaryOpFunctorIdLi2ELi1ELi1EEEJNS0_5FloorIdEEEEEvT_T0_DpT1_,"axG",@progbits,_ZN2at6native12_GLOBAL__N_125multi_tensor_apply_kernelINS1_18TensorListMetadataILi2EEENS1_14UnaryOpFunctorIdLi2ELi1ELi1EEEJNS0_5FloorIdEEEEEvT_T0_DpT1_,comdat
	.globl	_ZN2at6native12_GLOBAL__N_125multi_tensor_apply_kernelINS1_18TensorListMetadataILi2EEENS1_14UnaryOpFunctorIdLi2ELi1ELi1EEEJNS0_5FloorIdEEEEEvT_T0_DpT1_ ; -- Begin function _ZN2at6native12_GLOBAL__N_125multi_tensor_apply_kernelINS1_18TensorListMetadataILi2EEENS1_14UnaryOpFunctorIdLi2ELi1ELi1EEEJNS0_5FloorIdEEEEEvT_T0_DpT1_
	.p2align	8
	.type	_ZN2at6native12_GLOBAL__N_125multi_tensor_apply_kernelINS1_18TensorListMetadataILi2EEENS1_14UnaryOpFunctorIdLi2ELi1ELi1EEEJNS0_5FloorIdEEEEEvT_T0_DpT1_,@function
_ZN2at6native12_GLOBAL__N_125multi_tensor_apply_kernelINS1_18TensorListMetadataILi2EEENS1_14UnaryOpFunctorIdLi2ELi1ELi1EEEJNS0_5FloorIdEEEEEvT_T0_DpT1_: ; @_ZN2at6native12_GLOBAL__N_125multi_tensor_apply_kernelINS1_18TensorListMetadataILi2EEENS1_14UnaryOpFunctorIdLi2ELi1ELi1EEEJNS0_5FloorIdEEEEEvT_T0_DpT1_
; %bb.0:
	v_mov_b32_e32 v1, s15
	s_add_u32 s2, s0, s15
	s_mul_hi_u32 s3, s15, 3
	s_mul_i32 s15, s15, 3
	s_addc_u32 s4, s1, 0
	global_load_u8 v1, v1, s[0:1] offset:1536
	s_add_u32 s2, s2, s15
	s_addc_u32 s3, s4, s3
	s_mov_b32 s17, 0
	s_load_b32 s2, s[2:3], 0x740
	s_mov_b32 s19, s17
	s_mov_b32 s21, s17
	s_waitcnt vmcnt(0)
	v_readfirstlane_b32 s5, v1
	s_delay_alu instid0(VALU_DEP_1)
	s_lshl_b32 s3, s5, 3
	s_clause 0x2
	s_load_b64 s[10:11], s[0:1], s3 offset:0x0
	s_load_b64 s[12:13], s[0:1], s3 offset:0x200
	s_load_b64 s[6:7], s[0:1], s3 offset:0x400
	s_waitcnt lgkmcnt(0)
	s_ashr_i32 s3, s2, 31
	s_delay_alu instid0(SALU_CYCLE_1) | instskip(NEXT) | instid1(SALU_CYCLE_1)
	s_lshl_b64 s[4:5], s[2:3], 19
	s_add_u32 s8, s10, s4
	s_addc_u32 s9, s11, s5
	s_and_b32 s16, s8, 31
	s_add_u32 s14, s12, s4
	s_addc_u32 s15, s13, s5
	s_and_b32 s18, s6, 3
	s_and_b32 s20, s14, 31
	s_or_b64 s[16:17], s[16:17], s[18:19]
	s_lshl_b64 s[2:3], s[2:3], 16
	s_or_b64 s[16:17], s[20:21], s[16:17]
	s_sub_u32 s6, s6, s2
	s_subb_u32 s7, s7, s3
	s_cmp_eq_u64 s[16:17], 0
	s_mov_b32 s2, -1
	s_cbranch_scc0 .LBB24_5
; %bb.1:
	v_dual_mov_b32 v2, 0 :: v_dual_lshlrev_b32 v1, 2, v0
	s_mov_b32 s16, exec_lo
	s_delay_alu instid0(VALU_DEP_1)
	v_cmpx_gt_i64_e64 s[6:7], v[1:2]
	s_cbranch_execz .LBB24_4
; %bb.2:
	s_load_b32 s2, s[0:1], 0xc5c
	v_lshlrev_b32_e32 v3, 5, v0
	s_mov_b32 s17, 0
	s_waitcnt lgkmcnt(0)
	s_and_b32 s2, s2, 0xffff
	s_delay_alu instid0(SALU_CYCLE_1)
	v_add_lshl_u32 v1, v0, s2, 2
	s_lshl_b32 s18, s2, 2
	s_lshl_b32 s19, s2, 5
	s_set_inst_prefetch_distance 0x1
	.p2align	6
.LBB24_3:                               ; =>This Inner Loop Header: Depth=1
	v_add_co_u32 v8, s2, s8, v3
	s_delay_alu instid0(VALU_DEP_1)
	v_add_co_ci_u32_e64 v9, null, s9, 0, s2
	v_cmp_le_i64_e32 vcc_lo, s[6:7], v[1:2]
	v_cmp_lt_u64_e64 s2, 0xffff, v[1:2]
	v_add_co_u32 v12, s3, s14, v3
	s_clause 0x1
	global_load_b128 v[4:7], v[8:9], off
	global_load_b128 v[8:11], v[8:9], off offset:16
	v_add_co_ci_u32_e64 v13, null, s15, 0, s3
	s_or_b32 s2, vcc_lo, s2
	s_add_u32 s8, s8, s19
	v_add_co_u32 v1, s3, v1, s18
	s_addc_u32 s9, s9, 0
	s_add_u32 s14, s14, s19
	v_add_co_ci_u32_e64 v2, s3, 0, v2, s3
	s_addc_u32 s15, s15, 0
	s_and_b32 s2, exec_lo, s2
	s_delay_alu instid0(SALU_CYCLE_1)
	s_or_b32 s17, s2, s17
	s_waitcnt vmcnt(1)
	v_floor_f64_e32 v[4:5], v[4:5]
	v_floor_f64_e32 v[6:7], v[6:7]
	s_waitcnt vmcnt(0)
	v_floor_f64_e32 v[8:9], v[8:9]
	v_floor_f64_e32 v[10:11], v[10:11]
	s_clause 0x1
	global_store_b128 v[12:13], v[4:7], off
	global_store_b128 v[12:13], v[8:11], off offset:16
	s_and_not1_b32 exec_lo, exec_lo, s17
	s_cbranch_execnz .LBB24_3
.LBB24_4:
	s_set_inst_prefetch_distance 0x2
	s_or_b32 exec_lo, exec_lo, s16
	s_mov_b32 s2, 0
.LBB24_5:
	s_delay_alu instid0(SALU_CYCLE_1)
	s_and_not1_b32 vcc_lo, exec_lo, s2
	s_cbranch_vccnz .LBB24_25
; %bb.6:
	v_cmp_lt_i64_e64 s2, s[6:7], 1
	s_delay_alu instid0(VALU_DEP_1)
	s_and_b32 vcc_lo, exec_lo, s2
	s_cbranch_vccnz .LBB24_25
; %bb.7:
	s_load_b32 s0, s[0:1], 0xc5c
	v_dual_mov_b32 v2, 0 :: v_dual_lshlrev_b32 v1, 3, v0
	v_cmp_gt_u64_e64 s1, 0x10000, s[6:7]
	s_delay_alu instid0(VALU_DEP_2) | instskip(NEXT) | instid1(VALU_DEP_1)
	v_add_co_u32 v9, s2, s10, v1
	v_add_co_ci_u32_e64 v10, null, s11, 0, s2
	v_add_co_u32 v11, s2, s12, v1
	s_delay_alu instid0(VALU_DEP_1)
	v_add_co_ci_u32_e64 v12, null, s13, 0, s2
	s_waitcnt lgkmcnt(0)
	s_and_b32 s0, s0, 0xffff
	s_and_b32 s1, s1, exec_lo
	v_mad_u64_u32 v[3:4], null, s0, 24, v[1:2]
	s_cselect_b32 s9, s7, 0
	s_cselect_b32 s8, s6, 0x10000
	s_lshl_b32 s3, s0, 4
	s_mul_i32 s2, s0, 3
	v_add_co_u32 v1, s3, s3, v1
	s_delay_alu instid0(VALU_DEP_2) | instskip(NEXT) | instid1(VALU_DEP_3)
	v_add_co_u32 v13, vcc_lo, s10, v3
	v_add_co_ci_u32_e32 v14, vcc_lo, s11, v4, vcc_lo
	v_add_co_u32 v17, s2, s2, v0
	v_add_co_u32 v15, vcc_lo, s12, v3
	v_add_co_ci_u32_e64 v2, null, 0, 0, s3
	v_add_co_ci_u32_e64 v18, null, 0, 0, s2
	v_add_co_u32 v21, s2, v0, s0
	v_add_co_ci_u32_e32 v16, vcc_lo, s13, v4, vcc_lo
	v_add_co_u32 v19, vcc_lo, s10, v1
	v_add_co_ci_u32_e32 v20, vcc_lo, s11, v2, vcc_lo
	v_add_co_u32 v22, vcc_lo, s12, v1
	v_lshlrev_b32_e32 v1, 3, v21
	s_lshl_b32 s1, s0, 1
	v_add_co_ci_u32_e32 v23, vcc_lo, s13, v2, vcc_lo
	v_add_co_u32 v25, s1, s1, v0
	s_delay_alu instid0(VALU_DEP_1) | instskip(SKIP_1) | instid1(VALU_DEP_1)
	v_add_co_ci_u32_e64 v26, null, 0, 0, s1
	v_add_co_u32 v27, s1, s10, v1
	v_add_co_ci_u32_e64 v28, null, s11, 0, s1
	v_add_co_u32 v29, s1, s12, v1
	v_add_co_ci_u32_e64 v24, null, 0, 0, s2
	v_add_co_ci_u32_e64 v30, null, s13, 0, s1
	s_lshl_b32 s12, s0, 2
	s_lshl_b32 s13, s0, 5
	s_mov_b64 s[10:11], 0
	s_branch .LBB24_9
.LBB24_8:                               ;   in Loop: Header=BB24_9 Depth=1
	s_or_b32 exec_lo, exec_lo, s0
	v_add_co_u32 v9, vcc_lo, v9, s13
	v_add_co_ci_u32_e32 v10, vcc_lo, 0, v10, vcc_lo
	v_add_co_u32 v11, vcc_lo, v11, s13
	v_add_co_ci_u32_e32 v12, vcc_lo, 0, v12, vcc_lo
	;; [unrolled: 2-line block ×5, first 2 shown]
	s_add_u32 s10, s10, s12
	v_add_co_u32 v22, vcc_lo, v22, s13
	s_addc_u32 s11, s11, 0
	v_add_co_ci_u32_e32 v23, vcc_lo, 0, v23, vcc_lo
	v_cmp_ge_i64_e64 s0, s[10:11], s[6:7]
	v_cmp_lt_u64_e64 s1, 0xffff, s[10:11]
	v_add_co_u32 v27, vcc_lo, v27, s13
	v_add_co_ci_u32_e32 v28, vcc_lo, 0, v28, vcc_lo
	v_add_co_u32 v29, vcc_lo, v29, s13
	v_add_co_ci_u32_e32 v30, vcc_lo, 0, v30, vcc_lo
	s_or_b32 s0, s0, s1
	s_delay_alu instid0(SALU_CYCLE_1)
	s_and_b32 vcc_lo, exec_lo, s0
	s_cbranch_vccnz .LBB24_25
.LBB24_9:                               ; =>This Inner Loop Header: Depth=1
	s_waitcnt vmcnt(0)
	v_add_co_u32 v3, s0, v0, s10
	s_delay_alu instid0(VALU_DEP_1) | instskip(SKIP_2) | instid1(VALU_DEP_3)
	v_add_co_ci_u32_e64 v4, null, 0, s11, s0
	v_mov_b32_e32 v1, 0
	v_mov_b32_e32 v2, 0
	v_cmp_gt_u64_e32 vcc_lo, s[8:9], v[3:4]
	s_delay_alu instid0(VALU_DEP_2)
	v_dual_mov_b32 v4, v2 :: v_dual_mov_b32 v3, v1
	s_and_saveexec_b32 s1, vcc_lo
	s_cbranch_execz .LBB24_11
; %bb.10:                               ;   in Loop: Header=BB24_9 Depth=1
	v_add_co_u32 v3, s0, v9, s4
	s_delay_alu instid0(VALU_DEP_1)
	v_add_co_ci_u32_e64 v4, s0, s5, v10, s0
	global_load_b64 v[3:4], v[3:4], off
.LBB24_11:                              ;   in Loop: Header=BB24_9 Depth=1
	s_or_b32 exec_lo, exec_lo, s1
	v_add_co_u32 v5, s0, v21, s10
	s_delay_alu instid0(VALU_DEP_1) | instskip(NEXT) | instid1(VALU_DEP_1)
	v_add_co_ci_u32_e64 v6, s0, s11, v24, s0
	v_cmp_gt_u64_e64 s0, s[8:9], v[5:6]
	s_delay_alu instid0(VALU_DEP_1)
	s_and_saveexec_b32 s2, s0
	s_cbranch_execz .LBB24_13
; %bb.12:                               ;   in Loop: Header=BB24_9 Depth=1
	v_add_co_u32 v1, s1, v27, s4
	s_delay_alu instid0(VALU_DEP_1)
	v_add_co_ci_u32_e64 v2, s1, s5, v28, s1
	global_load_b64 v[1:2], v[1:2], off
.LBB24_13:                              ;   in Loop: Header=BB24_9 Depth=1
	s_or_b32 exec_lo, exec_lo, s2
	v_add_co_u32 v7, s1, v25, s10
	s_delay_alu instid0(VALU_DEP_1) | instskip(SKIP_2) | instid1(VALU_DEP_3)
	v_add_co_ci_u32_e64 v8, s1, s11, v26, s1
	v_mov_b32_e32 v5, 0
	v_mov_b32_e32 v6, 0
	v_cmp_gt_u64_e64 s1, s[8:9], v[7:8]
	s_delay_alu instid0(VALU_DEP_2) | instskip(NEXT) | instid1(VALU_DEP_2)
	v_dual_mov_b32 v8, v6 :: v_dual_mov_b32 v7, v5
	s_and_saveexec_b32 s3, s1
	s_cbranch_execz .LBB24_15
; %bb.14:                               ;   in Loop: Header=BB24_9 Depth=1
	v_add_co_u32 v7, s2, v19, s4
	s_delay_alu instid0(VALU_DEP_1)
	v_add_co_ci_u32_e64 v8, s2, s5, v20, s2
	global_load_b64 v[7:8], v[7:8], off
.LBB24_15:                              ;   in Loop: Header=BB24_9 Depth=1
	s_or_b32 exec_lo, exec_lo, s3
	v_add_co_u32 v31, s2, v17, s10
	s_delay_alu instid0(VALU_DEP_1) | instskip(NEXT) | instid1(VALU_DEP_1)
	v_add_co_ci_u32_e64 v32, s2, s11, v18, s2
	v_cmp_gt_u64_e64 s2, s[8:9], v[31:32]
	s_delay_alu instid0(VALU_DEP_1)
	s_and_saveexec_b32 s14, s2
	s_cbranch_execnz .LBB24_20
; %bb.16:                               ;   in Loop: Header=BB24_9 Depth=1
	s_or_b32 exec_lo, exec_lo, s14
	s_and_saveexec_b32 s3, vcc_lo
	s_cbranch_execnz .LBB24_21
.LBB24_17:                              ;   in Loop: Header=BB24_9 Depth=1
	s_or_b32 exec_lo, exec_lo, s3
	s_and_saveexec_b32 s3, s0
	s_cbranch_execnz .LBB24_22
.LBB24_18:                              ;   in Loop: Header=BB24_9 Depth=1
	s_or_b32 exec_lo, exec_lo, s3
	s_and_saveexec_b32 s0, s1
	s_cbranch_execnz .LBB24_23
.LBB24_19:                              ;   in Loop: Header=BB24_9 Depth=1
	s_or_b32 exec_lo, exec_lo, s0
	s_and_saveexec_b32 s0, s2
	s_cbranch_execz .LBB24_8
	s_branch .LBB24_24
.LBB24_20:                              ;   in Loop: Header=BB24_9 Depth=1
	v_add_co_u32 v5, s3, v13, s4
	s_delay_alu instid0(VALU_DEP_1)
	v_add_co_ci_u32_e64 v6, s3, s5, v14, s3
	global_load_b64 v[5:6], v[5:6], off
	s_or_b32 exec_lo, exec_lo, s14
	s_and_saveexec_b32 s3, vcc_lo
	s_cbranch_execz .LBB24_17
.LBB24_21:                              ;   in Loop: Header=BB24_9 Depth=1
	s_waitcnt vmcnt(0)
	v_floor_f64_e32 v[3:4], v[3:4]
	v_add_co_u32 v31, vcc_lo, v11, s4
	v_add_co_ci_u32_e32 v32, vcc_lo, s5, v12, vcc_lo
	global_store_b64 v[31:32], v[3:4], off
	s_or_b32 exec_lo, exec_lo, s3
	s_and_saveexec_b32 s3, s0
	s_cbranch_execz .LBB24_18
.LBB24_22:                              ;   in Loop: Header=BB24_9 Depth=1
	s_waitcnt vmcnt(0)
	v_floor_f64_e32 v[1:2], v[1:2]
	v_add_co_u32 v3, vcc_lo, v29, s4
	v_add_co_ci_u32_e32 v4, vcc_lo, s5, v30, vcc_lo
	global_store_b64 v[3:4], v[1:2], off
	s_or_b32 exec_lo, exec_lo, s3
	s_and_saveexec_b32 s0, s1
	s_cbranch_execz .LBB24_19
.LBB24_23:                              ;   in Loop: Header=BB24_9 Depth=1
	s_waitcnt vmcnt(0)
	v_floor_f64_e32 v[1:2], v[7:8]
	v_add_co_u32 v3, vcc_lo, v22, s4
	v_add_co_ci_u32_e32 v4, vcc_lo, s5, v23, vcc_lo
	global_store_b64 v[3:4], v[1:2], off
	s_or_b32 exec_lo, exec_lo, s0
	s_and_saveexec_b32 s0, s2
	s_cbranch_execz .LBB24_8
.LBB24_24:                              ;   in Loop: Header=BB24_9 Depth=1
	s_waitcnt vmcnt(0)
	v_floor_f64_e32 v[1:2], v[5:6]
	v_add_co_u32 v3, vcc_lo, v15, s4
	v_add_co_ci_u32_e32 v4, vcc_lo, s5, v16, vcc_lo
	global_store_b64 v[3:4], v[1:2], off
	s_branch .LBB24_8
.LBB24_25:
	s_nop 0
	s_sendmsg sendmsg(MSG_DEALLOC_VGPRS)
	s_endpgm
	.section	.rodata,"a",@progbits
	.p2align	6, 0x0
	.amdhsa_kernel _ZN2at6native12_GLOBAL__N_125multi_tensor_apply_kernelINS1_18TensorListMetadataILi2EEENS1_14UnaryOpFunctorIdLi2ELi1ELi1EEEJNS0_5FloorIdEEEEEvT_T0_DpT1_
		.amdhsa_group_segment_fixed_size 0
		.amdhsa_private_segment_fixed_size 0
		.amdhsa_kernarg_size 3408
		.amdhsa_user_sgpr_count 15
		.amdhsa_user_sgpr_dispatch_ptr 0
		.amdhsa_user_sgpr_queue_ptr 0
		.amdhsa_user_sgpr_kernarg_segment_ptr 1
		.amdhsa_user_sgpr_dispatch_id 0
		.amdhsa_user_sgpr_private_segment_size 0
		.amdhsa_wavefront_size32 1
		.amdhsa_uses_dynamic_stack 0
		.amdhsa_enable_private_segment 0
		.amdhsa_system_sgpr_workgroup_id_x 1
		.amdhsa_system_sgpr_workgroup_id_y 0
		.amdhsa_system_sgpr_workgroup_id_z 0
		.amdhsa_system_sgpr_workgroup_info 0
		.amdhsa_system_vgpr_workitem_id 0
		.amdhsa_next_free_vgpr 33
		.amdhsa_next_free_sgpr 22
		.amdhsa_reserve_vcc 1
		.amdhsa_float_round_mode_32 0
		.amdhsa_float_round_mode_16_64 0
		.amdhsa_float_denorm_mode_32 3
		.amdhsa_float_denorm_mode_16_64 3
		.amdhsa_dx10_clamp 1
		.amdhsa_ieee_mode 1
		.amdhsa_fp16_overflow 0
		.amdhsa_workgroup_processor_mode 1
		.amdhsa_memory_ordered 1
		.amdhsa_forward_progress 0
		.amdhsa_shared_vgpr_count 0
		.amdhsa_exception_fp_ieee_invalid_op 0
		.amdhsa_exception_fp_denorm_src 0
		.amdhsa_exception_fp_ieee_div_zero 0
		.amdhsa_exception_fp_ieee_overflow 0
		.amdhsa_exception_fp_ieee_underflow 0
		.amdhsa_exception_fp_ieee_inexact 0
		.amdhsa_exception_int_div_zero 0
	.end_amdhsa_kernel
	.section	.text._ZN2at6native12_GLOBAL__N_125multi_tensor_apply_kernelINS1_18TensorListMetadataILi2EEENS1_14UnaryOpFunctorIdLi2ELi1ELi1EEEJNS0_5FloorIdEEEEEvT_T0_DpT1_,"axG",@progbits,_ZN2at6native12_GLOBAL__N_125multi_tensor_apply_kernelINS1_18TensorListMetadataILi2EEENS1_14UnaryOpFunctorIdLi2ELi1ELi1EEEJNS0_5FloorIdEEEEEvT_T0_DpT1_,comdat
.Lfunc_end24:
	.size	_ZN2at6native12_GLOBAL__N_125multi_tensor_apply_kernelINS1_18TensorListMetadataILi2EEENS1_14UnaryOpFunctorIdLi2ELi1ELi1EEEJNS0_5FloorIdEEEEEvT_T0_DpT1_, .Lfunc_end24-_ZN2at6native12_GLOBAL__N_125multi_tensor_apply_kernelINS1_18TensorListMetadataILi2EEENS1_14UnaryOpFunctorIdLi2ELi1ELi1EEEJNS0_5FloorIdEEEEEvT_T0_DpT1_
                                        ; -- End function
	.section	.AMDGPU.csdata,"",@progbits
; Kernel info:
; codeLenInByte = 1448
; NumSgprs: 24
; NumVgprs: 33
; ScratchSize: 0
; MemoryBound: 0
; FloatMode: 240
; IeeeMode: 1
; LDSByteSize: 0 bytes/workgroup (compile time only)
; SGPRBlocks: 2
; VGPRBlocks: 4
; NumSGPRsForWavesPerEU: 24
; NumVGPRsForWavesPerEU: 33
; Occupancy: 16
; WaveLimiterHint : 0
; COMPUTE_PGM_RSRC2:SCRATCH_EN: 0
; COMPUTE_PGM_RSRC2:USER_SGPR: 15
; COMPUTE_PGM_RSRC2:TRAP_HANDLER: 0
; COMPUTE_PGM_RSRC2:TGID_X_EN: 1
; COMPUTE_PGM_RSRC2:TGID_Y_EN: 0
; COMPUTE_PGM_RSRC2:TGID_Z_EN: 0
; COMPUTE_PGM_RSRC2:TIDIG_COMP_CNT: 0
	.section	.text._ZN2at6native12_GLOBAL__N_125multi_tensor_apply_kernelINS1_18TensorListMetadataILi2EEENS1_14UnaryOpFunctorIfLi2ELi1ELi1EEEJNS0_5FloorIfEEEEEvT_T0_DpT1_,"axG",@progbits,_ZN2at6native12_GLOBAL__N_125multi_tensor_apply_kernelINS1_18TensorListMetadataILi2EEENS1_14UnaryOpFunctorIfLi2ELi1ELi1EEEJNS0_5FloorIfEEEEEvT_T0_DpT1_,comdat
	.globl	_ZN2at6native12_GLOBAL__N_125multi_tensor_apply_kernelINS1_18TensorListMetadataILi2EEENS1_14UnaryOpFunctorIfLi2ELi1ELi1EEEJNS0_5FloorIfEEEEEvT_T0_DpT1_ ; -- Begin function _ZN2at6native12_GLOBAL__N_125multi_tensor_apply_kernelINS1_18TensorListMetadataILi2EEENS1_14UnaryOpFunctorIfLi2ELi1ELi1EEEJNS0_5FloorIfEEEEEvT_T0_DpT1_
	.p2align	8
	.type	_ZN2at6native12_GLOBAL__N_125multi_tensor_apply_kernelINS1_18TensorListMetadataILi2EEENS1_14UnaryOpFunctorIfLi2ELi1ELi1EEEJNS0_5FloorIfEEEEEvT_T0_DpT1_,@function
_ZN2at6native12_GLOBAL__N_125multi_tensor_apply_kernelINS1_18TensorListMetadataILi2EEENS1_14UnaryOpFunctorIfLi2ELi1ELi1EEEJNS0_5FloorIfEEEEEvT_T0_DpT1_: ; @_ZN2at6native12_GLOBAL__N_125multi_tensor_apply_kernelINS1_18TensorListMetadataILi2EEENS1_14UnaryOpFunctorIfLi2ELi1ELi1EEEJNS0_5FloorIfEEEEEvT_T0_DpT1_
; %bb.0:
	v_mov_b32_e32 v1, s15
	s_add_u32 s2, s0, s15
	s_mul_hi_u32 s3, s15, 3
	s_mul_i32 s15, s15, 3
	s_addc_u32 s4, s1, 0
	global_load_u8 v1, v1, s[0:1] offset:1536
	s_add_u32 s2, s2, s15
	s_addc_u32 s3, s4, s3
	s_mov_b32 s17, 0
	s_load_b32 s2, s[2:3], 0x740
	s_mov_b32 s19, s17
	s_mov_b32 s21, s17
	s_waitcnt vmcnt(0)
	v_readfirstlane_b32 s5, v1
	s_delay_alu instid0(VALU_DEP_1)
	s_lshl_b32 s3, s5, 3
	s_clause 0x2
	s_load_b64 s[10:11], s[0:1], s3 offset:0x0
	s_load_b64 s[12:13], s[0:1], s3 offset:0x200
	;; [unrolled: 1-line block ×3, first 2 shown]
	s_waitcnt lgkmcnt(0)
	s_ashr_i32 s3, s2, 31
	s_delay_alu instid0(SALU_CYCLE_1) | instskip(NEXT) | instid1(SALU_CYCLE_1)
	s_lshl_b64 s[4:5], s[2:3], 18
	s_add_u32 s8, s10, s4
	s_addc_u32 s9, s11, s5
	s_and_b32 s16, s8, 15
	s_add_u32 s14, s12, s4
	s_addc_u32 s15, s13, s5
	s_and_b32 s18, s6, 3
	s_and_b32 s20, s14, 15
	s_or_b64 s[16:17], s[16:17], s[18:19]
	s_lshl_b64 s[2:3], s[2:3], 16
	s_or_b64 s[16:17], s[20:21], s[16:17]
	s_sub_u32 s6, s6, s2
	s_subb_u32 s7, s7, s3
	s_cmp_eq_u64 s[16:17], 0
	s_mov_b32 s2, -1
	s_cbranch_scc0 .LBB25_5
; %bb.1:
	v_dual_mov_b32 v2, 0 :: v_dual_lshlrev_b32 v1, 2, v0
	s_mov_b32 s16, exec_lo
	s_delay_alu instid0(VALU_DEP_1)
	v_cmpx_gt_i64_e64 s[6:7], v[1:2]
	s_cbranch_execz .LBB25_4
; %bb.2:
	s_load_b32 s2, s[0:1], 0xc5c
	v_lshlrev_b32_e32 v3, 4, v0
	s_mov_b32 s17, 0
	s_waitcnt lgkmcnt(0)
	s_and_b32 s2, s2, 0xffff
	s_delay_alu instid0(SALU_CYCLE_1)
	v_add_lshl_u32 v1, v0, s2, 2
	s_lshl_b32 s18, s2, 2
	s_lshl_b32 s19, s2, 4
	s_set_inst_prefetch_distance 0x1
	.p2align	6
.LBB25_3:                               ; =>This Inner Loop Header: Depth=1
	v_add_co_u32 v4, s2, s8, v3
	s_delay_alu instid0(VALU_DEP_1)
	v_add_co_ci_u32_e64 v5, null, s9, 0, s2
	v_cmp_le_i64_e32 vcc_lo, s[6:7], v[1:2]
	v_cmp_lt_u64_e64 s2, 0xffff, v[1:2]
	v_add_co_u32 v8, s3, s14, v3
	global_load_b128 v[4:7], v[4:5], off
	v_add_co_ci_u32_e64 v9, null, s15, 0, s3
	s_or_b32 s2, vcc_lo, s2
	s_add_u32 s8, s8, s19
	v_add_co_u32 v1, s3, v1, s18
	s_addc_u32 s9, s9, 0
	s_add_u32 s14, s14, s19
	v_add_co_ci_u32_e64 v2, s3, 0, v2, s3
	s_addc_u32 s15, s15, 0
	s_and_b32 s2, exec_lo, s2
	s_delay_alu instid0(SALU_CYCLE_1)
	s_or_b32 s17, s2, s17
	s_waitcnt vmcnt(0)
	v_floor_f32_e32 v4, v4
	v_floor_f32_e32 v5, v5
	;; [unrolled: 1-line block ×4, first 2 shown]
	global_store_b128 v[8:9], v[4:7], off
	s_and_not1_b32 exec_lo, exec_lo, s17
	s_cbranch_execnz .LBB25_3
.LBB25_4:
	s_set_inst_prefetch_distance 0x2
	s_or_b32 exec_lo, exec_lo, s16
	s_mov_b32 s2, 0
.LBB25_5:
	s_delay_alu instid0(SALU_CYCLE_1)
	s_and_not1_b32 vcc_lo, exec_lo, s2
	s_cbranch_vccnz .LBB25_25
; %bb.6:
	v_cmp_lt_i64_e64 s2, s[6:7], 1
	s_delay_alu instid0(VALU_DEP_1)
	s_and_b32 vcc_lo, exec_lo, s2
	s_cbranch_vccnz .LBB25_25
; %bb.7:
	s_load_b32 s0, s[0:1], 0xc5c
	v_dual_mov_b32 v10, 0 :: v_dual_lshlrev_b32 v9, 2, v0
	v_cmp_gt_u64_e64 s1, 0x10000, s[6:7]
	s_delay_alu instid0(VALU_DEP_2) | instskip(NEXT) | instid1(VALU_DEP_1)
	v_add_co_u32 v1, s2, s10, v9
	v_add_co_ci_u32_e64 v2, null, s11, 0, s2
	v_add_co_u32 v3, s2, s12, v9
	s_delay_alu instid0(VALU_DEP_1)
	v_add_co_ci_u32_e64 v4, null, s13, 0, s2
	s_waitcnt lgkmcnt(0)
	s_and_b32 s0, s0, 0xffff
	s_and_b32 s1, s1, exec_lo
	v_mad_u64_u32 v[7:8], null, s0, 12, v[9:10]
	s_cselect_b32 s9, s7, 0
	s_cselect_b32 s8, s6, 0x10000
	s_mul_i32 s2, s0, 3
	s_lshl_b32 s3, s0, 3
	s_lshl_b32 s1, s0, 1
	v_add_co_u32 v14, s3, s3, v9
	v_add_co_u32 v9, s2, s2, v0
	s_delay_alu instid0(VALU_DEP_1) | instskip(SKIP_3) | instid1(VALU_DEP_3)
	v_add_co_ci_u32_e64 v10, null, 0, 0, s2
	v_add_co_u32 v13, s2, v0, s0
	v_add_co_u32 v5, vcc_lo, s10, v7
	v_add_co_ci_u32_e32 v6, vcc_lo, s11, v8, vcc_lo
	v_lshlrev_b32_e32 v21, 2, v13
	v_add_co_u32 v7, vcc_lo, s12, v7
	v_add_co_ci_u32_e64 v15, null, 0, 0, s3
	v_add_co_ci_u32_e32 v8, vcc_lo, s13, v8, vcc_lo
	v_add_co_u32 v17, s1, s1, v0
	v_add_co_u32 v11, vcc_lo, s10, v14
	v_add_co_ci_u32_e64 v18, null, 0, 0, s1
	v_add_co_u32 v19, s1, s10, v21
	v_add_co_ci_u32_e32 v12, vcc_lo, s11, v15, vcc_lo
	v_add_co_u32 v14, vcc_lo, s12, v14
	v_add_co_ci_u32_e64 v20, null, s11, 0, s1
	v_add_co_u32 v21, s1, s12, v21
	v_add_co_ci_u32_e32 v15, vcc_lo, s13, v15, vcc_lo
	v_add_co_ci_u32_e64 v16, null, 0, 0, s2
	v_add_co_ci_u32_e64 v22, null, s13, 0, s1
	s_lshl_b32 s12, s0, 2
	s_lshl_b32 s13, s0, 4
	s_mov_b64 s[10:11], 0
	s_branch .LBB25_9
.LBB25_8:                               ;   in Loop: Header=BB25_9 Depth=1
	s_or_b32 exec_lo, exec_lo, s0
	v_add_co_u32 v1, vcc_lo, v1, s13
	v_add_co_ci_u32_e32 v2, vcc_lo, 0, v2, vcc_lo
	v_add_co_u32 v3, vcc_lo, v3, s13
	v_add_co_ci_u32_e32 v4, vcc_lo, 0, v4, vcc_lo
	;; [unrolled: 2-line block ×5, first 2 shown]
	s_add_u32 s10, s10, s12
	v_add_co_u32 v14, vcc_lo, v14, s13
	s_addc_u32 s11, s11, 0
	v_add_co_ci_u32_e32 v15, vcc_lo, 0, v15, vcc_lo
	v_cmp_ge_i64_e64 s0, s[10:11], s[6:7]
	v_cmp_lt_u64_e64 s1, 0xffff, s[10:11]
	v_add_co_u32 v19, vcc_lo, v19, s13
	v_add_co_ci_u32_e32 v20, vcc_lo, 0, v20, vcc_lo
	v_add_co_u32 v21, vcc_lo, v21, s13
	v_add_co_ci_u32_e32 v22, vcc_lo, 0, v22, vcc_lo
	s_or_b32 s0, s0, s1
	s_delay_alu instid0(SALU_CYCLE_1)
	s_and_b32 vcc_lo, exec_lo, s0
	s_cbranch_vccnz .LBB25_25
.LBB25_9:                               ; =>This Inner Loop Header: Depth=1
	s_waitcnt vmcnt(0)
	v_add_co_u32 v23, s0, v0, s10
	s_delay_alu instid0(VALU_DEP_1) | instskip(NEXT) | instid1(VALU_DEP_1)
	v_add_co_ci_u32_e64 v24, null, 0, s11, s0
	v_cmp_gt_u64_e32 vcc_lo, s[8:9], v[23:24]
	v_mov_b32_e32 v23, 0
	s_and_saveexec_b32 s1, vcc_lo
	s_cbranch_execz .LBB25_11
; %bb.10:                               ;   in Loop: Header=BB25_9 Depth=1
	v_add_co_u32 v23, s0, v1, s4
	s_delay_alu instid0(VALU_DEP_1)
	v_add_co_ci_u32_e64 v24, s0, s5, v2, s0
	global_load_b32 v23, v[23:24], off
.LBB25_11:                              ;   in Loop: Header=BB25_9 Depth=1
	s_or_b32 exec_lo, exec_lo, s1
	v_add_co_u32 v24, s0, v13, s10
	s_delay_alu instid0(VALU_DEP_1) | instskip(NEXT) | instid1(VALU_DEP_1)
	v_add_co_ci_u32_e64 v25, s0, s11, v16, s0
	v_cmp_gt_u64_e64 s0, s[8:9], v[24:25]
	v_mov_b32_e32 v25, 0
	s_delay_alu instid0(VALU_DEP_2)
	s_and_saveexec_b32 s2, s0
	s_cbranch_execz .LBB25_13
; %bb.12:                               ;   in Loop: Header=BB25_9 Depth=1
	v_add_co_u32 v24, s1, v19, s4
	s_delay_alu instid0(VALU_DEP_1)
	v_add_co_ci_u32_e64 v25, s1, s5, v20, s1
	global_load_b32 v25, v[24:25], off
.LBB25_13:                              ;   in Loop: Header=BB25_9 Depth=1
	s_or_b32 exec_lo, exec_lo, s2
	v_add_co_u32 v26, s1, v17, s10
	s_delay_alu instid0(VALU_DEP_1) | instskip(SKIP_1) | instid1(VALU_DEP_2)
	v_add_co_ci_u32_e64 v27, s1, s11, v18, s1
	v_mov_b32_e32 v24, 0
	v_cmp_gt_u64_e64 s1, s[8:9], v[26:27]
	v_mov_b32_e32 v26, 0
	s_delay_alu instid0(VALU_DEP_2)
	s_and_saveexec_b32 s3, s1
	s_cbranch_execz .LBB25_15
; %bb.14:                               ;   in Loop: Header=BB25_9 Depth=1
	v_add_co_u32 v26, s2, v11, s4
	s_delay_alu instid0(VALU_DEP_1)
	v_add_co_ci_u32_e64 v27, s2, s5, v12, s2
	global_load_b32 v26, v[26:27], off
.LBB25_15:                              ;   in Loop: Header=BB25_9 Depth=1
	s_or_b32 exec_lo, exec_lo, s3
	v_add_co_u32 v27, s2, v9, s10
	s_delay_alu instid0(VALU_DEP_1) | instskip(NEXT) | instid1(VALU_DEP_1)
	v_add_co_ci_u32_e64 v28, s2, s11, v10, s2
	v_cmp_gt_u64_e64 s2, s[8:9], v[27:28]
	s_delay_alu instid0(VALU_DEP_1)
	s_and_saveexec_b32 s14, s2
	s_cbranch_execnz .LBB25_20
; %bb.16:                               ;   in Loop: Header=BB25_9 Depth=1
	s_or_b32 exec_lo, exec_lo, s14
	s_and_saveexec_b32 s3, vcc_lo
	s_cbranch_execnz .LBB25_21
.LBB25_17:                              ;   in Loop: Header=BB25_9 Depth=1
	s_or_b32 exec_lo, exec_lo, s3
	s_and_saveexec_b32 s3, s0
	s_cbranch_execnz .LBB25_22
.LBB25_18:                              ;   in Loop: Header=BB25_9 Depth=1
	s_or_b32 exec_lo, exec_lo, s3
	s_and_saveexec_b32 s0, s1
	s_cbranch_execnz .LBB25_23
.LBB25_19:                              ;   in Loop: Header=BB25_9 Depth=1
	s_or_b32 exec_lo, exec_lo, s0
	s_and_saveexec_b32 s0, s2
	s_cbranch_execz .LBB25_8
	s_branch .LBB25_24
.LBB25_20:                              ;   in Loop: Header=BB25_9 Depth=1
	v_add_co_u32 v27, s3, v5, s4
	s_delay_alu instid0(VALU_DEP_1)
	v_add_co_ci_u32_e64 v28, s3, s5, v6, s3
	global_load_b32 v24, v[27:28], off
	s_or_b32 exec_lo, exec_lo, s14
	s_and_saveexec_b32 s3, vcc_lo
	s_cbranch_execz .LBB25_17
.LBB25_21:                              ;   in Loop: Header=BB25_9 Depth=1
	v_add_co_u32 v27, vcc_lo, v3, s4
	v_add_co_ci_u32_e32 v28, vcc_lo, s5, v4, vcc_lo
	s_waitcnt vmcnt(0)
	v_floor_f32_e32 v23, v23
	global_store_b32 v[27:28], v23, off
	s_or_b32 exec_lo, exec_lo, s3
	s_and_saveexec_b32 s3, s0
	s_cbranch_execz .LBB25_18
.LBB25_22:                              ;   in Loop: Header=BB25_9 Depth=1
	v_add_co_u32 v27, vcc_lo, v21, s4
	s_waitcnt vmcnt(0)
	v_floor_f32_e32 v23, v25
	v_add_co_ci_u32_e32 v28, vcc_lo, s5, v22, vcc_lo
	global_store_b32 v[27:28], v23, off
	s_or_b32 exec_lo, exec_lo, s3
	s_and_saveexec_b32 s0, s1
	s_cbranch_execz .LBB25_19
.LBB25_23:                              ;   in Loop: Header=BB25_9 Depth=1
	s_waitcnt vmcnt(0)
	v_add_co_u32 v25, vcc_lo, v14, s4
	v_floor_f32_e32 v23, v26
	v_add_co_ci_u32_e32 v26, vcc_lo, s5, v15, vcc_lo
	global_store_b32 v[25:26], v23, off
	s_or_b32 exec_lo, exec_lo, s0
	s_and_saveexec_b32 s0, s2
	s_cbranch_execz .LBB25_8
.LBB25_24:                              ;   in Loop: Header=BB25_9 Depth=1
	s_waitcnt vmcnt(0)
	v_add_co_u32 v23, vcc_lo, v7, s4
	v_floor_f32_e32 v25, v24
	v_add_co_ci_u32_e32 v24, vcc_lo, s5, v8, vcc_lo
	global_store_b32 v[23:24], v25, off
	s_branch .LBB25_8
.LBB25_25:
	s_nop 0
	s_sendmsg sendmsg(MSG_DEALLOC_VGPRS)
	s_endpgm
	.section	.rodata,"a",@progbits
	.p2align	6, 0x0
	.amdhsa_kernel _ZN2at6native12_GLOBAL__N_125multi_tensor_apply_kernelINS1_18TensorListMetadataILi2EEENS1_14UnaryOpFunctorIfLi2ELi1ELi1EEEJNS0_5FloorIfEEEEEvT_T0_DpT1_
		.amdhsa_group_segment_fixed_size 0
		.amdhsa_private_segment_fixed_size 0
		.amdhsa_kernarg_size 3408
		.amdhsa_user_sgpr_count 15
		.amdhsa_user_sgpr_dispatch_ptr 0
		.amdhsa_user_sgpr_queue_ptr 0
		.amdhsa_user_sgpr_kernarg_segment_ptr 1
		.amdhsa_user_sgpr_dispatch_id 0
		.amdhsa_user_sgpr_private_segment_size 0
		.amdhsa_wavefront_size32 1
		.amdhsa_uses_dynamic_stack 0
		.amdhsa_enable_private_segment 0
		.amdhsa_system_sgpr_workgroup_id_x 1
		.amdhsa_system_sgpr_workgroup_id_y 0
		.amdhsa_system_sgpr_workgroup_id_z 0
		.amdhsa_system_sgpr_workgroup_info 0
		.amdhsa_system_vgpr_workitem_id 0
		.amdhsa_next_free_vgpr 29
		.amdhsa_next_free_sgpr 22
		.amdhsa_reserve_vcc 1
		.amdhsa_float_round_mode_32 0
		.amdhsa_float_round_mode_16_64 0
		.amdhsa_float_denorm_mode_32 3
		.amdhsa_float_denorm_mode_16_64 3
		.amdhsa_dx10_clamp 1
		.amdhsa_ieee_mode 1
		.amdhsa_fp16_overflow 0
		.amdhsa_workgroup_processor_mode 1
		.amdhsa_memory_ordered 1
		.amdhsa_forward_progress 0
		.amdhsa_shared_vgpr_count 0
		.amdhsa_exception_fp_ieee_invalid_op 0
		.amdhsa_exception_fp_denorm_src 0
		.amdhsa_exception_fp_ieee_div_zero 0
		.amdhsa_exception_fp_ieee_overflow 0
		.amdhsa_exception_fp_ieee_underflow 0
		.amdhsa_exception_fp_ieee_inexact 0
		.amdhsa_exception_int_div_zero 0
	.end_amdhsa_kernel
	.section	.text._ZN2at6native12_GLOBAL__N_125multi_tensor_apply_kernelINS1_18TensorListMetadataILi2EEENS1_14UnaryOpFunctorIfLi2ELi1ELi1EEEJNS0_5FloorIfEEEEEvT_T0_DpT1_,"axG",@progbits,_ZN2at6native12_GLOBAL__N_125multi_tensor_apply_kernelINS1_18TensorListMetadataILi2EEENS1_14UnaryOpFunctorIfLi2ELi1ELi1EEEJNS0_5FloorIfEEEEEvT_T0_DpT1_,comdat
.Lfunc_end25:
	.size	_ZN2at6native12_GLOBAL__N_125multi_tensor_apply_kernelINS1_18TensorListMetadataILi2EEENS1_14UnaryOpFunctorIfLi2ELi1ELi1EEEJNS0_5FloorIfEEEEEvT_T0_DpT1_, .Lfunc_end25-_ZN2at6native12_GLOBAL__N_125multi_tensor_apply_kernelINS1_18TensorListMetadataILi2EEENS1_14UnaryOpFunctorIfLi2ELi1ELi1EEEJNS0_5FloorIfEEEEEvT_T0_DpT1_
                                        ; -- End function
	.section	.AMDGPU.csdata,"",@progbits
; Kernel info:
; codeLenInByte = 1396
; NumSgprs: 24
; NumVgprs: 29
; ScratchSize: 0
; MemoryBound: 0
; FloatMode: 240
; IeeeMode: 1
; LDSByteSize: 0 bytes/workgroup (compile time only)
; SGPRBlocks: 2
; VGPRBlocks: 3
; NumSGPRsForWavesPerEU: 24
; NumVGPRsForWavesPerEU: 29
; Occupancy: 16
; WaveLimiterHint : 0
; COMPUTE_PGM_RSRC2:SCRATCH_EN: 0
; COMPUTE_PGM_RSRC2:USER_SGPR: 15
; COMPUTE_PGM_RSRC2:TRAP_HANDLER: 0
; COMPUTE_PGM_RSRC2:TGID_X_EN: 1
; COMPUTE_PGM_RSRC2:TGID_Y_EN: 0
; COMPUTE_PGM_RSRC2:TGID_Z_EN: 0
; COMPUTE_PGM_RSRC2:TIDIG_COMP_CNT: 0
	.section	.text._ZN2at6native12_GLOBAL__N_125multi_tensor_apply_kernelINS1_18TensorListMetadataILi2EEENS1_14UnaryOpFunctorIN3c104HalfELi2ELi1ELi1EEEJNS0_5FloorIfEEEEEvT_T0_DpT1_,"axG",@progbits,_ZN2at6native12_GLOBAL__N_125multi_tensor_apply_kernelINS1_18TensorListMetadataILi2EEENS1_14UnaryOpFunctorIN3c104HalfELi2ELi1ELi1EEEJNS0_5FloorIfEEEEEvT_T0_DpT1_,comdat
	.globl	_ZN2at6native12_GLOBAL__N_125multi_tensor_apply_kernelINS1_18TensorListMetadataILi2EEENS1_14UnaryOpFunctorIN3c104HalfELi2ELi1ELi1EEEJNS0_5FloorIfEEEEEvT_T0_DpT1_ ; -- Begin function _ZN2at6native12_GLOBAL__N_125multi_tensor_apply_kernelINS1_18TensorListMetadataILi2EEENS1_14UnaryOpFunctorIN3c104HalfELi2ELi1ELi1EEEJNS0_5FloorIfEEEEEvT_T0_DpT1_
	.p2align	8
	.type	_ZN2at6native12_GLOBAL__N_125multi_tensor_apply_kernelINS1_18TensorListMetadataILi2EEENS1_14UnaryOpFunctorIN3c104HalfELi2ELi1ELi1EEEJNS0_5FloorIfEEEEEvT_T0_DpT1_,@function
_ZN2at6native12_GLOBAL__N_125multi_tensor_apply_kernelINS1_18TensorListMetadataILi2EEENS1_14UnaryOpFunctorIN3c104HalfELi2ELi1ELi1EEEJNS0_5FloorIfEEEEEvT_T0_DpT1_: ; @_ZN2at6native12_GLOBAL__N_125multi_tensor_apply_kernelINS1_18TensorListMetadataILi2EEENS1_14UnaryOpFunctorIN3c104HalfELi2ELi1ELi1EEEJNS0_5FloorIfEEEEEvT_T0_DpT1_
; %bb.0:
	v_mov_b32_e32 v1, s15
	s_add_u32 s2, s0, s15
	s_mul_hi_u32 s3, s15, 3
	s_mul_i32 s15, s15, 3
	s_addc_u32 s4, s1, 0
	global_load_u8 v1, v1, s[0:1] offset:1536
	s_add_u32 s2, s2, s15
	s_addc_u32 s3, s4, s3
	s_mov_b32 s17, 0
	s_load_b32 s2, s[2:3], 0x740
	s_mov_b32 s19, s17
	s_mov_b32 s21, s17
	s_waitcnt vmcnt(0)
	v_readfirstlane_b32 s5, v1
	s_delay_alu instid0(VALU_DEP_1)
	s_lshl_b32 s3, s5, 3
	s_clause 0x2
	s_load_b64 s[10:11], s[0:1], s3 offset:0x0
	s_load_b64 s[12:13], s[0:1], s3 offset:0x200
	;; [unrolled: 1-line block ×3, first 2 shown]
	s_waitcnt lgkmcnt(0)
	s_ashr_i32 s3, s2, 31
	s_delay_alu instid0(SALU_CYCLE_1) | instskip(NEXT) | instid1(SALU_CYCLE_1)
	s_lshl_b64 s[4:5], s[2:3], 17
	s_add_u32 s8, s10, s4
	s_addc_u32 s9, s11, s5
	s_and_b32 s16, s8, 7
	s_add_u32 s14, s12, s4
	s_addc_u32 s15, s13, s5
	s_and_b32 s18, s6, 3
	s_and_b32 s20, s14, 7
	s_or_b64 s[16:17], s[16:17], s[18:19]
	s_lshl_b64 s[2:3], s[2:3], 16
	s_or_b64 s[16:17], s[20:21], s[16:17]
	s_sub_u32 s6, s6, s2
	s_subb_u32 s7, s7, s3
	s_cmp_eq_u64 s[16:17], 0
	s_mov_b32 s2, -1
	s_cbranch_scc0 .LBB26_5
; %bb.1:
	v_dual_mov_b32 v2, 0 :: v_dual_lshlrev_b32 v1, 2, v0
	s_mov_b32 s16, exec_lo
	s_delay_alu instid0(VALU_DEP_1)
	v_cmpx_gt_i64_e64 s[6:7], v[1:2]
	s_cbranch_execz .LBB26_4
; %bb.2:
	s_load_b32 s2, s[0:1], 0xc5c
	v_lshlrev_b32_e32 v3, 3, v0
	s_mov_b32 s17, 0
	s_waitcnt lgkmcnt(0)
	s_and_b32 s2, s2, 0xffff
	s_delay_alu instid0(SALU_CYCLE_1)
	v_add_lshl_u32 v1, v0, s2, 2
	s_lshl_b32 s18, s2, 2
	s_lshl_b32 s19, s2, 3
	s_set_inst_prefetch_distance 0x1
	.p2align	6
.LBB26_3:                               ; =>This Inner Loop Header: Depth=1
	v_add_co_u32 v4, s2, s8, v3
	s_delay_alu instid0(VALU_DEP_1)
	v_add_co_ci_u32_e64 v5, null, s9, 0, s2
	v_cmp_le_i64_e32 vcc_lo, s[6:7], v[1:2]
	v_cmp_lt_u64_e64 s2, 0xffff, v[1:2]
	v_add_co_u32 v6, s3, s14, v3
	global_load_b64 v[4:5], v[4:5], off
	v_add_co_ci_u32_e64 v7, null, s15, 0, s3
	s_or_b32 s2, vcc_lo, s2
	s_add_u32 s8, s8, s19
	v_add_co_u32 v1, s3, v1, s18
	s_addc_u32 s9, s9, 0
	s_add_u32 s14, s14, s19
	v_add_co_ci_u32_e64 v2, s3, 0, v2, s3
	s_addc_u32 s15, s15, 0
	s_and_b32 s2, exec_lo, s2
	s_delay_alu instid0(SALU_CYCLE_1)
	s_or_b32 s17, s2, s17
	s_waitcnt vmcnt(0)
	v_lshrrev_b32_e32 v8, 16, v5
	v_lshrrev_b32_e32 v9, 16, v4
	v_floor_f16_e32 v4, v4
	v_floor_f16_e32 v5, v5
	s_delay_alu instid0(VALU_DEP_4) | instskip(NEXT) | instid1(VALU_DEP_4)
	v_floor_f16_e32 v8, v8
	v_floor_f16_e32 v9, v9
	s_delay_alu instid0(VALU_DEP_2) | instskip(NEXT) | instid1(VALU_DEP_2)
	v_pack_b32_f16 v5, v5, v8
	v_pack_b32_f16 v4, v4, v9
	global_store_b64 v[6:7], v[4:5], off
	s_and_not1_b32 exec_lo, exec_lo, s17
	s_cbranch_execnz .LBB26_3
.LBB26_4:
	s_set_inst_prefetch_distance 0x2
	s_or_b32 exec_lo, exec_lo, s16
	s_mov_b32 s2, 0
.LBB26_5:
	s_delay_alu instid0(SALU_CYCLE_1)
	s_and_not1_b32 vcc_lo, exec_lo, s2
	s_cbranch_vccnz .LBB26_25
; %bb.6:
	v_cmp_lt_i64_e64 s2, s[6:7], 1
	s_delay_alu instid0(VALU_DEP_1)
	s_and_b32 vcc_lo, exec_lo, s2
	s_cbranch_vccnz .LBB26_25
; %bb.7:
	s_load_b32 s0, s[0:1], 0xc5c
	v_dual_mov_b32 v10, 0 :: v_dual_lshlrev_b32 v9, 1, v0
	v_cmp_gt_u64_e64 s1, 0x10000, s[6:7]
	s_delay_alu instid0(VALU_DEP_2) | instskip(NEXT) | instid1(VALU_DEP_1)
	v_add_co_u32 v1, s2, s10, v9
	v_add_co_ci_u32_e64 v2, null, s11, 0, s2
	v_add_co_u32 v3, s2, s12, v9
	s_delay_alu instid0(VALU_DEP_1)
	v_add_co_ci_u32_e64 v4, null, s13, 0, s2
	s_waitcnt lgkmcnt(0)
	s_and_b32 s0, s0, 0xffff
	s_and_b32 s1, s1, exec_lo
	v_mad_u64_u32 v[7:8], null, s0, 6, v[9:10]
	s_cselect_b32 s9, s7, 0
	s_cselect_b32 s8, s6, 0x10000
	s_mul_i32 s2, s0, 3
	s_lshl_b32 s14, s0, 2
	s_lshl_b32 s1, s0, 1
	v_add_co_u32 v14, s3, s14, v9
	v_add_co_u32 v9, s2, s2, v0
	s_delay_alu instid0(VALU_DEP_1) | instskip(SKIP_3) | instid1(VALU_DEP_3)
	v_add_co_ci_u32_e64 v10, null, 0, 0, s2
	v_add_co_u32 v13, s2, v0, s0
	v_add_co_u32 v5, vcc_lo, s10, v7
	v_add_co_ci_u32_e32 v6, vcc_lo, s11, v8, vcc_lo
	v_lshlrev_b32_e32 v21, 1, v13
	v_add_co_u32 v7, vcc_lo, s12, v7
	v_add_co_ci_u32_e64 v15, null, 0, 0, s3
	v_add_co_ci_u32_e32 v8, vcc_lo, s13, v8, vcc_lo
	v_add_co_u32 v17, s1, s1, v0
	v_add_co_u32 v11, vcc_lo, s10, v14
	v_add_co_ci_u32_e64 v18, null, 0, 0, s1
	v_add_co_u32 v19, s1, s10, v21
	v_add_co_ci_u32_e32 v12, vcc_lo, s11, v15, vcc_lo
	v_add_co_u32 v14, vcc_lo, s12, v14
	v_add_co_ci_u32_e64 v20, null, s11, 0, s1
	v_add_co_u32 v21, s1, s12, v21
	v_add_co_ci_u32_e32 v15, vcc_lo, s13, v15, vcc_lo
	v_add_co_ci_u32_e64 v16, null, 0, 0, s2
	v_add_co_ci_u32_e64 v22, null, s13, 0, s1
	s_lshl_b32 s12, s0, 3
	s_mov_b64 s[10:11], 0
	s_branch .LBB26_9
.LBB26_8:                               ;   in Loop: Header=BB26_9 Depth=1
	s_or_b32 exec_lo, exec_lo, s0
	v_add_co_u32 v1, vcc_lo, v1, s12
	v_add_co_ci_u32_e32 v2, vcc_lo, 0, v2, vcc_lo
	v_add_co_u32 v3, vcc_lo, v3, s12
	v_add_co_ci_u32_e32 v4, vcc_lo, 0, v4, vcc_lo
	;; [unrolled: 2-line block ×5, first 2 shown]
	s_add_u32 s10, s10, s14
	v_add_co_u32 v14, vcc_lo, v14, s12
	s_addc_u32 s11, s11, 0
	v_add_co_ci_u32_e32 v15, vcc_lo, 0, v15, vcc_lo
	v_cmp_ge_i64_e64 s0, s[10:11], s[6:7]
	v_cmp_lt_u64_e64 s1, 0xffff, s[10:11]
	v_add_co_u32 v19, vcc_lo, v19, s12
	v_add_co_ci_u32_e32 v20, vcc_lo, 0, v20, vcc_lo
	v_add_co_u32 v21, vcc_lo, v21, s12
	v_add_co_ci_u32_e32 v22, vcc_lo, 0, v22, vcc_lo
	s_or_b32 s0, s0, s1
	s_delay_alu instid0(SALU_CYCLE_1)
	s_and_b32 vcc_lo, exec_lo, s0
	s_cbranch_vccnz .LBB26_25
.LBB26_9:                               ; =>This Inner Loop Header: Depth=1
	s_waitcnt vmcnt(0)
	v_add_co_u32 v23, s0, v0, s10
	s_delay_alu instid0(VALU_DEP_1) | instskip(NEXT) | instid1(VALU_DEP_1)
	v_add_co_ci_u32_e64 v24, null, 0, s11, s0
	v_cmp_gt_u64_e32 vcc_lo, s[8:9], v[23:24]
	v_mov_b32_e32 v23, 0
	s_and_saveexec_b32 s1, vcc_lo
	s_cbranch_execz .LBB26_11
; %bb.10:                               ;   in Loop: Header=BB26_9 Depth=1
	v_add_co_u32 v23, s0, v1, s4
	s_delay_alu instid0(VALU_DEP_1)
	v_add_co_ci_u32_e64 v24, s0, s5, v2, s0
	global_load_u16 v23, v[23:24], off
.LBB26_11:                              ;   in Loop: Header=BB26_9 Depth=1
	s_or_b32 exec_lo, exec_lo, s1
	v_add_co_u32 v24, s0, v13, s10
	s_delay_alu instid0(VALU_DEP_1) | instskip(NEXT) | instid1(VALU_DEP_1)
	v_add_co_ci_u32_e64 v25, s0, s11, v16, s0
	v_cmp_gt_u64_e64 s0, s[8:9], v[24:25]
	v_mov_b32_e32 v25, 0
	s_delay_alu instid0(VALU_DEP_2)
	s_and_saveexec_b32 s2, s0
	s_cbranch_execz .LBB26_13
; %bb.12:                               ;   in Loop: Header=BB26_9 Depth=1
	v_add_co_u32 v24, s1, v19, s4
	s_delay_alu instid0(VALU_DEP_1)
	v_add_co_ci_u32_e64 v25, s1, s5, v20, s1
	global_load_u16 v25, v[24:25], off
.LBB26_13:                              ;   in Loop: Header=BB26_9 Depth=1
	s_or_b32 exec_lo, exec_lo, s2
	v_add_co_u32 v26, s1, v17, s10
	s_delay_alu instid0(VALU_DEP_1) | instskip(SKIP_1) | instid1(VALU_DEP_2)
	v_add_co_ci_u32_e64 v27, s1, s11, v18, s1
	v_mov_b32_e32 v24, 0
	v_cmp_gt_u64_e64 s1, s[8:9], v[26:27]
	v_mov_b32_e32 v26, 0
	s_delay_alu instid0(VALU_DEP_2)
	s_and_saveexec_b32 s3, s1
	s_cbranch_execz .LBB26_15
; %bb.14:                               ;   in Loop: Header=BB26_9 Depth=1
	v_add_co_u32 v26, s2, v11, s4
	s_delay_alu instid0(VALU_DEP_1)
	v_add_co_ci_u32_e64 v27, s2, s5, v12, s2
	global_load_u16 v26, v[26:27], off
.LBB26_15:                              ;   in Loop: Header=BB26_9 Depth=1
	s_or_b32 exec_lo, exec_lo, s3
	v_add_co_u32 v27, s2, v9, s10
	s_delay_alu instid0(VALU_DEP_1) | instskip(NEXT) | instid1(VALU_DEP_1)
	v_add_co_ci_u32_e64 v28, s2, s11, v10, s2
	v_cmp_gt_u64_e64 s2, s[8:9], v[27:28]
	s_delay_alu instid0(VALU_DEP_1)
	s_and_saveexec_b32 s13, s2
	s_cbranch_execnz .LBB26_20
; %bb.16:                               ;   in Loop: Header=BB26_9 Depth=1
	s_or_b32 exec_lo, exec_lo, s13
	s_and_saveexec_b32 s3, vcc_lo
	s_cbranch_execnz .LBB26_21
.LBB26_17:                              ;   in Loop: Header=BB26_9 Depth=1
	s_or_b32 exec_lo, exec_lo, s3
	s_and_saveexec_b32 s3, s0
	s_cbranch_execnz .LBB26_22
.LBB26_18:                              ;   in Loop: Header=BB26_9 Depth=1
	s_or_b32 exec_lo, exec_lo, s3
	s_and_saveexec_b32 s0, s1
	s_cbranch_execnz .LBB26_23
.LBB26_19:                              ;   in Loop: Header=BB26_9 Depth=1
	s_or_b32 exec_lo, exec_lo, s0
	s_and_saveexec_b32 s0, s2
	s_cbranch_execz .LBB26_8
	s_branch .LBB26_24
.LBB26_20:                              ;   in Loop: Header=BB26_9 Depth=1
	v_add_co_u32 v27, s3, v5, s4
	s_delay_alu instid0(VALU_DEP_1)
	v_add_co_ci_u32_e64 v28, s3, s5, v6, s3
	global_load_u16 v24, v[27:28], off
	s_or_b32 exec_lo, exec_lo, s13
	s_and_saveexec_b32 s3, vcc_lo
	s_cbranch_execz .LBB26_17
.LBB26_21:                              ;   in Loop: Header=BB26_9 Depth=1
	v_add_co_u32 v27, vcc_lo, v3, s4
	v_add_co_ci_u32_e32 v28, vcc_lo, s5, v4, vcc_lo
	s_waitcnt vmcnt(0)
	v_floor_f16_e32 v23, v23
	global_store_b16 v[27:28], v23, off
	s_or_b32 exec_lo, exec_lo, s3
	s_and_saveexec_b32 s3, s0
	s_cbranch_execz .LBB26_18
.LBB26_22:                              ;   in Loop: Header=BB26_9 Depth=1
	v_add_co_u32 v27, vcc_lo, v21, s4
	s_waitcnt vmcnt(0)
	v_floor_f16_e32 v23, v25
	v_add_co_ci_u32_e32 v28, vcc_lo, s5, v22, vcc_lo
	global_store_b16 v[27:28], v23, off
	s_or_b32 exec_lo, exec_lo, s3
	s_and_saveexec_b32 s0, s1
	s_cbranch_execz .LBB26_19
.LBB26_23:                              ;   in Loop: Header=BB26_9 Depth=1
	s_waitcnt vmcnt(0)
	v_add_co_u32 v25, vcc_lo, v14, s4
	v_floor_f16_e32 v23, v26
	v_add_co_ci_u32_e32 v26, vcc_lo, s5, v15, vcc_lo
	global_store_b16 v[25:26], v23, off
	s_or_b32 exec_lo, exec_lo, s0
	s_and_saveexec_b32 s0, s2
	s_cbranch_execz .LBB26_8
.LBB26_24:                              ;   in Loop: Header=BB26_9 Depth=1
	s_waitcnt vmcnt(0)
	v_add_co_u32 v23, vcc_lo, v7, s4
	v_floor_f16_e32 v25, v24
	v_add_co_ci_u32_e32 v24, vcc_lo, s5, v8, vcc_lo
	global_store_b16 v[23:24], v25, off
	s_branch .LBB26_8
.LBB26_25:
	s_nop 0
	s_sendmsg sendmsg(MSG_DEALLOC_VGPRS)
	s_endpgm
	.section	.rodata,"a",@progbits
	.p2align	6, 0x0
	.amdhsa_kernel _ZN2at6native12_GLOBAL__N_125multi_tensor_apply_kernelINS1_18TensorListMetadataILi2EEENS1_14UnaryOpFunctorIN3c104HalfELi2ELi1ELi1EEEJNS0_5FloorIfEEEEEvT_T0_DpT1_
		.amdhsa_group_segment_fixed_size 0
		.amdhsa_private_segment_fixed_size 0
		.amdhsa_kernarg_size 3408
		.amdhsa_user_sgpr_count 15
		.amdhsa_user_sgpr_dispatch_ptr 0
		.amdhsa_user_sgpr_queue_ptr 0
		.amdhsa_user_sgpr_kernarg_segment_ptr 1
		.amdhsa_user_sgpr_dispatch_id 0
		.amdhsa_user_sgpr_private_segment_size 0
		.amdhsa_wavefront_size32 1
		.amdhsa_uses_dynamic_stack 0
		.amdhsa_enable_private_segment 0
		.amdhsa_system_sgpr_workgroup_id_x 1
		.amdhsa_system_sgpr_workgroup_id_y 0
		.amdhsa_system_sgpr_workgroup_id_z 0
		.amdhsa_system_sgpr_workgroup_info 0
		.amdhsa_system_vgpr_workitem_id 0
		.amdhsa_next_free_vgpr 29
		.amdhsa_next_free_sgpr 22
		.amdhsa_reserve_vcc 1
		.amdhsa_float_round_mode_32 0
		.amdhsa_float_round_mode_16_64 0
		.amdhsa_float_denorm_mode_32 3
		.amdhsa_float_denorm_mode_16_64 3
		.amdhsa_dx10_clamp 1
		.amdhsa_ieee_mode 1
		.amdhsa_fp16_overflow 0
		.amdhsa_workgroup_processor_mode 1
		.amdhsa_memory_ordered 1
		.amdhsa_forward_progress 0
		.amdhsa_shared_vgpr_count 0
		.amdhsa_exception_fp_ieee_invalid_op 0
		.amdhsa_exception_fp_denorm_src 0
		.amdhsa_exception_fp_ieee_div_zero 0
		.amdhsa_exception_fp_ieee_overflow 0
		.amdhsa_exception_fp_ieee_underflow 0
		.amdhsa_exception_fp_ieee_inexact 0
		.amdhsa_exception_int_div_zero 0
	.end_amdhsa_kernel
	.section	.text._ZN2at6native12_GLOBAL__N_125multi_tensor_apply_kernelINS1_18TensorListMetadataILi2EEENS1_14UnaryOpFunctorIN3c104HalfELi2ELi1ELi1EEEJNS0_5FloorIfEEEEEvT_T0_DpT1_,"axG",@progbits,_ZN2at6native12_GLOBAL__N_125multi_tensor_apply_kernelINS1_18TensorListMetadataILi2EEENS1_14UnaryOpFunctorIN3c104HalfELi2ELi1ELi1EEEJNS0_5FloorIfEEEEEvT_T0_DpT1_,comdat
.Lfunc_end26:
	.size	_ZN2at6native12_GLOBAL__N_125multi_tensor_apply_kernelINS1_18TensorListMetadataILi2EEENS1_14UnaryOpFunctorIN3c104HalfELi2ELi1ELi1EEEJNS0_5FloorIfEEEEEvT_T0_DpT1_, .Lfunc_end26-_ZN2at6native12_GLOBAL__N_125multi_tensor_apply_kernelINS1_18TensorListMetadataILi2EEENS1_14UnaryOpFunctorIN3c104HalfELi2ELi1ELi1EEEJNS0_5FloorIfEEEEEvT_T0_DpT1_
                                        ; -- End function
	.section	.AMDGPU.csdata,"",@progbits
; Kernel info:
; codeLenInByte = 1424
; NumSgprs: 24
; NumVgprs: 29
; ScratchSize: 0
; MemoryBound: 0
; FloatMode: 240
; IeeeMode: 1
; LDSByteSize: 0 bytes/workgroup (compile time only)
; SGPRBlocks: 2
; VGPRBlocks: 3
; NumSGPRsForWavesPerEU: 24
; NumVGPRsForWavesPerEU: 29
; Occupancy: 16
; WaveLimiterHint : 0
; COMPUTE_PGM_RSRC2:SCRATCH_EN: 0
; COMPUTE_PGM_RSRC2:USER_SGPR: 15
; COMPUTE_PGM_RSRC2:TRAP_HANDLER: 0
; COMPUTE_PGM_RSRC2:TGID_X_EN: 1
; COMPUTE_PGM_RSRC2:TGID_Y_EN: 0
; COMPUTE_PGM_RSRC2:TGID_Z_EN: 0
; COMPUTE_PGM_RSRC2:TIDIG_COMP_CNT: 0
	.section	.text._ZN2at6native12_GLOBAL__N_125multi_tensor_apply_kernelINS1_18TensorListMetadataILi2EEENS1_14UnaryOpFunctorIN3c108BFloat16ELi2ELi1ELi1EEEJNS0_5FloorIfEEEEEvT_T0_DpT1_,"axG",@progbits,_ZN2at6native12_GLOBAL__N_125multi_tensor_apply_kernelINS1_18TensorListMetadataILi2EEENS1_14UnaryOpFunctorIN3c108BFloat16ELi2ELi1ELi1EEEJNS0_5FloorIfEEEEEvT_T0_DpT1_,comdat
	.globl	_ZN2at6native12_GLOBAL__N_125multi_tensor_apply_kernelINS1_18TensorListMetadataILi2EEENS1_14UnaryOpFunctorIN3c108BFloat16ELi2ELi1ELi1EEEJNS0_5FloorIfEEEEEvT_T0_DpT1_ ; -- Begin function _ZN2at6native12_GLOBAL__N_125multi_tensor_apply_kernelINS1_18TensorListMetadataILi2EEENS1_14UnaryOpFunctorIN3c108BFloat16ELi2ELi1ELi1EEEJNS0_5FloorIfEEEEEvT_T0_DpT1_
	.p2align	8
	.type	_ZN2at6native12_GLOBAL__N_125multi_tensor_apply_kernelINS1_18TensorListMetadataILi2EEENS1_14UnaryOpFunctorIN3c108BFloat16ELi2ELi1ELi1EEEJNS0_5FloorIfEEEEEvT_T0_DpT1_,@function
_ZN2at6native12_GLOBAL__N_125multi_tensor_apply_kernelINS1_18TensorListMetadataILi2EEENS1_14UnaryOpFunctorIN3c108BFloat16ELi2ELi1ELi1EEEJNS0_5FloorIfEEEEEvT_T0_DpT1_: ; @_ZN2at6native12_GLOBAL__N_125multi_tensor_apply_kernelINS1_18TensorListMetadataILi2EEENS1_14UnaryOpFunctorIN3c108BFloat16ELi2ELi1ELi1EEEJNS0_5FloorIfEEEEEvT_T0_DpT1_
; %bb.0:
	v_mov_b32_e32 v1, s15
	s_add_u32 s2, s0, s15
	s_mul_hi_u32 s3, s15, 3
	s_mul_i32 s15, s15, 3
	s_addc_u32 s4, s1, 0
	global_load_u8 v1, v1, s[0:1] offset:1536
	s_add_u32 s2, s2, s15
	s_addc_u32 s3, s4, s3
	s_mov_b32 s9, 0
	s_load_b32 s2, s[2:3], 0x740
	s_mov_b32 s17, s9
	s_mov_b32 s15, s9
	s_waitcnt vmcnt(0)
	v_readfirstlane_b32 s5, v1
	s_delay_alu instid0(VALU_DEP_1)
	s_lshl_b32 s3, s5, 3
	s_clause 0x2
	s_load_b64 s[10:11], s[0:1], s3 offset:0x0
	s_load_b64 s[12:13], s[0:1], s3 offset:0x200
	;; [unrolled: 1-line block ×3, first 2 shown]
	s_waitcnt lgkmcnt(0)
	s_ashr_i32 s3, s2, 31
	s_delay_alu instid0(SALU_CYCLE_1) | instskip(SKIP_4) | instid1(SALU_CYCLE_1)
	s_lshl_b64 s[6:7], s[2:3], 17
	s_lshl_b64 s[2:3], s[2:3], 16
	s_and_b32 s8, s10, 7
	s_and_b32 s14, s12, 7
	;; [unrolled: 1-line block ×3, first 2 shown]
	s_or_b64 s[8:9], s[8:9], s[16:17]
	s_delay_alu instid0(SALU_CYCLE_1)
	s_or_b64 s[14:15], s[14:15], s[8:9]
	s_sub_u32 s8, s4, s2
	s_subb_u32 s9, s5, s3
	s_cmp_eq_u64 s[14:15], 0
	s_mov_b32 s2, -1
	s_cbranch_scc0 .LBB27_5
; %bb.1:
	v_dual_mov_b32 v2, 0 :: v_dual_lshlrev_b32 v1, 2, v0
	s_mov_b32 s14, exec_lo
	s_delay_alu instid0(VALU_DEP_1)
	v_cmpx_gt_i64_e64 s[8:9], v[1:2]
	s_cbranch_execz .LBB27_4
; %bb.2:
	s_load_b32 s2, s[0:1], 0xc5c
	v_lshlrev_b32_e32 v1, 3, v0
	s_mov_b32 s15, 0
	s_delay_alu instid0(VALU_DEP_1) | instskip(NEXT) | instid1(VALU_DEP_1)
	v_add_co_u32 v3, s3, s6, v1
	v_add_co_ci_u32_e64 v4, null, s7, 0, s3
	s_waitcnt lgkmcnt(0)
	s_and_b32 s2, s2, 0xffff
	s_delay_alu instid0(SALU_CYCLE_1)
	v_add_lshl_u32 v1, v0, s2, 2
	s_lshl_b32 s16, s2, 3
	s_lshl_b32 s17, s2, 2
.LBB27_3:                               ; =>This Inner Loop Header: Depth=1
	v_add_co_u32 v5, vcc_lo, s10, v3
	v_add_co_ci_u32_e32 v6, vcc_lo, s11, v4, vcc_lo
	v_add_co_u32 v7, vcc_lo, s12, v3
	v_add_co_ci_u32_e32 v8, vcc_lo, s13, v4, vcc_lo
	global_load_b64 v[5:6], v[5:6], off
	v_cmp_le_i64_e32 vcc_lo, s[8:9], v[1:2]
	v_cmp_lt_u64_e64 s2, 0xffff, v[1:2]
	v_add_co_u32 v3, s3, v3, s16
	s_delay_alu instid0(VALU_DEP_1) | instskip(SKIP_1) | instid1(VALU_DEP_4)
	v_add_co_ci_u32_e64 v4, s3, 0, v4, s3
	v_add_co_u32 v1, s3, v1, s17
	s_or_b32 s2, vcc_lo, s2
	v_add_co_ci_u32_e64 v2, s3, 0, v2, s3
	s_and_b32 s2, exec_lo, s2
	s_delay_alu instid0(SALU_CYCLE_1)
	s_or_b32 s15, s2, s15
	s_waitcnt vmcnt(0)
	v_lshlrev_b32_e32 v9, 16, v5
	v_alignbit_b32 v10, v6, v5, 16
	v_and_b32_e32 v5, 0xffff0000, v5
	v_and_b32_e32 v6, 0xffff0000, v6
	s_delay_alu instid0(VALU_DEP_4) | instskip(NEXT) | instid1(VALU_DEP_4)
	v_floor_f32_e32 v9, v9
	v_and_b32_e32 v10, 0xffff0000, v10
	s_delay_alu instid0(VALU_DEP_4) | instskip(NEXT) | instid1(VALU_DEP_4)
	v_floor_f32_e32 v5, v5
	v_floor_f32_e32 v6, v6
	s_delay_alu instid0(VALU_DEP_4) | instskip(NEXT) | instid1(VALU_DEP_4)
	v_bfe_u32 v11, v9, 16, 1
	v_floor_f32_e32 v10, v10
	s_delay_alu instid0(VALU_DEP_4) | instskip(NEXT) | instid1(VALU_DEP_4)
	v_bfe_u32 v12, v5, 16, 1
	v_bfe_u32 v13, v6, 16, 1
	v_cmp_o_f32_e64 s4, v9, v9
	v_add3_u32 v11, v9, v11, 0x7fff
	v_bfe_u32 v14, v10, 16, 1
	v_add3_u32 v12, v5, v12, 0x7fff
	v_add3_u32 v13, v6, v13, 0x7fff
	v_cmp_o_f32_e64 s5, v5, v5
	v_lshrrev_b32_e32 v11, 16, v11
	v_add3_u32 v14, v10, v14, 0x7fff
	v_and_b32_e32 v12, 0xffff0000, v12
	v_and_b32_e32 v13, 0xffff0000, v13
	s_delay_alu instid0(VALU_DEP_4) | instskip(SKIP_3) | instid1(VALU_DEP_3)
	v_cndmask_b32_e64 v11, 0x7fc0, v11, s4
	v_cmp_o_f32_e64 s4, v6, v6
	v_lshrrev_b32_e32 v5, 16, v14
	v_cndmask_b32_e64 v9, 0x7fc00000, v12, s5
	v_cndmask_b32_e64 v6, 0x7fc00000, v13, s4
	v_cmp_o_f32_e64 s4, v10, v10
	s_delay_alu instid0(VALU_DEP_3) | instskip(NEXT) | instid1(VALU_DEP_2)
	v_or_b32_e32 v9, v11, v9
	v_cndmask_b32_e64 v5, 0x7fc0, v5, s4
	s_delay_alu instid0(VALU_DEP_1) | instskip(NEXT) | instid1(VALU_DEP_3)
	v_or3_b32 v6, 0, v5, v6
	v_or3_b32 v5, v9, 0, 0
	global_store_b64 v[7:8], v[5:6], off
	s_and_not1_b32 exec_lo, exec_lo, s15
	s_cbranch_execnz .LBB27_3
.LBB27_4:
	s_or_b32 exec_lo, exec_lo, s14
	s_mov_b32 s2, 0
.LBB27_5:
	s_delay_alu instid0(SALU_CYCLE_1)
	s_and_not1_b32 vcc_lo, exec_lo, s2
	s_cbranch_vccnz .LBB27_25
; %bb.6:
	v_cmp_lt_i64_e64 s2, s[8:9], 1
	s_delay_alu instid0(VALU_DEP_1)
	s_and_b32 vcc_lo, exec_lo, s2
	s_cbranch_vccnz .LBB27_25
; %bb.7:
	s_load_b32 s0, s[0:1], 0xc5c
	v_dual_mov_b32 v10, 0 :: v_dual_lshlrev_b32 v9, 1, v0
	v_cmp_gt_u64_e64 s1, 0x10000, s[8:9]
	s_delay_alu instid0(VALU_DEP_2) | instskip(NEXT) | instid1(VALU_DEP_1)
	v_add_co_u32 v1, s2, s10, v9
	v_add_co_ci_u32_e64 v2, null, s11, 0, s2
	v_add_co_u32 v3, s2, s12, v9
	s_delay_alu instid0(VALU_DEP_1)
	v_add_co_ci_u32_e64 v4, null, s13, 0, s2
	s_waitcnt lgkmcnt(0)
	s_and_b32 s0, s0, 0xffff
	s_and_b32 s1, s1, exec_lo
	v_mad_u64_u32 v[7:8], null, s0, 6, v[9:10]
	s_cselect_b32 s5, s9, 0
	s_cselect_b32 s4, s8, 0x10000
	s_mul_i32 s2, s0, 3
	s_lshl_b32 s14, s0, 2
	s_lshl_b32 s1, s0, 1
	v_add_co_u32 v14, s3, s14, v9
	v_add_co_u32 v9, s2, s2, v0
	s_delay_alu instid0(VALU_DEP_1) | instskip(SKIP_3) | instid1(VALU_DEP_3)
	v_add_co_ci_u32_e64 v10, null, 0, 0, s2
	v_add_co_u32 v13, s2, v0, s0
	v_add_co_u32 v5, vcc_lo, s10, v7
	v_add_co_ci_u32_e32 v6, vcc_lo, s11, v8, vcc_lo
	v_lshlrev_b32_e32 v21, 1, v13
	v_add_co_u32 v7, vcc_lo, s12, v7
	v_add_co_ci_u32_e64 v15, null, 0, 0, s3
	v_add_co_ci_u32_e32 v8, vcc_lo, s13, v8, vcc_lo
	v_add_co_u32 v17, s1, s1, v0
	v_add_co_u32 v11, vcc_lo, s10, v14
	v_add_co_ci_u32_e64 v18, null, 0, 0, s1
	v_add_co_u32 v19, s1, s10, v21
	v_add_co_ci_u32_e32 v12, vcc_lo, s11, v15, vcc_lo
	v_add_co_u32 v14, vcc_lo, s12, v14
	v_add_co_ci_u32_e64 v20, null, s11, 0, s1
	v_add_co_u32 v21, s1, s12, v21
	v_add_co_ci_u32_e32 v15, vcc_lo, s13, v15, vcc_lo
	v_add_co_ci_u32_e64 v16, null, 0, 0, s2
	v_add_co_ci_u32_e64 v22, null, s13, 0, s1
	s_lshl_b32 s12, s0, 3
	s_mov_b64 s[10:11], 0
	s_branch .LBB27_9
.LBB27_8:                               ;   in Loop: Header=BB27_9 Depth=1
	s_or_b32 exec_lo, exec_lo, s0
	v_add_co_u32 v1, vcc_lo, v1, s12
	v_add_co_ci_u32_e32 v2, vcc_lo, 0, v2, vcc_lo
	v_add_co_u32 v3, vcc_lo, v3, s12
	v_add_co_ci_u32_e32 v4, vcc_lo, 0, v4, vcc_lo
	;; [unrolled: 2-line block ×5, first 2 shown]
	s_add_u32 s10, s10, s14
	v_add_co_u32 v14, vcc_lo, v14, s12
	s_addc_u32 s11, s11, 0
	v_add_co_ci_u32_e32 v15, vcc_lo, 0, v15, vcc_lo
	v_cmp_ge_i64_e64 s0, s[10:11], s[8:9]
	v_cmp_lt_u64_e64 s1, 0xffff, s[10:11]
	v_add_co_u32 v19, vcc_lo, v19, s12
	v_add_co_ci_u32_e32 v20, vcc_lo, 0, v20, vcc_lo
	v_add_co_u32 v21, vcc_lo, v21, s12
	v_add_co_ci_u32_e32 v22, vcc_lo, 0, v22, vcc_lo
	s_or_b32 s0, s0, s1
	s_delay_alu instid0(SALU_CYCLE_1)
	s_and_b32 vcc_lo, exec_lo, s0
	s_cbranch_vccnz .LBB27_25
.LBB27_9:                               ; =>This Inner Loop Header: Depth=1
	s_waitcnt vmcnt(0)
	v_add_co_u32 v23, s0, v0, s10
	s_delay_alu instid0(VALU_DEP_1) | instskip(NEXT) | instid1(VALU_DEP_1)
	v_add_co_ci_u32_e64 v24, null, 0, s11, s0
	v_cmp_gt_u64_e32 vcc_lo, s[4:5], v[23:24]
	v_mov_b32_e32 v24, 0
	s_and_saveexec_b32 s1, vcc_lo
	s_cbranch_execz .LBB27_11
; %bb.10:                               ;   in Loop: Header=BB27_9 Depth=1
	v_add_co_u32 v23, s0, v1, s6
	s_delay_alu instid0(VALU_DEP_1)
	v_add_co_ci_u32_e64 v24, s0, s7, v2, s0
	global_load_u16 v24, v[23:24], off
.LBB27_11:                              ;   in Loop: Header=BB27_9 Depth=1
	s_or_b32 exec_lo, exec_lo, s1
	v_add_co_u32 v25, s0, v13, s10
	s_delay_alu instid0(VALU_DEP_1) | instskip(NEXT) | instid1(VALU_DEP_1)
	v_add_co_ci_u32_e64 v26, s0, s11, v16, s0
	v_cmp_gt_u64_e64 s0, s[4:5], v[25:26]
	v_mov_b32_e32 v25, 0
	s_delay_alu instid0(VALU_DEP_2)
	s_and_saveexec_b32 s2, s0
	s_cbranch_execz .LBB27_13
; %bb.12:                               ;   in Loop: Header=BB27_9 Depth=1
	v_add_co_u32 v25, s1, v19, s6
	s_delay_alu instid0(VALU_DEP_1)
	v_add_co_ci_u32_e64 v26, s1, s7, v20, s1
	global_load_u16 v25, v[25:26], off
.LBB27_13:                              ;   in Loop: Header=BB27_9 Depth=1
	s_or_b32 exec_lo, exec_lo, s2
	v_add_co_u32 v26, s1, v17, s10
	s_delay_alu instid0(VALU_DEP_1) | instskip(SKIP_1) | instid1(VALU_DEP_2)
	v_add_co_ci_u32_e64 v27, s1, s11, v18, s1
	v_mov_b32_e32 v23, 0
	v_cmp_gt_u64_e64 s1, s[4:5], v[26:27]
	v_mov_b32_e32 v26, 0
	s_delay_alu instid0(VALU_DEP_2)
	s_and_saveexec_b32 s3, s1
	s_cbranch_execz .LBB27_15
; %bb.14:                               ;   in Loop: Header=BB27_9 Depth=1
	v_add_co_u32 v26, s2, v11, s6
	s_delay_alu instid0(VALU_DEP_1)
	v_add_co_ci_u32_e64 v27, s2, s7, v12, s2
	global_load_u16 v26, v[26:27], off
.LBB27_15:                              ;   in Loop: Header=BB27_9 Depth=1
	s_or_b32 exec_lo, exec_lo, s3
	v_add_co_u32 v27, s2, v9, s10
	s_delay_alu instid0(VALU_DEP_1) | instskip(NEXT) | instid1(VALU_DEP_1)
	v_add_co_ci_u32_e64 v28, s2, s11, v10, s2
	v_cmp_gt_u64_e64 s2, s[4:5], v[27:28]
	s_delay_alu instid0(VALU_DEP_1)
	s_and_saveexec_b32 s13, s2
	s_cbranch_execnz .LBB27_20
; %bb.16:                               ;   in Loop: Header=BB27_9 Depth=1
	s_or_b32 exec_lo, exec_lo, s13
	s_and_saveexec_b32 s3, vcc_lo
	s_cbranch_execnz .LBB27_21
.LBB27_17:                              ;   in Loop: Header=BB27_9 Depth=1
	s_or_b32 exec_lo, exec_lo, s3
	s_and_saveexec_b32 s3, s0
	s_cbranch_execnz .LBB27_22
.LBB27_18:                              ;   in Loop: Header=BB27_9 Depth=1
	s_or_b32 exec_lo, exec_lo, s3
	s_and_saveexec_b32 s0, s1
	s_cbranch_execnz .LBB27_23
.LBB27_19:                              ;   in Loop: Header=BB27_9 Depth=1
	s_or_b32 exec_lo, exec_lo, s0
	s_and_saveexec_b32 s0, s2
	s_cbranch_execz .LBB27_8
	s_branch .LBB27_24
.LBB27_20:                              ;   in Loop: Header=BB27_9 Depth=1
	v_add_co_u32 v27, s3, v5, s6
	s_delay_alu instid0(VALU_DEP_1)
	v_add_co_ci_u32_e64 v28, s3, s7, v6, s3
	global_load_u16 v23, v[27:28], off
	s_or_b32 exec_lo, exec_lo, s13
	s_and_saveexec_b32 s3, vcc_lo
	s_cbranch_execz .LBB27_17
.LBB27_21:                              ;   in Loop: Header=BB27_9 Depth=1
	s_waitcnt vmcnt(0)
	v_lshlrev_b32_e32 v24, 16, v24
	s_delay_alu instid0(VALU_DEP_1) | instskip(NEXT) | instid1(VALU_DEP_1)
	v_floor_f32_e32 v24, v24
	v_bfe_u32 v27, v24, 16, 1
	v_cmp_o_f32_e32 vcc_lo, v24, v24
	s_delay_alu instid0(VALU_DEP_2) | instskip(NEXT) | instid1(VALU_DEP_1)
	v_add3_u32 v27, v24, v27, 0x7fff
	v_lshrrev_b32_e32 v27, 16, v27
	s_delay_alu instid0(VALU_DEP_1)
	v_cndmask_b32_e32 v24, 0x7fc0, v27, vcc_lo
	v_add_co_u32 v27, vcc_lo, v3, s6
	v_add_co_ci_u32_e32 v28, vcc_lo, s7, v4, vcc_lo
	global_store_b16 v[27:28], v24, off
	s_or_b32 exec_lo, exec_lo, s3
	s_and_saveexec_b32 s3, s0
	s_cbranch_execz .LBB27_18
.LBB27_22:                              ;   in Loop: Header=BB27_9 Depth=1
	s_waitcnt vmcnt(0)
	v_lshlrev_b32_e32 v24, 16, v25
	s_delay_alu instid0(VALU_DEP_1) | instskip(NEXT) | instid1(VALU_DEP_1)
	v_floor_f32_e32 v24, v24
	v_bfe_u32 v25, v24, 16, 1
	v_cmp_o_f32_e32 vcc_lo, v24, v24
	s_delay_alu instid0(VALU_DEP_2) | instskip(NEXT) | instid1(VALU_DEP_1)
	v_add3_u32 v25, v24, v25, 0x7fff
	v_lshrrev_b32_e32 v25, 16, v25
	s_delay_alu instid0(VALU_DEP_1)
	v_cndmask_b32_e32 v27, 0x7fc0, v25, vcc_lo
	v_add_co_u32 v24, vcc_lo, v21, s6
	v_add_co_ci_u32_e32 v25, vcc_lo, s7, v22, vcc_lo
	global_store_b16 v[24:25], v27, off
	s_or_b32 exec_lo, exec_lo, s3
	s_and_saveexec_b32 s0, s1
	s_cbranch_execz .LBB27_19
.LBB27_23:                              ;   in Loop: Header=BB27_9 Depth=1
	s_waitcnt vmcnt(0)
	v_lshlrev_b32_e32 v24, 16, v26
	s_delay_alu instid0(VALU_DEP_1) | instskip(NEXT) | instid1(VALU_DEP_1)
	v_floor_f32_e32 v24, v24
	v_bfe_u32 v25, v24, 16, 1
	v_cmp_o_f32_e32 vcc_lo, v24, v24
	s_delay_alu instid0(VALU_DEP_2) | instskip(NEXT) | instid1(VALU_DEP_1)
	v_add3_u32 v25, v24, v25, 0x7fff
	v_lshrrev_b32_e32 v25, 16, v25
	s_delay_alu instid0(VALU_DEP_1)
	v_cndmask_b32_e32 v26, 0x7fc0, v25, vcc_lo
	v_add_co_u32 v24, vcc_lo, v14, s6
	v_add_co_ci_u32_e32 v25, vcc_lo, s7, v15, vcc_lo
	global_store_b16 v[24:25], v26, off
	s_or_b32 exec_lo, exec_lo, s0
	s_and_saveexec_b32 s0, s2
	s_cbranch_execz .LBB27_8
.LBB27_24:                              ;   in Loop: Header=BB27_9 Depth=1
	s_waitcnt vmcnt(0)
	v_lshlrev_b32_e32 v23, 16, v23
	s_delay_alu instid0(VALU_DEP_1) | instskip(NEXT) | instid1(VALU_DEP_1)
	v_floor_f32_e32 v23, v23
	v_bfe_u32 v24, v23, 16, 1
	v_cmp_o_f32_e32 vcc_lo, v23, v23
	s_delay_alu instid0(VALU_DEP_2) | instskip(NEXT) | instid1(VALU_DEP_1)
	v_add3_u32 v24, v23, v24, 0x7fff
	v_lshrrev_b32_e32 v24, 16, v24
	s_delay_alu instid0(VALU_DEP_1)
	v_cndmask_b32_e32 v25, 0x7fc0, v24, vcc_lo
	v_add_co_u32 v23, vcc_lo, v7, s6
	v_add_co_ci_u32_e32 v24, vcc_lo, s7, v8, vcc_lo
	global_store_b16 v[23:24], v25, off
	s_branch .LBB27_8
.LBB27_25:
	s_nop 0
	s_sendmsg sendmsg(MSG_DEALLOC_VGPRS)
	s_endpgm
	.section	.rodata,"a",@progbits
	.p2align	6, 0x0
	.amdhsa_kernel _ZN2at6native12_GLOBAL__N_125multi_tensor_apply_kernelINS1_18TensorListMetadataILi2EEENS1_14UnaryOpFunctorIN3c108BFloat16ELi2ELi1ELi1EEEJNS0_5FloorIfEEEEEvT_T0_DpT1_
		.amdhsa_group_segment_fixed_size 0
		.amdhsa_private_segment_fixed_size 0
		.amdhsa_kernarg_size 3408
		.amdhsa_user_sgpr_count 15
		.amdhsa_user_sgpr_dispatch_ptr 0
		.amdhsa_user_sgpr_queue_ptr 0
		.amdhsa_user_sgpr_kernarg_segment_ptr 1
		.amdhsa_user_sgpr_dispatch_id 0
		.amdhsa_user_sgpr_private_segment_size 0
		.amdhsa_wavefront_size32 1
		.amdhsa_uses_dynamic_stack 0
		.amdhsa_enable_private_segment 0
		.amdhsa_system_sgpr_workgroup_id_x 1
		.amdhsa_system_sgpr_workgroup_id_y 0
		.amdhsa_system_sgpr_workgroup_id_z 0
		.amdhsa_system_sgpr_workgroup_info 0
		.amdhsa_system_vgpr_workitem_id 0
		.amdhsa_next_free_vgpr 29
		.amdhsa_next_free_sgpr 18
		.amdhsa_reserve_vcc 1
		.amdhsa_float_round_mode_32 0
		.amdhsa_float_round_mode_16_64 0
		.amdhsa_float_denorm_mode_32 3
		.amdhsa_float_denorm_mode_16_64 3
		.amdhsa_dx10_clamp 1
		.amdhsa_ieee_mode 1
		.amdhsa_fp16_overflow 0
		.amdhsa_workgroup_processor_mode 1
		.amdhsa_memory_ordered 1
		.amdhsa_forward_progress 0
		.amdhsa_shared_vgpr_count 0
		.amdhsa_exception_fp_ieee_invalid_op 0
		.amdhsa_exception_fp_denorm_src 0
		.amdhsa_exception_fp_ieee_div_zero 0
		.amdhsa_exception_fp_ieee_overflow 0
		.amdhsa_exception_fp_ieee_underflow 0
		.amdhsa_exception_fp_ieee_inexact 0
		.amdhsa_exception_int_div_zero 0
	.end_amdhsa_kernel
	.section	.text._ZN2at6native12_GLOBAL__N_125multi_tensor_apply_kernelINS1_18TensorListMetadataILi2EEENS1_14UnaryOpFunctorIN3c108BFloat16ELi2ELi1ELi1EEEJNS0_5FloorIfEEEEEvT_T0_DpT1_,"axG",@progbits,_ZN2at6native12_GLOBAL__N_125multi_tensor_apply_kernelINS1_18TensorListMetadataILi2EEENS1_14UnaryOpFunctorIN3c108BFloat16ELi2ELi1ELi1EEEJNS0_5FloorIfEEEEEvT_T0_DpT1_,comdat
.Lfunc_end27:
	.size	_ZN2at6native12_GLOBAL__N_125multi_tensor_apply_kernelINS1_18TensorListMetadataILi2EEENS1_14UnaryOpFunctorIN3c108BFloat16ELi2ELi1ELi1EEEJNS0_5FloorIfEEEEEvT_T0_DpT1_, .Lfunc_end27-_ZN2at6native12_GLOBAL__N_125multi_tensor_apply_kernelINS1_18TensorListMetadataILi2EEENS1_14UnaryOpFunctorIN3c108BFloat16ELi2ELi1ELi1EEEJNS0_5FloorIfEEEEEvT_T0_DpT1_
                                        ; -- End function
	.section	.AMDGPU.csdata,"",@progbits
; Kernel info:
; codeLenInByte = 1860
; NumSgprs: 20
; NumVgprs: 29
; ScratchSize: 0
; MemoryBound: 0
; FloatMode: 240
; IeeeMode: 1
; LDSByteSize: 0 bytes/workgroup (compile time only)
; SGPRBlocks: 2
; VGPRBlocks: 3
; NumSGPRsForWavesPerEU: 20
; NumVGPRsForWavesPerEU: 29
; Occupancy: 16
; WaveLimiterHint : 0
; COMPUTE_PGM_RSRC2:SCRATCH_EN: 0
; COMPUTE_PGM_RSRC2:USER_SGPR: 15
; COMPUTE_PGM_RSRC2:TRAP_HANDLER: 0
; COMPUTE_PGM_RSRC2:TGID_X_EN: 1
; COMPUTE_PGM_RSRC2:TGID_Y_EN: 0
; COMPUTE_PGM_RSRC2:TGID_Z_EN: 0
; COMPUTE_PGM_RSRC2:TIDIG_COMP_CNT: 0
	.section	.text._ZN2at6native12_GLOBAL__N_125multi_tensor_apply_kernelINS1_18TensorListMetadataILi1EEENS1_14UnaryOpFunctorIdLi1ELi1ELi0EEEJNS0_5FloorIdEEEEEvT_T0_DpT1_,"axG",@progbits,_ZN2at6native12_GLOBAL__N_125multi_tensor_apply_kernelINS1_18TensorListMetadataILi1EEENS1_14UnaryOpFunctorIdLi1ELi1ELi0EEEJNS0_5FloorIdEEEEEvT_T0_DpT1_,comdat
	.globl	_ZN2at6native12_GLOBAL__N_125multi_tensor_apply_kernelINS1_18TensorListMetadataILi1EEENS1_14UnaryOpFunctorIdLi1ELi1ELi0EEEJNS0_5FloorIdEEEEEvT_T0_DpT1_ ; -- Begin function _ZN2at6native12_GLOBAL__N_125multi_tensor_apply_kernelINS1_18TensorListMetadataILi1EEENS1_14UnaryOpFunctorIdLi1ELi1ELi0EEEJNS0_5FloorIdEEEEEvT_T0_DpT1_
	.p2align	8
	.type	_ZN2at6native12_GLOBAL__N_125multi_tensor_apply_kernelINS1_18TensorListMetadataILi1EEENS1_14UnaryOpFunctorIdLi1ELi1ELi0EEEJNS0_5FloorIdEEEEEvT_T0_DpT1_,@function
_ZN2at6native12_GLOBAL__N_125multi_tensor_apply_kernelINS1_18TensorListMetadataILi1EEENS1_14UnaryOpFunctorIdLi1ELi1ELi0EEEJNS0_5FloorIdEEEEEvT_T0_DpT1_: ; @_ZN2at6native12_GLOBAL__N_125multi_tensor_apply_kernelINS1_18TensorListMetadataILi1EEENS1_14UnaryOpFunctorIdLi1ELi1ELi0EEEJNS0_5FloorIdEEEEEvT_T0_DpT1_
; %bb.0:
	v_mov_b32_e32 v1, s15
	s_add_u32 s2, s0, s15
	s_mul_hi_u32 s3, s15, 3
	s_mul_i32 s15, s15, 3
	s_addc_u32 s4, s1, 0
	global_load_u8 v1, v1, s[0:1] offset:1760
	s_add_u32 s2, s2, s15
	s_addc_u32 s3, s4, s3
	s_mov_b32 s13, 0
	s_load_b32 s2, s[2:3], 0x820
	s_waitcnt vmcnt(0)
	v_readfirstlane_b32 s5, v1
	s_delay_alu instid0(VALU_DEP_1)
	s_lshl_b32 s3, s5, 3
	s_clause 0x1
	s_load_b64 s[8:9], s[0:1], s3 offset:0x0
	s_load_b64 s[4:5], s[0:1], s3 offset:0x370
	s_waitcnt lgkmcnt(0)
	s_ashr_i32 s3, s2, 31
	s_delay_alu instid0(SALU_CYCLE_1)
	s_lshl_b64 s[10:11], s[2:3], 19
	s_lshl_b64 s[2:3], s[2:3], 16
	s_and_b32 s12, s8, 31
	s_sub_u32 s6, s4, s2
	s_subb_u32 s7, s5, s3
	s_and_b32 s2, s4, 3
	s_mov_b32 s3, s13
	s_delay_alu instid0(SALU_CYCLE_1) | instskip(NEXT) | instid1(SALU_CYCLE_1)
	s_or_b64 s[2:3], s[12:13], s[2:3]
	s_cmp_eq_u64 s[2:3], 0
	s_cbranch_scc1 .LBB28_21
; %bb.1:
	v_cmp_lt_i64_e64 s2, s[6:7], 1
	s_delay_alu instid0(VALU_DEP_1)
	s_and_b32 vcc_lo, exec_lo, s2
	s_cbranch_vccnz .LBB28_20
; %bb.2:
	s_load_b32 s2, s[0:1], 0xd3c
	v_cmp_gt_u64_e64 s3, 0x10000, s[6:7]
	v_lshlrev_b32_e32 v1, 3, v0
	s_waitcnt lgkmcnt(0)
	s_and_b32 s2, s2, 0xffff
	s_delay_alu instid0(VALU_DEP_2)
	s_and_b32 s3, s3, exec_lo
	v_add_co_u32 v13, s5, v0, s2
	s_cselect_b32 s13, s7, 0
	s_cselect_b32 s12, s6, 0x10000
	s_lshl_b32 s3, s2, 1
	s_lshl_b32 s16, s2, 2
	v_lshlrev_b32_e32 v3, 3, v13
	v_add_co_ci_u32_e64 v14, null, 0, 0, s5
	s_add_u32 s5, s8, s10
	v_add_co_u32 v17, s3, s3, v0
	s_mul_i32 s4, s2, 3
	s_addc_u32 s14, s9, s11
	v_add_co_ci_u32_e64 v18, null, 0, 0, s3
	v_add_co_u32 v1, s3, s5, v1
	v_add_co_u32 v15, s4, s4, v0
	v_add_co_ci_u32_e64 v2, null, s14, 0, s3
	v_add_co_u32 v3, s3, s5, v3
	v_add_co_ci_u32_e64 v16, null, 0, 0, s4
	v_add_co_ci_u32_e64 v4, null, s14, 0, s3
	s_lshl_b32 s17, s2, 5
	s_mul_i32 s18, s2, 24
	s_lshl_b32 s19, s2, 4
	s_mov_b64 s[14:15], 0
	s_branch .LBB28_4
.LBB28_3:                               ;   in Loop: Header=BB28_4 Depth=1
	s_or_b32 exec_lo, exec_lo, s2
	s_add_u32 s14, s14, s16
	s_addc_u32 s15, s15, 0
	v_add_co_u32 v1, vcc_lo, v1, s17
	v_cmp_lt_i64_e64 s2, s[14:15], s[6:7]
	v_cmp_gt_u64_e64 s3, 0x10000, s[14:15]
	v_add_co_ci_u32_e32 v2, vcc_lo, 0, v2, vcc_lo
	v_add_co_u32 v3, vcc_lo, v3, s17
	v_add_co_ci_u32_e32 v4, vcc_lo, 0, v4, vcc_lo
	s_delay_alu instid0(VALU_DEP_4) | instskip(NEXT) | instid1(SALU_CYCLE_1)
	s_and_b32 s2, s2, s3
	s_and_b32 vcc_lo, exec_lo, s2
	s_cbranch_vccz .LBB28_20
.LBB28_4:                               ; =>This Inner Loop Header: Depth=1
	s_waitcnt vmcnt(0)
	v_add_co_u32 v7, s2, v0, s14
	s_delay_alu instid0(VALU_DEP_1) | instskip(SKIP_2) | instid1(VALU_DEP_3)
	v_add_co_ci_u32_e64 v8, null, 0, s15, s2
	v_mov_b32_e32 v5, 0
	v_mov_b32_e32 v6, 0
	v_cmp_gt_u64_e32 vcc_lo, s[12:13], v[7:8]
	s_delay_alu instid0(VALU_DEP_2)
	v_dual_mov_b32 v8, v6 :: v_dual_mov_b32 v7, v5
	s_and_saveexec_b32 s2, vcc_lo
	s_cbranch_execz .LBB28_6
; %bb.5:                                ;   in Loop: Header=BB28_4 Depth=1
	global_load_b64 v[7:8], v[1:2], off
.LBB28_6:                               ;   in Loop: Header=BB28_4 Depth=1
	s_or_b32 exec_lo, exec_lo, s2
	v_add_co_u32 v9, s2, v13, s14
	s_delay_alu instid0(VALU_DEP_1) | instskip(NEXT) | instid1(VALU_DEP_1)
	v_add_co_ci_u32_e64 v10, s2, s15, v14, s2
	v_cmp_gt_u64_e64 s2, s[12:13], v[9:10]
	s_delay_alu instid0(VALU_DEP_1)
	s_and_saveexec_b32 s3, s2
	s_cbranch_execz .LBB28_8
; %bb.7:                                ;   in Loop: Header=BB28_4 Depth=1
	global_load_b64 v[5:6], v[3:4], off
.LBB28_8:                               ;   in Loop: Header=BB28_4 Depth=1
	s_or_b32 exec_lo, exec_lo, s3
	v_add_co_u32 v11, s3, v17, s14
	s_delay_alu instid0(VALU_DEP_1) | instskip(SKIP_2) | instid1(VALU_DEP_3)
	v_add_co_ci_u32_e64 v12, s3, s15, v18, s3
	v_mov_b32_e32 v9, 0
	v_mov_b32_e32 v10, 0
	v_cmp_gt_u64_e64 s3, s[12:13], v[11:12]
	s_delay_alu instid0(VALU_DEP_2) | instskip(NEXT) | instid1(VALU_DEP_2)
	v_dual_mov_b32 v12, v10 :: v_dual_mov_b32 v11, v9
	s_and_saveexec_b32 s5, s3
	s_cbranch_execz .LBB28_10
; %bb.9:                                ;   in Loop: Header=BB28_4 Depth=1
	v_add_co_u32 v11, s4, v1, s19
	s_delay_alu instid0(VALU_DEP_1)
	v_add_co_ci_u32_e64 v12, s4, 0, v2, s4
	global_load_b64 v[11:12], v[11:12], off
.LBB28_10:                              ;   in Loop: Header=BB28_4 Depth=1
	s_or_b32 exec_lo, exec_lo, s5
	v_add_co_u32 v19, s4, v15, s14
	s_delay_alu instid0(VALU_DEP_1) | instskip(NEXT) | instid1(VALU_DEP_1)
	v_add_co_ci_u32_e64 v20, s4, s15, v16, s4
	v_cmp_gt_u64_e64 s4, s[12:13], v[19:20]
	s_delay_alu instid0(VALU_DEP_1)
	s_and_saveexec_b32 s20, s4
	s_cbranch_execnz .LBB28_15
; %bb.11:                               ;   in Loop: Header=BB28_4 Depth=1
	s_or_b32 exec_lo, exec_lo, s20
	s_and_saveexec_b32 s5, vcc_lo
	s_cbranch_execnz .LBB28_16
.LBB28_12:                              ;   in Loop: Header=BB28_4 Depth=1
	s_or_b32 exec_lo, exec_lo, s5
	s_and_saveexec_b32 s5, s2
	s_cbranch_execnz .LBB28_17
.LBB28_13:                              ;   in Loop: Header=BB28_4 Depth=1
	s_or_b32 exec_lo, exec_lo, s5
	s_and_saveexec_b32 s2, s3
	s_cbranch_execnz .LBB28_18
.LBB28_14:                              ;   in Loop: Header=BB28_4 Depth=1
	s_or_b32 exec_lo, exec_lo, s2
	s_and_saveexec_b32 s2, s4
	s_cbranch_execz .LBB28_3
	s_branch .LBB28_19
.LBB28_15:                              ;   in Loop: Header=BB28_4 Depth=1
	v_add_co_u32 v9, s5, v1, s18
	s_delay_alu instid0(VALU_DEP_1)
	v_add_co_ci_u32_e64 v10, s5, 0, v2, s5
	global_load_b64 v[9:10], v[9:10], off
	s_or_b32 exec_lo, exec_lo, s20
	s_and_saveexec_b32 s5, vcc_lo
	s_cbranch_execz .LBB28_12
.LBB28_16:                              ;   in Loop: Header=BB28_4 Depth=1
	s_waitcnt vmcnt(0)
	v_floor_f64_e32 v[7:8], v[7:8]
	global_store_b64 v[1:2], v[7:8], off
	s_or_b32 exec_lo, exec_lo, s5
	s_and_saveexec_b32 s5, s2
	s_cbranch_execz .LBB28_13
.LBB28_17:                              ;   in Loop: Header=BB28_4 Depth=1
	s_waitcnt vmcnt(0)
	v_floor_f64_e32 v[5:6], v[5:6]
	global_store_b64 v[3:4], v[5:6], off
	s_or_b32 exec_lo, exec_lo, s5
	s_and_saveexec_b32 s2, s3
	s_cbranch_execz .LBB28_14
.LBB28_18:                              ;   in Loop: Header=BB28_4 Depth=1
	s_waitcnt vmcnt(0)
	v_floor_f64_e32 v[5:6], v[11:12]
	v_add_co_u32 v7, vcc_lo, v1, s19
	v_add_co_ci_u32_e32 v8, vcc_lo, 0, v2, vcc_lo
	global_store_b64 v[7:8], v[5:6], off
	s_or_b32 exec_lo, exec_lo, s2
	s_and_saveexec_b32 s2, s4
	s_cbranch_execz .LBB28_3
.LBB28_19:                              ;   in Loop: Header=BB28_4 Depth=1
	s_waitcnt vmcnt(0)
	v_floor_f64_e32 v[5:6], v[9:10]
	v_add_co_u32 v7, vcc_lo, v1, s18
	v_add_co_ci_u32_e32 v8, vcc_lo, 0, v2, vcc_lo
	global_store_b64 v[7:8], v[5:6], off
	s_branch .LBB28_3
.LBB28_20:
	s_cbranch_execz .LBB28_22
	s_branch .LBB28_25
.LBB28_21:
.LBB28_22:
	v_dual_mov_b32 v2, 0 :: v_dual_lshlrev_b32 v1, 2, v0
	s_mov_b32 s2, 0
	s_mov_b32 s3, exec_lo
	s_delay_alu instid0(VALU_DEP_1)
	v_cmpx_gt_i64_e64 s[6:7], v[1:2]
	s_cbranch_execz .LBB28_25
; %bb.23:
	s_load_b32 s0, s[0:1], 0xd3c
	v_lshlrev_b32_e32 v1, 5, v0
	s_waitcnt lgkmcnt(0)
	s_and_b32 s0, s0, 0xffff
	s_delay_alu instid0(SALU_CYCLE_1) | instskip(SKIP_3) | instid1(VALU_DEP_1)
	s_lshl_b32 s3, s0, 2
	s_add_u32 s1, s8, s10
	s_addc_u32 s4, s9, s11
	v_add_co_u32 v3, s1, s1, v1
	v_add_co_ci_u32_e64 v4, null, s4, 0, s1
	v_add_lshl_u32 v1, v0, s0, 2
	s_delay_alu instid0(VALU_DEP_3) | instskip(NEXT) | instid1(VALU_DEP_3)
	v_add_co_u32 v3, vcc_lo, v3, 16
	v_add_co_ci_u32_e32 v4, vcc_lo, 0, v4, vcc_lo
	s_lshl_b32 s4, s0, 5
	.p2align	6
.LBB28_24:                              ; =>This Inner Loop Header: Depth=1
	s_clause 0x1
	global_load_b128 v[5:8], v[3:4], off offset:-16
	global_load_b128 v[9:12], v[3:4], off
	v_cmp_le_i64_e32 vcc_lo, s[6:7], v[1:2]
	v_cmp_lt_u64_e64 s0, 0xffff, v[1:2]
	v_add_co_u32 v1, s1, v1, s3
	s_delay_alu instid0(VALU_DEP_1) | instskip(NEXT) | instid1(VALU_DEP_3)
	v_add_co_ci_u32_e64 v2, s1, 0, v2, s1
	s_or_b32 s0, vcc_lo, s0
	s_delay_alu instid0(SALU_CYCLE_1) | instskip(NEXT) | instid1(SALU_CYCLE_1)
	s_and_b32 s0, exec_lo, s0
	s_or_b32 s2, s0, s2
	s_waitcnt vmcnt(1)
	v_floor_f64_e32 v[5:6], v[5:6]
	v_floor_f64_e32 v[7:8], v[7:8]
	s_waitcnt vmcnt(0)
	v_floor_f64_e32 v[9:10], v[9:10]
	v_floor_f64_e32 v[11:12], v[11:12]
	s_clause 0x1
	global_store_b128 v[3:4], v[5:8], off offset:-16
	global_store_b128 v[3:4], v[9:12], off
	v_add_co_u32 v3, vcc_lo, v3, s4
	v_add_co_ci_u32_e32 v4, vcc_lo, 0, v4, vcc_lo
	s_and_not1_b32 exec_lo, exec_lo, s2
	s_cbranch_execnz .LBB28_24
.LBB28_25:
	s_nop 0
	s_sendmsg sendmsg(MSG_DEALLOC_VGPRS)
	s_endpgm
	.section	.rodata,"a",@progbits
	.p2align	6, 0x0
	.amdhsa_kernel _ZN2at6native12_GLOBAL__N_125multi_tensor_apply_kernelINS1_18TensorListMetadataILi1EEENS1_14UnaryOpFunctorIdLi1ELi1ELi0EEEJNS0_5FloorIdEEEEEvT_T0_DpT1_
		.amdhsa_group_segment_fixed_size 0
		.amdhsa_private_segment_fixed_size 0
		.amdhsa_kernarg_size 3632
		.amdhsa_user_sgpr_count 15
		.amdhsa_user_sgpr_dispatch_ptr 0
		.amdhsa_user_sgpr_queue_ptr 0
		.amdhsa_user_sgpr_kernarg_segment_ptr 1
		.amdhsa_user_sgpr_dispatch_id 0
		.amdhsa_user_sgpr_private_segment_size 0
		.amdhsa_wavefront_size32 1
		.amdhsa_uses_dynamic_stack 0
		.amdhsa_enable_private_segment 0
		.amdhsa_system_sgpr_workgroup_id_x 1
		.amdhsa_system_sgpr_workgroup_id_y 0
		.amdhsa_system_sgpr_workgroup_id_z 0
		.amdhsa_system_sgpr_workgroup_info 0
		.amdhsa_system_vgpr_workitem_id 0
		.amdhsa_next_free_vgpr 21
		.amdhsa_next_free_sgpr 21
		.amdhsa_reserve_vcc 1
		.amdhsa_float_round_mode_32 0
		.amdhsa_float_round_mode_16_64 0
		.amdhsa_float_denorm_mode_32 3
		.amdhsa_float_denorm_mode_16_64 3
		.amdhsa_dx10_clamp 1
		.amdhsa_ieee_mode 1
		.amdhsa_fp16_overflow 0
		.amdhsa_workgroup_processor_mode 1
		.amdhsa_memory_ordered 1
		.amdhsa_forward_progress 0
		.amdhsa_shared_vgpr_count 0
		.amdhsa_exception_fp_ieee_invalid_op 0
		.amdhsa_exception_fp_denorm_src 0
		.amdhsa_exception_fp_ieee_div_zero 0
		.amdhsa_exception_fp_ieee_overflow 0
		.amdhsa_exception_fp_ieee_underflow 0
		.amdhsa_exception_fp_ieee_inexact 0
		.amdhsa_exception_int_div_zero 0
	.end_amdhsa_kernel
	.section	.text._ZN2at6native12_GLOBAL__N_125multi_tensor_apply_kernelINS1_18TensorListMetadataILi1EEENS1_14UnaryOpFunctorIdLi1ELi1ELi0EEEJNS0_5FloorIdEEEEEvT_T0_DpT1_,"axG",@progbits,_ZN2at6native12_GLOBAL__N_125multi_tensor_apply_kernelINS1_18TensorListMetadataILi1EEENS1_14UnaryOpFunctorIdLi1ELi1ELi0EEEJNS0_5FloorIdEEEEEvT_T0_DpT1_,comdat
.Lfunc_end28:
	.size	_ZN2at6native12_GLOBAL__N_125multi_tensor_apply_kernelINS1_18TensorListMetadataILi1EEENS1_14UnaryOpFunctorIdLi1ELi1ELi0EEEJNS0_5FloorIdEEEEEvT_T0_DpT1_, .Lfunc_end28-_ZN2at6native12_GLOBAL__N_125multi_tensor_apply_kernelINS1_18TensorListMetadataILi1EEENS1_14UnaryOpFunctorIdLi1ELi1ELi0EEEJNS0_5FloorIdEEEEEvT_T0_DpT1_
                                        ; -- End function
	.section	.AMDGPU.csdata,"",@progbits
; Kernel info:
; codeLenInByte = 1152
; NumSgprs: 23
; NumVgprs: 21
; ScratchSize: 0
; MemoryBound: 0
; FloatMode: 240
; IeeeMode: 1
; LDSByteSize: 0 bytes/workgroup (compile time only)
; SGPRBlocks: 2
; VGPRBlocks: 2
; NumSGPRsForWavesPerEU: 23
; NumVGPRsForWavesPerEU: 21
; Occupancy: 16
; WaveLimiterHint : 0
; COMPUTE_PGM_RSRC2:SCRATCH_EN: 0
; COMPUTE_PGM_RSRC2:USER_SGPR: 15
; COMPUTE_PGM_RSRC2:TRAP_HANDLER: 0
; COMPUTE_PGM_RSRC2:TGID_X_EN: 1
; COMPUTE_PGM_RSRC2:TGID_Y_EN: 0
; COMPUTE_PGM_RSRC2:TGID_Z_EN: 0
; COMPUTE_PGM_RSRC2:TIDIG_COMP_CNT: 0
	.section	.text._ZN2at6native12_GLOBAL__N_125multi_tensor_apply_kernelINS1_18TensorListMetadataILi1EEENS1_14UnaryOpFunctorIfLi1ELi1ELi0EEEJNS0_5FloorIfEEEEEvT_T0_DpT1_,"axG",@progbits,_ZN2at6native12_GLOBAL__N_125multi_tensor_apply_kernelINS1_18TensorListMetadataILi1EEENS1_14UnaryOpFunctorIfLi1ELi1ELi0EEEJNS0_5FloorIfEEEEEvT_T0_DpT1_,comdat
	.globl	_ZN2at6native12_GLOBAL__N_125multi_tensor_apply_kernelINS1_18TensorListMetadataILi1EEENS1_14UnaryOpFunctorIfLi1ELi1ELi0EEEJNS0_5FloorIfEEEEEvT_T0_DpT1_ ; -- Begin function _ZN2at6native12_GLOBAL__N_125multi_tensor_apply_kernelINS1_18TensorListMetadataILi1EEENS1_14UnaryOpFunctorIfLi1ELi1ELi0EEEJNS0_5FloorIfEEEEEvT_T0_DpT1_
	.p2align	8
	.type	_ZN2at6native12_GLOBAL__N_125multi_tensor_apply_kernelINS1_18TensorListMetadataILi1EEENS1_14UnaryOpFunctorIfLi1ELi1ELi0EEEJNS0_5FloorIfEEEEEvT_T0_DpT1_,@function
_ZN2at6native12_GLOBAL__N_125multi_tensor_apply_kernelINS1_18TensorListMetadataILi1EEENS1_14UnaryOpFunctorIfLi1ELi1ELi0EEEJNS0_5FloorIfEEEEEvT_T0_DpT1_: ; @_ZN2at6native12_GLOBAL__N_125multi_tensor_apply_kernelINS1_18TensorListMetadataILi1EEENS1_14UnaryOpFunctorIfLi1ELi1ELi0EEEJNS0_5FloorIfEEEEEvT_T0_DpT1_
; %bb.0:
	v_mov_b32_e32 v1, s15
	s_add_u32 s2, s0, s15
	s_mul_hi_u32 s3, s15, 3
	s_mul_i32 s15, s15, 3
	s_addc_u32 s4, s1, 0
	global_load_u8 v1, v1, s[0:1] offset:1760
	s_add_u32 s2, s2, s15
	s_addc_u32 s3, s4, s3
	s_mov_b32 s13, 0
	s_load_b32 s2, s[2:3], 0x820
	s_waitcnt vmcnt(0)
	v_readfirstlane_b32 s5, v1
	s_delay_alu instid0(VALU_DEP_1)
	s_lshl_b32 s3, s5, 3
	s_clause 0x1
	s_load_b64 s[8:9], s[0:1], s3 offset:0x0
	s_load_b64 s[4:5], s[0:1], s3 offset:0x370
	s_waitcnt lgkmcnt(0)
	s_ashr_i32 s3, s2, 31
	s_delay_alu instid0(SALU_CYCLE_1)
	s_lshl_b64 s[10:11], s[2:3], 18
	s_lshl_b64 s[2:3], s[2:3], 16
	s_and_b32 s12, s8, 15
	s_sub_u32 s6, s4, s2
	s_subb_u32 s7, s5, s3
	s_and_b32 s2, s4, 3
	s_mov_b32 s3, s13
	s_delay_alu instid0(SALU_CYCLE_1) | instskip(NEXT) | instid1(SALU_CYCLE_1)
	s_or_b64 s[2:3], s[12:13], s[2:3]
	s_cmp_eq_u64 s[2:3], 0
	s_cbranch_scc1 .LBB29_21
; %bb.1:
	v_cmp_lt_i64_e64 s2, s[6:7], 1
	s_delay_alu instid0(VALU_DEP_1)
	s_and_b32 vcc_lo, exec_lo, s2
	s_cbranch_vccnz .LBB29_20
; %bb.2:
	s_load_b32 s2, s[0:1], 0xd3c
	v_cmp_gt_u64_e64 s3, 0x10000, s[6:7]
	v_lshlrev_b32_e32 v1, 2, v0
	s_waitcnt lgkmcnt(0)
	s_and_b32 s2, s2, 0xffff
	s_delay_alu instid0(VALU_DEP_2)
	s_and_b32 s3, s3, exec_lo
	v_add_co_u32 v5, s5, v0, s2
	s_cselect_b32 s13, s7, 0
	s_cselect_b32 s12, s6, 0x10000
	s_lshl_b32 s3, s2, 1
	s_lshl_b32 s16, s2, 2
	v_lshlrev_b32_e32 v3, 2, v5
	v_add_co_ci_u32_e64 v6, null, 0, 0, s5
	s_add_u32 s5, s8, s10
	v_add_co_u32 v9, s3, s3, v0
	s_mul_i32 s4, s2, 3
	s_addc_u32 s14, s9, s11
	v_add_co_ci_u32_e64 v10, null, 0, 0, s3
	v_add_co_u32 v1, s3, s5, v1
	v_add_co_u32 v7, s4, s4, v0
	v_add_co_ci_u32_e64 v2, null, s14, 0, s3
	v_add_co_u32 v3, s3, s5, v3
	v_add_co_ci_u32_e64 v8, null, 0, 0, s4
	v_add_co_ci_u32_e64 v4, null, s14, 0, s3
	s_lshl_b32 s17, s2, 4
	s_mul_i32 s18, s2, 12
	s_lshl_b32 s19, s2, 3
	s_mov_b64 s[14:15], 0
	s_branch .LBB29_4
.LBB29_3:                               ;   in Loop: Header=BB29_4 Depth=1
	s_or_b32 exec_lo, exec_lo, s2
	s_add_u32 s14, s14, s16
	s_addc_u32 s15, s15, 0
	v_add_co_u32 v1, vcc_lo, v1, s17
	v_cmp_lt_i64_e64 s2, s[14:15], s[6:7]
	v_cmp_gt_u64_e64 s3, 0x10000, s[14:15]
	v_add_co_ci_u32_e32 v2, vcc_lo, 0, v2, vcc_lo
	v_add_co_u32 v3, vcc_lo, v3, s17
	v_add_co_ci_u32_e32 v4, vcc_lo, 0, v4, vcc_lo
	s_delay_alu instid0(VALU_DEP_4) | instskip(NEXT) | instid1(SALU_CYCLE_1)
	s_and_b32 s2, s2, s3
	s_and_b32 vcc_lo, exec_lo, s2
	s_cbranch_vccz .LBB29_20
.LBB29_4:                               ; =>This Inner Loop Header: Depth=1
	s_waitcnt vmcnt(0)
	v_add_co_u32 v11, s2, v0, s14
	s_delay_alu instid0(VALU_DEP_1) | instskip(NEXT) | instid1(VALU_DEP_1)
	v_add_co_ci_u32_e64 v12, null, 0, s15, s2
	v_cmp_gt_u64_e32 vcc_lo, s[12:13], v[11:12]
	v_mov_b32_e32 v11, 0
	s_and_saveexec_b32 s2, vcc_lo
	s_cbranch_execz .LBB29_6
; %bb.5:                                ;   in Loop: Header=BB29_4 Depth=1
	global_load_b32 v11, v[1:2], off
.LBB29_6:                               ;   in Loop: Header=BB29_4 Depth=1
	s_or_b32 exec_lo, exec_lo, s2
	v_add_co_u32 v12, s2, v5, s14
	s_delay_alu instid0(VALU_DEP_1) | instskip(NEXT) | instid1(VALU_DEP_1)
	v_add_co_ci_u32_e64 v13, s2, s15, v6, s2
	v_cmp_gt_u64_e64 s2, s[12:13], v[12:13]
	v_mov_b32_e32 v13, 0
	s_delay_alu instid0(VALU_DEP_2)
	s_and_saveexec_b32 s3, s2
	s_cbranch_execz .LBB29_8
; %bb.7:                                ;   in Loop: Header=BB29_4 Depth=1
	global_load_b32 v13, v[3:4], off
.LBB29_8:                               ;   in Loop: Header=BB29_4 Depth=1
	s_or_b32 exec_lo, exec_lo, s3
	v_add_co_u32 v14, s3, v9, s14
	s_delay_alu instid0(VALU_DEP_1) | instskip(SKIP_1) | instid1(VALU_DEP_2)
	v_add_co_ci_u32_e64 v15, s3, s15, v10, s3
	v_mov_b32_e32 v12, 0
	v_cmp_gt_u64_e64 s3, s[12:13], v[14:15]
	v_mov_b32_e32 v14, 0
	s_delay_alu instid0(VALU_DEP_2)
	s_and_saveexec_b32 s5, s3
	s_cbranch_execz .LBB29_10
; %bb.9:                                ;   in Loop: Header=BB29_4 Depth=1
	v_add_co_u32 v14, s4, v1, s19
	s_delay_alu instid0(VALU_DEP_1)
	v_add_co_ci_u32_e64 v15, s4, 0, v2, s4
	global_load_b32 v14, v[14:15], off
.LBB29_10:                              ;   in Loop: Header=BB29_4 Depth=1
	s_or_b32 exec_lo, exec_lo, s5
	v_add_co_u32 v15, s4, v7, s14
	s_delay_alu instid0(VALU_DEP_1) | instskip(NEXT) | instid1(VALU_DEP_1)
	v_add_co_ci_u32_e64 v16, s4, s15, v8, s4
	v_cmp_gt_u64_e64 s4, s[12:13], v[15:16]
	s_delay_alu instid0(VALU_DEP_1)
	s_and_saveexec_b32 s20, s4
	s_cbranch_execnz .LBB29_15
; %bb.11:                               ;   in Loop: Header=BB29_4 Depth=1
	s_or_b32 exec_lo, exec_lo, s20
	s_and_saveexec_b32 s5, vcc_lo
	s_cbranch_execnz .LBB29_16
.LBB29_12:                              ;   in Loop: Header=BB29_4 Depth=1
	s_or_b32 exec_lo, exec_lo, s5
	s_and_saveexec_b32 s5, s2
	s_cbranch_execnz .LBB29_17
.LBB29_13:                              ;   in Loop: Header=BB29_4 Depth=1
	s_or_b32 exec_lo, exec_lo, s5
	s_and_saveexec_b32 s2, s3
	s_cbranch_execnz .LBB29_18
.LBB29_14:                              ;   in Loop: Header=BB29_4 Depth=1
	s_or_b32 exec_lo, exec_lo, s2
	s_and_saveexec_b32 s2, s4
	s_cbranch_execz .LBB29_3
	s_branch .LBB29_19
.LBB29_15:                              ;   in Loop: Header=BB29_4 Depth=1
	v_add_co_u32 v15, s5, v1, s18
	s_delay_alu instid0(VALU_DEP_1)
	v_add_co_ci_u32_e64 v16, s5, 0, v2, s5
	global_load_b32 v12, v[15:16], off
	s_or_b32 exec_lo, exec_lo, s20
	s_and_saveexec_b32 s5, vcc_lo
	s_cbranch_execz .LBB29_12
.LBB29_16:                              ;   in Loop: Header=BB29_4 Depth=1
	s_waitcnt vmcnt(0)
	v_floor_f32_e32 v11, v11
	global_store_b32 v[1:2], v11, off
	s_or_b32 exec_lo, exec_lo, s5
	s_and_saveexec_b32 s5, s2
	s_cbranch_execz .LBB29_13
.LBB29_17:                              ;   in Loop: Header=BB29_4 Depth=1
	s_waitcnt vmcnt(0)
	v_floor_f32_e32 v11, v13
	global_store_b32 v[3:4], v11, off
	s_or_b32 exec_lo, exec_lo, s5
	s_and_saveexec_b32 s2, s3
	s_cbranch_execz .LBB29_14
.LBB29_18:                              ;   in Loop: Header=BB29_4 Depth=1
	s_waitcnt vmcnt(0)
	v_add_co_u32 v13, vcc_lo, v1, s19
	v_floor_f32_e32 v11, v14
	v_add_co_ci_u32_e32 v14, vcc_lo, 0, v2, vcc_lo
	global_store_b32 v[13:14], v11, off
	s_or_b32 exec_lo, exec_lo, s2
	s_and_saveexec_b32 s2, s4
	s_cbranch_execz .LBB29_3
.LBB29_19:                              ;   in Loop: Header=BB29_4 Depth=1
	s_waitcnt vmcnt(0)
	v_add_co_u32 v11, vcc_lo, v1, s18
	v_floor_f32_e32 v13, v12
	v_add_co_ci_u32_e32 v12, vcc_lo, 0, v2, vcc_lo
	global_store_b32 v[11:12], v13, off
	s_branch .LBB29_3
.LBB29_20:
	s_cbranch_execz .LBB29_22
	s_branch .LBB29_25
.LBB29_21:
.LBB29_22:
	v_dual_mov_b32 v2, 0 :: v_dual_lshlrev_b32 v1, 2, v0
	s_mov_b32 s2, 0
	s_mov_b32 s3, exec_lo
	s_delay_alu instid0(VALU_DEP_1)
	v_cmpx_gt_i64_e64 s[6:7], v[1:2]
	s_cbranch_execz .LBB29_25
; %bb.23:
	s_load_b32 s0, s[0:1], 0xd3c
	v_lshlrev_b32_e32 v1, 4, v0
	s_waitcnt lgkmcnt(0)
	s_and_b32 s0, s0, 0xffff
	s_delay_alu instid0(SALU_CYCLE_1) | instskip(SKIP_3) | instid1(VALU_DEP_1)
	s_lshl_b32 s3, s0, 2
	s_add_u32 s1, s8, s10
	s_addc_u32 s4, s9, s11
	v_add_co_u32 v3, s1, s1, v1
	v_add_co_ci_u32_e64 v4, null, s4, 0, s1
	v_add_lshl_u32 v1, v0, s0, 2
	s_delay_alu instid0(VALU_DEP_3) | instskip(NEXT) | instid1(VALU_DEP_3)
	v_add_co_u32 v3, vcc_lo, v3, 8
	v_add_co_ci_u32_e32 v4, vcc_lo, 0, v4, vcc_lo
	s_lshl_b32 s4, s0, 4
	.p2align	6
.LBB29_24:                              ; =>This Inner Loop Header: Depth=1
	global_load_b128 v[5:8], v[3:4], off offset:-8
	v_cmp_le_i64_e32 vcc_lo, s[6:7], v[1:2]
	v_cmp_lt_u64_e64 s0, 0xffff, v[1:2]
	v_add_co_u32 v1, s1, v1, s3
	s_delay_alu instid0(VALU_DEP_1) | instskip(NEXT) | instid1(VALU_DEP_3)
	v_add_co_ci_u32_e64 v2, s1, 0, v2, s1
	s_or_b32 s0, vcc_lo, s0
	s_delay_alu instid0(SALU_CYCLE_1) | instskip(NEXT) | instid1(SALU_CYCLE_1)
	s_and_b32 s0, exec_lo, s0
	s_or_b32 s2, s0, s2
	s_waitcnt vmcnt(0)
	v_floor_f32_e32 v5, v5
	v_floor_f32_e32 v6, v6
	;; [unrolled: 1-line block ×4, first 2 shown]
	global_store_b128 v[3:4], v[5:8], off offset:-8
	v_add_co_u32 v3, vcc_lo, v3, s4
	v_add_co_ci_u32_e32 v4, vcc_lo, 0, v4, vcc_lo
	s_and_not1_b32 exec_lo, exec_lo, s2
	s_cbranch_execnz .LBB29_24
.LBB29_25:
	s_nop 0
	s_sendmsg sendmsg(MSG_DEALLOC_VGPRS)
	s_endpgm
	.section	.rodata,"a",@progbits
	.p2align	6, 0x0
	.amdhsa_kernel _ZN2at6native12_GLOBAL__N_125multi_tensor_apply_kernelINS1_18TensorListMetadataILi1EEENS1_14UnaryOpFunctorIfLi1ELi1ELi0EEEJNS0_5FloorIfEEEEEvT_T0_DpT1_
		.amdhsa_group_segment_fixed_size 0
		.amdhsa_private_segment_fixed_size 0
		.amdhsa_kernarg_size 3632
		.amdhsa_user_sgpr_count 15
		.amdhsa_user_sgpr_dispatch_ptr 0
		.amdhsa_user_sgpr_queue_ptr 0
		.amdhsa_user_sgpr_kernarg_segment_ptr 1
		.amdhsa_user_sgpr_dispatch_id 0
		.amdhsa_user_sgpr_private_segment_size 0
		.amdhsa_wavefront_size32 1
		.amdhsa_uses_dynamic_stack 0
		.amdhsa_enable_private_segment 0
		.amdhsa_system_sgpr_workgroup_id_x 1
		.amdhsa_system_sgpr_workgroup_id_y 0
		.amdhsa_system_sgpr_workgroup_id_z 0
		.amdhsa_system_sgpr_workgroup_info 0
		.amdhsa_system_vgpr_workitem_id 0
		.amdhsa_next_free_vgpr 17
		.amdhsa_next_free_sgpr 21
		.amdhsa_reserve_vcc 1
		.amdhsa_float_round_mode_32 0
		.amdhsa_float_round_mode_16_64 0
		.amdhsa_float_denorm_mode_32 3
		.amdhsa_float_denorm_mode_16_64 3
		.amdhsa_dx10_clamp 1
		.amdhsa_ieee_mode 1
		.amdhsa_fp16_overflow 0
		.amdhsa_workgroup_processor_mode 1
		.amdhsa_memory_ordered 1
		.amdhsa_forward_progress 0
		.amdhsa_shared_vgpr_count 0
		.amdhsa_exception_fp_ieee_invalid_op 0
		.amdhsa_exception_fp_denorm_src 0
		.amdhsa_exception_fp_ieee_div_zero 0
		.amdhsa_exception_fp_ieee_overflow 0
		.amdhsa_exception_fp_ieee_underflow 0
		.amdhsa_exception_fp_ieee_inexact 0
		.amdhsa_exception_int_div_zero 0
	.end_amdhsa_kernel
	.section	.text._ZN2at6native12_GLOBAL__N_125multi_tensor_apply_kernelINS1_18TensorListMetadataILi1EEENS1_14UnaryOpFunctorIfLi1ELi1ELi0EEEJNS0_5FloorIfEEEEEvT_T0_DpT1_,"axG",@progbits,_ZN2at6native12_GLOBAL__N_125multi_tensor_apply_kernelINS1_18TensorListMetadataILi1EEENS1_14UnaryOpFunctorIfLi1ELi1ELi0EEEJNS0_5FloorIfEEEEEvT_T0_DpT1_,comdat
.Lfunc_end29:
	.size	_ZN2at6native12_GLOBAL__N_125multi_tensor_apply_kernelINS1_18TensorListMetadataILi1EEENS1_14UnaryOpFunctorIfLi1ELi1ELi0EEEJNS0_5FloorIfEEEEEvT_T0_DpT1_, .Lfunc_end29-_ZN2at6native12_GLOBAL__N_125multi_tensor_apply_kernelINS1_18TensorListMetadataILi1EEENS1_14UnaryOpFunctorIfLi1ELi1ELi0EEEJNS0_5FloorIfEEEEEvT_T0_DpT1_
                                        ; -- End function
	.section	.AMDGPU.csdata,"",@progbits
; Kernel info:
; codeLenInByte = 1104
; NumSgprs: 23
; NumVgprs: 17
; ScratchSize: 0
; MemoryBound: 0
; FloatMode: 240
; IeeeMode: 1
; LDSByteSize: 0 bytes/workgroup (compile time only)
; SGPRBlocks: 2
; VGPRBlocks: 2
; NumSGPRsForWavesPerEU: 23
; NumVGPRsForWavesPerEU: 17
; Occupancy: 16
; WaveLimiterHint : 0
; COMPUTE_PGM_RSRC2:SCRATCH_EN: 0
; COMPUTE_PGM_RSRC2:USER_SGPR: 15
; COMPUTE_PGM_RSRC2:TRAP_HANDLER: 0
; COMPUTE_PGM_RSRC2:TGID_X_EN: 1
; COMPUTE_PGM_RSRC2:TGID_Y_EN: 0
; COMPUTE_PGM_RSRC2:TGID_Z_EN: 0
; COMPUTE_PGM_RSRC2:TIDIG_COMP_CNT: 0
	.section	.text._ZN2at6native12_GLOBAL__N_125multi_tensor_apply_kernelINS1_18TensorListMetadataILi1EEENS1_14UnaryOpFunctorIN3c104HalfELi1ELi1ELi0EEEJNS0_5FloorIfEEEEEvT_T0_DpT1_,"axG",@progbits,_ZN2at6native12_GLOBAL__N_125multi_tensor_apply_kernelINS1_18TensorListMetadataILi1EEENS1_14UnaryOpFunctorIN3c104HalfELi1ELi1ELi0EEEJNS0_5FloorIfEEEEEvT_T0_DpT1_,comdat
	.globl	_ZN2at6native12_GLOBAL__N_125multi_tensor_apply_kernelINS1_18TensorListMetadataILi1EEENS1_14UnaryOpFunctorIN3c104HalfELi1ELi1ELi0EEEJNS0_5FloorIfEEEEEvT_T0_DpT1_ ; -- Begin function _ZN2at6native12_GLOBAL__N_125multi_tensor_apply_kernelINS1_18TensorListMetadataILi1EEENS1_14UnaryOpFunctorIN3c104HalfELi1ELi1ELi0EEEJNS0_5FloorIfEEEEEvT_T0_DpT1_
	.p2align	8
	.type	_ZN2at6native12_GLOBAL__N_125multi_tensor_apply_kernelINS1_18TensorListMetadataILi1EEENS1_14UnaryOpFunctorIN3c104HalfELi1ELi1ELi0EEEJNS0_5FloorIfEEEEEvT_T0_DpT1_,@function
_ZN2at6native12_GLOBAL__N_125multi_tensor_apply_kernelINS1_18TensorListMetadataILi1EEENS1_14UnaryOpFunctorIN3c104HalfELi1ELi1ELi0EEEJNS0_5FloorIfEEEEEvT_T0_DpT1_: ; @_ZN2at6native12_GLOBAL__N_125multi_tensor_apply_kernelINS1_18TensorListMetadataILi1EEENS1_14UnaryOpFunctorIN3c104HalfELi1ELi1ELi0EEEJNS0_5FloorIfEEEEEvT_T0_DpT1_
; %bb.0:
	v_mov_b32_e32 v1, s15
	s_add_u32 s2, s0, s15
	s_mul_hi_u32 s3, s15, 3
	s_mul_i32 s15, s15, 3
	s_addc_u32 s4, s1, 0
	global_load_u8 v1, v1, s[0:1] offset:1760
	s_add_u32 s2, s2, s15
	s_addc_u32 s3, s4, s3
	s_mov_b32 s13, 0
	s_load_b32 s2, s[2:3], 0x820
	s_waitcnt vmcnt(0)
	v_readfirstlane_b32 s5, v1
	s_delay_alu instid0(VALU_DEP_1)
	s_lshl_b32 s3, s5, 3
	s_clause 0x1
	s_load_b64 s[8:9], s[0:1], s3 offset:0x0
	s_load_b64 s[4:5], s[0:1], s3 offset:0x370
	s_waitcnt lgkmcnt(0)
	s_ashr_i32 s3, s2, 31
	s_delay_alu instid0(SALU_CYCLE_1)
	s_lshl_b64 s[10:11], s[2:3], 17
	s_lshl_b64 s[2:3], s[2:3], 16
	s_and_b32 s12, s8, 7
	s_sub_u32 s6, s4, s2
	s_subb_u32 s7, s5, s3
	s_and_b32 s2, s4, 3
	s_mov_b32 s3, s13
	s_delay_alu instid0(SALU_CYCLE_1) | instskip(NEXT) | instid1(SALU_CYCLE_1)
	s_or_b64 s[2:3], s[12:13], s[2:3]
	s_cmp_eq_u64 s[2:3], 0
	s_cbranch_scc1 .LBB30_21
; %bb.1:
	v_cmp_lt_i64_e64 s2, s[6:7], 1
	s_delay_alu instid0(VALU_DEP_1)
	s_and_b32 vcc_lo, exec_lo, s2
	s_cbranch_vccnz .LBB30_20
; %bb.2:
	s_load_b32 s2, s[0:1], 0xd3c
	v_cmp_gt_u64_e64 s3, 0x10000, s[6:7]
	v_lshlrev_b32_e32 v1, 1, v0
	s_waitcnt lgkmcnt(0)
	s_and_b32 s2, s2, 0xffff
	s_delay_alu instid0(VALU_DEP_2)
	s_and_b32 s3, s3, exec_lo
	v_add_co_u32 v5, s5, v0, s2
	s_cselect_b32 s13, s7, 0
	s_cselect_b32 s12, s6, 0x10000
	s_lshl_b32 s3, s2, 1
	s_lshl_b32 s16, s2, 2
	v_lshlrev_b32_e32 v3, 1, v5
	v_add_co_ci_u32_e64 v6, null, 0, 0, s5
	s_add_u32 s5, s8, s10
	v_add_co_u32 v9, s3, s3, v0
	s_mul_i32 s4, s2, 3
	s_addc_u32 s14, s9, s11
	v_add_co_ci_u32_e64 v10, null, 0, 0, s3
	v_add_co_u32 v1, s3, s5, v1
	v_add_co_u32 v7, s4, s4, v0
	v_add_co_ci_u32_e64 v2, null, s14, 0, s3
	v_add_co_u32 v3, s3, s5, v3
	v_add_co_ci_u32_e64 v8, null, 0, 0, s4
	v_add_co_ci_u32_e64 v4, null, s14, 0, s3
	s_lshl_b32 s17, s2, 3
	s_mul_i32 s18, s2, 6
	s_mov_b64 s[14:15], 0
	s_branch .LBB30_4
.LBB30_3:                               ;   in Loop: Header=BB30_4 Depth=1
	s_or_b32 exec_lo, exec_lo, s2
	s_add_u32 s14, s14, s16
	s_addc_u32 s15, s15, 0
	v_add_co_u32 v1, vcc_lo, v1, s17
	v_cmp_lt_i64_e64 s2, s[14:15], s[6:7]
	v_cmp_gt_u64_e64 s3, 0x10000, s[14:15]
	v_add_co_ci_u32_e32 v2, vcc_lo, 0, v2, vcc_lo
	v_add_co_u32 v3, vcc_lo, v3, s17
	v_add_co_ci_u32_e32 v4, vcc_lo, 0, v4, vcc_lo
	s_delay_alu instid0(VALU_DEP_4) | instskip(NEXT) | instid1(SALU_CYCLE_1)
	s_and_b32 s2, s2, s3
	s_and_b32 vcc_lo, exec_lo, s2
	s_cbranch_vccz .LBB30_20
.LBB30_4:                               ; =>This Inner Loop Header: Depth=1
	s_waitcnt vmcnt(0)
	v_add_co_u32 v11, s2, v0, s14
	s_delay_alu instid0(VALU_DEP_1) | instskip(NEXT) | instid1(VALU_DEP_1)
	v_add_co_ci_u32_e64 v12, null, 0, s15, s2
	v_cmp_gt_u64_e32 vcc_lo, s[12:13], v[11:12]
	v_mov_b32_e32 v11, 0
	s_and_saveexec_b32 s2, vcc_lo
	s_cbranch_execz .LBB30_6
; %bb.5:                                ;   in Loop: Header=BB30_4 Depth=1
	global_load_u16 v11, v[1:2], off
.LBB30_6:                               ;   in Loop: Header=BB30_4 Depth=1
	s_or_b32 exec_lo, exec_lo, s2
	v_add_co_u32 v12, s2, v5, s14
	s_delay_alu instid0(VALU_DEP_1) | instskip(NEXT) | instid1(VALU_DEP_1)
	v_add_co_ci_u32_e64 v13, s2, s15, v6, s2
	v_cmp_gt_u64_e64 s2, s[12:13], v[12:13]
	v_mov_b32_e32 v13, 0
	s_delay_alu instid0(VALU_DEP_2)
	s_and_saveexec_b32 s3, s2
	s_cbranch_execz .LBB30_8
; %bb.7:                                ;   in Loop: Header=BB30_4 Depth=1
	global_load_u16 v13, v[3:4], off
.LBB30_8:                               ;   in Loop: Header=BB30_4 Depth=1
	s_or_b32 exec_lo, exec_lo, s3
	v_add_co_u32 v14, s3, v9, s14
	s_delay_alu instid0(VALU_DEP_1) | instskip(SKIP_1) | instid1(VALU_DEP_2)
	v_add_co_ci_u32_e64 v15, s3, s15, v10, s3
	v_mov_b32_e32 v12, 0
	v_cmp_gt_u64_e64 s3, s[12:13], v[14:15]
	v_mov_b32_e32 v14, 0
	s_delay_alu instid0(VALU_DEP_2)
	s_and_saveexec_b32 s5, s3
	s_cbranch_execz .LBB30_10
; %bb.9:                                ;   in Loop: Header=BB30_4 Depth=1
	v_add_co_u32 v14, s4, v1, s16
	s_delay_alu instid0(VALU_DEP_1)
	v_add_co_ci_u32_e64 v15, s4, 0, v2, s4
	global_load_u16 v14, v[14:15], off
.LBB30_10:                              ;   in Loop: Header=BB30_4 Depth=1
	s_or_b32 exec_lo, exec_lo, s5
	v_add_co_u32 v15, s4, v7, s14
	s_delay_alu instid0(VALU_DEP_1) | instskip(NEXT) | instid1(VALU_DEP_1)
	v_add_co_ci_u32_e64 v16, s4, s15, v8, s4
	v_cmp_gt_u64_e64 s4, s[12:13], v[15:16]
	s_delay_alu instid0(VALU_DEP_1)
	s_and_saveexec_b32 s19, s4
	s_cbranch_execnz .LBB30_15
; %bb.11:                               ;   in Loop: Header=BB30_4 Depth=1
	s_or_b32 exec_lo, exec_lo, s19
	s_and_saveexec_b32 s5, vcc_lo
	s_cbranch_execnz .LBB30_16
.LBB30_12:                              ;   in Loop: Header=BB30_4 Depth=1
	s_or_b32 exec_lo, exec_lo, s5
	s_and_saveexec_b32 s5, s2
	s_cbranch_execnz .LBB30_17
.LBB30_13:                              ;   in Loop: Header=BB30_4 Depth=1
	s_or_b32 exec_lo, exec_lo, s5
	s_and_saveexec_b32 s2, s3
	s_cbranch_execnz .LBB30_18
.LBB30_14:                              ;   in Loop: Header=BB30_4 Depth=1
	s_or_b32 exec_lo, exec_lo, s2
	s_and_saveexec_b32 s2, s4
	s_cbranch_execz .LBB30_3
	s_branch .LBB30_19
.LBB30_15:                              ;   in Loop: Header=BB30_4 Depth=1
	v_add_co_u32 v15, s5, v1, s18
	s_delay_alu instid0(VALU_DEP_1)
	v_add_co_ci_u32_e64 v16, s5, 0, v2, s5
	global_load_u16 v12, v[15:16], off
	s_or_b32 exec_lo, exec_lo, s19
	s_and_saveexec_b32 s5, vcc_lo
	s_cbranch_execz .LBB30_12
.LBB30_16:                              ;   in Loop: Header=BB30_4 Depth=1
	s_waitcnt vmcnt(0)
	v_floor_f16_e32 v11, v11
	global_store_b16 v[1:2], v11, off
	s_or_b32 exec_lo, exec_lo, s5
	s_and_saveexec_b32 s5, s2
	s_cbranch_execz .LBB30_13
.LBB30_17:                              ;   in Loop: Header=BB30_4 Depth=1
	s_waitcnt vmcnt(0)
	v_floor_f16_e32 v11, v13
	global_store_b16 v[3:4], v11, off
	s_or_b32 exec_lo, exec_lo, s5
	s_and_saveexec_b32 s2, s3
	s_cbranch_execz .LBB30_14
.LBB30_18:                              ;   in Loop: Header=BB30_4 Depth=1
	s_waitcnt vmcnt(0)
	v_add_co_u32 v13, vcc_lo, v1, s16
	v_floor_f16_e32 v11, v14
	v_add_co_ci_u32_e32 v14, vcc_lo, 0, v2, vcc_lo
	global_store_b16 v[13:14], v11, off
	s_or_b32 exec_lo, exec_lo, s2
	s_and_saveexec_b32 s2, s4
	s_cbranch_execz .LBB30_3
.LBB30_19:                              ;   in Loop: Header=BB30_4 Depth=1
	s_waitcnt vmcnt(0)
	v_add_co_u32 v11, vcc_lo, v1, s18
	v_floor_f16_e32 v13, v12
	v_add_co_ci_u32_e32 v12, vcc_lo, 0, v2, vcc_lo
	global_store_b16 v[11:12], v13, off
	s_branch .LBB30_3
.LBB30_20:
	s_cbranch_execz .LBB30_22
	s_branch .LBB30_25
.LBB30_21:
.LBB30_22:
	v_dual_mov_b32 v2, 0 :: v_dual_lshlrev_b32 v1, 2, v0
	s_mov_b32 s2, 0
	s_mov_b32 s3, exec_lo
	s_delay_alu instid0(VALU_DEP_1)
	v_cmpx_gt_i64_e64 s[6:7], v[1:2]
	s_cbranch_execz .LBB30_25
; %bb.23:
	s_load_b32 s0, s[0:1], 0xd3c
	v_lshlrev_b32_e32 v1, 3, v0
	s_waitcnt lgkmcnt(0)
	s_and_b32 s0, s0, 0xffff
	s_delay_alu instid0(SALU_CYCLE_1) | instskip(SKIP_3) | instid1(VALU_DEP_1)
	s_lshl_b32 s3, s0, 2
	s_add_u32 s1, s8, s10
	s_addc_u32 s4, s9, s11
	v_add_co_u32 v3, s1, s1, v1
	v_add_co_ci_u32_e64 v4, null, s4, 0, s1
	v_add_lshl_u32 v1, v0, s0, 2
	s_delay_alu instid0(VALU_DEP_3) | instskip(NEXT) | instid1(VALU_DEP_3)
	v_add_co_u32 v3, vcc_lo, v3, 4
	v_add_co_ci_u32_e32 v4, vcc_lo, 0, v4, vcc_lo
	s_lshl_b32 s4, s0, 3
	.p2align	6
.LBB30_24:                              ; =>This Inner Loop Header: Depth=1
	global_load_b64 v[5:6], v[3:4], off offset:-4
	v_cmp_le_i64_e32 vcc_lo, s[6:7], v[1:2]
	v_cmp_lt_u64_e64 s0, 0xffff, v[1:2]
	v_add_co_u32 v1, s1, v1, s3
	s_delay_alu instid0(VALU_DEP_1) | instskip(NEXT) | instid1(VALU_DEP_3)
	v_add_co_ci_u32_e64 v2, s1, 0, v2, s1
	s_or_b32 s0, vcc_lo, s0
	s_delay_alu instid0(SALU_CYCLE_1) | instskip(NEXT) | instid1(SALU_CYCLE_1)
	s_and_b32 s0, exec_lo, s0
	s_or_b32 s2, s0, s2
	s_waitcnt vmcnt(0)
	v_lshrrev_b32_e32 v0, 16, v6
	v_lshrrev_b32_e32 v7, 16, v5
	v_floor_f16_e32 v5, v5
	v_floor_f16_e32 v6, v6
	s_delay_alu instid0(VALU_DEP_4) | instskip(NEXT) | instid1(VALU_DEP_4)
	v_floor_f16_e32 v0, v0
	v_floor_f16_e32 v7, v7
	s_delay_alu instid0(VALU_DEP_2) | instskip(NEXT) | instid1(VALU_DEP_2)
	v_pack_b32_f16 v6, v6, v0
	v_pack_b32_f16 v5, v5, v7
	global_store_b64 v[3:4], v[5:6], off offset:-4
	v_add_co_u32 v3, vcc_lo, v3, s4
	v_add_co_ci_u32_e32 v4, vcc_lo, 0, v4, vcc_lo
	s_and_not1_b32 exec_lo, exec_lo, s2
	s_cbranch_execnz .LBB30_24
.LBB30_25:
	s_nop 0
	s_sendmsg sendmsg(MSG_DEALLOC_VGPRS)
	s_endpgm
	.section	.rodata,"a",@progbits
	.p2align	6, 0x0
	.amdhsa_kernel _ZN2at6native12_GLOBAL__N_125multi_tensor_apply_kernelINS1_18TensorListMetadataILi1EEENS1_14UnaryOpFunctorIN3c104HalfELi1ELi1ELi0EEEJNS0_5FloorIfEEEEEvT_T0_DpT1_
		.amdhsa_group_segment_fixed_size 0
		.amdhsa_private_segment_fixed_size 0
		.amdhsa_kernarg_size 3632
		.amdhsa_user_sgpr_count 15
		.amdhsa_user_sgpr_dispatch_ptr 0
		.amdhsa_user_sgpr_queue_ptr 0
		.amdhsa_user_sgpr_kernarg_segment_ptr 1
		.amdhsa_user_sgpr_dispatch_id 0
		.amdhsa_user_sgpr_private_segment_size 0
		.amdhsa_wavefront_size32 1
		.amdhsa_uses_dynamic_stack 0
		.amdhsa_enable_private_segment 0
		.amdhsa_system_sgpr_workgroup_id_x 1
		.amdhsa_system_sgpr_workgroup_id_y 0
		.amdhsa_system_sgpr_workgroup_id_z 0
		.amdhsa_system_sgpr_workgroup_info 0
		.amdhsa_system_vgpr_workitem_id 0
		.amdhsa_next_free_vgpr 17
		.amdhsa_next_free_sgpr 20
		.amdhsa_reserve_vcc 1
		.amdhsa_float_round_mode_32 0
		.amdhsa_float_round_mode_16_64 0
		.amdhsa_float_denorm_mode_32 3
		.amdhsa_float_denorm_mode_16_64 3
		.amdhsa_dx10_clamp 1
		.amdhsa_ieee_mode 1
		.amdhsa_fp16_overflow 0
		.amdhsa_workgroup_processor_mode 1
		.amdhsa_memory_ordered 1
		.amdhsa_forward_progress 0
		.amdhsa_shared_vgpr_count 0
		.amdhsa_exception_fp_ieee_invalid_op 0
		.amdhsa_exception_fp_denorm_src 0
		.amdhsa_exception_fp_ieee_div_zero 0
		.amdhsa_exception_fp_ieee_overflow 0
		.amdhsa_exception_fp_ieee_underflow 0
		.amdhsa_exception_fp_ieee_inexact 0
		.amdhsa_exception_int_div_zero 0
	.end_amdhsa_kernel
	.section	.text._ZN2at6native12_GLOBAL__N_125multi_tensor_apply_kernelINS1_18TensorListMetadataILi1EEENS1_14UnaryOpFunctorIN3c104HalfELi1ELi1ELi0EEEJNS0_5FloorIfEEEEEvT_T0_DpT1_,"axG",@progbits,_ZN2at6native12_GLOBAL__N_125multi_tensor_apply_kernelINS1_18TensorListMetadataILi1EEENS1_14UnaryOpFunctorIN3c104HalfELi1ELi1ELi0EEEJNS0_5FloorIfEEEEEvT_T0_DpT1_,comdat
.Lfunc_end30:
	.size	_ZN2at6native12_GLOBAL__N_125multi_tensor_apply_kernelINS1_18TensorListMetadataILi1EEENS1_14UnaryOpFunctorIN3c104HalfELi1ELi1ELi0EEEJNS0_5FloorIfEEEEEvT_T0_DpT1_, .Lfunc_end30-_ZN2at6native12_GLOBAL__N_125multi_tensor_apply_kernelINS1_18TensorListMetadataILi1EEENS1_14UnaryOpFunctorIN3c104HalfELi1ELi1ELi0EEEJNS0_5FloorIfEEEEEvT_T0_DpT1_
                                        ; -- End function
	.section	.AMDGPU.csdata,"",@progbits
; Kernel info:
; codeLenInByte = 1132
; NumSgprs: 22
; NumVgprs: 17
; ScratchSize: 0
; MemoryBound: 0
; FloatMode: 240
; IeeeMode: 1
; LDSByteSize: 0 bytes/workgroup (compile time only)
; SGPRBlocks: 2
; VGPRBlocks: 2
; NumSGPRsForWavesPerEU: 22
; NumVGPRsForWavesPerEU: 17
; Occupancy: 16
; WaveLimiterHint : 0
; COMPUTE_PGM_RSRC2:SCRATCH_EN: 0
; COMPUTE_PGM_RSRC2:USER_SGPR: 15
; COMPUTE_PGM_RSRC2:TRAP_HANDLER: 0
; COMPUTE_PGM_RSRC2:TGID_X_EN: 1
; COMPUTE_PGM_RSRC2:TGID_Y_EN: 0
; COMPUTE_PGM_RSRC2:TGID_Z_EN: 0
; COMPUTE_PGM_RSRC2:TIDIG_COMP_CNT: 0
	.section	.text._ZN2at6native12_GLOBAL__N_125multi_tensor_apply_kernelINS1_18TensorListMetadataILi1EEENS1_14UnaryOpFunctorIN3c108BFloat16ELi1ELi1ELi0EEEJNS0_5FloorIfEEEEEvT_T0_DpT1_,"axG",@progbits,_ZN2at6native12_GLOBAL__N_125multi_tensor_apply_kernelINS1_18TensorListMetadataILi1EEENS1_14UnaryOpFunctorIN3c108BFloat16ELi1ELi1ELi0EEEJNS0_5FloorIfEEEEEvT_T0_DpT1_,comdat
	.globl	_ZN2at6native12_GLOBAL__N_125multi_tensor_apply_kernelINS1_18TensorListMetadataILi1EEENS1_14UnaryOpFunctorIN3c108BFloat16ELi1ELi1ELi0EEEJNS0_5FloorIfEEEEEvT_T0_DpT1_ ; -- Begin function _ZN2at6native12_GLOBAL__N_125multi_tensor_apply_kernelINS1_18TensorListMetadataILi1EEENS1_14UnaryOpFunctorIN3c108BFloat16ELi1ELi1ELi0EEEJNS0_5FloorIfEEEEEvT_T0_DpT1_
	.p2align	8
	.type	_ZN2at6native12_GLOBAL__N_125multi_tensor_apply_kernelINS1_18TensorListMetadataILi1EEENS1_14UnaryOpFunctorIN3c108BFloat16ELi1ELi1ELi0EEEJNS0_5FloorIfEEEEEvT_T0_DpT1_,@function
_ZN2at6native12_GLOBAL__N_125multi_tensor_apply_kernelINS1_18TensorListMetadataILi1EEENS1_14UnaryOpFunctorIN3c108BFloat16ELi1ELi1ELi0EEEJNS0_5FloorIfEEEEEvT_T0_DpT1_: ; @_ZN2at6native12_GLOBAL__N_125multi_tensor_apply_kernelINS1_18TensorListMetadataILi1EEENS1_14UnaryOpFunctorIN3c108BFloat16ELi1ELi1ELi0EEEJNS0_5FloorIfEEEEEvT_T0_DpT1_
; %bb.0:
	v_mov_b32_e32 v1, s15
	s_add_u32 s2, s0, s15
	s_mul_hi_u32 s3, s15, 3
	s_mul_i32 s15, s15, 3
	s_addc_u32 s4, s1, 0
	global_load_u8 v1, v1, s[0:1] offset:1760
	s_add_u32 s2, s2, s15
	s_addc_u32 s3, s4, s3
	s_mov_b32 s13, 0
	s_load_b32 s2, s[2:3], 0x820
	s_waitcnt vmcnt(0)
	v_readfirstlane_b32 s5, v1
	s_delay_alu instid0(VALU_DEP_1)
	s_lshl_b32 s3, s5, 3
	s_clause 0x1
	s_load_b64 s[8:9], s[0:1], s3 offset:0x0
	s_load_b64 s[4:5], s[0:1], s3 offset:0x370
	s_waitcnt lgkmcnt(0)
	s_ashr_i32 s3, s2, 31
	s_delay_alu instid0(SALU_CYCLE_1)
	s_lshl_b64 s[10:11], s[2:3], 17
	s_lshl_b64 s[2:3], s[2:3], 16
	s_and_b32 s12, s8, 7
	s_sub_u32 s6, s4, s2
	s_subb_u32 s7, s5, s3
	s_and_b32 s2, s4, 3
	s_mov_b32 s3, s13
	s_delay_alu instid0(SALU_CYCLE_1) | instskip(NEXT) | instid1(SALU_CYCLE_1)
	s_or_b64 s[2:3], s[12:13], s[2:3]
	s_cmp_eq_u64 s[2:3], 0
	s_cbranch_scc1 .LBB31_21
; %bb.1:
	v_cmp_lt_i64_e64 s2, s[6:7], 1
	s_delay_alu instid0(VALU_DEP_1)
	s_and_b32 vcc_lo, exec_lo, s2
	s_cbranch_vccnz .LBB31_20
; %bb.2:
	s_load_b32 s2, s[0:1], 0xd3c
	v_cmp_gt_u64_e64 s3, 0x10000, s[6:7]
	v_lshlrev_b32_e32 v1, 1, v0
	s_waitcnt lgkmcnt(0)
	s_and_b32 s2, s2, 0xffff
	s_delay_alu instid0(VALU_DEP_2)
	s_and_b32 s3, s3, exec_lo
	v_add_co_u32 v5, s5, v0, s2
	s_cselect_b32 s13, s7, 0
	s_cselect_b32 s12, s6, 0x10000
	s_lshl_b32 s3, s2, 1
	s_lshl_b32 s16, s2, 2
	v_lshlrev_b32_e32 v3, 1, v5
	v_add_co_ci_u32_e64 v6, null, 0, 0, s5
	s_add_u32 s5, s8, s10
	v_add_co_u32 v9, s3, s3, v0
	s_mul_i32 s4, s2, 3
	s_addc_u32 s14, s9, s11
	v_add_co_ci_u32_e64 v10, null, 0, 0, s3
	v_add_co_u32 v1, s3, s5, v1
	v_add_co_u32 v7, s4, s4, v0
	v_add_co_ci_u32_e64 v2, null, s14, 0, s3
	v_add_co_u32 v3, s3, s5, v3
	v_add_co_ci_u32_e64 v8, null, 0, 0, s4
	v_add_co_ci_u32_e64 v4, null, s14, 0, s3
	s_lshl_b32 s17, s2, 3
	s_mul_i32 s18, s2, 6
	s_mov_b64 s[14:15], 0
	s_branch .LBB31_4
.LBB31_3:                               ;   in Loop: Header=BB31_4 Depth=1
	s_or_b32 exec_lo, exec_lo, s2
	s_add_u32 s14, s14, s16
	s_addc_u32 s15, s15, 0
	v_add_co_u32 v1, vcc_lo, v1, s17
	v_cmp_lt_i64_e64 s2, s[14:15], s[6:7]
	v_cmp_gt_u64_e64 s3, 0x10000, s[14:15]
	v_add_co_ci_u32_e32 v2, vcc_lo, 0, v2, vcc_lo
	v_add_co_u32 v3, vcc_lo, v3, s17
	v_add_co_ci_u32_e32 v4, vcc_lo, 0, v4, vcc_lo
	s_delay_alu instid0(VALU_DEP_4) | instskip(NEXT) | instid1(SALU_CYCLE_1)
	s_and_b32 s2, s2, s3
	s_and_b32 vcc_lo, exec_lo, s2
	s_cbranch_vccz .LBB31_20
.LBB31_4:                               ; =>This Inner Loop Header: Depth=1
	s_waitcnt vmcnt(0)
	v_add_co_u32 v11, s2, v0, s14
	s_delay_alu instid0(VALU_DEP_1) | instskip(NEXT) | instid1(VALU_DEP_1)
	v_add_co_ci_u32_e64 v12, null, 0, s15, s2
	v_cmp_gt_u64_e32 vcc_lo, s[12:13], v[11:12]
	v_mov_b32_e32 v12, 0
	s_and_saveexec_b32 s2, vcc_lo
	s_cbranch_execz .LBB31_6
; %bb.5:                                ;   in Loop: Header=BB31_4 Depth=1
	global_load_u16 v12, v[1:2], off
.LBB31_6:                               ;   in Loop: Header=BB31_4 Depth=1
	s_or_b32 exec_lo, exec_lo, s2
	v_add_co_u32 v13, s2, v5, s14
	s_delay_alu instid0(VALU_DEP_1) | instskip(NEXT) | instid1(VALU_DEP_1)
	v_add_co_ci_u32_e64 v14, s2, s15, v6, s2
	v_cmp_gt_u64_e64 s2, s[12:13], v[13:14]
	v_mov_b32_e32 v13, 0
	s_delay_alu instid0(VALU_DEP_2)
	s_and_saveexec_b32 s3, s2
	s_cbranch_execz .LBB31_8
; %bb.7:                                ;   in Loop: Header=BB31_4 Depth=1
	global_load_u16 v13, v[3:4], off
.LBB31_8:                               ;   in Loop: Header=BB31_4 Depth=1
	s_or_b32 exec_lo, exec_lo, s3
	v_add_co_u32 v14, s3, v9, s14
	s_delay_alu instid0(VALU_DEP_1) | instskip(SKIP_1) | instid1(VALU_DEP_2)
	v_add_co_ci_u32_e64 v15, s3, s15, v10, s3
	v_mov_b32_e32 v11, 0
	v_cmp_gt_u64_e64 s3, s[12:13], v[14:15]
	v_mov_b32_e32 v14, 0
	s_delay_alu instid0(VALU_DEP_2)
	s_and_saveexec_b32 s5, s3
	s_cbranch_execz .LBB31_10
; %bb.9:                                ;   in Loop: Header=BB31_4 Depth=1
	v_add_co_u32 v14, s4, v1, s16
	s_delay_alu instid0(VALU_DEP_1)
	v_add_co_ci_u32_e64 v15, s4, 0, v2, s4
	global_load_u16 v14, v[14:15], off
.LBB31_10:                              ;   in Loop: Header=BB31_4 Depth=1
	s_or_b32 exec_lo, exec_lo, s5
	v_add_co_u32 v15, s4, v7, s14
	s_delay_alu instid0(VALU_DEP_1) | instskip(NEXT) | instid1(VALU_DEP_1)
	v_add_co_ci_u32_e64 v16, s4, s15, v8, s4
	v_cmp_gt_u64_e64 s4, s[12:13], v[15:16]
	s_delay_alu instid0(VALU_DEP_1)
	s_and_saveexec_b32 s19, s4
	s_cbranch_execnz .LBB31_15
; %bb.11:                               ;   in Loop: Header=BB31_4 Depth=1
	s_or_b32 exec_lo, exec_lo, s19
	s_and_saveexec_b32 s5, vcc_lo
	s_cbranch_execnz .LBB31_16
.LBB31_12:                              ;   in Loop: Header=BB31_4 Depth=1
	s_or_b32 exec_lo, exec_lo, s5
	s_and_saveexec_b32 s5, s2
	s_cbranch_execnz .LBB31_17
.LBB31_13:                              ;   in Loop: Header=BB31_4 Depth=1
	s_or_b32 exec_lo, exec_lo, s5
	s_and_saveexec_b32 s2, s3
	s_cbranch_execnz .LBB31_18
.LBB31_14:                              ;   in Loop: Header=BB31_4 Depth=1
	s_or_b32 exec_lo, exec_lo, s2
	s_and_saveexec_b32 s2, s4
	s_cbranch_execz .LBB31_3
	s_branch .LBB31_19
.LBB31_15:                              ;   in Loop: Header=BB31_4 Depth=1
	v_add_co_u32 v15, s5, v1, s18
	s_delay_alu instid0(VALU_DEP_1)
	v_add_co_ci_u32_e64 v16, s5, 0, v2, s5
	global_load_u16 v11, v[15:16], off
	s_or_b32 exec_lo, exec_lo, s19
	s_and_saveexec_b32 s5, vcc_lo
	s_cbranch_execz .LBB31_12
.LBB31_16:                              ;   in Loop: Header=BB31_4 Depth=1
	s_waitcnt vmcnt(0)
	v_lshlrev_b32_e32 v12, 16, v12
	s_delay_alu instid0(VALU_DEP_1) | instskip(NEXT) | instid1(VALU_DEP_1)
	v_floor_f32_e32 v12, v12
	v_bfe_u32 v15, v12, 16, 1
	v_cmp_o_f32_e32 vcc_lo, v12, v12
	s_delay_alu instid0(VALU_DEP_2) | instskip(NEXT) | instid1(VALU_DEP_1)
	v_add3_u32 v15, v12, v15, 0x7fff
	v_lshrrev_b32_e32 v15, 16, v15
	s_delay_alu instid0(VALU_DEP_1)
	v_cndmask_b32_e32 v12, 0x7fc0, v15, vcc_lo
	global_store_b16 v[1:2], v12, off
	s_or_b32 exec_lo, exec_lo, s5
	s_and_saveexec_b32 s5, s2
	s_cbranch_execz .LBB31_13
.LBB31_17:                              ;   in Loop: Header=BB31_4 Depth=1
	s_waitcnt vmcnt(0)
	v_lshlrev_b32_e32 v12, 16, v13
	s_delay_alu instid0(VALU_DEP_1) | instskip(NEXT) | instid1(VALU_DEP_1)
	v_floor_f32_e32 v12, v12
	v_bfe_u32 v13, v12, 16, 1
	v_cmp_o_f32_e32 vcc_lo, v12, v12
	s_delay_alu instid0(VALU_DEP_2) | instskip(NEXT) | instid1(VALU_DEP_1)
	v_add3_u32 v13, v12, v13, 0x7fff
	v_lshrrev_b32_e32 v13, 16, v13
	s_delay_alu instid0(VALU_DEP_1)
	v_cndmask_b32_e32 v12, 0x7fc0, v13, vcc_lo
	global_store_b16 v[3:4], v12, off
	s_or_b32 exec_lo, exec_lo, s5
	s_and_saveexec_b32 s2, s3
	s_cbranch_execz .LBB31_14
.LBB31_18:                              ;   in Loop: Header=BB31_4 Depth=1
	s_waitcnt vmcnt(0)
	v_lshlrev_b32_e32 v12, 16, v14
	s_delay_alu instid0(VALU_DEP_1) | instskip(NEXT) | instid1(VALU_DEP_1)
	v_floor_f32_e32 v12, v12
	v_bfe_u32 v13, v12, 16, 1
	v_cmp_o_f32_e32 vcc_lo, v12, v12
	s_delay_alu instid0(VALU_DEP_2) | instskip(NEXT) | instid1(VALU_DEP_1)
	v_add3_u32 v13, v12, v13, 0x7fff
	v_lshrrev_b32_e32 v13, 16, v13
	s_delay_alu instid0(VALU_DEP_1)
	v_cndmask_b32_e32 v14, 0x7fc0, v13, vcc_lo
	v_add_co_u32 v12, vcc_lo, v1, s16
	v_add_co_ci_u32_e32 v13, vcc_lo, 0, v2, vcc_lo
	global_store_b16 v[12:13], v14, off
	s_or_b32 exec_lo, exec_lo, s2
	s_and_saveexec_b32 s2, s4
	s_cbranch_execz .LBB31_3
.LBB31_19:                              ;   in Loop: Header=BB31_4 Depth=1
	s_waitcnt vmcnt(0)
	v_lshlrev_b32_e32 v11, 16, v11
	s_delay_alu instid0(VALU_DEP_1) | instskip(NEXT) | instid1(VALU_DEP_1)
	v_floor_f32_e32 v11, v11
	v_bfe_u32 v12, v11, 16, 1
	v_cmp_o_f32_e32 vcc_lo, v11, v11
	s_delay_alu instid0(VALU_DEP_2) | instskip(NEXT) | instid1(VALU_DEP_1)
	v_add3_u32 v12, v11, v12, 0x7fff
	v_lshrrev_b32_e32 v12, 16, v12
	s_delay_alu instid0(VALU_DEP_1)
	v_cndmask_b32_e32 v13, 0x7fc0, v12, vcc_lo
	v_add_co_u32 v11, vcc_lo, v1, s18
	v_add_co_ci_u32_e32 v12, vcc_lo, 0, v2, vcc_lo
	global_store_b16 v[11:12], v13, off
	s_branch .LBB31_3
.LBB31_20:
	s_cbranch_execz .LBB31_22
	s_branch .LBB31_25
.LBB31_21:
.LBB31_22:
	v_dual_mov_b32 v2, 0 :: v_dual_lshlrev_b32 v1, 2, v0
	s_mov_b32 s2, 0
	s_mov_b32 s3, exec_lo
	s_delay_alu instid0(VALU_DEP_1)
	v_cmpx_gt_i64_e64 s[6:7], v[1:2]
	s_cbranch_execz .LBB31_25
; %bb.23:
	s_load_b32 s0, s[0:1], 0xd3c
	v_lshlrev_b32_e32 v1, 3, v0
	s_waitcnt lgkmcnt(0)
	s_and_b32 s0, s0, 0xffff
	s_add_u32 s1, s8, s10
	s_addc_u32 s3, s9, s11
	v_add_co_u32 v3, s1, s1, v1
	s_delay_alu instid0(VALU_DEP_1)
	v_add_co_ci_u32_e64 v4, null, s3, 0, s1
	v_add_lshl_u32 v1, v0, s0, 2
	s_lshl_b32 s3, s0, 3
	s_lshl_b32 s4, s0, 2
.LBB31_24:                              ; =>This Inner Loop Header: Depth=1
	global_load_b64 v[5:6], v[3:4], off
	v_cmp_lt_u64_e64 s0, 0xffff, v[1:2]
	s_waitcnt vmcnt(0)
	v_alignbit_b32 v0, v6, v5, 16
	v_and_b32_e32 v6, 0xffff0000, v6
	v_and_b32_e32 v7, 0xffff0000, v5
	s_delay_alu instid0(VALU_DEP_3) | instskip(NEXT) | instid1(VALU_DEP_3)
	v_and_b32_e32 v0, 0xffff0000, v0
	v_floor_f32_e32 v6, v6
	s_delay_alu instid0(VALU_DEP_3) | instskip(NEXT) | instid1(VALU_DEP_3)
	v_floor_f32_e32 v7, v7
	v_floor_f32_e32 v0, v0
	s_delay_alu instid0(VALU_DEP_3) | instskip(NEXT) | instid1(VALU_DEP_3)
	v_bfe_u32 v10, v6, 16, 1
	v_bfe_u32 v8, v7, 16, 1
	v_cmp_o_f32_e32 vcc_lo, v7, v7
	s_delay_alu instid0(VALU_DEP_4) | instskip(NEXT) | instid1(VALU_DEP_4)
	v_bfe_u32 v11, v0, 16, 1
	v_add3_u32 v10, v6, v10, 0x7fff
	s_delay_alu instid0(VALU_DEP_4) | instskip(NEXT) | instid1(VALU_DEP_3)
	v_add3_u32 v8, v7, v8, 0x7fff
	v_add3_u32 v11, v0, v11, 0x7fff
	s_delay_alu instid0(VALU_DEP_3) | instskip(SKIP_1) | instid1(VALU_DEP_4)
	v_and_b32_e32 v10, 0xffff0000, v10
	v_lshlrev_b32_e32 v5, 16, v5
	v_and_b32_e32 v8, 0xffff0000, v8
	s_delay_alu instid0(VALU_DEP_4) | instskip(NEXT) | instid1(VALU_DEP_3)
	v_lshrrev_b32_e32 v11, 16, v11
	v_floor_f32_e32 v5, v5
	s_delay_alu instid0(VALU_DEP_3) | instskip(NEXT) | instid1(VALU_DEP_2)
	v_cndmask_b32_e32 v7, 0x7fc00000, v8, vcc_lo
	v_bfe_u32 v9, v5, 16, 1
	v_cmp_o_f32_e32 vcc_lo, v5, v5
	s_delay_alu instid0(VALU_DEP_2) | instskip(NEXT) | instid1(VALU_DEP_1)
	v_add3_u32 v9, v5, v9, 0x7fff
	v_lshrrev_b32_e32 v9, 16, v9
	s_delay_alu instid0(VALU_DEP_1) | instskip(SKIP_1) | instid1(VALU_DEP_2)
	v_cndmask_b32_e32 v5, 0x7fc0, v9, vcc_lo
	v_cmp_o_f32_e32 vcc_lo, v6, v6
	v_or_b32_e32 v5, v5, v7
	v_cndmask_b32_e32 v6, 0x7fc00000, v10, vcc_lo
	v_cmp_o_f32_e32 vcc_lo, v0, v0
	s_delay_alu instid0(VALU_DEP_3) | instskip(SKIP_3) | instid1(VALU_DEP_1)
	v_or3_b32 v5, v5, 0, 0
	v_cndmask_b32_e32 v0, 0x7fc0, v11, vcc_lo
	v_cmp_le_i64_e32 vcc_lo, s[6:7], v[1:2]
	v_add_co_u32 v1, s1, v1, s4
	v_add_co_ci_u32_e64 v2, s1, 0, v2, s1
	s_delay_alu instid0(VALU_DEP_4) | instskip(SKIP_1) | instid1(SALU_CYCLE_1)
	v_or3_b32 v6, 0, v0, v6
	s_or_b32 s0, vcc_lo, s0
	s_and_b32 s0, exec_lo, s0
	global_store_b64 v[3:4], v[5:6], off
	v_add_co_u32 v3, vcc_lo, v3, s3
	v_add_co_ci_u32_e32 v4, vcc_lo, 0, v4, vcc_lo
	s_or_b32 s2, s0, s2
	s_delay_alu instid0(SALU_CYCLE_1)
	s_and_not1_b32 exec_lo, exec_lo, s2
	s_cbranch_execnz .LBB31_24
.LBB31_25:
	s_nop 0
	s_sendmsg sendmsg(MSG_DEALLOC_VGPRS)
	s_endpgm
	.section	.rodata,"a",@progbits
	.p2align	6, 0x0
	.amdhsa_kernel _ZN2at6native12_GLOBAL__N_125multi_tensor_apply_kernelINS1_18TensorListMetadataILi1EEENS1_14UnaryOpFunctorIN3c108BFloat16ELi1ELi1ELi0EEEJNS0_5FloorIfEEEEEvT_T0_DpT1_
		.amdhsa_group_segment_fixed_size 0
		.amdhsa_private_segment_fixed_size 0
		.amdhsa_kernarg_size 3632
		.amdhsa_user_sgpr_count 15
		.amdhsa_user_sgpr_dispatch_ptr 0
		.amdhsa_user_sgpr_queue_ptr 0
		.amdhsa_user_sgpr_kernarg_segment_ptr 1
		.amdhsa_user_sgpr_dispatch_id 0
		.amdhsa_user_sgpr_private_segment_size 0
		.amdhsa_wavefront_size32 1
		.amdhsa_uses_dynamic_stack 0
		.amdhsa_enable_private_segment 0
		.amdhsa_system_sgpr_workgroup_id_x 1
		.amdhsa_system_sgpr_workgroup_id_y 0
		.amdhsa_system_sgpr_workgroup_id_z 0
		.amdhsa_system_sgpr_workgroup_info 0
		.amdhsa_system_vgpr_workitem_id 0
		.amdhsa_next_free_vgpr 17
		.amdhsa_next_free_sgpr 20
		.amdhsa_reserve_vcc 1
		.amdhsa_float_round_mode_32 0
		.amdhsa_float_round_mode_16_64 0
		.amdhsa_float_denorm_mode_32 3
		.amdhsa_float_denorm_mode_16_64 3
		.amdhsa_dx10_clamp 1
		.amdhsa_ieee_mode 1
		.amdhsa_fp16_overflow 0
		.amdhsa_workgroup_processor_mode 1
		.amdhsa_memory_ordered 1
		.amdhsa_forward_progress 0
		.amdhsa_shared_vgpr_count 0
		.amdhsa_exception_fp_ieee_invalid_op 0
		.amdhsa_exception_fp_denorm_src 0
		.amdhsa_exception_fp_ieee_div_zero 0
		.amdhsa_exception_fp_ieee_overflow 0
		.amdhsa_exception_fp_ieee_underflow 0
		.amdhsa_exception_fp_ieee_inexact 0
		.amdhsa_exception_int_div_zero 0
	.end_amdhsa_kernel
	.section	.text._ZN2at6native12_GLOBAL__N_125multi_tensor_apply_kernelINS1_18TensorListMetadataILi1EEENS1_14UnaryOpFunctorIN3c108BFloat16ELi1ELi1ELi0EEEJNS0_5FloorIfEEEEEvT_T0_DpT1_,"axG",@progbits,_ZN2at6native12_GLOBAL__N_125multi_tensor_apply_kernelINS1_18TensorListMetadataILi1EEENS1_14UnaryOpFunctorIN3c108BFloat16ELi1ELi1ELi0EEEJNS0_5FloorIfEEEEEvT_T0_DpT1_,comdat
.Lfunc_end31:
	.size	_ZN2at6native12_GLOBAL__N_125multi_tensor_apply_kernelINS1_18TensorListMetadataILi1EEENS1_14UnaryOpFunctorIN3c108BFloat16ELi1ELi1ELi0EEEJNS0_5FloorIfEEEEEvT_T0_DpT1_, .Lfunc_end31-_ZN2at6native12_GLOBAL__N_125multi_tensor_apply_kernelINS1_18TensorListMetadataILi1EEENS1_14UnaryOpFunctorIN3c108BFloat16ELi1ELi1ELi0EEEJNS0_5FloorIfEEEEEvT_T0_DpT1_
                                        ; -- End function
	.section	.AMDGPU.csdata,"",@progbits
; Kernel info:
; codeLenInByte = 1544
; NumSgprs: 22
; NumVgprs: 17
; ScratchSize: 0
; MemoryBound: 0
; FloatMode: 240
; IeeeMode: 1
; LDSByteSize: 0 bytes/workgroup (compile time only)
; SGPRBlocks: 2
; VGPRBlocks: 2
; NumSGPRsForWavesPerEU: 22
; NumVGPRsForWavesPerEU: 17
; Occupancy: 16
; WaveLimiterHint : 0
; COMPUTE_PGM_RSRC2:SCRATCH_EN: 0
; COMPUTE_PGM_RSRC2:USER_SGPR: 15
; COMPUTE_PGM_RSRC2:TRAP_HANDLER: 0
; COMPUTE_PGM_RSRC2:TGID_X_EN: 1
; COMPUTE_PGM_RSRC2:TGID_Y_EN: 0
; COMPUTE_PGM_RSRC2:TGID_Z_EN: 0
; COMPUTE_PGM_RSRC2:TIDIG_COMP_CNT: 0
	.section	.text._ZN2at6native12_GLOBAL__N_125multi_tensor_apply_kernelINS1_18TensorListMetadataILi2EEENS1_14UnaryOpFunctorIdLi2ELi1ELi1EEEJNS0_4CeilIdEEEEEvT_T0_DpT1_,"axG",@progbits,_ZN2at6native12_GLOBAL__N_125multi_tensor_apply_kernelINS1_18TensorListMetadataILi2EEENS1_14UnaryOpFunctorIdLi2ELi1ELi1EEEJNS0_4CeilIdEEEEEvT_T0_DpT1_,comdat
	.globl	_ZN2at6native12_GLOBAL__N_125multi_tensor_apply_kernelINS1_18TensorListMetadataILi2EEENS1_14UnaryOpFunctorIdLi2ELi1ELi1EEEJNS0_4CeilIdEEEEEvT_T0_DpT1_ ; -- Begin function _ZN2at6native12_GLOBAL__N_125multi_tensor_apply_kernelINS1_18TensorListMetadataILi2EEENS1_14UnaryOpFunctorIdLi2ELi1ELi1EEEJNS0_4CeilIdEEEEEvT_T0_DpT1_
	.p2align	8
	.type	_ZN2at6native12_GLOBAL__N_125multi_tensor_apply_kernelINS1_18TensorListMetadataILi2EEENS1_14UnaryOpFunctorIdLi2ELi1ELi1EEEJNS0_4CeilIdEEEEEvT_T0_DpT1_,@function
_ZN2at6native12_GLOBAL__N_125multi_tensor_apply_kernelINS1_18TensorListMetadataILi2EEENS1_14UnaryOpFunctorIdLi2ELi1ELi1EEEJNS0_4CeilIdEEEEEvT_T0_DpT1_: ; @_ZN2at6native12_GLOBAL__N_125multi_tensor_apply_kernelINS1_18TensorListMetadataILi2EEENS1_14UnaryOpFunctorIdLi2ELi1ELi1EEEJNS0_4CeilIdEEEEEvT_T0_DpT1_
; %bb.0:
	v_mov_b32_e32 v1, s15
	s_add_u32 s2, s0, s15
	s_mul_hi_u32 s3, s15, 3
	s_mul_i32 s15, s15, 3
	s_addc_u32 s4, s1, 0
	global_load_u8 v1, v1, s[0:1] offset:1536
	s_add_u32 s2, s2, s15
	s_addc_u32 s3, s4, s3
	s_mov_b32 s17, 0
	s_load_b32 s2, s[2:3], 0x740
	s_mov_b32 s19, s17
	s_mov_b32 s21, s17
	s_waitcnt vmcnt(0)
	v_readfirstlane_b32 s5, v1
	s_delay_alu instid0(VALU_DEP_1)
	s_lshl_b32 s3, s5, 3
	s_clause 0x2
	s_load_b64 s[10:11], s[0:1], s3 offset:0x0
	s_load_b64 s[12:13], s[0:1], s3 offset:0x200
	;; [unrolled: 1-line block ×3, first 2 shown]
	s_waitcnt lgkmcnt(0)
	s_ashr_i32 s3, s2, 31
	s_delay_alu instid0(SALU_CYCLE_1) | instskip(NEXT) | instid1(SALU_CYCLE_1)
	s_lshl_b64 s[4:5], s[2:3], 19
	s_add_u32 s8, s10, s4
	s_addc_u32 s9, s11, s5
	s_and_b32 s16, s8, 31
	s_add_u32 s14, s12, s4
	s_addc_u32 s15, s13, s5
	s_and_b32 s18, s6, 3
	s_and_b32 s20, s14, 31
	s_or_b64 s[16:17], s[16:17], s[18:19]
	s_lshl_b64 s[2:3], s[2:3], 16
	s_or_b64 s[16:17], s[20:21], s[16:17]
	s_sub_u32 s6, s6, s2
	s_subb_u32 s7, s7, s3
	s_cmp_eq_u64 s[16:17], 0
	s_mov_b32 s2, -1
	s_cbranch_scc0 .LBB32_5
; %bb.1:
	v_dual_mov_b32 v2, 0 :: v_dual_lshlrev_b32 v1, 2, v0
	s_mov_b32 s16, exec_lo
	s_delay_alu instid0(VALU_DEP_1)
	v_cmpx_gt_i64_e64 s[6:7], v[1:2]
	s_cbranch_execz .LBB32_4
; %bb.2:
	s_load_b32 s2, s[0:1], 0xc5c
	v_lshlrev_b32_e32 v3, 5, v0
	s_mov_b32 s17, 0
	s_waitcnt lgkmcnt(0)
	s_and_b32 s2, s2, 0xffff
	s_delay_alu instid0(SALU_CYCLE_1)
	v_add_lshl_u32 v1, v0, s2, 2
	s_lshl_b32 s18, s2, 2
	s_lshl_b32 s19, s2, 5
	s_set_inst_prefetch_distance 0x1
	.p2align	6
.LBB32_3:                               ; =>This Inner Loop Header: Depth=1
	v_add_co_u32 v8, s2, s8, v3
	s_delay_alu instid0(VALU_DEP_1)
	v_add_co_ci_u32_e64 v9, null, s9, 0, s2
	v_cmp_le_i64_e32 vcc_lo, s[6:7], v[1:2]
	v_cmp_lt_u64_e64 s2, 0xffff, v[1:2]
	v_add_co_u32 v12, s3, s14, v3
	s_clause 0x1
	global_load_b128 v[4:7], v[8:9], off
	global_load_b128 v[8:11], v[8:9], off offset:16
	v_add_co_ci_u32_e64 v13, null, s15, 0, s3
	s_or_b32 s2, vcc_lo, s2
	s_add_u32 s8, s8, s19
	v_add_co_u32 v1, s3, v1, s18
	s_addc_u32 s9, s9, 0
	s_add_u32 s14, s14, s19
	v_add_co_ci_u32_e64 v2, s3, 0, v2, s3
	s_addc_u32 s15, s15, 0
	s_and_b32 s2, exec_lo, s2
	s_delay_alu instid0(SALU_CYCLE_1)
	s_or_b32 s17, s2, s17
	s_waitcnt vmcnt(1)
	v_ceil_f64_e32 v[4:5], v[4:5]
	v_ceil_f64_e32 v[6:7], v[6:7]
	s_waitcnt vmcnt(0)
	v_ceil_f64_e32 v[8:9], v[8:9]
	v_ceil_f64_e32 v[10:11], v[10:11]
	s_clause 0x1
	global_store_b128 v[12:13], v[4:7], off
	global_store_b128 v[12:13], v[8:11], off offset:16
	s_and_not1_b32 exec_lo, exec_lo, s17
	s_cbranch_execnz .LBB32_3
.LBB32_4:
	s_set_inst_prefetch_distance 0x2
	s_or_b32 exec_lo, exec_lo, s16
	s_mov_b32 s2, 0
.LBB32_5:
	s_delay_alu instid0(SALU_CYCLE_1)
	s_and_not1_b32 vcc_lo, exec_lo, s2
	s_cbranch_vccnz .LBB32_25
; %bb.6:
	v_cmp_lt_i64_e64 s2, s[6:7], 1
	s_delay_alu instid0(VALU_DEP_1)
	s_and_b32 vcc_lo, exec_lo, s2
	s_cbranch_vccnz .LBB32_25
; %bb.7:
	s_load_b32 s0, s[0:1], 0xc5c
	v_dual_mov_b32 v2, 0 :: v_dual_lshlrev_b32 v1, 3, v0
	v_cmp_gt_u64_e64 s1, 0x10000, s[6:7]
	s_delay_alu instid0(VALU_DEP_2) | instskip(NEXT) | instid1(VALU_DEP_1)
	v_add_co_u32 v9, s2, s10, v1
	v_add_co_ci_u32_e64 v10, null, s11, 0, s2
	v_add_co_u32 v11, s2, s12, v1
	s_delay_alu instid0(VALU_DEP_1)
	v_add_co_ci_u32_e64 v12, null, s13, 0, s2
	s_waitcnt lgkmcnt(0)
	s_and_b32 s0, s0, 0xffff
	s_and_b32 s1, s1, exec_lo
	v_mad_u64_u32 v[3:4], null, s0, 24, v[1:2]
	s_cselect_b32 s9, s7, 0
	s_cselect_b32 s8, s6, 0x10000
	s_lshl_b32 s3, s0, 4
	s_mul_i32 s2, s0, 3
	v_add_co_u32 v1, s3, s3, v1
	s_delay_alu instid0(VALU_DEP_2) | instskip(NEXT) | instid1(VALU_DEP_3)
	v_add_co_u32 v13, vcc_lo, s10, v3
	v_add_co_ci_u32_e32 v14, vcc_lo, s11, v4, vcc_lo
	v_add_co_u32 v17, s2, s2, v0
	v_add_co_u32 v15, vcc_lo, s12, v3
	v_add_co_ci_u32_e64 v2, null, 0, 0, s3
	v_add_co_ci_u32_e64 v18, null, 0, 0, s2
	v_add_co_u32 v21, s2, v0, s0
	v_add_co_ci_u32_e32 v16, vcc_lo, s13, v4, vcc_lo
	v_add_co_u32 v19, vcc_lo, s10, v1
	v_add_co_ci_u32_e32 v20, vcc_lo, s11, v2, vcc_lo
	v_add_co_u32 v22, vcc_lo, s12, v1
	v_lshlrev_b32_e32 v1, 3, v21
	s_lshl_b32 s1, s0, 1
	v_add_co_ci_u32_e32 v23, vcc_lo, s13, v2, vcc_lo
	v_add_co_u32 v25, s1, s1, v0
	s_delay_alu instid0(VALU_DEP_1) | instskip(SKIP_1) | instid1(VALU_DEP_1)
	v_add_co_ci_u32_e64 v26, null, 0, 0, s1
	v_add_co_u32 v27, s1, s10, v1
	v_add_co_ci_u32_e64 v28, null, s11, 0, s1
	v_add_co_u32 v29, s1, s12, v1
	v_add_co_ci_u32_e64 v24, null, 0, 0, s2
	v_add_co_ci_u32_e64 v30, null, s13, 0, s1
	s_lshl_b32 s12, s0, 2
	s_lshl_b32 s13, s0, 5
	s_mov_b64 s[10:11], 0
	s_branch .LBB32_9
.LBB32_8:                               ;   in Loop: Header=BB32_9 Depth=1
	s_or_b32 exec_lo, exec_lo, s0
	v_add_co_u32 v9, vcc_lo, v9, s13
	v_add_co_ci_u32_e32 v10, vcc_lo, 0, v10, vcc_lo
	v_add_co_u32 v11, vcc_lo, v11, s13
	v_add_co_ci_u32_e32 v12, vcc_lo, 0, v12, vcc_lo
	;; [unrolled: 2-line block ×5, first 2 shown]
	s_add_u32 s10, s10, s12
	v_add_co_u32 v22, vcc_lo, v22, s13
	s_addc_u32 s11, s11, 0
	v_add_co_ci_u32_e32 v23, vcc_lo, 0, v23, vcc_lo
	v_cmp_ge_i64_e64 s0, s[10:11], s[6:7]
	v_cmp_lt_u64_e64 s1, 0xffff, s[10:11]
	v_add_co_u32 v27, vcc_lo, v27, s13
	v_add_co_ci_u32_e32 v28, vcc_lo, 0, v28, vcc_lo
	v_add_co_u32 v29, vcc_lo, v29, s13
	v_add_co_ci_u32_e32 v30, vcc_lo, 0, v30, vcc_lo
	s_or_b32 s0, s0, s1
	s_delay_alu instid0(SALU_CYCLE_1)
	s_and_b32 vcc_lo, exec_lo, s0
	s_cbranch_vccnz .LBB32_25
.LBB32_9:                               ; =>This Inner Loop Header: Depth=1
	s_waitcnt vmcnt(0)
	v_add_co_u32 v3, s0, v0, s10
	s_delay_alu instid0(VALU_DEP_1) | instskip(SKIP_2) | instid1(VALU_DEP_3)
	v_add_co_ci_u32_e64 v4, null, 0, s11, s0
	v_mov_b32_e32 v1, 0
	v_mov_b32_e32 v2, 0
	v_cmp_gt_u64_e32 vcc_lo, s[8:9], v[3:4]
	s_delay_alu instid0(VALU_DEP_2)
	v_dual_mov_b32 v4, v2 :: v_dual_mov_b32 v3, v1
	s_and_saveexec_b32 s1, vcc_lo
	s_cbranch_execz .LBB32_11
; %bb.10:                               ;   in Loop: Header=BB32_9 Depth=1
	v_add_co_u32 v3, s0, v9, s4
	s_delay_alu instid0(VALU_DEP_1)
	v_add_co_ci_u32_e64 v4, s0, s5, v10, s0
	global_load_b64 v[3:4], v[3:4], off
.LBB32_11:                              ;   in Loop: Header=BB32_9 Depth=1
	s_or_b32 exec_lo, exec_lo, s1
	v_add_co_u32 v5, s0, v21, s10
	s_delay_alu instid0(VALU_DEP_1) | instskip(NEXT) | instid1(VALU_DEP_1)
	v_add_co_ci_u32_e64 v6, s0, s11, v24, s0
	v_cmp_gt_u64_e64 s0, s[8:9], v[5:6]
	s_delay_alu instid0(VALU_DEP_1)
	s_and_saveexec_b32 s2, s0
	s_cbranch_execz .LBB32_13
; %bb.12:                               ;   in Loop: Header=BB32_9 Depth=1
	v_add_co_u32 v1, s1, v27, s4
	s_delay_alu instid0(VALU_DEP_1)
	v_add_co_ci_u32_e64 v2, s1, s5, v28, s1
	global_load_b64 v[1:2], v[1:2], off
.LBB32_13:                              ;   in Loop: Header=BB32_9 Depth=1
	s_or_b32 exec_lo, exec_lo, s2
	v_add_co_u32 v7, s1, v25, s10
	s_delay_alu instid0(VALU_DEP_1) | instskip(SKIP_2) | instid1(VALU_DEP_3)
	v_add_co_ci_u32_e64 v8, s1, s11, v26, s1
	v_mov_b32_e32 v5, 0
	v_mov_b32_e32 v6, 0
	v_cmp_gt_u64_e64 s1, s[8:9], v[7:8]
	s_delay_alu instid0(VALU_DEP_2) | instskip(NEXT) | instid1(VALU_DEP_2)
	v_dual_mov_b32 v8, v6 :: v_dual_mov_b32 v7, v5
	s_and_saveexec_b32 s3, s1
	s_cbranch_execz .LBB32_15
; %bb.14:                               ;   in Loop: Header=BB32_9 Depth=1
	v_add_co_u32 v7, s2, v19, s4
	s_delay_alu instid0(VALU_DEP_1)
	v_add_co_ci_u32_e64 v8, s2, s5, v20, s2
	global_load_b64 v[7:8], v[7:8], off
.LBB32_15:                              ;   in Loop: Header=BB32_9 Depth=1
	s_or_b32 exec_lo, exec_lo, s3
	v_add_co_u32 v31, s2, v17, s10
	s_delay_alu instid0(VALU_DEP_1) | instskip(NEXT) | instid1(VALU_DEP_1)
	v_add_co_ci_u32_e64 v32, s2, s11, v18, s2
	v_cmp_gt_u64_e64 s2, s[8:9], v[31:32]
	s_delay_alu instid0(VALU_DEP_1)
	s_and_saveexec_b32 s14, s2
	s_cbranch_execnz .LBB32_20
; %bb.16:                               ;   in Loop: Header=BB32_9 Depth=1
	s_or_b32 exec_lo, exec_lo, s14
	s_and_saveexec_b32 s3, vcc_lo
	s_cbranch_execnz .LBB32_21
.LBB32_17:                              ;   in Loop: Header=BB32_9 Depth=1
	s_or_b32 exec_lo, exec_lo, s3
	s_and_saveexec_b32 s3, s0
	s_cbranch_execnz .LBB32_22
.LBB32_18:                              ;   in Loop: Header=BB32_9 Depth=1
	s_or_b32 exec_lo, exec_lo, s3
	s_and_saveexec_b32 s0, s1
	s_cbranch_execnz .LBB32_23
.LBB32_19:                              ;   in Loop: Header=BB32_9 Depth=1
	s_or_b32 exec_lo, exec_lo, s0
	s_and_saveexec_b32 s0, s2
	s_cbranch_execz .LBB32_8
	s_branch .LBB32_24
.LBB32_20:                              ;   in Loop: Header=BB32_9 Depth=1
	v_add_co_u32 v5, s3, v13, s4
	s_delay_alu instid0(VALU_DEP_1)
	v_add_co_ci_u32_e64 v6, s3, s5, v14, s3
	global_load_b64 v[5:6], v[5:6], off
	s_or_b32 exec_lo, exec_lo, s14
	s_and_saveexec_b32 s3, vcc_lo
	s_cbranch_execz .LBB32_17
.LBB32_21:                              ;   in Loop: Header=BB32_9 Depth=1
	s_waitcnt vmcnt(0)
	v_ceil_f64_e32 v[3:4], v[3:4]
	v_add_co_u32 v31, vcc_lo, v11, s4
	v_add_co_ci_u32_e32 v32, vcc_lo, s5, v12, vcc_lo
	global_store_b64 v[31:32], v[3:4], off
	s_or_b32 exec_lo, exec_lo, s3
	s_and_saveexec_b32 s3, s0
	s_cbranch_execz .LBB32_18
.LBB32_22:                              ;   in Loop: Header=BB32_9 Depth=1
	s_waitcnt vmcnt(0)
	v_ceil_f64_e32 v[1:2], v[1:2]
	v_add_co_u32 v3, vcc_lo, v29, s4
	v_add_co_ci_u32_e32 v4, vcc_lo, s5, v30, vcc_lo
	global_store_b64 v[3:4], v[1:2], off
	s_or_b32 exec_lo, exec_lo, s3
	s_and_saveexec_b32 s0, s1
	s_cbranch_execz .LBB32_19
.LBB32_23:                              ;   in Loop: Header=BB32_9 Depth=1
	s_waitcnt vmcnt(0)
	v_ceil_f64_e32 v[1:2], v[7:8]
	v_add_co_u32 v3, vcc_lo, v22, s4
	v_add_co_ci_u32_e32 v4, vcc_lo, s5, v23, vcc_lo
	global_store_b64 v[3:4], v[1:2], off
	s_or_b32 exec_lo, exec_lo, s0
	s_and_saveexec_b32 s0, s2
	s_cbranch_execz .LBB32_8
.LBB32_24:                              ;   in Loop: Header=BB32_9 Depth=1
	s_waitcnt vmcnt(0)
	v_ceil_f64_e32 v[1:2], v[5:6]
	v_add_co_u32 v3, vcc_lo, v15, s4
	v_add_co_ci_u32_e32 v4, vcc_lo, s5, v16, vcc_lo
	global_store_b64 v[3:4], v[1:2], off
	s_branch .LBB32_8
.LBB32_25:
	s_nop 0
	s_sendmsg sendmsg(MSG_DEALLOC_VGPRS)
	s_endpgm
	.section	.rodata,"a",@progbits
	.p2align	6, 0x0
	.amdhsa_kernel _ZN2at6native12_GLOBAL__N_125multi_tensor_apply_kernelINS1_18TensorListMetadataILi2EEENS1_14UnaryOpFunctorIdLi2ELi1ELi1EEEJNS0_4CeilIdEEEEEvT_T0_DpT1_
		.amdhsa_group_segment_fixed_size 0
		.amdhsa_private_segment_fixed_size 0
		.amdhsa_kernarg_size 3408
		.amdhsa_user_sgpr_count 15
		.amdhsa_user_sgpr_dispatch_ptr 0
		.amdhsa_user_sgpr_queue_ptr 0
		.amdhsa_user_sgpr_kernarg_segment_ptr 1
		.amdhsa_user_sgpr_dispatch_id 0
		.amdhsa_user_sgpr_private_segment_size 0
		.amdhsa_wavefront_size32 1
		.amdhsa_uses_dynamic_stack 0
		.amdhsa_enable_private_segment 0
		.amdhsa_system_sgpr_workgroup_id_x 1
		.amdhsa_system_sgpr_workgroup_id_y 0
		.amdhsa_system_sgpr_workgroup_id_z 0
		.amdhsa_system_sgpr_workgroup_info 0
		.amdhsa_system_vgpr_workitem_id 0
		.amdhsa_next_free_vgpr 33
		.amdhsa_next_free_sgpr 22
		.amdhsa_reserve_vcc 1
		.amdhsa_float_round_mode_32 0
		.amdhsa_float_round_mode_16_64 0
		.amdhsa_float_denorm_mode_32 3
		.amdhsa_float_denorm_mode_16_64 3
		.amdhsa_dx10_clamp 1
		.amdhsa_ieee_mode 1
		.amdhsa_fp16_overflow 0
		.amdhsa_workgroup_processor_mode 1
		.amdhsa_memory_ordered 1
		.amdhsa_forward_progress 0
		.amdhsa_shared_vgpr_count 0
		.amdhsa_exception_fp_ieee_invalid_op 0
		.amdhsa_exception_fp_denorm_src 0
		.amdhsa_exception_fp_ieee_div_zero 0
		.amdhsa_exception_fp_ieee_overflow 0
		.amdhsa_exception_fp_ieee_underflow 0
		.amdhsa_exception_fp_ieee_inexact 0
		.amdhsa_exception_int_div_zero 0
	.end_amdhsa_kernel
	.section	.text._ZN2at6native12_GLOBAL__N_125multi_tensor_apply_kernelINS1_18TensorListMetadataILi2EEENS1_14UnaryOpFunctorIdLi2ELi1ELi1EEEJNS0_4CeilIdEEEEEvT_T0_DpT1_,"axG",@progbits,_ZN2at6native12_GLOBAL__N_125multi_tensor_apply_kernelINS1_18TensorListMetadataILi2EEENS1_14UnaryOpFunctorIdLi2ELi1ELi1EEEJNS0_4CeilIdEEEEEvT_T0_DpT1_,comdat
.Lfunc_end32:
	.size	_ZN2at6native12_GLOBAL__N_125multi_tensor_apply_kernelINS1_18TensorListMetadataILi2EEENS1_14UnaryOpFunctorIdLi2ELi1ELi1EEEJNS0_4CeilIdEEEEEvT_T0_DpT1_, .Lfunc_end32-_ZN2at6native12_GLOBAL__N_125multi_tensor_apply_kernelINS1_18TensorListMetadataILi2EEENS1_14UnaryOpFunctorIdLi2ELi1ELi1EEEJNS0_4CeilIdEEEEEvT_T0_DpT1_
                                        ; -- End function
	.section	.AMDGPU.csdata,"",@progbits
; Kernel info:
; codeLenInByte = 1448
; NumSgprs: 24
; NumVgprs: 33
; ScratchSize: 0
; MemoryBound: 0
; FloatMode: 240
; IeeeMode: 1
; LDSByteSize: 0 bytes/workgroup (compile time only)
; SGPRBlocks: 2
; VGPRBlocks: 4
; NumSGPRsForWavesPerEU: 24
; NumVGPRsForWavesPerEU: 33
; Occupancy: 16
; WaveLimiterHint : 0
; COMPUTE_PGM_RSRC2:SCRATCH_EN: 0
; COMPUTE_PGM_RSRC2:USER_SGPR: 15
; COMPUTE_PGM_RSRC2:TRAP_HANDLER: 0
; COMPUTE_PGM_RSRC2:TGID_X_EN: 1
; COMPUTE_PGM_RSRC2:TGID_Y_EN: 0
; COMPUTE_PGM_RSRC2:TGID_Z_EN: 0
; COMPUTE_PGM_RSRC2:TIDIG_COMP_CNT: 0
	.section	.text._ZN2at6native12_GLOBAL__N_125multi_tensor_apply_kernelINS1_18TensorListMetadataILi2EEENS1_14UnaryOpFunctorIfLi2ELi1ELi1EEEJNS0_4CeilIfEEEEEvT_T0_DpT1_,"axG",@progbits,_ZN2at6native12_GLOBAL__N_125multi_tensor_apply_kernelINS1_18TensorListMetadataILi2EEENS1_14UnaryOpFunctorIfLi2ELi1ELi1EEEJNS0_4CeilIfEEEEEvT_T0_DpT1_,comdat
	.globl	_ZN2at6native12_GLOBAL__N_125multi_tensor_apply_kernelINS1_18TensorListMetadataILi2EEENS1_14UnaryOpFunctorIfLi2ELi1ELi1EEEJNS0_4CeilIfEEEEEvT_T0_DpT1_ ; -- Begin function _ZN2at6native12_GLOBAL__N_125multi_tensor_apply_kernelINS1_18TensorListMetadataILi2EEENS1_14UnaryOpFunctorIfLi2ELi1ELi1EEEJNS0_4CeilIfEEEEEvT_T0_DpT1_
	.p2align	8
	.type	_ZN2at6native12_GLOBAL__N_125multi_tensor_apply_kernelINS1_18TensorListMetadataILi2EEENS1_14UnaryOpFunctorIfLi2ELi1ELi1EEEJNS0_4CeilIfEEEEEvT_T0_DpT1_,@function
_ZN2at6native12_GLOBAL__N_125multi_tensor_apply_kernelINS1_18TensorListMetadataILi2EEENS1_14UnaryOpFunctorIfLi2ELi1ELi1EEEJNS0_4CeilIfEEEEEvT_T0_DpT1_: ; @_ZN2at6native12_GLOBAL__N_125multi_tensor_apply_kernelINS1_18TensorListMetadataILi2EEENS1_14UnaryOpFunctorIfLi2ELi1ELi1EEEJNS0_4CeilIfEEEEEvT_T0_DpT1_
; %bb.0:
	v_mov_b32_e32 v1, s15
	s_add_u32 s2, s0, s15
	s_mul_hi_u32 s3, s15, 3
	s_mul_i32 s15, s15, 3
	s_addc_u32 s4, s1, 0
	global_load_u8 v1, v1, s[0:1] offset:1536
	s_add_u32 s2, s2, s15
	s_addc_u32 s3, s4, s3
	s_mov_b32 s17, 0
	s_load_b32 s2, s[2:3], 0x740
	s_mov_b32 s19, s17
	s_mov_b32 s21, s17
	s_waitcnt vmcnt(0)
	v_readfirstlane_b32 s5, v1
	s_delay_alu instid0(VALU_DEP_1)
	s_lshl_b32 s3, s5, 3
	s_clause 0x2
	s_load_b64 s[10:11], s[0:1], s3 offset:0x0
	s_load_b64 s[12:13], s[0:1], s3 offset:0x200
	;; [unrolled: 1-line block ×3, first 2 shown]
	s_waitcnt lgkmcnt(0)
	s_ashr_i32 s3, s2, 31
	s_delay_alu instid0(SALU_CYCLE_1) | instskip(NEXT) | instid1(SALU_CYCLE_1)
	s_lshl_b64 s[4:5], s[2:3], 18
	s_add_u32 s8, s10, s4
	s_addc_u32 s9, s11, s5
	s_and_b32 s16, s8, 15
	s_add_u32 s14, s12, s4
	s_addc_u32 s15, s13, s5
	s_and_b32 s18, s6, 3
	s_and_b32 s20, s14, 15
	s_or_b64 s[16:17], s[16:17], s[18:19]
	s_lshl_b64 s[2:3], s[2:3], 16
	s_or_b64 s[16:17], s[20:21], s[16:17]
	s_sub_u32 s6, s6, s2
	s_subb_u32 s7, s7, s3
	s_cmp_eq_u64 s[16:17], 0
	s_mov_b32 s2, -1
	s_cbranch_scc0 .LBB33_5
; %bb.1:
	v_dual_mov_b32 v2, 0 :: v_dual_lshlrev_b32 v1, 2, v0
	s_mov_b32 s16, exec_lo
	s_delay_alu instid0(VALU_DEP_1)
	v_cmpx_gt_i64_e64 s[6:7], v[1:2]
	s_cbranch_execz .LBB33_4
; %bb.2:
	s_load_b32 s2, s[0:1], 0xc5c
	v_lshlrev_b32_e32 v3, 4, v0
	s_mov_b32 s17, 0
	s_waitcnt lgkmcnt(0)
	s_and_b32 s2, s2, 0xffff
	s_delay_alu instid0(SALU_CYCLE_1)
	v_add_lshl_u32 v1, v0, s2, 2
	s_lshl_b32 s18, s2, 2
	s_lshl_b32 s19, s2, 4
	s_set_inst_prefetch_distance 0x1
	.p2align	6
.LBB33_3:                               ; =>This Inner Loop Header: Depth=1
	v_add_co_u32 v4, s2, s8, v3
	s_delay_alu instid0(VALU_DEP_1)
	v_add_co_ci_u32_e64 v5, null, s9, 0, s2
	v_cmp_le_i64_e32 vcc_lo, s[6:7], v[1:2]
	v_cmp_lt_u64_e64 s2, 0xffff, v[1:2]
	v_add_co_u32 v8, s3, s14, v3
	global_load_b128 v[4:7], v[4:5], off
	v_add_co_ci_u32_e64 v9, null, s15, 0, s3
	s_or_b32 s2, vcc_lo, s2
	s_add_u32 s8, s8, s19
	v_add_co_u32 v1, s3, v1, s18
	s_addc_u32 s9, s9, 0
	s_add_u32 s14, s14, s19
	v_add_co_ci_u32_e64 v2, s3, 0, v2, s3
	s_addc_u32 s15, s15, 0
	s_and_b32 s2, exec_lo, s2
	s_delay_alu instid0(SALU_CYCLE_1)
	s_or_b32 s17, s2, s17
	s_waitcnt vmcnt(0)
	v_ceil_f32_e32 v4, v4
	v_ceil_f32_e32 v5, v5
	;; [unrolled: 1-line block ×4, first 2 shown]
	global_store_b128 v[8:9], v[4:7], off
	s_and_not1_b32 exec_lo, exec_lo, s17
	s_cbranch_execnz .LBB33_3
.LBB33_4:
	s_set_inst_prefetch_distance 0x2
	s_or_b32 exec_lo, exec_lo, s16
	s_mov_b32 s2, 0
.LBB33_5:
	s_delay_alu instid0(SALU_CYCLE_1)
	s_and_not1_b32 vcc_lo, exec_lo, s2
	s_cbranch_vccnz .LBB33_25
; %bb.6:
	v_cmp_lt_i64_e64 s2, s[6:7], 1
	s_delay_alu instid0(VALU_DEP_1)
	s_and_b32 vcc_lo, exec_lo, s2
	s_cbranch_vccnz .LBB33_25
; %bb.7:
	s_load_b32 s0, s[0:1], 0xc5c
	v_dual_mov_b32 v10, 0 :: v_dual_lshlrev_b32 v9, 2, v0
	v_cmp_gt_u64_e64 s1, 0x10000, s[6:7]
	s_delay_alu instid0(VALU_DEP_2) | instskip(NEXT) | instid1(VALU_DEP_1)
	v_add_co_u32 v1, s2, s10, v9
	v_add_co_ci_u32_e64 v2, null, s11, 0, s2
	v_add_co_u32 v3, s2, s12, v9
	s_delay_alu instid0(VALU_DEP_1)
	v_add_co_ci_u32_e64 v4, null, s13, 0, s2
	s_waitcnt lgkmcnt(0)
	s_and_b32 s0, s0, 0xffff
	s_and_b32 s1, s1, exec_lo
	v_mad_u64_u32 v[7:8], null, s0, 12, v[9:10]
	s_cselect_b32 s9, s7, 0
	s_cselect_b32 s8, s6, 0x10000
	s_mul_i32 s2, s0, 3
	s_lshl_b32 s3, s0, 3
	s_lshl_b32 s1, s0, 1
	v_add_co_u32 v14, s3, s3, v9
	v_add_co_u32 v9, s2, s2, v0
	s_delay_alu instid0(VALU_DEP_1) | instskip(SKIP_3) | instid1(VALU_DEP_3)
	v_add_co_ci_u32_e64 v10, null, 0, 0, s2
	v_add_co_u32 v13, s2, v0, s0
	v_add_co_u32 v5, vcc_lo, s10, v7
	v_add_co_ci_u32_e32 v6, vcc_lo, s11, v8, vcc_lo
	v_lshlrev_b32_e32 v21, 2, v13
	v_add_co_u32 v7, vcc_lo, s12, v7
	v_add_co_ci_u32_e64 v15, null, 0, 0, s3
	v_add_co_ci_u32_e32 v8, vcc_lo, s13, v8, vcc_lo
	v_add_co_u32 v17, s1, s1, v0
	v_add_co_u32 v11, vcc_lo, s10, v14
	v_add_co_ci_u32_e64 v18, null, 0, 0, s1
	v_add_co_u32 v19, s1, s10, v21
	v_add_co_ci_u32_e32 v12, vcc_lo, s11, v15, vcc_lo
	v_add_co_u32 v14, vcc_lo, s12, v14
	v_add_co_ci_u32_e64 v20, null, s11, 0, s1
	v_add_co_u32 v21, s1, s12, v21
	v_add_co_ci_u32_e32 v15, vcc_lo, s13, v15, vcc_lo
	v_add_co_ci_u32_e64 v16, null, 0, 0, s2
	v_add_co_ci_u32_e64 v22, null, s13, 0, s1
	s_lshl_b32 s12, s0, 2
	s_lshl_b32 s13, s0, 4
	s_mov_b64 s[10:11], 0
	s_branch .LBB33_9
.LBB33_8:                               ;   in Loop: Header=BB33_9 Depth=1
	s_or_b32 exec_lo, exec_lo, s0
	v_add_co_u32 v1, vcc_lo, v1, s13
	v_add_co_ci_u32_e32 v2, vcc_lo, 0, v2, vcc_lo
	v_add_co_u32 v3, vcc_lo, v3, s13
	v_add_co_ci_u32_e32 v4, vcc_lo, 0, v4, vcc_lo
	;; [unrolled: 2-line block ×5, first 2 shown]
	s_add_u32 s10, s10, s12
	v_add_co_u32 v14, vcc_lo, v14, s13
	s_addc_u32 s11, s11, 0
	v_add_co_ci_u32_e32 v15, vcc_lo, 0, v15, vcc_lo
	v_cmp_ge_i64_e64 s0, s[10:11], s[6:7]
	v_cmp_lt_u64_e64 s1, 0xffff, s[10:11]
	v_add_co_u32 v19, vcc_lo, v19, s13
	v_add_co_ci_u32_e32 v20, vcc_lo, 0, v20, vcc_lo
	v_add_co_u32 v21, vcc_lo, v21, s13
	v_add_co_ci_u32_e32 v22, vcc_lo, 0, v22, vcc_lo
	s_or_b32 s0, s0, s1
	s_delay_alu instid0(SALU_CYCLE_1)
	s_and_b32 vcc_lo, exec_lo, s0
	s_cbranch_vccnz .LBB33_25
.LBB33_9:                               ; =>This Inner Loop Header: Depth=1
	s_waitcnt vmcnt(0)
	v_add_co_u32 v23, s0, v0, s10
	s_delay_alu instid0(VALU_DEP_1) | instskip(NEXT) | instid1(VALU_DEP_1)
	v_add_co_ci_u32_e64 v24, null, 0, s11, s0
	v_cmp_gt_u64_e32 vcc_lo, s[8:9], v[23:24]
	v_mov_b32_e32 v23, 0
	s_and_saveexec_b32 s1, vcc_lo
	s_cbranch_execz .LBB33_11
; %bb.10:                               ;   in Loop: Header=BB33_9 Depth=1
	v_add_co_u32 v23, s0, v1, s4
	s_delay_alu instid0(VALU_DEP_1)
	v_add_co_ci_u32_e64 v24, s0, s5, v2, s0
	global_load_b32 v23, v[23:24], off
.LBB33_11:                              ;   in Loop: Header=BB33_9 Depth=1
	s_or_b32 exec_lo, exec_lo, s1
	v_add_co_u32 v24, s0, v13, s10
	s_delay_alu instid0(VALU_DEP_1) | instskip(NEXT) | instid1(VALU_DEP_1)
	v_add_co_ci_u32_e64 v25, s0, s11, v16, s0
	v_cmp_gt_u64_e64 s0, s[8:9], v[24:25]
	v_mov_b32_e32 v25, 0
	s_delay_alu instid0(VALU_DEP_2)
	s_and_saveexec_b32 s2, s0
	s_cbranch_execz .LBB33_13
; %bb.12:                               ;   in Loop: Header=BB33_9 Depth=1
	v_add_co_u32 v24, s1, v19, s4
	s_delay_alu instid0(VALU_DEP_1)
	v_add_co_ci_u32_e64 v25, s1, s5, v20, s1
	global_load_b32 v25, v[24:25], off
.LBB33_13:                              ;   in Loop: Header=BB33_9 Depth=1
	s_or_b32 exec_lo, exec_lo, s2
	v_add_co_u32 v26, s1, v17, s10
	s_delay_alu instid0(VALU_DEP_1) | instskip(SKIP_1) | instid1(VALU_DEP_2)
	v_add_co_ci_u32_e64 v27, s1, s11, v18, s1
	v_mov_b32_e32 v24, 0
	v_cmp_gt_u64_e64 s1, s[8:9], v[26:27]
	v_mov_b32_e32 v26, 0
	s_delay_alu instid0(VALU_DEP_2)
	s_and_saveexec_b32 s3, s1
	s_cbranch_execz .LBB33_15
; %bb.14:                               ;   in Loop: Header=BB33_9 Depth=1
	v_add_co_u32 v26, s2, v11, s4
	s_delay_alu instid0(VALU_DEP_1)
	v_add_co_ci_u32_e64 v27, s2, s5, v12, s2
	global_load_b32 v26, v[26:27], off
.LBB33_15:                              ;   in Loop: Header=BB33_9 Depth=1
	s_or_b32 exec_lo, exec_lo, s3
	v_add_co_u32 v27, s2, v9, s10
	s_delay_alu instid0(VALU_DEP_1) | instskip(NEXT) | instid1(VALU_DEP_1)
	v_add_co_ci_u32_e64 v28, s2, s11, v10, s2
	v_cmp_gt_u64_e64 s2, s[8:9], v[27:28]
	s_delay_alu instid0(VALU_DEP_1)
	s_and_saveexec_b32 s14, s2
	s_cbranch_execnz .LBB33_20
; %bb.16:                               ;   in Loop: Header=BB33_9 Depth=1
	s_or_b32 exec_lo, exec_lo, s14
	s_and_saveexec_b32 s3, vcc_lo
	s_cbranch_execnz .LBB33_21
.LBB33_17:                              ;   in Loop: Header=BB33_9 Depth=1
	s_or_b32 exec_lo, exec_lo, s3
	s_and_saveexec_b32 s3, s0
	s_cbranch_execnz .LBB33_22
.LBB33_18:                              ;   in Loop: Header=BB33_9 Depth=1
	s_or_b32 exec_lo, exec_lo, s3
	s_and_saveexec_b32 s0, s1
	s_cbranch_execnz .LBB33_23
.LBB33_19:                              ;   in Loop: Header=BB33_9 Depth=1
	s_or_b32 exec_lo, exec_lo, s0
	s_and_saveexec_b32 s0, s2
	s_cbranch_execz .LBB33_8
	s_branch .LBB33_24
.LBB33_20:                              ;   in Loop: Header=BB33_9 Depth=1
	v_add_co_u32 v27, s3, v5, s4
	s_delay_alu instid0(VALU_DEP_1)
	v_add_co_ci_u32_e64 v28, s3, s5, v6, s3
	global_load_b32 v24, v[27:28], off
	s_or_b32 exec_lo, exec_lo, s14
	s_and_saveexec_b32 s3, vcc_lo
	s_cbranch_execz .LBB33_17
.LBB33_21:                              ;   in Loop: Header=BB33_9 Depth=1
	v_add_co_u32 v27, vcc_lo, v3, s4
	v_add_co_ci_u32_e32 v28, vcc_lo, s5, v4, vcc_lo
	s_waitcnt vmcnt(0)
	v_ceil_f32_e32 v23, v23
	global_store_b32 v[27:28], v23, off
	s_or_b32 exec_lo, exec_lo, s3
	s_and_saveexec_b32 s3, s0
	s_cbranch_execz .LBB33_18
.LBB33_22:                              ;   in Loop: Header=BB33_9 Depth=1
	v_add_co_u32 v27, vcc_lo, v21, s4
	s_waitcnt vmcnt(0)
	v_ceil_f32_e32 v23, v25
	v_add_co_ci_u32_e32 v28, vcc_lo, s5, v22, vcc_lo
	global_store_b32 v[27:28], v23, off
	s_or_b32 exec_lo, exec_lo, s3
	s_and_saveexec_b32 s0, s1
	s_cbranch_execz .LBB33_19
.LBB33_23:                              ;   in Loop: Header=BB33_9 Depth=1
	s_waitcnt vmcnt(0)
	v_add_co_u32 v25, vcc_lo, v14, s4
	v_ceil_f32_e32 v23, v26
	v_add_co_ci_u32_e32 v26, vcc_lo, s5, v15, vcc_lo
	global_store_b32 v[25:26], v23, off
	s_or_b32 exec_lo, exec_lo, s0
	s_and_saveexec_b32 s0, s2
	s_cbranch_execz .LBB33_8
.LBB33_24:                              ;   in Loop: Header=BB33_9 Depth=1
	s_waitcnt vmcnt(0)
	v_add_co_u32 v23, vcc_lo, v7, s4
	v_ceil_f32_e32 v25, v24
	v_add_co_ci_u32_e32 v24, vcc_lo, s5, v8, vcc_lo
	global_store_b32 v[23:24], v25, off
	s_branch .LBB33_8
.LBB33_25:
	s_nop 0
	s_sendmsg sendmsg(MSG_DEALLOC_VGPRS)
	s_endpgm
	.section	.rodata,"a",@progbits
	.p2align	6, 0x0
	.amdhsa_kernel _ZN2at6native12_GLOBAL__N_125multi_tensor_apply_kernelINS1_18TensorListMetadataILi2EEENS1_14UnaryOpFunctorIfLi2ELi1ELi1EEEJNS0_4CeilIfEEEEEvT_T0_DpT1_
		.amdhsa_group_segment_fixed_size 0
		.amdhsa_private_segment_fixed_size 0
		.amdhsa_kernarg_size 3408
		.amdhsa_user_sgpr_count 15
		.amdhsa_user_sgpr_dispatch_ptr 0
		.amdhsa_user_sgpr_queue_ptr 0
		.amdhsa_user_sgpr_kernarg_segment_ptr 1
		.amdhsa_user_sgpr_dispatch_id 0
		.amdhsa_user_sgpr_private_segment_size 0
		.amdhsa_wavefront_size32 1
		.amdhsa_uses_dynamic_stack 0
		.amdhsa_enable_private_segment 0
		.amdhsa_system_sgpr_workgroup_id_x 1
		.amdhsa_system_sgpr_workgroup_id_y 0
		.amdhsa_system_sgpr_workgroup_id_z 0
		.amdhsa_system_sgpr_workgroup_info 0
		.amdhsa_system_vgpr_workitem_id 0
		.amdhsa_next_free_vgpr 29
		.amdhsa_next_free_sgpr 22
		.amdhsa_reserve_vcc 1
		.amdhsa_float_round_mode_32 0
		.amdhsa_float_round_mode_16_64 0
		.amdhsa_float_denorm_mode_32 3
		.amdhsa_float_denorm_mode_16_64 3
		.amdhsa_dx10_clamp 1
		.amdhsa_ieee_mode 1
		.amdhsa_fp16_overflow 0
		.amdhsa_workgroup_processor_mode 1
		.amdhsa_memory_ordered 1
		.amdhsa_forward_progress 0
		.amdhsa_shared_vgpr_count 0
		.amdhsa_exception_fp_ieee_invalid_op 0
		.amdhsa_exception_fp_denorm_src 0
		.amdhsa_exception_fp_ieee_div_zero 0
		.amdhsa_exception_fp_ieee_overflow 0
		.amdhsa_exception_fp_ieee_underflow 0
		.amdhsa_exception_fp_ieee_inexact 0
		.amdhsa_exception_int_div_zero 0
	.end_amdhsa_kernel
	.section	.text._ZN2at6native12_GLOBAL__N_125multi_tensor_apply_kernelINS1_18TensorListMetadataILi2EEENS1_14UnaryOpFunctorIfLi2ELi1ELi1EEEJNS0_4CeilIfEEEEEvT_T0_DpT1_,"axG",@progbits,_ZN2at6native12_GLOBAL__N_125multi_tensor_apply_kernelINS1_18TensorListMetadataILi2EEENS1_14UnaryOpFunctorIfLi2ELi1ELi1EEEJNS0_4CeilIfEEEEEvT_T0_DpT1_,comdat
.Lfunc_end33:
	.size	_ZN2at6native12_GLOBAL__N_125multi_tensor_apply_kernelINS1_18TensorListMetadataILi2EEENS1_14UnaryOpFunctorIfLi2ELi1ELi1EEEJNS0_4CeilIfEEEEEvT_T0_DpT1_, .Lfunc_end33-_ZN2at6native12_GLOBAL__N_125multi_tensor_apply_kernelINS1_18TensorListMetadataILi2EEENS1_14UnaryOpFunctorIfLi2ELi1ELi1EEEJNS0_4CeilIfEEEEEvT_T0_DpT1_
                                        ; -- End function
	.section	.AMDGPU.csdata,"",@progbits
; Kernel info:
; codeLenInByte = 1396
; NumSgprs: 24
; NumVgprs: 29
; ScratchSize: 0
; MemoryBound: 0
; FloatMode: 240
; IeeeMode: 1
; LDSByteSize: 0 bytes/workgroup (compile time only)
; SGPRBlocks: 2
; VGPRBlocks: 3
; NumSGPRsForWavesPerEU: 24
; NumVGPRsForWavesPerEU: 29
; Occupancy: 16
; WaveLimiterHint : 0
; COMPUTE_PGM_RSRC2:SCRATCH_EN: 0
; COMPUTE_PGM_RSRC2:USER_SGPR: 15
; COMPUTE_PGM_RSRC2:TRAP_HANDLER: 0
; COMPUTE_PGM_RSRC2:TGID_X_EN: 1
; COMPUTE_PGM_RSRC2:TGID_Y_EN: 0
; COMPUTE_PGM_RSRC2:TGID_Z_EN: 0
; COMPUTE_PGM_RSRC2:TIDIG_COMP_CNT: 0
	.section	.text._ZN2at6native12_GLOBAL__N_125multi_tensor_apply_kernelINS1_18TensorListMetadataILi2EEENS1_14UnaryOpFunctorIN3c104HalfELi2ELi1ELi1EEEJNS0_4CeilIfEEEEEvT_T0_DpT1_,"axG",@progbits,_ZN2at6native12_GLOBAL__N_125multi_tensor_apply_kernelINS1_18TensorListMetadataILi2EEENS1_14UnaryOpFunctorIN3c104HalfELi2ELi1ELi1EEEJNS0_4CeilIfEEEEEvT_T0_DpT1_,comdat
	.globl	_ZN2at6native12_GLOBAL__N_125multi_tensor_apply_kernelINS1_18TensorListMetadataILi2EEENS1_14UnaryOpFunctorIN3c104HalfELi2ELi1ELi1EEEJNS0_4CeilIfEEEEEvT_T0_DpT1_ ; -- Begin function _ZN2at6native12_GLOBAL__N_125multi_tensor_apply_kernelINS1_18TensorListMetadataILi2EEENS1_14UnaryOpFunctorIN3c104HalfELi2ELi1ELi1EEEJNS0_4CeilIfEEEEEvT_T0_DpT1_
	.p2align	8
	.type	_ZN2at6native12_GLOBAL__N_125multi_tensor_apply_kernelINS1_18TensorListMetadataILi2EEENS1_14UnaryOpFunctorIN3c104HalfELi2ELi1ELi1EEEJNS0_4CeilIfEEEEEvT_T0_DpT1_,@function
_ZN2at6native12_GLOBAL__N_125multi_tensor_apply_kernelINS1_18TensorListMetadataILi2EEENS1_14UnaryOpFunctorIN3c104HalfELi2ELi1ELi1EEEJNS0_4CeilIfEEEEEvT_T0_DpT1_: ; @_ZN2at6native12_GLOBAL__N_125multi_tensor_apply_kernelINS1_18TensorListMetadataILi2EEENS1_14UnaryOpFunctorIN3c104HalfELi2ELi1ELi1EEEJNS0_4CeilIfEEEEEvT_T0_DpT1_
; %bb.0:
	v_mov_b32_e32 v1, s15
	s_add_u32 s2, s0, s15
	s_mul_hi_u32 s3, s15, 3
	s_mul_i32 s15, s15, 3
	s_addc_u32 s4, s1, 0
	global_load_u8 v1, v1, s[0:1] offset:1536
	s_add_u32 s2, s2, s15
	s_addc_u32 s3, s4, s3
	s_mov_b32 s17, 0
	s_load_b32 s2, s[2:3], 0x740
	s_mov_b32 s19, s17
	s_mov_b32 s21, s17
	s_waitcnt vmcnt(0)
	v_readfirstlane_b32 s5, v1
	s_delay_alu instid0(VALU_DEP_1)
	s_lshl_b32 s3, s5, 3
	s_clause 0x2
	s_load_b64 s[10:11], s[0:1], s3 offset:0x0
	s_load_b64 s[12:13], s[0:1], s3 offset:0x200
	;; [unrolled: 1-line block ×3, first 2 shown]
	s_waitcnt lgkmcnt(0)
	s_ashr_i32 s3, s2, 31
	s_delay_alu instid0(SALU_CYCLE_1) | instskip(NEXT) | instid1(SALU_CYCLE_1)
	s_lshl_b64 s[4:5], s[2:3], 17
	s_add_u32 s8, s10, s4
	s_addc_u32 s9, s11, s5
	s_and_b32 s16, s8, 7
	s_add_u32 s14, s12, s4
	s_addc_u32 s15, s13, s5
	s_and_b32 s18, s6, 3
	s_and_b32 s20, s14, 7
	s_or_b64 s[16:17], s[16:17], s[18:19]
	s_lshl_b64 s[2:3], s[2:3], 16
	s_or_b64 s[16:17], s[20:21], s[16:17]
	s_sub_u32 s6, s6, s2
	s_subb_u32 s7, s7, s3
	s_cmp_eq_u64 s[16:17], 0
	s_mov_b32 s2, -1
	s_cbranch_scc0 .LBB34_5
; %bb.1:
	v_dual_mov_b32 v2, 0 :: v_dual_lshlrev_b32 v1, 2, v0
	s_mov_b32 s16, exec_lo
	s_delay_alu instid0(VALU_DEP_1)
	v_cmpx_gt_i64_e64 s[6:7], v[1:2]
	s_cbranch_execz .LBB34_4
; %bb.2:
	s_load_b32 s2, s[0:1], 0xc5c
	v_lshlrev_b32_e32 v3, 3, v0
	s_mov_b32 s17, 0
	s_waitcnt lgkmcnt(0)
	s_and_b32 s2, s2, 0xffff
	s_delay_alu instid0(SALU_CYCLE_1)
	v_add_lshl_u32 v1, v0, s2, 2
	s_lshl_b32 s18, s2, 2
	s_lshl_b32 s19, s2, 3
	s_set_inst_prefetch_distance 0x1
	.p2align	6
.LBB34_3:                               ; =>This Inner Loop Header: Depth=1
	v_add_co_u32 v4, s2, s8, v3
	s_delay_alu instid0(VALU_DEP_1)
	v_add_co_ci_u32_e64 v5, null, s9, 0, s2
	v_cmp_le_i64_e32 vcc_lo, s[6:7], v[1:2]
	v_cmp_lt_u64_e64 s2, 0xffff, v[1:2]
	v_add_co_u32 v6, s3, s14, v3
	global_load_b64 v[4:5], v[4:5], off
	v_add_co_ci_u32_e64 v7, null, s15, 0, s3
	s_or_b32 s2, vcc_lo, s2
	s_add_u32 s8, s8, s19
	v_add_co_u32 v1, s3, v1, s18
	s_addc_u32 s9, s9, 0
	s_add_u32 s14, s14, s19
	v_add_co_ci_u32_e64 v2, s3, 0, v2, s3
	s_addc_u32 s15, s15, 0
	s_and_b32 s2, exec_lo, s2
	s_delay_alu instid0(SALU_CYCLE_1)
	s_or_b32 s17, s2, s17
	s_waitcnt vmcnt(0)
	v_lshrrev_b32_e32 v8, 16, v5
	v_lshrrev_b32_e32 v9, 16, v4
	v_ceil_f16_e32 v4, v4
	v_ceil_f16_e32 v5, v5
	s_delay_alu instid0(VALU_DEP_4) | instskip(NEXT) | instid1(VALU_DEP_4)
	v_ceil_f16_e32 v8, v8
	v_ceil_f16_e32 v9, v9
	s_delay_alu instid0(VALU_DEP_2) | instskip(NEXT) | instid1(VALU_DEP_2)
	v_pack_b32_f16 v5, v5, v8
	v_pack_b32_f16 v4, v4, v9
	global_store_b64 v[6:7], v[4:5], off
	s_and_not1_b32 exec_lo, exec_lo, s17
	s_cbranch_execnz .LBB34_3
.LBB34_4:
	s_set_inst_prefetch_distance 0x2
	s_or_b32 exec_lo, exec_lo, s16
	s_mov_b32 s2, 0
.LBB34_5:
	s_delay_alu instid0(SALU_CYCLE_1)
	s_and_not1_b32 vcc_lo, exec_lo, s2
	s_cbranch_vccnz .LBB34_25
; %bb.6:
	v_cmp_lt_i64_e64 s2, s[6:7], 1
	s_delay_alu instid0(VALU_DEP_1)
	s_and_b32 vcc_lo, exec_lo, s2
	s_cbranch_vccnz .LBB34_25
; %bb.7:
	s_load_b32 s0, s[0:1], 0xc5c
	v_dual_mov_b32 v10, 0 :: v_dual_lshlrev_b32 v9, 1, v0
	v_cmp_gt_u64_e64 s1, 0x10000, s[6:7]
	s_delay_alu instid0(VALU_DEP_2) | instskip(NEXT) | instid1(VALU_DEP_1)
	v_add_co_u32 v1, s2, s10, v9
	v_add_co_ci_u32_e64 v2, null, s11, 0, s2
	v_add_co_u32 v3, s2, s12, v9
	s_delay_alu instid0(VALU_DEP_1)
	v_add_co_ci_u32_e64 v4, null, s13, 0, s2
	s_waitcnt lgkmcnt(0)
	s_and_b32 s0, s0, 0xffff
	s_and_b32 s1, s1, exec_lo
	v_mad_u64_u32 v[7:8], null, s0, 6, v[9:10]
	s_cselect_b32 s9, s7, 0
	s_cselect_b32 s8, s6, 0x10000
	s_mul_i32 s2, s0, 3
	s_lshl_b32 s14, s0, 2
	s_lshl_b32 s1, s0, 1
	v_add_co_u32 v14, s3, s14, v9
	v_add_co_u32 v9, s2, s2, v0
	s_delay_alu instid0(VALU_DEP_1) | instskip(SKIP_3) | instid1(VALU_DEP_3)
	v_add_co_ci_u32_e64 v10, null, 0, 0, s2
	v_add_co_u32 v13, s2, v0, s0
	v_add_co_u32 v5, vcc_lo, s10, v7
	v_add_co_ci_u32_e32 v6, vcc_lo, s11, v8, vcc_lo
	v_lshlrev_b32_e32 v21, 1, v13
	v_add_co_u32 v7, vcc_lo, s12, v7
	v_add_co_ci_u32_e64 v15, null, 0, 0, s3
	v_add_co_ci_u32_e32 v8, vcc_lo, s13, v8, vcc_lo
	v_add_co_u32 v17, s1, s1, v0
	v_add_co_u32 v11, vcc_lo, s10, v14
	v_add_co_ci_u32_e64 v18, null, 0, 0, s1
	v_add_co_u32 v19, s1, s10, v21
	v_add_co_ci_u32_e32 v12, vcc_lo, s11, v15, vcc_lo
	v_add_co_u32 v14, vcc_lo, s12, v14
	v_add_co_ci_u32_e64 v20, null, s11, 0, s1
	v_add_co_u32 v21, s1, s12, v21
	v_add_co_ci_u32_e32 v15, vcc_lo, s13, v15, vcc_lo
	v_add_co_ci_u32_e64 v16, null, 0, 0, s2
	v_add_co_ci_u32_e64 v22, null, s13, 0, s1
	s_lshl_b32 s12, s0, 3
	s_mov_b64 s[10:11], 0
	s_branch .LBB34_9
.LBB34_8:                               ;   in Loop: Header=BB34_9 Depth=1
	s_or_b32 exec_lo, exec_lo, s0
	v_add_co_u32 v1, vcc_lo, v1, s12
	v_add_co_ci_u32_e32 v2, vcc_lo, 0, v2, vcc_lo
	v_add_co_u32 v3, vcc_lo, v3, s12
	v_add_co_ci_u32_e32 v4, vcc_lo, 0, v4, vcc_lo
	;; [unrolled: 2-line block ×5, first 2 shown]
	s_add_u32 s10, s10, s14
	v_add_co_u32 v14, vcc_lo, v14, s12
	s_addc_u32 s11, s11, 0
	v_add_co_ci_u32_e32 v15, vcc_lo, 0, v15, vcc_lo
	v_cmp_ge_i64_e64 s0, s[10:11], s[6:7]
	v_cmp_lt_u64_e64 s1, 0xffff, s[10:11]
	v_add_co_u32 v19, vcc_lo, v19, s12
	v_add_co_ci_u32_e32 v20, vcc_lo, 0, v20, vcc_lo
	v_add_co_u32 v21, vcc_lo, v21, s12
	v_add_co_ci_u32_e32 v22, vcc_lo, 0, v22, vcc_lo
	s_or_b32 s0, s0, s1
	s_delay_alu instid0(SALU_CYCLE_1)
	s_and_b32 vcc_lo, exec_lo, s0
	s_cbranch_vccnz .LBB34_25
.LBB34_9:                               ; =>This Inner Loop Header: Depth=1
	s_waitcnt vmcnt(0)
	v_add_co_u32 v23, s0, v0, s10
	s_delay_alu instid0(VALU_DEP_1) | instskip(NEXT) | instid1(VALU_DEP_1)
	v_add_co_ci_u32_e64 v24, null, 0, s11, s0
	v_cmp_gt_u64_e32 vcc_lo, s[8:9], v[23:24]
	v_mov_b32_e32 v23, 0
	s_and_saveexec_b32 s1, vcc_lo
	s_cbranch_execz .LBB34_11
; %bb.10:                               ;   in Loop: Header=BB34_9 Depth=1
	v_add_co_u32 v23, s0, v1, s4
	s_delay_alu instid0(VALU_DEP_1)
	v_add_co_ci_u32_e64 v24, s0, s5, v2, s0
	global_load_u16 v23, v[23:24], off
.LBB34_11:                              ;   in Loop: Header=BB34_9 Depth=1
	s_or_b32 exec_lo, exec_lo, s1
	v_add_co_u32 v24, s0, v13, s10
	s_delay_alu instid0(VALU_DEP_1) | instskip(NEXT) | instid1(VALU_DEP_1)
	v_add_co_ci_u32_e64 v25, s0, s11, v16, s0
	v_cmp_gt_u64_e64 s0, s[8:9], v[24:25]
	v_mov_b32_e32 v25, 0
	s_delay_alu instid0(VALU_DEP_2)
	s_and_saveexec_b32 s2, s0
	s_cbranch_execz .LBB34_13
; %bb.12:                               ;   in Loop: Header=BB34_9 Depth=1
	v_add_co_u32 v24, s1, v19, s4
	s_delay_alu instid0(VALU_DEP_1)
	v_add_co_ci_u32_e64 v25, s1, s5, v20, s1
	global_load_u16 v25, v[24:25], off
.LBB34_13:                              ;   in Loop: Header=BB34_9 Depth=1
	s_or_b32 exec_lo, exec_lo, s2
	v_add_co_u32 v26, s1, v17, s10
	s_delay_alu instid0(VALU_DEP_1) | instskip(SKIP_1) | instid1(VALU_DEP_2)
	v_add_co_ci_u32_e64 v27, s1, s11, v18, s1
	v_mov_b32_e32 v24, 0
	v_cmp_gt_u64_e64 s1, s[8:9], v[26:27]
	v_mov_b32_e32 v26, 0
	s_delay_alu instid0(VALU_DEP_2)
	s_and_saveexec_b32 s3, s1
	s_cbranch_execz .LBB34_15
; %bb.14:                               ;   in Loop: Header=BB34_9 Depth=1
	v_add_co_u32 v26, s2, v11, s4
	s_delay_alu instid0(VALU_DEP_1)
	v_add_co_ci_u32_e64 v27, s2, s5, v12, s2
	global_load_u16 v26, v[26:27], off
.LBB34_15:                              ;   in Loop: Header=BB34_9 Depth=1
	s_or_b32 exec_lo, exec_lo, s3
	v_add_co_u32 v27, s2, v9, s10
	s_delay_alu instid0(VALU_DEP_1) | instskip(NEXT) | instid1(VALU_DEP_1)
	v_add_co_ci_u32_e64 v28, s2, s11, v10, s2
	v_cmp_gt_u64_e64 s2, s[8:9], v[27:28]
	s_delay_alu instid0(VALU_DEP_1)
	s_and_saveexec_b32 s13, s2
	s_cbranch_execnz .LBB34_20
; %bb.16:                               ;   in Loop: Header=BB34_9 Depth=1
	s_or_b32 exec_lo, exec_lo, s13
	s_and_saveexec_b32 s3, vcc_lo
	s_cbranch_execnz .LBB34_21
.LBB34_17:                              ;   in Loop: Header=BB34_9 Depth=1
	s_or_b32 exec_lo, exec_lo, s3
	s_and_saveexec_b32 s3, s0
	s_cbranch_execnz .LBB34_22
.LBB34_18:                              ;   in Loop: Header=BB34_9 Depth=1
	s_or_b32 exec_lo, exec_lo, s3
	s_and_saveexec_b32 s0, s1
	s_cbranch_execnz .LBB34_23
.LBB34_19:                              ;   in Loop: Header=BB34_9 Depth=1
	s_or_b32 exec_lo, exec_lo, s0
	s_and_saveexec_b32 s0, s2
	s_cbranch_execz .LBB34_8
	s_branch .LBB34_24
.LBB34_20:                              ;   in Loop: Header=BB34_9 Depth=1
	v_add_co_u32 v27, s3, v5, s4
	s_delay_alu instid0(VALU_DEP_1)
	v_add_co_ci_u32_e64 v28, s3, s5, v6, s3
	global_load_u16 v24, v[27:28], off
	s_or_b32 exec_lo, exec_lo, s13
	s_and_saveexec_b32 s3, vcc_lo
	s_cbranch_execz .LBB34_17
.LBB34_21:                              ;   in Loop: Header=BB34_9 Depth=1
	v_add_co_u32 v27, vcc_lo, v3, s4
	v_add_co_ci_u32_e32 v28, vcc_lo, s5, v4, vcc_lo
	s_waitcnt vmcnt(0)
	v_ceil_f16_e32 v23, v23
	global_store_b16 v[27:28], v23, off
	s_or_b32 exec_lo, exec_lo, s3
	s_and_saveexec_b32 s3, s0
	s_cbranch_execz .LBB34_18
.LBB34_22:                              ;   in Loop: Header=BB34_9 Depth=1
	v_add_co_u32 v27, vcc_lo, v21, s4
	s_waitcnt vmcnt(0)
	v_ceil_f16_e32 v23, v25
	v_add_co_ci_u32_e32 v28, vcc_lo, s5, v22, vcc_lo
	global_store_b16 v[27:28], v23, off
	s_or_b32 exec_lo, exec_lo, s3
	s_and_saveexec_b32 s0, s1
	s_cbranch_execz .LBB34_19
.LBB34_23:                              ;   in Loop: Header=BB34_9 Depth=1
	s_waitcnt vmcnt(0)
	v_add_co_u32 v25, vcc_lo, v14, s4
	v_ceil_f16_e32 v23, v26
	v_add_co_ci_u32_e32 v26, vcc_lo, s5, v15, vcc_lo
	global_store_b16 v[25:26], v23, off
	s_or_b32 exec_lo, exec_lo, s0
	s_and_saveexec_b32 s0, s2
	s_cbranch_execz .LBB34_8
.LBB34_24:                              ;   in Loop: Header=BB34_9 Depth=1
	s_waitcnt vmcnt(0)
	v_add_co_u32 v23, vcc_lo, v7, s4
	v_ceil_f16_e32 v25, v24
	v_add_co_ci_u32_e32 v24, vcc_lo, s5, v8, vcc_lo
	global_store_b16 v[23:24], v25, off
	s_branch .LBB34_8
.LBB34_25:
	s_nop 0
	s_sendmsg sendmsg(MSG_DEALLOC_VGPRS)
	s_endpgm
	.section	.rodata,"a",@progbits
	.p2align	6, 0x0
	.amdhsa_kernel _ZN2at6native12_GLOBAL__N_125multi_tensor_apply_kernelINS1_18TensorListMetadataILi2EEENS1_14UnaryOpFunctorIN3c104HalfELi2ELi1ELi1EEEJNS0_4CeilIfEEEEEvT_T0_DpT1_
		.amdhsa_group_segment_fixed_size 0
		.amdhsa_private_segment_fixed_size 0
		.amdhsa_kernarg_size 3408
		.amdhsa_user_sgpr_count 15
		.amdhsa_user_sgpr_dispatch_ptr 0
		.amdhsa_user_sgpr_queue_ptr 0
		.amdhsa_user_sgpr_kernarg_segment_ptr 1
		.amdhsa_user_sgpr_dispatch_id 0
		.amdhsa_user_sgpr_private_segment_size 0
		.amdhsa_wavefront_size32 1
		.amdhsa_uses_dynamic_stack 0
		.amdhsa_enable_private_segment 0
		.amdhsa_system_sgpr_workgroup_id_x 1
		.amdhsa_system_sgpr_workgroup_id_y 0
		.amdhsa_system_sgpr_workgroup_id_z 0
		.amdhsa_system_sgpr_workgroup_info 0
		.amdhsa_system_vgpr_workitem_id 0
		.amdhsa_next_free_vgpr 29
		.amdhsa_next_free_sgpr 22
		.amdhsa_reserve_vcc 1
		.amdhsa_float_round_mode_32 0
		.amdhsa_float_round_mode_16_64 0
		.amdhsa_float_denorm_mode_32 3
		.amdhsa_float_denorm_mode_16_64 3
		.amdhsa_dx10_clamp 1
		.amdhsa_ieee_mode 1
		.amdhsa_fp16_overflow 0
		.amdhsa_workgroup_processor_mode 1
		.amdhsa_memory_ordered 1
		.amdhsa_forward_progress 0
		.amdhsa_shared_vgpr_count 0
		.amdhsa_exception_fp_ieee_invalid_op 0
		.amdhsa_exception_fp_denorm_src 0
		.amdhsa_exception_fp_ieee_div_zero 0
		.amdhsa_exception_fp_ieee_overflow 0
		.amdhsa_exception_fp_ieee_underflow 0
		.amdhsa_exception_fp_ieee_inexact 0
		.amdhsa_exception_int_div_zero 0
	.end_amdhsa_kernel
	.section	.text._ZN2at6native12_GLOBAL__N_125multi_tensor_apply_kernelINS1_18TensorListMetadataILi2EEENS1_14UnaryOpFunctorIN3c104HalfELi2ELi1ELi1EEEJNS0_4CeilIfEEEEEvT_T0_DpT1_,"axG",@progbits,_ZN2at6native12_GLOBAL__N_125multi_tensor_apply_kernelINS1_18TensorListMetadataILi2EEENS1_14UnaryOpFunctorIN3c104HalfELi2ELi1ELi1EEEJNS0_4CeilIfEEEEEvT_T0_DpT1_,comdat
.Lfunc_end34:
	.size	_ZN2at6native12_GLOBAL__N_125multi_tensor_apply_kernelINS1_18TensorListMetadataILi2EEENS1_14UnaryOpFunctorIN3c104HalfELi2ELi1ELi1EEEJNS0_4CeilIfEEEEEvT_T0_DpT1_, .Lfunc_end34-_ZN2at6native12_GLOBAL__N_125multi_tensor_apply_kernelINS1_18TensorListMetadataILi2EEENS1_14UnaryOpFunctorIN3c104HalfELi2ELi1ELi1EEEJNS0_4CeilIfEEEEEvT_T0_DpT1_
                                        ; -- End function
	.section	.AMDGPU.csdata,"",@progbits
; Kernel info:
; codeLenInByte = 1424
; NumSgprs: 24
; NumVgprs: 29
; ScratchSize: 0
; MemoryBound: 0
; FloatMode: 240
; IeeeMode: 1
; LDSByteSize: 0 bytes/workgroup (compile time only)
; SGPRBlocks: 2
; VGPRBlocks: 3
; NumSGPRsForWavesPerEU: 24
; NumVGPRsForWavesPerEU: 29
; Occupancy: 16
; WaveLimiterHint : 0
; COMPUTE_PGM_RSRC2:SCRATCH_EN: 0
; COMPUTE_PGM_RSRC2:USER_SGPR: 15
; COMPUTE_PGM_RSRC2:TRAP_HANDLER: 0
; COMPUTE_PGM_RSRC2:TGID_X_EN: 1
; COMPUTE_PGM_RSRC2:TGID_Y_EN: 0
; COMPUTE_PGM_RSRC2:TGID_Z_EN: 0
; COMPUTE_PGM_RSRC2:TIDIG_COMP_CNT: 0
	.section	.text._ZN2at6native12_GLOBAL__N_125multi_tensor_apply_kernelINS1_18TensorListMetadataILi2EEENS1_14UnaryOpFunctorIN3c108BFloat16ELi2ELi1ELi1EEEJNS0_4CeilIfEEEEEvT_T0_DpT1_,"axG",@progbits,_ZN2at6native12_GLOBAL__N_125multi_tensor_apply_kernelINS1_18TensorListMetadataILi2EEENS1_14UnaryOpFunctorIN3c108BFloat16ELi2ELi1ELi1EEEJNS0_4CeilIfEEEEEvT_T0_DpT1_,comdat
	.globl	_ZN2at6native12_GLOBAL__N_125multi_tensor_apply_kernelINS1_18TensorListMetadataILi2EEENS1_14UnaryOpFunctorIN3c108BFloat16ELi2ELi1ELi1EEEJNS0_4CeilIfEEEEEvT_T0_DpT1_ ; -- Begin function _ZN2at6native12_GLOBAL__N_125multi_tensor_apply_kernelINS1_18TensorListMetadataILi2EEENS1_14UnaryOpFunctorIN3c108BFloat16ELi2ELi1ELi1EEEJNS0_4CeilIfEEEEEvT_T0_DpT1_
	.p2align	8
	.type	_ZN2at6native12_GLOBAL__N_125multi_tensor_apply_kernelINS1_18TensorListMetadataILi2EEENS1_14UnaryOpFunctorIN3c108BFloat16ELi2ELi1ELi1EEEJNS0_4CeilIfEEEEEvT_T0_DpT1_,@function
_ZN2at6native12_GLOBAL__N_125multi_tensor_apply_kernelINS1_18TensorListMetadataILi2EEENS1_14UnaryOpFunctorIN3c108BFloat16ELi2ELi1ELi1EEEJNS0_4CeilIfEEEEEvT_T0_DpT1_: ; @_ZN2at6native12_GLOBAL__N_125multi_tensor_apply_kernelINS1_18TensorListMetadataILi2EEENS1_14UnaryOpFunctorIN3c108BFloat16ELi2ELi1ELi1EEEJNS0_4CeilIfEEEEEvT_T0_DpT1_
; %bb.0:
	v_mov_b32_e32 v1, s15
	s_add_u32 s2, s0, s15
	s_mul_hi_u32 s3, s15, 3
	s_mul_i32 s15, s15, 3
	s_addc_u32 s4, s1, 0
	global_load_u8 v1, v1, s[0:1] offset:1536
	s_add_u32 s2, s2, s15
	s_addc_u32 s3, s4, s3
	s_mov_b32 s9, 0
	s_load_b32 s2, s[2:3], 0x740
	s_mov_b32 s17, s9
	s_mov_b32 s15, s9
	s_waitcnt vmcnt(0)
	v_readfirstlane_b32 s5, v1
	s_delay_alu instid0(VALU_DEP_1)
	s_lshl_b32 s3, s5, 3
	s_clause 0x2
	s_load_b64 s[10:11], s[0:1], s3 offset:0x0
	s_load_b64 s[12:13], s[0:1], s3 offset:0x200
	;; [unrolled: 1-line block ×3, first 2 shown]
	s_waitcnt lgkmcnt(0)
	s_ashr_i32 s3, s2, 31
	s_delay_alu instid0(SALU_CYCLE_1) | instskip(SKIP_4) | instid1(SALU_CYCLE_1)
	s_lshl_b64 s[6:7], s[2:3], 17
	s_lshl_b64 s[2:3], s[2:3], 16
	s_and_b32 s8, s10, 7
	s_and_b32 s14, s12, 7
	;; [unrolled: 1-line block ×3, first 2 shown]
	s_or_b64 s[8:9], s[8:9], s[16:17]
	s_delay_alu instid0(SALU_CYCLE_1)
	s_or_b64 s[14:15], s[14:15], s[8:9]
	s_sub_u32 s8, s4, s2
	s_subb_u32 s9, s5, s3
	s_cmp_eq_u64 s[14:15], 0
	s_mov_b32 s2, -1
	s_cbranch_scc0 .LBB35_5
; %bb.1:
	v_dual_mov_b32 v2, 0 :: v_dual_lshlrev_b32 v1, 2, v0
	s_mov_b32 s14, exec_lo
	s_delay_alu instid0(VALU_DEP_1)
	v_cmpx_gt_i64_e64 s[8:9], v[1:2]
	s_cbranch_execz .LBB35_4
; %bb.2:
	s_load_b32 s2, s[0:1], 0xc5c
	v_lshlrev_b32_e32 v1, 3, v0
	s_mov_b32 s15, 0
	s_delay_alu instid0(VALU_DEP_1) | instskip(NEXT) | instid1(VALU_DEP_1)
	v_add_co_u32 v3, s3, s6, v1
	v_add_co_ci_u32_e64 v4, null, s7, 0, s3
	s_waitcnt lgkmcnt(0)
	s_and_b32 s2, s2, 0xffff
	s_delay_alu instid0(SALU_CYCLE_1)
	v_add_lshl_u32 v1, v0, s2, 2
	s_lshl_b32 s16, s2, 3
	s_lshl_b32 s17, s2, 2
.LBB35_3:                               ; =>This Inner Loop Header: Depth=1
	v_add_co_u32 v5, vcc_lo, s10, v3
	v_add_co_ci_u32_e32 v6, vcc_lo, s11, v4, vcc_lo
	v_add_co_u32 v7, vcc_lo, s12, v3
	v_add_co_ci_u32_e32 v8, vcc_lo, s13, v4, vcc_lo
	global_load_b64 v[5:6], v[5:6], off
	v_cmp_le_i64_e32 vcc_lo, s[8:9], v[1:2]
	v_cmp_lt_u64_e64 s2, 0xffff, v[1:2]
	v_add_co_u32 v3, s3, v3, s16
	s_delay_alu instid0(VALU_DEP_1) | instskip(SKIP_1) | instid1(VALU_DEP_4)
	v_add_co_ci_u32_e64 v4, s3, 0, v4, s3
	v_add_co_u32 v1, s3, v1, s17
	s_or_b32 s2, vcc_lo, s2
	v_add_co_ci_u32_e64 v2, s3, 0, v2, s3
	s_and_b32 s2, exec_lo, s2
	s_delay_alu instid0(SALU_CYCLE_1)
	s_or_b32 s15, s2, s15
	s_waitcnt vmcnt(0)
	v_lshlrev_b32_e32 v9, 16, v5
	v_alignbit_b32 v10, v6, v5, 16
	v_and_b32_e32 v5, 0xffff0000, v5
	v_and_b32_e32 v6, 0xffff0000, v6
	s_delay_alu instid0(VALU_DEP_4) | instskip(NEXT) | instid1(VALU_DEP_4)
	v_ceil_f32_e32 v9, v9
	v_and_b32_e32 v10, 0xffff0000, v10
	s_delay_alu instid0(VALU_DEP_4) | instskip(NEXT) | instid1(VALU_DEP_4)
	v_ceil_f32_e32 v5, v5
	v_ceil_f32_e32 v6, v6
	s_delay_alu instid0(VALU_DEP_4) | instskip(NEXT) | instid1(VALU_DEP_4)
	v_bfe_u32 v11, v9, 16, 1
	v_ceil_f32_e32 v10, v10
	s_delay_alu instid0(VALU_DEP_4) | instskip(NEXT) | instid1(VALU_DEP_4)
	v_bfe_u32 v12, v5, 16, 1
	v_bfe_u32 v13, v6, 16, 1
	v_cmp_o_f32_e64 s4, v9, v9
	v_add3_u32 v11, v9, v11, 0x7fff
	v_bfe_u32 v14, v10, 16, 1
	v_add3_u32 v12, v5, v12, 0x7fff
	v_add3_u32 v13, v6, v13, 0x7fff
	v_cmp_o_f32_e64 s5, v5, v5
	v_lshrrev_b32_e32 v11, 16, v11
	v_add3_u32 v14, v10, v14, 0x7fff
	v_and_b32_e32 v12, 0xffff0000, v12
	v_and_b32_e32 v13, 0xffff0000, v13
	s_delay_alu instid0(VALU_DEP_4) | instskip(SKIP_3) | instid1(VALU_DEP_3)
	v_cndmask_b32_e64 v11, 0x7fc0, v11, s4
	v_cmp_o_f32_e64 s4, v6, v6
	v_lshrrev_b32_e32 v5, 16, v14
	v_cndmask_b32_e64 v9, 0x7fc00000, v12, s5
	v_cndmask_b32_e64 v6, 0x7fc00000, v13, s4
	v_cmp_o_f32_e64 s4, v10, v10
	s_delay_alu instid0(VALU_DEP_3) | instskip(NEXT) | instid1(VALU_DEP_2)
	v_or_b32_e32 v9, v11, v9
	v_cndmask_b32_e64 v5, 0x7fc0, v5, s4
	s_delay_alu instid0(VALU_DEP_1) | instskip(NEXT) | instid1(VALU_DEP_3)
	v_or3_b32 v6, 0, v5, v6
	v_or3_b32 v5, v9, 0, 0
	global_store_b64 v[7:8], v[5:6], off
	s_and_not1_b32 exec_lo, exec_lo, s15
	s_cbranch_execnz .LBB35_3
.LBB35_4:
	s_or_b32 exec_lo, exec_lo, s14
	s_mov_b32 s2, 0
.LBB35_5:
	s_delay_alu instid0(SALU_CYCLE_1)
	s_and_not1_b32 vcc_lo, exec_lo, s2
	s_cbranch_vccnz .LBB35_25
; %bb.6:
	v_cmp_lt_i64_e64 s2, s[8:9], 1
	s_delay_alu instid0(VALU_DEP_1)
	s_and_b32 vcc_lo, exec_lo, s2
	s_cbranch_vccnz .LBB35_25
; %bb.7:
	s_load_b32 s0, s[0:1], 0xc5c
	v_dual_mov_b32 v10, 0 :: v_dual_lshlrev_b32 v9, 1, v0
	v_cmp_gt_u64_e64 s1, 0x10000, s[8:9]
	s_delay_alu instid0(VALU_DEP_2) | instskip(NEXT) | instid1(VALU_DEP_1)
	v_add_co_u32 v1, s2, s10, v9
	v_add_co_ci_u32_e64 v2, null, s11, 0, s2
	v_add_co_u32 v3, s2, s12, v9
	s_delay_alu instid0(VALU_DEP_1)
	v_add_co_ci_u32_e64 v4, null, s13, 0, s2
	s_waitcnt lgkmcnt(0)
	s_and_b32 s0, s0, 0xffff
	s_and_b32 s1, s1, exec_lo
	v_mad_u64_u32 v[7:8], null, s0, 6, v[9:10]
	s_cselect_b32 s5, s9, 0
	s_cselect_b32 s4, s8, 0x10000
	s_mul_i32 s2, s0, 3
	s_lshl_b32 s14, s0, 2
	s_lshl_b32 s1, s0, 1
	v_add_co_u32 v14, s3, s14, v9
	v_add_co_u32 v9, s2, s2, v0
	s_delay_alu instid0(VALU_DEP_1) | instskip(SKIP_3) | instid1(VALU_DEP_3)
	v_add_co_ci_u32_e64 v10, null, 0, 0, s2
	v_add_co_u32 v13, s2, v0, s0
	v_add_co_u32 v5, vcc_lo, s10, v7
	v_add_co_ci_u32_e32 v6, vcc_lo, s11, v8, vcc_lo
	v_lshlrev_b32_e32 v21, 1, v13
	v_add_co_u32 v7, vcc_lo, s12, v7
	v_add_co_ci_u32_e64 v15, null, 0, 0, s3
	v_add_co_ci_u32_e32 v8, vcc_lo, s13, v8, vcc_lo
	v_add_co_u32 v17, s1, s1, v0
	v_add_co_u32 v11, vcc_lo, s10, v14
	v_add_co_ci_u32_e64 v18, null, 0, 0, s1
	v_add_co_u32 v19, s1, s10, v21
	v_add_co_ci_u32_e32 v12, vcc_lo, s11, v15, vcc_lo
	v_add_co_u32 v14, vcc_lo, s12, v14
	v_add_co_ci_u32_e64 v20, null, s11, 0, s1
	v_add_co_u32 v21, s1, s12, v21
	v_add_co_ci_u32_e32 v15, vcc_lo, s13, v15, vcc_lo
	v_add_co_ci_u32_e64 v16, null, 0, 0, s2
	v_add_co_ci_u32_e64 v22, null, s13, 0, s1
	s_lshl_b32 s12, s0, 3
	s_mov_b64 s[10:11], 0
	s_branch .LBB35_9
.LBB35_8:                               ;   in Loop: Header=BB35_9 Depth=1
	s_or_b32 exec_lo, exec_lo, s0
	v_add_co_u32 v1, vcc_lo, v1, s12
	v_add_co_ci_u32_e32 v2, vcc_lo, 0, v2, vcc_lo
	v_add_co_u32 v3, vcc_lo, v3, s12
	v_add_co_ci_u32_e32 v4, vcc_lo, 0, v4, vcc_lo
	;; [unrolled: 2-line block ×5, first 2 shown]
	s_add_u32 s10, s10, s14
	v_add_co_u32 v14, vcc_lo, v14, s12
	s_addc_u32 s11, s11, 0
	v_add_co_ci_u32_e32 v15, vcc_lo, 0, v15, vcc_lo
	v_cmp_ge_i64_e64 s0, s[10:11], s[8:9]
	v_cmp_lt_u64_e64 s1, 0xffff, s[10:11]
	v_add_co_u32 v19, vcc_lo, v19, s12
	v_add_co_ci_u32_e32 v20, vcc_lo, 0, v20, vcc_lo
	v_add_co_u32 v21, vcc_lo, v21, s12
	v_add_co_ci_u32_e32 v22, vcc_lo, 0, v22, vcc_lo
	s_or_b32 s0, s0, s1
	s_delay_alu instid0(SALU_CYCLE_1)
	s_and_b32 vcc_lo, exec_lo, s0
	s_cbranch_vccnz .LBB35_25
.LBB35_9:                               ; =>This Inner Loop Header: Depth=1
	s_waitcnt vmcnt(0)
	v_add_co_u32 v23, s0, v0, s10
	s_delay_alu instid0(VALU_DEP_1) | instskip(NEXT) | instid1(VALU_DEP_1)
	v_add_co_ci_u32_e64 v24, null, 0, s11, s0
	v_cmp_gt_u64_e32 vcc_lo, s[4:5], v[23:24]
	v_mov_b32_e32 v24, 0
	s_and_saveexec_b32 s1, vcc_lo
	s_cbranch_execz .LBB35_11
; %bb.10:                               ;   in Loop: Header=BB35_9 Depth=1
	v_add_co_u32 v23, s0, v1, s6
	s_delay_alu instid0(VALU_DEP_1)
	v_add_co_ci_u32_e64 v24, s0, s7, v2, s0
	global_load_u16 v24, v[23:24], off
.LBB35_11:                              ;   in Loop: Header=BB35_9 Depth=1
	s_or_b32 exec_lo, exec_lo, s1
	v_add_co_u32 v25, s0, v13, s10
	s_delay_alu instid0(VALU_DEP_1) | instskip(NEXT) | instid1(VALU_DEP_1)
	v_add_co_ci_u32_e64 v26, s0, s11, v16, s0
	v_cmp_gt_u64_e64 s0, s[4:5], v[25:26]
	v_mov_b32_e32 v25, 0
	s_delay_alu instid0(VALU_DEP_2)
	s_and_saveexec_b32 s2, s0
	s_cbranch_execz .LBB35_13
; %bb.12:                               ;   in Loop: Header=BB35_9 Depth=1
	v_add_co_u32 v25, s1, v19, s6
	s_delay_alu instid0(VALU_DEP_1)
	v_add_co_ci_u32_e64 v26, s1, s7, v20, s1
	global_load_u16 v25, v[25:26], off
.LBB35_13:                              ;   in Loop: Header=BB35_9 Depth=1
	s_or_b32 exec_lo, exec_lo, s2
	v_add_co_u32 v26, s1, v17, s10
	s_delay_alu instid0(VALU_DEP_1) | instskip(SKIP_1) | instid1(VALU_DEP_2)
	v_add_co_ci_u32_e64 v27, s1, s11, v18, s1
	v_mov_b32_e32 v23, 0
	v_cmp_gt_u64_e64 s1, s[4:5], v[26:27]
	v_mov_b32_e32 v26, 0
	s_delay_alu instid0(VALU_DEP_2)
	s_and_saveexec_b32 s3, s1
	s_cbranch_execz .LBB35_15
; %bb.14:                               ;   in Loop: Header=BB35_9 Depth=1
	v_add_co_u32 v26, s2, v11, s6
	s_delay_alu instid0(VALU_DEP_1)
	v_add_co_ci_u32_e64 v27, s2, s7, v12, s2
	global_load_u16 v26, v[26:27], off
.LBB35_15:                              ;   in Loop: Header=BB35_9 Depth=1
	s_or_b32 exec_lo, exec_lo, s3
	v_add_co_u32 v27, s2, v9, s10
	s_delay_alu instid0(VALU_DEP_1) | instskip(NEXT) | instid1(VALU_DEP_1)
	v_add_co_ci_u32_e64 v28, s2, s11, v10, s2
	v_cmp_gt_u64_e64 s2, s[4:5], v[27:28]
	s_delay_alu instid0(VALU_DEP_1)
	s_and_saveexec_b32 s13, s2
	s_cbranch_execnz .LBB35_20
; %bb.16:                               ;   in Loop: Header=BB35_9 Depth=1
	s_or_b32 exec_lo, exec_lo, s13
	s_and_saveexec_b32 s3, vcc_lo
	s_cbranch_execnz .LBB35_21
.LBB35_17:                              ;   in Loop: Header=BB35_9 Depth=1
	s_or_b32 exec_lo, exec_lo, s3
	s_and_saveexec_b32 s3, s0
	s_cbranch_execnz .LBB35_22
.LBB35_18:                              ;   in Loop: Header=BB35_9 Depth=1
	s_or_b32 exec_lo, exec_lo, s3
	s_and_saveexec_b32 s0, s1
	s_cbranch_execnz .LBB35_23
.LBB35_19:                              ;   in Loop: Header=BB35_9 Depth=1
	s_or_b32 exec_lo, exec_lo, s0
	s_and_saveexec_b32 s0, s2
	s_cbranch_execz .LBB35_8
	s_branch .LBB35_24
.LBB35_20:                              ;   in Loop: Header=BB35_9 Depth=1
	v_add_co_u32 v27, s3, v5, s6
	s_delay_alu instid0(VALU_DEP_1)
	v_add_co_ci_u32_e64 v28, s3, s7, v6, s3
	global_load_u16 v23, v[27:28], off
	s_or_b32 exec_lo, exec_lo, s13
	s_and_saveexec_b32 s3, vcc_lo
	s_cbranch_execz .LBB35_17
.LBB35_21:                              ;   in Loop: Header=BB35_9 Depth=1
	s_waitcnt vmcnt(0)
	v_lshlrev_b32_e32 v24, 16, v24
	s_delay_alu instid0(VALU_DEP_1) | instskip(NEXT) | instid1(VALU_DEP_1)
	v_ceil_f32_e32 v24, v24
	v_bfe_u32 v27, v24, 16, 1
	v_cmp_o_f32_e32 vcc_lo, v24, v24
	s_delay_alu instid0(VALU_DEP_2) | instskip(NEXT) | instid1(VALU_DEP_1)
	v_add3_u32 v27, v24, v27, 0x7fff
	v_lshrrev_b32_e32 v27, 16, v27
	s_delay_alu instid0(VALU_DEP_1)
	v_cndmask_b32_e32 v24, 0x7fc0, v27, vcc_lo
	v_add_co_u32 v27, vcc_lo, v3, s6
	v_add_co_ci_u32_e32 v28, vcc_lo, s7, v4, vcc_lo
	global_store_b16 v[27:28], v24, off
	s_or_b32 exec_lo, exec_lo, s3
	s_and_saveexec_b32 s3, s0
	s_cbranch_execz .LBB35_18
.LBB35_22:                              ;   in Loop: Header=BB35_9 Depth=1
	s_waitcnt vmcnt(0)
	v_lshlrev_b32_e32 v24, 16, v25
	s_delay_alu instid0(VALU_DEP_1) | instskip(NEXT) | instid1(VALU_DEP_1)
	v_ceil_f32_e32 v24, v24
	v_bfe_u32 v25, v24, 16, 1
	v_cmp_o_f32_e32 vcc_lo, v24, v24
	s_delay_alu instid0(VALU_DEP_2) | instskip(NEXT) | instid1(VALU_DEP_1)
	v_add3_u32 v25, v24, v25, 0x7fff
	v_lshrrev_b32_e32 v25, 16, v25
	s_delay_alu instid0(VALU_DEP_1)
	v_cndmask_b32_e32 v27, 0x7fc0, v25, vcc_lo
	v_add_co_u32 v24, vcc_lo, v21, s6
	v_add_co_ci_u32_e32 v25, vcc_lo, s7, v22, vcc_lo
	global_store_b16 v[24:25], v27, off
	s_or_b32 exec_lo, exec_lo, s3
	s_and_saveexec_b32 s0, s1
	s_cbranch_execz .LBB35_19
.LBB35_23:                              ;   in Loop: Header=BB35_9 Depth=1
	s_waitcnt vmcnt(0)
	v_lshlrev_b32_e32 v24, 16, v26
	s_delay_alu instid0(VALU_DEP_1) | instskip(NEXT) | instid1(VALU_DEP_1)
	v_ceil_f32_e32 v24, v24
	v_bfe_u32 v25, v24, 16, 1
	v_cmp_o_f32_e32 vcc_lo, v24, v24
	s_delay_alu instid0(VALU_DEP_2) | instskip(NEXT) | instid1(VALU_DEP_1)
	v_add3_u32 v25, v24, v25, 0x7fff
	v_lshrrev_b32_e32 v25, 16, v25
	s_delay_alu instid0(VALU_DEP_1)
	v_cndmask_b32_e32 v26, 0x7fc0, v25, vcc_lo
	v_add_co_u32 v24, vcc_lo, v14, s6
	v_add_co_ci_u32_e32 v25, vcc_lo, s7, v15, vcc_lo
	global_store_b16 v[24:25], v26, off
	s_or_b32 exec_lo, exec_lo, s0
	s_and_saveexec_b32 s0, s2
	s_cbranch_execz .LBB35_8
.LBB35_24:                              ;   in Loop: Header=BB35_9 Depth=1
	s_waitcnt vmcnt(0)
	v_lshlrev_b32_e32 v23, 16, v23
	s_delay_alu instid0(VALU_DEP_1) | instskip(NEXT) | instid1(VALU_DEP_1)
	v_ceil_f32_e32 v23, v23
	v_bfe_u32 v24, v23, 16, 1
	v_cmp_o_f32_e32 vcc_lo, v23, v23
	s_delay_alu instid0(VALU_DEP_2) | instskip(NEXT) | instid1(VALU_DEP_1)
	v_add3_u32 v24, v23, v24, 0x7fff
	v_lshrrev_b32_e32 v24, 16, v24
	s_delay_alu instid0(VALU_DEP_1)
	v_cndmask_b32_e32 v25, 0x7fc0, v24, vcc_lo
	v_add_co_u32 v23, vcc_lo, v7, s6
	v_add_co_ci_u32_e32 v24, vcc_lo, s7, v8, vcc_lo
	global_store_b16 v[23:24], v25, off
	s_branch .LBB35_8
.LBB35_25:
	s_nop 0
	s_sendmsg sendmsg(MSG_DEALLOC_VGPRS)
	s_endpgm
	.section	.rodata,"a",@progbits
	.p2align	6, 0x0
	.amdhsa_kernel _ZN2at6native12_GLOBAL__N_125multi_tensor_apply_kernelINS1_18TensorListMetadataILi2EEENS1_14UnaryOpFunctorIN3c108BFloat16ELi2ELi1ELi1EEEJNS0_4CeilIfEEEEEvT_T0_DpT1_
		.amdhsa_group_segment_fixed_size 0
		.amdhsa_private_segment_fixed_size 0
		.amdhsa_kernarg_size 3408
		.amdhsa_user_sgpr_count 15
		.amdhsa_user_sgpr_dispatch_ptr 0
		.amdhsa_user_sgpr_queue_ptr 0
		.amdhsa_user_sgpr_kernarg_segment_ptr 1
		.amdhsa_user_sgpr_dispatch_id 0
		.amdhsa_user_sgpr_private_segment_size 0
		.amdhsa_wavefront_size32 1
		.amdhsa_uses_dynamic_stack 0
		.amdhsa_enable_private_segment 0
		.amdhsa_system_sgpr_workgroup_id_x 1
		.amdhsa_system_sgpr_workgroup_id_y 0
		.amdhsa_system_sgpr_workgroup_id_z 0
		.amdhsa_system_sgpr_workgroup_info 0
		.amdhsa_system_vgpr_workitem_id 0
		.amdhsa_next_free_vgpr 29
		.amdhsa_next_free_sgpr 18
		.amdhsa_reserve_vcc 1
		.amdhsa_float_round_mode_32 0
		.amdhsa_float_round_mode_16_64 0
		.amdhsa_float_denorm_mode_32 3
		.amdhsa_float_denorm_mode_16_64 3
		.amdhsa_dx10_clamp 1
		.amdhsa_ieee_mode 1
		.amdhsa_fp16_overflow 0
		.amdhsa_workgroup_processor_mode 1
		.amdhsa_memory_ordered 1
		.amdhsa_forward_progress 0
		.amdhsa_shared_vgpr_count 0
		.amdhsa_exception_fp_ieee_invalid_op 0
		.amdhsa_exception_fp_denorm_src 0
		.amdhsa_exception_fp_ieee_div_zero 0
		.amdhsa_exception_fp_ieee_overflow 0
		.amdhsa_exception_fp_ieee_underflow 0
		.amdhsa_exception_fp_ieee_inexact 0
		.amdhsa_exception_int_div_zero 0
	.end_amdhsa_kernel
	.section	.text._ZN2at6native12_GLOBAL__N_125multi_tensor_apply_kernelINS1_18TensorListMetadataILi2EEENS1_14UnaryOpFunctorIN3c108BFloat16ELi2ELi1ELi1EEEJNS0_4CeilIfEEEEEvT_T0_DpT1_,"axG",@progbits,_ZN2at6native12_GLOBAL__N_125multi_tensor_apply_kernelINS1_18TensorListMetadataILi2EEENS1_14UnaryOpFunctorIN3c108BFloat16ELi2ELi1ELi1EEEJNS0_4CeilIfEEEEEvT_T0_DpT1_,comdat
.Lfunc_end35:
	.size	_ZN2at6native12_GLOBAL__N_125multi_tensor_apply_kernelINS1_18TensorListMetadataILi2EEENS1_14UnaryOpFunctorIN3c108BFloat16ELi2ELi1ELi1EEEJNS0_4CeilIfEEEEEvT_T0_DpT1_, .Lfunc_end35-_ZN2at6native12_GLOBAL__N_125multi_tensor_apply_kernelINS1_18TensorListMetadataILi2EEENS1_14UnaryOpFunctorIN3c108BFloat16ELi2ELi1ELi1EEEJNS0_4CeilIfEEEEEvT_T0_DpT1_
                                        ; -- End function
	.section	.AMDGPU.csdata,"",@progbits
; Kernel info:
; codeLenInByte = 1860
; NumSgprs: 20
; NumVgprs: 29
; ScratchSize: 0
; MemoryBound: 0
; FloatMode: 240
; IeeeMode: 1
; LDSByteSize: 0 bytes/workgroup (compile time only)
; SGPRBlocks: 2
; VGPRBlocks: 3
; NumSGPRsForWavesPerEU: 20
; NumVGPRsForWavesPerEU: 29
; Occupancy: 16
; WaveLimiterHint : 0
; COMPUTE_PGM_RSRC2:SCRATCH_EN: 0
; COMPUTE_PGM_RSRC2:USER_SGPR: 15
; COMPUTE_PGM_RSRC2:TRAP_HANDLER: 0
; COMPUTE_PGM_RSRC2:TGID_X_EN: 1
; COMPUTE_PGM_RSRC2:TGID_Y_EN: 0
; COMPUTE_PGM_RSRC2:TGID_Z_EN: 0
; COMPUTE_PGM_RSRC2:TIDIG_COMP_CNT: 0
	.section	.text._ZN2at6native12_GLOBAL__N_125multi_tensor_apply_kernelINS1_18TensorListMetadataILi1EEENS1_14UnaryOpFunctorIdLi1ELi1ELi0EEEJNS0_4CeilIdEEEEEvT_T0_DpT1_,"axG",@progbits,_ZN2at6native12_GLOBAL__N_125multi_tensor_apply_kernelINS1_18TensorListMetadataILi1EEENS1_14UnaryOpFunctorIdLi1ELi1ELi0EEEJNS0_4CeilIdEEEEEvT_T0_DpT1_,comdat
	.globl	_ZN2at6native12_GLOBAL__N_125multi_tensor_apply_kernelINS1_18TensorListMetadataILi1EEENS1_14UnaryOpFunctorIdLi1ELi1ELi0EEEJNS0_4CeilIdEEEEEvT_T0_DpT1_ ; -- Begin function _ZN2at6native12_GLOBAL__N_125multi_tensor_apply_kernelINS1_18TensorListMetadataILi1EEENS1_14UnaryOpFunctorIdLi1ELi1ELi0EEEJNS0_4CeilIdEEEEEvT_T0_DpT1_
	.p2align	8
	.type	_ZN2at6native12_GLOBAL__N_125multi_tensor_apply_kernelINS1_18TensorListMetadataILi1EEENS1_14UnaryOpFunctorIdLi1ELi1ELi0EEEJNS0_4CeilIdEEEEEvT_T0_DpT1_,@function
_ZN2at6native12_GLOBAL__N_125multi_tensor_apply_kernelINS1_18TensorListMetadataILi1EEENS1_14UnaryOpFunctorIdLi1ELi1ELi0EEEJNS0_4CeilIdEEEEEvT_T0_DpT1_: ; @_ZN2at6native12_GLOBAL__N_125multi_tensor_apply_kernelINS1_18TensorListMetadataILi1EEENS1_14UnaryOpFunctorIdLi1ELi1ELi0EEEJNS0_4CeilIdEEEEEvT_T0_DpT1_
; %bb.0:
	v_mov_b32_e32 v1, s15
	s_add_u32 s2, s0, s15
	s_mul_hi_u32 s3, s15, 3
	s_mul_i32 s15, s15, 3
	s_addc_u32 s4, s1, 0
	global_load_u8 v1, v1, s[0:1] offset:1760
	s_add_u32 s2, s2, s15
	s_addc_u32 s3, s4, s3
	s_mov_b32 s13, 0
	s_load_b32 s2, s[2:3], 0x820
	s_waitcnt vmcnt(0)
	v_readfirstlane_b32 s5, v1
	s_delay_alu instid0(VALU_DEP_1)
	s_lshl_b32 s3, s5, 3
	s_clause 0x1
	s_load_b64 s[8:9], s[0:1], s3 offset:0x0
	s_load_b64 s[4:5], s[0:1], s3 offset:0x370
	s_waitcnt lgkmcnt(0)
	s_ashr_i32 s3, s2, 31
	s_delay_alu instid0(SALU_CYCLE_1)
	s_lshl_b64 s[10:11], s[2:3], 19
	s_lshl_b64 s[2:3], s[2:3], 16
	s_and_b32 s12, s8, 31
	s_sub_u32 s6, s4, s2
	s_subb_u32 s7, s5, s3
	s_and_b32 s2, s4, 3
	s_mov_b32 s3, s13
	s_delay_alu instid0(SALU_CYCLE_1) | instskip(NEXT) | instid1(SALU_CYCLE_1)
	s_or_b64 s[2:3], s[12:13], s[2:3]
	s_cmp_eq_u64 s[2:3], 0
	s_cbranch_scc1 .LBB36_21
; %bb.1:
	v_cmp_lt_i64_e64 s2, s[6:7], 1
	s_delay_alu instid0(VALU_DEP_1)
	s_and_b32 vcc_lo, exec_lo, s2
	s_cbranch_vccnz .LBB36_20
; %bb.2:
	s_load_b32 s2, s[0:1], 0xd3c
	v_cmp_gt_u64_e64 s3, 0x10000, s[6:7]
	v_lshlrev_b32_e32 v1, 3, v0
	s_waitcnt lgkmcnt(0)
	s_and_b32 s2, s2, 0xffff
	s_delay_alu instid0(VALU_DEP_2)
	s_and_b32 s3, s3, exec_lo
	v_add_co_u32 v13, s5, v0, s2
	s_cselect_b32 s13, s7, 0
	s_cselect_b32 s12, s6, 0x10000
	s_lshl_b32 s3, s2, 1
	s_lshl_b32 s16, s2, 2
	v_lshlrev_b32_e32 v3, 3, v13
	v_add_co_ci_u32_e64 v14, null, 0, 0, s5
	s_add_u32 s5, s8, s10
	v_add_co_u32 v17, s3, s3, v0
	s_mul_i32 s4, s2, 3
	s_addc_u32 s14, s9, s11
	v_add_co_ci_u32_e64 v18, null, 0, 0, s3
	v_add_co_u32 v1, s3, s5, v1
	v_add_co_u32 v15, s4, s4, v0
	v_add_co_ci_u32_e64 v2, null, s14, 0, s3
	v_add_co_u32 v3, s3, s5, v3
	v_add_co_ci_u32_e64 v16, null, 0, 0, s4
	v_add_co_ci_u32_e64 v4, null, s14, 0, s3
	s_lshl_b32 s17, s2, 5
	s_mul_i32 s18, s2, 24
	s_lshl_b32 s19, s2, 4
	s_mov_b64 s[14:15], 0
	s_branch .LBB36_4
.LBB36_3:                               ;   in Loop: Header=BB36_4 Depth=1
	s_or_b32 exec_lo, exec_lo, s2
	s_add_u32 s14, s14, s16
	s_addc_u32 s15, s15, 0
	v_add_co_u32 v1, vcc_lo, v1, s17
	v_cmp_lt_i64_e64 s2, s[14:15], s[6:7]
	v_cmp_gt_u64_e64 s3, 0x10000, s[14:15]
	v_add_co_ci_u32_e32 v2, vcc_lo, 0, v2, vcc_lo
	v_add_co_u32 v3, vcc_lo, v3, s17
	v_add_co_ci_u32_e32 v4, vcc_lo, 0, v4, vcc_lo
	s_delay_alu instid0(VALU_DEP_4) | instskip(NEXT) | instid1(SALU_CYCLE_1)
	s_and_b32 s2, s2, s3
	s_and_b32 vcc_lo, exec_lo, s2
	s_cbranch_vccz .LBB36_20
.LBB36_4:                               ; =>This Inner Loop Header: Depth=1
	s_waitcnt vmcnt(0)
	v_add_co_u32 v7, s2, v0, s14
	s_delay_alu instid0(VALU_DEP_1) | instskip(SKIP_2) | instid1(VALU_DEP_3)
	v_add_co_ci_u32_e64 v8, null, 0, s15, s2
	v_mov_b32_e32 v5, 0
	v_mov_b32_e32 v6, 0
	v_cmp_gt_u64_e32 vcc_lo, s[12:13], v[7:8]
	s_delay_alu instid0(VALU_DEP_2)
	v_dual_mov_b32 v8, v6 :: v_dual_mov_b32 v7, v5
	s_and_saveexec_b32 s2, vcc_lo
	s_cbranch_execz .LBB36_6
; %bb.5:                                ;   in Loop: Header=BB36_4 Depth=1
	global_load_b64 v[7:8], v[1:2], off
.LBB36_6:                               ;   in Loop: Header=BB36_4 Depth=1
	s_or_b32 exec_lo, exec_lo, s2
	v_add_co_u32 v9, s2, v13, s14
	s_delay_alu instid0(VALU_DEP_1) | instskip(NEXT) | instid1(VALU_DEP_1)
	v_add_co_ci_u32_e64 v10, s2, s15, v14, s2
	v_cmp_gt_u64_e64 s2, s[12:13], v[9:10]
	s_delay_alu instid0(VALU_DEP_1)
	s_and_saveexec_b32 s3, s2
	s_cbranch_execz .LBB36_8
; %bb.7:                                ;   in Loop: Header=BB36_4 Depth=1
	global_load_b64 v[5:6], v[3:4], off
.LBB36_8:                               ;   in Loop: Header=BB36_4 Depth=1
	s_or_b32 exec_lo, exec_lo, s3
	v_add_co_u32 v11, s3, v17, s14
	s_delay_alu instid0(VALU_DEP_1) | instskip(SKIP_2) | instid1(VALU_DEP_3)
	v_add_co_ci_u32_e64 v12, s3, s15, v18, s3
	v_mov_b32_e32 v9, 0
	v_mov_b32_e32 v10, 0
	v_cmp_gt_u64_e64 s3, s[12:13], v[11:12]
	s_delay_alu instid0(VALU_DEP_2) | instskip(NEXT) | instid1(VALU_DEP_2)
	v_dual_mov_b32 v12, v10 :: v_dual_mov_b32 v11, v9
	s_and_saveexec_b32 s5, s3
	s_cbranch_execz .LBB36_10
; %bb.9:                                ;   in Loop: Header=BB36_4 Depth=1
	v_add_co_u32 v11, s4, v1, s19
	s_delay_alu instid0(VALU_DEP_1)
	v_add_co_ci_u32_e64 v12, s4, 0, v2, s4
	global_load_b64 v[11:12], v[11:12], off
.LBB36_10:                              ;   in Loop: Header=BB36_4 Depth=1
	s_or_b32 exec_lo, exec_lo, s5
	v_add_co_u32 v19, s4, v15, s14
	s_delay_alu instid0(VALU_DEP_1) | instskip(NEXT) | instid1(VALU_DEP_1)
	v_add_co_ci_u32_e64 v20, s4, s15, v16, s4
	v_cmp_gt_u64_e64 s4, s[12:13], v[19:20]
	s_delay_alu instid0(VALU_DEP_1)
	s_and_saveexec_b32 s20, s4
	s_cbranch_execnz .LBB36_15
; %bb.11:                               ;   in Loop: Header=BB36_4 Depth=1
	s_or_b32 exec_lo, exec_lo, s20
	s_and_saveexec_b32 s5, vcc_lo
	s_cbranch_execnz .LBB36_16
.LBB36_12:                              ;   in Loop: Header=BB36_4 Depth=1
	s_or_b32 exec_lo, exec_lo, s5
	s_and_saveexec_b32 s5, s2
	s_cbranch_execnz .LBB36_17
.LBB36_13:                              ;   in Loop: Header=BB36_4 Depth=1
	s_or_b32 exec_lo, exec_lo, s5
	s_and_saveexec_b32 s2, s3
	s_cbranch_execnz .LBB36_18
.LBB36_14:                              ;   in Loop: Header=BB36_4 Depth=1
	s_or_b32 exec_lo, exec_lo, s2
	s_and_saveexec_b32 s2, s4
	s_cbranch_execz .LBB36_3
	s_branch .LBB36_19
.LBB36_15:                              ;   in Loop: Header=BB36_4 Depth=1
	v_add_co_u32 v9, s5, v1, s18
	s_delay_alu instid0(VALU_DEP_1)
	v_add_co_ci_u32_e64 v10, s5, 0, v2, s5
	global_load_b64 v[9:10], v[9:10], off
	s_or_b32 exec_lo, exec_lo, s20
	s_and_saveexec_b32 s5, vcc_lo
	s_cbranch_execz .LBB36_12
.LBB36_16:                              ;   in Loop: Header=BB36_4 Depth=1
	s_waitcnt vmcnt(0)
	v_ceil_f64_e32 v[7:8], v[7:8]
	global_store_b64 v[1:2], v[7:8], off
	s_or_b32 exec_lo, exec_lo, s5
	s_and_saveexec_b32 s5, s2
	s_cbranch_execz .LBB36_13
.LBB36_17:                              ;   in Loop: Header=BB36_4 Depth=1
	s_waitcnt vmcnt(0)
	v_ceil_f64_e32 v[5:6], v[5:6]
	global_store_b64 v[3:4], v[5:6], off
	s_or_b32 exec_lo, exec_lo, s5
	s_and_saveexec_b32 s2, s3
	s_cbranch_execz .LBB36_14
.LBB36_18:                              ;   in Loop: Header=BB36_4 Depth=1
	s_waitcnt vmcnt(0)
	v_ceil_f64_e32 v[5:6], v[11:12]
	v_add_co_u32 v7, vcc_lo, v1, s19
	v_add_co_ci_u32_e32 v8, vcc_lo, 0, v2, vcc_lo
	global_store_b64 v[7:8], v[5:6], off
	s_or_b32 exec_lo, exec_lo, s2
	s_and_saveexec_b32 s2, s4
	s_cbranch_execz .LBB36_3
.LBB36_19:                              ;   in Loop: Header=BB36_4 Depth=1
	s_waitcnt vmcnt(0)
	v_ceil_f64_e32 v[5:6], v[9:10]
	v_add_co_u32 v7, vcc_lo, v1, s18
	v_add_co_ci_u32_e32 v8, vcc_lo, 0, v2, vcc_lo
	global_store_b64 v[7:8], v[5:6], off
	s_branch .LBB36_3
.LBB36_20:
	s_cbranch_execz .LBB36_22
	s_branch .LBB36_25
.LBB36_21:
.LBB36_22:
	v_dual_mov_b32 v2, 0 :: v_dual_lshlrev_b32 v1, 2, v0
	s_mov_b32 s2, 0
	s_mov_b32 s3, exec_lo
	s_delay_alu instid0(VALU_DEP_1)
	v_cmpx_gt_i64_e64 s[6:7], v[1:2]
	s_cbranch_execz .LBB36_25
; %bb.23:
	s_load_b32 s0, s[0:1], 0xd3c
	v_lshlrev_b32_e32 v1, 5, v0
	s_waitcnt lgkmcnt(0)
	s_and_b32 s0, s0, 0xffff
	s_delay_alu instid0(SALU_CYCLE_1) | instskip(SKIP_3) | instid1(VALU_DEP_1)
	s_lshl_b32 s3, s0, 2
	s_add_u32 s1, s8, s10
	s_addc_u32 s4, s9, s11
	v_add_co_u32 v3, s1, s1, v1
	v_add_co_ci_u32_e64 v4, null, s4, 0, s1
	v_add_lshl_u32 v1, v0, s0, 2
	s_delay_alu instid0(VALU_DEP_3) | instskip(NEXT) | instid1(VALU_DEP_3)
	v_add_co_u32 v3, vcc_lo, v3, 16
	v_add_co_ci_u32_e32 v4, vcc_lo, 0, v4, vcc_lo
	s_lshl_b32 s4, s0, 5
	.p2align	6
.LBB36_24:                              ; =>This Inner Loop Header: Depth=1
	s_clause 0x1
	global_load_b128 v[5:8], v[3:4], off offset:-16
	global_load_b128 v[9:12], v[3:4], off
	v_cmp_le_i64_e32 vcc_lo, s[6:7], v[1:2]
	v_cmp_lt_u64_e64 s0, 0xffff, v[1:2]
	v_add_co_u32 v1, s1, v1, s3
	s_delay_alu instid0(VALU_DEP_1) | instskip(NEXT) | instid1(VALU_DEP_3)
	v_add_co_ci_u32_e64 v2, s1, 0, v2, s1
	s_or_b32 s0, vcc_lo, s0
	s_delay_alu instid0(SALU_CYCLE_1) | instskip(NEXT) | instid1(SALU_CYCLE_1)
	s_and_b32 s0, exec_lo, s0
	s_or_b32 s2, s0, s2
	s_waitcnt vmcnt(1)
	v_ceil_f64_e32 v[5:6], v[5:6]
	v_ceil_f64_e32 v[7:8], v[7:8]
	s_waitcnt vmcnt(0)
	v_ceil_f64_e32 v[9:10], v[9:10]
	v_ceil_f64_e32 v[11:12], v[11:12]
	s_clause 0x1
	global_store_b128 v[3:4], v[5:8], off offset:-16
	global_store_b128 v[3:4], v[9:12], off
	v_add_co_u32 v3, vcc_lo, v3, s4
	v_add_co_ci_u32_e32 v4, vcc_lo, 0, v4, vcc_lo
	s_and_not1_b32 exec_lo, exec_lo, s2
	s_cbranch_execnz .LBB36_24
.LBB36_25:
	s_nop 0
	s_sendmsg sendmsg(MSG_DEALLOC_VGPRS)
	s_endpgm
	.section	.rodata,"a",@progbits
	.p2align	6, 0x0
	.amdhsa_kernel _ZN2at6native12_GLOBAL__N_125multi_tensor_apply_kernelINS1_18TensorListMetadataILi1EEENS1_14UnaryOpFunctorIdLi1ELi1ELi0EEEJNS0_4CeilIdEEEEEvT_T0_DpT1_
		.amdhsa_group_segment_fixed_size 0
		.amdhsa_private_segment_fixed_size 0
		.amdhsa_kernarg_size 3632
		.amdhsa_user_sgpr_count 15
		.amdhsa_user_sgpr_dispatch_ptr 0
		.amdhsa_user_sgpr_queue_ptr 0
		.amdhsa_user_sgpr_kernarg_segment_ptr 1
		.amdhsa_user_sgpr_dispatch_id 0
		.amdhsa_user_sgpr_private_segment_size 0
		.amdhsa_wavefront_size32 1
		.amdhsa_uses_dynamic_stack 0
		.amdhsa_enable_private_segment 0
		.amdhsa_system_sgpr_workgroup_id_x 1
		.amdhsa_system_sgpr_workgroup_id_y 0
		.amdhsa_system_sgpr_workgroup_id_z 0
		.amdhsa_system_sgpr_workgroup_info 0
		.amdhsa_system_vgpr_workitem_id 0
		.amdhsa_next_free_vgpr 21
		.amdhsa_next_free_sgpr 21
		.amdhsa_reserve_vcc 1
		.amdhsa_float_round_mode_32 0
		.amdhsa_float_round_mode_16_64 0
		.amdhsa_float_denorm_mode_32 3
		.amdhsa_float_denorm_mode_16_64 3
		.amdhsa_dx10_clamp 1
		.amdhsa_ieee_mode 1
		.amdhsa_fp16_overflow 0
		.amdhsa_workgroup_processor_mode 1
		.amdhsa_memory_ordered 1
		.amdhsa_forward_progress 0
		.amdhsa_shared_vgpr_count 0
		.amdhsa_exception_fp_ieee_invalid_op 0
		.amdhsa_exception_fp_denorm_src 0
		.amdhsa_exception_fp_ieee_div_zero 0
		.amdhsa_exception_fp_ieee_overflow 0
		.amdhsa_exception_fp_ieee_underflow 0
		.amdhsa_exception_fp_ieee_inexact 0
		.amdhsa_exception_int_div_zero 0
	.end_amdhsa_kernel
	.section	.text._ZN2at6native12_GLOBAL__N_125multi_tensor_apply_kernelINS1_18TensorListMetadataILi1EEENS1_14UnaryOpFunctorIdLi1ELi1ELi0EEEJNS0_4CeilIdEEEEEvT_T0_DpT1_,"axG",@progbits,_ZN2at6native12_GLOBAL__N_125multi_tensor_apply_kernelINS1_18TensorListMetadataILi1EEENS1_14UnaryOpFunctorIdLi1ELi1ELi0EEEJNS0_4CeilIdEEEEEvT_T0_DpT1_,comdat
.Lfunc_end36:
	.size	_ZN2at6native12_GLOBAL__N_125multi_tensor_apply_kernelINS1_18TensorListMetadataILi1EEENS1_14UnaryOpFunctorIdLi1ELi1ELi0EEEJNS0_4CeilIdEEEEEvT_T0_DpT1_, .Lfunc_end36-_ZN2at6native12_GLOBAL__N_125multi_tensor_apply_kernelINS1_18TensorListMetadataILi1EEENS1_14UnaryOpFunctorIdLi1ELi1ELi0EEEJNS0_4CeilIdEEEEEvT_T0_DpT1_
                                        ; -- End function
	.section	.AMDGPU.csdata,"",@progbits
; Kernel info:
; codeLenInByte = 1152
; NumSgprs: 23
; NumVgprs: 21
; ScratchSize: 0
; MemoryBound: 0
; FloatMode: 240
; IeeeMode: 1
; LDSByteSize: 0 bytes/workgroup (compile time only)
; SGPRBlocks: 2
; VGPRBlocks: 2
; NumSGPRsForWavesPerEU: 23
; NumVGPRsForWavesPerEU: 21
; Occupancy: 16
; WaveLimiterHint : 0
; COMPUTE_PGM_RSRC2:SCRATCH_EN: 0
; COMPUTE_PGM_RSRC2:USER_SGPR: 15
; COMPUTE_PGM_RSRC2:TRAP_HANDLER: 0
; COMPUTE_PGM_RSRC2:TGID_X_EN: 1
; COMPUTE_PGM_RSRC2:TGID_Y_EN: 0
; COMPUTE_PGM_RSRC2:TGID_Z_EN: 0
; COMPUTE_PGM_RSRC2:TIDIG_COMP_CNT: 0
	.section	.text._ZN2at6native12_GLOBAL__N_125multi_tensor_apply_kernelINS1_18TensorListMetadataILi1EEENS1_14UnaryOpFunctorIfLi1ELi1ELi0EEEJNS0_4CeilIfEEEEEvT_T0_DpT1_,"axG",@progbits,_ZN2at6native12_GLOBAL__N_125multi_tensor_apply_kernelINS1_18TensorListMetadataILi1EEENS1_14UnaryOpFunctorIfLi1ELi1ELi0EEEJNS0_4CeilIfEEEEEvT_T0_DpT1_,comdat
	.globl	_ZN2at6native12_GLOBAL__N_125multi_tensor_apply_kernelINS1_18TensorListMetadataILi1EEENS1_14UnaryOpFunctorIfLi1ELi1ELi0EEEJNS0_4CeilIfEEEEEvT_T0_DpT1_ ; -- Begin function _ZN2at6native12_GLOBAL__N_125multi_tensor_apply_kernelINS1_18TensorListMetadataILi1EEENS1_14UnaryOpFunctorIfLi1ELi1ELi0EEEJNS0_4CeilIfEEEEEvT_T0_DpT1_
	.p2align	8
	.type	_ZN2at6native12_GLOBAL__N_125multi_tensor_apply_kernelINS1_18TensorListMetadataILi1EEENS1_14UnaryOpFunctorIfLi1ELi1ELi0EEEJNS0_4CeilIfEEEEEvT_T0_DpT1_,@function
_ZN2at6native12_GLOBAL__N_125multi_tensor_apply_kernelINS1_18TensorListMetadataILi1EEENS1_14UnaryOpFunctorIfLi1ELi1ELi0EEEJNS0_4CeilIfEEEEEvT_T0_DpT1_: ; @_ZN2at6native12_GLOBAL__N_125multi_tensor_apply_kernelINS1_18TensorListMetadataILi1EEENS1_14UnaryOpFunctorIfLi1ELi1ELi0EEEJNS0_4CeilIfEEEEEvT_T0_DpT1_
; %bb.0:
	v_mov_b32_e32 v1, s15
	s_add_u32 s2, s0, s15
	s_mul_hi_u32 s3, s15, 3
	s_mul_i32 s15, s15, 3
	s_addc_u32 s4, s1, 0
	global_load_u8 v1, v1, s[0:1] offset:1760
	s_add_u32 s2, s2, s15
	s_addc_u32 s3, s4, s3
	s_mov_b32 s13, 0
	s_load_b32 s2, s[2:3], 0x820
	s_waitcnt vmcnt(0)
	v_readfirstlane_b32 s5, v1
	s_delay_alu instid0(VALU_DEP_1)
	s_lshl_b32 s3, s5, 3
	s_clause 0x1
	s_load_b64 s[8:9], s[0:1], s3 offset:0x0
	s_load_b64 s[4:5], s[0:1], s3 offset:0x370
	s_waitcnt lgkmcnt(0)
	s_ashr_i32 s3, s2, 31
	s_delay_alu instid0(SALU_CYCLE_1)
	s_lshl_b64 s[10:11], s[2:3], 18
	s_lshl_b64 s[2:3], s[2:3], 16
	s_and_b32 s12, s8, 15
	s_sub_u32 s6, s4, s2
	s_subb_u32 s7, s5, s3
	s_and_b32 s2, s4, 3
	s_mov_b32 s3, s13
	s_delay_alu instid0(SALU_CYCLE_1) | instskip(NEXT) | instid1(SALU_CYCLE_1)
	s_or_b64 s[2:3], s[12:13], s[2:3]
	s_cmp_eq_u64 s[2:3], 0
	s_cbranch_scc1 .LBB37_21
; %bb.1:
	v_cmp_lt_i64_e64 s2, s[6:7], 1
	s_delay_alu instid0(VALU_DEP_1)
	s_and_b32 vcc_lo, exec_lo, s2
	s_cbranch_vccnz .LBB37_20
; %bb.2:
	s_load_b32 s2, s[0:1], 0xd3c
	v_cmp_gt_u64_e64 s3, 0x10000, s[6:7]
	v_lshlrev_b32_e32 v1, 2, v0
	s_waitcnt lgkmcnt(0)
	s_and_b32 s2, s2, 0xffff
	s_delay_alu instid0(VALU_DEP_2)
	s_and_b32 s3, s3, exec_lo
	v_add_co_u32 v5, s5, v0, s2
	s_cselect_b32 s13, s7, 0
	s_cselect_b32 s12, s6, 0x10000
	s_lshl_b32 s3, s2, 1
	s_lshl_b32 s16, s2, 2
	v_lshlrev_b32_e32 v3, 2, v5
	v_add_co_ci_u32_e64 v6, null, 0, 0, s5
	s_add_u32 s5, s8, s10
	v_add_co_u32 v9, s3, s3, v0
	s_mul_i32 s4, s2, 3
	s_addc_u32 s14, s9, s11
	v_add_co_ci_u32_e64 v10, null, 0, 0, s3
	v_add_co_u32 v1, s3, s5, v1
	v_add_co_u32 v7, s4, s4, v0
	v_add_co_ci_u32_e64 v2, null, s14, 0, s3
	v_add_co_u32 v3, s3, s5, v3
	v_add_co_ci_u32_e64 v8, null, 0, 0, s4
	v_add_co_ci_u32_e64 v4, null, s14, 0, s3
	s_lshl_b32 s17, s2, 4
	s_mul_i32 s18, s2, 12
	s_lshl_b32 s19, s2, 3
	s_mov_b64 s[14:15], 0
	s_branch .LBB37_4
.LBB37_3:                               ;   in Loop: Header=BB37_4 Depth=1
	s_or_b32 exec_lo, exec_lo, s2
	s_add_u32 s14, s14, s16
	s_addc_u32 s15, s15, 0
	v_add_co_u32 v1, vcc_lo, v1, s17
	v_cmp_lt_i64_e64 s2, s[14:15], s[6:7]
	v_cmp_gt_u64_e64 s3, 0x10000, s[14:15]
	v_add_co_ci_u32_e32 v2, vcc_lo, 0, v2, vcc_lo
	v_add_co_u32 v3, vcc_lo, v3, s17
	v_add_co_ci_u32_e32 v4, vcc_lo, 0, v4, vcc_lo
	s_delay_alu instid0(VALU_DEP_4) | instskip(NEXT) | instid1(SALU_CYCLE_1)
	s_and_b32 s2, s2, s3
	s_and_b32 vcc_lo, exec_lo, s2
	s_cbranch_vccz .LBB37_20
.LBB37_4:                               ; =>This Inner Loop Header: Depth=1
	s_waitcnt vmcnt(0)
	v_add_co_u32 v11, s2, v0, s14
	s_delay_alu instid0(VALU_DEP_1) | instskip(NEXT) | instid1(VALU_DEP_1)
	v_add_co_ci_u32_e64 v12, null, 0, s15, s2
	v_cmp_gt_u64_e32 vcc_lo, s[12:13], v[11:12]
	v_mov_b32_e32 v11, 0
	s_and_saveexec_b32 s2, vcc_lo
	s_cbranch_execz .LBB37_6
; %bb.5:                                ;   in Loop: Header=BB37_4 Depth=1
	global_load_b32 v11, v[1:2], off
.LBB37_6:                               ;   in Loop: Header=BB37_4 Depth=1
	s_or_b32 exec_lo, exec_lo, s2
	v_add_co_u32 v12, s2, v5, s14
	s_delay_alu instid0(VALU_DEP_1) | instskip(NEXT) | instid1(VALU_DEP_1)
	v_add_co_ci_u32_e64 v13, s2, s15, v6, s2
	v_cmp_gt_u64_e64 s2, s[12:13], v[12:13]
	v_mov_b32_e32 v13, 0
	s_delay_alu instid0(VALU_DEP_2)
	s_and_saveexec_b32 s3, s2
	s_cbranch_execz .LBB37_8
; %bb.7:                                ;   in Loop: Header=BB37_4 Depth=1
	global_load_b32 v13, v[3:4], off
.LBB37_8:                               ;   in Loop: Header=BB37_4 Depth=1
	s_or_b32 exec_lo, exec_lo, s3
	v_add_co_u32 v14, s3, v9, s14
	s_delay_alu instid0(VALU_DEP_1) | instskip(SKIP_1) | instid1(VALU_DEP_2)
	v_add_co_ci_u32_e64 v15, s3, s15, v10, s3
	v_mov_b32_e32 v12, 0
	v_cmp_gt_u64_e64 s3, s[12:13], v[14:15]
	v_mov_b32_e32 v14, 0
	s_delay_alu instid0(VALU_DEP_2)
	s_and_saveexec_b32 s5, s3
	s_cbranch_execz .LBB37_10
; %bb.9:                                ;   in Loop: Header=BB37_4 Depth=1
	v_add_co_u32 v14, s4, v1, s19
	s_delay_alu instid0(VALU_DEP_1)
	v_add_co_ci_u32_e64 v15, s4, 0, v2, s4
	global_load_b32 v14, v[14:15], off
.LBB37_10:                              ;   in Loop: Header=BB37_4 Depth=1
	s_or_b32 exec_lo, exec_lo, s5
	v_add_co_u32 v15, s4, v7, s14
	s_delay_alu instid0(VALU_DEP_1) | instskip(NEXT) | instid1(VALU_DEP_1)
	v_add_co_ci_u32_e64 v16, s4, s15, v8, s4
	v_cmp_gt_u64_e64 s4, s[12:13], v[15:16]
	s_delay_alu instid0(VALU_DEP_1)
	s_and_saveexec_b32 s20, s4
	s_cbranch_execnz .LBB37_15
; %bb.11:                               ;   in Loop: Header=BB37_4 Depth=1
	s_or_b32 exec_lo, exec_lo, s20
	s_and_saveexec_b32 s5, vcc_lo
	s_cbranch_execnz .LBB37_16
.LBB37_12:                              ;   in Loop: Header=BB37_4 Depth=1
	s_or_b32 exec_lo, exec_lo, s5
	s_and_saveexec_b32 s5, s2
	s_cbranch_execnz .LBB37_17
.LBB37_13:                              ;   in Loop: Header=BB37_4 Depth=1
	s_or_b32 exec_lo, exec_lo, s5
	s_and_saveexec_b32 s2, s3
	s_cbranch_execnz .LBB37_18
.LBB37_14:                              ;   in Loop: Header=BB37_4 Depth=1
	s_or_b32 exec_lo, exec_lo, s2
	s_and_saveexec_b32 s2, s4
	s_cbranch_execz .LBB37_3
	s_branch .LBB37_19
.LBB37_15:                              ;   in Loop: Header=BB37_4 Depth=1
	v_add_co_u32 v15, s5, v1, s18
	s_delay_alu instid0(VALU_DEP_1)
	v_add_co_ci_u32_e64 v16, s5, 0, v2, s5
	global_load_b32 v12, v[15:16], off
	s_or_b32 exec_lo, exec_lo, s20
	s_and_saveexec_b32 s5, vcc_lo
	s_cbranch_execz .LBB37_12
.LBB37_16:                              ;   in Loop: Header=BB37_4 Depth=1
	s_waitcnt vmcnt(0)
	v_ceil_f32_e32 v11, v11
	global_store_b32 v[1:2], v11, off
	s_or_b32 exec_lo, exec_lo, s5
	s_and_saveexec_b32 s5, s2
	s_cbranch_execz .LBB37_13
.LBB37_17:                              ;   in Loop: Header=BB37_4 Depth=1
	s_waitcnt vmcnt(0)
	v_ceil_f32_e32 v11, v13
	global_store_b32 v[3:4], v11, off
	s_or_b32 exec_lo, exec_lo, s5
	s_and_saveexec_b32 s2, s3
	s_cbranch_execz .LBB37_14
.LBB37_18:                              ;   in Loop: Header=BB37_4 Depth=1
	s_waitcnt vmcnt(0)
	v_add_co_u32 v13, vcc_lo, v1, s19
	v_ceil_f32_e32 v11, v14
	v_add_co_ci_u32_e32 v14, vcc_lo, 0, v2, vcc_lo
	global_store_b32 v[13:14], v11, off
	s_or_b32 exec_lo, exec_lo, s2
	s_and_saveexec_b32 s2, s4
	s_cbranch_execz .LBB37_3
.LBB37_19:                              ;   in Loop: Header=BB37_4 Depth=1
	s_waitcnt vmcnt(0)
	v_add_co_u32 v11, vcc_lo, v1, s18
	v_ceil_f32_e32 v13, v12
	v_add_co_ci_u32_e32 v12, vcc_lo, 0, v2, vcc_lo
	global_store_b32 v[11:12], v13, off
	s_branch .LBB37_3
.LBB37_20:
	s_cbranch_execz .LBB37_22
	s_branch .LBB37_25
.LBB37_21:
.LBB37_22:
	v_dual_mov_b32 v2, 0 :: v_dual_lshlrev_b32 v1, 2, v0
	s_mov_b32 s2, 0
	s_mov_b32 s3, exec_lo
	s_delay_alu instid0(VALU_DEP_1)
	v_cmpx_gt_i64_e64 s[6:7], v[1:2]
	s_cbranch_execz .LBB37_25
; %bb.23:
	s_load_b32 s0, s[0:1], 0xd3c
	v_lshlrev_b32_e32 v1, 4, v0
	s_waitcnt lgkmcnt(0)
	s_and_b32 s0, s0, 0xffff
	s_delay_alu instid0(SALU_CYCLE_1) | instskip(SKIP_3) | instid1(VALU_DEP_1)
	s_lshl_b32 s3, s0, 2
	s_add_u32 s1, s8, s10
	s_addc_u32 s4, s9, s11
	v_add_co_u32 v3, s1, s1, v1
	v_add_co_ci_u32_e64 v4, null, s4, 0, s1
	v_add_lshl_u32 v1, v0, s0, 2
	s_delay_alu instid0(VALU_DEP_3) | instskip(NEXT) | instid1(VALU_DEP_3)
	v_add_co_u32 v3, vcc_lo, v3, 8
	v_add_co_ci_u32_e32 v4, vcc_lo, 0, v4, vcc_lo
	s_lshl_b32 s4, s0, 4
	.p2align	6
.LBB37_24:                              ; =>This Inner Loop Header: Depth=1
	global_load_b128 v[5:8], v[3:4], off offset:-8
	v_cmp_le_i64_e32 vcc_lo, s[6:7], v[1:2]
	v_cmp_lt_u64_e64 s0, 0xffff, v[1:2]
	v_add_co_u32 v1, s1, v1, s3
	s_delay_alu instid0(VALU_DEP_1) | instskip(NEXT) | instid1(VALU_DEP_3)
	v_add_co_ci_u32_e64 v2, s1, 0, v2, s1
	s_or_b32 s0, vcc_lo, s0
	s_delay_alu instid0(SALU_CYCLE_1) | instskip(NEXT) | instid1(SALU_CYCLE_1)
	s_and_b32 s0, exec_lo, s0
	s_or_b32 s2, s0, s2
	s_waitcnt vmcnt(0)
	v_ceil_f32_e32 v5, v5
	v_ceil_f32_e32 v6, v6
	;; [unrolled: 1-line block ×4, first 2 shown]
	global_store_b128 v[3:4], v[5:8], off offset:-8
	v_add_co_u32 v3, vcc_lo, v3, s4
	v_add_co_ci_u32_e32 v4, vcc_lo, 0, v4, vcc_lo
	s_and_not1_b32 exec_lo, exec_lo, s2
	s_cbranch_execnz .LBB37_24
.LBB37_25:
	s_nop 0
	s_sendmsg sendmsg(MSG_DEALLOC_VGPRS)
	s_endpgm
	.section	.rodata,"a",@progbits
	.p2align	6, 0x0
	.amdhsa_kernel _ZN2at6native12_GLOBAL__N_125multi_tensor_apply_kernelINS1_18TensorListMetadataILi1EEENS1_14UnaryOpFunctorIfLi1ELi1ELi0EEEJNS0_4CeilIfEEEEEvT_T0_DpT1_
		.amdhsa_group_segment_fixed_size 0
		.amdhsa_private_segment_fixed_size 0
		.amdhsa_kernarg_size 3632
		.amdhsa_user_sgpr_count 15
		.amdhsa_user_sgpr_dispatch_ptr 0
		.amdhsa_user_sgpr_queue_ptr 0
		.amdhsa_user_sgpr_kernarg_segment_ptr 1
		.amdhsa_user_sgpr_dispatch_id 0
		.amdhsa_user_sgpr_private_segment_size 0
		.amdhsa_wavefront_size32 1
		.amdhsa_uses_dynamic_stack 0
		.amdhsa_enable_private_segment 0
		.amdhsa_system_sgpr_workgroup_id_x 1
		.amdhsa_system_sgpr_workgroup_id_y 0
		.amdhsa_system_sgpr_workgroup_id_z 0
		.amdhsa_system_sgpr_workgroup_info 0
		.amdhsa_system_vgpr_workitem_id 0
		.amdhsa_next_free_vgpr 17
		.amdhsa_next_free_sgpr 21
		.amdhsa_reserve_vcc 1
		.amdhsa_float_round_mode_32 0
		.amdhsa_float_round_mode_16_64 0
		.amdhsa_float_denorm_mode_32 3
		.amdhsa_float_denorm_mode_16_64 3
		.amdhsa_dx10_clamp 1
		.amdhsa_ieee_mode 1
		.amdhsa_fp16_overflow 0
		.amdhsa_workgroup_processor_mode 1
		.amdhsa_memory_ordered 1
		.amdhsa_forward_progress 0
		.amdhsa_shared_vgpr_count 0
		.amdhsa_exception_fp_ieee_invalid_op 0
		.amdhsa_exception_fp_denorm_src 0
		.amdhsa_exception_fp_ieee_div_zero 0
		.amdhsa_exception_fp_ieee_overflow 0
		.amdhsa_exception_fp_ieee_underflow 0
		.amdhsa_exception_fp_ieee_inexact 0
		.amdhsa_exception_int_div_zero 0
	.end_amdhsa_kernel
	.section	.text._ZN2at6native12_GLOBAL__N_125multi_tensor_apply_kernelINS1_18TensorListMetadataILi1EEENS1_14UnaryOpFunctorIfLi1ELi1ELi0EEEJNS0_4CeilIfEEEEEvT_T0_DpT1_,"axG",@progbits,_ZN2at6native12_GLOBAL__N_125multi_tensor_apply_kernelINS1_18TensorListMetadataILi1EEENS1_14UnaryOpFunctorIfLi1ELi1ELi0EEEJNS0_4CeilIfEEEEEvT_T0_DpT1_,comdat
.Lfunc_end37:
	.size	_ZN2at6native12_GLOBAL__N_125multi_tensor_apply_kernelINS1_18TensorListMetadataILi1EEENS1_14UnaryOpFunctorIfLi1ELi1ELi0EEEJNS0_4CeilIfEEEEEvT_T0_DpT1_, .Lfunc_end37-_ZN2at6native12_GLOBAL__N_125multi_tensor_apply_kernelINS1_18TensorListMetadataILi1EEENS1_14UnaryOpFunctorIfLi1ELi1ELi0EEEJNS0_4CeilIfEEEEEvT_T0_DpT1_
                                        ; -- End function
	.section	.AMDGPU.csdata,"",@progbits
; Kernel info:
; codeLenInByte = 1104
; NumSgprs: 23
; NumVgprs: 17
; ScratchSize: 0
; MemoryBound: 0
; FloatMode: 240
; IeeeMode: 1
; LDSByteSize: 0 bytes/workgroup (compile time only)
; SGPRBlocks: 2
; VGPRBlocks: 2
; NumSGPRsForWavesPerEU: 23
; NumVGPRsForWavesPerEU: 17
; Occupancy: 16
; WaveLimiterHint : 0
; COMPUTE_PGM_RSRC2:SCRATCH_EN: 0
; COMPUTE_PGM_RSRC2:USER_SGPR: 15
; COMPUTE_PGM_RSRC2:TRAP_HANDLER: 0
; COMPUTE_PGM_RSRC2:TGID_X_EN: 1
; COMPUTE_PGM_RSRC2:TGID_Y_EN: 0
; COMPUTE_PGM_RSRC2:TGID_Z_EN: 0
; COMPUTE_PGM_RSRC2:TIDIG_COMP_CNT: 0
	.section	.text._ZN2at6native12_GLOBAL__N_125multi_tensor_apply_kernelINS1_18TensorListMetadataILi1EEENS1_14UnaryOpFunctorIN3c104HalfELi1ELi1ELi0EEEJNS0_4CeilIfEEEEEvT_T0_DpT1_,"axG",@progbits,_ZN2at6native12_GLOBAL__N_125multi_tensor_apply_kernelINS1_18TensorListMetadataILi1EEENS1_14UnaryOpFunctorIN3c104HalfELi1ELi1ELi0EEEJNS0_4CeilIfEEEEEvT_T0_DpT1_,comdat
	.globl	_ZN2at6native12_GLOBAL__N_125multi_tensor_apply_kernelINS1_18TensorListMetadataILi1EEENS1_14UnaryOpFunctorIN3c104HalfELi1ELi1ELi0EEEJNS0_4CeilIfEEEEEvT_T0_DpT1_ ; -- Begin function _ZN2at6native12_GLOBAL__N_125multi_tensor_apply_kernelINS1_18TensorListMetadataILi1EEENS1_14UnaryOpFunctorIN3c104HalfELi1ELi1ELi0EEEJNS0_4CeilIfEEEEEvT_T0_DpT1_
	.p2align	8
	.type	_ZN2at6native12_GLOBAL__N_125multi_tensor_apply_kernelINS1_18TensorListMetadataILi1EEENS1_14UnaryOpFunctorIN3c104HalfELi1ELi1ELi0EEEJNS0_4CeilIfEEEEEvT_T0_DpT1_,@function
_ZN2at6native12_GLOBAL__N_125multi_tensor_apply_kernelINS1_18TensorListMetadataILi1EEENS1_14UnaryOpFunctorIN3c104HalfELi1ELi1ELi0EEEJNS0_4CeilIfEEEEEvT_T0_DpT1_: ; @_ZN2at6native12_GLOBAL__N_125multi_tensor_apply_kernelINS1_18TensorListMetadataILi1EEENS1_14UnaryOpFunctorIN3c104HalfELi1ELi1ELi0EEEJNS0_4CeilIfEEEEEvT_T0_DpT1_
; %bb.0:
	v_mov_b32_e32 v1, s15
	s_add_u32 s2, s0, s15
	s_mul_hi_u32 s3, s15, 3
	s_mul_i32 s15, s15, 3
	s_addc_u32 s4, s1, 0
	global_load_u8 v1, v1, s[0:1] offset:1760
	s_add_u32 s2, s2, s15
	s_addc_u32 s3, s4, s3
	s_mov_b32 s13, 0
	s_load_b32 s2, s[2:3], 0x820
	s_waitcnt vmcnt(0)
	v_readfirstlane_b32 s5, v1
	s_delay_alu instid0(VALU_DEP_1)
	s_lshl_b32 s3, s5, 3
	s_clause 0x1
	s_load_b64 s[8:9], s[0:1], s3 offset:0x0
	s_load_b64 s[4:5], s[0:1], s3 offset:0x370
	s_waitcnt lgkmcnt(0)
	s_ashr_i32 s3, s2, 31
	s_delay_alu instid0(SALU_CYCLE_1)
	s_lshl_b64 s[10:11], s[2:3], 17
	s_lshl_b64 s[2:3], s[2:3], 16
	s_and_b32 s12, s8, 7
	s_sub_u32 s6, s4, s2
	s_subb_u32 s7, s5, s3
	s_and_b32 s2, s4, 3
	s_mov_b32 s3, s13
	s_delay_alu instid0(SALU_CYCLE_1) | instskip(NEXT) | instid1(SALU_CYCLE_1)
	s_or_b64 s[2:3], s[12:13], s[2:3]
	s_cmp_eq_u64 s[2:3], 0
	s_cbranch_scc1 .LBB38_21
; %bb.1:
	v_cmp_lt_i64_e64 s2, s[6:7], 1
	s_delay_alu instid0(VALU_DEP_1)
	s_and_b32 vcc_lo, exec_lo, s2
	s_cbranch_vccnz .LBB38_20
; %bb.2:
	s_load_b32 s2, s[0:1], 0xd3c
	v_cmp_gt_u64_e64 s3, 0x10000, s[6:7]
	v_lshlrev_b32_e32 v1, 1, v0
	s_waitcnt lgkmcnt(0)
	s_and_b32 s2, s2, 0xffff
	s_delay_alu instid0(VALU_DEP_2)
	s_and_b32 s3, s3, exec_lo
	v_add_co_u32 v5, s5, v0, s2
	s_cselect_b32 s13, s7, 0
	s_cselect_b32 s12, s6, 0x10000
	s_lshl_b32 s3, s2, 1
	s_lshl_b32 s16, s2, 2
	v_lshlrev_b32_e32 v3, 1, v5
	v_add_co_ci_u32_e64 v6, null, 0, 0, s5
	s_add_u32 s5, s8, s10
	v_add_co_u32 v9, s3, s3, v0
	s_mul_i32 s4, s2, 3
	s_addc_u32 s14, s9, s11
	v_add_co_ci_u32_e64 v10, null, 0, 0, s3
	v_add_co_u32 v1, s3, s5, v1
	v_add_co_u32 v7, s4, s4, v0
	v_add_co_ci_u32_e64 v2, null, s14, 0, s3
	v_add_co_u32 v3, s3, s5, v3
	v_add_co_ci_u32_e64 v8, null, 0, 0, s4
	v_add_co_ci_u32_e64 v4, null, s14, 0, s3
	s_lshl_b32 s17, s2, 3
	s_mul_i32 s18, s2, 6
	s_mov_b64 s[14:15], 0
	s_branch .LBB38_4
.LBB38_3:                               ;   in Loop: Header=BB38_4 Depth=1
	s_or_b32 exec_lo, exec_lo, s2
	s_add_u32 s14, s14, s16
	s_addc_u32 s15, s15, 0
	v_add_co_u32 v1, vcc_lo, v1, s17
	v_cmp_lt_i64_e64 s2, s[14:15], s[6:7]
	v_cmp_gt_u64_e64 s3, 0x10000, s[14:15]
	v_add_co_ci_u32_e32 v2, vcc_lo, 0, v2, vcc_lo
	v_add_co_u32 v3, vcc_lo, v3, s17
	v_add_co_ci_u32_e32 v4, vcc_lo, 0, v4, vcc_lo
	s_delay_alu instid0(VALU_DEP_4) | instskip(NEXT) | instid1(SALU_CYCLE_1)
	s_and_b32 s2, s2, s3
	s_and_b32 vcc_lo, exec_lo, s2
	s_cbranch_vccz .LBB38_20
.LBB38_4:                               ; =>This Inner Loop Header: Depth=1
	s_waitcnt vmcnt(0)
	v_add_co_u32 v11, s2, v0, s14
	s_delay_alu instid0(VALU_DEP_1) | instskip(NEXT) | instid1(VALU_DEP_1)
	v_add_co_ci_u32_e64 v12, null, 0, s15, s2
	v_cmp_gt_u64_e32 vcc_lo, s[12:13], v[11:12]
	v_mov_b32_e32 v11, 0
	s_and_saveexec_b32 s2, vcc_lo
	s_cbranch_execz .LBB38_6
; %bb.5:                                ;   in Loop: Header=BB38_4 Depth=1
	global_load_u16 v11, v[1:2], off
.LBB38_6:                               ;   in Loop: Header=BB38_4 Depth=1
	s_or_b32 exec_lo, exec_lo, s2
	v_add_co_u32 v12, s2, v5, s14
	s_delay_alu instid0(VALU_DEP_1) | instskip(NEXT) | instid1(VALU_DEP_1)
	v_add_co_ci_u32_e64 v13, s2, s15, v6, s2
	v_cmp_gt_u64_e64 s2, s[12:13], v[12:13]
	v_mov_b32_e32 v13, 0
	s_delay_alu instid0(VALU_DEP_2)
	s_and_saveexec_b32 s3, s2
	s_cbranch_execz .LBB38_8
; %bb.7:                                ;   in Loop: Header=BB38_4 Depth=1
	global_load_u16 v13, v[3:4], off
.LBB38_8:                               ;   in Loop: Header=BB38_4 Depth=1
	s_or_b32 exec_lo, exec_lo, s3
	v_add_co_u32 v14, s3, v9, s14
	s_delay_alu instid0(VALU_DEP_1) | instskip(SKIP_1) | instid1(VALU_DEP_2)
	v_add_co_ci_u32_e64 v15, s3, s15, v10, s3
	v_mov_b32_e32 v12, 0
	v_cmp_gt_u64_e64 s3, s[12:13], v[14:15]
	v_mov_b32_e32 v14, 0
	s_delay_alu instid0(VALU_DEP_2)
	s_and_saveexec_b32 s5, s3
	s_cbranch_execz .LBB38_10
; %bb.9:                                ;   in Loop: Header=BB38_4 Depth=1
	v_add_co_u32 v14, s4, v1, s16
	s_delay_alu instid0(VALU_DEP_1)
	v_add_co_ci_u32_e64 v15, s4, 0, v2, s4
	global_load_u16 v14, v[14:15], off
.LBB38_10:                              ;   in Loop: Header=BB38_4 Depth=1
	s_or_b32 exec_lo, exec_lo, s5
	v_add_co_u32 v15, s4, v7, s14
	s_delay_alu instid0(VALU_DEP_1) | instskip(NEXT) | instid1(VALU_DEP_1)
	v_add_co_ci_u32_e64 v16, s4, s15, v8, s4
	v_cmp_gt_u64_e64 s4, s[12:13], v[15:16]
	s_delay_alu instid0(VALU_DEP_1)
	s_and_saveexec_b32 s19, s4
	s_cbranch_execnz .LBB38_15
; %bb.11:                               ;   in Loop: Header=BB38_4 Depth=1
	s_or_b32 exec_lo, exec_lo, s19
	s_and_saveexec_b32 s5, vcc_lo
	s_cbranch_execnz .LBB38_16
.LBB38_12:                              ;   in Loop: Header=BB38_4 Depth=1
	s_or_b32 exec_lo, exec_lo, s5
	s_and_saveexec_b32 s5, s2
	s_cbranch_execnz .LBB38_17
.LBB38_13:                              ;   in Loop: Header=BB38_4 Depth=1
	s_or_b32 exec_lo, exec_lo, s5
	s_and_saveexec_b32 s2, s3
	s_cbranch_execnz .LBB38_18
.LBB38_14:                              ;   in Loop: Header=BB38_4 Depth=1
	s_or_b32 exec_lo, exec_lo, s2
	s_and_saveexec_b32 s2, s4
	s_cbranch_execz .LBB38_3
	s_branch .LBB38_19
.LBB38_15:                              ;   in Loop: Header=BB38_4 Depth=1
	v_add_co_u32 v15, s5, v1, s18
	s_delay_alu instid0(VALU_DEP_1)
	v_add_co_ci_u32_e64 v16, s5, 0, v2, s5
	global_load_u16 v12, v[15:16], off
	s_or_b32 exec_lo, exec_lo, s19
	s_and_saveexec_b32 s5, vcc_lo
	s_cbranch_execz .LBB38_12
.LBB38_16:                              ;   in Loop: Header=BB38_4 Depth=1
	s_waitcnt vmcnt(0)
	v_ceil_f16_e32 v11, v11
	global_store_b16 v[1:2], v11, off
	s_or_b32 exec_lo, exec_lo, s5
	s_and_saveexec_b32 s5, s2
	s_cbranch_execz .LBB38_13
.LBB38_17:                              ;   in Loop: Header=BB38_4 Depth=1
	s_waitcnt vmcnt(0)
	v_ceil_f16_e32 v11, v13
	global_store_b16 v[3:4], v11, off
	s_or_b32 exec_lo, exec_lo, s5
	s_and_saveexec_b32 s2, s3
	s_cbranch_execz .LBB38_14
.LBB38_18:                              ;   in Loop: Header=BB38_4 Depth=1
	s_waitcnt vmcnt(0)
	v_add_co_u32 v13, vcc_lo, v1, s16
	v_ceil_f16_e32 v11, v14
	v_add_co_ci_u32_e32 v14, vcc_lo, 0, v2, vcc_lo
	global_store_b16 v[13:14], v11, off
	s_or_b32 exec_lo, exec_lo, s2
	s_and_saveexec_b32 s2, s4
	s_cbranch_execz .LBB38_3
.LBB38_19:                              ;   in Loop: Header=BB38_4 Depth=1
	s_waitcnt vmcnt(0)
	v_add_co_u32 v11, vcc_lo, v1, s18
	v_ceil_f16_e32 v13, v12
	v_add_co_ci_u32_e32 v12, vcc_lo, 0, v2, vcc_lo
	global_store_b16 v[11:12], v13, off
	s_branch .LBB38_3
.LBB38_20:
	s_cbranch_execz .LBB38_22
	s_branch .LBB38_25
.LBB38_21:
.LBB38_22:
	v_dual_mov_b32 v2, 0 :: v_dual_lshlrev_b32 v1, 2, v0
	s_mov_b32 s2, 0
	s_mov_b32 s3, exec_lo
	s_delay_alu instid0(VALU_DEP_1)
	v_cmpx_gt_i64_e64 s[6:7], v[1:2]
	s_cbranch_execz .LBB38_25
; %bb.23:
	s_load_b32 s0, s[0:1], 0xd3c
	v_lshlrev_b32_e32 v1, 3, v0
	s_waitcnt lgkmcnt(0)
	s_and_b32 s0, s0, 0xffff
	s_delay_alu instid0(SALU_CYCLE_1) | instskip(SKIP_3) | instid1(VALU_DEP_1)
	s_lshl_b32 s3, s0, 2
	s_add_u32 s1, s8, s10
	s_addc_u32 s4, s9, s11
	v_add_co_u32 v3, s1, s1, v1
	v_add_co_ci_u32_e64 v4, null, s4, 0, s1
	v_add_lshl_u32 v1, v0, s0, 2
	s_delay_alu instid0(VALU_DEP_3) | instskip(NEXT) | instid1(VALU_DEP_3)
	v_add_co_u32 v3, vcc_lo, v3, 4
	v_add_co_ci_u32_e32 v4, vcc_lo, 0, v4, vcc_lo
	s_lshl_b32 s4, s0, 3
	.p2align	6
.LBB38_24:                              ; =>This Inner Loop Header: Depth=1
	global_load_b64 v[5:6], v[3:4], off offset:-4
	v_cmp_le_i64_e32 vcc_lo, s[6:7], v[1:2]
	v_cmp_lt_u64_e64 s0, 0xffff, v[1:2]
	v_add_co_u32 v1, s1, v1, s3
	s_delay_alu instid0(VALU_DEP_1) | instskip(NEXT) | instid1(VALU_DEP_3)
	v_add_co_ci_u32_e64 v2, s1, 0, v2, s1
	s_or_b32 s0, vcc_lo, s0
	s_delay_alu instid0(SALU_CYCLE_1) | instskip(NEXT) | instid1(SALU_CYCLE_1)
	s_and_b32 s0, exec_lo, s0
	s_or_b32 s2, s0, s2
	s_waitcnt vmcnt(0)
	v_lshrrev_b32_e32 v0, 16, v6
	v_lshrrev_b32_e32 v7, 16, v5
	v_ceil_f16_e32 v5, v5
	v_ceil_f16_e32 v6, v6
	s_delay_alu instid0(VALU_DEP_4) | instskip(NEXT) | instid1(VALU_DEP_4)
	v_ceil_f16_e32 v0, v0
	v_ceil_f16_e32 v7, v7
	s_delay_alu instid0(VALU_DEP_2) | instskip(NEXT) | instid1(VALU_DEP_2)
	v_pack_b32_f16 v6, v6, v0
	v_pack_b32_f16 v5, v5, v7
	global_store_b64 v[3:4], v[5:6], off offset:-4
	v_add_co_u32 v3, vcc_lo, v3, s4
	v_add_co_ci_u32_e32 v4, vcc_lo, 0, v4, vcc_lo
	s_and_not1_b32 exec_lo, exec_lo, s2
	s_cbranch_execnz .LBB38_24
.LBB38_25:
	s_nop 0
	s_sendmsg sendmsg(MSG_DEALLOC_VGPRS)
	s_endpgm
	.section	.rodata,"a",@progbits
	.p2align	6, 0x0
	.amdhsa_kernel _ZN2at6native12_GLOBAL__N_125multi_tensor_apply_kernelINS1_18TensorListMetadataILi1EEENS1_14UnaryOpFunctorIN3c104HalfELi1ELi1ELi0EEEJNS0_4CeilIfEEEEEvT_T0_DpT1_
		.amdhsa_group_segment_fixed_size 0
		.amdhsa_private_segment_fixed_size 0
		.amdhsa_kernarg_size 3632
		.amdhsa_user_sgpr_count 15
		.amdhsa_user_sgpr_dispatch_ptr 0
		.amdhsa_user_sgpr_queue_ptr 0
		.amdhsa_user_sgpr_kernarg_segment_ptr 1
		.amdhsa_user_sgpr_dispatch_id 0
		.amdhsa_user_sgpr_private_segment_size 0
		.amdhsa_wavefront_size32 1
		.amdhsa_uses_dynamic_stack 0
		.amdhsa_enable_private_segment 0
		.amdhsa_system_sgpr_workgroup_id_x 1
		.amdhsa_system_sgpr_workgroup_id_y 0
		.amdhsa_system_sgpr_workgroup_id_z 0
		.amdhsa_system_sgpr_workgroup_info 0
		.amdhsa_system_vgpr_workitem_id 0
		.amdhsa_next_free_vgpr 17
		.amdhsa_next_free_sgpr 20
		.amdhsa_reserve_vcc 1
		.amdhsa_float_round_mode_32 0
		.amdhsa_float_round_mode_16_64 0
		.amdhsa_float_denorm_mode_32 3
		.amdhsa_float_denorm_mode_16_64 3
		.amdhsa_dx10_clamp 1
		.amdhsa_ieee_mode 1
		.amdhsa_fp16_overflow 0
		.amdhsa_workgroup_processor_mode 1
		.amdhsa_memory_ordered 1
		.amdhsa_forward_progress 0
		.amdhsa_shared_vgpr_count 0
		.amdhsa_exception_fp_ieee_invalid_op 0
		.amdhsa_exception_fp_denorm_src 0
		.amdhsa_exception_fp_ieee_div_zero 0
		.amdhsa_exception_fp_ieee_overflow 0
		.amdhsa_exception_fp_ieee_underflow 0
		.amdhsa_exception_fp_ieee_inexact 0
		.amdhsa_exception_int_div_zero 0
	.end_amdhsa_kernel
	.section	.text._ZN2at6native12_GLOBAL__N_125multi_tensor_apply_kernelINS1_18TensorListMetadataILi1EEENS1_14UnaryOpFunctorIN3c104HalfELi1ELi1ELi0EEEJNS0_4CeilIfEEEEEvT_T0_DpT1_,"axG",@progbits,_ZN2at6native12_GLOBAL__N_125multi_tensor_apply_kernelINS1_18TensorListMetadataILi1EEENS1_14UnaryOpFunctorIN3c104HalfELi1ELi1ELi0EEEJNS0_4CeilIfEEEEEvT_T0_DpT1_,comdat
.Lfunc_end38:
	.size	_ZN2at6native12_GLOBAL__N_125multi_tensor_apply_kernelINS1_18TensorListMetadataILi1EEENS1_14UnaryOpFunctorIN3c104HalfELi1ELi1ELi0EEEJNS0_4CeilIfEEEEEvT_T0_DpT1_, .Lfunc_end38-_ZN2at6native12_GLOBAL__N_125multi_tensor_apply_kernelINS1_18TensorListMetadataILi1EEENS1_14UnaryOpFunctorIN3c104HalfELi1ELi1ELi0EEEJNS0_4CeilIfEEEEEvT_T0_DpT1_
                                        ; -- End function
	.section	.AMDGPU.csdata,"",@progbits
; Kernel info:
; codeLenInByte = 1132
; NumSgprs: 22
; NumVgprs: 17
; ScratchSize: 0
; MemoryBound: 0
; FloatMode: 240
; IeeeMode: 1
; LDSByteSize: 0 bytes/workgroup (compile time only)
; SGPRBlocks: 2
; VGPRBlocks: 2
; NumSGPRsForWavesPerEU: 22
; NumVGPRsForWavesPerEU: 17
; Occupancy: 16
; WaveLimiterHint : 0
; COMPUTE_PGM_RSRC2:SCRATCH_EN: 0
; COMPUTE_PGM_RSRC2:USER_SGPR: 15
; COMPUTE_PGM_RSRC2:TRAP_HANDLER: 0
; COMPUTE_PGM_RSRC2:TGID_X_EN: 1
; COMPUTE_PGM_RSRC2:TGID_Y_EN: 0
; COMPUTE_PGM_RSRC2:TGID_Z_EN: 0
; COMPUTE_PGM_RSRC2:TIDIG_COMP_CNT: 0
	.section	.text._ZN2at6native12_GLOBAL__N_125multi_tensor_apply_kernelINS1_18TensorListMetadataILi1EEENS1_14UnaryOpFunctorIN3c108BFloat16ELi1ELi1ELi0EEEJNS0_4CeilIfEEEEEvT_T0_DpT1_,"axG",@progbits,_ZN2at6native12_GLOBAL__N_125multi_tensor_apply_kernelINS1_18TensorListMetadataILi1EEENS1_14UnaryOpFunctorIN3c108BFloat16ELi1ELi1ELi0EEEJNS0_4CeilIfEEEEEvT_T0_DpT1_,comdat
	.globl	_ZN2at6native12_GLOBAL__N_125multi_tensor_apply_kernelINS1_18TensorListMetadataILi1EEENS1_14UnaryOpFunctorIN3c108BFloat16ELi1ELi1ELi0EEEJNS0_4CeilIfEEEEEvT_T0_DpT1_ ; -- Begin function _ZN2at6native12_GLOBAL__N_125multi_tensor_apply_kernelINS1_18TensorListMetadataILi1EEENS1_14UnaryOpFunctorIN3c108BFloat16ELi1ELi1ELi0EEEJNS0_4CeilIfEEEEEvT_T0_DpT1_
	.p2align	8
	.type	_ZN2at6native12_GLOBAL__N_125multi_tensor_apply_kernelINS1_18TensorListMetadataILi1EEENS1_14UnaryOpFunctorIN3c108BFloat16ELi1ELi1ELi0EEEJNS0_4CeilIfEEEEEvT_T0_DpT1_,@function
_ZN2at6native12_GLOBAL__N_125multi_tensor_apply_kernelINS1_18TensorListMetadataILi1EEENS1_14UnaryOpFunctorIN3c108BFloat16ELi1ELi1ELi0EEEJNS0_4CeilIfEEEEEvT_T0_DpT1_: ; @_ZN2at6native12_GLOBAL__N_125multi_tensor_apply_kernelINS1_18TensorListMetadataILi1EEENS1_14UnaryOpFunctorIN3c108BFloat16ELi1ELi1ELi0EEEJNS0_4CeilIfEEEEEvT_T0_DpT1_
; %bb.0:
	v_mov_b32_e32 v1, s15
	s_add_u32 s2, s0, s15
	s_mul_hi_u32 s3, s15, 3
	s_mul_i32 s15, s15, 3
	s_addc_u32 s4, s1, 0
	global_load_u8 v1, v1, s[0:1] offset:1760
	s_add_u32 s2, s2, s15
	s_addc_u32 s3, s4, s3
	s_mov_b32 s13, 0
	s_load_b32 s2, s[2:3], 0x820
	s_waitcnt vmcnt(0)
	v_readfirstlane_b32 s5, v1
	s_delay_alu instid0(VALU_DEP_1)
	s_lshl_b32 s3, s5, 3
	s_clause 0x1
	s_load_b64 s[8:9], s[0:1], s3 offset:0x0
	s_load_b64 s[4:5], s[0:1], s3 offset:0x370
	s_waitcnt lgkmcnt(0)
	s_ashr_i32 s3, s2, 31
	s_delay_alu instid0(SALU_CYCLE_1)
	s_lshl_b64 s[10:11], s[2:3], 17
	s_lshl_b64 s[2:3], s[2:3], 16
	s_and_b32 s12, s8, 7
	s_sub_u32 s6, s4, s2
	s_subb_u32 s7, s5, s3
	s_and_b32 s2, s4, 3
	s_mov_b32 s3, s13
	s_delay_alu instid0(SALU_CYCLE_1) | instskip(NEXT) | instid1(SALU_CYCLE_1)
	s_or_b64 s[2:3], s[12:13], s[2:3]
	s_cmp_eq_u64 s[2:3], 0
	s_cbranch_scc1 .LBB39_21
; %bb.1:
	v_cmp_lt_i64_e64 s2, s[6:7], 1
	s_delay_alu instid0(VALU_DEP_1)
	s_and_b32 vcc_lo, exec_lo, s2
	s_cbranch_vccnz .LBB39_20
; %bb.2:
	s_load_b32 s2, s[0:1], 0xd3c
	v_cmp_gt_u64_e64 s3, 0x10000, s[6:7]
	v_lshlrev_b32_e32 v1, 1, v0
	s_waitcnt lgkmcnt(0)
	s_and_b32 s2, s2, 0xffff
	s_delay_alu instid0(VALU_DEP_2)
	s_and_b32 s3, s3, exec_lo
	v_add_co_u32 v5, s5, v0, s2
	s_cselect_b32 s13, s7, 0
	s_cselect_b32 s12, s6, 0x10000
	s_lshl_b32 s3, s2, 1
	s_lshl_b32 s16, s2, 2
	v_lshlrev_b32_e32 v3, 1, v5
	v_add_co_ci_u32_e64 v6, null, 0, 0, s5
	s_add_u32 s5, s8, s10
	v_add_co_u32 v9, s3, s3, v0
	s_mul_i32 s4, s2, 3
	s_addc_u32 s14, s9, s11
	v_add_co_ci_u32_e64 v10, null, 0, 0, s3
	v_add_co_u32 v1, s3, s5, v1
	v_add_co_u32 v7, s4, s4, v0
	v_add_co_ci_u32_e64 v2, null, s14, 0, s3
	v_add_co_u32 v3, s3, s5, v3
	v_add_co_ci_u32_e64 v8, null, 0, 0, s4
	v_add_co_ci_u32_e64 v4, null, s14, 0, s3
	s_lshl_b32 s17, s2, 3
	s_mul_i32 s18, s2, 6
	s_mov_b64 s[14:15], 0
	s_branch .LBB39_4
.LBB39_3:                               ;   in Loop: Header=BB39_4 Depth=1
	s_or_b32 exec_lo, exec_lo, s2
	s_add_u32 s14, s14, s16
	s_addc_u32 s15, s15, 0
	v_add_co_u32 v1, vcc_lo, v1, s17
	v_cmp_lt_i64_e64 s2, s[14:15], s[6:7]
	v_cmp_gt_u64_e64 s3, 0x10000, s[14:15]
	v_add_co_ci_u32_e32 v2, vcc_lo, 0, v2, vcc_lo
	v_add_co_u32 v3, vcc_lo, v3, s17
	v_add_co_ci_u32_e32 v4, vcc_lo, 0, v4, vcc_lo
	s_delay_alu instid0(VALU_DEP_4) | instskip(NEXT) | instid1(SALU_CYCLE_1)
	s_and_b32 s2, s2, s3
	s_and_b32 vcc_lo, exec_lo, s2
	s_cbranch_vccz .LBB39_20
.LBB39_4:                               ; =>This Inner Loop Header: Depth=1
	s_waitcnt vmcnt(0)
	v_add_co_u32 v11, s2, v0, s14
	s_delay_alu instid0(VALU_DEP_1) | instskip(NEXT) | instid1(VALU_DEP_1)
	v_add_co_ci_u32_e64 v12, null, 0, s15, s2
	v_cmp_gt_u64_e32 vcc_lo, s[12:13], v[11:12]
	v_mov_b32_e32 v12, 0
	s_and_saveexec_b32 s2, vcc_lo
	s_cbranch_execz .LBB39_6
; %bb.5:                                ;   in Loop: Header=BB39_4 Depth=1
	global_load_u16 v12, v[1:2], off
.LBB39_6:                               ;   in Loop: Header=BB39_4 Depth=1
	s_or_b32 exec_lo, exec_lo, s2
	v_add_co_u32 v13, s2, v5, s14
	s_delay_alu instid0(VALU_DEP_1) | instskip(NEXT) | instid1(VALU_DEP_1)
	v_add_co_ci_u32_e64 v14, s2, s15, v6, s2
	v_cmp_gt_u64_e64 s2, s[12:13], v[13:14]
	v_mov_b32_e32 v13, 0
	s_delay_alu instid0(VALU_DEP_2)
	s_and_saveexec_b32 s3, s2
	s_cbranch_execz .LBB39_8
; %bb.7:                                ;   in Loop: Header=BB39_4 Depth=1
	global_load_u16 v13, v[3:4], off
.LBB39_8:                               ;   in Loop: Header=BB39_4 Depth=1
	s_or_b32 exec_lo, exec_lo, s3
	v_add_co_u32 v14, s3, v9, s14
	s_delay_alu instid0(VALU_DEP_1) | instskip(SKIP_1) | instid1(VALU_DEP_2)
	v_add_co_ci_u32_e64 v15, s3, s15, v10, s3
	v_mov_b32_e32 v11, 0
	v_cmp_gt_u64_e64 s3, s[12:13], v[14:15]
	v_mov_b32_e32 v14, 0
	s_delay_alu instid0(VALU_DEP_2)
	s_and_saveexec_b32 s5, s3
	s_cbranch_execz .LBB39_10
; %bb.9:                                ;   in Loop: Header=BB39_4 Depth=1
	v_add_co_u32 v14, s4, v1, s16
	s_delay_alu instid0(VALU_DEP_1)
	v_add_co_ci_u32_e64 v15, s4, 0, v2, s4
	global_load_u16 v14, v[14:15], off
.LBB39_10:                              ;   in Loop: Header=BB39_4 Depth=1
	s_or_b32 exec_lo, exec_lo, s5
	v_add_co_u32 v15, s4, v7, s14
	s_delay_alu instid0(VALU_DEP_1) | instskip(NEXT) | instid1(VALU_DEP_1)
	v_add_co_ci_u32_e64 v16, s4, s15, v8, s4
	v_cmp_gt_u64_e64 s4, s[12:13], v[15:16]
	s_delay_alu instid0(VALU_DEP_1)
	s_and_saveexec_b32 s19, s4
	s_cbranch_execnz .LBB39_15
; %bb.11:                               ;   in Loop: Header=BB39_4 Depth=1
	s_or_b32 exec_lo, exec_lo, s19
	s_and_saveexec_b32 s5, vcc_lo
	s_cbranch_execnz .LBB39_16
.LBB39_12:                              ;   in Loop: Header=BB39_4 Depth=1
	s_or_b32 exec_lo, exec_lo, s5
	s_and_saveexec_b32 s5, s2
	s_cbranch_execnz .LBB39_17
.LBB39_13:                              ;   in Loop: Header=BB39_4 Depth=1
	s_or_b32 exec_lo, exec_lo, s5
	s_and_saveexec_b32 s2, s3
	s_cbranch_execnz .LBB39_18
.LBB39_14:                              ;   in Loop: Header=BB39_4 Depth=1
	s_or_b32 exec_lo, exec_lo, s2
	s_and_saveexec_b32 s2, s4
	s_cbranch_execz .LBB39_3
	s_branch .LBB39_19
.LBB39_15:                              ;   in Loop: Header=BB39_4 Depth=1
	v_add_co_u32 v15, s5, v1, s18
	s_delay_alu instid0(VALU_DEP_1)
	v_add_co_ci_u32_e64 v16, s5, 0, v2, s5
	global_load_u16 v11, v[15:16], off
	s_or_b32 exec_lo, exec_lo, s19
	s_and_saveexec_b32 s5, vcc_lo
	s_cbranch_execz .LBB39_12
.LBB39_16:                              ;   in Loop: Header=BB39_4 Depth=1
	s_waitcnt vmcnt(0)
	v_lshlrev_b32_e32 v12, 16, v12
	s_delay_alu instid0(VALU_DEP_1) | instskip(NEXT) | instid1(VALU_DEP_1)
	v_ceil_f32_e32 v12, v12
	v_bfe_u32 v15, v12, 16, 1
	v_cmp_o_f32_e32 vcc_lo, v12, v12
	s_delay_alu instid0(VALU_DEP_2) | instskip(NEXT) | instid1(VALU_DEP_1)
	v_add3_u32 v15, v12, v15, 0x7fff
	v_lshrrev_b32_e32 v15, 16, v15
	s_delay_alu instid0(VALU_DEP_1)
	v_cndmask_b32_e32 v12, 0x7fc0, v15, vcc_lo
	global_store_b16 v[1:2], v12, off
	s_or_b32 exec_lo, exec_lo, s5
	s_and_saveexec_b32 s5, s2
	s_cbranch_execz .LBB39_13
.LBB39_17:                              ;   in Loop: Header=BB39_4 Depth=1
	s_waitcnt vmcnt(0)
	v_lshlrev_b32_e32 v12, 16, v13
	s_delay_alu instid0(VALU_DEP_1) | instskip(NEXT) | instid1(VALU_DEP_1)
	v_ceil_f32_e32 v12, v12
	v_bfe_u32 v13, v12, 16, 1
	v_cmp_o_f32_e32 vcc_lo, v12, v12
	s_delay_alu instid0(VALU_DEP_2) | instskip(NEXT) | instid1(VALU_DEP_1)
	v_add3_u32 v13, v12, v13, 0x7fff
	v_lshrrev_b32_e32 v13, 16, v13
	s_delay_alu instid0(VALU_DEP_1)
	v_cndmask_b32_e32 v12, 0x7fc0, v13, vcc_lo
	global_store_b16 v[3:4], v12, off
	s_or_b32 exec_lo, exec_lo, s5
	s_and_saveexec_b32 s2, s3
	s_cbranch_execz .LBB39_14
.LBB39_18:                              ;   in Loop: Header=BB39_4 Depth=1
	s_waitcnt vmcnt(0)
	v_lshlrev_b32_e32 v12, 16, v14
	s_delay_alu instid0(VALU_DEP_1) | instskip(NEXT) | instid1(VALU_DEP_1)
	v_ceil_f32_e32 v12, v12
	v_bfe_u32 v13, v12, 16, 1
	v_cmp_o_f32_e32 vcc_lo, v12, v12
	s_delay_alu instid0(VALU_DEP_2) | instskip(NEXT) | instid1(VALU_DEP_1)
	v_add3_u32 v13, v12, v13, 0x7fff
	v_lshrrev_b32_e32 v13, 16, v13
	s_delay_alu instid0(VALU_DEP_1)
	v_cndmask_b32_e32 v14, 0x7fc0, v13, vcc_lo
	v_add_co_u32 v12, vcc_lo, v1, s16
	v_add_co_ci_u32_e32 v13, vcc_lo, 0, v2, vcc_lo
	global_store_b16 v[12:13], v14, off
	s_or_b32 exec_lo, exec_lo, s2
	s_and_saveexec_b32 s2, s4
	s_cbranch_execz .LBB39_3
.LBB39_19:                              ;   in Loop: Header=BB39_4 Depth=1
	s_waitcnt vmcnt(0)
	v_lshlrev_b32_e32 v11, 16, v11
	s_delay_alu instid0(VALU_DEP_1) | instskip(NEXT) | instid1(VALU_DEP_1)
	v_ceil_f32_e32 v11, v11
	v_bfe_u32 v12, v11, 16, 1
	v_cmp_o_f32_e32 vcc_lo, v11, v11
	s_delay_alu instid0(VALU_DEP_2) | instskip(NEXT) | instid1(VALU_DEP_1)
	v_add3_u32 v12, v11, v12, 0x7fff
	v_lshrrev_b32_e32 v12, 16, v12
	s_delay_alu instid0(VALU_DEP_1)
	v_cndmask_b32_e32 v13, 0x7fc0, v12, vcc_lo
	v_add_co_u32 v11, vcc_lo, v1, s18
	v_add_co_ci_u32_e32 v12, vcc_lo, 0, v2, vcc_lo
	global_store_b16 v[11:12], v13, off
	s_branch .LBB39_3
.LBB39_20:
	s_cbranch_execz .LBB39_22
	s_branch .LBB39_25
.LBB39_21:
.LBB39_22:
	v_dual_mov_b32 v2, 0 :: v_dual_lshlrev_b32 v1, 2, v0
	s_mov_b32 s2, 0
	s_mov_b32 s3, exec_lo
	s_delay_alu instid0(VALU_DEP_1)
	v_cmpx_gt_i64_e64 s[6:7], v[1:2]
	s_cbranch_execz .LBB39_25
; %bb.23:
	s_load_b32 s0, s[0:1], 0xd3c
	v_lshlrev_b32_e32 v1, 3, v0
	s_waitcnt lgkmcnt(0)
	s_and_b32 s0, s0, 0xffff
	s_add_u32 s1, s8, s10
	s_addc_u32 s3, s9, s11
	v_add_co_u32 v3, s1, s1, v1
	s_delay_alu instid0(VALU_DEP_1)
	v_add_co_ci_u32_e64 v4, null, s3, 0, s1
	v_add_lshl_u32 v1, v0, s0, 2
	s_lshl_b32 s3, s0, 3
	s_lshl_b32 s4, s0, 2
.LBB39_24:                              ; =>This Inner Loop Header: Depth=1
	global_load_b64 v[5:6], v[3:4], off
	v_cmp_lt_u64_e64 s0, 0xffff, v[1:2]
	s_waitcnt vmcnt(0)
	v_alignbit_b32 v0, v6, v5, 16
	v_and_b32_e32 v6, 0xffff0000, v6
	v_and_b32_e32 v7, 0xffff0000, v5
	s_delay_alu instid0(VALU_DEP_3) | instskip(NEXT) | instid1(VALU_DEP_3)
	v_and_b32_e32 v0, 0xffff0000, v0
	v_ceil_f32_e32 v6, v6
	s_delay_alu instid0(VALU_DEP_3) | instskip(NEXT) | instid1(VALU_DEP_3)
	v_ceil_f32_e32 v7, v7
	v_ceil_f32_e32 v0, v0
	s_delay_alu instid0(VALU_DEP_3) | instskip(NEXT) | instid1(VALU_DEP_3)
	v_bfe_u32 v10, v6, 16, 1
	v_bfe_u32 v8, v7, 16, 1
	v_cmp_o_f32_e32 vcc_lo, v7, v7
	s_delay_alu instid0(VALU_DEP_4) | instskip(NEXT) | instid1(VALU_DEP_4)
	v_bfe_u32 v11, v0, 16, 1
	v_add3_u32 v10, v6, v10, 0x7fff
	s_delay_alu instid0(VALU_DEP_4) | instskip(NEXT) | instid1(VALU_DEP_3)
	v_add3_u32 v8, v7, v8, 0x7fff
	v_add3_u32 v11, v0, v11, 0x7fff
	s_delay_alu instid0(VALU_DEP_3) | instskip(SKIP_1) | instid1(VALU_DEP_4)
	v_and_b32_e32 v10, 0xffff0000, v10
	v_lshlrev_b32_e32 v5, 16, v5
	v_and_b32_e32 v8, 0xffff0000, v8
	s_delay_alu instid0(VALU_DEP_4) | instskip(NEXT) | instid1(VALU_DEP_3)
	v_lshrrev_b32_e32 v11, 16, v11
	v_ceil_f32_e32 v5, v5
	s_delay_alu instid0(VALU_DEP_3) | instskip(NEXT) | instid1(VALU_DEP_2)
	v_cndmask_b32_e32 v7, 0x7fc00000, v8, vcc_lo
	v_bfe_u32 v9, v5, 16, 1
	v_cmp_o_f32_e32 vcc_lo, v5, v5
	s_delay_alu instid0(VALU_DEP_2) | instskip(NEXT) | instid1(VALU_DEP_1)
	v_add3_u32 v9, v5, v9, 0x7fff
	v_lshrrev_b32_e32 v9, 16, v9
	s_delay_alu instid0(VALU_DEP_1) | instskip(SKIP_1) | instid1(VALU_DEP_2)
	v_cndmask_b32_e32 v5, 0x7fc0, v9, vcc_lo
	v_cmp_o_f32_e32 vcc_lo, v6, v6
	v_or_b32_e32 v5, v5, v7
	v_cndmask_b32_e32 v6, 0x7fc00000, v10, vcc_lo
	v_cmp_o_f32_e32 vcc_lo, v0, v0
	s_delay_alu instid0(VALU_DEP_3) | instskip(SKIP_3) | instid1(VALU_DEP_1)
	v_or3_b32 v5, v5, 0, 0
	v_cndmask_b32_e32 v0, 0x7fc0, v11, vcc_lo
	v_cmp_le_i64_e32 vcc_lo, s[6:7], v[1:2]
	v_add_co_u32 v1, s1, v1, s4
	v_add_co_ci_u32_e64 v2, s1, 0, v2, s1
	s_delay_alu instid0(VALU_DEP_4) | instskip(SKIP_1) | instid1(SALU_CYCLE_1)
	v_or3_b32 v6, 0, v0, v6
	s_or_b32 s0, vcc_lo, s0
	s_and_b32 s0, exec_lo, s0
	global_store_b64 v[3:4], v[5:6], off
	v_add_co_u32 v3, vcc_lo, v3, s3
	v_add_co_ci_u32_e32 v4, vcc_lo, 0, v4, vcc_lo
	s_or_b32 s2, s0, s2
	s_delay_alu instid0(SALU_CYCLE_1)
	s_and_not1_b32 exec_lo, exec_lo, s2
	s_cbranch_execnz .LBB39_24
.LBB39_25:
	s_nop 0
	s_sendmsg sendmsg(MSG_DEALLOC_VGPRS)
	s_endpgm
	.section	.rodata,"a",@progbits
	.p2align	6, 0x0
	.amdhsa_kernel _ZN2at6native12_GLOBAL__N_125multi_tensor_apply_kernelINS1_18TensorListMetadataILi1EEENS1_14UnaryOpFunctorIN3c108BFloat16ELi1ELi1ELi0EEEJNS0_4CeilIfEEEEEvT_T0_DpT1_
		.amdhsa_group_segment_fixed_size 0
		.amdhsa_private_segment_fixed_size 0
		.amdhsa_kernarg_size 3632
		.amdhsa_user_sgpr_count 15
		.amdhsa_user_sgpr_dispatch_ptr 0
		.amdhsa_user_sgpr_queue_ptr 0
		.amdhsa_user_sgpr_kernarg_segment_ptr 1
		.amdhsa_user_sgpr_dispatch_id 0
		.amdhsa_user_sgpr_private_segment_size 0
		.amdhsa_wavefront_size32 1
		.amdhsa_uses_dynamic_stack 0
		.amdhsa_enable_private_segment 0
		.amdhsa_system_sgpr_workgroup_id_x 1
		.amdhsa_system_sgpr_workgroup_id_y 0
		.amdhsa_system_sgpr_workgroup_id_z 0
		.amdhsa_system_sgpr_workgroup_info 0
		.amdhsa_system_vgpr_workitem_id 0
		.amdhsa_next_free_vgpr 17
		.amdhsa_next_free_sgpr 20
		.amdhsa_reserve_vcc 1
		.amdhsa_float_round_mode_32 0
		.amdhsa_float_round_mode_16_64 0
		.amdhsa_float_denorm_mode_32 3
		.amdhsa_float_denorm_mode_16_64 3
		.amdhsa_dx10_clamp 1
		.amdhsa_ieee_mode 1
		.amdhsa_fp16_overflow 0
		.amdhsa_workgroup_processor_mode 1
		.amdhsa_memory_ordered 1
		.amdhsa_forward_progress 0
		.amdhsa_shared_vgpr_count 0
		.amdhsa_exception_fp_ieee_invalid_op 0
		.amdhsa_exception_fp_denorm_src 0
		.amdhsa_exception_fp_ieee_div_zero 0
		.amdhsa_exception_fp_ieee_overflow 0
		.amdhsa_exception_fp_ieee_underflow 0
		.amdhsa_exception_fp_ieee_inexact 0
		.amdhsa_exception_int_div_zero 0
	.end_amdhsa_kernel
	.section	.text._ZN2at6native12_GLOBAL__N_125multi_tensor_apply_kernelINS1_18TensorListMetadataILi1EEENS1_14UnaryOpFunctorIN3c108BFloat16ELi1ELi1ELi0EEEJNS0_4CeilIfEEEEEvT_T0_DpT1_,"axG",@progbits,_ZN2at6native12_GLOBAL__N_125multi_tensor_apply_kernelINS1_18TensorListMetadataILi1EEENS1_14UnaryOpFunctorIN3c108BFloat16ELi1ELi1ELi0EEEJNS0_4CeilIfEEEEEvT_T0_DpT1_,comdat
.Lfunc_end39:
	.size	_ZN2at6native12_GLOBAL__N_125multi_tensor_apply_kernelINS1_18TensorListMetadataILi1EEENS1_14UnaryOpFunctorIN3c108BFloat16ELi1ELi1ELi0EEEJNS0_4CeilIfEEEEEvT_T0_DpT1_, .Lfunc_end39-_ZN2at6native12_GLOBAL__N_125multi_tensor_apply_kernelINS1_18TensorListMetadataILi1EEENS1_14UnaryOpFunctorIN3c108BFloat16ELi1ELi1ELi0EEEJNS0_4CeilIfEEEEEvT_T0_DpT1_
                                        ; -- End function
	.section	.AMDGPU.csdata,"",@progbits
; Kernel info:
; codeLenInByte = 1544
; NumSgprs: 22
; NumVgprs: 17
; ScratchSize: 0
; MemoryBound: 0
; FloatMode: 240
; IeeeMode: 1
; LDSByteSize: 0 bytes/workgroup (compile time only)
; SGPRBlocks: 2
; VGPRBlocks: 2
; NumSGPRsForWavesPerEU: 22
; NumVGPRsForWavesPerEU: 17
; Occupancy: 16
; WaveLimiterHint : 0
; COMPUTE_PGM_RSRC2:SCRATCH_EN: 0
; COMPUTE_PGM_RSRC2:USER_SGPR: 15
; COMPUTE_PGM_RSRC2:TRAP_HANDLER: 0
; COMPUTE_PGM_RSRC2:TGID_X_EN: 1
; COMPUTE_PGM_RSRC2:TGID_Y_EN: 0
; COMPUTE_PGM_RSRC2:TGID_Z_EN: 0
; COMPUTE_PGM_RSRC2:TIDIG_COMP_CNT: 0
	.section	.text._ZN2at6native12_GLOBAL__N_125multi_tensor_apply_kernelINS1_18TensorListMetadataILi2EEENS1_14UnaryOpFunctorIdLi2ELi1ELi1EEEJNS0_4AcosIdEEEEEvT_T0_DpT1_,"axG",@progbits,_ZN2at6native12_GLOBAL__N_125multi_tensor_apply_kernelINS1_18TensorListMetadataILi2EEENS1_14UnaryOpFunctorIdLi2ELi1ELi1EEEJNS0_4AcosIdEEEEEvT_T0_DpT1_,comdat
	.globl	_ZN2at6native12_GLOBAL__N_125multi_tensor_apply_kernelINS1_18TensorListMetadataILi2EEENS1_14UnaryOpFunctorIdLi2ELi1ELi1EEEJNS0_4AcosIdEEEEEvT_T0_DpT1_ ; -- Begin function _ZN2at6native12_GLOBAL__N_125multi_tensor_apply_kernelINS1_18TensorListMetadataILi2EEENS1_14UnaryOpFunctorIdLi2ELi1ELi1EEEJNS0_4AcosIdEEEEEvT_T0_DpT1_
	.p2align	8
	.type	_ZN2at6native12_GLOBAL__N_125multi_tensor_apply_kernelINS1_18TensorListMetadataILi2EEENS1_14UnaryOpFunctorIdLi2ELi1ELi1EEEJNS0_4AcosIdEEEEEvT_T0_DpT1_,@function
_ZN2at6native12_GLOBAL__N_125multi_tensor_apply_kernelINS1_18TensorListMetadataILi2EEENS1_14UnaryOpFunctorIdLi2ELi1ELi1EEEJNS0_4AcosIdEEEEEvT_T0_DpT1_: ; @_ZN2at6native12_GLOBAL__N_125multi_tensor_apply_kernelINS1_18TensorListMetadataILi2EEENS1_14UnaryOpFunctorIdLi2ELi1ELi1EEEJNS0_4AcosIdEEEEEvT_T0_DpT1_
; %bb.0:
	v_mov_b32_e32 v1, s15
	s_add_u32 s2, s0, s15
	s_mul_hi_u32 s3, s15, 3
	s_mul_i32 s15, s15, 3
	s_addc_u32 s4, s1, 0
	global_load_u8 v1, v1, s[0:1] offset:1536
	s_add_u32 s2, s2, s15
	s_addc_u32 s3, s4, s3
	s_mov_b32 s15, 0
	s_load_b32 s6, s[2:3], 0x740
	s_mov_b32 s17, s15
	s_mov_b32 s19, s15
	s_waitcnt lgkmcnt(0)
	s_ashr_i32 s7, s6, 31
	s_waitcnt vmcnt(0)
	v_readfirstlane_b32 s5, v1
	s_delay_alu instid0(VALU_DEP_1)
	s_lshl_b32 s2, s5, 3
	s_lshl_b64 s[4:5], s[6:7], 19
	s_clause 0x2
	s_load_b64 s[12:13], s[0:1], s2 offset:0x0
	s_load_b64 s[10:11], s[0:1], s2 offset:0x200
	;; [unrolled: 1-line block ×3, first 2 shown]
	s_mov_b32 s2, -1
	s_waitcnt lgkmcnt(0)
	s_add_u32 s3, s12, s4
	s_addc_u32 s33, s13, s5
	s_and_b32 s14, s3, 31
	s_add_u32 s44, s10, s4
	s_addc_u32 s45, s11, s5
	s_and_b32 s16, s8, 3
	s_and_b32 s18, s44, 31
	s_or_b64 s[14:15], s[14:15], s[16:17]
	s_lshl_b64 s[6:7], s[6:7], 16
	s_or_b64 s[14:15], s[18:19], s[14:15]
	s_sub_u32 s6, s8, s6
	s_subb_u32 s7, s9, s7
	s_cmp_eq_u64 s[14:15], 0
	s_cbranch_scc0 .LBB40_13
; %bb.1:
	v_dual_mov_b32 v14, 0 :: v_dual_lshlrev_b32 v13, 2, v0
	s_mov_b32 s46, exec_lo
	s_delay_alu instid0(VALU_DEP_1)
	v_cmpx_gt_i64_e64 s[6:7], v[13:14]
	s_cbranch_execz .LBB40_12
; %bb.2:
	s_load_b32 s2, s[0:1], 0xc5c
	v_lshlrev_b32_e32 v17, 5, v0
	s_mov_b32 s8, 0x78a05eaf
	s_mov_b32 s14, 0x9fea6a70
	;; [unrolled: 1-line block ×18, first 2 shown]
	s_waitcnt lgkmcnt(0)
	s_and_b32 s2, s2, 0xffff
	s_mov_b32 s19, 0x3f7ab3a0
	v_add_lshl_u32 v13, v0, s2, 2
	s_mov_b32 s21, 0x3f88ed60
	s_mov_b32 s23, 0x3f8c6fa8
	;; [unrolled: 1-line block ×12, first 2 shown]
	s_lshl_b32 s48, s2, 2
	s_lshl_b32 s49, s2, 5
	s_branch .LBB40_4
.LBB40_3:                               ;   in Loop: Header=BB40_4 Depth=1
	s_or_b32 exec_lo, exec_lo, s2
	v_cmp_le_i64_e32 vcc_lo, s[6:7], v[13:14]
	v_cmp_lt_u64_e64 s2, 0xffff, v[13:14]
	v_add_co_u32 v1, s50, s44, v17
	s_delay_alu instid0(VALU_DEP_1)
	v_add_co_ci_u32_e64 v2, null, s45, 0, s50
	s_clause 0x1
	global_store_b128 v[1:2], v[5:8], off
	global_store_b128 v[1:2], v[9:12], off offset:16
	s_or_b32 s2, vcc_lo, s2
	s_add_u32 s3, s3, s49
	v_add_co_u32 v13, vcc_lo, v13, s48
	s_addc_u32 s33, s33, 0
	s_add_u32 s44, s44, s49
	v_add_co_ci_u32_e32 v14, vcc_lo, 0, v14, vcc_lo
	s_addc_u32 s45, s45, 0
	s_and_b32 s2, exec_lo, s2
	s_delay_alu instid0(SALU_CYCLE_1) | instskip(NEXT) | instid1(SALU_CYCLE_1)
	s_or_b32 s47, s2, s47
	s_and_not1_b32 exec_lo, exec_lo, s47
	s_cbranch_execz .LBB40_12
.LBB40_4:                               ; =>This Inner Loop Header: Depth=1
	v_add_co_u32 v1, s2, s3, v17
	s_delay_alu instid0(VALU_DEP_1)
	v_add_co_ci_u32_e64 v2, null, s33, 0, s2
	global_load_b128 v[7:10], v[1:2], off
	s_waitcnt vmcnt(0)
	v_fma_f64 v[15:16], |v[7:8]|, -0.5, 0.5
	v_mul_f64 v[3:4], v[7:8], v[7:8]
	v_cmp_ge_f64_e64 vcc_lo, |v[7:8]|, 0.5
	s_delay_alu instid0(VALU_DEP_2) | instskip(NEXT) | instid1(VALU_DEP_1)
	v_dual_cndmask_b32 v6, v4, v16 :: v_dual_cndmask_b32 v5, v3, v15
	v_fma_f64 v[3:4], v[5:6], s[14:15], s[8:9]
	s_delay_alu instid0(VALU_DEP_1) | instskip(NEXT) | instid1(VALU_DEP_1)
	v_fma_f64 v[3:4], v[5:6], v[3:4], s[16:17]
	v_fma_f64 v[3:4], v[5:6], v[3:4], s[18:19]
	s_delay_alu instid0(VALU_DEP_1) | instskip(NEXT) | instid1(VALU_DEP_1)
	v_fma_f64 v[3:4], v[5:6], v[3:4], s[20:21]
	v_fma_f64 v[3:4], v[5:6], v[3:4], s[22:23]
	s_delay_alu instid0(VALU_DEP_1) | instskip(SKIP_2) | instid1(VALU_DEP_1)
	v_fma_f64 v[11:12], v[5:6], v[3:4], s[24:25]
	global_load_b128 v[1:4], v[1:2], off offset:16
	v_fma_f64 v[11:12], v[5:6], v[11:12], s[26:27]
	v_fma_f64 v[11:12], v[5:6], v[11:12], s[28:29]
	s_delay_alu instid0(VALU_DEP_1) | instskip(NEXT) | instid1(VALU_DEP_1)
	v_fma_f64 v[11:12], v[5:6], v[11:12], s[30:31]
	v_fma_f64 v[11:12], v[5:6], v[11:12], s[34:35]
	s_delay_alu instid0(VALU_DEP_1) | instskip(NEXT) | instid1(VALU_DEP_1)
	v_fma_f64 v[11:12], v[5:6], v[11:12], s[36:37]
	v_mul_f64 v[11:12], v[5:6], v[11:12]
	s_delay_alu instid0(VALU_DEP_1) | instskip(NEXT) | instid1(VALU_DEP_1)
	v_fma_f64 v[5:6], v[7:8], v[11:12], v[7:8]
	v_fma_f64 v[5:6], s[40:41], s[38:39], -v[5:6]
	s_and_saveexec_b32 s2, vcc_lo
	s_cbranch_execz .LBB40_6
; %bb.5:                                ;   in Loop: Header=BB40_4 Depth=1
	v_rsq_f64_e32 v[5:6], v[15:16]
	v_cmp_eq_f64_e32 vcc_lo, 0, v[15:16]
	s_waitcnt_depctr 0xfff
	v_mul_f64 v[18:19], v[15:16], v[5:6]
	v_mul_f64 v[5:6], v[5:6], 0.5
	s_delay_alu instid0(VALU_DEP_1) | instskip(NEXT) | instid1(VALU_DEP_1)
	v_fma_f64 v[20:21], -v[5:6], v[18:19], 0.5
	v_fma_f64 v[18:19], v[18:19], v[20:21], v[18:19]
	v_fma_f64 v[5:6], v[5:6], v[20:21], v[5:6]
	s_delay_alu instid0(VALU_DEP_2) | instskip(NEXT) | instid1(VALU_DEP_1)
	v_fma_f64 v[20:21], -v[18:19], v[18:19], v[15:16]
	v_fma_f64 v[5:6], v[20:21], v[5:6], v[18:19]
	s_delay_alu instid0(VALU_DEP_1) | instskip(NEXT) | instid1(VALU_DEP_1)
	v_dual_cndmask_b32 v6, v6, v16 :: v_dual_cndmask_b32 v5, v5, v15
	v_add_f64 v[18:19], v[5:6], v[5:6]
	v_mul_f64 v[20:21], v[5:6], v[5:6]
	s_delay_alu instid0(VALU_DEP_2) | instskip(NEXT) | instid1(VALU_DEP_1)
	v_rcp_f64_e32 v[22:23], v[18:19]
	v_add_f64 v[24:25], v[15:16], -v[20:21]
	v_fma_f64 v[28:29], v[5:6], v[5:6], -v[20:21]
	s_delay_alu instid0(VALU_DEP_2) | instskip(SKIP_3) | instid1(VALU_DEP_2)
	v_add_f64 v[15:16], v[15:16], -v[24:25]
	s_waitcnt_depctr 0xfff
	v_fma_f64 v[26:27], -v[18:19], v[22:23], 1.0
	v_add_f64 v[15:16], v[15:16], -v[20:21]
	v_fma_f64 v[20:21], v[26:27], v[22:23], v[22:23]
	s_delay_alu instid0(VALU_DEP_2) | instskip(NEXT) | instid1(VALU_DEP_2)
	v_add_f64 v[15:16], v[15:16], -v[28:29]
	v_fma_f64 v[22:23], -v[18:19], v[20:21], 1.0
	s_delay_alu instid0(VALU_DEP_2) | instskip(NEXT) | instid1(VALU_DEP_2)
	v_add_f64 v[15:16], v[24:25], v[15:16]
	v_fma_f64 v[20:21], v[22:23], v[20:21], v[20:21]
	s_delay_alu instid0(VALU_DEP_1) | instskip(NEXT) | instid1(VALU_DEP_1)
	v_mul_f64 v[22:23], v[15:16], v[20:21]
	v_fma_f64 v[15:16], -v[18:19], v[22:23], v[15:16]
	s_delay_alu instid0(VALU_DEP_1) | instskip(NEXT) | instid1(VALU_DEP_1)
	v_fma_f64 v[15:16], v[15:16], v[20:21], v[22:23]
	v_cndmask_b32_e64 v16, v16, 0, vcc_lo
	s_delay_alu instid0(VALU_DEP_2) | instskip(SKIP_1) | instid1(VALU_DEP_2)
	v_cndmask_b32_e64 v15, v15, 0, vcc_lo
	v_cmp_gt_f64_e32 vcc_lo, 0, v[7:8]
	v_add_f64 v[18:19], v[5:6], v[15:16]
	s_delay_alu instid0(VALU_DEP_1) | instskip(NEXT) | instid1(VALU_DEP_1)
	v_add_f64 v[5:6], v[18:19], -v[5:6]
	v_add_f64 v[5:6], v[15:16], -v[5:6]
	v_fma_f64 v[15:16], v[18:19], v[11:12], v[18:19]
	s_delay_alu instid0(VALU_DEP_2) | instskip(NEXT) | instid1(VALU_DEP_2)
	v_fma_f64 v[5:6], v[18:19], v[11:12], v[5:6]
	v_mul_f64 v[11:12], v[15:16], -2.0
	s_delay_alu instid0(VALU_DEP_2) | instskip(NEXT) | instid1(VALU_DEP_2)
	v_add_f64 v[5:6], v[18:19], v[5:6]
	v_fma_f64 v[11:12], s[42:43], s[38:39], v[11:12]
	s_delay_alu instid0(VALU_DEP_2) | instskip(NEXT) | instid1(VALU_DEP_1)
	v_add_f64 v[5:6], v[5:6], v[5:6]
	v_dual_cndmask_b32 v6, v6, v12 :: v_dual_cndmask_b32 v5, v5, v11
	v_cmp_neq_f64_e32 vcc_lo, -1.0, v[7:8]
	s_delay_alu instid0(VALU_DEP_2) | instskip(NEXT) | instid1(VALU_DEP_3)
	v_cndmask_b32_e32 v5, 0x54442d18, v5, vcc_lo
	v_cndmask_b32_e32 v6, 0x400921fb, v6, vcc_lo
	v_cmp_neq_f64_e32 vcc_lo, 1.0, v[7:8]
	s_delay_alu instid0(VALU_DEP_2)
	v_dual_cndmask_b32 v6, 0, v6 :: v_dual_cndmask_b32 v5, 0, v5
.LBB40_6:                               ;   in Loop: Header=BB40_4 Depth=1
	s_or_b32 exec_lo, exec_lo, s2
	v_fma_f64 v[15:16], |v[9:10]|, -0.5, 0.5
	v_mul_f64 v[7:8], v[9:10], v[9:10]
	v_cmp_ge_f64_e64 vcc_lo, |v[9:10]|, 0.5
	s_delay_alu instid0(VALU_DEP_2) | instskip(NEXT) | instid1(VALU_DEP_1)
	v_dual_cndmask_b32 v8, v8, v16 :: v_dual_cndmask_b32 v7, v7, v15
	v_fma_f64 v[11:12], v[7:8], s[14:15], s[8:9]
	s_delay_alu instid0(VALU_DEP_1) | instskip(NEXT) | instid1(VALU_DEP_1)
	v_fma_f64 v[11:12], v[7:8], v[11:12], s[16:17]
	v_fma_f64 v[11:12], v[7:8], v[11:12], s[18:19]
	s_delay_alu instid0(VALU_DEP_1) | instskip(NEXT) | instid1(VALU_DEP_1)
	v_fma_f64 v[11:12], v[7:8], v[11:12], s[20:21]
	;; [unrolled: 3-line block ×5, first 2 shown]
	v_fma_f64 v[11:12], v[7:8], v[11:12], s[36:37]
	s_delay_alu instid0(VALU_DEP_1) | instskip(NEXT) | instid1(VALU_DEP_1)
	v_mul_f64 v[11:12], v[7:8], v[11:12]
	v_fma_f64 v[7:8], v[9:10], v[11:12], v[9:10]
	s_delay_alu instid0(VALU_DEP_1)
	v_fma_f64 v[7:8], s[40:41], s[38:39], -v[7:8]
	s_and_saveexec_b32 s2, vcc_lo
	s_cbranch_execz .LBB40_8
; %bb.7:                                ;   in Loop: Header=BB40_4 Depth=1
	v_rsq_f64_e32 v[7:8], v[15:16]
	v_cmp_eq_f64_e32 vcc_lo, 0, v[15:16]
	s_waitcnt_depctr 0xfff
	v_mul_f64 v[18:19], v[15:16], v[7:8]
	v_mul_f64 v[7:8], v[7:8], 0.5
	s_delay_alu instid0(VALU_DEP_1) | instskip(NEXT) | instid1(VALU_DEP_1)
	v_fma_f64 v[20:21], -v[7:8], v[18:19], 0.5
	v_fma_f64 v[18:19], v[18:19], v[20:21], v[18:19]
	v_fma_f64 v[7:8], v[7:8], v[20:21], v[7:8]
	s_delay_alu instid0(VALU_DEP_2) | instskip(NEXT) | instid1(VALU_DEP_1)
	v_fma_f64 v[20:21], -v[18:19], v[18:19], v[15:16]
	v_fma_f64 v[7:8], v[20:21], v[7:8], v[18:19]
	s_delay_alu instid0(VALU_DEP_1) | instskip(NEXT) | instid1(VALU_DEP_1)
	v_dual_cndmask_b32 v8, v8, v16 :: v_dual_cndmask_b32 v7, v7, v15
	v_add_f64 v[18:19], v[7:8], v[7:8]
	v_mul_f64 v[20:21], v[7:8], v[7:8]
	s_delay_alu instid0(VALU_DEP_2) | instskip(NEXT) | instid1(VALU_DEP_1)
	v_rcp_f64_e32 v[22:23], v[18:19]
	v_add_f64 v[24:25], v[15:16], -v[20:21]
	v_fma_f64 v[28:29], v[7:8], v[7:8], -v[20:21]
	s_delay_alu instid0(VALU_DEP_2) | instskip(SKIP_3) | instid1(VALU_DEP_2)
	v_add_f64 v[15:16], v[15:16], -v[24:25]
	s_waitcnt_depctr 0xfff
	v_fma_f64 v[26:27], -v[18:19], v[22:23], 1.0
	v_add_f64 v[15:16], v[15:16], -v[20:21]
	v_fma_f64 v[20:21], v[26:27], v[22:23], v[22:23]
	s_delay_alu instid0(VALU_DEP_2) | instskip(NEXT) | instid1(VALU_DEP_2)
	v_add_f64 v[15:16], v[15:16], -v[28:29]
	v_fma_f64 v[22:23], -v[18:19], v[20:21], 1.0
	s_delay_alu instid0(VALU_DEP_2) | instskip(NEXT) | instid1(VALU_DEP_2)
	v_add_f64 v[15:16], v[24:25], v[15:16]
	v_fma_f64 v[20:21], v[22:23], v[20:21], v[20:21]
	s_delay_alu instid0(VALU_DEP_1) | instskip(NEXT) | instid1(VALU_DEP_1)
	v_mul_f64 v[22:23], v[15:16], v[20:21]
	v_fma_f64 v[15:16], -v[18:19], v[22:23], v[15:16]
	s_delay_alu instid0(VALU_DEP_1) | instskip(NEXT) | instid1(VALU_DEP_1)
	v_fma_f64 v[15:16], v[15:16], v[20:21], v[22:23]
	v_cndmask_b32_e64 v16, v16, 0, vcc_lo
	s_delay_alu instid0(VALU_DEP_2) | instskip(SKIP_1) | instid1(VALU_DEP_2)
	v_cndmask_b32_e64 v15, v15, 0, vcc_lo
	v_cmp_gt_f64_e32 vcc_lo, 0, v[9:10]
	v_add_f64 v[18:19], v[7:8], v[15:16]
	s_delay_alu instid0(VALU_DEP_1) | instskip(NEXT) | instid1(VALU_DEP_1)
	v_add_f64 v[7:8], v[18:19], -v[7:8]
	v_add_f64 v[7:8], v[15:16], -v[7:8]
	v_fma_f64 v[15:16], v[18:19], v[11:12], v[18:19]
	s_delay_alu instid0(VALU_DEP_2) | instskip(NEXT) | instid1(VALU_DEP_2)
	v_fma_f64 v[7:8], v[18:19], v[11:12], v[7:8]
	v_mul_f64 v[11:12], v[15:16], -2.0
	s_delay_alu instid0(VALU_DEP_2) | instskip(NEXT) | instid1(VALU_DEP_2)
	v_add_f64 v[7:8], v[18:19], v[7:8]
	v_fma_f64 v[11:12], s[42:43], s[38:39], v[11:12]
	s_delay_alu instid0(VALU_DEP_2) | instskip(NEXT) | instid1(VALU_DEP_1)
	v_add_f64 v[7:8], v[7:8], v[7:8]
	v_dual_cndmask_b32 v8, v8, v12 :: v_dual_cndmask_b32 v7, v7, v11
	v_cmp_neq_f64_e32 vcc_lo, -1.0, v[9:10]
	s_delay_alu instid0(VALU_DEP_2) | instskip(NEXT) | instid1(VALU_DEP_3)
	v_cndmask_b32_e32 v7, 0x54442d18, v7, vcc_lo
	v_cndmask_b32_e32 v8, 0x400921fb, v8, vcc_lo
	v_cmp_neq_f64_e32 vcc_lo, 1.0, v[9:10]
	s_delay_alu instid0(VALU_DEP_2)
	v_dual_cndmask_b32 v8, 0, v8 :: v_dual_cndmask_b32 v7, 0, v7
.LBB40_8:                               ;   in Loop: Header=BB40_4 Depth=1
	s_or_b32 exec_lo, exec_lo, s2
	s_waitcnt vmcnt(0)
	v_fma_f64 v[15:16], |v[1:2]|, -0.5, 0.5
	v_mul_f64 v[9:10], v[1:2], v[1:2]
	v_cmp_ge_f64_e64 vcc_lo, |v[1:2]|, 0.5
	s_delay_alu instid0(VALU_DEP_2) | instskip(NEXT) | instid1(VALU_DEP_1)
	v_dual_cndmask_b32 v10, v10, v16 :: v_dual_cndmask_b32 v9, v9, v15
	v_fma_f64 v[11:12], v[9:10], s[14:15], s[8:9]
	s_delay_alu instid0(VALU_DEP_1) | instskip(NEXT) | instid1(VALU_DEP_1)
	v_fma_f64 v[11:12], v[9:10], v[11:12], s[16:17]
	v_fma_f64 v[11:12], v[9:10], v[11:12], s[18:19]
	s_delay_alu instid0(VALU_DEP_1) | instskip(NEXT) | instid1(VALU_DEP_1)
	v_fma_f64 v[11:12], v[9:10], v[11:12], s[20:21]
	;; [unrolled: 3-line block ×5, first 2 shown]
	v_fma_f64 v[11:12], v[9:10], v[11:12], s[36:37]
	s_delay_alu instid0(VALU_DEP_1) | instskip(NEXT) | instid1(VALU_DEP_1)
	v_mul_f64 v[11:12], v[9:10], v[11:12]
	v_fma_f64 v[9:10], v[1:2], v[11:12], v[1:2]
	s_delay_alu instid0(VALU_DEP_1)
	v_fma_f64 v[9:10], s[40:41], s[38:39], -v[9:10]
	s_and_saveexec_b32 s2, vcc_lo
	s_cbranch_execz .LBB40_10
; %bb.9:                                ;   in Loop: Header=BB40_4 Depth=1
	v_rsq_f64_e32 v[9:10], v[15:16]
	v_cmp_eq_f64_e32 vcc_lo, 0, v[15:16]
	s_waitcnt_depctr 0xfff
	v_mul_f64 v[18:19], v[15:16], v[9:10]
	v_mul_f64 v[9:10], v[9:10], 0.5
	s_delay_alu instid0(VALU_DEP_1) | instskip(NEXT) | instid1(VALU_DEP_1)
	v_fma_f64 v[20:21], -v[9:10], v[18:19], 0.5
	v_fma_f64 v[18:19], v[18:19], v[20:21], v[18:19]
	v_fma_f64 v[9:10], v[9:10], v[20:21], v[9:10]
	s_delay_alu instid0(VALU_DEP_2) | instskip(NEXT) | instid1(VALU_DEP_1)
	v_fma_f64 v[20:21], -v[18:19], v[18:19], v[15:16]
	v_fma_f64 v[9:10], v[20:21], v[9:10], v[18:19]
	s_delay_alu instid0(VALU_DEP_1) | instskip(NEXT) | instid1(VALU_DEP_1)
	v_dual_cndmask_b32 v10, v10, v16 :: v_dual_cndmask_b32 v9, v9, v15
	v_add_f64 v[18:19], v[9:10], v[9:10]
	v_mul_f64 v[20:21], v[9:10], v[9:10]
	s_delay_alu instid0(VALU_DEP_2) | instskip(NEXT) | instid1(VALU_DEP_1)
	v_rcp_f64_e32 v[22:23], v[18:19]
	v_add_f64 v[24:25], v[15:16], -v[20:21]
	v_fma_f64 v[28:29], v[9:10], v[9:10], -v[20:21]
	s_delay_alu instid0(VALU_DEP_2) | instskip(SKIP_3) | instid1(VALU_DEP_2)
	v_add_f64 v[15:16], v[15:16], -v[24:25]
	s_waitcnt_depctr 0xfff
	v_fma_f64 v[26:27], -v[18:19], v[22:23], 1.0
	v_add_f64 v[15:16], v[15:16], -v[20:21]
	v_fma_f64 v[20:21], v[26:27], v[22:23], v[22:23]
	s_delay_alu instid0(VALU_DEP_2) | instskip(NEXT) | instid1(VALU_DEP_2)
	v_add_f64 v[15:16], v[15:16], -v[28:29]
	v_fma_f64 v[22:23], -v[18:19], v[20:21], 1.0
	s_delay_alu instid0(VALU_DEP_2) | instskip(NEXT) | instid1(VALU_DEP_2)
	v_add_f64 v[15:16], v[24:25], v[15:16]
	v_fma_f64 v[20:21], v[22:23], v[20:21], v[20:21]
	s_delay_alu instid0(VALU_DEP_1) | instskip(NEXT) | instid1(VALU_DEP_1)
	v_mul_f64 v[22:23], v[15:16], v[20:21]
	v_fma_f64 v[15:16], -v[18:19], v[22:23], v[15:16]
	s_delay_alu instid0(VALU_DEP_1) | instskip(NEXT) | instid1(VALU_DEP_1)
	v_fma_f64 v[15:16], v[15:16], v[20:21], v[22:23]
	v_cndmask_b32_e64 v16, v16, 0, vcc_lo
	s_delay_alu instid0(VALU_DEP_2) | instskip(SKIP_1) | instid1(VALU_DEP_2)
	v_cndmask_b32_e64 v15, v15, 0, vcc_lo
	v_cmp_gt_f64_e32 vcc_lo, 0, v[1:2]
	v_add_f64 v[18:19], v[9:10], v[15:16]
	s_delay_alu instid0(VALU_DEP_1) | instskip(NEXT) | instid1(VALU_DEP_1)
	v_add_f64 v[9:10], v[18:19], -v[9:10]
	v_add_f64 v[9:10], v[15:16], -v[9:10]
	v_fma_f64 v[15:16], v[18:19], v[11:12], v[18:19]
	s_delay_alu instid0(VALU_DEP_2) | instskip(NEXT) | instid1(VALU_DEP_2)
	v_fma_f64 v[9:10], v[18:19], v[11:12], v[9:10]
	v_mul_f64 v[11:12], v[15:16], -2.0
	s_delay_alu instid0(VALU_DEP_2) | instskip(NEXT) | instid1(VALU_DEP_2)
	v_add_f64 v[9:10], v[18:19], v[9:10]
	v_fma_f64 v[11:12], s[42:43], s[38:39], v[11:12]
	s_delay_alu instid0(VALU_DEP_2) | instskip(NEXT) | instid1(VALU_DEP_1)
	v_add_f64 v[9:10], v[9:10], v[9:10]
	v_dual_cndmask_b32 v10, v10, v12 :: v_dual_cndmask_b32 v9, v9, v11
	v_cmp_neq_f64_e32 vcc_lo, -1.0, v[1:2]
	s_delay_alu instid0(VALU_DEP_2) | instskip(NEXT) | instid1(VALU_DEP_3)
	v_cndmask_b32_e32 v9, 0x54442d18, v9, vcc_lo
	v_cndmask_b32_e32 v10, 0x400921fb, v10, vcc_lo
	v_cmp_neq_f64_e32 vcc_lo, 1.0, v[1:2]
	s_delay_alu instid0(VALU_DEP_2)
	v_dual_cndmask_b32 v10, 0, v10 :: v_dual_cndmask_b32 v9, 0, v9
.LBB40_10:                              ;   in Loop: Header=BB40_4 Depth=1
	s_or_b32 exec_lo, exec_lo, s2
	v_fma_f64 v[15:16], |v[3:4]|, -0.5, 0.5
	v_mul_f64 v[1:2], v[3:4], v[3:4]
	v_cmp_ge_f64_e64 vcc_lo, |v[3:4]|, 0.5
	s_delay_alu instid0(VALU_DEP_2) | instskip(NEXT) | instid1(VALU_DEP_1)
	v_dual_cndmask_b32 v2, v2, v16 :: v_dual_cndmask_b32 v1, v1, v15
	v_fma_f64 v[11:12], v[1:2], s[14:15], s[8:9]
	s_delay_alu instid0(VALU_DEP_1) | instskip(NEXT) | instid1(VALU_DEP_1)
	v_fma_f64 v[11:12], v[1:2], v[11:12], s[16:17]
	v_fma_f64 v[11:12], v[1:2], v[11:12], s[18:19]
	s_delay_alu instid0(VALU_DEP_1) | instskip(NEXT) | instid1(VALU_DEP_1)
	v_fma_f64 v[11:12], v[1:2], v[11:12], s[20:21]
	;; [unrolled: 3-line block ×5, first 2 shown]
	v_fma_f64 v[11:12], v[1:2], v[11:12], s[36:37]
	s_delay_alu instid0(VALU_DEP_1) | instskip(NEXT) | instid1(VALU_DEP_1)
	v_mul_f64 v[1:2], v[1:2], v[11:12]
	v_fma_f64 v[11:12], v[3:4], v[1:2], v[3:4]
	s_delay_alu instid0(VALU_DEP_1)
	v_fma_f64 v[11:12], s[40:41], s[38:39], -v[11:12]
	s_and_saveexec_b32 s2, vcc_lo
	s_cbranch_execz .LBB40_3
; %bb.11:                               ;   in Loop: Header=BB40_4 Depth=1
	v_rsq_f64_e32 v[11:12], v[15:16]
	v_cmp_eq_f64_e32 vcc_lo, 0, v[15:16]
	s_waitcnt_depctr 0xfff
	v_mul_f64 v[18:19], v[15:16], v[11:12]
	v_mul_f64 v[11:12], v[11:12], 0.5
	s_delay_alu instid0(VALU_DEP_1) | instskip(NEXT) | instid1(VALU_DEP_1)
	v_fma_f64 v[20:21], -v[11:12], v[18:19], 0.5
	v_fma_f64 v[18:19], v[18:19], v[20:21], v[18:19]
	v_fma_f64 v[11:12], v[11:12], v[20:21], v[11:12]
	s_delay_alu instid0(VALU_DEP_2) | instskip(NEXT) | instid1(VALU_DEP_1)
	v_fma_f64 v[20:21], -v[18:19], v[18:19], v[15:16]
	v_fma_f64 v[11:12], v[20:21], v[11:12], v[18:19]
	s_delay_alu instid0(VALU_DEP_1) | instskip(NEXT) | instid1(VALU_DEP_1)
	v_dual_cndmask_b32 v12, v12, v16 :: v_dual_cndmask_b32 v11, v11, v15
	v_add_f64 v[18:19], v[11:12], v[11:12]
	v_mul_f64 v[20:21], v[11:12], v[11:12]
	s_delay_alu instid0(VALU_DEP_2) | instskip(NEXT) | instid1(VALU_DEP_1)
	v_rcp_f64_e32 v[22:23], v[18:19]
	v_add_f64 v[24:25], v[15:16], -v[20:21]
	v_fma_f64 v[28:29], v[11:12], v[11:12], -v[20:21]
	s_delay_alu instid0(VALU_DEP_2) | instskip(SKIP_3) | instid1(VALU_DEP_2)
	v_add_f64 v[15:16], v[15:16], -v[24:25]
	s_waitcnt_depctr 0xfff
	v_fma_f64 v[26:27], -v[18:19], v[22:23], 1.0
	v_add_f64 v[15:16], v[15:16], -v[20:21]
	v_fma_f64 v[20:21], v[26:27], v[22:23], v[22:23]
	s_delay_alu instid0(VALU_DEP_2) | instskip(NEXT) | instid1(VALU_DEP_2)
	v_add_f64 v[15:16], v[15:16], -v[28:29]
	v_fma_f64 v[22:23], -v[18:19], v[20:21], 1.0
	s_delay_alu instid0(VALU_DEP_2) | instskip(NEXT) | instid1(VALU_DEP_2)
	v_add_f64 v[15:16], v[24:25], v[15:16]
	v_fma_f64 v[20:21], v[22:23], v[20:21], v[20:21]
	s_delay_alu instid0(VALU_DEP_1) | instskip(NEXT) | instid1(VALU_DEP_1)
	v_mul_f64 v[22:23], v[15:16], v[20:21]
	v_fma_f64 v[15:16], -v[18:19], v[22:23], v[15:16]
	s_delay_alu instid0(VALU_DEP_1) | instskip(NEXT) | instid1(VALU_DEP_1)
	v_fma_f64 v[15:16], v[15:16], v[20:21], v[22:23]
	v_cndmask_b32_e64 v16, v16, 0, vcc_lo
	s_delay_alu instid0(VALU_DEP_2) | instskip(SKIP_1) | instid1(VALU_DEP_2)
	v_cndmask_b32_e64 v15, v15, 0, vcc_lo
	v_cmp_gt_f64_e32 vcc_lo, 0, v[3:4]
	v_add_f64 v[18:19], v[11:12], v[15:16]
	s_delay_alu instid0(VALU_DEP_1) | instskip(NEXT) | instid1(VALU_DEP_1)
	v_add_f64 v[11:12], v[18:19], -v[11:12]
	v_add_f64 v[11:12], v[15:16], -v[11:12]
	v_fma_f64 v[15:16], v[18:19], v[1:2], v[18:19]
	s_delay_alu instid0(VALU_DEP_2) | instskip(NEXT) | instid1(VALU_DEP_2)
	v_fma_f64 v[1:2], v[18:19], v[1:2], v[11:12]
	v_mul_f64 v[11:12], v[15:16], -2.0
	s_delay_alu instid0(VALU_DEP_2) | instskip(NEXT) | instid1(VALU_DEP_2)
	v_add_f64 v[1:2], v[18:19], v[1:2]
	v_fma_f64 v[11:12], s[42:43], s[38:39], v[11:12]
	s_delay_alu instid0(VALU_DEP_2) | instskip(NEXT) | instid1(VALU_DEP_1)
	v_add_f64 v[1:2], v[1:2], v[1:2]
	v_dual_cndmask_b32 v2, v2, v12 :: v_dual_cndmask_b32 v1, v1, v11
	v_cmp_neq_f64_e32 vcc_lo, -1.0, v[3:4]
	s_delay_alu instid0(VALU_DEP_2) | instskip(NEXT) | instid1(VALU_DEP_3)
	v_cndmask_b32_e32 v1, 0x54442d18, v1, vcc_lo
	v_cndmask_b32_e32 v2, 0x400921fb, v2, vcc_lo
	v_cmp_neq_f64_e32 vcc_lo, 1.0, v[3:4]
	s_delay_alu instid0(VALU_DEP_2)
	v_dual_cndmask_b32 v12, 0, v2 :: v_dual_cndmask_b32 v11, 0, v1
	s_branch .LBB40_3
.LBB40_12:
	s_or_b32 exec_lo, exec_lo, s46
	s_mov_b32 s2, 0
.LBB40_13:
	s_delay_alu instid0(SALU_CYCLE_1)
	s_and_not1_b32 vcc_lo, exec_lo, s2
	s_cbranch_vccnz .LBB40_41
; %bb.14:
	v_cmp_lt_i64_e64 s2, s[6:7], 1
	s_delay_alu instid0(VALU_DEP_1)
	s_and_b32 vcc_lo, exec_lo, s2
	s_cbranch_vccnz .LBB40_41
; %bb.15:
	s_load_b32 s0, s[0:1], 0xc5c
	v_dual_mov_b32 v2, 0 :: v_dual_lshlrev_b32 v1, 3, v0
	v_cmp_gt_u64_e64 s1, 0x10000, s[6:7]
	s_mov_b32 s14, 0x9fea6a70
	s_mov_b32 s16, 0x37024d6a
	s_delay_alu instid0(VALU_DEP_2) | instskip(NEXT) | instid1(VALU_DEP_1)
	v_add_co_u32 v15, s2, s12, v1
	v_add_co_ci_u32_e64 v16, null, s13, 0, s2
	v_add_co_u32 v17, s2, s10, v1
	s_delay_alu instid0(VALU_DEP_1)
	v_add_co_ci_u32_e64 v18, null, s11, 0, s2
	s_mov_b32 s18, 0x98a70509
	s_mov_b32 s20, 0xa300c8d2
	;; [unrolled: 1-line block ×6, first 2 shown]
	s_waitcnt lgkmcnt(0)
	s_and_b32 s0, s0, 0xffff
	s_and_b32 s1, s1, exec_lo
	v_mad_u64_u32 v[3:4], null, s0, 24, v[1:2]
	s_cselect_b32 s9, s7, 0
	s_cselect_b32 s8, s6, 0x10000
	s_lshl_b32 s3, s0, 4
	s_mul_i32 s2, s0, 3
	v_add_co_u32 v1, s3, s3, v1
	s_delay_alu instid0(VALU_DEP_2) | instskip(NEXT) | instid1(VALU_DEP_3)
	v_add_co_u32 v19, vcc_lo, s12, v3
	v_add_co_ci_u32_e32 v20, vcc_lo, s13, v4, vcc_lo
	v_add_co_u32 v23, s2, s2, v0
	v_add_co_u32 v21, vcc_lo, s10, v3
	v_add_co_ci_u32_e64 v2, null, 0, 0, s3
	v_add_co_ci_u32_e64 v24, null, 0, 0, s2
	v_add_co_u32 v27, s2, v0, s0
	v_add_co_ci_u32_e32 v22, vcc_lo, s11, v4, vcc_lo
	v_add_co_u32 v25, vcc_lo, s12, v1
	v_add_co_ci_u32_e32 v26, vcc_lo, s13, v2, vcc_lo
	v_add_co_u32 v28, vcc_lo, s10, v1
	v_lshlrev_b32_e32 v1, 3, v27
	s_lshl_b32 s1, s0, 1
	v_add_co_ci_u32_e32 v29, vcc_lo, s11, v2, vcc_lo
	v_add_co_u32 v31, s1, s1, v0
	s_delay_alu instid0(VALU_DEP_1) | instskip(SKIP_1) | instid1(VALU_DEP_1)
	v_add_co_ci_u32_e64 v32, null, 0, 0, s1
	v_add_co_u32 v33, s1, s12, v1
	v_add_co_ci_u32_e64 v34, null, s13, 0, s1
	v_add_co_u32 v35, s1, s10, v1
	v_add_co_ci_u32_e64 v30, null, 0, 0, s2
	v_add_co_ci_u32_e64 v36, null, s11, 0, s1
	s_mov_b32 s12, 0x78a05eaf
	s_mov_b32 s30, 0xb41ce4bd
	;; [unrolled: 1-line block ×6, first 2 shown]
	s_lshl_b32 s33, s0, 2
	s_mov_b32 s13, 0xbf90a5a3
	s_mov_b32 s15, 0x3fa05985
	;; [unrolled: 1-line block ×14, first 2 shown]
	s_lshl_b32 s44, s0, 5
	s_mov_b64 s[10:11], 0
	s_mov_b32 s43, 0x3ffdd9ad
	s_branch .LBB40_17
.LBB40_16:                              ;   in Loop: Header=BB40_17 Depth=1
	s_or_b32 exec_lo, exec_lo, s0
	v_add_co_u32 v15, vcc_lo, v15, s44
	v_add_co_ci_u32_e32 v16, vcc_lo, 0, v16, vcc_lo
	v_add_co_u32 v17, vcc_lo, v17, s44
	v_add_co_ci_u32_e32 v18, vcc_lo, 0, v18, vcc_lo
	;; [unrolled: 2-line block ×5, first 2 shown]
	s_add_u32 s10, s10, s33
	v_add_co_u32 v28, vcc_lo, v28, s44
	s_addc_u32 s11, s11, 0
	v_add_co_ci_u32_e32 v29, vcc_lo, 0, v29, vcc_lo
	v_cmp_ge_i64_e64 s0, s[10:11], s[6:7]
	v_cmp_lt_u64_e64 s1, 0xffff, s[10:11]
	v_add_co_u32 v33, vcc_lo, v33, s44
	v_add_co_ci_u32_e32 v34, vcc_lo, 0, v34, vcc_lo
	v_add_co_u32 v35, vcc_lo, v35, s44
	v_add_co_ci_u32_e32 v36, vcc_lo, 0, v36, vcc_lo
	s_or_b32 s0, s0, s1
	s_delay_alu instid0(SALU_CYCLE_1)
	s_and_b32 vcc_lo, exec_lo, s0
	s_cbranch_vccnz .LBB40_41
.LBB40_17:                              ; =>This Inner Loop Header: Depth=1
	v_add_co_u32 v1, s0, v0, s10
	s_delay_alu instid0(VALU_DEP_1) | instskip(SKIP_2) | instid1(VALU_DEP_3)
	v_add_co_ci_u32_e64 v2, null, 0, s11, s0
	v_mov_b32_e32 v7, 0
	v_mov_b32_e32 v8, 0
	v_cmp_gt_u64_e32 vcc_lo, s[8:9], v[1:2]
	s_delay_alu instid0(VALU_DEP_2)
	v_dual_mov_b32 v10, v8 :: v_dual_mov_b32 v9, v7
	s_and_saveexec_b32 s1, vcc_lo
	s_cbranch_execz .LBB40_19
; %bb.18:                               ;   in Loop: Header=BB40_17 Depth=1
	v_add_co_u32 v1, s0, v15, s4
	s_delay_alu instid0(VALU_DEP_1)
	v_add_co_ci_u32_e64 v2, s0, s5, v16, s0
	global_load_b64 v[9:10], v[1:2], off
.LBB40_19:                              ;   in Loop: Header=BB40_17 Depth=1
	s_or_b32 exec_lo, exec_lo, s1
	v_add_co_u32 v1, s0, v27, s10
	s_delay_alu instid0(VALU_DEP_1) | instskip(NEXT) | instid1(VALU_DEP_1)
	v_add_co_ci_u32_e64 v2, s0, s11, v30, s0
	v_cmp_gt_u64_e64 s0, s[8:9], v[1:2]
	s_delay_alu instid0(VALU_DEP_1)
	s_and_saveexec_b32 s2, s0
	s_cbranch_execz .LBB40_21
; %bb.20:                               ;   in Loop: Header=BB40_17 Depth=1
	v_add_co_u32 v1, s1, v33, s4
	s_delay_alu instid0(VALU_DEP_1)
	v_add_co_ci_u32_e64 v2, s1, s5, v34, s1
	global_load_b64 v[7:8], v[1:2], off
.LBB40_21:                              ;   in Loop: Header=BB40_17 Depth=1
	s_or_b32 exec_lo, exec_lo, s2
	v_add_co_u32 v3, s1, v31, s10
	s_delay_alu instid0(VALU_DEP_1) | instskip(SKIP_2) | instid1(VALU_DEP_3)
	v_add_co_ci_u32_e64 v4, s1, s11, v32, s1
	v_mov_b32_e32 v1, 0
	v_mov_b32_e32 v2, 0
	v_cmp_gt_u64_e64 s1, s[8:9], v[3:4]
	s_delay_alu instid0(VALU_DEP_2) | instskip(NEXT) | instid1(VALU_DEP_2)
	v_dual_mov_b32 v6, v2 :: v_dual_mov_b32 v5, v1
	s_and_saveexec_b32 s3, s1
	s_cbranch_execz .LBB40_23
; %bb.22:                               ;   in Loop: Header=BB40_17 Depth=1
	v_add_co_u32 v3, s2, v25, s4
	s_delay_alu instid0(VALU_DEP_1)
	v_add_co_ci_u32_e64 v4, s2, s5, v26, s2
	global_load_b64 v[5:6], v[3:4], off
.LBB40_23:                              ;   in Loop: Header=BB40_17 Depth=1
	s_or_b32 exec_lo, exec_lo, s3
	v_add_co_u32 v3, s2, v23, s10
	s_delay_alu instid0(VALU_DEP_1) | instskip(NEXT) | instid1(VALU_DEP_1)
	v_add_co_ci_u32_e64 v4, s2, s11, v24, s2
	v_cmp_gt_u64_e64 s2, s[8:9], v[3:4]
	s_delay_alu instid0(VALU_DEP_1)
	s_and_saveexec_b32 s42, s2
	s_cbranch_execz .LBB40_25
; %bb.24:                               ;   in Loop: Header=BB40_17 Depth=1
	v_add_co_u32 v1, s3, v19, s4
	s_delay_alu instid0(VALU_DEP_1)
	v_add_co_ci_u32_e64 v2, s3, s5, v20, s3
	global_load_b64 v[1:2], v[1:2], off
.LBB40_25:                              ;   in Loop: Header=BB40_17 Depth=1
	s_or_b32 exec_lo, exec_lo, s42
	s_waitcnt vmcnt(0)
	v_fma_f64 v[13:14], |v[9:10]|, -0.5, 0.5
	v_mul_f64 v[3:4], v[9:10], v[9:10]
	v_cmp_ge_f64_e64 s3, |v[9:10]|, 0.5
	s_delay_alu instid0(VALU_DEP_1) | instskip(NEXT) | instid1(VALU_DEP_3)
	v_cndmask_b32_e64 v4, v4, v14, s3
	v_cndmask_b32_e64 v3, v3, v13, s3
	s_delay_alu instid0(VALU_DEP_1) | instskip(NEXT) | instid1(VALU_DEP_1)
	v_fma_f64 v[11:12], v[3:4], s[14:15], s[12:13]
	v_fma_f64 v[11:12], v[3:4], v[11:12], s[16:17]
	s_delay_alu instid0(VALU_DEP_1) | instskip(NEXT) | instid1(VALU_DEP_1)
	v_fma_f64 v[11:12], v[3:4], v[11:12], s[18:19]
	v_fma_f64 v[11:12], v[3:4], v[11:12], s[20:21]
	;; [unrolled: 3-line block ×5, first 2 shown]
	s_delay_alu instid0(VALU_DEP_1) | instskip(NEXT) | instid1(VALU_DEP_1)
	v_fma_f64 v[11:12], v[3:4], v[11:12], s[36:37]
	v_mul_f64 v[11:12], v[3:4], v[11:12]
	s_delay_alu instid0(VALU_DEP_1) | instskip(NEXT) | instid1(VALU_DEP_1)
	v_fma_f64 v[3:4], v[9:10], v[11:12], v[9:10]
	v_fma_f64 v[3:4], s[40:41], s[38:39], -v[3:4]
	s_and_saveexec_b32 s45, s3
	s_cbranch_execz .LBB40_27
; %bb.26:                               ;   in Loop: Header=BB40_17 Depth=1
	v_rsq_f64_e32 v[3:4], v[13:14]
	v_cmp_eq_f64_e64 s3, 0, v[13:14]
	s_mov_b32 s42, s40
	s_waitcnt_depctr 0xfff
	v_mul_f64 v[37:38], v[13:14], v[3:4]
	v_mul_f64 v[3:4], v[3:4], 0.5
	s_delay_alu instid0(VALU_DEP_1) | instskip(NEXT) | instid1(VALU_DEP_1)
	v_fma_f64 v[39:40], -v[3:4], v[37:38], 0.5
	v_fma_f64 v[37:38], v[37:38], v[39:40], v[37:38]
	v_fma_f64 v[3:4], v[3:4], v[39:40], v[3:4]
	s_delay_alu instid0(VALU_DEP_2) | instskip(NEXT) | instid1(VALU_DEP_1)
	v_fma_f64 v[39:40], -v[37:38], v[37:38], v[13:14]
	v_fma_f64 v[3:4], v[39:40], v[3:4], v[37:38]
	s_delay_alu instid0(VALU_DEP_1) | instskip(NEXT) | instid1(VALU_DEP_2)
	v_cndmask_b32_e64 v4, v4, v14, s3
	v_cndmask_b32_e64 v3, v3, v13, s3
	s_delay_alu instid0(VALU_DEP_1) | instskip(SKIP_1) | instid1(VALU_DEP_2)
	v_add_f64 v[37:38], v[3:4], v[3:4]
	v_mul_f64 v[39:40], v[3:4], v[3:4]
	v_rcp_f64_e32 v[41:42], v[37:38]
	s_delay_alu instid0(VALU_DEP_1) | instskip(SKIP_1) | instid1(VALU_DEP_2)
	v_add_f64 v[43:44], v[13:14], -v[39:40]
	v_fma_f64 v[47:48], v[3:4], v[3:4], -v[39:40]
	v_add_f64 v[13:14], v[13:14], -v[43:44]
	s_waitcnt_depctr 0xfff
	v_fma_f64 v[45:46], -v[37:38], v[41:42], 1.0
	v_add_f64 v[13:14], v[13:14], -v[39:40]
	s_delay_alu instid0(VALU_DEP_2) | instskip(NEXT) | instid1(VALU_DEP_2)
	v_fma_f64 v[39:40], v[45:46], v[41:42], v[41:42]
	v_add_f64 v[13:14], v[13:14], -v[47:48]
	s_delay_alu instid0(VALU_DEP_2) | instskip(NEXT) | instid1(VALU_DEP_2)
	v_fma_f64 v[41:42], -v[37:38], v[39:40], 1.0
	v_add_f64 v[13:14], v[43:44], v[13:14]
	s_delay_alu instid0(VALU_DEP_2) | instskip(NEXT) | instid1(VALU_DEP_1)
	v_fma_f64 v[39:40], v[41:42], v[39:40], v[39:40]
	v_mul_f64 v[41:42], v[13:14], v[39:40]
	s_delay_alu instid0(VALU_DEP_1) | instskip(NEXT) | instid1(VALU_DEP_1)
	v_fma_f64 v[13:14], -v[37:38], v[41:42], v[13:14]
	v_fma_f64 v[13:14], v[13:14], v[39:40], v[41:42]
	s_delay_alu instid0(VALU_DEP_1) | instskip(NEXT) | instid1(VALU_DEP_2)
	v_cndmask_b32_e64 v14, v14, 0, s3
	v_cndmask_b32_e64 v13, v13, 0, s3
	v_cmp_gt_f64_e64 s3, 0, v[9:10]
	s_delay_alu instid0(VALU_DEP_2) | instskip(NEXT) | instid1(VALU_DEP_1)
	v_add_f64 v[37:38], v[3:4], v[13:14]
	v_add_f64 v[3:4], v[37:38], -v[3:4]
	s_delay_alu instid0(VALU_DEP_1) | instskip(SKIP_1) | instid1(VALU_DEP_2)
	v_add_f64 v[3:4], v[13:14], -v[3:4]
	v_fma_f64 v[13:14], v[37:38], v[11:12], v[37:38]
	v_fma_f64 v[3:4], v[37:38], v[11:12], v[3:4]
	s_delay_alu instid0(VALU_DEP_2) | instskip(NEXT) | instid1(VALU_DEP_2)
	v_mul_f64 v[11:12], v[13:14], -2.0
	v_add_f64 v[3:4], v[37:38], v[3:4]
	s_delay_alu instid0(VALU_DEP_2) | instskip(NEXT) | instid1(VALU_DEP_2)
	v_fma_f64 v[11:12], s[42:43], s[38:39], v[11:12]
	v_add_f64 v[3:4], v[3:4], v[3:4]
	s_delay_alu instid0(VALU_DEP_1) | instskip(NEXT) | instid1(VALU_DEP_2)
	v_cndmask_b32_e64 v4, v4, v12, s3
	v_cndmask_b32_e64 v3, v3, v11, s3
	v_cmp_neq_f64_e64 s3, -1.0, v[9:10]
	s_delay_alu instid0(VALU_DEP_1) | instskip(NEXT) | instid1(VALU_DEP_4)
	v_cndmask_b32_e64 v3, 0x54442d18, v3, s3
	v_cndmask_b32_e64 v4, 0x400921fb, v4, s3
	v_cmp_neq_f64_e64 s3, 1.0, v[9:10]
	s_delay_alu instid0(VALU_DEP_1) | instskip(NEXT) | instid1(VALU_DEP_4)
	v_cndmask_b32_e64 v4, 0, v4, s3
	v_cndmask_b32_e64 v3, 0, v3, s3
.LBB40_27:                              ;   in Loop: Header=BB40_17 Depth=1
	s_or_b32 exec_lo, exec_lo, s45
	v_fma_f64 v[11:12], |v[7:8]|, -0.5, 0.5
	v_mul_f64 v[9:10], v[7:8], v[7:8]
	v_cmp_ge_f64_e64 s3, |v[7:8]|, 0.5
	s_delay_alu instid0(VALU_DEP_1) | instskip(NEXT) | instid1(VALU_DEP_3)
	v_cndmask_b32_e64 v10, v10, v12, s3
	v_cndmask_b32_e64 v9, v9, v11, s3
	s_delay_alu instid0(VALU_DEP_1) | instskip(NEXT) | instid1(VALU_DEP_1)
	v_fma_f64 v[13:14], v[9:10], s[14:15], s[12:13]
	v_fma_f64 v[13:14], v[9:10], v[13:14], s[16:17]
	s_delay_alu instid0(VALU_DEP_1) | instskip(NEXT) | instid1(VALU_DEP_1)
	v_fma_f64 v[13:14], v[9:10], v[13:14], s[18:19]
	v_fma_f64 v[13:14], v[9:10], v[13:14], s[20:21]
	;; [unrolled: 3-line block ×5, first 2 shown]
	s_delay_alu instid0(VALU_DEP_1) | instskip(NEXT) | instid1(VALU_DEP_1)
	v_fma_f64 v[13:14], v[9:10], v[13:14], s[36:37]
	v_mul_f64 v[13:14], v[9:10], v[13:14]
	s_delay_alu instid0(VALU_DEP_1) | instskip(NEXT) | instid1(VALU_DEP_1)
	v_fma_f64 v[9:10], v[7:8], v[13:14], v[7:8]
	v_fma_f64 v[9:10], s[40:41], s[38:39], -v[9:10]
	s_and_saveexec_b32 s45, s3
	s_cbranch_execz .LBB40_29
; %bb.28:                               ;   in Loop: Header=BB40_17 Depth=1
	v_rsq_f64_e32 v[9:10], v[11:12]
	v_cmp_eq_f64_e64 s3, 0, v[11:12]
	s_mov_b32 s42, s40
	s_waitcnt_depctr 0xfff
	v_mul_f64 v[37:38], v[11:12], v[9:10]
	v_mul_f64 v[9:10], v[9:10], 0.5
	s_delay_alu instid0(VALU_DEP_1) | instskip(NEXT) | instid1(VALU_DEP_1)
	v_fma_f64 v[39:40], -v[9:10], v[37:38], 0.5
	v_fma_f64 v[37:38], v[37:38], v[39:40], v[37:38]
	v_fma_f64 v[9:10], v[9:10], v[39:40], v[9:10]
	s_delay_alu instid0(VALU_DEP_2) | instskip(NEXT) | instid1(VALU_DEP_1)
	v_fma_f64 v[39:40], -v[37:38], v[37:38], v[11:12]
	v_fma_f64 v[9:10], v[39:40], v[9:10], v[37:38]
	s_delay_alu instid0(VALU_DEP_1) | instskip(NEXT) | instid1(VALU_DEP_2)
	v_cndmask_b32_e64 v10, v10, v12, s3
	v_cndmask_b32_e64 v9, v9, v11, s3
	s_delay_alu instid0(VALU_DEP_1) | instskip(SKIP_1) | instid1(VALU_DEP_2)
	v_add_f64 v[37:38], v[9:10], v[9:10]
	v_mul_f64 v[39:40], v[9:10], v[9:10]
	v_rcp_f64_e32 v[41:42], v[37:38]
	s_delay_alu instid0(VALU_DEP_1) | instskip(SKIP_1) | instid1(VALU_DEP_2)
	v_add_f64 v[43:44], v[11:12], -v[39:40]
	v_fma_f64 v[47:48], v[9:10], v[9:10], -v[39:40]
	v_add_f64 v[11:12], v[11:12], -v[43:44]
	s_waitcnt_depctr 0xfff
	v_fma_f64 v[45:46], -v[37:38], v[41:42], 1.0
	v_add_f64 v[11:12], v[11:12], -v[39:40]
	s_delay_alu instid0(VALU_DEP_2) | instskip(NEXT) | instid1(VALU_DEP_2)
	v_fma_f64 v[39:40], v[45:46], v[41:42], v[41:42]
	v_add_f64 v[11:12], v[11:12], -v[47:48]
	s_delay_alu instid0(VALU_DEP_2) | instskip(NEXT) | instid1(VALU_DEP_2)
	v_fma_f64 v[41:42], -v[37:38], v[39:40], 1.0
	v_add_f64 v[11:12], v[43:44], v[11:12]
	s_delay_alu instid0(VALU_DEP_2) | instskip(NEXT) | instid1(VALU_DEP_1)
	v_fma_f64 v[39:40], v[41:42], v[39:40], v[39:40]
	v_mul_f64 v[41:42], v[11:12], v[39:40]
	s_delay_alu instid0(VALU_DEP_1) | instskip(NEXT) | instid1(VALU_DEP_1)
	v_fma_f64 v[11:12], -v[37:38], v[41:42], v[11:12]
	v_fma_f64 v[11:12], v[11:12], v[39:40], v[41:42]
	s_delay_alu instid0(VALU_DEP_1) | instskip(NEXT) | instid1(VALU_DEP_2)
	v_cndmask_b32_e64 v12, v12, 0, s3
	v_cndmask_b32_e64 v11, v11, 0, s3
	v_cmp_gt_f64_e64 s3, 0, v[7:8]
	s_delay_alu instid0(VALU_DEP_2) | instskip(NEXT) | instid1(VALU_DEP_1)
	v_add_f64 v[37:38], v[9:10], v[11:12]
	v_add_f64 v[9:10], v[37:38], -v[9:10]
	s_delay_alu instid0(VALU_DEP_1) | instskip(SKIP_1) | instid1(VALU_DEP_2)
	v_add_f64 v[9:10], v[11:12], -v[9:10]
	v_fma_f64 v[11:12], v[37:38], v[13:14], v[37:38]
	v_fma_f64 v[9:10], v[37:38], v[13:14], v[9:10]
	s_delay_alu instid0(VALU_DEP_2) | instskip(NEXT) | instid1(VALU_DEP_2)
	v_mul_f64 v[11:12], v[11:12], -2.0
	v_add_f64 v[9:10], v[37:38], v[9:10]
	s_delay_alu instid0(VALU_DEP_2) | instskip(NEXT) | instid1(VALU_DEP_2)
	v_fma_f64 v[11:12], s[42:43], s[38:39], v[11:12]
	v_add_f64 v[9:10], v[9:10], v[9:10]
	s_delay_alu instid0(VALU_DEP_1) | instskip(NEXT) | instid1(VALU_DEP_2)
	v_cndmask_b32_e64 v10, v10, v12, s3
	v_cndmask_b32_e64 v9, v9, v11, s3
	v_cmp_neq_f64_e64 s3, -1.0, v[7:8]
	s_delay_alu instid0(VALU_DEP_1) | instskip(NEXT) | instid1(VALU_DEP_4)
	v_cndmask_b32_e64 v9, 0x54442d18, v9, s3
	v_cndmask_b32_e64 v10, 0x400921fb, v10, s3
	v_cmp_neq_f64_e64 s3, 1.0, v[7:8]
	s_delay_alu instid0(VALU_DEP_1) | instskip(NEXT) | instid1(VALU_DEP_4)
	v_cndmask_b32_e64 v10, 0, v10, s3
	v_cndmask_b32_e64 v9, 0, v9, s3
.LBB40_29:                              ;   in Loop: Header=BB40_17 Depth=1
	s_or_b32 exec_lo, exec_lo, s45
	v_fma_f64 v[13:14], |v[5:6]|, -0.5, 0.5
	v_mul_f64 v[7:8], v[5:6], v[5:6]
	v_cmp_ge_f64_e64 s3, |v[5:6]|, 0.5
	s_delay_alu instid0(VALU_DEP_1) | instskip(NEXT) | instid1(VALU_DEP_3)
	v_cndmask_b32_e64 v8, v8, v14, s3
	v_cndmask_b32_e64 v7, v7, v13, s3
	s_delay_alu instid0(VALU_DEP_1) | instskip(NEXT) | instid1(VALU_DEP_1)
	v_fma_f64 v[11:12], v[7:8], s[14:15], s[12:13]
	v_fma_f64 v[11:12], v[7:8], v[11:12], s[16:17]
	s_delay_alu instid0(VALU_DEP_1) | instskip(NEXT) | instid1(VALU_DEP_1)
	v_fma_f64 v[11:12], v[7:8], v[11:12], s[18:19]
	v_fma_f64 v[11:12], v[7:8], v[11:12], s[20:21]
	s_delay_alu instid0(VALU_DEP_1) | instskip(NEXT) | instid1(VALU_DEP_1)
	v_fma_f64 v[11:12], v[7:8], v[11:12], s[22:23]
	v_fma_f64 v[11:12], v[7:8], v[11:12], s[24:25]
	s_delay_alu instid0(VALU_DEP_1) | instskip(NEXT) | instid1(VALU_DEP_1)
	v_fma_f64 v[11:12], v[7:8], v[11:12], s[26:27]
	v_fma_f64 v[11:12], v[7:8], v[11:12], s[28:29]
	s_delay_alu instid0(VALU_DEP_1) | instskip(NEXT) | instid1(VALU_DEP_1)
	v_fma_f64 v[11:12], v[7:8], v[11:12], s[30:31]
	v_fma_f64 v[11:12], v[7:8], v[11:12], s[34:35]
	s_delay_alu instid0(VALU_DEP_1) | instskip(NEXT) | instid1(VALU_DEP_1)
	v_fma_f64 v[11:12], v[7:8], v[11:12], s[36:37]
	v_mul_f64 v[11:12], v[7:8], v[11:12]
	s_delay_alu instid0(VALU_DEP_1) | instskip(NEXT) | instid1(VALU_DEP_1)
	v_fma_f64 v[7:8], v[5:6], v[11:12], v[5:6]
	v_fma_f64 v[7:8], s[40:41], s[38:39], -v[7:8]
	s_and_saveexec_b32 s45, s3
	s_cbranch_execz .LBB40_31
; %bb.30:                               ;   in Loop: Header=BB40_17 Depth=1
	v_rsq_f64_e32 v[7:8], v[13:14]
	v_cmp_eq_f64_e64 s3, 0, v[13:14]
	s_mov_b32 s42, s40
	s_waitcnt_depctr 0xfff
	v_mul_f64 v[37:38], v[13:14], v[7:8]
	v_mul_f64 v[7:8], v[7:8], 0.5
	s_delay_alu instid0(VALU_DEP_1) | instskip(NEXT) | instid1(VALU_DEP_1)
	v_fma_f64 v[39:40], -v[7:8], v[37:38], 0.5
	v_fma_f64 v[37:38], v[37:38], v[39:40], v[37:38]
	v_fma_f64 v[7:8], v[7:8], v[39:40], v[7:8]
	s_delay_alu instid0(VALU_DEP_2) | instskip(NEXT) | instid1(VALU_DEP_1)
	v_fma_f64 v[39:40], -v[37:38], v[37:38], v[13:14]
	v_fma_f64 v[7:8], v[39:40], v[7:8], v[37:38]
	s_delay_alu instid0(VALU_DEP_1) | instskip(NEXT) | instid1(VALU_DEP_2)
	v_cndmask_b32_e64 v8, v8, v14, s3
	v_cndmask_b32_e64 v7, v7, v13, s3
	s_delay_alu instid0(VALU_DEP_1) | instskip(SKIP_1) | instid1(VALU_DEP_2)
	v_add_f64 v[37:38], v[7:8], v[7:8]
	v_mul_f64 v[39:40], v[7:8], v[7:8]
	v_rcp_f64_e32 v[41:42], v[37:38]
	s_delay_alu instid0(VALU_DEP_1) | instskip(SKIP_1) | instid1(VALU_DEP_2)
	v_add_f64 v[43:44], v[13:14], -v[39:40]
	v_fma_f64 v[47:48], v[7:8], v[7:8], -v[39:40]
	v_add_f64 v[13:14], v[13:14], -v[43:44]
	s_waitcnt_depctr 0xfff
	v_fma_f64 v[45:46], -v[37:38], v[41:42], 1.0
	v_add_f64 v[13:14], v[13:14], -v[39:40]
	s_delay_alu instid0(VALU_DEP_2) | instskip(NEXT) | instid1(VALU_DEP_2)
	v_fma_f64 v[39:40], v[45:46], v[41:42], v[41:42]
	v_add_f64 v[13:14], v[13:14], -v[47:48]
	s_delay_alu instid0(VALU_DEP_2) | instskip(NEXT) | instid1(VALU_DEP_2)
	v_fma_f64 v[41:42], -v[37:38], v[39:40], 1.0
	v_add_f64 v[13:14], v[43:44], v[13:14]
	s_delay_alu instid0(VALU_DEP_2) | instskip(NEXT) | instid1(VALU_DEP_1)
	v_fma_f64 v[39:40], v[41:42], v[39:40], v[39:40]
	v_mul_f64 v[41:42], v[13:14], v[39:40]
	s_delay_alu instid0(VALU_DEP_1) | instskip(NEXT) | instid1(VALU_DEP_1)
	v_fma_f64 v[13:14], -v[37:38], v[41:42], v[13:14]
	v_fma_f64 v[13:14], v[13:14], v[39:40], v[41:42]
	s_delay_alu instid0(VALU_DEP_1) | instskip(NEXT) | instid1(VALU_DEP_2)
	v_cndmask_b32_e64 v14, v14, 0, s3
	v_cndmask_b32_e64 v13, v13, 0, s3
	v_cmp_gt_f64_e64 s3, 0, v[5:6]
	s_delay_alu instid0(VALU_DEP_2) | instskip(NEXT) | instid1(VALU_DEP_1)
	v_add_f64 v[37:38], v[7:8], v[13:14]
	v_add_f64 v[7:8], v[37:38], -v[7:8]
	s_delay_alu instid0(VALU_DEP_1) | instskip(SKIP_1) | instid1(VALU_DEP_2)
	v_add_f64 v[7:8], v[13:14], -v[7:8]
	v_fma_f64 v[13:14], v[37:38], v[11:12], v[37:38]
	v_fma_f64 v[7:8], v[37:38], v[11:12], v[7:8]
	s_delay_alu instid0(VALU_DEP_2) | instskip(NEXT) | instid1(VALU_DEP_2)
	v_mul_f64 v[11:12], v[13:14], -2.0
	v_add_f64 v[7:8], v[37:38], v[7:8]
	s_delay_alu instid0(VALU_DEP_2) | instskip(NEXT) | instid1(VALU_DEP_2)
	v_fma_f64 v[11:12], s[42:43], s[38:39], v[11:12]
	v_add_f64 v[7:8], v[7:8], v[7:8]
	s_delay_alu instid0(VALU_DEP_1) | instskip(NEXT) | instid1(VALU_DEP_2)
	v_cndmask_b32_e64 v8, v8, v12, s3
	v_cndmask_b32_e64 v7, v7, v11, s3
	v_cmp_neq_f64_e64 s3, -1.0, v[5:6]
	s_delay_alu instid0(VALU_DEP_1) | instskip(NEXT) | instid1(VALU_DEP_4)
	v_cndmask_b32_e64 v7, 0x54442d18, v7, s3
	v_cndmask_b32_e64 v8, 0x400921fb, v8, s3
	v_cmp_neq_f64_e64 s3, 1.0, v[5:6]
	s_delay_alu instid0(VALU_DEP_1) | instskip(NEXT) | instid1(VALU_DEP_4)
	v_cndmask_b32_e64 v8, 0, v8, s3
	v_cndmask_b32_e64 v7, 0, v7, s3
.LBB40_31:                              ;   in Loop: Header=BB40_17 Depth=1
	s_or_b32 exec_lo, exec_lo, s45
	v_fma_f64 v[5:6], |v[1:2]|, -0.5, 0.5
	v_mul_f64 v[11:12], v[1:2], v[1:2]
	v_cmp_ge_f64_e64 s3, |v[1:2]|, 0.5
	s_delay_alu instid0(VALU_DEP_1) | instskip(NEXT) | instid1(VALU_DEP_3)
	v_cndmask_b32_e64 v12, v12, v6, s3
	v_cndmask_b32_e64 v11, v11, v5, s3
	s_delay_alu instid0(VALU_DEP_1) | instskip(NEXT) | instid1(VALU_DEP_1)
	v_fma_f64 v[13:14], v[11:12], s[14:15], s[12:13]
	v_fma_f64 v[13:14], v[11:12], v[13:14], s[16:17]
	s_delay_alu instid0(VALU_DEP_1) | instskip(NEXT) | instid1(VALU_DEP_1)
	v_fma_f64 v[13:14], v[11:12], v[13:14], s[18:19]
	v_fma_f64 v[13:14], v[11:12], v[13:14], s[20:21]
	;; [unrolled: 3-line block ×5, first 2 shown]
	s_delay_alu instid0(VALU_DEP_1) | instskip(NEXT) | instid1(VALU_DEP_1)
	v_fma_f64 v[13:14], v[11:12], v[13:14], s[36:37]
	v_mul_f64 v[13:14], v[11:12], v[13:14]
	s_delay_alu instid0(VALU_DEP_1) | instskip(NEXT) | instid1(VALU_DEP_1)
	v_fma_f64 v[11:12], v[1:2], v[13:14], v[1:2]
	v_fma_f64 v[11:12], s[40:41], s[38:39], -v[11:12]
	s_and_saveexec_b32 s45, s3
	s_cbranch_execnz .LBB40_36
; %bb.32:                               ;   in Loop: Header=BB40_17 Depth=1
	s_or_b32 exec_lo, exec_lo, s45
	s_and_saveexec_b32 s3, vcc_lo
	s_delay_alu instid0(SALU_CYCLE_1)
	s_xor_b32 s3, exec_lo, s3
	s_cbranch_execnz .LBB40_37
.LBB40_33:                              ;   in Loop: Header=BB40_17 Depth=1
	s_or_b32 exec_lo, exec_lo, s3
	s_and_saveexec_b32 s3, s0
	s_cbranch_execnz .LBB40_38
.LBB40_34:                              ;   in Loop: Header=BB40_17 Depth=1
	s_or_b32 exec_lo, exec_lo, s3
	s_and_saveexec_b32 s0, s1
	s_cbranch_execnz .LBB40_39
.LBB40_35:                              ;   in Loop: Header=BB40_17 Depth=1
	s_or_b32 exec_lo, exec_lo, s0
	s_and_saveexec_b32 s0, s2
	s_cbranch_execz .LBB40_16
	s_branch .LBB40_40
.LBB40_36:                              ;   in Loop: Header=BB40_17 Depth=1
	v_rsq_f64_e32 v[11:12], v[5:6]
	v_cmp_eq_f64_e64 s3, 0, v[5:6]
	s_mov_b32 s42, s40
	s_waitcnt_depctr 0xfff
	v_mul_f64 v[37:38], v[5:6], v[11:12]
	v_mul_f64 v[11:12], v[11:12], 0.5
	s_delay_alu instid0(VALU_DEP_1) | instskip(NEXT) | instid1(VALU_DEP_1)
	v_fma_f64 v[39:40], -v[11:12], v[37:38], 0.5
	v_fma_f64 v[37:38], v[37:38], v[39:40], v[37:38]
	v_fma_f64 v[11:12], v[11:12], v[39:40], v[11:12]
	s_delay_alu instid0(VALU_DEP_2) | instskip(NEXT) | instid1(VALU_DEP_1)
	v_fma_f64 v[39:40], -v[37:38], v[37:38], v[5:6]
	v_fma_f64 v[11:12], v[39:40], v[11:12], v[37:38]
	s_delay_alu instid0(VALU_DEP_1) | instskip(NEXT) | instid1(VALU_DEP_2)
	v_cndmask_b32_e64 v12, v12, v6, s3
	v_cndmask_b32_e64 v11, v11, v5, s3
	s_delay_alu instid0(VALU_DEP_1) | instskip(SKIP_1) | instid1(VALU_DEP_2)
	v_add_f64 v[37:38], v[11:12], v[11:12]
	v_mul_f64 v[39:40], v[11:12], v[11:12]
	v_rcp_f64_e32 v[41:42], v[37:38]
	s_delay_alu instid0(VALU_DEP_1) | instskip(SKIP_1) | instid1(VALU_DEP_2)
	v_add_f64 v[43:44], v[5:6], -v[39:40]
	v_fma_f64 v[47:48], v[11:12], v[11:12], -v[39:40]
	v_add_f64 v[5:6], v[5:6], -v[43:44]
	s_waitcnt_depctr 0xfff
	v_fma_f64 v[45:46], -v[37:38], v[41:42], 1.0
	v_add_f64 v[5:6], v[5:6], -v[39:40]
	s_delay_alu instid0(VALU_DEP_2) | instskip(NEXT) | instid1(VALU_DEP_2)
	v_fma_f64 v[39:40], v[45:46], v[41:42], v[41:42]
	v_add_f64 v[5:6], v[5:6], -v[47:48]
	s_delay_alu instid0(VALU_DEP_2) | instskip(NEXT) | instid1(VALU_DEP_2)
	v_fma_f64 v[41:42], -v[37:38], v[39:40], 1.0
	v_add_f64 v[5:6], v[43:44], v[5:6]
	s_delay_alu instid0(VALU_DEP_2) | instskip(NEXT) | instid1(VALU_DEP_1)
	v_fma_f64 v[39:40], v[41:42], v[39:40], v[39:40]
	v_mul_f64 v[41:42], v[5:6], v[39:40]
	s_delay_alu instid0(VALU_DEP_1) | instskip(NEXT) | instid1(VALU_DEP_1)
	v_fma_f64 v[5:6], -v[37:38], v[41:42], v[5:6]
	v_fma_f64 v[5:6], v[5:6], v[39:40], v[41:42]
	s_delay_alu instid0(VALU_DEP_1) | instskip(NEXT) | instid1(VALU_DEP_2)
	v_cndmask_b32_e64 v6, v6, 0, s3
	v_cndmask_b32_e64 v5, v5, 0, s3
	v_cmp_gt_f64_e64 s3, 0, v[1:2]
	s_delay_alu instid0(VALU_DEP_2) | instskip(NEXT) | instid1(VALU_DEP_1)
	v_add_f64 v[37:38], v[11:12], v[5:6]
	v_add_f64 v[11:12], v[37:38], -v[11:12]
	s_delay_alu instid0(VALU_DEP_1) | instskip(SKIP_1) | instid1(VALU_DEP_2)
	v_add_f64 v[5:6], v[5:6], -v[11:12]
	v_fma_f64 v[11:12], v[37:38], v[13:14], v[37:38]
	v_fma_f64 v[5:6], v[37:38], v[13:14], v[5:6]
	s_delay_alu instid0(VALU_DEP_2) | instskip(NEXT) | instid1(VALU_DEP_2)
	v_mul_f64 v[11:12], v[11:12], -2.0
	v_add_f64 v[5:6], v[37:38], v[5:6]
	s_delay_alu instid0(VALU_DEP_2) | instskip(NEXT) | instid1(VALU_DEP_2)
	v_fma_f64 v[11:12], s[42:43], s[38:39], v[11:12]
	v_add_f64 v[5:6], v[5:6], v[5:6]
	s_delay_alu instid0(VALU_DEP_1) | instskip(NEXT) | instid1(VALU_DEP_2)
	v_cndmask_b32_e64 v6, v6, v12, s3
	v_cndmask_b32_e64 v5, v5, v11, s3
	v_cmp_neq_f64_e64 s3, -1.0, v[1:2]
	s_delay_alu instid0(VALU_DEP_1) | instskip(NEXT) | instid1(VALU_DEP_4)
	v_cndmask_b32_e64 v5, 0x54442d18, v5, s3
	v_cndmask_b32_e64 v6, 0x400921fb, v6, s3
	v_cmp_neq_f64_e64 s3, 1.0, v[1:2]
	s_delay_alu instid0(VALU_DEP_1) | instskip(NEXT) | instid1(VALU_DEP_4)
	v_cndmask_b32_e64 v12, 0, v6, s3
	v_cndmask_b32_e64 v11, 0, v5, s3
	s_or_b32 exec_lo, exec_lo, s45
	s_and_saveexec_b32 s3, vcc_lo
	s_delay_alu instid0(SALU_CYCLE_1)
	s_xor_b32 s3, exec_lo, s3
	s_cbranch_execz .LBB40_33
.LBB40_37:                              ;   in Loop: Header=BB40_17 Depth=1
	v_add_co_u32 v1, vcc_lo, v17, s4
	v_add_co_ci_u32_e32 v2, vcc_lo, s5, v18, vcc_lo
	global_store_b64 v[1:2], v[3:4], off
	s_or_b32 exec_lo, exec_lo, s3
	s_and_saveexec_b32 s3, s0
	s_cbranch_execz .LBB40_34
.LBB40_38:                              ;   in Loop: Header=BB40_17 Depth=1
	v_add_co_u32 v1, vcc_lo, v35, s4
	v_add_co_ci_u32_e32 v2, vcc_lo, s5, v36, vcc_lo
	global_store_b64 v[1:2], v[9:10], off
	s_or_b32 exec_lo, exec_lo, s3
	s_and_saveexec_b32 s0, s1
	s_cbranch_execz .LBB40_35
.LBB40_39:                              ;   in Loop: Header=BB40_17 Depth=1
	v_add_co_u32 v1, vcc_lo, v28, s4
	v_add_co_ci_u32_e32 v2, vcc_lo, s5, v29, vcc_lo
	global_store_b64 v[1:2], v[7:8], off
	s_or_b32 exec_lo, exec_lo, s0
	s_and_saveexec_b32 s0, s2
	s_cbranch_execz .LBB40_16
.LBB40_40:                              ;   in Loop: Header=BB40_17 Depth=1
	v_add_co_u32 v1, vcc_lo, v21, s4
	v_add_co_ci_u32_e32 v2, vcc_lo, s5, v22, vcc_lo
	global_store_b64 v[1:2], v[11:12], off
	s_branch .LBB40_16
.LBB40_41:
	s_nop 0
	s_sendmsg sendmsg(MSG_DEALLOC_VGPRS)
	s_endpgm
	.section	.rodata,"a",@progbits
	.p2align	6, 0x0
	.amdhsa_kernel _ZN2at6native12_GLOBAL__N_125multi_tensor_apply_kernelINS1_18TensorListMetadataILi2EEENS1_14UnaryOpFunctorIdLi2ELi1ELi1EEEJNS0_4AcosIdEEEEEvT_T0_DpT1_
		.amdhsa_group_segment_fixed_size 0
		.amdhsa_private_segment_fixed_size 0
		.amdhsa_kernarg_size 3408
		.amdhsa_user_sgpr_count 15
		.amdhsa_user_sgpr_dispatch_ptr 0
		.amdhsa_user_sgpr_queue_ptr 0
		.amdhsa_user_sgpr_kernarg_segment_ptr 1
		.amdhsa_user_sgpr_dispatch_id 0
		.amdhsa_user_sgpr_private_segment_size 0
		.amdhsa_wavefront_size32 1
		.amdhsa_uses_dynamic_stack 0
		.amdhsa_enable_private_segment 0
		.amdhsa_system_sgpr_workgroup_id_x 1
		.amdhsa_system_sgpr_workgroup_id_y 0
		.amdhsa_system_sgpr_workgroup_id_z 0
		.amdhsa_system_sgpr_workgroup_info 0
		.amdhsa_system_vgpr_workitem_id 0
		.amdhsa_next_free_vgpr 49
		.amdhsa_next_free_sgpr 51
		.amdhsa_reserve_vcc 1
		.amdhsa_float_round_mode_32 0
		.amdhsa_float_round_mode_16_64 0
		.amdhsa_float_denorm_mode_32 3
		.amdhsa_float_denorm_mode_16_64 3
		.amdhsa_dx10_clamp 1
		.amdhsa_ieee_mode 1
		.amdhsa_fp16_overflow 0
		.amdhsa_workgroup_processor_mode 1
		.amdhsa_memory_ordered 1
		.amdhsa_forward_progress 0
		.amdhsa_shared_vgpr_count 0
		.amdhsa_exception_fp_ieee_invalid_op 0
		.amdhsa_exception_fp_denorm_src 0
		.amdhsa_exception_fp_ieee_div_zero 0
		.amdhsa_exception_fp_ieee_overflow 0
		.amdhsa_exception_fp_ieee_underflow 0
		.amdhsa_exception_fp_ieee_inexact 0
		.amdhsa_exception_int_div_zero 0
	.end_amdhsa_kernel
	.section	.text._ZN2at6native12_GLOBAL__N_125multi_tensor_apply_kernelINS1_18TensorListMetadataILi2EEENS1_14UnaryOpFunctorIdLi2ELi1ELi1EEEJNS0_4AcosIdEEEEEvT_T0_DpT1_,"axG",@progbits,_ZN2at6native12_GLOBAL__N_125multi_tensor_apply_kernelINS1_18TensorListMetadataILi2EEENS1_14UnaryOpFunctorIdLi2ELi1ELi1EEEJNS0_4AcosIdEEEEEvT_T0_DpT1_,comdat
.Lfunc_end40:
	.size	_ZN2at6native12_GLOBAL__N_125multi_tensor_apply_kernelINS1_18TensorListMetadataILi2EEENS1_14UnaryOpFunctorIdLi2ELi1ELi1EEEJNS0_4AcosIdEEEEEvT_T0_DpT1_, .Lfunc_end40-_ZN2at6native12_GLOBAL__N_125multi_tensor_apply_kernelINS1_18TensorListMetadataILi2EEENS1_14UnaryOpFunctorIdLi2ELi1ELi1EEEJNS0_4AcosIdEEEEEvT_T0_DpT1_
                                        ; -- End function
	.section	.AMDGPU.csdata,"",@progbits
; Kernel info:
; codeLenInByte = 6836
; NumSgprs: 53
; NumVgprs: 49
; ScratchSize: 0
; MemoryBound: 0
; FloatMode: 240
; IeeeMode: 1
; LDSByteSize: 0 bytes/workgroup (compile time only)
; SGPRBlocks: 6
; VGPRBlocks: 6
; NumSGPRsForWavesPerEU: 53
; NumVGPRsForWavesPerEU: 49
; Occupancy: 16
; WaveLimiterHint : 0
; COMPUTE_PGM_RSRC2:SCRATCH_EN: 0
; COMPUTE_PGM_RSRC2:USER_SGPR: 15
; COMPUTE_PGM_RSRC2:TRAP_HANDLER: 0
; COMPUTE_PGM_RSRC2:TGID_X_EN: 1
; COMPUTE_PGM_RSRC2:TGID_Y_EN: 0
; COMPUTE_PGM_RSRC2:TGID_Z_EN: 0
; COMPUTE_PGM_RSRC2:TIDIG_COMP_CNT: 0
	.section	.text._ZN2at6native12_GLOBAL__N_125multi_tensor_apply_kernelINS1_18TensorListMetadataILi2EEENS1_14UnaryOpFunctorIfLi2ELi1ELi1EEEJNS0_4AcosIfEEEEEvT_T0_DpT1_,"axG",@progbits,_ZN2at6native12_GLOBAL__N_125multi_tensor_apply_kernelINS1_18TensorListMetadataILi2EEENS1_14UnaryOpFunctorIfLi2ELi1ELi1EEEJNS0_4AcosIfEEEEEvT_T0_DpT1_,comdat
	.globl	_ZN2at6native12_GLOBAL__N_125multi_tensor_apply_kernelINS1_18TensorListMetadataILi2EEENS1_14UnaryOpFunctorIfLi2ELi1ELi1EEEJNS0_4AcosIfEEEEEvT_T0_DpT1_ ; -- Begin function _ZN2at6native12_GLOBAL__N_125multi_tensor_apply_kernelINS1_18TensorListMetadataILi2EEENS1_14UnaryOpFunctorIfLi2ELi1ELi1EEEJNS0_4AcosIfEEEEEvT_T0_DpT1_
	.p2align	8
	.type	_ZN2at6native12_GLOBAL__N_125multi_tensor_apply_kernelINS1_18TensorListMetadataILi2EEENS1_14UnaryOpFunctorIfLi2ELi1ELi1EEEJNS0_4AcosIfEEEEEvT_T0_DpT1_,@function
_ZN2at6native12_GLOBAL__N_125multi_tensor_apply_kernelINS1_18TensorListMetadataILi2EEENS1_14UnaryOpFunctorIfLi2ELi1ELi1EEEJNS0_4AcosIfEEEEEvT_T0_DpT1_: ; @_ZN2at6native12_GLOBAL__N_125multi_tensor_apply_kernelINS1_18TensorListMetadataILi2EEENS1_14UnaryOpFunctorIfLi2ELi1ELi1EEEJNS0_4AcosIfEEEEEvT_T0_DpT1_
; %bb.0:
	v_mov_b32_e32 v1, s15
	s_add_u32 s2, s0, s15
	s_mul_hi_u32 s3, s15, 3
	s_mul_i32 s15, s15, 3
	s_addc_u32 s4, s1, 0
	global_load_u8 v1, v1, s[0:1] offset:1536
	s_add_u32 s2, s2, s15
	s_addc_u32 s3, s4, s3
	s_mov_b32 s7, 0
	s_load_b32 s2, s[2:3], 0x740
	s_mov_b32 s13, s7
	s_mov_b32 s23, s7
	s_waitcnt vmcnt(0)
	v_readfirstlane_b32 s5, v1
	s_delay_alu instid0(VALU_DEP_1)
	s_lshl_b32 s3, s5, 3
	s_clause 0x2
	s_load_b64 s[14:15], s[0:1], s3 offset:0x0
	s_load_b64 s[16:17], s[0:1], s3 offset:0x200
	s_load_b64 s[4:5], s[0:1], s3 offset:0x400
	s_waitcnt lgkmcnt(0)
	s_ashr_i32 s3, s2, 31
	s_delay_alu instid0(SALU_CYCLE_1) | instskip(NEXT) | instid1(SALU_CYCLE_1)
	s_lshl_b64 s[10:11], s[2:3], 18
	s_add_u32 s9, s14, s10
	s_addc_u32 s18, s15, s11
	s_and_b32 s6, s9, 15
	s_add_u32 s19, s16, s10
	s_addc_u32 s20, s17, s11
	s_and_b32 s12, s4, 3
	s_and_b32 s22, s19, 15
	s_or_b64 s[6:7], s[6:7], s[12:13]
	s_lshl_b64 s[2:3], s[2:3], 16
	s_or_b64 s[6:7], s[22:23], s[6:7]
	s_sub_u32 s12, s4, s2
	s_subb_u32 s13, s5, s3
	s_cmp_eq_u64 s[6:7], 0
	s_mov_b32 s2, -1
	s_cbranch_scc0 .LBB41_5
; %bb.1:
	v_dual_mov_b32 v2, 0 :: v_dual_lshlrev_b32 v1, 2, v0
	s_mov_b32 s21, exec_lo
	s_delay_alu instid0(VALU_DEP_1)
	v_cmpx_gt_i64_e64 s[12:13], v[1:2]
	s_cbranch_execz .LBB41_4
; %bb.2:
	s_load_b32 s2, s[0:1], 0xc5c
	v_lshlrev_b32_e32 v3, 4, v0
	s_mov_b32 s22, 0
	s_mov_b32 s25, 0x3d1c21a7
	s_waitcnt lgkmcnt(0)
	s_and_b32 s2, s2, 0xffff
	s_delay_alu instid0(SALU_CYCLE_1)
	v_add_lshl_u32 v1, v0, s2, 2
	s_lshl_b32 s23, s2, 2
	s_lshl_b32 s24, s2, 4
.LBB41_3:                               ; =>This Inner Loop Header: Depth=1
	v_add_co_u32 v4, s2, s9, v3
	s_delay_alu instid0(VALU_DEP_1)
	v_add_co_ci_u32_e64 v5, null, s18, 0, s2
	v_cmp_le_i64_e32 vcc_lo, s[12:13], v[1:2]
	v_cmp_lt_u64_e64 s2, 0xffff, v[1:2]
	v_add_co_u32 v8, s3, s19, v3
	global_load_b128 v[4:7], v[4:5], off
	v_add_co_ci_u32_e64 v9, null, s20, 0, s3
	s_or_b32 s26, vcc_lo, s2
	v_add_co_u32 v1, s3, v1, s23
	s_delay_alu instid0(VALU_DEP_1)
	v_add_co_ci_u32_e64 v2, s3, 0, v2, s3
	s_add_u32 s9, s9, s24
	s_addc_u32 s18, s18, 0
	s_add_u32 s19, s19, s24
	s_addc_u32 s20, s20, 0
	s_waitcnt vmcnt(0)
	v_fma_f32 v10, |v4|, -0.5, 0.5
	v_mul_f32_e32 v11, v4, v4
	v_cmp_gt_f32_e64 s4, |v4|, 0.5
	v_fma_f32 v12, |v5|, -0.5, 0.5
	v_mul_f32_e32 v13, v5, v5
	v_cmp_gt_f32_e64 vcc_lo, |v5|, 0.5
	v_fma_f32 v14, |v6|, -0.5, 0.5
	v_mul_f32_e32 v15, v6, v6
	v_cmp_gt_f32_e64 s2, |v6|, 0.5
	v_cndmask_b32_e64 v10, v11, v10, s4
	v_cndmask_b32_e32 v11, v13, v12, vcc_lo
	v_fma_f32 v16, |v7|, -0.5, 0.5
	v_mul_f32_e32 v17, v7, v7
	v_cndmask_b32_e64 v12, v15, v14, s2
	v_fmaak_f32 v14, s25, v10, 0x3c5fc5da
	v_cmp_gt_f32_e64 s3, |v7|, 0.5
	v_sqrt_f32_e32 v15, v10
	v_cmp_gt_f32_e64 s5, 0, v5
	v_fmaak_f32 v18, s25, v12, 0x3c5fc5da
	v_fmaak_f32 v14, v10, v14, 0x3d034c3c
	v_cndmask_b32_e64 v13, v17, v16, s3
	v_fmaak_f32 v16, s25, v11, 0x3c5fc5da
	v_sqrt_f32_e32 v17, v11
	v_sqrt_f32_e32 v19, v12
	v_fmaak_f32 v14, v10, v14, 0x3d3641b1
	v_fmaak_f32 v20, s25, v13, 0x3c5fc5da
	v_sqrt_f32_e32 v21, v13
	v_fmaak_f32 v16, v11, v16, 0x3d034c3c
	v_cmp_gt_f32_e64 s6, 0, v6
	v_fmaak_f32 v14, v10, v14, 0x3d999bc8
	v_cmp_gt_f32_e64 s7, 0, v7
	v_cmp_gt_f32_e64 s8, 0, v4
	s_delay_alu instid0(VALU_DEP_3) | instskip(NEXT) | instid1(VALU_DEP_1)
	v_fmaak_f32 v14, v10, v14, 0x3e2aaaac
	v_mul_f32_e32 v10, v10, v14
	s_delay_alu instid0(VALU_DEP_1) | instskip(NEXT) | instid1(VALU_DEP_1)
	v_dual_fmaak_f32 v20, v13, v20, 0x3d034c3c :: v_dual_fmac_f32 v15, v15, v10
	v_fmaak_f32 v20, v13, v20, 0x3d3641b1
	s_delay_alu instid0(VALU_DEP_2) | instskip(NEXT) | instid1(VALU_DEP_2)
	v_add_f32_e32 v14, v15, v15
	v_fmaak_f32 v20, v13, v20, 0x3d999bc8
	s_delay_alu instid0(VALU_DEP_1) | instskip(NEXT) | instid1(VALU_DEP_1)
	v_fmaak_f32 v20, v13, v20, 0x3e2aaaac
	v_mul_f32_e32 v13, v13, v20
	s_delay_alu instid0(VALU_DEP_1) | instskip(NEXT) | instid1(VALU_DEP_1)
	v_dual_fmaak_f32 v16, v11, v16, 0x3d3641b1 :: v_dual_fmac_f32 v21, v21, v13
	v_fmaak_f32 v16, v11, v16, 0x3d999bc8
	v_fmac_f32_e32 v7, v7, v13
	s_delay_alu instid0(VALU_DEP_2) | instskip(SKIP_1) | instid1(VALU_DEP_3)
	v_fmaak_f32 v16, v11, v16, 0x3e2aaaac
	v_fmaak_f32 v18, v12, v18, 0x3d034c3c
	v_sub_f32_e32 v7, 0x3fc90fdb, v7
	s_delay_alu instid0(VALU_DEP_2) | instskip(NEXT) | instid1(VALU_DEP_1)
	v_dual_mul_f32 v11, v11, v16 :: v_dual_fmaak_f32 v18, v12, v18, 0x3d3641b1
	v_fmac_f32_e32 v17, v17, v11
	v_fma_f32 v11, v5, v11, v5
	s_delay_alu instid0(VALU_DEP_2) | instskip(NEXT) | instid1(VALU_DEP_2)
	v_add_f32_e32 v15, v17, v17
	v_sub_f32_e32 v11, 0x3fc90fdb, v11
	v_dual_fmaak_f32 v18, v12, v18, 0x3d999bc8 :: v_dual_add_f32 v17, v21, v21
	v_fma_f32 v10, v4, v10, v4
	s_delay_alu instid0(VALU_DEP_2) | instskip(NEXT) | instid1(VALU_DEP_2)
	v_fmaak_f32 v18, v12, v18, 0x3e2aaaac
	v_sub_f32_e32 v10, 0x3fc90fdb, v10
	s_delay_alu instid0(VALU_DEP_2) | instskip(NEXT) | instid1(VALU_DEP_1)
	v_mul_f32_e32 v12, v12, v18
	v_fmac_f32_e32 v19, v19, v12
	s_delay_alu instid0(VALU_DEP_1) | instskip(SKIP_2) | instid1(VALU_DEP_3)
	v_add_f32_e32 v16, v19, v19
	v_sub_f32_e32 v19, 0x40490fdb, v15
	v_fma_f32 v12, v6, v12, v6
	v_dual_sub_f32 v6, 0x40490fdb, v17 :: v_dual_sub_f32 v5, 0x40490fdb, v16
	v_sub_f32_e32 v18, 0x40490fdb, v14
	s_delay_alu instid0(VALU_DEP_3) | instskip(SKIP_1) | instid1(VALU_DEP_4)
	v_sub_f32_e32 v12, 0x3fc90fdb, v12
	v_cndmask_b32_e64 v13, v15, v19, s5
	v_cndmask_b32_e64 v15, v17, v6, s7
	s_delay_alu instid0(VALU_DEP_4) | instskip(SKIP_1) | instid1(VALU_DEP_4)
	v_cndmask_b32_e64 v4, v14, v18, s8
	v_cndmask_b32_e64 v14, v16, v5, s6
	v_cndmask_b32_e32 v5, v11, v13, vcc_lo
	s_delay_alu instid0(VALU_DEP_4) | instskip(NEXT) | instid1(VALU_DEP_4)
	v_cndmask_b32_e64 v7, v7, v15, s3
	v_cndmask_b32_e64 v4, v10, v4, s4
	s_delay_alu instid0(VALU_DEP_4) | instskip(SKIP_1) | instid1(SALU_CYCLE_1)
	v_cndmask_b32_e64 v6, v12, v14, s2
	s_and_b32 s2, exec_lo, s26
	s_or_b32 s22, s2, s22
	global_store_b128 v[8:9], v[4:7], off
	s_and_not1_b32 exec_lo, exec_lo, s22
	s_cbranch_execnz .LBB41_3
.LBB41_4:
	s_or_b32 exec_lo, exec_lo, s21
	s_mov_b32 s2, 0
.LBB41_5:
	s_delay_alu instid0(SALU_CYCLE_1)
	s_and_not1_b32 vcc_lo, exec_lo, s2
	s_cbranch_vccnz .LBB41_25
; %bb.6:
	v_cmp_lt_i64_e64 s2, s[12:13], 1
	s_delay_alu instid0(VALU_DEP_1)
	s_and_b32 vcc_lo, exec_lo, s2
	s_cbranch_vccnz .LBB41_25
; %bb.7:
	s_load_b32 s0, s[0:1], 0xc5c
	v_dual_mov_b32 v10, 0 :: v_dual_lshlrev_b32 v9, 2, v0
	v_cmp_gt_u64_e64 s1, 0x10000, s[12:13]
	s_mov_b64 s[6:7], 0
	s_delay_alu instid0(VALU_DEP_2) | instskip(NEXT) | instid1(VALU_DEP_1)
	v_add_co_u32 v1, s2, s14, v9
	v_add_co_ci_u32_e64 v2, null, s15, 0, s2
	v_add_co_u32 v3, s2, s16, v9
	s_delay_alu instid0(VALU_DEP_1)
	v_add_co_ci_u32_e64 v4, null, s17, 0, s2
	s_waitcnt lgkmcnt(0)
	s_and_b32 s0, s0, 0xffff
	s_and_b32 s1, s1, exec_lo
	v_mad_u64_u32 v[7:8], null, s0, 12, v[9:10]
	s_cselect_b32 s5, s13, 0
	s_cselect_b32 s4, s12, 0x10000
	s_mul_i32 s2, s0, 3
	s_lshl_b32 s3, s0, 3
	s_lshl_b32 s1, s0, 1
	v_add_co_u32 v14, s3, s3, v9
	v_add_co_u32 v9, s2, s2, v0
	s_delay_alu instid0(VALU_DEP_1) | instskip(SKIP_3) | instid1(VALU_DEP_3)
	v_add_co_ci_u32_e64 v10, null, 0, 0, s2
	v_add_co_u32 v13, s2, v0, s0
	v_add_co_u32 v5, vcc_lo, s14, v7
	v_add_co_ci_u32_e32 v6, vcc_lo, s15, v8, vcc_lo
	v_lshlrev_b32_e32 v21, 2, v13
	v_add_co_u32 v7, vcc_lo, s16, v7
	v_add_co_ci_u32_e64 v15, null, 0, 0, s3
	v_add_co_ci_u32_e32 v8, vcc_lo, s17, v8, vcc_lo
	v_add_co_u32 v17, s1, s1, v0
	v_add_co_u32 v11, vcc_lo, s14, v14
	v_add_co_ci_u32_e64 v18, null, 0, 0, s1
	v_add_co_u32 v19, s1, s14, v21
	v_add_co_ci_u32_e32 v12, vcc_lo, s15, v15, vcc_lo
	v_add_co_u32 v14, vcc_lo, s16, v14
	v_add_co_ci_u32_e64 v20, null, s15, 0, s1
	v_add_co_u32 v21, s1, s16, v21
	v_add_co_ci_u32_e32 v15, vcc_lo, s17, v15, vcc_lo
	v_add_co_ci_u32_e64 v16, null, 0, 0, s2
	v_add_co_ci_u32_e64 v22, null, s17, 0, s1
	s_lshl_b32 s8, s0, 2
	s_lshl_b32 s9, s0, 4
	s_mov_b32 s14, 0x3d1c21a7
	s_branch .LBB41_9
.LBB41_8:                               ;   in Loop: Header=BB41_9 Depth=1
	s_or_b32 exec_lo, exec_lo, s1
	v_add_co_u32 v1, vcc_lo, v1, s9
	v_add_co_ci_u32_e32 v2, vcc_lo, 0, v2, vcc_lo
	v_add_co_u32 v3, vcc_lo, v3, s9
	v_add_co_ci_u32_e32 v4, vcc_lo, 0, v4, vcc_lo
	;; [unrolled: 2-line block ×5, first 2 shown]
	s_add_u32 s6, s6, s8
	v_add_co_u32 v14, vcc_lo, v14, s9
	s_addc_u32 s7, s7, 0
	v_add_co_ci_u32_e32 v15, vcc_lo, 0, v15, vcc_lo
	v_cmp_ge_i64_e64 s0, s[6:7], s[12:13]
	v_cmp_lt_u64_e64 s1, 0xffff, s[6:7]
	v_add_co_u32 v19, vcc_lo, v19, s9
	v_add_co_ci_u32_e32 v20, vcc_lo, 0, v20, vcc_lo
	v_add_co_u32 v21, vcc_lo, v21, s9
	v_add_co_ci_u32_e32 v22, vcc_lo, 0, v22, vcc_lo
	s_or_b32 s0, s0, s1
	s_delay_alu instid0(SALU_CYCLE_1)
	s_and_b32 vcc_lo, exec_lo, s0
	s_cbranch_vccnz .LBB41_25
.LBB41_9:                               ; =>This Inner Loop Header: Depth=1
	s_waitcnt vmcnt(0)
	v_add_co_u32 v23, s0, v0, s6
	s_delay_alu instid0(VALU_DEP_1) | instskip(SKIP_1) | instid1(VALU_DEP_2)
	v_add_co_ci_u32_e64 v24, null, 0, s7, s0
	v_mov_b32_e32 v26, 0
	v_cmp_gt_u64_e64 s2, s[4:5], v[23:24]
	s_delay_alu instid0(VALU_DEP_1)
	s_and_saveexec_b32 s0, s2
	s_cbranch_execz .LBB41_11
; %bb.10:                               ;   in Loop: Header=BB41_9 Depth=1
	v_add_co_u32 v23, vcc_lo, v1, s10
	v_add_co_ci_u32_e32 v24, vcc_lo, s11, v2, vcc_lo
	global_load_b32 v26, v[23:24], off
.LBB41_11:                              ;   in Loop: Header=BB41_9 Depth=1
	s_or_b32 exec_lo, exec_lo, s0
	v_add_co_u32 v23, vcc_lo, v13, s6
	v_add_co_ci_u32_e32 v24, vcc_lo, s7, v16, vcc_lo
	v_mov_b32_e32 v25, 0
	s_delay_alu instid0(VALU_DEP_2) | instskip(NEXT) | instid1(VALU_DEP_1)
	v_cmp_gt_u64_e64 s1, s[4:5], v[23:24]
	s_and_saveexec_b32 s0, s1
	s_cbranch_execz .LBB41_13
; %bb.12:                               ;   in Loop: Header=BB41_9 Depth=1
	v_add_co_u32 v23, vcc_lo, v19, s10
	v_add_co_ci_u32_e32 v24, vcc_lo, s11, v20, vcc_lo
	global_load_b32 v25, v[23:24], off
.LBB41_13:                              ;   in Loop: Header=BB41_9 Depth=1
	s_or_b32 exec_lo, exec_lo, s0
	v_add_co_u32 v23, vcc_lo, v17, s6
	v_add_co_ci_u32_e32 v24, vcc_lo, s7, v18, vcc_lo
	s_delay_alu instid0(VALU_DEP_1) | instskip(SKIP_1) | instid1(VALU_DEP_2)
	v_cmp_gt_u64_e64 s0, s[4:5], v[23:24]
	v_dual_mov_b32 v23, 0 :: v_dual_mov_b32 v24, 0
	s_and_saveexec_b32 s3, s0
	s_cbranch_execz .LBB41_15
; %bb.14:                               ;   in Loop: Header=BB41_9 Depth=1
	v_add_co_u32 v27, vcc_lo, v11, s10
	v_add_co_ci_u32_e32 v28, vcc_lo, s11, v12, vcc_lo
	global_load_b32 v24, v[27:28], off
.LBB41_15:                              ;   in Loop: Header=BB41_9 Depth=1
	s_or_b32 exec_lo, exec_lo, s3
	v_add_co_u32 v27, vcc_lo, v9, s6
	v_add_co_ci_u32_e32 v28, vcc_lo, s7, v10, vcc_lo
	s_delay_alu instid0(VALU_DEP_1)
	v_cmp_gt_u64_e32 vcc_lo, s[4:5], v[27:28]
	s_and_saveexec_b32 s15, vcc_lo
	s_cbranch_execnz .LBB41_20
; %bb.16:                               ;   in Loop: Header=BB41_9 Depth=1
	s_or_b32 exec_lo, exec_lo, s15
	s_and_saveexec_b32 s15, s2
	s_cbranch_execnz .LBB41_21
.LBB41_17:                              ;   in Loop: Header=BB41_9 Depth=1
	s_or_b32 exec_lo, exec_lo, s15
	s_and_saveexec_b32 s3, s1
	s_cbranch_execnz .LBB41_22
.LBB41_18:                              ;   in Loop: Header=BB41_9 Depth=1
	s_or_b32 exec_lo, exec_lo, s3
	s_and_saveexec_b32 s2, s0
	s_cbranch_execnz .LBB41_23
.LBB41_19:                              ;   in Loop: Header=BB41_9 Depth=1
	s_or_b32 exec_lo, exec_lo, s2
	s_and_saveexec_b32 s1, vcc_lo
	s_cbranch_execz .LBB41_8
	s_branch .LBB41_24
.LBB41_20:                              ;   in Loop: Header=BB41_9 Depth=1
	v_add_co_u32 v27, s3, v5, s10
	s_delay_alu instid0(VALU_DEP_1)
	v_add_co_ci_u32_e64 v28, s3, s11, v6, s3
	global_load_b32 v23, v[27:28], off
	s_or_b32 exec_lo, exec_lo, s15
	s_and_saveexec_b32 s15, s2
	s_cbranch_execz .LBB41_17
.LBB41_21:                              ;   in Loop: Header=BB41_9 Depth=1
	s_waitcnt vmcnt(0)
	v_fma_f32 v27, |v26|, -0.5, 0.5
	v_mul_f32_e32 v28, v26, v26
	v_cmp_gt_f32_e64 s2, |v26|, 0.5
	v_cmp_gt_f32_e64 s3, 0, v26
	s_delay_alu instid0(VALU_DEP_2) | instskip(NEXT) | instid1(VALU_DEP_1)
	v_cndmask_b32_e64 v27, v28, v27, s2
	v_fmaak_f32 v28, s14, v27, 0x3c5fc5da
	v_sqrt_f32_e32 v29, v27
	s_delay_alu instid0(VALU_DEP_1) | instskip(NEXT) | instid1(VALU_DEP_1)
	v_fmaak_f32 v28, v27, v28, 0x3d034c3c
	v_fmaak_f32 v28, v27, v28, 0x3d3641b1
	s_delay_alu instid0(VALU_DEP_1) | instskip(NEXT) | instid1(VALU_DEP_1)
	v_fmaak_f32 v28, v27, v28, 0x3d999bc8
	v_fmaak_f32 v28, v27, v28, 0x3e2aaaac
	s_delay_alu instid0(VALU_DEP_1) | instskip(SKIP_2) | instid1(VALU_DEP_1)
	v_mul_f32_e32 v27, v27, v28
	s_waitcnt_depctr 0xfff
	v_fmac_f32_e32 v29, v29, v27
	v_add_f32_e32 v28, v29, v29
	s_delay_alu instid0(VALU_DEP_1) | instskip(NEXT) | instid1(VALU_DEP_1)
	v_dual_fmac_f32 v26, v26, v27 :: v_dual_sub_f32 v29, 0x40490fdb, v28
	v_sub_f32_e32 v26, 0x3fc90fdb, v26
	s_delay_alu instid0(VALU_DEP_2) | instskip(NEXT) | instid1(VALU_DEP_1)
	v_cndmask_b32_e64 v27, v28, v29, s3
	v_cndmask_b32_e64 v28, v26, v27, s2
	v_add_co_u32 v26, s2, v3, s10
	s_delay_alu instid0(VALU_DEP_1)
	v_add_co_ci_u32_e64 v27, s2, s11, v4, s2
	global_store_b32 v[26:27], v28, off
	s_or_b32 exec_lo, exec_lo, s15
	s_and_saveexec_b32 s3, s1
	s_cbranch_execz .LBB41_18
.LBB41_22:                              ;   in Loop: Header=BB41_9 Depth=1
	s_waitcnt vmcnt(0)
	v_fma_f32 v26, |v25|, -0.5, 0.5
	v_mul_f32_e32 v27, v25, v25
	v_cmp_gt_f32_e64 s1, |v25|, 0.5
	v_cmp_gt_f32_e64 s2, 0, v25
	s_delay_alu instid0(VALU_DEP_2) | instskip(NEXT) | instid1(VALU_DEP_1)
	v_cndmask_b32_e64 v26, v27, v26, s1
	v_fmaak_f32 v27, s14, v26, 0x3c5fc5da
	v_sqrt_f32_e32 v28, v26
	s_delay_alu instid0(VALU_DEP_1) | instskip(NEXT) | instid1(VALU_DEP_1)
	v_fmaak_f32 v27, v26, v27, 0x3d034c3c
	v_fmaak_f32 v27, v26, v27, 0x3d3641b1
	s_delay_alu instid0(VALU_DEP_1) | instskip(NEXT) | instid1(VALU_DEP_1)
	v_fmaak_f32 v27, v26, v27, 0x3d999bc8
	v_fmaak_f32 v27, v26, v27, 0x3e2aaaac
	s_delay_alu instid0(VALU_DEP_1) | instskip(SKIP_2) | instid1(VALU_DEP_1)
	v_mul_f32_e32 v26, v26, v27
	s_waitcnt_depctr 0xfff
	v_fmac_f32_e32 v28, v28, v26
	v_add_f32_e32 v27, v28, v28
	s_delay_alu instid0(VALU_DEP_1) | instskip(NEXT) | instid1(VALU_DEP_1)
	v_dual_fmac_f32 v25, v25, v26 :: v_dual_sub_f32 v28, 0x40490fdb, v27
	v_sub_f32_e32 v25, 0x3fc90fdb, v25
	s_delay_alu instid0(VALU_DEP_2) | instskip(NEXT) | instid1(VALU_DEP_1)
	v_cndmask_b32_e64 v26, v27, v28, s2
	v_cndmask_b32_e64 v27, v25, v26, s1
	v_add_co_u32 v25, s1, v21, s10
	s_delay_alu instid0(VALU_DEP_1)
	v_add_co_ci_u32_e64 v26, s1, s11, v22, s1
	global_store_b32 v[25:26], v27, off
	s_or_b32 exec_lo, exec_lo, s3
	s_and_saveexec_b32 s2, s0
	s_cbranch_execz .LBB41_19
.LBB41_23:                              ;   in Loop: Header=BB41_9 Depth=1
	s_waitcnt vmcnt(0)
	v_fma_f32 v25, |v24|, -0.5, 0.5
	v_mul_f32_e32 v26, v24, v24
	v_cmp_gt_f32_e64 s0, |v24|, 0.5
	v_cmp_gt_f32_e64 s1, 0, v24
	s_delay_alu instid0(VALU_DEP_2) | instskip(NEXT) | instid1(VALU_DEP_1)
	v_cndmask_b32_e64 v25, v26, v25, s0
	v_fmaak_f32 v26, s14, v25, 0x3c5fc5da
	v_sqrt_f32_e32 v27, v25
	s_delay_alu instid0(VALU_DEP_1) | instskip(NEXT) | instid1(VALU_DEP_1)
	v_fmaak_f32 v26, v25, v26, 0x3d034c3c
	v_fmaak_f32 v26, v25, v26, 0x3d3641b1
	s_delay_alu instid0(VALU_DEP_1) | instskip(NEXT) | instid1(VALU_DEP_1)
	v_fmaak_f32 v26, v25, v26, 0x3d999bc8
	v_fmaak_f32 v26, v25, v26, 0x3e2aaaac
	s_delay_alu instid0(VALU_DEP_1) | instskip(SKIP_2) | instid1(VALU_DEP_1)
	v_mul_f32_e32 v25, v25, v26
	s_waitcnt_depctr 0xfff
	v_fmac_f32_e32 v27, v27, v25
	v_add_f32_e32 v26, v27, v27
	s_delay_alu instid0(VALU_DEP_1) | instskip(NEXT) | instid1(VALU_DEP_1)
	v_dual_fmac_f32 v24, v24, v25 :: v_dual_sub_f32 v27, 0x40490fdb, v26
	v_sub_f32_e32 v24, 0x3fc90fdb, v24
	s_delay_alu instid0(VALU_DEP_2) | instskip(NEXT) | instid1(VALU_DEP_1)
	v_cndmask_b32_e64 v25, v26, v27, s1
	v_cndmask_b32_e64 v26, v24, v25, s0
	v_add_co_u32 v24, s0, v14, s10
	s_delay_alu instid0(VALU_DEP_1)
	v_add_co_ci_u32_e64 v25, s0, s11, v15, s0
	global_store_b32 v[24:25], v26, off
	s_or_b32 exec_lo, exec_lo, s2
	s_and_saveexec_b32 s1, vcc_lo
	s_cbranch_execz .LBB41_8
.LBB41_24:                              ;   in Loop: Header=BB41_9 Depth=1
	s_waitcnt vmcnt(0)
	v_fma_f32 v24, |v23|, -0.5, 0.5
	v_mul_f32_e32 v25, v23, v23
	v_cmp_gt_f32_e64 vcc_lo, |v23|, 0.5
	v_cmp_gt_f32_e64 s0, 0, v23
	s_delay_alu instid0(VALU_DEP_3) | instskip(NEXT) | instid1(VALU_DEP_1)
	v_cndmask_b32_e32 v24, v25, v24, vcc_lo
	v_fmaak_f32 v25, s14, v24, 0x3c5fc5da
	v_sqrt_f32_e32 v26, v24
	s_delay_alu instid0(VALU_DEP_1) | instskip(NEXT) | instid1(VALU_DEP_1)
	v_fmaak_f32 v25, v24, v25, 0x3d034c3c
	v_fmaak_f32 v25, v24, v25, 0x3d3641b1
	s_delay_alu instid0(VALU_DEP_1) | instskip(NEXT) | instid1(VALU_DEP_1)
	v_fmaak_f32 v25, v24, v25, 0x3d999bc8
	v_fmaak_f32 v25, v24, v25, 0x3e2aaaac
	s_delay_alu instid0(VALU_DEP_1) | instskip(NEXT) | instid1(VALU_DEP_1)
	v_mul_f32_e32 v24, v24, v25
	v_fmac_f32_e32 v23, v23, v24
	s_delay_alu instid0(TRANS32_DEP_1) | instid1(VALU_DEP_1)
	v_dual_sub_f32 v23, 0x3fc90fdb, v23 :: v_dual_fmac_f32 v26, v26, v24
	s_delay_alu instid0(VALU_DEP_1) | instskip(NEXT) | instid1(VALU_DEP_1)
	v_add_f32_e32 v25, v26, v26
	v_sub_f32_e32 v26, 0x40490fdb, v25
	s_delay_alu instid0(VALU_DEP_1) | instskip(NEXT) | instid1(VALU_DEP_1)
	v_cndmask_b32_e64 v24, v25, v26, s0
	v_cndmask_b32_e32 v25, v23, v24, vcc_lo
	v_add_co_u32 v23, vcc_lo, v7, s10
	v_add_co_ci_u32_e32 v24, vcc_lo, s11, v8, vcc_lo
	global_store_b32 v[23:24], v25, off
	s_branch .LBB41_8
.LBB41_25:
	s_nop 0
	s_sendmsg sendmsg(MSG_DEALLOC_VGPRS)
	s_endpgm
	.section	.rodata,"a",@progbits
	.p2align	6, 0x0
	.amdhsa_kernel _ZN2at6native12_GLOBAL__N_125multi_tensor_apply_kernelINS1_18TensorListMetadataILi2EEENS1_14UnaryOpFunctorIfLi2ELi1ELi1EEEJNS0_4AcosIfEEEEEvT_T0_DpT1_
		.amdhsa_group_segment_fixed_size 0
		.amdhsa_private_segment_fixed_size 0
		.amdhsa_kernarg_size 3408
		.amdhsa_user_sgpr_count 15
		.amdhsa_user_sgpr_dispatch_ptr 0
		.amdhsa_user_sgpr_queue_ptr 0
		.amdhsa_user_sgpr_kernarg_segment_ptr 1
		.amdhsa_user_sgpr_dispatch_id 0
		.amdhsa_user_sgpr_private_segment_size 0
		.amdhsa_wavefront_size32 1
		.amdhsa_uses_dynamic_stack 0
		.amdhsa_enable_private_segment 0
		.amdhsa_system_sgpr_workgroup_id_x 1
		.amdhsa_system_sgpr_workgroup_id_y 0
		.amdhsa_system_sgpr_workgroup_id_z 0
		.amdhsa_system_sgpr_workgroup_info 0
		.amdhsa_system_vgpr_workitem_id 0
		.amdhsa_next_free_vgpr 30
		.amdhsa_next_free_sgpr 27
		.amdhsa_reserve_vcc 1
		.amdhsa_float_round_mode_32 0
		.amdhsa_float_round_mode_16_64 0
		.amdhsa_float_denorm_mode_32 3
		.amdhsa_float_denorm_mode_16_64 3
		.amdhsa_dx10_clamp 1
		.amdhsa_ieee_mode 1
		.amdhsa_fp16_overflow 0
		.amdhsa_workgroup_processor_mode 1
		.amdhsa_memory_ordered 1
		.amdhsa_forward_progress 0
		.amdhsa_shared_vgpr_count 0
		.amdhsa_exception_fp_ieee_invalid_op 0
		.amdhsa_exception_fp_denorm_src 0
		.amdhsa_exception_fp_ieee_div_zero 0
		.amdhsa_exception_fp_ieee_overflow 0
		.amdhsa_exception_fp_ieee_underflow 0
		.amdhsa_exception_fp_ieee_inexact 0
		.amdhsa_exception_int_div_zero 0
	.end_amdhsa_kernel
	.section	.text._ZN2at6native12_GLOBAL__N_125multi_tensor_apply_kernelINS1_18TensorListMetadataILi2EEENS1_14UnaryOpFunctorIfLi2ELi1ELi1EEEJNS0_4AcosIfEEEEEvT_T0_DpT1_,"axG",@progbits,_ZN2at6native12_GLOBAL__N_125multi_tensor_apply_kernelINS1_18TensorListMetadataILi2EEENS1_14UnaryOpFunctorIfLi2ELi1ELi1EEEJNS0_4AcosIfEEEEEvT_T0_DpT1_,comdat
.Lfunc_end41:
	.size	_ZN2at6native12_GLOBAL__N_125multi_tensor_apply_kernelINS1_18TensorListMetadataILi2EEENS1_14UnaryOpFunctorIfLi2ELi1ELi1EEEJNS0_4AcosIfEEEEEvT_T0_DpT1_, .Lfunc_end41-_ZN2at6native12_GLOBAL__N_125multi_tensor_apply_kernelINS1_18TensorListMetadataILi2EEENS1_14UnaryOpFunctorIfLi2ELi1ELi1EEEJNS0_4AcosIfEEEEEvT_T0_DpT1_
                                        ; -- End function
	.section	.AMDGPU.csdata,"",@progbits
; Kernel info:
; codeLenInByte = 2540
; NumSgprs: 29
; NumVgprs: 30
; ScratchSize: 0
; MemoryBound: 0
; FloatMode: 240
; IeeeMode: 1
; LDSByteSize: 0 bytes/workgroup (compile time only)
; SGPRBlocks: 3
; VGPRBlocks: 3
; NumSGPRsForWavesPerEU: 29
; NumVGPRsForWavesPerEU: 30
; Occupancy: 16
; WaveLimiterHint : 0
; COMPUTE_PGM_RSRC2:SCRATCH_EN: 0
; COMPUTE_PGM_RSRC2:USER_SGPR: 15
; COMPUTE_PGM_RSRC2:TRAP_HANDLER: 0
; COMPUTE_PGM_RSRC2:TGID_X_EN: 1
; COMPUTE_PGM_RSRC2:TGID_Y_EN: 0
; COMPUTE_PGM_RSRC2:TGID_Z_EN: 0
; COMPUTE_PGM_RSRC2:TIDIG_COMP_CNT: 0
	.text
	.p2align	2                               ; -- Begin function _ZNK2at6native4AcosIN3c107complexIdEEEclES4_
	.type	_ZNK2at6native4AcosIN3c107complexIdEEEclES4_,@function
_ZNK2at6native4AcosIN3c107complexIdEEEclES4_: ; @_ZNK2at6native4AcosIN3c107complexIdEEEclES4_
; %bb.0:
	s_waitcnt vmcnt(0) expcnt(0) lgkmcnt(0)
	v_cmp_o_f64_e32 vcc_lo, v[0:1], v[0:1]
	v_cmp_o_f64_e64 s0, v[2:3], v[2:3]
	s_add_i32 s1, s32, 8
	s_mov_b64 s[6:7], src_private_base
	s_mov_b32 s6, s1
	s_delay_alu instid0(SALU_CYCLE_1) | instskip(SKIP_4) | instid1(SALU_CYCLE_1)
	v_dual_mov_b32 v5, 0x3c91a626 :: v_dual_mov_b32 v6, s6
	v_dual_mov_b32 v4, 0x33145c07 :: v_dual_mov_b32 v7, s7
	flat_store_b64 v[6:7], v[4:5] dlc
	s_waitcnt_vscnt null, 0x0
                                        ; implicit-def: $vgpr4_vgpr5
	s_and_b32 s0, vcc_lo, s0
	s_and_saveexec_b32 s1, s0
	s_delay_alu instid0(SALU_CYCLE_1)
	s_xor_b32 s8, exec_lo, s1
	s_cbranch_execnz .LBB42_3
; %bb.1:
	s_and_not1_saveexec_b32 s0, s8
	s_cbranch_execnz .LBB42_90
.LBB42_2:
	s_or_b32 exec_lo, exec_lo, s0
	s_waitcnt lgkmcnt(0)
	s_delay_alu instid0(VALU_DEP_1)
	v_dual_mov_b32 v0, v4 :: v_dual_mov_b32 v1, v5
	s_setpc_b64 s[30:31]
.LBB42_3:
	v_max_f64 v[6:7], |v[2:3]|, |v[2:3]|
	v_max_f64 v[10:11], |v[0:1]|, |v[0:1]|
	v_cmp_gt_i64_e64 s0, 0, v[2:3]
                                        ; implicit-def: $vgpr4_vgpr5
	s_mov_b32 s1, exec_lo
	s_delay_alu instid0(VALU_DEP_2) | instskip(NEXT) | instid1(VALU_DEP_1)
	v_max_f64 v[8:9], v[10:11], v[6:7]
	v_cmpx_nlt_f64_e32 0x43300000, v[8:9]
	s_xor_b32 s9, exec_lo, s1
	s_cbranch_execz .LBB42_79
; %bb.4:
	v_cmp_neq_f64_e32 vcc_lo, 1.0, v[0:1]
	v_cmp_neq_f64_e64 s1, 0, v[2:3]
                                        ; implicit-def: $vgpr4_vgpr5
	s_delay_alu instid0(VALU_DEP_1) | instskip(NEXT) | instid1(SALU_CYCLE_1)
	s_or_b32 s1, vcc_lo, s1
	s_and_saveexec_b32 s2, s1
	s_delay_alu instid0(SALU_CYCLE_1)
	s_xor_b32 s10, exec_lo, s2
	s_cbranch_execz .LBB42_76
; %bb.5:
	s_mov_b64 s[2:3], src_private_base
	s_mov_b32 s2, s32
	v_dual_mov_b32 v8, 0xd800000 :: v_dual_mov_b32 v5, s3
	v_mov_b32_e32 v4, s2
	s_add_i32 s1, s32, 4
	s_delay_alu instid0(SALU_CYCLE_1)
	s_mov_b32 s2, s1
	flat_store_b32 v[4:5], v8 dlc
	s_waitcnt_vscnt null, 0x0
	flat_load_b32 v4, v[4:5] glc dlc
	s_waitcnt vmcnt(0) lgkmcnt(0)
	v_dual_add_f32 v8, 1.0, v4 :: v_dual_mov_b32 v5, s3
	v_mov_b32_e32 v4, s2
	s_mov_b32 s2, 0x1409212f
	s_mov_b32 s3, 0x3e43988e
	s_delay_alu instid0(SALU_CYCLE_1)
	v_cmp_nlt_f64_e64 s1, |v[0:1]|, s[2:3]
	flat_store_b32 v[4:5], v8 dlc
	s_waitcnt_vscnt null, 0x0
	flat_load_b32 v4, v[4:5] glc dlc
	s_waitcnt vmcnt(0)
	v_cmp_nlt_f64_e64 s2, |v[2:3]|, s[2:3]
                                        ; implicit-def: $vgpr4_vgpr5
	s_delay_alu instid0(VALU_DEP_1) | instskip(NEXT) | instid1(SALU_CYCLE_1)
	s_or_b32 s1, s1, s2
	s_and_saveexec_b32 s2, s1
	s_delay_alu instid0(SALU_CYCLE_1)
	s_xor_b32 s11, exec_lo, s2
	s_cbranch_execz .LBB42_73
; %bb.6:
	v_add_f64 v[8:9], |v[0:1]|, 1.0
	s_waitcnt lgkmcnt(0)
	v_add_f64 v[4:5], |v[0:1]|, -1.0
	v_cmp_class_f64_e64 s2, v[2:3], 0x204
	s_delay_alu instid0(VALU_DEP_3) | instskip(NEXT) | instid1(VALU_DEP_3)
	v_max_f64 v[10:11], v[6:7], |v[8:9]|
	v_max_f64 v[6:7], v[6:7], |v[4:5]|
	v_cmp_class_f64_e64 s3, v[8:9], 0x204
	v_cmp_class_f64_e64 s4, v[4:5], 0x204
	s_delay_alu instid0(VALU_DEP_4) | instskip(NEXT) | instid1(VALU_DEP_4)
	v_frexp_exp_i32_f64_e32 v24, v[10:11]
	v_frexp_exp_i32_f64_e32 v25, v[6:7]
	s_delay_alu instid0(VALU_DEP_2) | instskip(NEXT) | instid1(VALU_DEP_2)
	v_sub_nc_u32_e32 v12, 0, v24
	v_sub_nc_u32_e32 v14, 0, v25
	s_delay_alu instid0(VALU_DEP_2) | instskip(NEXT) | instid1(VALU_DEP_2)
	v_ldexp_f64 v[6:7], |v[8:9]|, v12
	v_ldexp_f64 v[10:11], |v[4:5]|, v14
	;; [unrolled: 1-line block ×4, first 2 shown]
	s_delay_alu instid0(VALU_DEP_4) | instskip(NEXT) | instid1(VALU_DEP_4)
	v_mul_f64 v[6:7], v[6:7], v[6:7]
	v_mul_f64 v[10:11], v[10:11], v[10:11]
	s_delay_alu instid0(VALU_DEP_2) | instskip(NEXT) | instid1(VALU_DEP_2)
	v_fma_f64 v[6:7], v[12:13], v[12:13], v[6:7]
	v_fma_f64 v[10:11], v[14:15], v[14:15], v[10:11]
	s_delay_alu instid0(VALU_DEP_2) | instskip(NEXT) | instid1(VALU_DEP_1)
	v_rsq_f64_e32 v[12:13], v[6:7]
	v_rsq_f64_e32 v[14:15], v[10:11]
	v_cmp_eq_f64_e32 vcc_lo, 0, v[6:7]
	v_cmp_eq_f64_e64 s1, 0, v[10:11]
	s_waitcnt_depctr 0xfff
	v_mul_f64 v[16:17], v[6:7], v[12:13]
	v_mul_f64 v[12:13], v[12:13], 0.5
	v_mul_f64 v[18:19], v[10:11], v[14:15]
	v_mul_f64 v[14:15], v[14:15], 0.5
	s_delay_alu instid0(VALU_DEP_3) | instskip(NEXT) | instid1(VALU_DEP_2)
	v_fma_f64 v[20:21], -v[12:13], v[16:17], 0.5
	v_fma_f64 v[22:23], -v[14:15], v[18:19], 0.5
	s_delay_alu instid0(VALU_DEP_2) | instskip(SKIP_1) | instid1(VALU_DEP_3)
	v_fma_f64 v[16:17], v[16:17], v[20:21], v[16:17]
	v_fma_f64 v[12:13], v[12:13], v[20:21], v[12:13]
	;; [unrolled: 1-line block ×4, first 2 shown]
	s_delay_alu instid0(VALU_DEP_4) | instskip(NEXT) | instid1(VALU_DEP_3)
	v_fma_f64 v[20:21], -v[16:17], v[16:17], v[6:7]
	v_fma_f64 v[22:23], -v[18:19], v[18:19], v[10:11]
	s_delay_alu instid0(VALU_DEP_2) | instskip(NEXT) | instid1(VALU_DEP_2)
	v_fma_f64 v[12:13], v[20:21], v[12:13], v[16:17]
	v_fma_f64 v[14:15], v[22:23], v[14:15], v[18:19]
	s_delay_alu instid0(VALU_DEP_2) | instskip(NEXT) | instid1(VALU_DEP_2)
	v_dual_cndmask_b32 v7, v13, v7 :: v_dual_cndmask_b32 v6, v12, v6
	v_cndmask_b32_e64 v11, v15, v11, s1
	s_delay_alu instid0(VALU_DEP_3)
	v_cndmask_b32_e64 v10, v14, v10, s1
	v_cmp_o_f64_e64 vcc_lo, v[8:9], |v[2:3]|
	v_cmp_o_f64_e64 s1, v[4:5], |v[2:3]|
	v_ldexp_f64 v[6:7], v[6:7], v24
	v_and_b32_e32 v15, 0x7fffffff, v3
	v_ldexp_f64 v[10:11], v[10:11], v25
	s_delay_alu instid0(VALU_DEP_3) | instskip(NEXT) | instid1(VALU_DEP_4)
	v_cndmask_b32_e32 v6, 0, v6, vcc_lo
	v_cndmask_b32_e32 v7, 0x7ff80000, v7, vcc_lo
	s_delay_alu instid0(VALU_DEP_3) | instskip(NEXT) | instid1(VALU_DEP_4)
	v_cndmask_b32_e64 v10, 0, v10, s1
	v_cndmask_b32_e64 v11, 0x7ff80000, v11, s1
	s_or_b32 s1, s2, s3
	s_delay_alu instid0(VALU_DEP_3) | instid1(SALU_CYCLE_1)
	v_cndmask_b32_e64 v17, v7, 0x7ff00000, s1
	v_cndmask_b32_e64 v16, v6, 0, s1
	s_or_b32 s1, s2, s4
	s_delay_alu instid0(SALU_CYCLE_1) | instskip(SKIP_2) | instid1(VALU_DEP_1)
	v_cndmask_b32_e64 v13, v11, 0x7ff00000, s1
	v_cndmask_b32_e64 v12, v10, 0, s1
	s_mov_b32 s1, exec_lo
	v_add_f64 v[6:7], v[16:17], v[12:13]
	s_delay_alu instid0(VALU_DEP_1) | instskip(NEXT) | instid1(VALU_DEP_1)
	v_mul_f64 v[6:7], v[6:7], 0.5
	v_cmp_ngt_f64_e32 vcc_lo, 1.0, v[6:7]
	v_cndmask_b32_e32 v11, 0x3ff00000, v7, vcc_lo
	v_cndmask_b32_e32 v10, 0, v6, vcc_lo
                                        ; implicit-def: $vgpr6_vgpr7
	s_delay_alu instid0(VALU_DEP_1)
	v_cmpx_ngt_f64_e32 0x40240000, v[10:11]
	s_xor_b32 s1, exec_lo, s1
	s_cbranch_execz .LBB42_8
; %bb.7:
	v_fma_f64 v[6:7], v[10:11], v[10:11], -1.0
	s_mov_b32 s3, 0x3fe55555
	s_mov_b32 s2, 0x55555555
	;; [unrolled: 1-line block ×6, first 2 shown]
	s_delay_alu instid0(VALU_DEP_1) | instskip(SKIP_1) | instid1(VALU_DEP_1)
	v_cmp_gt_f64_e32 vcc_lo, 0x10000000, v[6:7]
	v_cndmask_b32_e64 v14, 0, 1, vcc_lo
	v_lshlrev_b32_e32 v14, 8, v14
	s_delay_alu instid0(VALU_DEP_1) | instskip(SKIP_1) | instid1(VALU_DEP_2)
	v_ldexp_f64 v[6:7], v[6:7], v14
	v_cndmask_b32_e64 v14, 0, 0xffffff80, vcc_lo
	v_rsq_f64_e32 v[18:19], v[6:7]
	v_cmp_class_f64_e64 vcc_lo, v[6:7], 0x260
	s_waitcnt_depctr 0xfff
	v_mul_f64 v[20:21], v[6:7], v[18:19]
	v_mul_f64 v[18:19], v[18:19], 0.5
	s_delay_alu instid0(VALU_DEP_1) | instskip(NEXT) | instid1(VALU_DEP_1)
	v_fma_f64 v[22:23], -v[18:19], v[20:21], 0.5
	v_fma_f64 v[20:21], v[20:21], v[22:23], v[20:21]
	v_fma_f64 v[18:19], v[18:19], v[22:23], v[18:19]
	s_delay_alu instid0(VALU_DEP_2) | instskip(NEXT) | instid1(VALU_DEP_1)
	v_fma_f64 v[22:23], -v[20:21], v[20:21], v[6:7]
	v_fma_f64 v[20:21], v[22:23], v[18:19], v[20:21]
	s_delay_alu instid0(VALU_DEP_1) | instskip(NEXT) | instid1(VALU_DEP_1)
	v_fma_f64 v[22:23], -v[20:21], v[20:21], v[6:7]
	v_fma_f64 v[18:19], v[22:23], v[18:19], v[20:21]
	v_mov_b32_e32 v20, 0
	s_delay_alu instid0(VALU_DEP_2) | instskip(NEXT) | instid1(VALU_DEP_1)
	v_ldexp_f64 v[18:19], v[18:19], v14
	v_dual_cndmask_b32 v7, v19, v7 :: v_dual_cndmask_b32 v6, v18, v6
	s_delay_alu instid0(VALU_DEP_1) | instskip(NEXT) | instid1(VALU_DEP_1)
	v_add_f64 v[6:7], v[10:11], v[6:7]
	v_frexp_mant_f64_e32 v[18:19], v[6:7]
	v_frexp_exp_i32_f64_e32 v14, v[6:7]
	s_delay_alu instid0(VALU_DEP_2) | instskip(SKIP_2) | instid1(VALU_DEP_3)
	v_cmp_gt_f64_e32 vcc_lo, s[2:3], v[18:19]
	s_mov_b32 s2, 0x55555780
	v_cndmask_b32_e64 v21, 0x3ff00000, 2.0, vcc_lo
	v_subrev_co_ci_u32_e32 v14, vcc_lo, 0, v14, vcc_lo
	v_cmp_class_f64_e64 vcc_lo, v[6:7], 0x204
	s_delay_alu instid0(VALU_DEP_3) | instskip(NEXT) | instid1(VALU_DEP_1)
	v_mul_f64 v[18:19], v[18:19], v[20:21]
	v_add_f64 v[20:21], v[18:19], 1.0
	v_add_f64 v[26:27], v[18:19], -1.0
	s_delay_alu instid0(VALU_DEP_2) | instskip(SKIP_1) | instid1(VALU_DEP_1)
	v_rcp_f64_e32 v[22:23], v[20:21]
	v_add_f64 v[28:29], v[20:21], -1.0
	v_add_f64 v[18:19], v[18:19], -v[28:29]
	s_waitcnt_depctr 0xfff
	v_fma_f64 v[24:25], -v[20:21], v[22:23], 1.0
	s_delay_alu instid0(VALU_DEP_1) | instskip(NEXT) | instid1(VALU_DEP_1)
	v_fma_f64 v[22:23], v[24:25], v[22:23], v[22:23]
	v_fma_f64 v[24:25], -v[20:21], v[22:23], 1.0
	s_delay_alu instid0(VALU_DEP_1) | instskip(NEXT) | instid1(VALU_DEP_1)
	v_fma_f64 v[22:23], v[24:25], v[22:23], v[22:23]
	v_mul_f64 v[24:25], v[26:27], v[22:23]
	s_delay_alu instid0(VALU_DEP_1) | instskip(NEXT) | instid1(VALU_DEP_1)
	v_mul_f64 v[30:31], v[20:21], v[24:25]
	v_fma_f64 v[20:21], v[24:25], v[20:21], -v[30:31]
	s_delay_alu instid0(VALU_DEP_1) | instskip(NEXT) | instid1(VALU_DEP_1)
	v_fma_f64 v[18:19], v[24:25], v[18:19], v[20:21]
	v_add_f64 v[20:21], v[30:31], v[18:19]
	s_delay_alu instid0(VALU_DEP_1) | instskip(SKIP_1) | instid1(VALU_DEP_2)
	v_add_f64 v[28:29], v[26:27], -v[20:21]
	v_add_f64 v[30:31], v[20:21], -v[30:31]
	;; [unrolled: 1-line block ×3, first 2 shown]
	s_delay_alu instid0(VALU_DEP_2) | instskip(NEXT) | instid1(VALU_DEP_2)
	v_add_f64 v[18:19], v[30:31], -v[18:19]
	v_add_f64 v[20:21], v[26:27], -v[20:21]
	s_delay_alu instid0(VALU_DEP_1) | instskip(NEXT) | instid1(VALU_DEP_1)
	v_add_f64 v[18:19], v[18:19], v[20:21]
	v_add_f64 v[18:19], v[28:29], v[18:19]
	s_delay_alu instid0(VALU_DEP_1) | instskip(NEXT) | instid1(VALU_DEP_1)
	v_mul_f64 v[18:19], v[22:23], v[18:19]
	v_add_f64 v[20:21], v[24:25], v[18:19]
	s_delay_alu instid0(VALU_DEP_1) | instskip(NEXT) | instid1(VALU_DEP_1)
	v_mul_f64 v[22:23], v[20:21], v[20:21]
	v_fma_f64 v[26:27], v[22:23], s[12:13], s[4:5]
	s_mov_b32 s4, 0xd7f4df2e
	s_mov_b32 s5, 0x3fc7474d
	v_mul_f64 v[28:29], v[20:21], v[22:23]
	s_delay_alu instid0(VALU_DEP_2)
	v_fma_f64 v[26:27], v[22:23], v[26:27], s[4:5]
	s_mov_b32 s4, 0x16291751
	s_mov_b32 s5, 0x3fcc71c0
	s_delay_alu instid0(VALU_DEP_1) | instid1(SALU_CYCLE_1)
	v_fma_f64 v[26:27], v[22:23], v[26:27], s[4:5]
	s_mov_b32 s4, 0x9b27acf1
	s_mov_b32 s5, 0x3fd24924
	s_delay_alu instid0(VALU_DEP_1) | instid1(SALU_CYCLE_1)
	;; [unrolled: 4-line block ×3, first 2 shown]
	v_fma_f64 v[26:27], v[22:23], v[26:27], s[4:5]
	s_delay_alu instid0(VALU_DEP_1) | instskip(SKIP_4) | instid1(VALU_DEP_3)
	v_fma_f64 v[22:23], v[22:23], v[26:27], s[2:3]
	v_ldexp_f64 v[26:27], v[20:21], 1
	v_add_f64 v[20:21], v[20:21], -v[24:25]
	s_mov_b32 s2, 0xfefa39ef
	s_mov_b32 s3, 0x3fe62e42
	v_mul_f64 v[22:23], v[28:29], v[22:23]
	v_cvt_f64_i32_e32 v[28:29], v14
	s_delay_alu instid0(VALU_DEP_3) | instskip(NEXT) | instid1(VALU_DEP_3)
	v_add_f64 v[18:19], v[18:19], -v[20:21]
	v_add_f64 v[24:25], v[26:27], v[22:23]
	s_delay_alu instid0(VALU_DEP_3) | instskip(NEXT) | instid1(VALU_DEP_3)
	v_mul_f64 v[30:31], v[28:29], s[2:3]
	v_ldexp_f64 v[18:19], v[18:19], 1
	s_delay_alu instid0(VALU_DEP_3) | instskip(NEXT) | instid1(VALU_DEP_3)
	v_add_f64 v[20:21], v[24:25], -v[26:27]
	v_fma_f64 v[26:27], v[28:29], s[2:3], -v[30:31]
	s_mov_b32 s2, 0x3b39803f
	s_mov_b32 s3, 0x3c7abc9e
	s_delay_alu instid0(VALU_DEP_2) | instskip(NEXT) | instid1(VALU_DEP_2)
	v_add_f64 v[20:21], v[22:23], -v[20:21]
	v_fma_f64 v[22:23], v[28:29], s[2:3], v[26:27]
	s_delay_alu instid0(VALU_DEP_2) | instskip(NEXT) | instid1(VALU_DEP_2)
	v_add_f64 v[18:19], v[18:19], v[20:21]
	v_add_f64 v[20:21], v[30:31], v[22:23]
	s_delay_alu instid0(VALU_DEP_2) | instskip(NEXT) | instid1(VALU_DEP_2)
	v_add_f64 v[26:27], v[24:25], v[18:19]
	v_add_f64 v[30:31], v[20:21], -v[30:31]
	s_delay_alu instid0(VALU_DEP_2) | instskip(SKIP_1) | instid1(VALU_DEP_3)
	v_add_f64 v[28:29], v[20:21], v[26:27]
	v_add_f64 v[24:25], v[26:27], -v[24:25]
	v_add_f64 v[22:23], v[22:23], -v[30:31]
	s_delay_alu instid0(VALU_DEP_3) | instskip(NEXT) | instid1(VALU_DEP_3)
	v_add_f64 v[32:33], v[28:29], -v[20:21]
	v_add_f64 v[18:19], v[18:19], -v[24:25]
	s_delay_alu instid0(VALU_DEP_2) | instskip(SKIP_1) | instid1(VALU_DEP_3)
	v_add_f64 v[34:35], v[28:29], -v[32:33]
	v_add_f64 v[24:25], v[26:27], -v[32:33]
	v_add_f64 v[26:27], v[22:23], v[18:19]
	s_delay_alu instid0(VALU_DEP_3) | instskip(NEXT) | instid1(VALU_DEP_1)
	v_add_f64 v[20:21], v[20:21], -v[34:35]
	v_add_f64 v[20:21], v[24:25], v[20:21]
	s_delay_alu instid0(VALU_DEP_3) | instskip(NEXT) | instid1(VALU_DEP_2)
	v_add_f64 v[24:25], v[26:27], -v[22:23]
	v_add_f64 v[20:21], v[26:27], v[20:21]
	s_delay_alu instid0(VALU_DEP_2) | instskip(SKIP_1) | instid1(VALU_DEP_3)
	v_add_f64 v[26:27], v[26:27], -v[24:25]
	v_add_f64 v[18:19], v[18:19], -v[24:25]
	v_add_f64 v[30:31], v[28:29], v[20:21]
	s_delay_alu instid0(VALU_DEP_3) | instskip(NEXT) | instid1(VALU_DEP_2)
	v_add_f64 v[22:23], v[22:23], -v[26:27]
	v_add_f64 v[24:25], v[30:31], -v[28:29]
	s_delay_alu instid0(VALU_DEP_2) | instskip(NEXT) | instid1(VALU_DEP_2)
	v_add_f64 v[18:19], v[18:19], v[22:23]
	v_add_f64 v[20:21], v[20:21], -v[24:25]
	s_delay_alu instid0(VALU_DEP_1) | instskip(NEXT) | instid1(VALU_DEP_1)
	v_add_f64 v[18:19], v[18:19], v[20:21]
	v_add_f64 v[18:19], v[30:31], v[18:19]
	s_delay_alu instid0(VALU_DEP_1) | instskip(NEXT) | instid1(VALU_DEP_2)
	v_cndmask_b32_e32 v14, v18, v6, vcc_lo
	v_cndmask_b32_e32 v18, v19, v7, vcc_lo
	v_cmp_neq_f64_e32 vcc_lo, 0, v[6:7]
	s_delay_alu instid0(VALU_DEP_2) | instskip(NEXT) | instid1(VALU_DEP_4)
	v_cndmask_b32_e32 v7, 0xfff00000, v18, vcc_lo
	v_cndmask_b32_e32 v6, 0, v14, vcc_lo
.LBB42_8:
	s_or_saveexec_b32 s1, s1
	v_mov_b32_e32 v14, v2
	s_xor_b32 exec_lo, exec_lo, s1
	s_cbranch_execz .LBB42_30
; %bb.9:
	v_cmp_neq_f64_e64 s2, |v[0:1]|, 1.0
	v_cmp_ngt_f64_e64 s3, 0x39000000, |v[2:3]|
                                        ; implicit-def: $vgpr6_vgpr7
	s_delay_alu instid0(VALU_DEP_1) | instskip(NEXT) | instid1(SALU_CYCLE_1)
	s_or_b32 s2, s2, s3
	s_and_saveexec_b32 s3, s2
	s_delay_alu instid0(SALU_CYCLE_1)
	s_xor_b32 s4, exec_lo, s3
	s_cbranch_execz .LBB42_27
; %bb.10:
	v_ldexp_f64 v[6:7], |v[4:5]|, 0xffffffcc
	s_delay_alu instid0(VALU_DEP_1) | instskip(NEXT) | instid1(VALU_DEP_1)
	v_cmp_le_f64_e64 s2, v[6:7], |v[2:3]|
                                        ; implicit-def: $vgpr6_vgpr7
	s_and_saveexec_b32 s3, s2
	s_delay_alu instid0(SALU_CYCLE_1)
	s_xor_b32 s5, exec_lo, s3
	s_cbranch_execz .LBB42_20
; %bb.11:
	v_dual_mov_b32 v6, v14 :: v_dual_mov_b32 v7, v15
	s_mov_b32 s2, exec_lo
	v_cmpx_neq_f64_e32 0, v[8:9]
	s_cbranch_execz .LBB42_13
; %bb.12:
	v_mul_f64 v[6:7], v[2:3], v[2:3]
	v_add_f64 v[18:19], v[8:9], v[16:17]
	s_delay_alu instid0(VALU_DEP_1) | instskip(NEXT) | instid1(VALU_DEP_1)
	v_div_scale_f64 v[20:21], null, v[18:19], v[18:19], v[6:7]
	v_rcp_f64_e32 v[22:23], v[20:21]
	s_waitcnt_depctr 0xfff
	v_fma_f64 v[24:25], -v[20:21], v[22:23], 1.0
	s_delay_alu instid0(VALU_DEP_1) | instskip(NEXT) | instid1(VALU_DEP_1)
	v_fma_f64 v[22:23], v[22:23], v[24:25], v[22:23]
	v_fma_f64 v[24:25], -v[20:21], v[22:23], 1.0
	s_delay_alu instid0(VALU_DEP_1) | instskip(SKIP_1) | instid1(VALU_DEP_1)
	v_fma_f64 v[22:23], v[22:23], v[24:25], v[22:23]
	v_div_scale_f64 v[24:25], vcc_lo, v[6:7], v[18:19], v[6:7]
	v_mul_f64 v[26:27], v[24:25], v[22:23]
	s_delay_alu instid0(VALU_DEP_1) | instskip(NEXT) | instid1(VALU_DEP_1)
	v_fma_f64 v[20:21], -v[20:21], v[26:27], v[24:25]
	v_div_fmas_f64 v[20:21], v[20:21], v[22:23], v[26:27]
	s_delay_alu instid0(VALU_DEP_1)
	v_div_fixup_f64 v[6:7], v[20:21], v[18:19], v[6:7]
.LBB42_13:
	s_or_b32 exec_lo, exec_lo, s2
	v_add_f64 v[20:21], -|v[0:1]|, 1.0
	s_mov_b32 s2, exec_lo
                                        ; implicit-def: $vgpr18_vgpr19
	s_delay_alu instid0(VALU_DEP_1)
	v_cmpx_ngt_f64_e32 0, v[20:21]
	s_xor_b32 s2, exec_lo, s2
	s_cbranch_execz .LBB42_17
; %bb.14:
	v_dual_mov_b32 v19, v15 :: v_dual_mov_b32 v18, v14
	s_mov_b32 s3, exec_lo
	v_cmpx_neq_f64_e32 0, v[20:21]
	s_cbranch_execz .LBB42_16
; %bb.15:
	v_mul_f64 v[18:19], v[2:3], v[2:3]
	v_add_f64 v[20:21], v[20:21], v[12:13]
	s_delay_alu instid0(VALU_DEP_1) | instskip(NEXT) | instid1(VALU_DEP_1)
	v_div_scale_f64 v[22:23], null, v[20:21], v[20:21], v[18:19]
	v_rcp_f64_e32 v[24:25], v[22:23]
	s_waitcnt_depctr 0xfff
	v_fma_f64 v[26:27], -v[22:23], v[24:25], 1.0
	s_delay_alu instid0(VALU_DEP_1) | instskip(NEXT) | instid1(VALU_DEP_1)
	v_fma_f64 v[24:25], v[24:25], v[26:27], v[24:25]
	v_fma_f64 v[26:27], -v[22:23], v[24:25], 1.0
	s_delay_alu instid0(VALU_DEP_1) | instskip(SKIP_1) | instid1(VALU_DEP_1)
	v_fma_f64 v[24:25], v[24:25], v[26:27], v[24:25]
	v_div_scale_f64 v[26:27], vcc_lo, v[18:19], v[20:21], v[18:19]
	v_mul_f64 v[28:29], v[26:27], v[24:25]
	s_delay_alu instid0(VALU_DEP_1) | instskip(NEXT) | instid1(VALU_DEP_1)
	v_fma_f64 v[22:23], -v[22:23], v[28:29], v[26:27]
	v_div_fmas_f64 v[22:23], v[22:23], v[24:25], v[28:29]
	s_delay_alu instid0(VALU_DEP_1)
	v_div_fixup_f64 v[18:19], v[22:23], v[20:21], v[18:19]
.LBB42_16:
	s_or_b32 exec_lo, exec_lo, s3
                                        ; implicit-def: $vgpr20_vgpr21
.LBB42_17:
	s_and_not1_saveexec_b32 s2, s2
; %bb.18:
	v_add_f64 v[18:19], v[12:13], -v[20:21]
; %bb.19:
	s_or_b32 exec_lo, exec_lo, s2
	s_delay_alu instid0(VALU_DEP_1)
	v_mul_f64 v[18:19], v[18:19], 0.5
	v_add_f64 v[20:21], v[10:11], 1.0
	s_mov_b32 s3, 0x3fe55555
	s_mov_b32 s2, 0x55555555
	;; [unrolled: 1-line block ×6, first 2 shown]
	s_delay_alu instid0(VALU_DEP_2) | instskip(NEXT) | instid1(VALU_DEP_1)
	v_fma_f64 v[6:7], v[6:7], 0.5, v[18:19]
	v_mul_f64 v[18:19], v[20:21], v[6:7]
	s_delay_alu instid0(VALU_DEP_1) | instskip(SKIP_1) | instid1(VALU_DEP_1)
	v_cmp_gt_f64_e32 vcc_lo, 0x10000000, v[18:19]
	v_cndmask_b32_e64 v20, 0, 1, vcc_lo
	v_lshlrev_b32_e32 v20, 8, v20
	s_delay_alu instid0(VALU_DEP_1) | instskip(NEXT) | instid1(VALU_DEP_1)
	v_ldexp_f64 v[18:19], v[18:19], v20
	v_rsq_f64_e32 v[20:21], v[18:19]
	s_waitcnt_depctr 0xfff
	v_mul_f64 v[22:23], v[18:19], v[20:21]
	v_mul_f64 v[20:21], v[20:21], 0.5
	s_delay_alu instid0(VALU_DEP_1) | instskip(NEXT) | instid1(VALU_DEP_1)
	v_fma_f64 v[24:25], -v[20:21], v[22:23], 0.5
	v_fma_f64 v[22:23], v[22:23], v[24:25], v[22:23]
	v_fma_f64 v[20:21], v[20:21], v[24:25], v[20:21]
	s_delay_alu instid0(VALU_DEP_2) | instskip(NEXT) | instid1(VALU_DEP_1)
	v_fma_f64 v[24:25], -v[22:23], v[22:23], v[18:19]
	v_fma_f64 v[22:23], v[24:25], v[20:21], v[22:23]
	s_delay_alu instid0(VALU_DEP_1) | instskip(NEXT) | instid1(VALU_DEP_1)
	v_fma_f64 v[24:25], -v[22:23], v[22:23], v[18:19]
	v_fma_f64 v[20:21], v[24:25], v[20:21], v[22:23]
	v_cndmask_b32_e64 v22, 0, 0xffffff80, vcc_lo
	v_cmp_class_f64_e64 vcc_lo, v[18:19], 0x260
	s_delay_alu instid0(VALU_DEP_2) | instskip(NEXT) | instid1(VALU_DEP_1)
	v_ldexp_f64 v[20:21], v[20:21], v22
	v_dual_cndmask_b32 v19, v21, v19 :: v_dual_cndmask_b32 v18, v20, v18
	s_delay_alu instid0(VALU_DEP_1) | instskip(NEXT) | instid1(VALU_DEP_1)
	v_add_f64 v[18:19], v[6:7], v[18:19]
	v_add_f64 v[6:7], v[18:19], 1.0
	s_delay_alu instid0(VALU_DEP_1) | instskip(SKIP_2) | instid1(VALU_DEP_3)
	v_frexp_mant_f64_e32 v[20:21], v[6:7]
	v_frexp_exp_i32_f64_e32 v24, v[6:7]
	v_add_f64 v[22:23], v[6:7], -1.0
	v_cmp_gt_f64_e32 vcc_lo, s[2:3], v[20:21]
	s_mov_b32 s2, 0x55555780
	s_delay_alu instid0(VALU_DEP_2) | instskip(SKIP_2) | instid1(VALU_DEP_3)
	v_add_f64 v[20:21], v[22:23], -v[6:7]
	v_add_f64 v[22:23], v[18:19], -v[22:23]
	v_subrev_co_ci_u32_e32 v48, vcc_lo, 0, v24, vcc_lo
	v_add_f64 v[20:21], v[20:21], 1.0
	v_cmp_eq_f64_e32 vcc_lo, 0x7ff00000, v[18:19]
	s_delay_alu instid0(VALU_DEP_3) | instskip(NEXT) | instid1(VALU_DEP_1)
	v_sub_nc_u32_e32 v26, 0, v48
	v_ldexp_f64 v[6:7], v[6:7], v26
	s_delay_alu instid0(VALU_DEP_4) | instskip(NEXT) | instid1(VALU_DEP_2)
	v_add_f64 v[20:21], v[22:23], v[20:21]
	v_add_f64 v[24:25], v[6:7], 1.0
	v_add_f64 v[30:31], v[6:7], -1.0
	s_delay_alu instid0(VALU_DEP_3) | instskip(NEXT) | instid1(VALU_DEP_3)
	v_ldexp_f64 v[20:21], v[20:21], v26
	v_add_f64 v[22:23], v[24:25], -1.0
	s_delay_alu instid0(VALU_DEP_3) | instskip(NEXT) | instid1(VALU_DEP_2)
	v_add_f64 v[32:33], v[30:31], 1.0
	v_add_f64 v[22:23], v[6:7], -v[22:23]
	s_delay_alu instid0(VALU_DEP_2) | instskip(NEXT) | instid1(VALU_DEP_2)
	v_add_f64 v[6:7], v[6:7], -v[32:33]
	v_add_f64 v[22:23], v[20:21], v[22:23]
	s_delay_alu instid0(VALU_DEP_2) | instskip(NEXT) | instid1(VALU_DEP_2)
	v_add_f64 v[6:7], v[20:21], v[6:7]
	v_add_f64 v[26:27], v[24:25], v[22:23]
	s_delay_alu instid0(VALU_DEP_2) | instskip(NEXT) | instid1(VALU_DEP_2)
	v_add_f64 v[32:33], v[30:31], v[6:7]
	v_rcp_f64_e32 v[28:29], v[26:27]
	v_add_f64 v[24:25], v[26:27], -v[24:25]
	s_delay_alu instid0(VALU_DEP_2) | instskip(NEXT) | instid1(VALU_DEP_2)
	v_add_f64 v[30:31], v[32:33], -v[30:31]
	v_add_f64 v[22:23], v[22:23], -v[24:25]
	s_waitcnt_depctr 0xfff
	v_fma_f64 v[34:35], -v[26:27], v[28:29], 1.0
	v_add_f64 v[6:7], v[6:7], -v[30:31]
	s_delay_alu instid0(VALU_DEP_2) | instskip(NEXT) | instid1(VALU_DEP_1)
	v_fma_f64 v[28:29], v[34:35], v[28:29], v[28:29]
	v_fma_f64 v[20:21], -v[26:27], v[28:29], 1.0
	s_delay_alu instid0(VALU_DEP_1) | instskip(NEXT) | instid1(VALU_DEP_1)
	v_fma_f64 v[20:21], v[20:21], v[28:29], v[28:29]
	v_mul_f64 v[28:29], v[32:33], v[20:21]
	s_delay_alu instid0(VALU_DEP_1) | instskip(NEXT) | instid1(VALU_DEP_1)
	v_mul_f64 v[34:35], v[26:27], v[28:29]
	v_fma_f64 v[24:25], v[28:29], v[26:27], -v[34:35]
	s_delay_alu instid0(VALU_DEP_1) | instskip(NEXT) | instid1(VALU_DEP_1)
	v_fma_f64 v[24:25], v[28:29], v[22:23], v[24:25]
	v_add_f64 v[36:37], v[34:35], v[24:25]
	s_delay_alu instid0(VALU_DEP_1) | instskip(SKIP_1) | instid1(VALU_DEP_2)
	v_add_f64 v[38:39], v[32:33], -v[36:37]
	v_add_f64 v[30:31], v[36:37], -v[34:35]
	;; [unrolled: 1-line block ×3, first 2 shown]
	s_delay_alu instid0(VALU_DEP_2) | instskip(NEXT) | instid1(VALU_DEP_2)
	v_add_f64 v[24:25], v[30:31], -v[24:25]
	v_add_f64 v[32:33], v[32:33], -v[36:37]
	s_delay_alu instid0(VALU_DEP_1) | instskip(NEXT) | instid1(VALU_DEP_1)
	v_add_f64 v[6:7], v[6:7], v[32:33]
	v_add_f64 v[6:7], v[24:25], v[6:7]
	s_delay_alu instid0(VALU_DEP_1) | instskip(NEXT) | instid1(VALU_DEP_1)
	v_add_f64 v[24:25], v[38:39], v[6:7]
	v_mul_f64 v[30:31], v[20:21], v[24:25]
	v_add_f64 v[36:37], v[38:39], -v[24:25]
	s_delay_alu instid0(VALU_DEP_2) | instskip(NEXT) | instid1(VALU_DEP_2)
	v_mul_f64 v[32:33], v[26:27], v[30:31]
	v_add_f64 v[6:7], v[6:7], v[36:37]
	s_delay_alu instid0(VALU_DEP_2) | instskip(NEXT) | instid1(VALU_DEP_1)
	v_fma_f64 v[26:27], v[30:31], v[26:27], -v[32:33]
	v_fma_f64 v[22:23], v[30:31], v[22:23], v[26:27]
	s_delay_alu instid0(VALU_DEP_1) | instskip(NEXT) | instid1(VALU_DEP_1)
	v_add_f64 v[26:27], v[32:33], v[22:23]
	v_add_f64 v[34:35], v[24:25], -v[26:27]
	v_add_f64 v[32:33], v[26:27], -v[32:33]
	s_delay_alu instid0(VALU_DEP_2) | instskip(NEXT) | instid1(VALU_DEP_2)
	v_add_f64 v[24:25], v[24:25], -v[34:35]
	v_add_f64 v[22:23], v[32:33], -v[22:23]
	s_delay_alu instid0(VALU_DEP_2) | instskip(NEXT) | instid1(VALU_DEP_1)
	v_add_f64 v[24:25], v[24:25], -v[26:27]
	v_add_f64 v[6:7], v[6:7], v[24:25]
	v_add_f64 v[24:25], v[28:29], v[30:31]
	s_delay_alu instid0(VALU_DEP_2) | instskip(NEXT) | instid1(VALU_DEP_2)
	v_add_f64 v[6:7], v[22:23], v[6:7]
	v_add_f64 v[22:23], v[24:25], -v[28:29]
	s_delay_alu instid0(VALU_DEP_2) | instskip(NEXT) | instid1(VALU_DEP_2)
	v_add_f64 v[6:7], v[34:35], v[6:7]
	v_add_f64 v[22:23], v[30:31], -v[22:23]
	s_delay_alu instid0(VALU_DEP_2) | instskip(NEXT) | instid1(VALU_DEP_1)
	v_mul_f64 v[6:7], v[20:21], v[6:7]
	v_add_f64 v[6:7], v[22:23], v[6:7]
	s_delay_alu instid0(VALU_DEP_1) | instskip(NEXT) | instid1(VALU_DEP_1)
	v_add_f64 v[20:21], v[24:25], v[6:7]
	v_mul_f64 v[22:23], v[20:21], v[20:21]
	s_delay_alu instid0(VALU_DEP_1) | instskip(SKIP_3) | instid1(VALU_DEP_2)
	v_fma_f64 v[26:27], v[22:23], s[14:15], s[12:13]
	s_mov_b32 s12, 0xd7f4df2e
	s_mov_b32 s13, 0x3fc7474d
	v_mul_f64 v[28:29], v[20:21], v[22:23]
	v_fma_f64 v[26:27], v[22:23], v[26:27], s[12:13]
	s_mov_b32 s12, 0x16291751
	s_mov_b32 s13, 0x3fcc71c0
	s_delay_alu instid0(VALU_DEP_1) | instid1(SALU_CYCLE_1)
	v_fma_f64 v[26:27], v[22:23], v[26:27], s[12:13]
	s_mov_b32 s12, 0x9b27acf1
	s_mov_b32 s13, 0x3fd24924
	s_delay_alu instid0(VALU_DEP_1) | instid1(SALU_CYCLE_1)
	;; [unrolled: 4-line block ×3, first 2 shown]
	v_fma_f64 v[26:27], v[22:23], v[26:27], s[12:13]
	s_delay_alu instid0(VALU_DEP_1) | instskip(SKIP_4) | instid1(VALU_DEP_3)
	v_fma_f64 v[22:23], v[22:23], v[26:27], s[2:3]
	v_ldexp_f64 v[26:27], v[20:21], 1
	v_add_f64 v[20:21], v[20:21], -v[24:25]
	s_mov_b32 s2, 0xfefa39ef
	s_mov_b32 s3, 0x3fe62e42
	v_mul_f64 v[22:23], v[28:29], v[22:23]
	v_cvt_f64_i32_e32 v[28:29], v48
	s_delay_alu instid0(VALU_DEP_3) | instskip(NEXT) | instid1(VALU_DEP_3)
	v_add_f64 v[6:7], v[6:7], -v[20:21]
	v_add_f64 v[24:25], v[26:27], v[22:23]
	s_delay_alu instid0(VALU_DEP_3) | instskip(NEXT) | instid1(VALU_DEP_3)
	v_mul_f64 v[30:31], v[28:29], s[2:3]
	v_ldexp_f64 v[6:7], v[6:7], 1
	s_delay_alu instid0(VALU_DEP_3) | instskip(NEXT) | instid1(VALU_DEP_3)
	v_add_f64 v[20:21], v[24:25], -v[26:27]
	v_fma_f64 v[26:27], v[28:29], s[2:3], -v[30:31]
	s_mov_b32 s2, 0x3b39803f
	s_mov_b32 s3, 0x3c7abc9e
	s_delay_alu instid0(VALU_DEP_2) | instskip(NEXT) | instid1(VALU_DEP_2)
	v_add_f64 v[20:21], v[22:23], -v[20:21]
	v_fma_f64 v[22:23], v[28:29], s[2:3], v[26:27]
	s_delay_alu instid0(VALU_DEP_2) | instskip(NEXT) | instid1(VALU_DEP_2)
	v_add_f64 v[6:7], v[6:7], v[20:21]
	v_add_f64 v[20:21], v[30:31], v[22:23]
	s_delay_alu instid0(VALU_DEP_2) | instskip(NEXT) | instid1(VALU_DEP_2)
	v_add_f64 v[26:27], v[24:25], v[6:7]
	v_add_f64 v[30:31], v[20:21], -v[30:31]
	s_delay_alu instid0(VALU_DEP_2) | instskip(SKIP_1) | instid1(VALU_DEP_3)
	v_add_f64 v[28:29], v[20:21], v[26:27]
	v_add_f64 v[24:25], v[26:27], -v[24:25]
	v_add_f64 v[22:23], v[22:23], -v[30:31]
	s_delay_alu instid0(VALU_DEP_3) | instskip(NEXT) | instid1(VALU_DEP_3)
	v_add_f64 v[32:33], v[28:29], -v[20:21]
	v_add_f64 v[6:7], v[6:7], -v[24:25]
	s_delay_alu instid0(VALU_DEP_2) | instskip(SKIP_1) | instid1(VALU_DEP_3)
	v_add_f64 v[34:35], v[28:29], -v[32:33]
	v_add_f64 v[24:25], v[26:27], -v[32:33]
	v_add_f64 v[26:27], v[22:23], v[6:7]
	s_delay_alu instid0(VALU_DEP_3) | instskip(NEXT) | instid1(VALU_DEP_1)
	v_add_f64 v[20:21], v[20:21], -v[34:35]
	v_add_f64 v[20:21], v[24:25], v[20:21]
	s_delay_alu instid0(VALU_DEP_3) | instskip(NEXT) | instid1(VALU_DEP_2)
	v_add_f64 v[24:25], v[26:27], -v[22:23]
	v_add_f64 v[20:21], v[26:27], v[20:21]
	s_delay_alu instid0(VALU_DEP_2) | instskip(SKIP_1) | instid1(VALU_DEP_3)
	v_add_f64 v[26:27], v[26:27], -v[24:25]
	v_add_f64 v[6:7], v[6:7], -v[24:25]
	v_add_f64 v[30:31], v[28:29], v[20:21]
	s_delay_alu instid0(VALU_DEP_3) | instskip(NEXT) | instid1(VALU_DEP_2)
	v_add_f64 v[22:23], v[22:23], -v[26:27]
	v_add_f64 v[24:25], v[30:31], -v[28:29]
	s_delay_alu instid0(VALU_DEP_2) | instskip(NEXT) | instid1(VALU_DEP_2)
	v_add_f64 v[6:7], v[6:7], v[22:23]
	v_add_f64 v[20:21], v[20:21], -v[24:25]
	s_delay_alu instid0(VALU_DEP_1) | instskip(NEXT) | instid1(VALU_DEP_1)
	v_add_f64 v[6:7], v[6:7], v[20:21]
	v_add_f64 v[6:7], v[30:31], v[6:7]
	s_delay_alu instid0(VALU_DEP_1) | instskip(SKIP_1) | instid1(VALU_DEP_2)
	v_dual_cndmask_b32 v7, v7, v19 :: v_dual_cndmask_b32 v6, v6, v18
	v_cmp_ngt_f64_e32 vcc_lo, -1.0, v[18:19]
	v_cndmask_b32_e32 v7, 0x7ff80000, v7, vcc_lo
	v_cmp_nge_f64_e32 vcc_lo, -1.0, v[18:19]
	s_delay_alu instid0(VALU_DEP_4) | instskip(SKIP_1) | instid1(VALU_DEP_4)
	v_cndmask_b32_e32 v6, 0, v6, vcc_lo
	v_cmp_neq_f64_e32 vcc_lo, -1.0, v[18:19]
	v_cndmask_b32_e32 v7, 0xfff00000, v7, vcc_lo
.LBB42_20:
	s_and_not1_saveexec_b32 s5, s5
	s_cbranch_execz .LBB42_26
; %bb.21:
                                        ; implicit-def: $vgpr6_vgpr7
	s_mov_b32 s3, exec_lo
	v_cmpx_nlt_f64_e64 |v[0:1]|, 1.0
	s_xor_b32 s12, exec_lo, s3
	s_cbranch_execz .LBB42_23
; %bb.22:
	v_mul_f64 v[6:7], v[4:5], v[8:9]
	s_mov_b32 s3, 0x3fe55555
	s_mov_b32 s2, 0x55555555
	;; [unrolled: 1-line block ×6, first 2 shown]
	s_delay_alu instid0(VALU_DEP_1) | instskip(SKIP_1) | instid1(VALU_DEP_1)
	v_cmp_gt_f64_e32 vcc_lo, 0x10000000, v[6:7]
	v_cndmask_b32_e64 v18, 0, 1, vcc_lo
	v_lshlrev_b32_e32 v18, 8, v18
	s_delay_alu instid0(VALU_DEP_1) | instskip(NEXT) | instid1(VALU_DEP_1)
	v_ldexp_f64 v[6:7], v[6:7], v18
	v_rsq_f64_e32 v[18:19], v[6:7]
	s_waitcnt_depctr 0xfff
	v_mul_f64 v[20:21], v[6:7], v[18:19]
	v_mul_f64 v[18:19], v[18:19], 0.5
	s_delay_alu instid0(VALU_DEP_1) | instskip(NEXT) | instid1(VALU_DEP_1)
	v_fma_f64 v[22:23], -v[18:19], v[20:21], 0.5
	v_fma_f64 v[20:21], v[20:21], v[22:23], v[20:21]
	v_fma_f64 v[18:19], v[18:19], v[22:23], v[18:19]
	s_delay_alu instid0(VALU_DEP_2) | instskip(NEXT) | instid1(VALU_DEP_1)
	v_fma_f64 v[22:23], -v[20:21], v[20:21], v[6:7]
	v_fma_f64 v[20:21], v[22:23], v[18:19], v[20:21]
	s_delay_alu instid0(VALU_DEP_1) | instskip(NEXT) | instid1(VALU_DEP_1)
	v_fma_f64 v[22:23], -v[20:21], v[20:21], v[6:7]
	v_fma_f64 v[18:19], v[22:23], v[18:19], v[20:21]
	v_cndmask_b32_e64 v20, 0, 0xffffff80, vcc_lo
	v_cmp_class_f64_e64 vcc_lo, v[6:7], 0x260
	s_delay_alu instid0(VALU_DEP_2) | instskip(NEXT) | instid1(VALU_DEP_1)
	v_ldexp_f64 v[18:19], v[18:19], v20
	v_dual_cndmask_b32 v7, v19, v7 :: v_dual_cndmask_b32 v6, v18, v6
	s_delay_alu instid0(VALU_DEP_1) | instskip(NEXT) | instid1(VALU_DEP_1)
	v_add_f64 v[18:19], v[4:5], v[6:7]
	v_add_f64 v[6:7], v[18:19], 1.0
	s_delay_alu instid0(VALU_DEP_1) | instskip(SKIP_2) | instid1(VALU_DEP_3)
	v_frexp_mant_f64_e32 v[20:21], v[6:7]
	v_frexp_exp_i32_f64_e32 v24, v[6:7]
	v_add_f64 v[22:23], v[6:7], -1.0
	v_cmp_gt_f64_e32 vcc_lo, s[2:3], v[20:21]
	s_mov_b32 s2, 0x55555780
	s_delay_alu instid0(VALU_DEP_2) | instskip(SKIP_2) | instid1(VALU_DEP_3)
	v_add_f64 v[20:21], v[22:23], -v[6:7]
	v_add_f64 v[22:23], v[18:19], -v[22:23]
	v_subrev_co_ci_u32_e32 v48, vcc_lo, 0, v24, vcc_lo
	v_add_f64 v[20:21], v[20:21], 1.0
	v_cmp_eq_f64_e32 vcc_lo, 0x7ff00000, v[18:19]
	s_delay_alu instid0(VALU_DEP_3) | instskip(NEXT) | instid1(VALU_DEP_1)
	v_sub_nc_u32_e32 v26, 0, v48
	v_ldexp_f64 v[6:7], v[6:7], v26
	s_delay_alu instid0(VALU_DEP_4) | instskip(NEXT) | instid1(VALU_DEP_2)
	v_add_f64 v[20:21], v[22:23], v[20:21]
	v_add_f64 v[24:25], v[6:7], 1.0
	v_add_f64 v[30:31], v[6:7], -1.0
	s_delay_alu instid0(VALU_DEP_3) | instskip(NEXT) | instid1(VALU_DEP_3)
	v_ldexp_f64 v[20:21], v[20:21], v26
	v_add_f64 v[22:23], v[24:25], -1.0
	s_delay_alu instid0(VALU_DEP_3) | instskip(NEXT) | instid1(VALU_DEP_2)
	v_add_f64 v[32:33], v[30:31], 1.0
	v_add_f64 v[22:23], v[6:7], -v[22:23]
	s_delay_alu instid0(VALU_DEP_2) | instskip(NEXT) | instid1(VALU_DEP_2)
	v_add_f64 v[6:7], v[6:7], -v[32:33]
	v_add_f64 v[22:23], v[20:21], v[22:23]
	s_delay_alu instid0(VALU_DEP_2) | instskip(NEXT) | instid1(VALU_DEP_2)
	v_add_f64 v[6:7], v[20:21], v[6:7]
	v_add_f64 v[26:27], v[24:25], v[22:23]
	s_delay_alu instid0(VALU_DEP_2) | instskip(NEXT) | instid1(VALU_DEP_2)
	v_add_f64 v[32:33], v[30:31], v[6:7]
	v_rcp_f64_e32 v[28:29], v[26:27]
	v_add_f64 v[24:25], v[26:27], -v[24:25]
	s_delay_alu instid0(VALU_DEP_2) | instskip(NEXT) | instid1(VALU_DEP_2)
	v_add_f64 v[30:31], v[32:33], -v[30:31]
	v_add_f64 v[22:23], v[22:23], -v[24:25]
	s_waitcnt_depctr 0xfff
	v_fma_f64 v[34:35], -v[26:27], v[28:29], 1.0
	v_add_f64 v[6:7], v[6:7], -v[30:31]
	s_delay_alu instid0(VALU_DEP_2) | instskip(NEXT) | instid1(VALU_DEP_1)
	v_fma_f64 v[28:29], v[34:35], v[28:29], v[28:29]
	v_fma_f64 v[20:21], -v[26:27], v[28:29], 1.0
	s_delay_alu instid0(VALU_DEP_1) | instskip(NEXT) | instid1(VALU_DEP_1)
	v_fma_f64 v[20:21], v[20:21], v[28:29], v[28:29]
	v_mul_f64 v[28:29], v[32:33], v[20:21]
	s_delay_alu instid0(VALU_DEP_1) | instskip(NEXT) | instid1(VALU_DEP_1)
	v_mul_f64 v[34:35], v[26:27], v[28:29]
	v_fma_f64 v[24:25], v[28:29], v[26:27], -v[34:35]
	s_delay_alu instid0(VALU_DEP_1) | instskip(NEXT) | instid1(VALU_DEP_1)
	v_fma_f64 v[24:25], v[28:29], v[22:23], v[24:25]
	v_add_f64 v[36:37], v[34:35], v[24:25]
	s_delay_alu instid0(VALU_DEP_1) | instskip(SKIP_1) | instid1(VALU_DEP_2)
	v_add_f64 v[38:39], v[32:33], -v[36:37]
	v_add_f64 v[30:31], v[36:37], -v[34:35]
	;; [unrolled: 1-line block ×3, first 2 shown]
	s_delay_alu instid0(VALU_DEP_2) | instskip(NEXT) | instid1(VALU_DEP_2)
	v_add_f64 v[24:25], v[30:31], -v[24:25]
	v_add_f64 v[32:33], v[32:33], -v[36:37]
	s_delay_alu instid0(VALU_DEP_1) | instskip(NEXT) | instid1(VALU_DEP_1)
	v_add_f64 v[6:7], v[6:7], v[32:33]
	v_add_f64 v[6:7], v[24:25], v[6:7]
	s_delay_alu instid0(VALU_DEP_1) | instskip(NEXT) | instid1(VALU_DEP_1)
	v_add_f64 v[24:25], v[38:39], v[6:7]
	v_mul_f64 v[30:31], v[20:21], v[24:25]
	v_add_f64 v[36:37], v[38:39], -v[24:25]
	s_delay_alu instid0(VALU_DEP_2) | instskip(NEXT) | instid1(VALU_DEP_2)
	v_mul_f64 v[32:33], v[26:27], v[30:31]
	v_add_f64 v[6:7], v[6:7], v[36:37]
	s_delay_alu instid0(VALU_DEP_2) | instskip(NEXT) | instid1(VALU_DEP_1)
	v_fma_f64 v[26:27], v[30:31], v[26:27], -v[32:33]
	v_fma_f64 v[22:23], v[30:31], v[22:23], v[26:27]
	s_delay_alu instid0(VALU_DEP_1) | instskip(NEXT) | instid1(VALU_DEP_1)
	v_add_f64 v[26:27], v[32:33], v[22:23]
	v_add_f64 v[34:35], v[24:25], -v[26:27]
	v_add_f64 v[32:33], v[26:27], -v[32:33]
	s_delay_alu instid0(VALU_DEP_2) | instskip(NEXT) | instid1(VALU_DEP_2)
	v_add_f64 v[24:25], v[24:25], -v[34:35]
	v_add_f64 v[22:23], v[32:33], -v[22:23]
	s_delay_alu instid0(VALU_DEP_2) | instskip(NEXT) | instid1(VALU_DEP_1)
	v_add_f64 v[24:25], v[24:25], -v[26:27]
	v_add_f64 v[6:7], v[6:7], v[24:25]
	v_add_f64 v[24:25], v[28:29], v[30:31]
	s_delay_alu instid0(VALU_DEP_2) | instskip(NEXT) | instid1(VALU_DEP_2)
	v_add_f64 v[6:7], v[22:23], v[6:7]
	v_add_f64 v[22:23], v[24:25], -v[28:29]
	s_delay_alu instid0(VALU_DEP_2) | instskip(NEXT) | instid1(VALU_DEP_2)
	v_add_f64 v[6:7], v[34:35], v[6:7]
	v_add_f64 v[22:23], v[30:31], -v[22:23]
	s_delay_alu instid0(VALU_DEP_2) | instskip(NEXT) | instid1(VALU_DEP_1)
	v_mul_f64 v[6:7], v[20:21], v[6:7]
	v_add_f64 v[6:7], v[22:23], v[6:7]
	s_delay_alu instid0(VALU_DEP_1) | instskip(NEXT) | instid1(VALU_DEP_1)
	v_add_f64 v[20:21], v[24:25], v[6:7]
	v_mul_f64 v[22:23], v[20:21], v[20:21]
	s_delay_alu instid0(VALU_DEP_1) | instskip(SKIP_3) | instid1(VALU_DEP_2)
	v_fma_f64 v[26:27], v[22:23], s[16:17], s[14:15]
	s_mov_b32 s14, 0xd7f4df2e
	s_mov_b32 s15, 0x3fc7474d
	v_mul_f64 v[28:29], v[20:21], v[22:23]
	v_fma_f64 v[26:27], v[22:23], v[26:27], s[14:15]
	s_mov_b32 s14, 0x16291751
	s_mov_b32 s15, 0x3fcc71c0
	s_delay_alu instid0(VALU_DEP_1) | instid1(SALU_CYCLE_1)
	v_fma_f64 v[26:27], v[22:23], v[26:27], s[14:15]
	s_mov_b32 s14, 0x9b27acf1
	s_mov_b32 s15, 0x3fd24924
	s_delay_alu instid0(VALU_DEP_1) | instid1(SALU_CYCLE_1)
	;; [unrolled: 4-line block ×3, first 2 shown]
	v_fma_f64 v[26:27], v[22:23], v[26:27], s[14:15]
	s_delay_alu instid0(VALU_DEP_1) | instskip(SKIP_4) | instid1(VALU_DEP_3)
	v_fma_f64 v[22:23], v[22:23], v[26:27], s[2:3]
	v_ldexp_f64 v[26:27], v[20:21], 1
	v_add_f64 v[20:21], v[20:21], -v[24:25]
	s_mov_b32 s2, 0xfefa39ef
	s_mov_b32 s3, 0x3fe62e42
	v_mul_f64 v[22:23], v[28:29], v[22:23]
	v_cvt_f64_i32_e32 v[28:29], v48
	s_delay_alu instid0(VALU_DEP_3) | instskip(NEXT) | instid1(VALU_DEP_3)
	v_add_f64 v[6:7], v[6:7], -v[20:21]
	v_add_f64 v[24:25], v[26:27], v[22:23]
	s_delay_alu instid0(VALU_DEP_3) | instskip(NEXT) | instid1(VALU_DEP_3)
	v_mul_f64 v[30:31], v[28:29], s[2:3]
	v_ldexp_f64 v[6:7], v[6:7], 1
	s_delay_alu instid0(VALU_DEP_3) | instskip(NEXT) | instid1(VALU_DEP_3)
	v_add_f64 v[20:21], v[24:25], -v[26:27]
	v_fma_f64 v[26:27], v[28:29], s[2:3], -v[30:31]
	s_mov_b32 s2, 0x3b39803f
	s_mov_b32 s3, 0x3c7abc9e
	s_delay_alu instid0(VALU_DEP_2) | instskip(NEXT) | instid1(VALU_DEP_2)
	v_add_f64 v[20:21], v[22:23], -v[20:21]
	v_fma_f64 v[22:23], v[28:29], s[2:3], v[26:27]
	s_delay_alu instid0(VALU_DEP_2) | instskip(NEXT) | instid1(VALU_DEP_2)
	v_add_f64 v[6:7], v[6:7], v[20:21]
	v_add_f64 v[20:21], v[30:31], v[22:23]
	s_delay_alu instid0(VALU_DEP_2) | instskip(NEXT) | instid1(VALU_DEP_2)
	v_add_f64 v[26:27], v[24:25], v[6:7]
	v_add_f64 v[30:31], v[20:21], -v[30:31]
	s_delay_alu instid0(VALU_DEP_2) | instskip(SKIP_1) | instid1(VALU_DEP_3)
	v_add_f64 v[28:29], v[20:21], v[26:27]
	v_add_f64 v[24:25], v[26:27], -v[24:25]
	v_add_f64 v[22:23], v[22:23], -v[30:31]
	s_delay_alu instid0(VALU_DEP_3) | instskip(NEXT) | instid1(VALU_DEP_3)
	v_add_f64 v[32:33], v[28:29], -v[20:21]
	v_add_f64 v[6:7], v[6:7], -v[24:25]
	s_delay_alu instid0(VALU_DEP_2) | instskip(SKIP_1) | instid1(VALU_DEP_3)
	v_add_f64 v[34:35], v[28:29], -v[32:33]
	v_add_f64 v[24:25], v[26:27], -v[32:33]
	v_add_f64 v[26:27], v[22:23], v[6:7]
	s_delay_alu instid0(VALU_DEP_3) | instskip(NEXT) | instid1(VALU_DEP_1)
	v_add_f64 v[20:21], v[20:21], -v[34:35]
	v_add_f64 v[20:21], v[24:25], v[20:21]
	s_delay_alu instid0(VALU_DEP_3) | instskip(NEXT) | instid1(VALU_DEP_2)
	v_add_f64 v[24:25], v[26:27], -v[22:23]
	v_add_f64 v[20:21], v[26:27], v[20:21]
	s_delay_alu instid0(VALU_DEP_2) | instskip(SKIP_1) | instid1(VALU_DEP_3)
	v_add_f64 v[26:27], v[26:27], -v[24:25]
	v_add_f64 v[6:7], v[6:7], -v[24:25]
	v_add_f64 v[30:31], v[28:29], v[20:21]
	s_delay_alu instid0(VALU_DEP_3) | instskip(NEXT) | instid1(VALU_DEP_2)
	v_add_f64 v[22:23], v[22:23], -v[26:27]
	v_add_f64 v[24:25], v[30:31], -v[28:29]
	s_delay_alu instid0(VALU_DEP_2) | instskip(NEXT) | instid1(VALU_DEP_2)
	v_add_f64 v[6:7], v[6:7], v[22:23]
	v_add_f64 v[20:21], v[20:21], -v[24:25]
	s_delay_alu instid0(VALU_DEP_1) | instskip(NEXT) | instid1(VALU_DEP_1)
	v_add_f64 v[6:7], v[6:7], v[20:21]
	v_add_f64 v[6:7], v[30:31], v[6:7]
	s_delay_alu instid0(VALU_DEP_1) | instskip(SKIP_1) | instid1(VALU_DEP_2)
	v_dual_cndmask_b32 v7, v7, v19 :: v_dual_cndmask_b32 v6, v6, v18
	v_cmp_ngt_f64_e32 vcc_lo, -1.0, v[18:19]
	v_cndmask_b32_e32 v7, 0x7ff80000, v7, vcc_lo
	v_cmp_nge_f64_e32 vcc_lo, -1.0, v[18:19]
	s_delay_alu instid0(VALU_DEP_4) | instskip(SKIP_1) | instid1(VALU_DEP_4)
	v_cndmask_b32_e32 v6, 0, v6, vcc_lo
	v_cmp_neq_f64_e32 vcc_lo, -1.0, v[18:19]
	v_cndmask_b32_e32 v7, 0xfff00000, v7, vcc_lo
.LBB42_23:
	s_and_not1_saveexec_b32 s2, s12
	s_cbranch_execz .LBB42_25
; %bb.24:
	v_add_f64 v[6:7], -|v[0:1]|, 1.0
	s_delay_alu instid0(VALU_DEP_1) | instskip(NEXT) | instid1(VALU_DEP_1)
	v_mul_f64 v[6:7], v[6:7], v[8:9]
	v_cmp_gt_f64_e32 vcc_lo, 0x10000000, v[6:7]
	v_cndmask_b32_e64 v18, 0, 1, vcc_lo
	s_delay_alu instid0(VALU_DEP_1) | instskip(NEXT) | instid1(VALU_DEP_1)
	v_lshlrev_b32_e32 v18, 8, v18
	v_ldexp_f64 v[6:7], v[6:7], v18
	s_delay_alu instid0(VALU_DEP_1) | instskip(SKIP_3) | instid1(VALU_DEP_1)
	v_rsq_f64_e32 v[18:19], v[6:7]
	s_waitcnt_depctr 0xfff
	v_mul_f64 v[20:21], v[6:7], v[18:19]
	v_mul_f64 v[18:19], v[18:19], 0.5
	v_fma_f64 v[22:23], -v[18:19], v[20:21], 0.5
	s_delay_alu instid0(VALU_DEP_1) | instskip(SKIP_1) | instid1(VALU_DEP_2)
	v_fma_f64 v[20:21], v[20:21], v[22:23], v[20:21]
	v_fma_f64 v[18:19], v[18:19], v[22:23], v[18:19]
	v_fma_f64 v[22:23], -v[20:21], v[20:21], v[6:7]
	s_delay_alu instid0(VALU_DEP_1) | instskip(NEXT) | instid1(VALU_DEP_1)
	v_fma_f64 v[20:21], v[22:23], v[18:19], v[20:21]
	v_fma_f64 v[22:23], -v[20:21], v[20:21], v[6:7]
	s_delay_alu instid0(VALU_DEP_1) | instskip(SKIP_3) | instid1(VALU_DEP_2)
	v_fma_f64 v[18:19], v[22:23], v[18:19], v[20:21]
	v_mov_b32_e32 v21, v15
	v_cndmask_b32_e64 v20, 0, 0xffffff80, vcc_lo
	v_cmp_class_f64_e64 vcc_lo, v[6:7], 0x260
	v_ldexp_f64 v[18:19], v[18:19], v20
	s_delay_alu instid0(VALU_DEP_1) | instskip(NEXT) | instid1(VALU_DEP_2)
	v_dual_mov_b32 v20, v2 :: v_dual_cndmask_b32 v7, v19, v7
	v_cndmask_b32_e32 v6, v18, v6, vcc_lo
	s_delay_alu instid0(VALU_DEP_1) | instskip(SKIP_1) | instid1(VALU_DEP_2)
	v_div_scale_f64 v[18:19], null, v[6:7], v[6:7], v[20:21]
	v_div_scale_f64 v[20:21], vcc_lo, v[20:21], v[6:7], v[20:21]
	v_rcp_f64_e32 v[22:23], v[18:19]
	s_waitcnt_depctr 0xfff
	v_fma_f64 v[24:25], -v[18:19], v[22:23], 1.0
	s_delay_alu instid0(VALU_DEP_1) | instskip(NEXT) | instid1(VALU_DEP_1)
	v_fma_f64 v[22:23], v[22:23], v[24:25], v[22:23]
	v_fma_f64 v[24:25], -v[18:19], v[22:23], 1.0
	s_delay_alu instid0(VALU_DEP_1) | instskip(NEXT) | instid1(VALU_DEP_1)
	v_fma_f64 v[22:23], v[22:23], v[24:25], v[22:23]
	v_mul_f64 v[24:25], v[20:21], v[22:23]
	s_delay_alu instid0(VALU_DEP_1) | instskip(NEXT) | instid1(VALU_DEP_1)
	v_fma_f64 v[18:19], -v[18:19], v[24:25], v[20:21]
	v_div_fmas_f64 v[18:19], v[18:19], v[22:23], v[24:25]
	s_delay_alu instid0(VALU_DEP_1)
	v_div_fixup_f64 v[6:7], v[18:19], v[6:7], |v[2:3]|
.LBB42_25:
	s_or_b32 exec_lo, exec_lo, s2
.LBB42_26:
	s_delay_alu instid0(SALU_CYCLE_1)
	s_or_b32 exec_lo, exec_lo, s5
.LBB42_27:
	s_and_not1_saveexec_b32 s2, s4
	s_cbranch_execz .LBB42_29
; %bb.28:
	v_cmp_gt_f64_e64 s3, 0x10000000, |v[2:3]|
	s_delay_alu instid0(VALU_DEP_1) | instskip(NEXT) | instid1(VALU_DEP_1)
	v_cndmask_b32_e64 v6, 0, 1, s3
	v_lshlrev_b32_e32 v6, 8, v6
	s_delay_alu instid0(VALU_DEP_1) | instskip(NEXT) | instid1(VALU_DEP_1)
	v_ldexp_f64 v[6:7], |v[2:3]|, v6
	v_rsq_f64_e32 v[18:19], v[6:7]
	v_cmp_class_f64_e64 vcc_lo, v[6:7], 0x260
	s_waitcnt_depctr 0xfff
	v_mul_f64 v[20:21], v[6:7], v[18:19]
	v_mul_f64 v[18:19], v[18:19], 0.5
	s_delay_alu instid0(VALU_DEP_1) | instskip(NEXT) | instid1(VALU_DEP_1)
	v_fma_f64 v[22:23], -v[18:19], v[20:21], 0.5
	v_fma_f64 v[20:21], v[20:21], v[22:23], v[20:21]
	v_fma_f64 v[18:19], v[18:19], v[22:23], v[18:19]
	s_delay_alu instid0(VALU_DEP_2) | instskip(NEXT) | instid1(VALU_DEP_1)
	v_fma_f64 v[22:23], -v[20:21], v[20:21], v[6:7]
	v_fma_f64 v[20:21], v[22:23], v[18:19], v[20:21]
	s_delay_alu instid0(VALU_DEP_1) | instskip(NEXT) | instid1(VALU_DEP_1)
	v_fma_f64 v[22:23], -v[20:21], v[20:21], v[6:7]
	v_fma_f64 v[18:19], v[22:23], v[18:19], v[20:21]
	v_cndmask_b32_e64 v20, 0, 0xffffff80, s3
	s_delay_alu instid0(VALU_DEP_1) | instskip(NEXT) | instid1(VALU_DEP_1)
	v_ldexp_f64 v[18:19], v[18:19], v20
	v_dual_cndmask_b32 v7, v19, v7 :: v_dual_cndmask_b32 v6, v18, v6
.LBB42_29:
	s_or_b32 exec_lo, exec_lo, s2
.LBB42_30:
	s_delay_alu instid0(SALU_CYCLE_1) | instskip(SKIP_1) | instid1(VALU_DEP_1)
	s_or_b32 exec_lo, exec_lo, s1
	v_cmp_ngt_f64_e64 s2, 0x20200000, |v[0:1]|
                                        ; implicit-def: $sgpr1
                                        ; implicit-def: $vgpr18_vgpr19
                                        ; implicit-def: $vgpr22_vgpr23
                                        ; implicit-def: $vgpr20_vgpr21
	s_and_saveexec_b32 s3, s2
	s_delay_alu instid0(SALU_CYCLE_1)
	s_xor_b32 s2, exec_lo, s3
	s_cbranch_execz .LBB42_54
; %bb.31:
	v_dual_mov_b32 v20, v0 :: v_dual_and_b32 v21, 0x7fffffff, v1
	s_mov_b32 s4, 0x703afb7f
	s_mov_b32 s5, 0x3fe488ce
	;; [unrolled: 1-line block ×3, first 2 shown]
	s_mov_b32 s3, exec_lo
	v_div_scale_f64 v[18:19], null, v[10:11], v[10:11], v[20:21]
	s_delay_alu instid0(VALU_DEP_1) | instskip(SKIP_2) | instid1(VALU_DEP_1)
	v_rcp_f64_e32 v[22:23], v[18:19]
	s_waitcnt_depctr 0xfff
	v_fma_f64 v[24:25], -v[18:19], v[22:23], 1.0
	v_fma_f64 v[22:23], v[22:23], v[24:25], v[22:23]
	s_delay_alu instid0(VALU_DEP_1) | instskip(NEXT) | instid1(VALU_DEP_1)
	v_fma_f64 v[24:25], -v[18:19], v[22:23], 1.0
	v_fma_f64 v[22:23], v[22:23], v[24:25], v[22:23]
	v_div_scale_f64 v[24:25], vcc_lo, v[20:21], v[10:11], v[20:21]
	s_delay_alu instid0(VALU_DEP_1) | instskip(NEXT) | instid1(VALU_DEP_1)
	v_mul_f64 v[26:27], v[24:25], v[22:23]
	v_fma_f64 v[18:19], -v[18:19], v[26:27], v[24:25]
	s_delay_alu instid0(VALU_DEP_1) | instskip(NEXT) | instid1(VALU_DEP_1)
	v_div_fmas_f64 v[18:19], v[18:19], v[22:23], v[26:27]
                                        ; implicit-def: $vgpr22_vgpr23
	v_div_fixup_f64 v[18:19], v[18:19], v[10:11], |v[0:1]|
	s_delay_alu instid0(VALU_DEP_1)
	v_cmpx_lt_f64_e32 s[4:5], v[18:19]
	s_cbranch_execz .LBB42_53
; %bb.32:
	v_cmp_neq_f64_e64 s1, |v[0:1]|, 1.0
	v_cmp_ngt_f64_e64 s4, 0x3c400000, |v[2:3]|
                                        ; implicit-def: $vgpr22_vgpr23
	s_delay_alu instid0(VALU_DEP_1) | instskip(NEXT) | instid1(SALU_CYCLE_1)
	s_or_b32 s1, s1, s4
                                        ; implicit-def: $sgpr4
	s_and_saveexec_b32 s5, s1
	s_delay_alu instid0(SALU_CYCLE_1)
	s_xor_b32 s1, exec_lo, s5
	s_cbranch_execz .LBB42_50
; %bb.33:
	v_ldexp_f64 v[22:23], |v[4:5]|, 0xffffffcc
                                        ; implicit-def: $sgpr4
	s_delay_alu instid0(VALU_DEP_1) | instskip(NEXT) | instid1(VALU_DEP_1)
	v_cmp_le_f64_e64 s5, v[22:23], |v[2:3]|
                                        ; implicit-def: $vgpr22_vgpr23
	s_and_saveexec_b32 s12, s5
	s_delay_alu instid0(SALU_CYCLE_1)
	s_xor_b32 s5, exec_lo, s12
	s_cbranch_execz .LBB42_43
; %bb.34:
	v_dual_mov_b32 v23, v15 :: v_dual_mov_b32 v22, v14
	s_mov_b32 s4, exec_lo
	v_cmpx_neq_f64_e32 0, v[8:9]
	s_cbranch_execz .LBB42_36
; %bb.35:
	v_mul_f64 v[22:23], v[2:3], v[2:3]
	v_add_f64 v[8:9], v[8:9], v[16:17]
	s_delay_alu instid0(VALU_DEP_1) | instskip(NEXT) | instid1(VALU_DEP_1)
	v_div_scale_f64 v[16:17], null, v[8:9], v[8:9], v[22:23]
	v_rcp_f64_e32 v[24:25], v[16:17]
	s_waitcnt_depctr 0xfff
	v_fma_f64 v[26:27], -v[16:17], v[24:25], 1.0
	s_delay_alu instid0(VALU_DEP_1) | instskip(NEXT) | instid1(VALU_DEP_1)
	v_fma_f64 v[24:25], v[24:25], v[26:27], v[24:25]
	v_fma_f64 v[26:27], -v[16:17], v[24:25], 1.0
	s_delay_alu instid0(VALU_DEP_1) | instskip(SKIP_1) | instid1(VALU_DEP_1)
	v_fma_f64 v[24:25], v[24:25], v[26:27], v[24:25]
	v_div_scale_f64 v[26:27], vcc_lo, v[22:23], v[8:9], v[22:23]
	v_mul_f64 v[28:29], v[26:27], v[24:25]
	s_delay_alu instid0(VALU_DEP_1) | instskip(NEXT) | instid1(VALU_DEP_1)
	v_fma_f64 v[16:17], -v[16:17], v[28:29], v[26:27]
	v_div_fmas_f64 v[16:17], v[16:17], v[24:25], v[28:29]
	s_delay_alu instid0(VALU_DEP_1)
	v_div_fixup_f64 v[22:23], v[16:17], v[8:9], v[22:23]
.LBB42_36:
	s_or_b32 exec_lo, exec_lo, s4
	s_delay_alu instid0(SALU_CYCLE_1)
	s_mov_b32 s4, exec_lo
	v_cmpx_ngt_f64_e32 0, v[4:5]
	s_xor_b32 s4, exec_lo, s4
	s_cbranch_execz .LBB42_40
; %bb.37:
	s_mov_b32 s12, exec_lo
	v_cmpx_neq_f64_e32 0, v[4:5]
	s_cbranch_execz .LBB42_39
; %bb.38:
	v_mul_f64 v[2:3], v[2:3], v[2:3]
	v_add_f64 v[4:5], v[4:5], v[12:13]
	s_delay_alu instid0(VALU_DEP_1) | instskip(NEXT) | instid1(VALU_DEP_1)
	v_div_scale_f64 v[8:9], null, v[4:5], v[4:5], v[2:3]
	v_rcp_f64_e32 v[12:13], v[8:9]
	s_waitcnt_depctr 0xfff
	v_fma_f64 v[14:15], -v[8:9], v[12:13], 1.0
	s_delay_alu instid0(VALU_DEP_1) | instskip(NEXT) | instid1(VALU_DEP_1)
	v_fma_f64 v[12:13], v[12:13], v[14:15], v[12:13]
	v_fma_f64 v[14:15], -v[8:9], v[12:13], 1.0
	s_delay_alu instid0(VALU_DEP_1) | instskip(SKIP_1) | instid1(VALU_DEP_1)
	v_fma_f64 v[12:13], v[12:13], v[14:15], v[12:13]
	v_div_scale_f64 v[14:15], vcc_lo, v[2:3], v[4:5], v[2:3]
	v_mul_f64 v[16:17], v[14:15], v[12:13]
	s_delay_alu instid0(VALU_DEP_1) | instskip(NEXT) | instid1(VALU_DEP_1)
	v_fma_f64 v[8:9], -v[8:9], v[16:17], v[14:15]
	v_div_fmas_f64 v[8:9], v[8:9], v[12:13], v[16:17]
	s_delay_alu instid0(VALU_DEP_1)
	v_div_fixup_f64 v[14:15], v[8:9], v[4:5], v[2:3]
.LBB42_39:
	s_or_b32 exec_lo, exec_lo, s12
                                        ; implicit-def: $vgpr12_vgpr13
                                        ; implicit-def: $vgpr4_vgpr5
.LBB42_40:
	s_and_not1_saveexec_b32 s4, s4
; %bb.41:
	v_add_f64 v[14:15], v[12:13], -v[4:5]
; %bb.42:
	s_or_b32 exec_lo, exec_lo, s4
	s_delay_alu instid0(VALU_DEP_1) | instskip(SKIP_2) | instid1(VALU_DEP_2)
	v_mul_f64 v[2:3], v[14:15], 0.5
	v_add_f64 v[4:5], |v[0:1]|, v[10:11]
	s_mov_b32 s4, -1
	v_fma_f64 v[2:3], v[22:23], 0.5, v[2:3]
	s_delay_alu instid0(VALU_DEP_1) | instskip(NEXT) | instid1(VALU_DEP_1)
	v_mul_f64 v[2:3], v[4:5], v[2:3]
	v_cmp_gt_f64_e32 vcc_lo, 0x10000000, v[2:3]
	v_cndmask_b32_e64 v4, 0, 1, vcc_lo
	s_delay_alu instid0(VALU_DEP_1) | instskip(NEXT) | instid1(VALU_DEP_1)
	v_lshlrev_b32_e32 v4, 8, v4
	v_ldexp_f64 v[2:3], v[2:3], v4
	s_delay_alu instid0(VALU_DEP_1) | instskip(SKIP_3) | instid1(VALU_DEP_1)
	v_rsq_f64_e32 v[4:5], v[2:3]
	s_waitcnt_depctr 0xfff
	v_mul_f64 v[8:9], v[2:3], v[4:5]
	v_mul_f64 v[4:5], v[4:5], 0.5
	v_fma_f64 v[10:11], -v[4:5], v[8:9], 0.5
	s_delay_alu instid0(VALU_DEP_1) | instskip(SKIP_1) | instid1(VALU_DEP_2)
	v_fma_f64 v[8:9], v[8:9], v[10:11], v[8:9]
	v_fma_f64 v[4:5], v[4:5], v[10:11], v[4:5]
	v_fma_f64 v[10:11], -v[8:9], v[8:9], v[2:3]
	s_delay_alu instid0(VALU_DEP_1) | instskip(NEXT) | instid1(VALU_DEP_1)
	v_fma_f64 v[8:9], v[10:11], v[4:5], v[8:9]
	v_fma_f64 v[10:11], -v[8:9], v[8:9], v[2:3]
	s_delay_alu instid0(VALU_DEP_1) | instskip(SKIP_2) | instid1(VALU_DEP_2)
	v_fma_f64 v[4:5], v[10:11], v[4:5], v[8:9]
	v_cndmask_b32_e64 v8, 0, 0xffffff80, vcc_lo
	v_cmp_class_f64_e64 vcc_lo, v[2:3], 0x260
	v_ldexp_f64 v[4:5], v[4:5], v8
                                        ; implicit-def: $vgpr8_vgpr9
	s_delay_alu instid0(VALU_DEP_1)
	v_dual_cndmask_b32 v23, v5, v3 :: v_dual_cndmask_b32 v22, v4, v2
                                        ; implicit-def: $vgpr2_vgpr3
                                        ; implicit-def: $vgpr4_vgpr5
.LBB42_43:
	s_and_not1_saveexec_b32 s5, s5
	s_cbranch_execz .LBB42_49
; %bb.44:
	v_cmp_ngt_f64_e64 s13, |v[0:1]|, 1.0
                                        ; implicit-def: $vgpr22_vgpr23
                                        ; implicit-def: $sgpr12
	s_delay_alu instid0(VALU_DEP_1) | instskip(NEXT) | instid1(SALU_CYCLE_1)
	s_and_saveexec_b32 s14, s13
	s_xor_b32 s13, exec_lo, s14
	s_cbranch_execz .LBB42_46
; %bb.45:
	v_add_f64 v[2:3], -|v[0:1]|, 1.0
	s_mov_b32 s12, -1
	s_delay_alu instid0(VALU_DEP_1) | instskip(NEXT) | instid1(VALU_DEP_1)
	v_mul_f64 v[2:3], v[2:3], v[8:9]
	v_cmp_gt_f64_e32 vcc_lo, 0x10000000, v[2:3]
	v_cndmask_b32_e64 v4, 0, 1, vcc_lo
	s_delay_alu instid0(VALU_DEP_1) | instskip(NEXT) | instid1(VALU_DEP_1)
	v_lshlrev_b32_e32 v4, 8, v4
	v_ldexp_f64 v[2:3], v[2:3], v4
	s_delay_alu instid0(VALU_DEP_1) | instskip(SKIP_3) | instid1(VALU_DEP_1)
	v_rsq_f64_e32 v[4:5], v[2:3]
	s_waitcnt_depctr 0xfff
	v_mul_f64 v[8:9], v[2:3], v[4:5]
	v_mul_f64 v[4:5], v[4:5], 0.5
	v_fma_f64 v[10:11], -v[4:5], v[8:9], 0.5
	s_delay_alu instid0(VALU_DEP_1) | instskip(SKIP_1) | instid1(VALU_DEP_2)
	v_fma_f64 v[8:9], v[8:9], v[10:11], v[8:9]
	v_fma_f64 v[4:5], v[4:5], v[10:11], v[4:5]
	v_fma_f64 v[10:11], -v[8:9], v[8:9], v[2:3]
	s_delay_alu instid0(VALU_DEP_1) | instskip(NEXT) | instid1(VALU_DEP_1)
	v_fma_f64 v[8:9], v[10:11], v[4:5], v[8:9]
	v_fma_f64 v[10:11], -v[8:9], v[8:9], v[2:3]
	s_delay_alu instid0(VALU_DEP_1) | instskip(SKIP_2) | instid1(VALU_DEP_2)
	v_fma_f64 v[4:5], v[10:11], v[4:5], v[8:9]
	v_cndmask_b32_e64 v8, 0, 0xffffff80, vcc_lo
	v_cmp_class_f64_e64 vcc_lo, v[2:3], 0x260
	v_ldexp_f64 v[4:5], v[4:5], v8
                                        ; implicit-def: $vgpr8_vgpr9
	s_delay_alu instid0(VALU_DEP_1)
	v_dual_cndmask_b32 v23, v5, v3 :: v_dual_cndmask_b32 v22, v4, v2
                                        ; implicit-def: $vgpr2_vgpr3
                                        ; implicit-def: $vgpr4_vgpr5
.LBB42_46:
	s_and_not1_saveexec_b32 s13, s13
	s_cbranch_execz .LBB42_48
; %bb.47:
	v_mul_f64 v[4:5], v[8:9], v[4:5]
	v_ldexp_f64 v[2:3], |v[2:3]|, 0x6a
	v_ldexp_f64 v[20:21], |v[0:1]|, 0x6a
	s_or_b32 s12, s12, exec_lo
	s_delay_alu instid0(VALU_DEP_3) | instskip(NEXT) | instid1(VALU_DEP_3)
	v_cmp_gt_f64_e32 vcc_lo, 0x10000000, v[4:5]
	v_mul_f64 v[2:3], |v[0:1]|, v[2:3]
	v_cndmask_b32_e64 v8, 0, 1, vcc_lo
	s_delay_alu instid0(VALU_DEP_1) | instskip(NEXT) | instid1(VALU_DEP_1)
	v_lshlrev_b32_e32 v8, 8, v8
	v_ldexp_f64 v[4:5], v[4:5], v8
	s_delay_alu instid0(VALU_DEP_1) | instskip(SKIP_3) | instid1(VALU_DEP_1)
	v_rsq_f64_e32 v[8:9], v[4:5]
	s_waitcnt_depctr 0xfff
	v_mul_f64 v[10:11], v[4:5], v[8:9]
	v_mul_f64 v[8:9], v[8:9], 0.5
	v_fma_f64 v[12:13], -v[8:9], v[10:11], 0.5
	s_delay_alu instid0(VALU_DEP_1) | instskip(SKIP_1) | instid1(VALU_DEP_2)
	v_fma_f64 v[10:11], v[10:11], v[12:13], v[10:11]
	v_fma_f64 v[8:9], v[8:9], v[12:13], v[8:9]
	v_fma_f64 v[12:13], -v[10:11], v[10:11], v[4:5]
	s_delay_alu instid0(VALU_DEP_1) | instskip(NEXT) | instid1(VALU_DEP_1)
	v_fma_f64 v[10:11], v[12:13], v[8:9], v[10:11]
	v_fma_f64 v[12:13], -v[10:11], v[10:11], v[4:5]
	s_delay_alu instid0(VALU_DEP_1) | instskip(SKIP_2) | instid1(VALU_DEP_2)
	v_fma_f64 v[8:9], v[12:13], v[8:9], v[10:11]
	v_cndmask_b32_e64 v10, 0, 0xffffff80, vcc_lo
	v_cmp_class_f64_e64 vcc_lo, v[4:5], 0x260
	v_ldexp_f64 v[8:9], v[8:9], v10
	s_delay_alu instid0(VALU_DEP_1) | instskip(NEXT) | instid1(VALU_DEP_1)
	v_dual_cndmask_b32 v5, v9, v5 :: v_dual_cndmask_b32 v4, v8, v4
	v_div_scale_f64 v[8:9], null, v[4:5], v[4:5], v[2:3]
	v_div_scale_f64 v[14:15], vcc_lo, v[2:3], v[4:5], v[2:3]
	s_delay_alu instid0(VALU_DEP_2) | instskip(SKIP_2) | instid1(VALU_DEP_1)
	v_rcp_f64_e32 v[10:11], v[8:9]
	s_waitcnt_depctr 0xfff
	v_fma_f64 v[12:13], -v[8:9], v[10:11], 1.0
	v_fma_f64 v[10:11], v[10:11], v[12:13], v[10:11]
	s_delay_alu instid0(VALU_DEP_1) | instskip(NEXT) | instid1(VALU_DEP_1)
	v_fma_f64 v[12:13], -v[8:9], v[10:11], 1.0
	v_fma_f64 v[10:11], v[10:11], v[12:13], v[10:11]
	s_delay_alu instid0(VALU_DEP_1) | instskip(NEXT) | instid1(VALU_DEP_1)
	v_mul_f64 v[12:13], v[14:15], v[10:11]
	v_fma_f64 v[8:9], -v[8:9], v[12:13], v[14:15]
	s_delay_alu instid0(VALU_DEP_1) | instskip(NEXT) | instid1(VALU_DEP_1)
	v_div_fmas_f64 v[8:9], v[8:9], v[10:11], v[12:13]
	v_div_fixup_f64 v[22:23], v[8:9], v[4:5], v[2:3]
.LBB42_48:
	s_or_b32 exec_lo, exec_lo, s13
	s_delay_alu instid0(SALU_CYCLE_1) | instskip(SKIP_1) | instid1(SALU_CYCLE_1)
	s_and_not1_b32 s4, s4, exec_lo
	s_and_b32 s12, s12, exec_lo
	s_or_b32 s4, s4, s12
.LBB42_49:
	s_or_b32 exec_lo, exec_lo, s5
	s_delay_alu instid0(SALU_CYCLE_1)
	s_and_b32 s4, s4, exec_lo
                                        ; implicit-def: $vgpr2_vgpr3
                                        ; implicit-def: $vgpr10_vgpr11
.LBB42_50:
	s_and_not1_saveexec_b32 s5, s1
	s_cbranch_execz .LBB42_52
; %bb.51:
	v_add_f64 v[4:5], v[10:11], 1.0
	v_cmp_gt_f64_e64 s1, 0x10000000, |v[2:3]|
	s_or_b32 s4, s4, exec_lo
	s_delay_alu instid0(VALU_DEP_2) | instskip(NEXT) | instid1(VALU_DEP_2)
	v_mul_f64 v[4:5], v[4:5], 0.5
	v_cndmask_b32_e64 v8, 0, 1, s1
	s_delay_alu instid0(VALU_DEP_1) | instskip(NEXT) | instid1(VALU_DEP_1)
	v_lshlrev_b32_e32 v8, 8, v8
	v_ldexp_f64 v[2:3], |v[2:3]|, v8
	s_delay_alu instid0(VALU_DEP_4) | instskip(SKIP_1) | instid1(VALU_DEP_1)
	v_cmp_gt_f64_e32 vcc_lo, 0x10000000, v[4:5]
	v_cndmask_b32_e64 v9, 0, 1, vcc_lo
	v_lshlrev_b32_e32 v9, 8, v9
	s_delay_alu instid0(VALU_DEP_1) | instskip(SKIP_1) | instid1(VALU_DEP_1)
	v_ldexp_f64 v[4:5], v[4:5], v9
	v_rsq_f64_e32 v[8:9], v[2:3]
	v_rsq_f64_e32 v[10:11], v[4:5]
	s_waitcnt_depctr 0xfff
	v_mul_f64 v[12:13], v[2:3], v[8:9]
	v_mul_f64 v[8:9], v[8:9], 0.5
	v_mul_f64 v[14:15], v[4:5], v[10:11]
	v_mul_f64 v[10:11], v[10:11], 0.5
	s_delay_alu instid0(VALU_DEP_3) | instskip(NEXT) | instid1(VALU_DEP_2)
	v_fma_f64 v[16:17], -v[8:9], v[12:13], 0.5
	v_fma_f64 v[20:21], -v[10:11], v[14:15], 0.5
	s_delay_alu instid0(VALU_DEP_2) | instskip(SKIP_1) | instid1(VALU_DEP_3)
	v_fma_f64 v[12:13], v[12:13], v[16:17], v[12:13]
	v_fma_f64 v[8:9], v[8:9], v[16:17], v[8:9]
	;; [unrolled: 1-line block ×3, first 2 shown]
	s_delay_alu instid0(VALU_DEP_3) | instskip(SKIP_1) | instid1(VALU_DEP_3)
	v_fma_f64 v[16:17], -v[12:13], v[12:13], v[2:3]
	v_fma_f64 v[10:11], v[10:11], v[20:21], v[10:11]
	v_fma_f64 v[20:21], -v[14:15], v[14:15], v[4:5]
	s_delay_alu instid0(VALU_DEP_3) | instskip(NEXT) | instid1(VALU_DEP_2)
	v_fma_f64 v[12:13], v[16:17], v[8:9], v[12:13]
	v_fma_f64 v[14:15], v[20:21], v[10:11], v[14:15]
	s_delay_alu instid0(VALU_DEP_2) | instskip(NEXT) | instid1(VALU_DEP_2)
	v_fma_f64 v[16:17], -v[12:13], v[12:13], v[2:3]
	v_fma_f64 v[20:21], -v[14:15], v[14:15], v[4:5]
	s_delay_alu instid0(VALU_DEP_2)
	v_fma_f64 v[8:9], v[16:17], v[8:9], v[12:13]
	v_cndmask_b32_e64 v12, 0, 0xffffff80, s1
	v_cndmask_b32_e64 v13, 0, 0xffffff80, vcc_lo
	v_cmp_class_f64_e64 vcc_lo, v[2:3], 0x260
	v_cmp_class_f64_e64 s1, v[4:5], 0x260
	v_fma_f64 v[10:11], v[20:21], v[10:11], v[14:15]
	v_ldexp_f64 v[8:9], v[8:9], v12
	v_mov_b32_e32 v20, 0
	v_mov_b32_e32 v21, 0x3ff00000
	s_delay_alu instid0(VALU_DEP_4) | instskip(NEXT) | instid1(VALU_DEP_4)
	v_ldexp_f64 v[10:11], v[10:11], v13
	v_dual_cndmask_b32 v2, v8, v2 :: v_dual_cndmask_b32 v3, v9, v3
	s_delay_alu instid0(VALU_DEP_2) | instskip(NEXT) | instid1(VALU_DEP_3)
	v_cndmask_b32_e64 v5, v11, v5, s1
	v_cndmask_b32_e64 v4, v10, v4, s1
	s_delay_alu instid0(VALU_DEP_1)
	v_mul_f64 v[22:23], v[2:3], v[4:5]
.LBB42_52:
	s_or_b32 exec_lo, exec_lo, s5
	s_delay_alu instid0(SALU_CYCLE_1)
	s_and_b32 s1, s4, exec_lo
.LBB42_53:
	s_or_b32 exec_lo, exec_lo, s3
	s_delay_alu instid0(SALU_CYCLE_1)
	s_and_b32 s1, s1, exec_lo
                                        ; implicit-def: $vgpr10_vgpr11
.LBB42_54:
	s_and_not1_saveexec_b32 s2, s2
; %bb.55:
	v_ldexp_f64 v[22:23], v[10:11], 53
	v_ldexp_f64 v[20:21], |v[0:1]|, 53
	s_or_b32 s1, s1, exec_lo
                                        ; implicit-def: $vgpr18_vgpr19
; %bb.56:
	s_or_b32 exec_lo, exec_lo, s2
	v_cmp_lt_i64_e32 vcc_lo, -1, v[0:1]
	s_xor_b32 s1, s1, -1
                                        ; implicit-def: $vgpr4_vgpr5
	s_delay_alu instid0(SALU_CYCLE_1) | instskip(NEXT) | instid1(SALU_CYCLE_1)
	s_and_saveexec_b32 s2, s1
	s_xor_b32 s12, exec_lo, s2
	s_cbranch_execz .LBB42_66
; %bb.57:
	v_mul_f64 v[2:3], v[18:19], v[18:19]
	v_fma_f64 v[0:1], |v[18:19]|, -0.5, 0.5
                                        ; implicit-def: $vgpr4_vgpr5
	s_and_saveexec_b32 s1, vcc_lo
	s_delay_alu instid0(SALU_CYCLE_1)
	s_xor_b32 s2, exec_lo, s1
	s_cbranch_execz .LBB42_61
; %bb.58:
	v_cmp_ge_f64_e64 s1, |v[18:19]|, 0.5
	s_mov_b32 s4, 0x78a05eaf
	s_mov_b32 s14, 0x9fea6a70
	;; [unrolled: 1-line block ×4, first 2 shown]
	s_delay_alu instid0(VALU_DEP_1) | instskip(NEXT) | instid1(VALU_DEP_3)
	v_cndmask_b32_e64 v3, v3, v1, s1
	v_cndmask_b32_e64 v2, v2, v0, s1
	s_delay_alu instid0(VALU_DEP_1) | instskip(SKIP_4) | instid1(VALU_DEP_1)
	v_fma_f64 v[4:5], v[2:3], s[14:15], s[4:5]
	s_mov_b32 s4, 0x37024d6a
	s_mov_b32 s5, 0x3f940521
	;; [unrolled: 1-line block ×4, first 2 shown]
	v_fma_f64 v[4:5], v[2:3], v[4:5], s[4:5]
	s_mov_b32 s4, 0x98a70509
	s_mov_b32 s5, 0x3f7ab3a0
	s_delay_alu instid0(VALU_DEP_1) | instid1(SALU_CYCLE_1)
	v_fma_f64 v[4:5], v[2:3], v[4:5], s[4:5]
	s_mov_b32 s4, 0xa300c8d2
	s_mov_b32 s5, 0x3f88ed60
	s_delay_alu instid0(VALU_DEP_1) | instid1(SALU_CYCLE_1)
	;; [unrolled: 4-line block ×9, first 2 shown]
	v_fma_f64 v[4:5], v[2:3], v[4:5], s[4:5]
	s_mov_b32 s4, 0xeeb562d6
	s_mov_b32 s5, 0x3ffaf154
	s_delay_alu instid0(VALU_DEP_1) | instskip(NEXT) | instid1(VALU_DEP_1)
	v_mul_f64 v[2:3], v[2:3], v[4:5]
	v_fma_f64 v[4:5], v[18:19], v[2:3], v[18:19]
	s_delay_alu instid0(VALU_DEP_1)
	v_fma_f64 v[4:5], s[14:15], s[4:5], -v[4:5]
	s_and_saveexec_b32 s3, s1
	s_cbranch_execz .LBB42_60
; %bb.59:
	v_rsq_f64_e32 v[4:5], v[0:1]
	v_cmp_eq_f64_e64 s1, 0, v[0:1]
	s_waitcnt_depctr 0xfff
	v_mul_f64 v[8:9], v[0:1], v[4:5]
	v_mul_f64 v[4:5], v[4:5], 0.5
	s_delay_alu instid0(VALU_DEP_1) | instskip(NEXT) | instid1(VALU_DEP_1)
	v_fma_f64 v[10:11], -v[4:5], v[8:9], 0.5
	v_fma_f64 v[8:9], v[8:9], v[10:11], v[8:9]
	v_fma_f64 v[4:5], v[4:5], v[10:11], v[4:5]
	s_delay_alu instid0(VALU_DEP_2) | instskip(NEXT) | instid1(VALU_DEP_1)
	v_fma_f64 v[10:11], -v[8:9], v[8:9], v[0:1]
	v_fma_f64 v[4:5], v[10:11], v[4:5], v[8:9]
	s_delay_alu instid0(VALU_DEP_1) | instskip(NEXT) | instid1(VALU_DEP_2)
	v_cndmask_b32_e64 v5, v5, v1, s1
	v_cndmask_b32_e64 v4, v4, v0, s1
	s_delay_alu instid0(VALU_DEP_1) | instskip(SKIP_1) | instid1(VALU_DEP_2)
	v_add_f64 v[8:9], v[4:5], v[4:5]
	v_mul_f64 v[10:11], v[4:5], v[4:5]
	v_rcp_f64_e32 v[12:13], v[8:9]
	s_delay_alu instid0(VALU_DEP_1) | instskip(SKIP_1) | instid1(VALU_DEP_2)
	v_add_f64 v[14:15], v[0:1], -v[10:11]
	v_fma_f64 v[20:21], v[4:5], v[4:5], -v[10:11]
	v_add_f64 v[0:1], v[0:1], -v[14:15]
	s_waitcnt_depctr 0xfff
	v_fma_f64 v[16:17], -v[8:9], v[12:13], 1.0
	v_add_f64 v[0:1], v[0:1], -v[10:11]
	s_delay_alu instid0(VALU_DEP_2) | instskip(NEXT) | instid1(VALU_DEP_2)
	v_fma_f64 v[10:11], v[16:17], v[12:13], v[12:13]
	v_add_f64 v[0:1], v[0:1], -v[20:21]
	s_delay_alu instid0(VALU_DEP_2) | instskip(NEXT) | instid1(VALU_DEP_2)
	v_fma_f64 v[12:13], -v[8:9], v[10:11], 1.0
	v_add_f64 v[0:1], v[14:15], v[0:1]
	s_delay_alu instid0(VALU_DEP_2) | instskip(NEXT) | instid1(VALU_DEP_1)
	v_fma_f64 v[10:11], v[12:13], v[10:11], v[10:11]
	v_mul_f64 v[12:13], v[0:1], v[10:11]
	s_delay_alu instid0(VALU_DEP_1) | instskip(NEXT) | instid1(VALU_DEP_1)
	v_fma_f64 v[0:1], -v[8:9], v[12:13], v[0:1]
	v_fma_f64 v[0:1], v[0:1], v[10:11], v[12:13]
	s_delay_alu instid0(VALU_DEP_1) | instskip(NEXT) | instid1(VALU_DEP_2)
	v_cndmask_b32_e64 v1, v1, 0, s1
	v_cndmask_b32_e64 v0, v0, 0, s1
	v_cmp_neq_f64_e64 s1, 1.0, v[18:19]
	s_delay_alu instid0(VALU_DEP_2) | instskip(NEXT) | instid1(VALU_DEP_1)
	v_add_f64 v[8:9], v[4:5], v[0:1]
	v_add_f64 v[4:5], v[8:9], -v[4:5]
	s_delay_alu instid0(VALU_DEP_1) | instskip(NEXT) | instid1(VALU_DEP_1)
	v_add_f64 v[0:1], v[0:1], -v[4:5]
	v_fma_f64 v[0:1], v[8:9], v[2:3], v[0:1]
	s_delay_alu instid0(VALU_DEP_1) | instskip(NEXT) | instid1(VALU_DEP_1)
	v_add_f64 v[0:1], v[8:9], v[0:1]
	v_add_f64 v[0:1], v[0:1], v[0:1]
	s_delay_alu instid0(VALU_DEP_1) | instskip(NEXT) | instid1(VALU_DEP_2)
	v_cndmask_b32_e64 v5, 0, v1, s1
	v_cndmask_b32_e64 v4, 0, v0, s1
.LBB42_60:
	s_or_b32 exec_lo, exec_lo, s3
                                        ; implicit-def: $vgpr18_vgpr19
                                        ; implicit-def: $vgpr2_vgpr3
                                        ; implicit-def: $vgpr0_vgpr1
.LBB42_61:
	s_and_not1_saveexec_b32 s13, s2
	s_cbranch_execz .LBB42_65
; %bb.62:
	v_cmp_ge_f64_e64 s1, |v[18:19]|, 0.5
	s_mov_b32 s2, 0x78a05eaf
	s_mov_b32 s4, 0x9fea6a70
	;; [unrolled: 1-line block ×4, first 2 shown]
	s_delay_alu instid0(VALU_DEP_1) | instskip(NEXT) | instid1(VALU_DEP_3)
	v_cndmask_b32_e64 v3, v3, v1, s1
	v_cndmask_b32_e64 v2, v2, v0, s1
	s_delay_alu instid0(VALU_DEP_1) | instskip(SKIP_4) | instid1(VALU_DEP_1)
	v_fma_f64 v[4:5], v[2:3], s[4:5], s[2:3]
	s_mov_b32 s2, 0x37024d6a
	s_mov_b32 s3, 0x3f940521
	;; [unrolled: 1-line block ×4, first 2 shown]
	v_fma_f64 v[4:5], v[2:3], v[4:5], s[2:3]
	s_mov_b32 s2, 0x98a70509
	s_mov_b32 s3, 0x3f7ab3a0
	s_delay_alu instid0(VALU_DEP_1) | instid1(SALU_CYCLE_1)
	v_fma_f64 v[4:5], v[2:3], v[4:5], s[2:3]
	s_mov_b32 s2, 0xa300c8d2
	s_mov_b32 s3, 0x3f88ed60
	s_delay_alu instid0(VALU_DEP_1) | instid1(SALU_CYCLE_1)
	;; [unrolled: 4-line block ×9, first 2 shown]
	v_fma_f64 v[4:5], v[2:3], v[4:5], s[2:3]
	s_mov_b32 s2, 0xeeb562d6
	s_mov_b32 s3, 0x3ffaf154
	s_delay_alu instid0(VALU_DEP_1) | instskip(NEXT) | instid1(VALU_DEP_1)
	v_mul_f64 v[2:3], v[2:3], v[4:5]
	v_fma_f64 v[4:5], -v[18:19], v[2:3], -v[18:19]
	s_delay_alu instid0(VALU_DEP_1)
	v_fma_f64 v[4:5], s[4:5], s[2:3], -v[4:5]
	s_and_saveexec_b32 s14, s1
	s_cbranch_execz .LBB42_64
; %bb.63:
	v_rsq_f64_e32 v[4:5], v[0:1]
	v_cmp_eq_f64_e64 s1, 0, v[0:1]
	s_mov_b32 s5, 0x3ffdd9ad
	s_waitcnt_depctr 0xfff
	v_mul_f64 v[8:9], v[0:1], v[4:5]
	v_mul_f64 v[4:5], v[4:5], 0.5
	s_delay_alu instid0(VALU_DEP_1) | instskip(NEXT) | instid1(VALU_DEP_1)
	v_fma_f64 v[10:11], -v[4:5], v[8:9], 0.5
	v_fma_f64 v[8:9], v[8:9], v[10:11], v[8:9]
	v_fma_f64 v[4:5], v[4:5], v[10:11], v[4:5]
	s_delay_alu instid0(VALU_DEP_2) | instskip(NEXT) | instid1(VALU_DEP_1)
	v_fma_f64 v[10:11], -v[8:9], v[8:9], v[0:1]
	v_fma_f64 v[4:5], v[10:11], v[4:5], v[8:9]
	s_delay_alu instid0(VALU_DEP_1) | instskip(NEXT) | instid1(VALU_DEP_2)
	v_cndmask_b32_e64 v5, v5, v1, s1
	v_cndmask_b32_e64 v4, v4, v0, s1
	s_delay_alu instid0(VALU_DEP_1) | instskip(SKIP_1) | instid1(VALU_DEP_2)
	v_add_f64 v[8:9], v[4:5], v[4:5]
	v_mul_f64 v[10:11], v[4:5], v[4:5]
	v_rcp_f64_e32 v[12:13], v[8:9]
	s_delay_alu instid0(VALU_DEP_1) | instskip(SKIP_1) | instid1(VALU_DEP_2)
	v_add_f64 v[14:15], v[0:1], -v[10:11]
	v_fma_f64 v[20:21], v[4:5], v[4:5], -v[10:11]
	v_add_f64 v[0:1], v[0:1], -v[14:15]
	s_waitcnt_depctr 0xfff
	v_fma_f64 v[16:17], -v[8:9], v[12:13], 1.0
	v_add_f64 v[0:1], v[0:1], -v[10:11]
	s_delay_alu instid0(VALU_DEP_2) | instskip(NEXT) | instid1(VALU_DEP_2)
	v_fma_f64 v[10:11], v[16:17], v[12:13], v[12:13]
	v_add_f64 v[0:1], v[0:1], -v[20:21]
	s_delay_alu instid0(VALU_DEP_2) | instskip(NEXT) | instid1(VALU_DEP_2)
	v_fma_f64 v[12:13], -v[8:9], v[10:11], 1.0
	v_add_f64 v[0:1], v[14:15], v[0:1]
	s_delay_alu instid0(VALU_DEP_2) | instskip(NEXT) | instid1(VALU_DEP_1)
	v_fma_f64 v[10:11], v[12:13], v[10:11], v[10:11]
	v_mul_f64 v[12:13], v[0:1], v[10:11]
	s_delay_alu instid0(VALU_DEP_1) | instskip(NEXT) | instid1(VALU_DEP_1)
	v_fma_f64 v[0:1], -v[8:9], v[12:13], v[0:1]
	v_fma_f64 v[0:1], v[0:1], v[10:11], v[12:13]
	s_delay_alu instid0(VALU_DEP_1) | instskip(NEXT) | instid1(VALU_DEP_2)
	v_cndmask_b32_e64 v1, v1, 0, s1
	v_cndmask_b32_e64 v0, v0, 0, s1
	v_cmp_lt_f64_e64 s1, 0, v[18:19]
	s_delay_alu instid0(VALU_DEP_2) | instskip(NEXT) | instid1(VALU_DEP_1)
	v_add_f64 v[8:9], v[4:5], v[0:1]
	v_add_f64 v[4:5], v[8:9], -v[4:5]
	s_delay_alu instid0(VALU_DEP_1) | instskip(SKIP_1) | instid1(VALU_DEP_2)
	v_add_f64 v[0:1], v[0:1], -v[4:5]
	v_fma_f64 v[4:5], v[8:9], v[2:3], v[8:9]
	v_fma_f64 v[0:1], v[8:9], v[2:3], v[0:1]
	s_delay_alu instid0(VALU_DEP_2) | instskip(NEXT) | instid1(VALU_DEP_2)
	v_mul_f64 v[2:3], v[4:5], -2.0
	v_add_f64 v[0:1], v[8:9], v[0:1]
	s_delay_alu instid0(VALU_DEP_2) | instskip(NEXT) | instid1(VALU_DEP_2)
	v_fma_f64 v[2:3], s[4:5], s[2:3], v[2:3]
	v_add_f64 v[0:1], v[0:1], v[0:1]
	s_delay_alu instid0(VALU_DEP_1) | instskip(NEXT) | instid1(VALU_DEP_2)
	v_cndmask_b32_e64 v0, v0, v2, s1
	v_cndmask_b32_e64 v1, v1, v3, s1
	v_cmp_neq_f64_e64 s1, 1.0, v[18:19]
	s_delay_alu instid0(VALU_DEP_1) | instskip(NEXT) | instid1(VALU_DEP_4)
	v_cndmask_b32_e64 v5, 0x400921fb, v1, s1
	v_cndmask_b32_e64 v4, 0x54442d18, v0, s1
.LBB42_64:
	s_or_b32 exec_lo, exec_lo, s14
.LBB42_65:
	s_delay_alu instid0(SALU_CYCLE_1)
	s_or_b32 exec_lo, exec_lo, s13
                                        ; implicit-def: $vgpr20_vgpr21
                                        ; implicit-def: $vgpr22_vgpr23
.LBB42_66:
	s_and_not1_saveexec_b32 s3, s12
	s_cbranch_execz .LBB42_72
; %bb.67:
	s_delay_alu instid0(VALU_DEP_3) | instskip(NEXT) | instid1(VALU_DEP_3)
	v_max_f64 v[2:3], |v[22:23]|, |v[22:23]|
	v_max_f64 v[4:5], v[20:21], v[20:21]
	v_cmp_class_f64_e64 s4, v[22:23], 0x204
	s_delay_alu instid0(VALU_DEP_2) | instskip(SKIP_2) | instid1(SALU_CYCLE_1)
	v_max_f64 v[0:1], v[4:5], v[2:3]
	v_min_f64 v[2:3], v[4:5], v[2:3]
                                        ; implicit-def: $vgpr4_vgpr5
	s_and_saveexec_b32 s1, vcc_lo
	s_xor_b32 s5, exec_lo, s1
	s_cbranch_execz .LBB42_69
; %bb.68:
	s_delay_alu instid0(VALU_DEP_1)
	v_div_scale_f64 v[4:5], null, v[0:1], v[0:1], v[2:3]
	v_div_scale_f64 v[12:13], vcc_lo, v[2:3], v[0:1], v[2:3]
	s_mov_b32 s12, 0xbd3237f4
	s_mov_b32 s14, 0xb5e68a13
	;; [unrolled: 1-line block ×4, first 2 shown]
	v_cmp_eq_f64_e64 s2, 0x7ff00000, v[20:21]
	v_cmp_eq_f64_e64 s1, 0, v[22:23]
	s_delay_alu instid0(VALU_DEP_4) | instskip(SKIP_2) | instid1(VALU_DEP_1)
	v_rcp_f64_e32 v[8:9], v[4:5]
	s_waitcnt_depctr 0xfff
	v_fma_f64 v[10:11], -v[4:5], v[8:9], 1.0
	v_fma_f64 v[8:9], v[8:9], v[10:11], v[8:9]
	s_delay_alu instid0(VALU_DEP_1) | instskip(NEXT) | instid1(VALU_DEP_1)
	v_fma_f64 v[10:11], -v[4:5], v[8:9], 1.0
	v_fma_f64 v[8:9], v[8:9], v[10:11], v[8:9]
	s_delay_alu instid0(VALU_DEP_1) | instskip(NEXT) | instid1(VALU_DEP_1)
	v_mul_f64 v[10:11], v[12:13], v[8:9]
	v_fma_f64 v[4:5], -v[4:5], v[10:11], v[12:13]
	s_delay_alu instid0(VALU_DEP_1) | instskip(SKIP_1) | instid1(VALU_DEP_2)
	v_div_fmas_f64 v[4:5], v[4:5], v[8:9], v[10:11]
	v_cmp_lt_f64_e64 vcc_lo, v[20:21], |v[22:23]|
	v_div_fixup_f64 v[0:1], v[4:5], v[0:1], v[2:3]
	s_delay_alu instid0(VALU_DEP_1) | instskip(NEXT) | instid1(VALU_DEP_1)
	v_mul_f64 v[2:3], v[0:1], v[0:1]
	v_fma_f64 v[4:5], v[2:3], s[14:15], s[12:13]
	s_mov_b32 s12, 0x69efb384
	s_mov_b32 s13, 0x3f4b2bb0
	s_delay_alu instid0(VALU_DEP_1) | instid1(SALU_CYCLE_1)
	v_fma_f64 v[4:5], v[2:3], v[4:5], s[12:13]
	s_mov_b32 s12, 0xaf56de9b
	s_mov_b32 s13, 0xbf67952d
	s_delay_alu instid0(VALU_DEP_1) | instid1(SALU_CYCLE_1)
	;; [unrolled: 4-line block ×18, first 2 shown]
	v_fma_f64 v[4:5], v[2:3], v[4:5], s[12:13]
	s_mov_b32 s12, 0x54442d18
	s_mov_b32 s13, 0x3ff921fb
	s_delay_alu instid0(VALU_DEP_1) | instskip(SKIP_1) | instid1(VALU_DEP_2)
	v_mul_f64 v[2:3], v[2:3], v[4:5]
	v_ashrrev_i32_e32 v5, 31, v21
	v_fma_f64 v[0:1], v[0:1], v[2:3], v[0:1]
	s_delay_alu instid0(VALU_DEP_1) | instskip(SKIP_1) | instid1(VALU_DEP_1)
	v_add_f64 v[2:3], -v[0:1], s[12:13]
	s_mov_b32 s13, 0x400921fb
	v_dual_cndmask_b32 v1, v1, v3 :: v_dual_cndmask_b32 v0, v0, v2
	v_cmp_gt_i32_e32 vcc_lo, 0, v21
	s_delay_alu instid0(VALU_DEP_2) | instskip(NEXT) | instid1(VALU_DEP_1)
	v_add_f64 v[2:3], -v[0:1], s[12:13]
	v_dual_mov_b32 v4, 0x7f3321d2 :: v_dual_cndmask_b32 v1, v1, v3
	s_delay_alu instid0(VALU_DEP_2) | instskip(SKIP_1) | instid1(VALU_DEP_3)
	v_cndmask_b32_e32 v0, v0, v2, vcc_lo
	v_mov_b32_e32 v2, 0x4002d97c
	v_cndmask_b32_e32 v4, 0x54442d18, v4, vcc_lo
	s_delay_alu instid0(VALU_DEP_2) | instskip(SKIP_1) | instid1(VALU_DEP_1)
	v_cndmask_b32_e32 v2, 0x3fe921fb, v2, vcc_lo
	s_and_b32 vcc_lo, s2, s4
	v_bfi_b32 v2, 0x7fffffff, v2, v23
	v_and_b32_e32 v8, 0x54442d18, v5
	v_and_b32_e32 v5, 0x400921fb, v5
	s_delay_alu instid0(VALU_DEP_1) | instskip(NEXT) | instid1(VALU_DEP_1)
	v_cndmask_b32_e64 v1, v1, v5, s1
	v_cndmask_b32_e32 v1, v1, v2, vcc_lo
	s_delay_alu instid0(VALU_DEP_4) | instskip(NEXT) | instid1(VALU_DEP_1)
	v_cndmask_b32_e64 v0, v0, v8, s1
                                        ; implicit-def: $vgpr2_vgpr3
	v_cndmask_b32_e32 v0, v0, v4, vcc_lo
	v_cmp_o_f64_e32 vcc_lo, v[20:21], v[22:23]
                                        ; implicit-def: $vgpr20_vgpr21
	s_delay_alu instid0(VALU_DEP_2) | instskip(SKIP_1) | instid1(VALU_DEP_1)
	v_cndmask_b32_e32 v4, 0, v0, vcc_lo
	v_cndmask_b32_e32 v0, 0x7ff80000, v1, vcc_lo
	v_bfi_b32 v5, 0x7fffffff, v0, v23
                                        ; implicit-def: $vgpr0_vgpr1
                                        ; implicit-def: $vgpr22_vgpr23
.LBB42_69:
	s_and_not1_saveexec_b32 s5, s5
	s_cbranch_execz .LBB42_71
; %bb.70:
	s_delay_alu instid0(VALU_DEP_1)
	v_div_scale_f64 v[4:5], null, v[0:1], v[0:1], v[2:3]
	v_div_scale_f64 v[12:13], vcc_lo, v[2:3], v[0:1], v[2:3]
	s_mov_b32 s12, 0xbd3237f4
	s_mov_b32 s14, 0xb5e68a13
	;; [unrolled: 1-line block ×4, first 2 shown]
	v_cmp_eq_f64_e64 s2, 0x7ff00000, v[20:21]
	v_cmp_eq_f64_e64 s1, 0, v[22:23]
	s_delay_alu instid0(VALU_DEP_4) | instskip(SKIP_2) | instid1(VALU_DEP_1)
	v_rcp_f64_e32 v[8:9], v[4:5]
	s_waitcnt_depctr 0xfff
	v_fma_f64 v[10:11], -v[4:5], v[8:9], 1.0
	v_fma_f64 v[8:9], v[8:9], v[10:11], v[8:9]
	s_delay_alu instid0(VALU_DEP_1) | instskip(NEXT) | instid1(VALU_DEP_1)
	v_fma_f64 v[10:11], -v[4:5], v[8:9], 1.0
	v_fma_f64 v[8:9], v[8:9], v[10:11], v[8:9]
	s_delay_alu instid0(VALU_DEP_1) | instskip(NEXT) | instid1(VALU_DEP_1)
	v_mul_f64 v[10:11], v[12:13], v[8:9]
	v_fma_f64 v[4:5], -v[4:5], v[10:11], v[12:13]
	s_delay_alu instid0(VALU_DEP_1) | instskip(SKIP_1) | instid1(VALU_DEP_2)
	v_div_fmas_f64 v[4:5], v[4:5], v[8:9], v[10:11]
	v_cmp_lt_f64_e64 vcc_lo, v[20:21], |v[22:23]|
	v_div_fixup_f64 v[0:1], v[4:5], v[0:1], v[2:3]
	s_delay_alu instid0(VALU_DEP_1) | instskip(NEXT) | instid1(VALU_DEP_1)
	v_mul_f64 v[2:3], v[0:1], v[0:1]
	v_fma_f64 v[4:5], v[2:3], s[14:15], s[12:13]
	s_mov_b32 s12, 0x69efb384
	s_mov_b32 s13, 0x3f4b2bb0
	s_delay_alu instid0(VALU_DEP_1) | instid1(SALU_CYCLE_1)
	v_fma_f64 v[4:5], v[2:3], v[4:5], s[12:13]
	s_mov_b32 s12, 0xaf56de9b
	s_mov_b32 s13, 0xbf67952d
	s_delay_alu instid0(VALU_DEP_1) | instid1(SALU_CYCLE_1)
	;; [unrolled: 4-line block ×18, first 2 shown]
	v_fma_f64 v[4:5], v[2:3], v[4:5], s[12:13]
	s_mov_b32 s12, 0x54442d18
	s_mov_b32 s13, 0x3ff921fb
	s_delay_alu instid0(VALU_DEP_1) | instskip(SKIP_1) | instid1(VALU_DEP_1)
	v_mul_f64 v[2:3], v[2:3], v[4:5]
	v_xor_b32_e32 v4, 0x80000000, v21
	v_ashrrev_i32_e32 v8, 31, v4
	s_delay_alu instid0(VALU_DEP_3) | instskip(NEXT) | instid1(VALU_DEP_1)
	v_fma_f64 v[0:1], v[0:1], v[2:3], v[0:1]
	v_add_f64 v[2:3], -v[0:1], s[12:13]
	s_mov_b32 s13, 0x400921fb
	s_delay_alu instid0(VALU_DEP_1) | instskip(SKIP_1) | instid1(VALU_DEP_2)
	v_dual_cndmask_b32 v1, v1, v3 :: v_dual_cndmask_b32 v0, v0, v2
	v_cmp_gt_i32_e32 vcc_lo, 0, v4
	v_add_f64 v[2:3], -v[0:1], s[12:13]
	s_delay_alu instid0(VALU_DEP_1) | instskip(NEXT) | instid1(VALU_DEP_2)
	v_dual_mov_b32 v5, 0x7f3321d2 :: v_dual_cndmask_b32 v0, v0, v2
	v_dual_mov_b32 v2, 0x4002d97c :: v_dual_cndmask_b32 v1, v1, v3
	s_delay_alu instid0(VALU_DEP_2) | instskip(NEXT) | instid1(VALU_DEP_2)
	v_dual_cndmask_b32 v4, 0x54442d18, v5 :: v_dual_and_b32 v5, 0x54442d18, v8
	v_cndmask_b32_e32 v2, 0x3fe921fb, v2, vcc_lo
	s_and_b32 vcc_lo, s2, s4
	s_delay_alu instid0(VALU_DEP_2) | instskip(NEXT) | instid1(VALU_DEP_2)
	v_cndmask_b32_e64 v0, v0, v5, s1
	v_bfi_b32 v2, 0x7fffffff, v2, v23
	v_and_b32_e32 v8, 0x400921fb, v8
	s_delay_alu instid0(VALU_DEP_3) | instskip(NEXT) | instid1(VALU_DEP_2)
	v_cndmask_b32_e32 v0, v0, v4, vcc_lo
	v_cndmask_b32_e64 v1, v1, v8, s1
	s_delay_alu instid0(VALU_DEP_1) | instskip(SKIP_1) | instid1(VALU_DEP_4)
	v_cndmask_b32_e32 v1, v1, v2, vcc_lo
	v_cmp_o_f64_e64 vcc_lo, v[22:23], -v[20:21]
	v_cndmask_b32_e32 v4, 0, v0, vcc_lo
	s_delay_alu instid0(VALU_DEP_3) | instskip(NEXT) | instid1(VALU_DEP_1)
	v_cndmask_b32_e32 v0, 0x7ff80000, v1, vcc_lo
	v_bfi_b32 v5, 0x7fffffff, v0, v23
.LBB42_71:
	s_or_b32 exec_lo, exec_lo, s5
.LBB42_72:
	s_delay_alu instid0(SALU_CYCLE_1) | instskip(SKIP_2) | instid1(VALU_DEP_2)
	s_or_b32 exec_lo, exec_lo, s3
	v_xor_b32_e32 v0, 0x80000000, v7
	v_cndmask_b32_e64 v2, v6, v6, s0
	v_cndmask_b32_e64 v3, v0, v7, s0
                                        ; implicit-def: $vgpr0_vgpr1
.LBB42_73:
	s_and_not1_saveexec_b32 s1, s11
	s_cbranch_execz .LBB42_75
; %bb.74:
	s_waitcnt lgkmcnt(0)
	v_dual_mov_b32 v4, s6 :: v_dual_mov_b32 v5, s7
	s_mov_b32 s2, 0x54442d18
	s_mov_b32 s3, 0x3ff921fb
	v_xor_b32_e32 v3, 0x80000000, v3
	flat_load_b64 v[4:5], v[4:5] glc dlc
	s_waitcnt vmcnt(0) lgkmcnt(0)
	v_add_f64 v[0:1], v[4:5], -v[0:1]
	s_delay_alu instid0(VALU_DEP_1)
	v_add_f64 v[4:5], v[0:1], s[2:3]
.LBB42_75:
	s_or_b32 exec_lo, exec_lo, s1
.LBB42_76:
	s_and_not1_saveexec_b32 s1, s10
	s_cbranch_execz .LBB42_78
; %bb.77:
	s_waitcnt lgkmcnt(0)
	v_mov_b32_e32 v4, 0
	v_mov_b32_e32 v5, 0
	v_xor_b32_e32 v3, 0x80000000, v3
.LBB42_78:
	s_or_b32 exec_lo, exec_lo, s1
                                        ; implicit-def: $vgpr0_vgpr1
                                        ; implicit-def: $vgpr10_vgpr11
                                        ; implicit-def: $vgpr6_vgpr7
                                        ; implicit-def: $vgpr8_vgpr9
.LBB42_79:
	s_and_not1_saveexec_b32 s9, s9
	s_cbranch_execz .LBB42_89
; %bb.80:
	s_delay_alu instid0(VALU_DEP_1) | instskip(SKIP_4) | instid1(VALU_DEP_1)
	v_cmp_lt_f64_e64 s1, |v[0:1]|, |v[2:3]|
	v_and_b32_e32 v16, 0x7fffffff, v1
	v_and_b32_e32 v17, 0x7fffffff, v3
	s_mov_b32 s2, -1
	s_mov_b32 s3, 0x7fdfffff
                                        ; implicit-def: $vgpr12_vgpr13
                                        ; implicit-def: $vgpr4_vgpr5
	v_cndmask_b32_e64 v15, v16, v17, s1
	v_cndmask_b32_e64 v14, v0, v2, s1
	s_delay_alu instid0(VALU_DEP_1) | instskip(SKIP_1) | instid1(SALU_CYCLE_1)
	v_cmp_nlt_f64_e32 vcc_lo, s[2:3], v[14:15]
	s_and_saveexec_b32 s2, vcc_lo
	s_xor_b32 s10, exec_lo, s2
	s_cbranch_execz .LBB42_86
; %bb.81:
	v_cndmask_b32_e64 v17, v17, v16, s1
	v_cndmask_b32_e64 v16, v2, v0, s1
	v_cmp_nlt_f64_e32 vcc_lo, 0x20200000, v[14:15]
                                        ; implicit-def: $vgpr12_vgpr13
                                        ; implicit-def: $vgpr4_vgpr5
	s_delay_alu instid0(VALU_DEP_2) | instskip(NEXT) | instid1(VALU_DEP_1)
	v_cmp_ngt_f64_e64 s2, 0x20000000, v[16:17]
	s_and_b32 s2, vcc_lo, s2
	s_delay_alu instid0(SALU_CYCLE_1) | instskip(NEXT) | instid1(SALU_CYCLE_1)
	s_and_saveexec_b32 s3, s2
	s_xor_b32 s11, exec_lo, s3
	s_cbranch_execz .LBB42_83
; %bb.82:
	s_waitcnt lgkmcnt(0)
	v_mul_f64 v[4:5], v[16:17], v[16:17]
	s_mov_b32 s5, 0x3fe55555
	s_mov_b32 s4, 0x55555555
	v_min_f64 v[6:7], v[10:11], v[6:7]
	s_mov_b32 s12, 0xbd3237f4
	s_mov_b32 s14, 0xb5e68a13
	;; [unrolled: 1-line block ×4, first 2 shown]
	s_delay_alu instid0(VALU_DEP_2) | instskip(SKIP_1) | instid1(VALU_DEP_3)
	v_fma_f64 v[4:5], v[14:15], v[14:15], v[4:5]
	v_mov_b32_e32 v14, 0
	v_div_scale_f64 v[30:31], vcc_lo, v[6:7], v[8:9], v[6:7]
	s_delay_alu instid0(VALU_DEP_3) | instskip(NEXT) | instid1(VALU_DEP_1)
	v_frexp_mant_f64_e32 v[12:13], v[4:5]
	v_cmp_gt_f64_e64 s2, s[4:5], v[12:13]
	s_mov_b32 s4, 0x55555780
	s_delay_alu instid0(VALU_DEP_1) | instskip(NEXT) | instid1(VALU_DEP_1)
	v_cndmask_b32_e64 v15, 0x3ff00000, 2.0, s2
	v_mul_f64 v[12:13], v[12:13], v[14:15]
	s_delay_alu instid0(VALU_DEP_1) | instskip(SKIP_1) | instid1(VALU_DEP_2)
	v_add_f64 v[14:15], v[12:13], 1.0
	v_add_f64 v[20:21], v[12:13], -1.0
	v_rcp_f64_e32 v[16:17], v[14:15]
	v_add_f64 v[22:23], v[14:15], -1.0
	s_delay_alu instid0(VALU_DEP_1) | instskip(SKIP_2) | instid1(VALU_DEP_1)
	v_add_f64 v[12:13], v[12:13], -v[22:23]
	s_waitcnt_depctr 0xfff
	v_fma_f64 v[18:19], -v[14:15], v[16:17], 1.0
	v_fma_f64 v[16:17], v[18:19], v[16:17], v[16:17]
	s_delay_alu instid0(VALU_DEP_1) | instskip(NEXT) | instid1(VALU_DEP_1)
	v_fma_f64 v[18:19], -v[14:15], v[16:17], 1.0
	v_fma_f64 v[16:17], v[18:19], v[16:17], v[16:17]
	v_div_scale_f64 v[18:19], null, v[8:9], v[8:9], v[6:7]
	s_delay_alu instid0(VALU_DEP_2) | instskip(NEXT) | instid1(VALU_DEP_2)
	v_mul_f64 v[10:11], v[20:21], v[16:17]
	v_rcp_f64_e32 v[26:27], v[18:19]
	s_delay_alu instid0(VALU_DEP_1) | instskip(SKIP_3) | instid1(VALU_DEP_1)
	v_mul_f64 v[24:25], v[14:15], v[10:11]
	s_waitcnt_depctr 0xfff
	v_fma_f64 v[22:23], -v[18:19], v[26:27], 1.0
	v_fma_f64 v[14:15], v[10:11], v[14:15], -v[24:25]
	v_fma_f64 v[12:13], v[10:11], v[12:13], v[14:15]
	s_delay_alu instid0(VALU_DEP_3) | instskip(NEXT) | instid1(VALU_DEP_2)
	v_fma_f64 v[14:15], v[26:27], v[22:23], v[26:27]
	v_add_f64 v[22:23], v[24:25], v[12:13]
	s_delay_alu instid0(VALU_DEP_2) | instskip(NEXT) | instid1(VALU_DEP_2)
	v_fma_f64 v[26:27], -v[18:19], v[14:15], 1.0
	v_add_f64 v[28:29], v[20:21], -v[22:23]
	s_delay_alu instid0(VALU_DEP_2) | instskip(SKIP_1) | instid1(VALU_DEP_3)
	v_fma_f64 v[14:15], v[14:15], v[26:27], v[14:15]
	v_add_f64 v[24:25], v[22:23], -v[24:25]
	v_add_f64 v[20:21], v[20:21], -v[28:29]
	s_delay_alu instid0(VALU_DEP_3) | instskip(NEXT) | instid1(VALU_DEP_3)
	v_mul_f64 v[26:27], v[30:31], v[14:15]
	v_add_f64 v[12:13], v[24:25], -v[12:13]
	v_frexp_exp_i32_f64_e32 v24, v[4:5]
	s_delay_alu instid0(VALU_DEP_4) | instskip(NEXT) | instid1(VALU_DEP_4)
	v_add_f64 v[20:21], v[20:21], -v[22:23]
	v_fma_f64 v[18:19], -v[18:19], v[26:27], v[30:31]
	s_delay_alu instid0(VALU_DEP_2) | instskip(NEXT) | instid1(VALU_DEP_2)
	v_add_f64 v[12:13], v[12:13], v[20:21]
	v_div_fmas_f64 v[14:15], v[18:19], v[14:15], v[26:27]
	s_delay_alu instid0(VALU_DEP_2) | instskip(NEXT) | instid1(VALU_DEP_2)
	v_add_f64 v[12:13], v[28:29], v[12:13]
	v_div_fixup_f64 v[6:7], v[14:15], v[8:9], v[6:7]
	s_delay_alu instid0(VALU_DEP_2) | instskip(NEXT) | instid1(VALU_DEP_2)
	v_mul_f64 v[8:9], v[16:17], v[12:13]
	v_mul_f64 v[12:13], v[6:7], v[6:7]
	s_delay_alu instid0(VALU_DEP_2) | instskip(NEXT) | instid1(VALU_DEP_2)
	v_add_f64 v[14:15], v[10:11], v[8:9]
	v_fma_f64 v[16:17], v[12:13], s[14:15], s[12:13]
	s_mov_b32 s12, 0x69efb384
	s_mov_b32 s13, 0x3f4b2bb0
	s_mov_b32 s14, 0xbf559e2b
	s_mov_b32 s15, 0x3fc3ab76
	s_delay_alu instid0(VALU_DEP_2) | instskip(NEXT) | instid1(VALU_DEP_2)
	v_mul_f64 v[18:19], v[14:15], v[14:15]
	v_fma_f64 v[16:17], v[12:13], v[16:17], s[12:13]
	s_mov_b32 s12, 0x6b47b09a
	s_mov_b32 s13, 0x3fc38538
	v_add_f64 v[10:11], v[14:15], -v[10:11]
	s_delay_alu instid0(VALU_DEP_3) | instskip(SKIP_3) | instid1(VALU_DEP_4)
	v_fma_f64 v[20:21], v[18:19], s[14:15], s[12:13]
	s_mov_b32 s12, 0xaf56de9b
	s_mov_b32 s13, 0xbf67952d
	v_mul_f64 v[22:23], v[14:15], v[18:19]
	v_fma_f64 v[16:17], v[12:13], v[16:17], s[12:13]
	s_mov_b32 s12, 0xd7f4df2e
	s_mov_b32 s13, 0x3fc7474d
	s_delay_alu instid0(VALU_DEP_4) | instskip(NEXT) | instid1(VALU_DEP_4)
	v_add_f64 v[8:9], v[8:9], -v[10:11]
	v_fma_f64 v[20:21], v[18:19], v[20:21], s[12:13]
	s_mov_b32 s12, 0xa595c56f
	s_mov_b32 s13, 0x3f7d6d43
	s_delay_alu instid0(VALU_DEP_3) | instid1(SALU_CYCLE_1)
	v_fma_f64 v[16:17], v[12:13], v[16:17], s[12:13]
	s_mov_b32 s12, 0x16291751
	s_mov_b32 s13, 0x3fcc71c0
	s_delay_alu instid0(VALU_DEP_3) | instskip(NEXT) | instid1(VALU_DEP_3)
	v_ldexp_f64 v[8:9], v[8:9], 1
	v_fma_f64 v[20:21], v[18:19], v[20:21], s[12:13]
	s_mov_b32 s12, 0xa57d9582
	s_mov_b32 s13, 0xbf8c6ea4
	s_delay_alu instid0(VALU_DEP_3) | instid1(SALU_CYCLE_1)
	v_fma_f64 v[16:17], v[12:13], v[16:17], s[12:13]
	s_mov_b32 s12, 0x9b27acf1
	s_mov_b32 s13, 0x3fd24924
	s_delay_alu instid0(VALU_DEP_2) | instid1(SALU_CYCLE_1)
	v_fma_f64 v[20:21], v[18:19], v[20:21], s[12:13]
	s_mov_b32 s12, 0x5f08b19f
	s_mov_b32 s13, 0x3f967e29
	s_delay_alu instid0(VALU_DEP_2) | instid1(SALU_CYCLE_1)
	;; [unrolled: 4-line block ×4, first 2 shown]
	v_fma_f64 v[16:17], v[12:13], v[16:17], s[12:13]
	s_delay_alu instid0(VALU_DEP_2) | instskip(SKIP_3) | instid1(VALU_DEP_3)
	v_fma_f64 v[18:19], v[18:19], v[20:21], s[4:5]
	s_mov_b32 s4, 0x5711927a
	s_mov_b32 s5, 0x3fa2c15b
	v_ldexp_f64 v[20:21], v[14:15], 1
	v_fma_f64 v[16:17], v[12:13], v[16:17], s[4:5]
	s_mov_b32 s4, 0xe82d3ff0
	s_mov_b32 s5, 0xbfa59976
	s_delay_alu instid0(VALU_DEP_3) | instskip(SKIP_2) | instid1(VALU_DEP_3)
	v_mul_f64 v[18:19], v[22:23], v[18:19]
	v_subrev_co_ci_u32_e64 v22, vcc_lo, 0, v24, s2
	s_mov_b32 s2, 0x6ef28734
	v_fma_f64 v[16:17], v[12:13], v[16:17], s[4:5]
	s_mov_b32 s3, 0x3fa82d5d
	s_delay_alu instid0(VALU_DEP_2) | instskip(SKIP_4) | instid1(VALU_DEP_4)
	v_cvt_f64_i32_e32 v[22:23], v22
	s_mov_b32 s4, 0x6a214619
	s_mov_b32 s5, 0xbfaae5ce
	v_cmp_gt_i32_e32 vcc_lo, 0, v1
	v_add_f64 v[14:15], v[20:21], v[18:19]
	v_fma_f64 v[16:17], v[12:13], v[16:17], s[2:3]
	s_mov_b32 s2, 0xfefa39ef
	s_mov_b32 s3, 0x3fe62e42
	s_delay_alu instid0(VALU_DEP_4) | instid1(SALU_CYCLE_1)
	v_mul_f64 v[24:25], v[22:23], s[2:3]
	s_delay_alu instid0(VALU_DEP_3) | instskip(NEXT) | instid1(VALU_DEP_3)
	v_add_f64 v[10:11], v[14:15], -v[20:21]
	v_fma_f64 v[16:17], v[12:13], v[16:17], s[4:5]
	v_cmp_class_f64_e64 s4, v[2:3], 0x204
	v_cmp_class_f64_e64 s5, v[0:1], 0x204
	v_fma_f64 v[20:21], v[22:23], s[2:3], -v[24:25]
	s_mov_b32 s2, 0x8427b883
	s_mov_b32 s3, 0x3fae1bb4
	v_add_f64 v[10:11], v[18:19], -v[10:11]
	v_fma_f64 v[16:17], v[12:13], v[16:17], s[2:3]
	s_mov_b32 s2, 0x3b39803f
	s_mov_b32 s3, 0x3c7abc9e
	s_delay_alu instid0(VALU_DEP_3) | instid1(SALU_CYCLE_1)
	v_fma_f64 v[18:19], v[22:23], s[2:3], v[20:21]
	s_mov_b32 s2, 0x8b207f05
	s_mov_b32 s3, 0xbfb110e4
	s_delay_alu instid0(VALU_DEP_3) | instskip(NEXT) | instid1(VALU_DEP_3)
	v_add_f64 v[8:9], v[8:9], v[10:11]
	v_fma_f64 v[10:11], v[12:13], v[16:17], s[2:3]
	s_mov_b32 s2, 0x57b87036
	s_mov_b32 s3, 0x3fb3b136
	s_delay_alu instid0(VALU_DEP_3) | instskip(NEXT) | instid1(VALU_DEP_3)
	v_add_f64 v[16:17], v[24:25], v[18:19]
	v_add_f64 v[20:21], v[14:15], v[8:9]
	s_delay_alu instid0(VALU_DEP_3) | instskip(SKIP_2) | instid1(VALU_DEP_3)
	v_fma_f64 v[10:11], v[12:13], v[10:11], s[2:3]
	s_mov_b32 s2, 0x19378e4f
	s_mov_b32 s3, 0xbfb745d1
	v_add_f64 v[24:25], v[16:17], -v[24:25]
	s_delay_alu instid0(VALU_DEP_3) | instskip(SKIP_1) | instid1(VALU_DEP_4)
	v_add_f64 v[22:23], v[16:17], v[20:21]
	v_add_f64 v[14:15], v[20:21], -v[14:15]
	v_fma_f64 v[10:11], v[12:13], v[10:11], s[2:3]
	s_mov_b32 s2, 0x17e1913c
	s_mov_b32 s3, 0x3fbc71c7
	s_delay_alu instid0(VALU_DEP_4) | instskip(NEXT) | instid1(VALU_DEP_4)
	v_add_f64 v[18:19], v[18:19], -v[24:25]
	v_add_f64 v[26:27], v[22:23], -v[16:17]
	s_delay_alu instid0(VALU_DEP_4) | instskip(NEXT) | instid1(VALU_DEP_4)
	v_add_f64 v[8:9], v[8:9], -v[14:15]
	v_fma_f64 v[10:11], v[12:13], v[10:11], s[2:3]
	s_mov_b32 s2, 0x92376b7d
	s_mov_b32 s3, 0xbfc24924
	s_delay_alu instid0(VALU_DEP_3) | instskip(SKIP_1) | instid1(VALU_DEP_4)
	v_add_f64 v[28:29], v[22:23], -v[26:27]
	v_add_f64 v[14:15], v[20:21], -v[26:27]
	v_add_f64 v[20:21], v[18:19], v[8:9]
	s_delay_alu instid0(VALU_DEP_4) | instskip(SKIP_2) | instid1(VALU_DEP_4)
	v_fma_f64 v[10:11], v[12:13], v[10:11], s[2:3]
	s_mov_b32 s2, 0x999952cc
	s_mov_b32 s3, 0x3fc99999
	v_add_f64 v[16:17], v[16:17], -v[28:29]
	s_delay_alu instid0(VALU_DEP_2) | instskip(SKIP_2) | instid1(VALU_DEP_2)
	v_fma_f64 v[10:11], v[12:13], v[10:11], s[2:3]
	s_mov_b32 s2, 0x55555523
	s_mov_b32 s3, 0xbfd55555
	v_add_f64 v[14:15], v[14:15], v[16:17]
	v_add_f64 v[16:17], v[20:21], -v[18:19]
	s_delay_alu instid0(VALU_DEP_3) | instskip(SKIP_2) | instid1(VALU_DEP_3)
	v_fma_f64 v[10:11], v[12:13], v[10:11], s[2:3]
	s_mov_b32 s2, 0x54442d18
	s_mov_b32 s3, 0x3ff921fb
	v_add_f64 v[14:15], v[20:21], v[14:15]
	s_delay_alu instid0(VALU_DEP_3) | instskip(NEXT) | instid1(VALU_DEP_3)
	v_add_f64 v[8:9], v[8:9], -v[16:17]
	v_mul_f64 v[10:11], v[12:13], v[10:11]
	v_add_f64 v[12:13], v[20:21], -v[16:17]
	s_delay_alu instid0(VALU_DEP_4) | instskip(NEXT) | instid1(VALU_DEP_3)
	v_add_f64 v[20:21], v[22:23], v[14:15]
	v_fma_f64 v[6:7], v[6:7], v[10:11], v[6:7]
	s_delay_alu instid0(VALU_DEP_3) | instskip(NEXT) | instid1(VALU_DEP_3)
	v_add_f64 v[10:11], v[18:19], -v[12:13]
	v_add_f64 v[12:13], v[20:21], -v[22:23]
	s_delay_alu instid0(VALU_DEP_3) | instskip(NEXT) | instid1(VALU_DEP_3)
	v_add_f64 v[16:17], -v[6:7], s[2:3]
	v_add_f64 v[8:9], v[8:9], v[10:11]
	s_mov_b32 s3, 0x400921fb
	s_delay_alu instid0(VALU_DEP_3) | instskip(NEXT) | instid1(VALU_DEP_3)
	v_add_f64 v[10:11], v[14:15], -v[12:13]
	v_cndmask_b32_e64 v7, v7, v17, s1
	s_delay_alu instid0(VALU_DEP_4) | instskip(NEXT) | instid1(VALU_DEP_1)
	v_cndmask_b32_e64 v6, v6, v16, s1
	v_add_f64 v[12:13], -v[6:7], s[2:3]
	v_cmp_eq_f64_e64 s2, 0, v[2:3]
	v_cmp_class_f64_e64 s3, v[4:5], 0x204
	v_add_f64 v[8:9], v[8:9], v[10:11]
	v_ashrrev_i32_e32 v11, 31, v1
	s_delay_alu instid0(VALU_DEP_1) | instskip(SKIP_2) | instid1(VALU_DEP_1)
	v_and_b32_e32 v14, 0x400921fb, v11
	v_and_b32_e32 v11, 0x54442d18, v11
	v_dual_cndmask_b32 v13, v7, v13 :: v_dual_cndmask_b32 v6, v6, v12
	v_cndmask_b32_e64 v12, v13, v14, s2
	s_delay_alu instid0(VALU_DEP_2) | instskip(SKIP_3) | instid1(VALU_DEP_1)
	v_cndmask_b32_e64 v6, v6, v11, s2
	v_cmp_o_f64_e64 s2, v[0:1], v[2:3]
                                        ; implicit-def: $vgpr0_vgpr1
	v_add_f64 v[7:8], v[20:21], v[8:9]
	v_mov_b32_e32 v9, 0x4002d97c
	v_cndmask_b32_e32 v9, 0x3fe921fb, v9, vcc_lo
	s_delay_alu instid0(VALU_DEP_1) | instskip(SKIP_1) | instid1(VALU_DEP_1)
	v_bfi_b32 v9, 0x7fffffff, v9, v3
	v_mov_b32_e32 v10, 0x7f3321d2
                                        ; implicit-def: $vgpr2_vgpr3
	v_cndmask_b32_e32 v10, 0x54442d18, v10, vcc_lo
	s_and_b32 vcc_lo, s5, s4
	s_delay_alu instid0(VALU_DEP_1) | instskip(SKIP_3) | instid1(VALU_DEP_4)
	v_dual_cndmask_b32 v9, v12, v9 :: v_dual_cndmask_b32 v10, v6, v10
	v_cmp_neq_f64_e32 vcc_lo, 0, v[4:5]
	v_cndmask_b32_e64 v8, v8, v5, s3
	v_cndmask_b32_e64 v7, v7, v4, s3
	;; [unrolled: 1-line block ×4, first 2 shown]
                                        ; implicit-def: $vgpr10_vgpr11
	s_delay_alu instid0(VALU_DEP_3) | instskip(NEXT) | instid1(VALU_DEP_1)
	v_mul_f64 v[6:7], v[7:8], 0.5
                                        ; implicit-def: $vgpr8_vgpr9
	v_cndmask_b32_e32 v13, 0xfff00000, v7, vcc_lo
	s_delay_alu instid0(VALU_DEP_2)
	v_cndmask_b32_e32 v12, 0, v6, vcc_lo
                                        ; implicit-def: $vgpr6_vgpr7
.LBB42_83:
	s_and_not1_saveexec_b32 s11, s11
	s_cbranch_execz .LBB42_85
; %bb.84:
	v_frexp_exp_i32_f64_e32 v18, v[8:9]
	v_cmp_o_f64_e64 s2, v[0:1], v[2:3]
	v_cmp_class_f64_e64 s12, v[0:1], 0x204
	v_cmp_class_f64_e64 s14, v[2:3], 0x204
	s_mov_b32 s5, 0x3fe55555
	s_mov_b32 s4, 0x55555555
	v_min_f64 v[6:7], v[10:11], v[6:7]
	s_mov_b32 s16, 0xbd3237f4
	s_mov_b32 s18, 0xb5e68a13
	;; [unrolled: 1-line block ×4, first 2 shown]
	v_sub_nc_u32_e32 v12, 0, v18
	s_delay_alu instid0(VALU_DEP_3) | instskip(SKIP_1) | instid1(VALU_DEP_1)
	s_or_b32 s13, s12, s14
	s_waitcnt lgkmcnt(0)
	v_ldexp_f64 v[4:5], |v[2:3]|, v12
	v_ldexp_f64 v[12:13], |v[0:1]|, v12
	s_delay_alu instid0(VALU_DEP_2) | instskip(NEXT) | instid1(VALU_DEP_1)
	v_mul_f64 v[4:5], v[4:5], v[4:5]
	v_fma_f64 v[4:5], v[12:13], v[12:13], v[4:5]
	s_delay_alu instid0(VALU_DEP_1) | instskip(SKIP_4) | instid1(VALU_DEP_1)
	v_rsq_f64_e32 v[12:13], v[4:5]
	v_cmp_eq_f64_e32 vcc_lo, 0, v[4:5]
	s_waitcnt_depctr 0xfff
	v_mul_f64 v[14:15], v[4:5], v[12:13]
	v_mul_f64 v[12:13], v[12:13], 0.5
	v_fma_f64 v[16:17], -v[12:13], v[14:15], 0.5
	s_delay_alu instid0(VALU_DEP_1) | instskip(SKIP_1) | instid1(VALU_DEP_2)
	v_fma_f64 v[14:15], v[14:15], v[16:17], v[14:15]
	v_fma_f64 v[12:13], v[12:13], v[16:17], v[12:13]
	v_fma_f64 v[16:17], -v[14:15], v[14:15], v[4:5]
	s_delay_alu instid0(VALU_DEP_1) | instskip(SKIP_1) | instid1(VALU_DEP_2)
	v_fma_f64 v[12:13], v[16:17], v[12:13], v[14:15]
	v_mov_b32_e32 v17, 0
	v_dual_cndmask_b32 v5, v13, v5 :: v_dual_cndmask_b32 v4, v12, v4
	v_div_scale_f64 v[33:34], vcc_lo, v[6:7], v[8:9], v[6:7]
	s_delay_alu instid0(VALU_DEP_2) | instskip(NEXT) | instid1(VALU_DEP_1)
	v_ldexp_f64 v[4:5], v[4:5], v18
	v_cndmask_b32_e64 v12, 0, v4, s2
	s_delay_alu instid0(VALU_DEP_2) | instskip(NEXT) | instid1(VALU_DEP_2)
	v_cndmask_b32_e64 v35, 0x7ff80000, v5, s2
	v_cndmask_b32_e64 v13, v12, 0, s13
	s_delay_alu instid0(VALU_DEP_2) | instskip(NEXT) | instid1(VALU_DEP_1)
	v_cndmask_b32_e64 v14, v35, 0x7ff00000, s13
	v_frexp_mant_f64_e32 v[15:16], v[13:14]
	v_frexp_exp_i32_f64_e32 v0, v[13:14]
	s_delay_alu instid0(VALU_DEP_2) | instskip(SKIP_1) | instid1(VALU_DEP_1)
	v_cmp_gt_f64_e64 s3, s[4:5], v[15:16]
	s_mov_b32 s4, 0x55555780
	v_cndmask_b32_e64 v18, 0x3ff00000, 2.0, s3
	s_delay_alu instid0(VALU_DEP_1) | instskip(NEXT) | instid1(VALU_DEP_1)
	v_mul_f64 v[15:16], v[15:16], v[17:18]
	v_add_f64 v[17:18], v[15:16], 1.0
	v_add_f64 v[23:24], v[15:16], -1.0
	s_delay_alu instid0(VALU_DEP_2) | instskip(SKIP_1) | instid1(VALU_DEP_1)
	v_rcp_f64_e32 v[19:20], v[17:18]
	v_add_f64 v[25:26], v[17:18], -1.0
	v_add_f64 v[15:16], v[15:16], -v[25:26]
	s_waitcnt_depctr 0xfff
	v_fma_f64 v[21:22], -v[17:18], v[19:20], 1.0
	s_delay_alu instid0(VALU_DEP_1) | instskip(NEXT) | instid1(VALU_DEP_1)
	v_fma_f64 v[19:20], v[21:22], v[19:20], v[19:20]
	v_fma_f64 v[21:22], -v[17:18], v[19:20], 1.0
	s_delay_alu instid0(VALU_DEP_1) | instskip(SKIP_1) | instid1(VALU_DEP_2)
	v_fma_f64 v[19:20], v[21:22], v[19:20], v[19:20]
	v_div_scale_f64 v[21:22], null, v[8:9], v[8:9], v[6:7]
	v_mul_f64 v[10:11], v[23:24], v[19:20]
	s_delay_alu instid0(VALU_DEP_2) | instskip(NEXT) | instid1(VALU_DEP_1)
	v_rcp_f64_e32 v[29:30], v[21:22]
	v_mul_f64 v[27:28], v[17:18], v[10:11]
	s_waitcnt_depctr 0xfff
	v_fma_f64 v[25:26], -v[21:22], v[29:30], 1.0
	v_fma_f64 v[17:18], v[10:11], v[17:18], -v[27:28]
	s_delay_alu instid0(VALU_DEP_1) | instskip(NEXT) | instid1(VALU_DEP_3)
	v_fma_f64 v[15:16], v[10:11], v[15:16], v[17:18]
	v_fma_f64 v[17:18], v[29:30], v[25:26], v[29:30]
	s_delay_alu instid0(VALU_DEP_2) | instskip(NEXT) | instid1(VALU_DEP_2)
	v_add_f64 v[25:26], v[27:28], v[15:16]
	v_fma_f64 v[29:30], -v[21:22], v[17:18], 1.0
	s_delay_alu instid0(VALU_DEP_2) | instskip(NEXT) | instid1(VALU_DEP_2)
	v_add_f64 v[31:32], v[23:24], -v[25:26]
	v_fma_f64 v[17:18], v[17:18], v[29:30], v[17:18]
	v_add_f64 v[27:28], v[25:26], -v[27:28]
	s_delay_alu instid0(VALU_DEP_3) | instskip(NEXT) | instid1(VALU_DEP_3)
	v_add_f64 v[23:24], v[23:24], -v[31:32]
	v_mul_f64 v[29:30], v[33:34], v[17:18]
	s_delay_alu instid0(VALU_DEP_3) | instskip(NEXT) | instid1(VALU_DEP_3)
	v_add_f64 v[15:16], v[27:28], -v[15:16]
	v_add_f64 v[23:24], v[23:24], -v[25:26]
	s_delay_alu instid0(VALU_DEP_3) | instskip(NEXT) | instid1(VALU_DEP_2)
	v_fma_f64 v[21:22], -v[21:22], v[29:30], v[33:34]
	v_add_f64 v[15:16], v[15:16], v[23:24]
	s_delay_alu instid0(VALU_DEP_2) | instskip(SKIP_4) | instid1(VALU_DEP_1)
	v_div_fmas_f64 v[17:18], v[21:22], v[17:18], v[29:30]
	v_subrev_co_ci_u32_e64 v0, vcc_lo, 0, v0, s3
	v_cmp_gt_i32_e32 vcc_lo, 0, v1
	v_cmp_eq_f64_e64 s3, 0, v[2:3]
	v_mov_b32_e32 v2, 0x4002d97c
	v_cndmask_b32_e32 v2, 0x3fe921fb, v2, vcc_lo
	s_delay_alu instid0(VALU_DEP_1) | instskip(SKIP_2) | instid1(VALU_DEP_2)
	v_bfi_b32 v2, 0x7fffffff, v2, v3
	v_add_f64 v[15:16], v[31:32], v[15:16]
	v_div_fixup_f64 v[6:7], v[17:18], v[8:9], v[6:7]
	v_mul_f64 v[8:9], v[19:20], v[15:16]
	s_delay_alu instid0(VALU_DEP_2) | instskip(NEXT) | instid1(VALU_DEP_2)
	v_mul_f64 v[15:16], v[6:7], v[6:7]
	v_add_f64 v[17:18], v[10:11], v[8:9]
	s_delay_alu instid0(VALU_DEP_2) | instskip(SKIP_4) | instid1(VALU_DEP_2)
	v_fma_f64 v[19:20], v[15:16], s[18:19], s[16:17]
	s_mov_b32 s16, 0x69efb384
	s_mov_b32 s17, 0x3f4b2bb0
	;; [unrolled: 1-line block ×4, first 2 shown]
	v_mul_f64 v[21:22], v[17:18], v[17:18]
	s_delay_alu instid0(VALU_DEP_2) | instskip(SKIP_3) | instid1(VALU_DEP_3)
	v_fma_f64 v[19:20], v[15:16], v[19:20], s[16:17]
	s_mov_b32 s16, 0x6b47b09a
	s_mov_b32 s17, 0x3fc38538
	v_add_f64 v[10:11], v[17:18], -v[10:11]
	v_fma_f64 v[23:24], v[21:22], s[18:19], s[16:17]
	s_mov_b32 s16, 0xaf56de9b
	s_mov_b32 s17, 0xbf67952d
	v_mul_f64 v[25:26], v[17:18], v[21:22]
	s_delay_alu instid0(VALU_DEP_4) | instskip(SKIP_2) | instid1(VALU_DEP_4)
	v_fma_f64 v[19:20], v[15:16], v[19:20], s[16:17]
	s_mov_b32 s16, 0xd7f4df2e
	s_mov_b32 s17, 0x3fc7474d
	v_add_f64 v[8:9], v[8:9], -v[10:11]
	s_delay_alu instid0(VALU_DEP_4)
	v_fma_f64 v[23:24], v[21:22], v[23:24], s[16:17]
	s_mov_b32 s16, 0xa595c56f
	s_mov_b32 s17, 0x3f7d6d43
	s_delay_alu instid0(VALU_DEP_3) | instid1(SALU_CYCLE_1)
	v_fma_f64 v[19:20], v[15:16], v[19:20], s[16:17]
	s_mov_b32 s16, 0x16291751
	s_mov_b32 s17, 0x3fcc71c0
	s_delay_alu instid0(VALU_DEP_3) | instskip(NEXT) | instid1(VALU_DEP_3)
	v_ldexp_f64 v[8:9], v[8:9], 1
	v_fma_f64 v[23:24], v[21:22], v[23:24], s[16:17]
	s_mov_b32 s16, 0xa57d9582
	s_mov_b32 s17, 0xbf8c6ea4
	s_delay_alu instid0(VALU_DEP_3) | instid1(SALU_CYCLE_1)
	v_fma_f64 v[19:20], v[15:16], v[19:20], s[16:17]
	s_mov_b32 s16, 0x9b27acf1
	s_mov_b32 s17, 0x3fd24924
	s_delay_alu instid0(VALU_DEP_2) | instid1(SALU_CYCLE_1)
	v_fma_f64 v[23:24], v[21:22], v[23:24], s[16:17]
	s_mov_b32 s16, 0x5f08b19f
	s_mov_b32 s17, 0x3f967e29
	s_delay_alu instid0(VALU_DEP_2) | instid1(SALU_CYCLE_1)
	;; [unrolled: 4-line block ×4, first 2 shown]
	v_fma_f64 v[19:20], v[15:16], v[19:20], s[16:17]
	s_mov_b32 s16, 0x6a214619
	s_mov_b32 s17, 0xbfaae5ce
	s_delay_alu instid0(VALU_DEP_2) | instskip(SKIP_3) | instid1(VALU_DEP_3)
	v_fma_f64 v[21:22], v[21:22], v[23:24], s[4:5]
	s_mov_b32 s4, 0x5711927a
	s_mov_b32 s5, 0x3fa2c15b
	v_ldexp_f64 v[23:24], v[17:18], 1
	v_fma_f64 v[19:20], v[15:16], v[19:20], s[4:5]
	s_mov_b32 s4, 0xe82d3ff0
	s_mov_b32 s5, 0xbfa59976
	s_delay_alu instid0(VALU_DEP_3) | instskip(SKIP_2) | instid1(VALU_DEP_4)
	v_mul_f64 v[21:22], v[25:26], v[21:22]
	v_cvt_f64_i32_e32 v[25:26], v0
	v_mov_b32_e32 v0, 0x7f3321d2
	v_fma_f64 v[19:20], v[15:16], v[19:20], s[4:5]
	s_mov_b32 s4, 0x6ef28734
	s_mov_b32 s5, 0x3fa82d5d
	s_delay_alu instid0(VALU_DEP_4) | instskip(NEXT) | instid1(VALU_DEP_2)
	v_add_f64 v[17:18], v[23:24], v[21:22]
	v_fma_f64 v[19:20], v[15:16], v[19:20], s[4:5]
	s_mov_b32 s4, 0xfefa39ef
	s_mov_b32 s5, 0x3fe62e42
	s_delay_alu instid0(SALU_CYCLE_1) | instskip(NEXT) | instid1(VALU_DEP_3)
	v_mul_f64 v[27:28], v[25:26], s[4:5]
	v_add_f64 v[10:11], v[17:18], -v[23:24]
	s_delay_alu instid0(VALU_DEP_3) | instskip(NEXT) | instid1(VALU_DEP_3)
	v_fma_f64 v[19:20], v[15:16], v[19:20], s[16:17]
	v_fma_f64 v[23:24], v[25:26], s[4:5], -v[27:28]
	s_mov_b32 s4, 0x8427b883
	s_mov_b32 s5, 0x3fae1bb4
	s_delay_alu instid0(VALU_DEP_3) | instskip(NEXT) | instid1(VALU_DEP_3)
	v_add_f64 v[10:11], v[21:22], -v[10:11]
	v_fma_f64 v[19:20], v[15:16], v[19:20], s[4:5]
	s_mov_b32 s4, 0x3b39803f
	s_mov_b32 s5, 0x3c7abc9e
	s_delay_alu instid0(VALU_DEP_3) | instid1(SALU_CYCLE_1)
	v_fma_f64 v[21:22], v[25:26], s[4:5], v[23:24]
	s_mov_b32 s4, 0x8b207f05
	s_mov_b32 s5, 0xbfb110e4
	s_delay_alu instid0(VALU_DEP_3) | instskip(NEXT) | instid1(VALU_DEP_3)
	v_add_f64 v[8:9], v[8:9], v[10:11]
	v_fma_f64 v[10:11], v[15:16], v[19:20], s[4:5]
	s_mov_b32 s4, 0x57b87036
	s_mov_b32 s5, 0x3fb3b136
	s_delay_alu instid0(VALU_DEP_3) | instskip(NEXT) | instid1(VALU_DEP_3)
	v_add_f64 v[19:20], v[27:28], v[21:22]
	v_add_f64 v[23:24], v[17:18], v[8:9]
	s_delay_alu instid0(VALU_DEP_3) | instskip(SKIP_2) | instid1(VALU_DEP_3)
	v_fma_f64 v[10:11], v[15:16], v[10:11], s[4:5]
	s_mov_b32 s4, 0x19378e4f
	s_mov_b32 s5, 0xbfb745d1
	v_add_f64 v[27:28], v[19:20], -v[27:28]
	s_delay_alu instid0(VALU_DEP_3) | instskip(SKIP_1) | instid1(VALU_DEP_4)
	v_add_f64 v[25:26], v[19:20], v[23:24]
	v_add_f64 v[17:18], v[23:24], -v[17:18]
	v_fma_f64 v[10:11], v[15:16], v[10:11], s[4:5]
	s_mov_b32 s4, 0x17e1913c
	s_mov_b32 s5, 0x3fbc71c7
	s_delay_alu instid0(VALU_DEP_4) | instskip(NEXT) | instid1(VALU_DEP_4)
	v_add_f64 v[21:22], v[21:22], -v[27:28]
	v_add_f64 v[29:30], v[25:26], -v[19:20]
	s_delay_alu instid0(VALU_DEP_4) | instskip(NEXT) | instid1(VALU_DEP_4)
	v_add_f64 v[8:9], v[8:9], -v[17:18]
	v_fma_f64 v[10:11], v[15:16], v[10:11], s[4:5]
	s_mov_b32 s4, 0x92376b7d
	s_mov_b32 s5, 0xbfc24924
	s_delay_alu instid0(VALU_DEP_3) | instskip(SKIP_1) | instid1(VALU_DEP_4)
	v_add_f64 v[31:32], v[25:26], -v[29:30]
	v_add_f64 v[17:18], v[23:24], -v[29:30]
	v_add_f64 v[23:24], v[21:22], v[8:9]
	s_delay_alu instid0(VALU_DEP_4) | instskip(SKIP_2) | instid1(VALU_DEP_4)
	v_fma_f64 v[10:11], v[15:16], v[10:11], s[4:5]
	s_mov_b32 s4, 0x999952cc
	s_mov_b32 s5, 0x3fc99999
	v_add_f64 v[19:20], v[19:20], -v[31:32]
	s_delay_alu instid0(VALU_DEP_2) | instskip(SKIP_2) | instid1(VALU_DEP_2)
	v_fma_f64 v[10:11], v[15:16], v[10:11], s[4:5]
	s_mov_b32 s4, 0x55555523
	s_mov_b32 s5, 0xbfd55555
	v_add_f64 v[17:18], v[17:18], v[19:20]
	v_add_f64 v[19:20], v[23:24], -v[21:22]
	s_delay_alu instid0(VALU_DEP_3) | instskip(SKIP_2) | instid1(VALU_DEP_3)
	v_fma_f64 v[10:11], v[15:16], v[10:11], s[4:5]
	s_mov_b32 s4, 0x54442d18
	s_mov_b32 s5, 0x3ff921fb
	v_add_f64 v[17:18], v[23:24], v[17:18]
	s_delay_alu instid0(VALU_DEP_3) | instskip(NEXT) | instid1(VALU_DEP_3)
	v_add_f64 v[8:9], v[8:9], -v[19:20]
	v_mul_f64 v[10:11], v[15:16], v[10:11]
	v_add_f64 v[15:16], v[23:24], -v[19:20]
	s_delay_alu instid0(VALU_DEP_4) | instskip(NEXT) | instid1(VALU_DEP_3)
	v_add_f64 v[23:24], v[25:26], v[17:18]
	v_fma_f64 v[6:7], v[6:7], v[10:11], v[6:7]
	s_delay_alu instid0(VALU_DEP_3) | instskip(NEXT) | instid1(VALU_DEP_3)
	v_add_f64 v[10:11], v[21:22], -v[15:16]
	v_add_f64 v[15:16], v[23:24], -v[25:26]
	s_delay_alu instid0(VALU_DEP_3) | instskip(NEXT) | instid1(VALU_DEP_3)
	v_add_f64 v[19:20], -v[6:7], s[4:5]
	v_add_f64 v[8:9], v[8:9], v[10:11]
	s_mov_b32 s5, 0x400921fb
	s_delay_alu instid0(VALU_DEP_3) | instskip(NEXT) | instid1(VALU_DEP_3)
	v_add_f64 v[10:11], v[17:18], -v[15:16]
	v_cndmask_b32_e64 v7, v7, v20, s1
	s_delay_alu instid0(VALU_DEP_4) | instskip(NEXT) | instid1(VALU_DEP_1)
	v_cndmask_b32_e64 v6, v6, v19, s1
	v_add_f64 v[15:16], -v[6:7], s[4:5]
	s_delay_alu instid0(VALU_DEP_4) | instskip(SKIP_2) | instid1(VALU_DEP_4)
	v_add_f64 v[8:9], v[8:9], v[10:11]
	v_ashrrev_i32_e32 v10, 31, v1
	v_cndmask_b32_e32 v11, 0x54442d18, v0, vcc_lo
	v_cndmask_b32_e32 v7, v7, v16, vcc_lo
	s_delay_alu instid0(VALU_DEP_4) | instskip(SKIP_1) | instid1(VALU_DEP_1)
	v_add_f64 v[0:1], v[23:24], v[8:9]
	v_and_b32_e32 v5, 0x7fffffff, v5
	v_cmp_eq_f64_e64 s4, 0x7ff00000, v[4:5]
	v_dual_cndmask_b32 v5, v6, v15 :: v_dual_and_b32 v4, 0x54442d18, v10
	s_delay_alu instid0(VALU_DEP_1) | instskip(NEXT) | instid1(VALU_DEP_3)
	v_cndmask_b32_e64 v4, v5, v4, s3
	s_and_b32 vcc_lo, s2, s4
	v_cndmask_b32_e32 v0, v0, v12, vcc_lo
	s_delay_alu instid0(VALU_DEP_1) | instskip(SKIP_1) | instid1(VALU_DEP_1)
	v_cndmask_b32_e64 v0, v0, 0, s13
	v_and_b32_e32 v17, 0x400921fb, v10
	v_cndmask_b32_e64 v6, v7, v17, s3
	v_cndmask_b32_e32 v1, v1, v35, vcc_lo
	s_and_b32 vcc_lo, s12, s14
	s_delay_alu instid0(VALU_DEP_2) | instskip(SKIP_1) | instid1(VALU_DEP_3)
	v_dual_cndmask_b32 v3, v4, v11 :: v_dual_cndmask_b32 v2, v6, v2
	v_cmp_ngt_f64_e32 vcc_lo, 0, v[13:14]
	v_cndmask_b32_e64 v1, v1, 0x7ff00000, s13
	s_delay_alu instid0(VALU_DEP_3) | instskip(NEXT) | instid1(VALU_DEP_4)
	v_cndmask_b32_e64 v4, 0, v3, s2
	v_cndmask_b32_e64 v5, 0x7ff80000, v2, s2
	s_delay_alu instid0(VALU_DEP_3) | instskip(SKIP_3) | instid1(VALU_DEP_4)
	v_cndmask_b32_e32 v1, 0x7ff80000, v1, vcc_lo
	v_cmp_nge_f64_e32 vcc_lo, 0, v[13:14]
	v_cndmask_b32_e32 v12, 0, v0, vcc_lo
	v_cmp_neq_f64_e32 vcc_lo, 0, v[13:14]
	v_cndmask_b32_e32 v13, 0xfff00000, v1, vcc_lo
.LBB42_85:
	s_or_b32 exec_lo, exec_lo, s11
                                        ; implicit-def: $vgpr0_vgpr1
                                        ; implicit-def: $vgpr2_vgpr3
                                        ; implicit-def: $vgpr10_vgpr11
                                        ; implicit-def: $vgpr6_vgpr7
                                        ; implicit-def: $vgpr8_vgpr9
.LBB42_86:
	s_and_not1_saveexec_b32 s10, s10
	s_cbranch_execz .LBB42_88
; %bb.87:
	s_mov_b32 s4, 0x8b145769
	s_mov_b32 s5, 0x4005bf0a
	v_min_f64 v[6:7], v[10:11], v[6:7]
	s_waitcnt lgkmcnt(0)
	v_div_scale_f64 v[4:5], null, s[4:5], s[4:5], v[0:1]
	v_div_scale_f64 v[12:13], null, s[4:5], s[4:5], v[2:3]
	v_div_scale_f64 v[22:23], vcc_lo, v[0:1], s[4:5], v[0:1]
	s_mov_b32 s12, 0xbd3237f4
	s_mov_b32 s14, 0xb5e68a13
	;; [unrolled: 1-line block ×4, first 2 shown]
	s_delay_alu instid0(VALU_DEP_4) | instskip(NEXT) | instid1(VALU_DEP_4)
	v_div_scale_f64 v[26:27], null, v[8:9], v[8:9], v[6:7]
	v_rcp_f64_e32 v[14:15], v[4:5]
	s_delay_alu instid0(VALU_DEP_3) | instskip(SKIP_3) | instid1(VALU_DEP_2)
	v_rcp_f64_e32 v[16:17], v[12:13]
	s_waitcnt_depctr 0xfff
	v_fma_f64 v[18:19], -v[4:5], v[14:15], 1.0
	v_fma_f64 v[20:21], -v[12:13], v[16:17], 1.0
	v_fma_f64 v[14:15], v[14:15], v[18:19], v[14:15]
	s_delay_alu instid0(VALU_DEP_2) | instskip(NEXT) | instid1(VALU_DEP_2)
	v_fma_f64 v[16:17], v[16:17], v[20:21], v[16:17]
	v_fma_f64 v[18:19], -v[4:5], v[14:15], 1.0
	s_delay_alu instid0(VALU_DEP_2) | instskip(NEXT) | instid1(VALU_DEP_2)
	v_fma_f64 v[20:21], -v[12:13], v[16:17], 1.0
	v_fma_f64 v[14:15], v[14:15], v[18:19], v[14:15]
	v_div_scale_f64 v[18:19], s2, v[2:3], s[4:5], v[2:3]
	s_delay_alu instid0(VALU_DEP_3) | instskip(NEXT) | instid1(VALU_DEP_3)
	v_fma_f64 v[16:17], v[16:17], v[20:21], v[16:17]
	v_mul_f64 v[20:21], v[22:23], v[14:15]
	s_delay_alu instid0(VALU_DEP_2) | instskip(NEXT) | instid1(VALU_DEP_2)
	v_mul_f64 v[24:25], v[18:19], v[16:17]
	v_fma_f64 v[4:5], -v[4:5], v[20:21], v[22:23]
	s_delay_alu instid0(VALU_DEP_2) | instskip(NEXT) | instid1(VALU_DEP_2)
	v_fma_f64 v[12:13], -v[12:13], v[24:25], v[18:19]
	v_div_fmas_f64 v[4:5], v[4:5], v[14:15], v[20:21]
	s_mov_b32 vcc_lo, s2
	s_delay_alu instid0(VALU_DEP_2) | instskip(NEXT) | instid1(VALU_DEP_2)
	v_div_fmas_f64 v[12:13], v[12:13], v[16:17], v[24:25]
	v_div_fixup_f64 v[4:5], v[4:5], s[4:5], v[0:1]
	s_delay_alu instid0(VALU_DEP_2) | instskip(SKIP_1) | instid1(VALU_DEP_2)
	v_div_fixup_f64 v[12:13], v[12:13], s[4:5], v[2:3]
	s_mov_b32 s5, 0x3fe55555
	v_cmp_class_f64_e64 s3, v[4:5], 0x204
	s_delay_alu instid0(VALU_DEP_2) | instskip(SKIP_2) | instid1(VALU_DEP_3)
	v_max_f64 v[14:15], |v[4:5]|, |v[12:13]|
	v_cmp_o_f64_e64 s2, v[4:5], v[12:13]
	v_cmp_class_f64_e64 s4, v[12:13], 0x204
	v_frexp_exp_i32_f64_e32 v22, v[14:15]
	s_delay_alu instid0(VALU_DEP_2) | instskip(SKIP_1) | instid1(VALU_DEP_1)
	s_or_b32 s11, s3, s4
	s_mov_b32 s4, 0x55555555
	v_sub_nc_u32_e32 v16, 0, v22
	s_delay_alu instid0(VALU_DEP_1) | instskip(SKIP_1) | instid1(VALU_DEP_2)
	v_ldexp_f64 v[14:15], |v[12:13]|, v16
	v_ldexp_f64 v[16:17], |v[4:5]|, v16
	v_mul_f64 v[14:15], v[14:15], v[14:15]
	s_delay_alu instid0(VALU_DEP_1) | instskip(NEXT) | instid1(VALU_DEP_1)
	v_fma_f64 v[14:15], v[16:17], v[16:17], v[14:15]
	v_rsq_f64_e32 v[16:17], v[14:15]
	v_cmp_eq_f64_e32 vcc_lo, 0, v[14:15]
	s_waitcnt_depctr 0xfff
	v_mul_f64 v[18:19], v[14:15], v[16:17]
	v_mul_f64 v[16:17], v[16:17], 0.5
	s_delay_alu instid0(VALU_DEP_1) | instskip(NEXT) | instid1(VALU_DEP_1)
	v_fma_f64 v[20:21], -v[16:17], v[18:19], 0.5
	v_fma_f64 v[18:19], v[18:19], v[20:21], v[18:19]
	v_fma_f64 v[16:17], v[16:17], v[20:21], v[16:17]
	s_delay_alu instid0(VALU_DEP_2) | instskip(NEXT) | instid1(VALU_DEP_1)
	v_fma_f64 v[20:21], -v[18:19], v[18:19], v[14:15]
	v_fma_f64 v[16:17], v[20:21], v[16:17], v[18:19]
	s_delay_alu instid0(VALU_DEP_1) | instskip(SKIP_1) | instid1(VALU_DEP_2)
	v_dual_cndmask_b32 v15, v17, v15 :: v_dual_cndmask_b32 v14, v16, v14
	v_div_scale_f64 v[32:33], vcc_lo, v[6:7], v[8:9], v[6:7]
	v_ldexp_f64 v[14:15], v[14:15], v22
	v_mov_b32_e32 v12, 0
	s_delay_alu instid0(VALU_DEP_2) | instskip(NEXT) | instid1(VALU_DEP_3)
	v_cndmask_b32_e64 v34, 0, v14, s2
	v_cndmask_b32_e64 v35, 0x7ff80000, v15, s2
	v_and_b32_e32 v15, 0x7fffffff, v15
	s_delay_alu instid0(VALU_DEP_3) | instskip(NEXT) | instid1(VALU_DEP_3)
	v_cndmask_b32_e64 v16, v34, 0, s11
	v_cndmask_b32_e64 v17, v35, 0x7ff00000, s11
	s_delay_alu instid0(VALU_DEP_1) | instskip(NEXT) | instid1(VALU_DEP_1)
	v_frexp_mant_f64_e32 v[4:5], v[16:17]
	v_cmp_gt_f64_e64 s3, s[4:5], v[4:5]
	s_mov_b32 s4, 0x55555780
	s_delay_alu instid0(VALU_DEP_1) | instskip(NEXT) | instid1(VALU_DEP_1)
	v_cndmask_b32_e64 v13, 0x3ff00000, 2.0, s3
	v_mul_f64 v[4:5], v[4:5], v[12:13]
	s_delay_alu instid0(VALU_DEP_1) | instskip(SKIP_1) | instid1(VALU_DEP_2)
	v_add_f64 v[12:13], v[4:5], 1.0
	v_add_f64 v[22:23], v[4:5], -1.0
	v_rcp_f64_e32 v[18:19], v[12:13]
	v_add_f64 v[10:11], v[12:13], -1.0
	s_delay_alu instid0(VALU_DEP_1) | instskip(SKIP_2) | instid1(VALU_DEP_1)
	v_add_f64 v[4:5], v[4:5], -v[10:11]
	s_waitcnt_depctr 0xfff
	v_fma_f64 v[20:21], -v[12:13], v[18:19], 1.0
	v_fma_f64 v[18:19], v[20:21], v[18:19], v[18:19]
	s_delay_alu instid0(VALU_DEP_1) | instskip(NEXT) | instid1(VALU_DEP_1)
	v_fma_f64 v[20:21], -v[12:13], v[18:19], 1.0
	v_fma_f64 v[18:19], v[20:21], v[18:19], v[18:19]
	s_delay_alu instid0(VALU_DEP_1) | instskip(NEXT) | instid1(VALU_DEP_1)
	v_mul_f64 v[20:21], v[22:23], v[18:19]
	v_mul_f64 v[24:25], v[12:13], v[20:21]
	s_delay_alu instid0(VALU_DEP_1) | instskip(SKIP_1) | instid1(VALU_DEP_1)
	v_fma_f64 v[10:11], v[20:21], v[12:13], -v[24:25]
	v_rcp_f64_e32 v[12:13], v[26:27]
	v_fma_f64 v[4:5], v[20:21], v[4:5], v[10:11]
	s_waitcnt_depctr 0xfff
	v_fma_f64 v[10:11], -v[26:27], v[12:13], 1.0
	v_add_f64 v[28:29], v[24:25], v[4:5]
	s_delay_alu instid0(VALU_DEP_2) | instskip(NEXT) | instid1(VALU_DEP_2)
	v_fma_f64 v[10:11], v[12:13], v[10:11], v[12:13]
	v_add_f64 v[12:13], v[22:23], -v[28:29]
	v_add_f64 v[24:25], v[28:29], -v[24:25]
	s_delay_alu instid0(VALU_DEP_3) | instskip(NEXT) | instid1(VALU_DEP_3)
	v_fma_f64 v[30:31], -v[26:27], v[10:11], 1.0
	v_add_f64 v[22:23], v[22:23], -v[12:13]
	s_delay_alu instid0(VALU_DEP_3) | instskip(NEXT) | instid1(VALU_DEP_3)
	v_add_f64 v[4:5], v[24:25], -v[4:5]
	v_fma_f64 v[10:11], v[10:11], v[30:31], v[10:11]
	s_delay_alu instid0(VALU_DEP_3) | instskip(NEXT) | instid1(VALU_DEP_2)
	v_add_f64 v[22:23], v[22:23], -v[28:29]
	v_mul_f64 v[24:25], v[32:33], v[10:11]
	s_delay_alu instid0(VALU_DEP_2) | instskip(NEXT) | instid1(VALU_DEP_2)
	v_add_f64 v[4:5], v[4:5], v[22:23]
	v_fma_f64 v[22:23], -v[26:27], v[24:25], v[32:33]
	v_frexp_exp_i32_f64_e32 v26, v[16:17]
	s_delay_alu instid0(VALU_DEP_3) | instskip(NEXT) | instid1(VALU_DEP_3)
	v_add_f64 v[4:5], v[12:13], v[4:5]
	v_div_fmas_f64 v[10:11], v[22:23], v[10:11], v[24:25]
	s_delay_alu instid0(VALU_DEP_2) | instskip(NEXT) | instid1(VALU_DEP_2)
	v_mul_f64 v[4:5], v[18:19], v[4:5]
	v_div_fixup_f64 v[6:7], v[10:11], v[8:9], v[6:7]
	s_delay_alu instid0(VALU_DEP_2) | instskip(NEXT) | instid1(VALU_DEP_2)
	v_add_f64 v[8:9], v[20:21], v[4:5]
	v_mul_f64 v[10:11], v[6:7], v[6:7]
	s_delay_alu instid0(VALU_DEP_2) | instskip(NEXT) | instid1(VALU_DEP_2)
	v_mul_f64 v[12:13], v[8:9], v[8:9]
	v_fma_f64 v[18:19], v[10:11], s[14:15], s[12:13]
	s_mov_b32 s12, 0x6b47b09a
	s_mov_b32 s14, 0xbf559e2b
	;; [unrolled: 1-line block ×4, first 2 shown]
	s_delay_alu instid0(VALU_DEP_2) | instid1(SALU_CYCLE_1)
	v_fma_f64 v[22:23], v[12:13], s[14:15], s[12:13]
	s_mov_b32 s12, 0x69efb384
	s_mov_b32 s13, 0x3f4b2bb0
	v_mul_f64 v[24:25], v[8:9], v[12:13]
	s_delay_alu instid0(VALU_DEP_3)
	v_fma_f64 v[18:19], v[10:11], v[18:19], s[12:13]
	s_mov_b32 s12, 0xd7f4df2e
	s_mov_b32 s13, 0x3fc7474d
	s_delay_alu instid0(VALU_DEP_3) | instid1(SALU_CYCLE_1)
	v_fma_f64 v[22:23], v[12:13], v[22:23], s[12:13]
	s_mov_b32 s12, 0xaf56de9b
	s_mov_b32 s13, 0xbf67952d
	s_delay_alu instid0(VALU_DEP_2) | instid1(SALU_CYCLE_1)
	v_fma_f64 v[18:19], v[10:11], v[18:19], s[12:13]
	s_mov_b32 s12, 0x16291751
	s_mov_b32 s13, 0x3fcc71c0
	s_delay_alu instid0(VALU_DEP_2) | instid1(SALU_CYCLE_1)
	;; [unrolled: 4-line block ×7, first 2 shown]
	v_fma_f64 v[18:19], v[10:11], v[18:19], s[12:13]
	s_mov_b32 s12, 0x6ef28734
	s_mov_b32 s13, 0x3fa82d5d
	s_delay_alu instid0(VALU_DEP_2) | instskip(SKIP_3) | instid1(VALU_DEP_3)
	v_fma_f64 v[12:13], v[12:13], v[22:23], s[4:5]
	s_mov_b32 s4, 0xfc27006a
	s_mov_b32 s5, 0xbf9e9ae6
	v_ldexp_f64 v[22:23], v[8:9], 1
	v_fma_f64 v[18:19], v[10:11], v[18:19], s[4:5]
	s_mov_b32 s4, 0x5711927a
	s_mov_b32 s5, 0x3fa2c15b
	v_add_f64 v[8:9], v[8:9], -v[20:21]
	s_delay_alu instid0(VALU_DEP_4) | instskip(SKIP_4) | instid1(VALU_DEP_3)
	v_mul_f64 v[12:13], v[24:25], v[12:13]
	v_subrev_co_ci_u32_e64 v24, vcc_lo, 0, v26, s3
	v_cmp_eq_f64_e32 vcc_lo, 0x7ff00000, v[14:15]
	v_fma_f64 v[18:19], v[10:11], v[18:19], s[4:5]
	s_mov_b32 s4, 0xe82d3ff0
	v_cvt_f64_i32_e32 v[24:25], v24
	s_mov_b32 s5, 0xbfa59976
	v_add_f64 v[4:5], v[4:5], -v[8:9]
	v_cmp_eq_f64_e64 s3, 0, v[2:3]
	v_add_f64 v[20:21], v[22:23], v[12:13]
	s_and_b32 vcc_lo, s2, vcc_lo
	v_fma_f64 v[18:19], v[10:11], v[18:19], s[4:5]
	s_mov_b32 s4, 0xfefa39ef
	s_mov_b32 s5, 0x3fe62e42
	s_delay_alu instid0(SALU_CYCLE_1) | instskip(SKIP_1) | instid1(VALU_DEP_4)
	v_mul_f64 v[26:27], v[24:25], s[4:5]
	v_ldexp_f64 v[4:5], v[4:5], 1
	v_add_f64 v[8:9], v[20:21], -v[22:23]
	s_delay_alu instid0(VALU_DEP_4) | instskip(NEXT) | instid1(VALU_DEP_4)
	v_fma_f64 v[18:19], v[10:11], v[18:19], s[12:13]
	v_fma_f64 v[22:23], v[24:25], s[4:5], -v[26:27]
	s_mov_b32 s4, 0x6a214619
	s_mov_b32 s5, 0xbfaae5ce
	s_delay_alu instid0(VALU_DEP_3) | instskip(NEXT) | instid1(VALU_DEP_3)
	v_add_f64 v[8:9], v[12:13], -v[8:9]
	v_fma_f64 v[12:13], v[10:11], v[18:19], s[4:5]
	s_mov_b32 s4, 0x3b39803f
	s_mov_b32 s5, 0x3c7abc9e
	s_delay_alu instid0(VALU_DEP_3) | instid1(SALU_CYCLE_1)
	v_fma_f64 v[18:19], v[24:25], s[4:5], v[22:23]
	s_mov_b32 s4, 0x8427b883
	s_mov_b32 s5, 0x3fae1bb4
	s_delay_alu instid0(VALU_DEP_3) | instskip(NEXT) | instid1(VALU_DEP_3)
	v_add_f64 v[4:5], v[4:5], v[8:9]
	v_fma_f64 v[8:9], v[10:11], v[12:13], s[4:5]
	s_mov_b32 s4, 0x8b207f05
	s_mov_b32 s5, 0xbfb110e4
	s_delay_alu instid0(VALU_DEP_3) | instskip(NEXT) | instid1(VALU_DEP_3)
	v_add_f64 v[12:13], v[26:27], v[18:19]
	v_add_f64 v[22:23], v[20:21], v[4:5]
	s_delay_alu instid0(VALU_DEP_3) | instskip(SKIP_2) | instid1(VALU_DEP_3)
	v_fma_f64 v[8:9], v[10:11], v[8:9], s[4:5]
	s_mov_b32 s4, 0x57b87036
	s_mov_b32 s5, 0x3fb3b136
	v_add_f64 v[26:27], v[12:13], -v[26:27]
	s_delay_alu instid0(VALU_DEP_3) | instskip(SKIP_1) | instid1(VALU_DEP_4)
	v_add_f64 v[24:25], v[12:13], v[22:23]
	v_add_f64 v[20:21], v[22:23], -v[20:21]
	v_fma_f64 v[8:9], v[10:11], v[8:9], s[4:5]
	s_mov_b32 s4, 0x19378e4f
	s_mov_b32 s5, 0xbfb745d1
	s_delay_alu instid0(VALU_DEP_4) | instskip(NEXT) | instid1(VALU_DEP_4)
	v_add_f64 v[18:19], v[18:19], -v[26:27]
	v_add_f64 v[28:29], v[24:25], -v[12:13]
	s_delay_alu instid0(VALU_DEP_4) | instskip(NEXT) | instid1(VALU_DEP_4)
	v_add_f64 v[4:5], v[4:5], -v[20:21]
	v_fma_f64 v[8:9], v[10:11], v[8:9], s[4:5]
	s_mov_b32 s4, 0x17e1913c
	s_mov_b32 s5, 0x3fbc71c7
	s_delay_alu instid0(VALU_DEP_3) | instskip(SKIP_1) | instid1(VALU_DEP_4)
	v_add_f64 v[30:31], v[24:25], -v[28:29]
	v_add_f64 v[20:21], v[22:23], -v[28:29]
	v_add_f64 v[22:23], v[18:19], v[4:5]
	s_delay_alu instid0(VALU_DEP_4) | instskip(SKIP_2) | instid1(VALU_DEP_4)
	v_fma_f64 v[8:9], v[10:11], v[8:9], s[4:5]
	s_mov_b32 s4, 0x92376b7d
	s_mov_b32 s5, 0xbfc24924
	v_add_f64 v[12:13], v[12:13], -v[30:31]
	s_delay_alu instid0(VALU_DEP_2) | instskip(SKIP_2) | instid1(VALU_DEP_2)
	v_fma_f64 v[8:9], v[10:11], v[8:9], s[4:5]
	s_mov_b32 s4, 0x999952cc
	s_mov_b32 s5, 0x3fc99999
	v_add_f64 v[12:13], v[20:21], v[12:13]
	v_add_f64 v[20:21], v[22:23], -v[18:19]
	s_delay_alu instid0(VALU_DEP_3) | instskip(SKIP_2) | instid1(VALU_DEP_3)
	v_fma_f64 v[8:9], v[10:11], v[8:9], s[4:5]
	s_mov_b32 s4, 0x55555523
	s_mov_b32 s5, 0xbfd55555
	v_add_f64 v[12:13], v[22:23], v[12:13]
	s_delay_alu instid0(VALU_DEP_3) | instskip(SKIP_1) | instid1(VALU_DEP_4)
	v_add_f64 v[22:23], v[22:23], -v[20:21]
	v_add_f64 v[4:5], v[4:5], -v[20:21]
	v_fma_f64 v[8:9], v[10:11], v[8:9], s[4:5]
	s_mov_b32 s4, 0x54442d18
	s_mov_b32 s5, 0x3ff921fb
	s_delay_alu instid0(VALU_DEP_4) | instskip(NEXT) | instid1(VALU_DEP_2)
	v_add_f64 v[26:27], v[24:25], v[12:13]
	v_mul_f64 v[8:9], v[10:11], v[8:9]
	v_add_f64 v[10:11], v[18:19], -v[22:23]
	s_delay_alu instid0(VALU_DEP_3) | instskip(NEXT) | instid1(VALU_DEP_3)
	v_add_f64 v[18:19], v[26:27], -v[24:25]
	v_fma_f64 v[6:7], v[6:7], v[8:9], v[6:7]
	s_delay_alu instid0(VALU_DEP_3) | instskip(NEXT) | instid1(VALU_DEP_3)
	v_add_f64 v[4:5], v[4:5], v[10:11]
	v_add_f64 v[8:9], v[12:13], -v[18:19]
	s_delay_alu instid0(VALU_DEP_3) | instskip(SKIP_1) | instid1(VALU_DEP_2)
	v_add_f64 v[10:11], -v[6:7], s[4:5]
	s_mov_b32 s5, 0x400921fb
	v_add_f64 v[4:5], v[4:5], v[8:9]
	s_delay_alu instid0(VALU_DEP_2) | instskip(NEXT) | instid1(VALU_DEP_3)
	v_cndmask_b32_e64 v7, v7, v11, s1
	v_cndmask_b32_e64 v6, v6, v10, s1
	v_cmp_gt_i32_e64 s1, 0, v1
	v_ashrrev_i32_e32 v11, 31, v1
	s_delay_alu instid0(VALU_DEP_3)
	v_add_f64 v[8:9], -v[6:7], s[4:5]
	v_cmp_class_f64_e64 s4, v[2:3], 0x204
	v_cmp_class_f64_e64 s5, v[0:1], 0x204
	v_add_f64 v[4:5], v[26:27], v[4:5]
	v_mov_b32_e32 v10, 0x7f3321d2
	v_cndmask_b32_e64 v7, v7, v9, s1
	v_mov_b32_e32 v9, 0x4002d97c
	v_cndmask_b32_e64 v6, v6, v8, s1
	v_dual_cndmask_b32 v4, v4, v34 :: v_dual_cndmask_b32 v5, v5, v35
	v_cndmask_b32_e64 v10, 0x54442d18, v10, s1
	s_delay_alu instid0(VALU_DEP_4) | instskip(SKIP_3) | instid1(VALU_DEP_3)
	v_cndmask_b32_e64 v9, 0x3fe921fb, v9, s1
	v_cmp_ngt_f64_e64 s1, 0, v[16:17]
	s_and_b32 vcc_lo, s5, s4
	v_add_f64 v[4:5], v[4:5], 1.0
	v_bfi_b32 v8, 0x7fffffff, v9, v3
	v_and_b32_e32 v12, 0x400921fb, v11
	v_and_b32_e32 v11, 0x54442d18, v11
	s_delay_alu instid0(VALU_DEP_2) | instskip(NEXT) | instid1(VALU_DEP_2)
	v_cndmask_b32_e64 v7, v7, v12, s3
	v_cndmask_b32_e64 v6, v6, v11, s3
	s_delay_alu instid0(VALU_DEP_1) | instskip(SKIP_3) | instid1(VALU_DEP_2)
	v_dual_cndmask_b32 v7, v7, v8 :: v_dual_cndmask_b32 v6, v6, v10
	v_cmp_o_f64_e32 vcc_lo, v[0:1], v[2:3]
	v_cndmask_b32_e64 v0, v5, 0x7ff00000, s11
	v_cndmask_b32_e64 v1, v4, 0, s11
	;; [unrolled: 1-line block ×3, first 2 shown]
	v_cmp_nge_f64_e64 s1, 0, v[16:17]
	v_cndmask_b32_e32 v5, 0x7ff80000, v7, vcc_lo
	v_cndmask_b32_e32 v4, 0, v6, vcc_lo
	s_delay_alu instid0(VALU_DEP_3) | instskip(SKIP_1) | instid1(VALU_DEP_1)
	v_cndmask_b32_e64 v12, 0, v1, s1
	v_cmp_neq_f64_e64 s1, 0, v[16:17]
	v_cndmask_b32_e64 v13, 0xfff00000, v0, s1
.LBB42_88:
	s_or_b32 exec_lo, exec_lo, s10
	s_mov_b32 s2, 0xfefa39ef
	s_mov_b32 s3, 0x3fe62e42
	v_and_b32_e32 v5, 0x7fffffff, v5
	v_add_f64 v[0:1], v[12:13], s[2:3]
	s_delay_alu instid0(VALU_DEP_1) | instskip(NEXT) | instid1(VALU_DEP_1)
	v_xor_b32_e32 v2, 0x80000000, v1
	v_cndmask_b32_e64 v3, v2, v1, s0
	s_delay_alu instid0(VALU_DEP_3)
	v_cndmask_b32_e64 v2, v0, v0, s0
.LBB42_89:
	s_or_b32 exec_lo, exec_lo, s9
                                        ; implicit-def: $vgpr0_vgpr1
	s_and_not1_saveexec_b32 s0, s8
	s_cbranch_execz .LBB42_2
.LBB42_90:
	s_delay_alu instid0(VALU_DEP_4) | instskip(NEXT) | instid1(VALU_DEP_1)
	v_cmp_neq_f64_e64 s1, 0x7ff00000, |v[0:1]|
                                        ; implicit-def: $vgpr4_vgpr5
	s_and_saveexec_b32 s2, s1
	s_delay_alu instid0(SALU_CYCLE_1)
	s_xor_b32 s1, exec_lo, s2
	s_cbranch_execz .LBB42_100
; %bb.91:
	v_cmp_neq_f64_e64 s2, 0x7ff00000, |v[2:3]|
                                        ; implicit-def: $vgpr4_vgpr5
	s_delay_alu instid0(VALU_DEP_1) | instskip(NEXT) | instid1(SALU_CYCLE_1)
	s_and_saveexec_b32 s3, s2
	s_xor_b32 s2, exec_lo, s3
	s_cbranch_execz .LBB42_97
; %bb.92:
	s_mov_b32 s3, exec_lo
	v_cmpx_neq_f64_e32 0, v[0:1]
	s_xor_b32 s3, exec_lo, s3
; %bb.93:
	v_add_f64 v[2:3], v[2:3], 0
	s_delay_alu instid0(VALU_DEP_1)
	v_add_f64 v[2:3], v[2:3], v[0:1]
; %bb.94:
	s_or_saveexec_b32 s3, s3
	s_waitcnt lgkmcnt(0)
	s_delay_alu instid0(VALU_DEP_1)
	v_dual_mov_b32 v5, v3 :: v_dual_mov_b32 v4, v2
	s_xor_b32 exec_lo, exec_lo, s3
	s_cbranch_execz .LBB42_96
; %bb.95:
	v_dual_mov_b32 v0, s6 :: v_dual_mov_b32 v1, s7
	s_mov_b32 s4, 0x54442d18
	s_mov_b32 s5, 0x3ff921fb
	v_add_f64 v[2:3], v[2:3], v[2:3]
	flat_load_b64 v[0:1], v[0:1] glc dlc
	s_waitcnt vmcnt(0) lgkmcnt(0)
	v_add_f64 v[4:5], v[0:1], s[4:5]
.LBB42_96:
	s_or_b32 exec_lo, exec_lo, s3
                                        ; implicit-def: $vgpr0_vgpr1
.LBB42_97:
	s_and_not1_saveexec_b32 s2, s2
	s_cbranch_execz .LBB42_99
; %bb.98:
	s_waitcnt lgkmcnt(0)
	v_add_f64 v[4:5], v[0:1], v[0:1]
	v_xor_b32_e32 v3, 0x80000000, v3
.LBB42_99:
	s_or_b32 exec_lo, exec_lo, s2
.LBB42_100:
	s_and_not1_saveexec_b32 s1, s1
	s_cbranch_execz .LBB42_102
; %bb.101:
	s_waitcnt lgkmcnt(0)
	v_add_f64 v[4:5], v[2:3], v[2:3]
	v_mov_b32_e32 v2, 0
	v_mov_b32_e32 v3, 0xfff00000
.LBB42_102:
	s_or_b32 exec_lo, exec_lo, s1
	s_delay_alu instid0(SALU_CYCLE_1) | instskip(SKIP_1) | instid1(VALU_DEP_1)
	s_or_b32 exec_lo, exec_lo, s0
	s_waitcnt lgkmcnt(0)
	v_dual_mov_b32 v0, v4 :: v_dual_mov_b32 v1, v5
	s_setpc_b64 s[30:31]
.Lfunc_end42:
	.size	_ZNK2at6native4AcosIN3c107complexIdEEEclES4_, .Lfunc_end42-_ZNK2at6native4AcosIN3c107complexIdEEEclES4_
                                        ; -- End function
	.section	.AMDGPU.csdata,"",@progbits
; Function info:
; codeLenInByte = 18376
; NumSgprs: 35
; NumVgprs: 49
; ScratchSize: 24
; MemoryBound: 0
	.section	.text._ZN2at6native12_GLOBAL__N_125multi_tensor_apply_kernelINS1_18TensorListMetadataILi2EEENS1_14UnaryOpFunctorIN3c107complexIdEELi2ELi1ELi1EEEJNS0_4AcosIS8_EEEEEvT_T0_DpT1_,"axG",@progbits,_ZN2at6native12_GLOBAL__N_125multi_tensor_apply_kernelINS1_18TensorListMetadataILi2EEENS1_14UnaryOpFunctorIN3c107complexIdEELi2ELi1ELi1EEEJNS0_4AcosIS8_EEEEEvT_T0_DpT1_,comdat
	.globl	_ZN2at6native12_GLOBAL__N_125multi_tensor_apply_kernelINS1_18TensorListMetadataILi2EEENS1_14UnaryOpFunctorIN3c107complexIdEELi2ELi1ELi1EEEJNS0_4AcosIS8_EEEEEvT_T0_DpT1_ ; -- Begin function _ZN2at6native12_GLOBAL__N_125multi_tensor_apply_kernelINS1_18TensorListMetadataILi2EEENS1_14UnaryOpFunctorIN3c107complexIdEELi2ELi1ELi1EEEJNS0_4AcosIS8_EEEEEvT_T0_DpT1_
	.p2align	8
	.type	_ZN2at6native12_GLOBAL__N_125multi_tensor_apply_kernelINS1_18TensorListMetadataILi2EEENS1_14UnaryOpFunctorIN3c107complexIdEELi2ELi1ELi1EEEJNS0_4AcosIS8_EEEEEvT_T0_DpT1_,@function
_ZN2at6native12_GLOBAL__N_125multi_tensor_apply_kernelINS1_18TensorListMetadataILi2EEENS1_14UnaryOpFunctorIN3c107complexIdEELi2ELi1ELi1EEEJNS0_4AcosIS8_EEEEEvT_T0_DpT1_: ; @_ZN2at6native12_GLOBAL__N_125multi_tensor_apply_kernelINS1_18TensorListMetadataILi2EEENS1_14UnaryOpFunctorIN3c107complexIdEELi2ELi1ELi1EEEJNS0_4AcosIS8_EEEEEvT_T0_DpT1_
; %bb.0:
	v_dual_mov_b32 v57, v0 :: v_dual_mov_b32 v0, s15
	s_mov_b64 s[20:21], s[0:1]
	s_mov_b32 s5, 0
	s_mov_b32 s32, 0
	;; [unrolled: 1-line block ×3, first 2 shown]
	global_load_u8 v0, v0, s[0:1] offset:1536
	s_add_u32 s0, s20, s15
	s_mul_hi_u32 s1, s15, 3
	s_mul_i32 s15, s15, 3
	s_addc_u32 s2, s21, 0
	s_add_u32 s0, s0, s15
	s_addc_u32 s1, s2, s1
	s_mov_b32 s9, s5
	s_load_b32 s0, s[0:1], 0x740
	s_waitcnt vmcnt(0)
	v_readfirstlane_b32 s3, v0
	s_delay_alu instid0(VALU_DEP_1)
	s_lshl_b32 s1, s3, 3
	s_clause 0x2
	s_load_b64 s[36:37], s[20:21], s1 offset:0x0
	s_load_b64 s[22:23], s[20:21], s1 offset:0x200
	;; [unrolled: 1-line block ×3, first 2 shown]
	s_waitcnt lgkmcnt(0)
	s_ashr_i32 s1, s0, 31
	s_delay_alu instid0(SALU_CYCLE_1) | instskip(NEXT) | instid1(SALU_CYCLE_1)
	s_lshl_b64 s[24:25], s[0:1], 20
	s_add_u32 s33, s36, s24
	s_addc_u32 s34, s37, s25
	s_add_u32 s35, s22, s24
	s_addc_u32 s38, s23, s25
	s_and_b32 s6, s33, 63
	s_and_b32 s8, s2, 3
	s_and_b32 s4, s35, 63
	s_or_b64 s[6:7], s[6:7], s[8:9]
	s_lshl_b64 s[0:1], s[0:1], 16
	s_or_b64 s[4:5], s[4:5], s[6:7]
	s_sub_u32 s26, s2, s0
	s_subb_u32 s27, s3, s1
	s_cmp_eq_u64 s[4:5], 0
	s_mov_b32 s0, -1
	s_cbranch_scc0 .LBB43_5
; %bb.1:
	v_dual_mov_b32 v1, 0 :: v_dual_lshlrev_b32 v0, 2, v57
	s_mov_b32 s39, exec_lo
	s_delay_alu instid0(VALU_DEP_1)
	v_cmpx_gt_i64_e64 s[26:27], v[0:1]
	s_cbranch_execz .LBB43_4
; %bb.2:
	v_mov_b32_e32 v58, v1
	s_add_u32 s28, s20, 0xc50
	s_addc_u32 s29, s21, 0
	s_mov_b32 s40, 0
	s_delay_alu instid0(VALU_DEP_1)
	v_mov_b32_e32 v59, v58
	v_mov_b32_e32 v58, v57
.LBB43_3:                               ; =>This Inner Loop Header: Depth=1
	s_delay_alu instid0(VALU_DEP_1) | instskip(SKIP_3) | instid1(VALU_DEP_1)
	v_lshlrev_b64 v[60:61], 6, v[58:59]
	s_getpc_b64 s[42:43]
	s_add_u32 s42, s42, _ZNK2at6native4AcosIN3c107complexIdEEEclES4_@rel32@lo+4
	s_addc_u32 s43, s43, _ZNK2at6native4AcosIN3c107complexIdEEEclES4_@rel32@hi+12
	v_add_co_u32 v4, vcc_lo, s33, v60
	s_delay_alu instid0(VALU_DEP_2)
	v_add_co_ci_u32_e32 v5, vcc_lo, s34, v61, vcc_lo
	s_clause 0x3
	global_load_b128 v[0:3], v[4:5], off
	global_load_b128 v[40:43], v[4:5], off offset:16
	global_load_b128 v[44:47], v[4:5], off offset:48
	;; [unrolled: 1-line block ×3, first 2 shown]
	s_swappc_b64 s[30:31], s[42:43]
	v_dual_mov_b32 v53, v0 :: v_dual_mov_b32 v54, v1
	v_dual_mov_b32 v55, v2 :: v_dual_mov_b32 v56, v3
	;; [unrolled: 1-line block ×4, first 2 shown]
	s_swappc_b64 s[30:31], s[42:43]
	s_delay_alu instid0(VALU_DEP_2) | instskip(NEXT) | instid1(VALU_DEP_2)
	v_dual_mov_b32 v40, v0 :: v_dual_mov_b32 v41, v1
	v_dual_mov_b32 v42, v2 :: v_dual_mov_b32 v43, v3
	;; [unrolled: 1-line block ×4, first 2 shown]
	s_swappc_b64 s[30:31], s[42:43]
	s_delay_alu instid0(VALU_DEP_2) | instskip(NEXT) | instid1(VALU_DEP_2)
	v_dual_mov_b32 v49, v0 :: v_dual_mov_b32 v50, v1
	v_dual_mov_b32 v51, v2 :: v_dual_mov_b32 v52, v3
	;; [unrolled: 1-line block ×4, first 2 shown]
	s_swappc_b64 s[30:31], s[42:43]
	v_add_co_u32 v4, vcc_lo, s35, v60
	v_add_co_ci_u32_e32 v5, vcc_lo, s38, v61, vcc_lo
	s_clause 0x3
	global_store_b128 v[4:5], v[53:56], off
	global_store_b128 v[4:5], v[40:43], off offset:16
	global_store_b128 v[4:5], v[49:52], off offset:32
	;; [unrolled: 1-line block ×3, first 2 shown]
	s_load_b32 s0, s[28:29], 0xc
	s_waitcnt lgkmcnt(0)
	s_and_b32 s0, s0, 0xffff
	s_delay_alu instid0(SALU_CYCLE_1) | instskip(SKIP_1) | instid1(VALU_DEP_1)
	v_add_co_u32 v58, vcc_lo, v58, s0
	v_add_co_ci_u32_e32 v59, vcc_lo, 0, v59, vcc_lo
	v_lshlrev_b64 v[0:1], 2, v[58:59]
	s_delay_alu instid0(VALU_DEP_1) | instskip(SKIP_1) | instid1(VALU_DEP_1)
	v_cmp_le_i64_e32 vcc_lo, s[26:27], v[0:1]
	v_cmp_lt_u64_e64 s0, 0xffff, v[0:1]
	s_or_b32 s0, vcc_lo, s0
	s_delay_alu instid0(SALU_CYCLE_1) | instskip(NEXT) | instid1(SALU_CYCLE_1)
	s_and_b32 s0, exec_lo, s0
	s_or_b32 s40, s0, s40
	s_delay_alu instid0(SALU_CYCLE_1)
	s_and_not1_b32 exec_lo, exec_lo, s40
	s_cbranch_execnz .LBB43_3
.LBB43_4:
	s_or_b32 exec_lo, exec_lo, s39
	s_mov_b32 s0, 0
.LBB43_5:
	s_delay_alu instid0(SALU_CYCLE_1)
	s_and_not1_b32 vcc_lo, exec_lo, s0
	s_cbranch_vccnz .LBB43_25
; %bb.6:
	v_cmp_lt_i64_e64 s0, s[26:27], 1
	s_delay_alu instid0(VALU_DEP_1)
	s_and_b32 vcc_lo, exec_lo, s0
	s_cbranch_vccnz .LBB43_25
; %bb.7:
	s_load_b32 s0, s[20:21], 0xc5c
	v_mov_b32_e32 v58, 0
	v_lshl_or_b32 v0, v57, 4, 8
	v_cmp_gt_u64_e64 s1, 0x10000, s[26:27]
	s_mov_b32 s29, 0
	s_delay_alu instid0(VALU_DEP_3) | instskip(NEXT) | instid1(VALU_DEP_3)
	v_mov_b32_e32 v1, v58
	v_add_co_u32 v59, s2, s36, v0
	s_delay_alu instid0(VALU_DEP_1) | instskip(SKIP_1) | instid1(VALU_DEP_1)
	v_add_co_ci_u32_e64 v60, null, s37, 0, s2
	v_add_co_u32 v61, s2, s22, v0
	v_add_co_ci_u32_e64 v62, null, s23, 0, s2
	s_waitcnt lgkmcnt(0)
	s_and_b32 s33, s0, 0xffff
	s_and_b32 s0, s1, exec_lo
	v_add_lshl_u32 v4, v57, s33, 4
	v_mad_u64_u32 v[2:3], null, s33, 48, v[0:1]
	s_cselect_b32 s35, s27, 0
	s_cselect_b32 s34, s26, 0x10000
	s_delay_alu instid0(VALU_DEP_2) | instskip(NEXT) | instid1(VALU_DEP_1)
	v_add_co_u32 v63, s0, s22, v4
	v_add_co_ci_u32_e64 v64, null, s23, 0, s0
	v_add_co_u32 v67, s0, s36, v4
	s_delay_alu instid0(VALU_DEP_1)
	v_add_co_ci_u32_e64 v68, null, s37, 0, s0
	s_lshl_b32 s0, s33, 5
	v_add_co_u32 v65, vcc_lo, s36, v2
	v_add_co_u32 v0, s0, v0, s0
	v_add_co_ci_u32_e32 v66, vcc_lo, s37, v3, vcc_lo
	v_add_co_ci_u32_e64 v1, null, 0, 0, s0
	v_add_co_u32 v69, vcc_lo, s22, v2
	v_add_co_ci_u32_e32 v70, vcc_lo, s23, v3, vcc_lo
	v_add_co_u32 v71, vcc_lo, s36, v0
	s_delay_alu instid0(VALU_DEP_4)
	v_add_co_ci_u32_e32 v72, vcc_lo, s37, v1, vcc_lo
	v_add_co_u32 v73, vcc_lo, s22, v0
	v_add_co_ci_u32_e32 v74, vcc_lo, s23, v1, vcc_lo
	s_lshl_b32 s28, s33, 2
	s_lshl_b32 s38, s33, 1
	s_mul_i32 s39, s33, 3
	s_lshl_b32 s40, s33, 6
	s_mov_b64 s[36:37], s[28:29]
	s_branch .LBB43_9
.LBB43_8:                               ;   in Loop: Header=BB43_9 Depth=1
	s_or_b32 exec_lo, exec_lo, s0
	v_add_co_u32 v57, vcc_lo, v57, s28
	v_add_co_ci_u32_e32 v58, vcc_lo, 0, v58, vcc_lo
	v_add_co_u32 v59, vcc_lo, v59, s40
	v_add_co_ci_u32_e32 v60, vcc_lo, 0, v60, vcc_lo
	v_add_co_u32 v61, vcc_lo, v61, s40
	v_add_co_ci_u32_e32 v62, vcc_lo, 0, v62, vcc_lo
	v_add_co_u32 v63, vcc_lo, v63, s40
	v_add_co_ci_u32_e32 v64, vcc_lo, 0, v64, vcc_lo
	v_add_co_u32 v65, vcc_lo, v65, s40
	v_add_co_ci_u32_e32 v66, vcc_lo, 0, v66, vcc_lo
	v_add_co_u32 v67, vcc_lo, v67, s40
	v_add_co_ci_u32_e32 v68, vcc_lo, 0, v68, vcc_lo
	v_add_co_u32 v69, vcc_lo, v69, s40
	v_add_co_ci_u32_e32 v70, vcc_lo, 0, v70, vcc_lo
	v_cmp_ge_i64_e64 s0, s[36:37], s[26:27]
	v_cmp_lt_u64_e64 s1, 0xffff, s[36:37]
	v_add_co_u32 v71, vcc_lo, v71, s40
	v_add_co_ci_u32_e32 v72, vcc_lo, 0, v72, vcc_lo
	v_add_co_u32 v73, vcc_lo, v73, s40
	v_add_co_ci_u32_e32 v74, vcc_lo, 0, v74, vcc_lo
	s_or_b32 s0, s0, s1
	s_add_u32 s36, s36, s28
	s_addc_u32 s37, s37, 0
	s_and_b32 vcc_lo, exec_lo, s0
	s_cbranch_vccnz .LBB43_25
.LBB43_9:                               ; =>This Inner Loop Header: Depth=1
	v_mov_b32_e32 v42, 0
	v_mov_b32_e32 v43, 0
	v_cmp_gt_u64_e64 s20, s[34:35], v[57:58]
	s_delay_alu instid0(VALU_DEP_3) | instskip(NEXT) | instid1(VALU_DEP_3)
	v_mov_b32_e32 v2, v42
	v_dual_mov_b32 v0, v42 :: v_dual_mov_b32 v1, v43
	v_mov_b32_e32 v3, v43
	s_delay_alu instid0(VALU_DEP_4)
	s_and_saveexec_b32 s0, s20
	s_cbranch_execz .LBB43_11
; %bb.10:                               ;   in Loop: Header=BB43_9 Depth=1
	v_add_co_u32 v0, vcc_lo, v59, s24
	v_add_co_ci_u32_e32 v1, vcc_lo, s25, v60, vcc_lo
	global_load_b128 v[0:3], v[0:1], off offset:-8
.LBB43_11:                              ;   in Loop: Header=BB43_9 Depth=1
	s_or_b32 exec_lo, exec_lo, s0
	v_add_co_u32 v4, vcc_lo, s33, v57
	v_add_co_ci_u32_e32 v5, vcc_lo, 0, v58, vcc_lo
	v_dual_mov_b32 v40, v42 :: v_dual_mov_b32 v41, v43
	s_delay_alu instid0(VALU_DEP_2) | instskip(NEXT) | instid1(VALU_DEP_1)
	v_cmp_gt_u64_e64 s21, s[34:35], v[4:5]
	s_and_saveexec_b32 s0, s21
	s_cbranch_execz .LBB43_13
; %bb.12:                               ;   in Loop: Header=BB43_9 Depth=1
	v_add_co_u32 v4, vcc_lo, v67, s24
	v_add_co_ci_u32_e32 v5, vcc_lo, s25, v68, vcc_lo
	global_load_b128 v[40:43], v[4:5], off
.LBB43_13:                              ;   in Loop: Header=BB43_9 Depth=1
	s_or_b32 exec_lo, exec_lo, s0
	v_add_co_u32 v4, vcc_lo, s38, v57
	v_add_co_ci_u32_e32 v5, vcc_lo, 0, v58, vcc_lo
	v_mov_b32_e32 v46, 0
	v_mov_b32_e32 v47, 0
	s_delay_alu instid0(VALU_DEP_3) | instskip(NEXT) | instid1(VALU_DEP_2)
	v_cmp_gt_u64_e64 s22, s[34:35], v[4:5]
	v_dual_mov_b32 v52, v47 :: v_dual_mov_b32 v51, v46
	v_dual_mov_b32 v50, v47 :: v_dual_mov_b32 v49, v46
	s_delay_alu instid0(VALU_DEP_3)
	s_and_saveexec_b32 s0, s22
	s_cbranch_execz .LBB43_15
; %bb.14:                               ;   in Loop: Header=BB43_9 Depth=1
	v_add_co_u32 v4, vcc_lo, v71, s24
	v_add_co_ci_u32_e32 v5, vcc_lo, s25, v72, vcc_lo
	global_load_b128 v[49:52], v[4:5], off offset:-8
.LBB43_15:                              ;   in Loop: Header=BB43_9 Depth=1
	s_or_b32 exec_lo, exec_lo, s0
	v_add_co_u32 v4, vcc_lo, s39, v57
	v_add_co_ci_u32_e32 v5, vcc_lo, 0, v58, vcc_lo
	v_dual_mov_b32 v44, v46 :: v_dual_mov_b32 v45, v47
	s_delay_alu instid0(VALU_DEP_2) | instskip(NEXT) | instid1(VALU_DEP_1)
	v_cmp_gt_u64_e64 s23, s[34:35], v[4:5]
	s_and_saveexec_b32 s0, s23
	s_cbranch_execz .LBB43_17
; %bb.16:                               ;   in Loop: Header=BB43_9 Depth=1
	v_add_co_u32 v4, vcc_lo, v65, s24
	v_add_co_ci_u32_e32 v5, vcc_lo, s25, v66, vcc_lo
	global_load_b128 v[44:47], v[4:5], off offset:-8
.LBB43_17:                              ;   in Loop: Header=BB43_9 Depth=1
	s_or_b32 exec_lo, exec_lo, s0
	s_getpc_b64 s[42:43]
	s_add_u32 s42, s42, _ZNK2at6native4AcosIN3c107complexIdEEEclES4_@rel32@lo+4
	s_addc_u32 s43, s43, _ZNK2at6native4AcosIN3c107complexIdEEEclES4_@rel32@hi+12
	s_delay_alu instid0(SALU_CYCLE_1)
	s_swappc_b64 s[30:31], s[42:43]
	v_dual_mov_b32 v53, v0 :: v_dual_mov_b32 v54, v1
	v_dual_mov_b32 v55, v2 :: v_dual_mov_b32 v56, v3
	;; [unrolled: 1-line block ×4, first 2 shown]
	s_swappc_b64 s[30:31], s[42:43]
	s_delay_alu instid0(VALU_DEP_2) | instskip(NEXT) | instid1(VALU_DEP_2)
	v_dual_mov_b32 v40, v0 :: v_dual_mov_b32 v41, v1
	v_dual_mov_b32 v42, v2 :: v_dual_mov_b32 v43, v3
	;; [unrolled: 1-line block ×4, first 2 shown]
	s_swappc_b64 s[30:31], s[42:43]
	s_delay_alu instid0(VALU_DEP_2) | instskip(NEXT) | instid1(VALU_DEP_2)
	v_dual_mov_b32 v49, v0 :: v_dual_mov_b32 v50, v1
	v_dual_mov_b32 v51, v2 :: v_dual_mov_b32 v52, v3
	;; [unrolled: 1-line block ×4, first 2 shown]
	s_swappc_b64 s[30:31], s[42:43]
	s_and_saveexec_b32 s0, s20
	s_cbranch_execnz .LBB43_21
; %bb.18:                               ;   in Loop: Header=BB43_9 Depth=1
	s_or_b32 exec_lo, exec_lo, s0
	s_and_saveexec_b32 s0, s21
	s_cbranch_execnz .LBB43_22
.LBB43_19:                              ;   in Loop: Header=BB43_9 Depth=1
	s_or_b32 exec_lo, exec_lo, s0
	s_and_saveexec_b32 s0, s22
	s_cbranch_execnz .LBB43_23
.LBB43_20:                              ;   in Loop: Header=BB43_9 Depth=1
	s_or_b32 exec_lo, exec_lo, s0
	s_and_saveexec_b32 s0, s23
	s_cbranch_execz .LBB43_8
	s_branch .LBB43_24
.LBB43_21:                              ;   in Loop: Header=BB43_9 Depth=1
	v_add_co_u32 v4, vcc_lo, v61, s24
	v_add_co_ci_u32_e32 v5, vcc_lo, s25, v62, vcc_lo
	global_store_b128 v[4:5], v[53:56], off offset:-8
	s_or_b32 exec_lo, exec_lo, s0
	s_and_saveexec_b32 s0, s21
	s_cbranch_execz .LBB43_19
.LBB43_22:                              ;   in Loop: Header=BB43_9 Depth=1
	v_add_co_u32 v4, vcc_lo, v63, s24
	v_add_co_ci_u32_e32 v5, vcc_lo, s25, v64, vcc_lo
	global_store_b128 v[4:5], v[40:43], off
	s_or_b32 exec_lo, exec_lo, s0
	s_and_saveexec_b32 s0, s22
	s_cbranch_execz .LBB43_20
.LBB43_23:                              ;   in Loop: Header=BB43_9 Depth=1
	v_add_co_u32 v4, vcc_lo, v73, s24
	v_add_co_ci_u32_e32 v5, vcc_lo, s25, v74, vcc_lo
	global_store_b128 v[4:5], v[49:52], off offset:-8
	s_or_b32 exec_lo, exec_lo, s0
	s_and_saveexec_b32 s0, s23
	s_cbranch_execz .LBB43_8
.LBB43_24:                              ;   in Loop: Header=BB43_9 Depth=1
	v_add_co_u32 v4, vcc_lo, v69, s24
	v_add_co_ci_u32_e32 v5, vcc_lo, s25, v70, vcc_lo
	global_store_b128 v[4:5], v[0:3], off offset:-8
	s_branch .LBB43_8
.LBB43_25:
	s_endpgm
	.section	.rodata,"a",@progbits
	.p2align	6, 0x0
	.amdhsa_kernel _ZN2at6native12_GLOBAL__N_125multi_tensor_apply_kernelINS1_18TensorListMetadataILi2EEENS1_14UnaryOpFunctorIN3c107complexIdEELi2ELi1ELi1EEEJNS0_4AcosIS8_EEEEEvT_T0_DpT1_
		.amdhsa_group_segment_fixed_size 0
		.amdhsa_private_segment_fixed_size 24
		.amdhsa_kernarg_size 3408
		.amdhsa_user_sgpr_count 15
		.amdhsa_user_sgpr_dispatch_ptr 0
		.amdhsa_user_sgpr_queue_ptr 0
		.amdhsa_user_sgpr_kernarg_segment_ptr 1
		.amdhsa_user_sgpr_dispatch_id 0
		.amdhsa_user_sgpr_private_segment_size 0
		.amdhsa_wavefront_size32 1
		.amdhsa_uses_dynamic_stack 0
		.amdhsa_enable_private_segment 1
		.amdhsa_system_sgpr_workgroup_id_x 1
		.amdhsa_system_sgpr_workgroup_id_y 0
		.amdhsa_system_sgpr_workgroup_id_z 0
		.amdhsa_system_sgpr_workgroup_info 0
		.amdhsa_system_vgpr_workitem_id 0
		.amdhsa_next_free_vgpr 75
		.amdhsa_next_free_sgpr 44
		.amdhsa_reserve_vcc 1
		.amdhsa_float_round_mode_32 0
		.amdhsa_float_round_mode_16_64 0
		.amdhsa_float_denorm_mode_32 3
		.amdhsa_float_denorm_mode_16_64 3
		.amdhsa_dx10_clamp 1
		.amdhsa_ieee_mode 1
		.amdhsa_fp16_overflow 0
		.amdhsa_workgroup_processor_mode 1
		.amdhsa_memory_ordered 1
		.amdhsa_forward_progress 0
		.amdhsa_shared_vgpr_count 0
		.amdhsa_exception_fp_ieee_invalid_op 0
		.amdhsa_exception_fp_denorm_src 0
		.amdhsa_exception_fp_ieee_div_zero 0
		.amdhsa_exception_fp_ieee_overflow 0
		.amdhsa_exception_fp_ieee_underflow 0
		.amdhsa_exception_fp_ieee_inexact 0
		.amdhsa_exception_int_div_zero 0
	.end_amdhsa_kernel
	.section	.text._ZN2at6native12_GLOBAL__N_125multi_tensor_apply_kernelINS1_18TensorListMetadataILi2EEENS1_14UnaryOpFunctorIN3c107complexIdEELi2ELi1ELi1EEEJNS0_4AcosIS8_EEEEEvT_T0_DpT1_,"axG",@progbits,_ZN2at6native12_GLOBAL__N_125multi_tensor_apply_kernelINS1_18TensorListMetadataILi2EEENS1_14UnaryOpFunctorIN3c107complexIdEELi2ELi1ELi1EEEJNS0_4AcosIS8_EEEEEvT_T0_DpT1_,comdat
.Lfunc_end43:
	.size	_ZN2at6native12_GLOBAL__N_125multi_tensor_apply_kernelINS1_18TensorListMetadataILi2EEENS1_14UnaryOpFunctorIN3c107complexIdEELi2ELi1ELi1EEEJNS0_4AcosIS8_EEEEEvT_T0_DpT1_, .Lfunc_end43-_ZN2at6native12_GLOBAL__N_125multi_tensor_apply_kernelINS1_18TensorListMetadataILi2EEENS1_14UnaryOpFunctorIN3c107complexIdEELi2ELi1ELi1EEEJNS0_4AcosIS8_EEEEEvT_T0_DpT1_
                                        ; -- End function
	.section	.AMDGPU.csdata,"",@progbits
; Kernel info:
; codeLenInByte = 1644
; NumSgprs: 46
; NumVgprs: 75
; ScratchSize: 24
; MemoryBound: 1
; FloatMode: 240
; IeeeMode: 1
; LDSByteSize: 0 bytes/workgroup (compile time only)
; SGPRBlocks: 5
; VGPRBlocks: 9
; NumSGPRsForWavesPerEU: 46
; NumVGPRsForWavesPerEU: 75
; Occupancy: 16
; WaveLimiterHint : 0
; COMPUTE_PGM_RSRC2:SCRATCH_EN: 1
; COMPUTE_PGM_RSRC2:USER_SGPR: 15
; COMPUTE_PGM_RSRC2:TRAP_HANDLER: 0
; COMPUTE_PGM_RSRC2:TGID_X_EN: 1
; COMPUTE_PGM_RSRC2:TGID_Y_EN: 0
; COMPUTE_PGM_RSRC2:TGID_Z_EN: 0
; COMPUTE_PGM_RSRC2:TIDIG_COMP_CNT: 0
	.section	.text._ZN2at6native12_GLOBAL__N_125multi_tensor_apply_kernelINS1_18TensorListMetadataILi2EEENS1_14UnaryOpFunctorIN3c107complexIfEELi2ELi1ELi1EEEJNS0_4AcosIS8_EEEEEvT_T0_DpT1_,"axG",@progbits,_ZN2at6native12_GLOBAL__N_125multi_tensor_apply_kernelINS1_18TensorListMetadataILi2EEENS1_14UnaryOpFunctorIN3c107complexIfEELi2ELi1ELi1EEEJNS0_4AcosIS8_EEEEEvT_T0_DpT1_,comdat
	.globl	_ZN2at6native12_GLOBAL__N_125multi_tensor_apply_kernelINS1_18TensorListMetadataILi2EEENS1_14UnaryOpFunctorIN3c107complexIfEELi2ELi1ELi1EEEJNS0_4AcosIS8_EEEEEvT_T0_DpT1_ ; -- Begin function _ZN2at6native12_GLOBAL__N_125multi_tensor_apply_kernelINS1_18TensorListMetadataILi2EEENS1_14UnaryOpFunctorIN3c107complexIfEELi2ELi1ELi1EEEJNS0_4AcosIS8_EEEEEvT_T0_DpT1_
	.p2align	8
	.type	_ZN2at6native12_GLOBAL__N_125multi_tensor_apply_kernelINS1_18TensorListMetadataILi2EEENS1_14UnaryOpFunctorIN3c107complexIfEELi2ELi1ELi1EEEJNS0_4AcosIS8_EEEEEvT_T0_DpT1_,@function
_ZN2at6native12_GLOBAL__N_125multi_tensor_apply_kernelINS1_18TensorListMetadataILi2EEENS1_14UnaryOpFunctorIN3c107complexIfEELi2ELi1ELi1EEEJNS0_4AcosIS8_EEEEEvT_T0_DpT1_: ; @_ZN2at6native12_GLOBAL__N_125multi_tensor_apply_kernelINS1_18TensorListMetadataILi2EEENS1_14UnaryOpFunctorIN3c107complexIfEELi2ELi1ELi1EEEJNS0_4AcosIS8_EEEEEvT_T0_DpT1_
; %bb.0:
	v_mov_b32_e32 v1, s15
	s_add_u32 s2, s0, s15
	s_mul_hi_u32 s3, s15, 3
	s_mul_i32 s15, s15, 3
	s_addc_u32 s4, s1, 0
	global_load_u8 v1, v1, s[0:1] offset:1536
	s_add_u32 s2, s2, s15
	s_addc_u32 s3, s4, s3
	s_mov_b32 s13, 0
	s_load_b32 s2, s[2:3], 0x740
	s_mov_b32 s15, s13
	s_mov_b32 s17, s13
	s_waitcnt vmcnt(0)
	v_readfirstlane_b32 s5, v1
	s_delay_alu instid0(VALU_DEP_1)
	s_lshl_b32 s3, s5, 3
	s_clause 0x2
	s_load_b64 s[24:25], s[0:1], s3 offset:0x0
	s_load_b64 s[8:9], s[0:1], s3 offset:0x200
	;; [unrolled: 1-line block ×3, first 2 shown]
	s_waitcnt lgkmcnt(0)
	s_ashr_i32 s3, s2, 31
	s_delay_alu instid0(SALU_CYCLE_1) | instskip(NEXT) | instid1(SALU_CYCLE_1)
	s_lshl_b64 s[10:11], s[2:3], 19
	s_add_u32 s7, s24, s10
	s_addc_u32 s22, s25, s11
	s_add_u32 s23, s8, s10
	s_addc_u32 s26, s9, s11
	s_and_b32 s14, s7, 31
	s_and_b32 s16, s4, 3
	;; [unrolled: 1-line block ×3, first 2 shown]
	s_or_b64 s[14:15], s[14:15], s[16:17]
	s_lshl_b64 s[2:3], s[2:3], 16
	s_or_b64 s[14:15], s[12:13], s[14:15]
	s_sub_u32 s12, s4, s2
	s_subb_u32 s13, s5, s3
	s_cmp_eq_u64 s[14:15], 0
	s_mov_b32 s2, -1
	s_cbranch_scc0 .LBB44_397
; %bb.1:
	v_dual_mov_b32 v2, 0 :: v_dual_lshlrev_b32 v1, 2, v0
	s_mov_b32 s27, exec_lo
	s_delay_alu instid0(VALU_DEP_1)
	v_cmpx_gt_i64_e64 s[12:13], v[1:2]
	s_cbranch_execz .LBB44_396
; %bb.2:
	s_mov_b64 s[16:17], src_private_base
	s_mov_b32 s16, 8
	v_mov_b32_e32 v1, v2
	v_dual_mov_b32 v13, s16 :: v_dual_mov_b32 v20, 0xd800000
	v_dual_mov_b32 v14, s17 :: v_dual_mov_b32 v19, 0x248d3132
	s_delay_alu instid0(VALU_DEP_3)
	v_dual_mov_b32 v16, v1 :: v_dual_mov_b32 v21, 0x4016cbe4
	v_mov_b32_e32 v15, v0
	s_add_u32 s14, s0, 0xc50
	s_addc_u32 s15, s1, 0
	s_mov_b32 s18, 0
	s_mov_b32 s19, s17
	;; [unrolled: 1-line block ×8, first 2 shown]
	s_branch .LBB44_5
.LBB44_3:                               ;   in Loop: Header=BB44_5 Depth=1
	s_or_b32 exec_lo, exec_lo, s3
.LBB44_4:                               ;   in Loop: Header=BB44_5 Depth=1
	s_delay_alu instid0(SALU_CYCLE_1)
	s_or_b32 exec_lo, exec_lo, s2
	s_waitcnt lgkmcnt(0)
	v_add_co_u32 v1, vcc_lo, s23, v17
	v_add_co_ci_u32_e32 v2, vcc_lo, s26, v18, vcc_lo
	global_store_b128 v[1:2], v[5:8], off
	s_waitcnt vmcnt(0)
	global_store_b128 v[1:2], v[9:12], off offset:16
	s_load_b32 s2, s[14:15], 0xc
	s_waitcnt lgkmcnt(0)
	s_and_b32 s2, s2, 0xffff
	s_delay_alu instid0(SALU_CYCLE_1) | instskip(SKIP_1) | instid1(VALU_DEP_1)
	v_add_co_u32 v15, vcc_lo, v15, s2
	v_add_co_ci_u32_e32 v16, vcc_lo, 0, v16, vcc_lo
	v_lshlrev_b64 v[1:2], 2, v[15:16]
	s_delay_alu instid0(VALU_DEP_1) | instskip(SKIP_1) | instid1(VALU_DEP_1)
	v_cmp_le_i64_e32 vcc_lo, s[12:13], v[1:2]
	v_cmp_lt_u64_e64 s2, 0xffff, v[1:2]
	s_or_b32 s2, vcc_lo, s2
	s_delay_alu instid0(SALU_CYCLE_1) | instskip(NEXT) | instid1(SALU_CYCLE_1)
	s_and_b32 s2, exec_lo, s2
	s_or_b32 s28, s2, s28
	s_delay_alu instid0(SALU_CYCLE_1)
	s_and_not1_b32 exec_lo, exec_lo, s28
	s_cbranch_execz .LBB44_396
.LBB44_5:                               ; =>This Inner Loop Header: Depth=1
	v_lshlrev_b64 v[17:18], 5, v[15:16]
                                        ; implicit-def: $vgpr6
	s_delay_alu instid0(VALU_DEP_1) | instskip(NEXT) | instid1(VALU_DEP_2)
	v_add_co_u32 v1, vcc_lo, s7, v17
	v_add_co_ci_u32_e32 v2, vcc_lo, s22, v18, vcc_lo
	s_clause 0x1
	global_load_b128 v[9:12], v[1:2], off
	global_load_b128 v[1:4], v[1:2], off offset:16
	flat_store_b32 v[13:14], v19 dlc
	s_waitcnt_vscnt null, 0x0
	s_waitcnt vmcnt(1)
	v_cmp_o_f32_e32 vcc_lo, v9, v9
	v_cmp_o_f32_e64 s2, v10, v10
	s_delay_alu instid0(VALU_DEP_1) | instskip(NEXT) | instid1(SALU_CYCLE_1)
	s_and_b32 s2, vcc_lo, s2
	s_and_saveexec_b32 s3, s2
	s_delay_alu instid0(SALU_CYCLE_1)
	s_xor_b32 s33, exec_lo, s3
	s_cbranch_execz .LBB44_89
; %bb.6:                                ;   in Loop: Header=BB44_5 Depth=1
	v_max_f32_e64 v8, |v10|, |v10|
	v_max_f32_e64 v22, |v9|, |v9|
	v_cmp_gt_i32_e64 s3, 0, v9
	v_cmp_lt_i32_e64 s4, -1, v9
	v_cmp_gt_i32_e64 s2, 0, v10
                                        ; implicit-def: $vgpr6
	s_mov_b32 s5, exec_lo
	v_max_f32_e32 v7, v22, v8
	s_delay_alu instid0(VALU_DEP_1)
	v_cmpx_nlt_f32_e32 0x4b000000, v7
	s_xor_b32 s34, exec_lo, s5
	s_cbranch_execz .LBB44_78
; %bb.7:                                ;   in Loop: Header=BB44_5 Depth=1
	v_cmp_neq_f32_e32 vcc_lo, 1.0, v9
	v_cmp_neq_f32_e64 s5, 0, v10
                                        ; implicit-def: $vgpr6
	s_delay_alu instid0(VALU_DEP_1) | instskip(NEXT) | instid1(SALU_CYCLE_1)
	s_or_b32 s5, vcc_lo, s5
	s_and_saveexec_b32 s6, s5
	s_delay_alu instid0(SALU_CYCLE_1)
	s_xor_b32 s35, exec_lo, s6
	s_cbranch_execz .LBB44_75
; %bb.8:                                ;   in Loop: Header=BB44_5 Depth=1
	v_dual_mov_b32 v5, s18 :: v_dual_mov_b32 v6, s19
	v_cmp_ngt_f32_e64 s5, 0x395db3d7, |v9|
	v_cmp_ngt_f32_e64 s6, 0x395db3d7, |v10|
	flat_store_b32 v[5:6], v20 dlc
	s_waitcnt_vscnt null, 0x0
	flat_load_b32 v5, v[5:6] glc dlc
	s_waitcnt vmcnt(0)
	s_or_b32 s5, s5, s6
	s_waitcnt lgkmcnt(0)
	v_add_f32_e32 v7, 1.0, v5
	v_dual_mov_b32 v5, s20 :: v_dual_mov_b32 v6, s21
	flat_store_b32 v[5:6], v7 dlc
	s_waitcnt_vscnt null, 0x0
	flat_load_b32 v5, v[5:6] glc dlc
	s_waitcnt vmcnt(0)
                                        ; implicit-def: $vgpr6
	s_and_saveexec_b32 s6, s5
	s_delay_alu instid0(SALU_CYCLE_1)
	s_xor_b32 s36, exec_lo, s6
	s_cbranch_execz .LBB44_72
; %bb.9:                                ;   in Loop: Header=BB44_5 Depth=1
	v_add_f32_e64 v7, |v9|, 1.0
	v_add_f32_e64 v6, |v9|, -1.0
	s_mov_b32 s5, exec_lo
	s_waitcnt vmcnt(0) lgkmcnt(0)
	s_delay_alu instid0(VALU_DEP_2) | instskip(NEXT) | instid1(VALU_DEP_2)
	v_max_f32_e64 v5, v8, |v7|
	v_max_f32_e64 v8, v8, |v6|
	s_delay_alu instid0(VALU_DEP_2) | instskip(NEXT) | instid1(VALU_DEP_2)
	v_cvt_f64_f32_e32 v[22:23], v5
	v_cvt_f64_f32_e32 v[24:25], v8
	v_cmp_neq_f32_e32 vcc_lo, 0x7f800000, v5
	s_delay_alu instid0(VALU_DEP_3) | instskip(NEXT) | instid1(VALU_DEP_3)
	v_frexp_exp_i32_f64_e32 v22, v[22:23]
	v_frexp_exp_i32_f64_e32 v23, v[24:25]
	s_delay_alu instid0(VALU_DEP_2) | instskip(NEXT) | instid1(VALU_DEP_2)
	v_sub_nc_u32_e32 v24, 0, v22
	v_sub_nc_u32_e32 v25, 0, v23
	s_delay_alu instid0(VALU_DEP_2) | instskip(NEXT) | instid1(VALU_DEP_2)
	v_ldexp_f32 v26, |v7|, v24
	v_ldexp_f32 v27, |v6|, v25
	v_ldexp_f32 v24, |v10|, v24
	v_ldexp_f32 v25, |v10|, v25
	s_delay_alu instid0(VALU_DEP_3) | instskip(NEXT) | instid1(VALU_DEP_1)
	v_dual_mul_f32 v26, v26, v26 :: v_dual_mul_f32 v27, v27, v27
	v_dual_fmac_f32 v26, v24, v24 :: v_dual_fmac_f32 v27, v25, v25
	s_delay_alu instid0(VALU_DEP_1) | instskip(NEXT) | instid1(VALU_DEP_1)
	v_sqrt_f32_e32 v24, v26
	v_sqrt_f32_e32 v25, v27
	s_waitcnt_depctr 0xfff
	v_ldexp_f32 v22, v24, v22
	v_ldexp_f32 v23, v25, v23
	s_delay_alu instid0(VALU_DEP_2) | instskip(SKIP_1) | instid1(VALU_DEP_3)
	v_cndmask_b32_e32 v24, 0x7f800000, v22, vcc_lo
	v_cmp_neq_f32_e32 vcc_lo, 0x7f800000, v8
                                        ; implicit-def: $vgpr22
	v_cndmask_b32_e32 v8, 0x7f800000, v23, vcc_lo
	s_delay_alu instid0(VALU_DEP_1) | instskip(NEXT) | instid1(VALU_DEP_1)
	v_add_f32_e32 v5, v24, v8
	v_mul_f32_e32 v5, 0.5, v5
	s_delay_alu instid0(VALU_DEP_1) | instskip(SKIP_1) | instid1(VALU_DEP_1)
	v_cmp_ngt_f32_e32 vcc_lo, 1.0, v5
	v_cndmask_b32_e32 v5, 1.0, v5, vcc_lo
	v_cmpx_ngt_f32_e32 0x41200000, v5
	s_xor_b32 s6, exec_lo, s5
	s_cbranch_execz .LBB44_11
; %bb.10:                               ;   in Loop: Header=BB44_5 Depth=1
	v_fma_f32 v22, v5, v5, -1.0
	s_delay_alu instid0(VALU_DEP_1) | instskip(SKIP_1) | instid1(VALU_DEP_2)
	v_mul_f32_e32 v23, 0x4f800000, v22
	v_cmp_gt_f32_e32 vcc_lo, 0xf800000, v22
	v_cndmask_b32_e32 v22, v22, v23, vcc_lo
	s_delay_alu instid0(VALU_DEP_1) | instskip(SKIP_3) | instid1(VALU_DEP_2)
	v_sqrt_f32_e32 v23, v22
	s_waitcnt_depctr 0xfff
	v_add_nc_u32_e32 v25, -1, v23
	v_add_nc_u32_e32 v26, 1, v23
	v_fma_f32 v27, -v25, v23, v22
	s_delay_alu instid0(VALU_DEP_2) | instskip(NEXT) | instid1(VALU_DEP_2)
	v_fma_f32 v28, -v26, v23, v22
	v_cmp_ge_f32_e64 s5, 0, v27
	s_delay_alu instid0(VALU_DEP_1) | instskip(NEXT) | instid1(VALU_DEP_3)
	v_cndmask_b32_e64 v23, v23, v25, s5
	v_cmp_lt_f32_e64 s5, 0, v28
	s_delay_alu instid0(VALU_DEP_1) | instskip(NEXT) | instid1(VALU_DEP_1)
	v_cndmask_b32_e64 v23, v23, v26, s5
	v_mul_f32_e32 v25, 0x37800000, v23
	s_delay_alu instid0(VALU_DEP_1) | instskip(SKIP_1) | instid1(VALU_DEP_2)
	v_cndmask_b32_e32 v23, v23, v25, vcc_lo
	v_cmp_class_f32_e64 vcc_lo, v22, 0x260
	v_cndmask_b32_e32 v22, v23, v22, vcc_lo
	s_delay_alu instid0(VALU_DEP_1) | instskip(NEXT) | instid1(VALU_DEP_1)
	v_add_f32_e32 v22, v5, v22
	v_cmp_gt_f32_e32 vcc_lo, 0x800000, v22
	s_delay_alu instid0(VALU_DEP_4) | instskip(NEXT) | instid1(VALU_DEP_1)
	v_cndmask_b32_e64 v23, 1.0, 0x4f800000, vcc_lo
	v_mul_f32_e32 v22, v22, v23
	s_delay_alu instid0(VALU_DEP_1) | instskip(SKIP_3) | instid1(VALU_DEP_2)
	v_log_f32_e32 v22, v22
	s_waitcnt_depctr 0xfff
	v_mul_f32_e32 v23, 0x3f317217, v22
	v_cmp_gt_f32_e64 s5, 0x7f800000, |v22|
	v_fma_f32 v25, 0x3f317217, v22, -v23
	s_delay_alu instid0(VALU_DEP_1) | instskip(NEXT) | instid1(VALU_DEP_1)
	v_fmac_f32_e32 v25, 0x3377d1cf, v22
	v_add_f32_e32 v23, v23, v25
	s_delay_alu instid0(VALU_DEP_1) | instskip(SKIP_1) | instid1(VALU_DEP_1)
	v_cndmask_b32_e64 v22, v22, v23, s5
	v_cndmask_b32_e64 v23, 0, 0x41b17218, vcc_lo
	v_sub_f32_e32 v22, v22, v23
.LBB44_11:                              ;   in Loop: Header=BB44_5 Depth=1
	s_or_saveexec_b32 s6, s6
	v_and_b32_e32 v23, 0x7fffffff, v10
	s_xor_b32 exec_lo, exec_lo, s6
	s_cbranch_execz .LBB44_33
; %bb.12:                               ;   in Loop: Header=BB44_5 Depth=1
	v_cmp_neq_f32_e64 s5, |v9|, 1.0
	v_cmp_ngt_f32_e64 s37, 0x25000000, |v10|
                                        ; implicit-def: $vgpr22
	s_delay_alu instid0(VALU_DEP_1) | instskip(NEXT) | instid1(SALU_CYCLE_1)
	s_or_b32 s5, s5, s37
	s_and_saveexec_b32 s37, s5
	s_delay_alu instid0(SALU_CYCLE_1)
	s_xor_b32 s37, exec_lo, s37
	s_cbranch_execz .LBB44_30
; %bb.13:                               ;   in Loop: Header=BB44_5 Depth=1
	v_mul_f32_e64 v22, 0x34000000, |v6|
	s_delay_alu instid0(VALU_DEP_1) | instskip(NEXT) | instid1(VALU_DEP_1)
	v_cmp_le_f32_e64 s5, v22, |v10|
                                        ; implicit-def: $vgpr22
	s_and_saveexec_b32 s38, s5
	s_delay_alu instid0(SALU_CYCLE_1)
	s_xor_b32 s38, exec_lo, s38
	s_cbranch_execz .LBB44_23
; %bb.14:                               ;   in Loop: Header=BB44_5 Depth=1
	v_mov_b32_e32 v22, v23
	s_mov_b32 s5, exec_lo
	v_cmpx_neq_f32_e32 0, v7
	s_cbranch_execz .LBB44_16
; %bb.15:                               ;   in Loop: Header=BB44_5 Depth=1
	v_dual_mul_f32 v22, v10, v10 :: v_dual_add_f32 v25, v7, v24
	s_delay_alu instid0(VALU_DEP_1) | instskip(NEXT) | instid1(VALU_DEP_1)
	v_div_scale_f32 v26, null, v25, v25, v22
	v_rcp_f32_e32 v27, v26
	s_waitcnt_depctr 0xfff
	v_fma_f32 v28, -v26, v27, 1.0
	s_delay_alu instid0(VALU_DEP_1) | instskip(SKIP_1) | instid1(VALU_DEP_1)
	v_fmac_f32_e32 v27, v28, v27
	v_div_scale_f32 v28, vcc_lo, v22, v25, v22
	v_mul_f32_e32 v29, v28, v27
	s_delay_alu instid0(VALU_DEP_1) | instskip(NEXT) | instid1(VALU_DEP_1)
	v_fma_f32 v30, -v26, v29, v28
	v_fmac_f32_e32 v29, v30, v27
	s_delay_alu instid0(VALU_DEP_1) | instskip(NEXT) | instid1(VALU_DEP_1)
	v_fma_f32 v26, -v26, v29, v28
	v_div_fmas_f32 v26, v26, v27, v29
	s_delay_alu instid0(VALU_DEP_1)
	v_div_fixup_f32 v22, v26, v25, v22
.LBB44_16:                              ;   in Loop: Header=BB44_5 Depth=1
	s_or_b32 exec_lo, exec_lo, s5
	v_sub_f32_e64 v26, 1.0, |v9|
	s_mov_b32 s5, exec_lo
                                        ; implicit-def: $vgpr25
	s_delay_alu instid0(VALU_DEP_1)
	v_cmpx_ngt_f32_e32 0, v26
	s_xor_b32 s5, exec_lo, s5
	s_cbranch_execz .LBB44_20
; %bb.17:                               ;   in Loop: Header=BB44_5 Depth=1
	v_mov_b32_e32 v25, v23
	s_mov_b32 s39, exec_lo
	v_cmpx_neq_f32_e32 0, v26
	s_cbranch_execz .LBB44_19
; %bb.18:                               ;   in Loop: Header=BB44_5 Depth=1
	v_mul_f32_e32 v25, v10, v10
	v_add_f32_e32 v26, v26, v8
	s_delay_alu instid0(VALU_DEP_1) | instskip(NEXT) | instid1(VALU_DEP_1)
	v_div_scale_f32 v27, null, v26, v26, v25
	v_rcp_f32_e32 v28, v27
	s_waitcnt_depctr 0xfff
	v_fma_f32 v29, -v27, v28, 1.0
	s_delay_alu instid0(VALU_DEP_1) | instskip(SKIP_1) | instid1(VALU_DEP_1)
	v_fmac_f32_e32 v28, v29, v28
	v_div_scale_f32 v29, vcc_lo, v25, v26, v25
	v_mul_f32_e32 v30, v29, v28
	s_delay_alu instid0(VALU_DEP_1) | instskip(NEXT) | instid1(VALU_DEP_1)
	v_fma_f32 v31, -v27, v30, v29
	v_fmac_f32_e32 v30, v31, v28
	s_delay_alu instid0(VALU_DEP_1) | instskip(NEXT) | instid1(VALU_DEP_1)
	v_fma_f32 v27, -v27, v30, v29
	v_div_fmas_f32 v27, v27, v28, v30
	s_delay_alu instid0(VALU_DEP_1)
	v_div_fixup_f32 v25, v27, v26, v25
.LBB44_19:                              ;   in Loop: Header=BB44_5 Depth=1
	s_or_b32 exec_lo, exec_lo, s39
                                        ; implicit-def: $vgpr26
.LBB44_20:                              ;   in Loop: Header=BB44_5 Depth=1
	s_and_not1_saveexec_b32 s5, s5
; %bb.21:                               ;   in Loop: Header=BB44_5 Depth=1
	v_sub_f32_e32 v25, v8, v26
; %bb.22:                               ;   in Loop: Header=BB44_5 Depth=1
	s_or_b32 exec_lo, exec_lo, s5
	s_delay_alu instid0(VALU_DEP_1) | instskip(NEXT) | instid1(VALU_DEP_1)
	v_mul_f32_e32 v25, 0.5, v25
	v_dual_add_f32 v26, 1.0, v5 :: v_dual_fmac_f32 v25, 0.5, v22
	s_delay_alu instid0(VALU_DEP_1) | instskip(NEXT) | instid1(VALU_DEP_1)
	v_mul_f32_e32 v22, v26, v25
	v_mul_f32_e32 v26, 0x4f800000, v22
	v_cmp_gt_f32_e32 vcc_lo, 0xf800000, v22
	s_delay_alu instid0(VALU_DEP_2) | instskip(NEXT) | instid1(VALU_DEP_1)
	v_cndmask_b32_e32 v22, v22, v26, vcc_lo
	v_sqrt_f32_e32 v26, v22
	s_waitcnt_depctr 0xfff
	v_add_nc_u32_e32 v27, -1, v26
	v_add_nc_u32_e32 v28, 1, v26
	s_delay_alu instid0(VALU_DEP_2) | instskip(NEXT) | instid1(VALU_DEP_2)
	v_fma_f32 v29, -v27, v26, v22
	v_fma_f32 v30, -v28, v26, v22
	s_delay_alu instid0(VALU_DEP_2) | instskip(NEXT) | instid1(VALU_DEP_1)
	v_cmp_ge_f32_e64 s5, 0, v29
	v_cndmask_b32_e64 v26, v26, v27, s5
	s_delay_alu instid0(VALU_DEP_3) | instskip(NEXT) | instid1(VALU_DEP_1)
	v_cmp_lt_f32_e64 s5, 0, v30
	v_cndmask_b32_e64 v26, v26, v28, s5
	s_delay_alu instid0(VALU_DEP_1) | instskip(NEXT) | instid1(VALU_DEP_1)
	v_mul_f32_e32 v27, 0x37800000, v26
	v_cndmask_b32_e32 v26, v26, v27, vcc_lo
	v_cmp_class_f32_e64 vcc_lo, v22, 0x260
	s_delay_alu instid0(VALU_DEP_2) | instskip(NEXT) | instid1(VALU_DEP_1)
	v_cndmask_b32_e32 v22, v26, v22, vcc_lo
	v_add_f32_e32 v22, v25, v22
	s_delay_alu instid0(VALU_DEP_1) | instskip(NEXT) | instid1(VALU_DEP_1)
	v_add_f32_e32 v27, 1.0, v22
	v_cvt_f64_f32_e32 v[25:26], v27
	s_delay_alu instid0(VALU_DEP_1) | instskip(SKIP_1) | instid1(VALU_DEP_1)
	v_frexp_exp_i32_f64_e32 v25, v[25:26]
	v_frexp_mant_f32_e32 v26, v27
	v_cmp_gt_f32_e32 vcc_lo, 0x3f2aaaab, v26
	v_add_f32_e32 v26, -1.0, v27
	s_delay_alu instid0(VALU_DEP_1) | instskip(NEXT) | instid1(VALU_DEP_1)
	v_sub_f32_e32 v29, v26, v27
	v_add_f32_e32 v29, 1.0, v29
	v_subrev_co_ci_u32_e32 v25, vcc_lo, 0, v25, vcc_lo
	s_delay_alu instid0(VALU_DEP_1) | instskip(SKIP_1) | instid1(VALU_DEP_2)
	v_sub_nc_u32_e32 v28, 0, v25
	v_cvt_f32_i32_e32 v25, v25
	v_ldexp_f32 v27, v27, v28
	v_sub_f32_e32 v26, v22, v26
	s_delay_alu instid0(VALU_DEP_1) | instskip(NEXT) | instid1(VALU_DEP_1)
	v_add_f32_e32 v26, v26, v29
	v_ldexp_f32 v26, v26, v28
	s_delay_alu instid0(VALU_DEP_4) | instskip(NEXT) | instid1(VALU_DEP_1)
	v_add_f32_e32 v30, 1.0, v27
	v_add_f32_e32 v29, -1.0, v30
	s_delay_alu instid0(VALU_DEP_1) | instskip(NEXT) | instid1(VALU_DEP_1)
	v_sub_f32_e32 v29, v27, v29
	v_dual_add_f32 v29, v26, v29 :: v_dual_add_f32 v28, -1.0, v27
	s_delay_alu instid0(VALU_DEP_1) | instskip(SKIP_1) | instid1(VALU_DEP_2)
	v_add_f32_e32 v31, 1.0, v28
	v_cmp_eq_f32_e32 vcc_lo, 0x7f800000, v22
	v_sub_f32_e32 v27, v27, v31
	s_delay_alu instid0(VALU_DEP_4) | instskip(NEXT) | instid1(VALU_DEP_1)
	v_add_f32_e32 v31, v30, v29
	v_sub_f32_e32 v30, v31, v30
	s_delay_alu instid0(VALU_DEP_3) | instskip(SKIP_1) | instid1(VALU_DEP_2)
	v_add_f32_e32 v26, v26, v27
	v_rcp_f32_e32 v27, v31
	v_sub_f32_e32 v29, v29, v30
	s_delay_alu instid0(VALU_DEP_2) | instskip(NEXT) | instid1(VALU_DEP_1)
	v_add_f32_e32 v32, v28, v26
	v_sub_f32_e32 v28, v32, v28
	s_waitcnt_depctr 0xfff
	v_dual_mul_f32 v33, v32, v27 :: v_dual_sub_f32 v26, v26, v28
	s_delay_alu instid0(VALU_DEP_1) | instskip(NEXT) | instid1(VALU_DEP_1)
	v_mul_f32_e32 v34, v31, v33
	v_fma_f32 v30, v33, v31, -v34
	s_delay_alu instid0(VALU_DEP_1) | instskip(NEXT) | instid1(VALU_DEP_1)
	v_fmac_f32_e32 v30, v33, v29
	v_add_f32_e32 v35, v34, v30
	s_delay_alu instid0(VALU_DEP_1) | instskip(NEXT) | instid1(VALU_DEP_1)
	v_sub_f32_e32 v36, v32, v35
	v_sub_f32_e32 v32, v32, v36
	;; [unrolled: 1-line block ×3, first 2 shown]
	s_delay_alu instid0(VALU_DEP_2) | instskip(NEXT) | instid1(VALU_DEP_2)
	v_sub_f32_e32 v32, v32, v35
	v_sub_f32_e32 v28, v28, v30
	s_delay_alu instid0(VALU_DEP_2) | instskip(NEXT) | instid1(VALU_DEP_1)
	v_add_f32_e32 v26, v26, v32
	v_add_f32_e32 v26, v28, v26
	s_delay_alu instid0(VALU_DEP_1) | instskip(NEXT) | instid1(VALU_DEP_1)
	v_add_f32_e32 v28, v36, v26
	v_mul_f32_e32 v30, v27, v28
	s_delay_alu instid0(VALU_DEP_1) | instskip(NEXT) | instid1(VALU_DEP_1)
	v_dual_sub_f32 v35, v36, v28 :: v_dual_mul_f32 v32, v31, v30
	v_add_f32_e32 v26, v26, v35
	s_delay_alu instid0(VALU_DEP_2) | instskip(NEXT) | instid1(VALU_DEP_1)
	v_fma_f32 v31, v30, v31, -v32
	v_fmac_f32_e32 v31, v30, v29
	s_delay_alu instid0(VALU_DEP_1) | instskip(NEXT) | instid1(VALU_DEP_1)
	v_add_f32_e32 v29, v32, v31
	v_sub_f32_e32 v34, v28, v29
	v_sub_f32_e32 v32, v29, v32
	s_delay_alu instid0(VALU_DEP_2) | instskip(NEXT) | instid1(VALU_DEP_1)
	v_sub_f32_e32 v28, v28, v34
	v_sub_f32_e32 v28, v28, v29
	s_delay_alu instid0(VALU_DEP_1) | instskip(SKIP_1) | instid1(VALU_DEP_1)
	v_dual_sub_f32 v29, v32, v31 :: v_dual_add_f32 v26, v26, v28
	v_add_f32_e32 v28, v33, v30
	v_dual_add_f32 v26, v29, v26 :: v_dual_sub_f32 v29, v28, v33
	s_delay_alu instid0(VALU_DEP_1) | instskip(NEXT) | instid1(VALU_DEP_1)
	v_add_f32_e32 v26, v34, v26
	v_dual_sub_f32 v29, v30, v29 :: v_dual_mul_f32 v26, v27, v26
	s_delay_alu instid0(VALU_DEP_1) | instskip(NEXT) | instid1(VALU_DEP_1)
	v_add_f32_e32 v26, v29, v26
	v_add_f32_e32 v27, v28, v26
	s_delay_alu instid0(VALU_DEP_1) | instskip(NEXT) | instid1(VALU_DEP_1)
	v_mul_f32_e32 v29, v27, v27
	v_fmaak_f32 v30, s29, v29, 0x3ecc95a3
	v_mul_f32_e32 v31, v27, v29
	s_delay_alu instid0(VALU_DEP_2) | instskip(SKIP_2) | instid1(VALU_DEP_3)
	v_fmaak_f32 v29, v29, v30, 0x3f2aaada
	v_ldexp_f32 v30, v27, 1
	v_sub_f32_e32 v27, v27, v28
	v_mul_f32_e32 v29, v31, v29
	s_delay_alu instid0(VALU_DEP_2) | instskip(NEXT) | instid1(VALU_DEP_2)
	v_dual_mul_f32 v31, 0x3f317218, v25 :: v_dual_sub_f32 v26, v26, v27
	v_add_f32_e32 v28, v30, v29
	s_delay_alu instid0(VALU_DEP_2) | instskip(NEXT) | instid1(VALU_DEP_2)
	v_ldexp_f32 v26, v26, 1
	v_sub_f32_e32 v27, v28, v30
	s_delay_alu instid0(VALU_DEP_4) | instskip(NEXT) | instid1(VALU_DEP_1)
	v_fma_f32 v30, 0x3f317218, v25, -v31
	v_dual_sub_f32 v27, v29, v27 :: v_dual_fmac_f32 v30, 0xb102e308, v25
	s_delay_alu instid0(VALU_DEP_1) | instskip(NEXT) | instid1(VALU_DEP_1)
	v_dual_add_f32 v25, v26, v27 :: v_dual_add_f32 v26, v31, v30
	v_add_f32_e32 v27, v28, v25
	s_delay_alu instid0(VALU_DEP_2) | instskip(NEXT) | instid1(VALU_DEP_2)
	v_sub_f32_e32 v31, v26, v31
	v_dual_add_f32 v29, v26, v27 :: v_dual_sub_f32 v28, v27, v28
	s_delay_alu instid0(VALU_DEP_2) | instskip(NEXT) | instid1(VALU_DEP_2)
	v_sub_f32_e32 v30, v30, v31
	v_sub_f32_e32 v32, v29, v26
	s_delay_alu instid0(VALU_DEP_3) | instskip(NEXT) | instid1(VALU_DEP_2)
	v_sub_f32_e32 v25, v25, v28
	v_sub_f32_e32 v33, v29, v32
	s_delay_alu instid0(VALU_DEP_2) | instskip(NEXT) | instid1(VALU_DEP_2)
	v_dual_sub_f32 v27, v27, v32 :: v_dual_add_f32 v28, v30, v25
	v_sub_f32_e32 v26, v26, v33
	s_delay_alu instid0(VALU_DEP_1) | instskip(NEXT) | instid1(VALU_DEP_3)
	v_add_f32_e32 v26, v27, v26
	v_sub_f32_e32 v27, v28, v30
	s_delay_alu instid0(VALU_DEP_2) | instskip(NEXT) | instid1(VALU_DEP_2)
	v_add_f32_e32 v26, v28, v26
	v_sub_f32_e32 v28, v28, v27
	v_sub_f32_e32 v25, v25, v27
	s_delay_alu instid0(VALU_DEP_2) | instskip(NEXT) | instid1(VALU_DEP_1)
	v_dual_add_f32 v31, v29, v26 :: v_dual_sub_f32 v28, v30, v28
	v_sub_f32_e32 v27, v31, v29
	s_delay_alu instid0(VALU_DEP_1) | instskip(NEXT) | instid1(VALU_DEP_1)
	v_dual_add_f32 v25, v25, v28 :: v_dual_sub_f32 v26, v26, v27
	v_add_f32_e32 v25, v25, v26
	s_delay_alu instid0(VALU_DEP_1) | instskip(NEXT) | instid1(VALU_DEP_1)
	v_add_f32_e32 v25, v31, v25
	v_cndmask_b32_e32 v25, v25, v22, vcc_lo
	v_cmp_ngt_f32_e32 vcc_lo, -1.0, v22
	s_delay_alu instid0(VALU_DEP_2) | instskip(SKIP_1) | instid1(VALU_DEP_2)
	v_cndmask_b32_e32 v25, 0x7fc00000, v25, vcc_lo
	v_cmp_neq_f32_e32 vcc_lo, -1.0, v22
	v_cndmask_b32_e32 v25, 0xff800000, v25, vcc_lo
	v_cmp_gt_f32_e64 vcc_lo, 0x33800000, |v22|
	s_delay_alu instid0(VALU_DEP_2)
	v_cndmask_b32_e32 v22, v25, v22, vcc_lo
.LBB44_23:                              ;   in Loop: Header=BB44_5 Depth=1
	s_and_not1_saveexec_b32 s38, s38
	s_cbranch_execz .LBB44_29
; %bb.24:                               ;   in Loop: Header=BB44_5 Depth=1
	s_mov_b32 s39, exec_lo
                                        ; implicit-def: $vgpr22
	v_cmpx_nlt_f32_e64 |v9|, 1.0
	s_xor_b32 s39, exec_lo, s39
	s_cbranch_execz .LBB44_26
; %bb.25:                               ;   in Loop: Header=BB44_5 Depth=1
	v_mul_f32_e32 v22, v6, v7
	s_delay_alu instid0(VALU_DEP_1) | instskip(SKIP_1) | instid1(VALU_DEP_2)
	v_mul_f32_e32 v25, 0x4f800000, v22
	v_cmp_gt_f32_e32 vcc_lo, 0xf800000, v22
	v_cndmask_b32_e32 v22, v22, v25, vcc_lo
	s_delay_alu instid0(VALU_DEP_1) | instskip(SKIP_3) | instid1(VALU_DEP_2)
	v_sqrt_f32_e32 v25, v22
	s_waitcnt_depctr 0xfff
	v_add_nc_u32_e32 v26, -1, v25
	v_add_nc_u32_e32 v27, 1, v25
	v_fma_f32 v28, -v26, v25, v22
	s_delay_alu instid0(VALU_DEP_2) | instskip(NEXT) | instid1(VALU_DEP_2)
	v_fma_f32 v29, -v27, v25, v22
	v_cmp_ge_f32_e64 s5, 0, v28
	s_delay_alu instid0(VALU_DEP_1) | instskip(NEXT) | instid1(VALU_DEP_3)
	v_cndmask_b32_e64 v25, v25, v26, s5
	v_cmp_lt_f32_e64 s5, 0, v29
	s_delay_alu instid0(VALU_DEP_1) | instskip(NEXT) | instid1(VALU_DEP_1)
	v_cndmask_b32_e64 v25, v25, v27, s5
	v_mul_f32_e32 v26, 0x37800000, v25
	s_delay_alu instid0(VALU_DEP_1) | instskip(SKIP_1) | instid1(VALU_DEP_2)
	v_cndmask_b32_e32 v25, v25, v26, vcc_lo
	v_cmp_class_f32_e64 vcc_lo, v22, 0x260
	v_cndmask_b32_e32 v22, v25, v22, vcc_lo
	s_delay_alu instid0(VALU_DEP_1) | instskip(NEXT) | instid1(VALU_DEP_1)
	v_add_f32_e32 v22, v6, v22
	v_add_f32_e32 v27, 1.0, v22
	s_delay_alu instid0(VALU_DEP_1) | instskip(NEXT) | instid1(VALU_DEP_1)
	v_cvt_f64_f32_e32 v[25:26], v27
	v_frexp_exp_i32_f64_e32 v25, v[25:26]
	v_frexp_mant_f32_e32 v26, v27
	s_delay_alu instid0(VALU_DEP_1) | instskip(SKIP_1) | instid1(VALU_DEP_1)
	v_cmp_gt_f32_e32 vcc_lo, 0x3f2aaaab, v26
	v_add_f32_e32 v26, -1.0, v27
	v_sub_f32_e32 v29, v26, v27
	s_delay_alu instid0(VALU_DEP_1) | instskip(SKIP_2) | instid1(VALU_DEP_2)
	v_add_f32_e32 v29, 1.0, v29
	v_subrev_co_ci_u32_e32 v25, vcc_lo, 0, v25, vcc_lo
	v_cmp_eq_f32_e32 vcc_lo, 0x7f800000, v22
	v_sub_nc_u32_e32 v28, 0, v25
	v_cvt_f32_i32_e32 v25, v25
	s_delay_alu instid0(VALU_DEP_2) | instskip(SKIP_1) | instid1(VALU_DEP_1)
	v_ldexp_f32 v27, v27, v28
	v_sub_f32_e32 v26, v22, v26
	v_add_f32_e32 v26, v26, v29
	s_delay_alu instid0(VALU_DEP_1) | instskip(NEXT) | instid1(VALU_DEP_4)
	v_ldexp_f32 v26, v26, v28
	v_add_f32_e32 v28, -1.0, v27
	s_delay_alu instid0(VALU_DEP_1) | instskip(NEXT) | instid1(VALU_DEP_1)
	v_dual_add_f32 v30, 1.0, v27 :: v_dual_add_f32 v31, 1.0, v28
	v_add_f32_e32 v29, -1.0, v30
	s_delay_alu instid0(VALU_DEP_1) | instskip(NEXT) | instid1(VALU_DEP_3)
	v_sub_f32_e32 v29, v27, v29
	v_sub_f32_e32 v27, v27, v31
	s_delay_alu instid0(VALU_DEP_2) | instskip(NEXT) | instid1(VALU_DEP_2)
	v_add_f32_e32 v29, v26, v29
	v_add_f32_e32 v26, v26, v27
	s_delay_alu instid0(VALU_DEP_1) | instskip(NEXT) | instid1(VALU_DEP_1)
	v_dual_add_f32 v31, v30, v29 :: v_dual_add_f32 v32, v28, v26
	v_rcp_f32_e32 v27, v31
	v_sub_f32_e32 v30, v31, v30
	s_delay_alu instid0(VALU_DEP_1) | instskip(SKIP_2) | instid1(VALU_DEP_1)
	v_dual_sub_f32 v28, v32, v28 :: v_dual_sub_f32 v29, v29, v30
	s_waitcnt_depctr 0xfff
	v_dual_sub_f32 v26, v26, v28 :: v_dual_mul_f32 v33, v32, v27
	v_mul_f32_e32 v34, v31, v33
	s_delay_alu instid0(VALU_DEP_1) | instskip(NEXT) | instid1(VALU_DEP_1)
	v_fma_f32 v30, v33, v31, -v34
	v_fmac_f32_e32 v30, v33, v29
	s_delay_alu instid0(VALU_DEP_1) | instskip(NEXT) | instid1(VALU_DEP_1)
	v_add_f32_e32 v35, v34, v30
	v_sub_f32_e32 v36, v32, v35
	v_sub_f32_e32 v28, v35, v34
	s_delay_alu instid0(VALU_DEP_2) | instskip(NEXT) | instid1(VALU_DEP_2)
	v_sub_f32_e32 v32, v32, v36
	v_sub_f32_e32 v28, v28, v30
	s_delay_alu instid0(VALU_DEP_2) | instskip(NEXT) | instid1(VALU_DEP_1)
	v_sub_f32_e32 v32, v32, v35
	v_add_f32_e32 v26, v26, v32
	s_delay_alu instid0(VALU_DEP_1) | instskip(NEXT) | instid1(VALU_DEP_1)
	v_add_f32_e32 v26, v28, v26
	v_add_f32_e32 v28, v36, v26
	s_delay_alu instid0(VALU_DEP_1) | instskip(NEXT) | instid1(VALU_DEP_1)
	v_mul_f32_e32 v30, v27, v28
	v_mul_f32_e32 v32, v31, v30
	s_delay_alu instid0(VALU_DEP_1) | instskip(NEXT) | instid1(VALU_DEP_1)
	v_fma_f32 v31, v30, v31, -v32
	v_fmac_f32_e32 v31, v30, v29
	v_sub_f32_e32 v35, v36, v28
	s_delay_alu instid0(VALU_DEP_2) | instskip(NEXT) | instid1(VALU_DEP_2)
	v_add_f32_e32 v29, v32, v31
	v_add_f32_e32 v26, v26, v35
	s_delay_alu instid0(VALU_DEP_2) | instskip(SKIP_1) | instid1(VALU_DEP_2)
	v_sub_f32_e32 v34, v28, v29
	v_sub_f32_e32 v32, v29, v32
	;; [unrolled: 1-line block ×3, first 2 shown]
	s_delay_alu instid0(VALU_DEP_1) | instskip(NEXT) | instid1(VALU_DEP_1)
	v_sub_f32_e32 v28, v28, v29
	v_dual_sub_f32 v29, v32, v31 :: v_dual_add_f32 v26, v26, v28
	v_add_f32_e32 v28, v33, v30
	s_delay_alu instid0(VALU_DEP_1) | instskip(NEXT) | instid1(VALU_DEP_1)
	v_dual_add_f32 v26, v29, v26 :: v_dual_sub_f32 v29, v28, v33
	v_add_f32_e32 v26, v34, v26
	s_delay_alu instid0(VALU_DEP_1) | instskip(NEXT) | instid1(VALU_DEP_1)
	v_dual_sub_f32 v29, v30, v29 :: v_dual_mul_f32 v26, v27, v26
	v_add_f32_e32 v26, v29, v26
	s_delay_alu instid0(VALU_DEP_1) | instskip(NEXT) | instid1(VALU_DEP_1)
	v_add_f32_e32 v27, v28, v26
	v_mul_f32_e32 v29, v27, v27
	s_delay_alu instid0(VALU_DEP_1) | instskip(SKIP_1) | instid1(VALU_DEP_2)
	v_fmaak_f32 v30, s29, v29, 0x3ecc95a3
	v_mul_f32_e32 v31, v27, v29
	v_fmaak_f32 v29, v29, v30, 0x3f2aaada
	v_ldexp_f32 v30, v27, 1
	v_sub_f32_e32 v27, v27, v28
	s_delay_alu instid0(VALU_DEP_3) | instskip(NEXT) | instid1(VALU_DEP_2)
	v_mul_f32_e32 v29, v31, v29
	v_dual_mul_f32 v31, 0x3f317218, v25 :: v_dual_sub_f32 v26, v26, v27
	s_delay_alu instid0(VALU_DEP_2) | instskip(NEXT) | instid1(VALU_DEP_2)
	v_add_f32_e32 v28, v30, v29
	v_ldexp_f32 v26, v26, 1
	s_delay_alu instid0(VALU_DEP_2) | instskip(NEXT) | instid1(VALU_DEP_4)
	v_sub_f32_e32 v27, v28, v30
	v_fma_f32 v30, 0x3f317218, v25, -v31
	s_delay_alu instid0(VALU_DEP_1) | instskip(NEXT) | instid1(VALU_DEP_1)
	v_dual_sub_f32 v27, v29, v27 :: v_dual_fmac_f32 v30, 0xb102e308, v25
	v_dual_add_f32 v25, v26, v27 :: v_dual_add_f32 v26, v31, v30
	s_delay_alu instid0(VALU_DEP_1) | instskip(NEXT) | instid1(VALU_DEP_2)
	v_add_f32_e32 v27, v28, v25
	v_sub_f32_e32 v31, v26, v31
	s_delay_alu instid0(VALU_DEP_2) | instskip(NEXT) | instid1(VALU_DEP_2)
	v_dual_add_f32 v29, v26, v27 :: v_dual_sub_f32 v28, v27, v28
	v_sub_f32_e32 v30, v30, v31
	s_delay_alu instid0(VALU_DEP_2) | instskip(NEXT) | instid1(VALU_DEP_3)
	v_sub_f32_e32 v32, v29, v26
	v_sub_f32_e32 v25, v25, v28
	s_delay_alu instid0(VALU_DEP_2) | instskip(NEXT) | instid1(VALU_DEP_2)
	v_sub_f32_e32 v33, v29, v32
	v_dual_sub_f32 v27, v27, v32 :: v_dual_add_f32 v28, v30, v25
	s_delay_alu instid0(VALU_DEP_2) | instskip(NEXT) | instid1(VALU_DEP_1)
	v_sub_f32_e32 v26, v26, v33
	v_add_f32_e32 v26, v27, v26
	s_delay_alu instid0(VALU_DEP_3) | instskip(NEXT) | instid1(VALU_DEP_2)
	v_sub_f32_e32 v27, v28, v30
	v_add_f32_e32 v26, v28, v26
	s_delay_alu instid0(VALU_DEP_2) | instskip(SKIP_1) | instid1(VALU_DEP_2)
	v_sub_f32_e32 v28, v28, v27
	v_sub_f32_e32 v25, v25, v27
	v_dual_add_f32 v31, v29, v26 :: v_dual_sub_f32 v28, v30, v28
	s_delay_alu instid0(VALU_DEP_1) | instskip(NEXT) | instid1(VALU_DEP_1)
	v_sub_f32_e32 v27, v31, v29
	v_dual_add_f32 v25, v25, v28 :: v_dual_sub_f32 v26, v26, v27
	s_delay_alu instid0(VALU_DEP_1) | instskip(NEXT) | instid1(VALU_DEP_1)
	v_add_f32_e32 v25, v25, v26
	v_add_f32_e32 v25, v31, v25
	s_delay_alu instid0(VALU_DEP_1) | instskip(SKIP_1) | instid1(VALU_DEP_2)
	v_cndmask_b32_e32 v25, v25, v22, vcc_lo
	v_cmp_ngt_f32_e32 vcc_lo, -1.0, v22
	v_cndmask_b32_e32 v25, 0x7fc00000, v25, vcc_lo
	v_cmp_neq_f32_e32 vcc_lo, -1.0, v22
	s_delay_alu instid0(VALU_DEP_2) | instskip(SKIP_1) | instid1(VALU_DEP_2)
	v_cndmask_b32_e32 v25, 0xff800000, v25, vcc_lo
	v_cmp_gt_f32_e64 vcc_lo, 0x33800000, |v22|
	v_cndmask_b32_e32 v22, v25, v22, vcc_lo
.LBB44_26:                              ;   in Loop: Header=BB44_5 Depth=1
	s_and_not1_saveexec_b32 s39, s39
	s_cbranch_execz .LBB44_28
; %bb.27:                               ;   in Loop: Header=BB44_5 Depth=1
	v_sub_f32_e64 v22, 1.0, |v9|
	s_delay_alu instid0(VALU_DEP_1) | instskip(NEXT) | instid1(VALU_DEP_1)
	v_mul_f32_e32 v22, v22, v7
	v_mul_f32_e32 v25, 0x4f800000, v22
	v_cmp_gt_f32_e32 vcc_lo, 0xf800000, v22
	s_delay_alu instid0(VALU_DEP_2) | instskip(NEXT) | instid1(VALU_DEP_1)
	v_cndmask_b32_e32 v22, v22, v25, vcc_lo
	v_sqrt_f32_e32 v25, v22
	s_waitcnt_depctr 0xfff
	v_add_nc_u32_e32 v26, -1, v25
	v_add_nc_u32_e32 v27, 1, v25
	s_delay_alu instid0(VALU_DEP_2) | instskip(NEXT) | instid1(VALU_DEP_2)
	v_fma_f32 v28, -v26, v25, v22
	v_fma_f32 v29, -v27, v25, v22
	s_delay_alu instid0(VALU_DEP_2) | instskip(NEXT) | instid1(VALU_DEP_1)
	v_cmp_ge_f32_e64 s5, 0, v28
	v_cndmask_b32_e64 v25, v25, v26, s5
	s_delay_alu instid0(VALU_DEP_3) | instskip(NEXT) | instid1(VALU_DEP_1)
	v_cmp_lt_f32_e64 s5, 0, v29
	v_cndmask_b32_e64 v25, v25, v27, s5
	s_delay_alu instid0(VALU_DEP_1) | instskip(NEXT) | instid1(VALU_DEP_1)
	v_mul_f32_e32 v26, 0x37800000, v25
	v_cndmask_b32_e32 v25, v25, v26, vcc_lo
	v_cmp_class_f32_e64 vcc_lo, v22, 0x260
	v_and_b32_e32 v26, 0x7fffffff, v10
	s_delay_alu instid0(VALU_DEP_3) | instskip(NEXT) | instid1(VALU_DEP_1)
	v_cndmask_b32_e32 v22, v25, v22, vcc_lo
	v_div_scale_f32 v25, null, v22, v22, v26
	v_div_scale_f32 v26, vcc_lo, v26, v22, v26
	s_delay_alu instid0(VALU_DEP_2) | instskip(SKIP_2) | instid1(VALU_DEP_1)
	v_rcp_f32_e32 v27, v25
	s_waitcnt_depctr 0xfff
	v_fma_f32 v28, -v25, v27, 1.0
	v_fmac_f32_e32 v27, v28, v27
	s_delay_alu instid0(VALU_DEP_1) | instskip(NEXT) | instid1(VALU_DEP_1)
	v_mul_f32_e32 v28, v26, v27
	v_fma_f32 v29, -v25, v28, v26
	s_delay_alu instid0(VALU_DEP_1) | instskip(NEXT) | instid1(VALU_DEP_1)
	v_fmac_f32_e32 v28, v29, v27
	v_fma_f32 v25, -v25, v28, v26
	s_delay_alu instid0(VALU_DEP_1) | instskip(NEXT) | instid1(VALU_DEP_1)
	v_div_fmas_f32 v25, v25, v27, v28
	v_div_fixup_f32 v22, v25, v22, |v10|
.LBB44_28:                              ;   in Loop: Header=BB44_5 Depth=1
	s_or_b32 exec_lo, exec_lo, s39
.LBB44_29:                              ;   in Loop: Header=BB44_5 Depth=1
	s_delay_alu instid0(SALU_CYCLE_1)
	s_or_b32 exec_lo, exec_lo, s38
.LBB44_30:                              ;   in Loop: Header=BB44_5 Depth=1
	s_and_not1_saveexec_b32 s37, s37
	s_cbranch_execz .LBB44_32
; %bb.31:                               ;   in Loop: Header=BB44_5 Depth=1
	v_mul_f32_e64 v22, 0x4f800000, |v10|
	v_cmp_gt_f32_e64 vcc_lo, 0xf800000, |v10|
	s_delay_alu instid0(VALU_DEP_1) | instskip(NEXT) | instid1(VALU_DEP_1)
	v_cndmask_b32_e64 v22, |v10|, v22, vcc_lo
	v_sqrt_f32_e32 v25, v22
	s_waitcnt_depctr 0xfff
	v_add_nc_u32_e32 v26, -1, v25
	v_add_nc_u32_e32 v27, 1, v25
	s_delay_alu instid0(VALU_DEP_2) | instskip(NEXT) | instid1(VALU_DEP_2)
	v_fma_f32 v28, -v26, v25, v22
	v_fma_f32 v29, -v27, v25, v22
	s_delay_alu instid0(VALU_DEP_2) | instskip(NEXT) | instid1(VALU_DEP_1)
	v_cmp_ge_f32_e64 s5, 0, v28
	v_cndmask_b32_e64 v25, v25, v26, s5
	s_delay_alu instid0(VALU_DEP_3) | instskip(NEXT) | instid1(VALU_DEP_1)
	v_cmp_lt_f32_e64 s5, 0, v29
	v_cndmask_b32_e64 v25, v25, v27, s5
	s_delay_alu instid0(VALU_DEP_1) | instskip(NEXT) | instid1(VALU_DEP_1)
	v_mul_f32_e32 v26, 0x37800000, v25
	v_cndmask_b32_e32 v25, v25, v26, vcc_lo
	v_cmp_class_f32_e64 vcc_lo, v22, 0x260
	s_delay_alu instid0(VALU_DEP_2)
	v_cndmask_b32_e32 v22, v25, v22, vcc_lo
.LBB44_32:                              ;   in Loop: Header=BB44_5 Depth=1
	s_or_b32 exec_lo, exec_lo, s37
.LBB44_33:                              ;   in Loop: Header=BB44_5 Depth=1
	s_delay_alu instid0(SALU_CYCLE_1) | instskip(NEXT) | instid1(SALU_CYCLE_1)
	s_or_b32 exec_lo, exec_lo, s6
	s_mov_b32 s37, exec_lo
                                        ; implicit-def: $sgpr5
                                        ; implicit-def: $vgpr25
                                        ; implicit-def: $vgpr27
                                        ; implicit-def: $vgpr26
	v_cmpx_ngt_f32_e64 0x21000000, |v9|
	s_xor_b32 s37, exec_lo, s37
	s_cbranch_execz .LBB44_57
; %bb.34:                               ;   in Loop: Header=BB44_5 Depth=1
	v_and_b32_e32 v26, 0x7fffffff, v9
	s_mov_b32 s5, 0
	s_mov_b32 s38, exec_lo
	s_delay_alu instid0(VALU_DEP_1) | instskip(NEXT) | instid1(VALU_DEP_1)
	v_div_scale_f32 v25, null, v5, v5, v26
	v_rcp_f32_e32 v27, v25
	s_waitcnt_depctr 0xfff
	v_fma_f32 v28, -v25, v27, 1.0
	s_delay_alu instid0(VALU_DEP_1) | instskip(SKIP_1) | instid1(VALU_DEP_1)
	v_fmac_f32_e32 v27, v28, v27
	v_div_scale_f32 v28, vcc_lo, v26, v5, v26
	v_mul_f32_e32 v29, v28, v27
	s_delay_alu instid0(VALU_DEP_1) | instskip(NEXT) | instid1(VALU_DEP_1)
	v_fma_f32 v30, -v25, v29, v28
	v_fmac_f32_e32 v29, v30, v27
	s_delay_alu instid0(VALU_DEP_1) | instskip(NEXT) | instid1(VALU_DEP_1)
	v_fma_f32 v25, -v25, v29, v28
	v_div_fmas_f32 v25, v25, v27, v29
                                        ; implicit-def: $vgpr27
	s_delay_alu instid0(VALU_DEP_1) | instskip(NEXT) | instid1(VALU_DEP_1)
	v_div_fixup_f32 v25, v25, v5, |v9|
	v_cmpx_lt_f32_e32 0x3f244674, v25
	s_cbranch_execz .LBB44_56
; %bb.35:                               ;   in Loop: Header=BB44_5 Depth=1
	v_cmp_neq_f32_e64 s5, |v9|, 1.0
	v_cmp_ngt_f32_e64 s6, 0x30800000, |v10|
                                        ; implicit-def: $sgpr39
                                        ; implicit-def: $vgpr27
	s_delay_alu instid0(VALU_DEP_1) | instskip(NEXT) | instid1(SALU_CYCLE_1)
	s_or_b32 s5, s5, s6
	s_and_saveexec_b32 s6, s5
	s_delay_alu instid0(SALU_CYCLE_1)
	s_xor_b32 s6, exec_lo, s6
	s_cbranch_execz .LBB44_53
; %bb.36:                               ;   in Loop: Header=BB44_5 Depth=1
	v_mul_f32_e64 v27, 0x34000000, |v6|
                                        ; implicit-def: $sgpr39
	s_delay_alu instid0(VALU_DEP_1) | instskip(NEXT) | instid1(VALU_DEP_1)
	v_cmp_le_f32_e64 s5, v27, |v10|
                                        ; implicit-def: $vgpr27
	s_and_saveexec_b32 s40, s5
	s_delay_alu instid0(SALU_CYCLE_1)
	s_xor_b32 s40, exec_lo, s40
	s_cbranch_execz .LBB44_46
; %bb.37:                               ;   in Loop: Header=BB44_5 Depth=1
	v_mov_b32_e32 v27, v23
	s_mov_b32 s5, exec_lo
	v_cmpx_neq_f32_e32 0, v7
	s_cbranch_execz .LBB44_39
; %bb.38:                               ;   in Loop: Header=BB44_5 Depth=1
	v_mul_f32_e32 v27, v10, v10
	v_add_f32_e32 v7, v7, v24
	s_delay_alu instid0(VALU_DEP_1) | instskip(NEXT) | instid1(VALU_DEP_1)
	v_div_scale_f32 v24, null, v7, v7, v27
	v_rcp_f32_e32 v28, v24
	s_waitcnt_depctr 0xfff
	v_fma_f32 v29, -v24, v28, 1.0
	s_delay_alu instid0(VALU_DEP_1) | instskip(SKIP_1) | instid1(VALU_DEP_1)
	v_fmac_f32_e32 v28, v29, v28
	v_div_scale_f32 v29, vcc_lo, v27, v7, v27
	v_mul_f32_e32 v30, v29, v28
	s_delay_alu instid0(VALU_DEP_1) | instskip(NEXT) | instid1(VALU_DEP_1)
	v_fma_f32 v31, -v24, v30, v29
	v_fmac_f32_e32 v30, v31, v28
	s_delay_alu instid0(VALU_DEP_1) | instskip(NEXT) | instid1(VALU_DEP_1)
	v_fma_f32 v24, -v24, v30, v29
	v_div_fmas_f32 v24, v24, v28, v30
	s_delay_alu instid0(VALU_DEP_1)
	v_div_fixup_f32 v27, v24, v7, v27
.LBB44_39:                              ;   in Loop: Header=BB44_5 Depth=1
	s_or_b32 exec_lo, exec_lo, s5
	s_delay_alu instid0(SALU_CYCLE_1)
	s_mov_b32 s5, exec_lo
	v_cmpx_ngt_f32_e32 0, v6
	s_xor_b32 s5, exec_lo, s5
	s_cbranch_execz .LBB44_43
; %bb.40:                               ;   in Loop: Header=BB44_5 Depth=1
	s_mov_b32 s39, exec_lo
	v_cmpx_neq_f32_e32 0, v6
	s_cbranch_execz .LBB44_42
; %bb.41:                               ;   in Loop: Header=BB44_5 Depth=1
	v_mul_f32_e32 v7, v10, v10
	v_add_f32_e32 v6, v6, v8
	s_delay_alu instid0(VALU_DEP_1) | instskip(NEXT) | instid1(VALU_DEP_1)
	v_div_scale_f32 v8, null, v6, v6, v7
	v_rcp_f32_e32 v23, v8
	s_waitcnt_depctr 0xfff
	v_fma_f32 v24, -v8, v23, 1.0
	s_delay_alu instid0(VALU_DEP_1) | instskip(SKIP_1) | instid1(VALU_DEP_1)
	v_fmac_f32_e32 v23, v24, v23
	v_div_scale_f32 v24, vcc_lo, v7, v6, v7
	v_mul_f32_e32 v28, v24, v23
	s_delay_alu instid0(VALU_DEP_1) | instskip(NEXT) | instid1(VALU_DEP_1)
	v_fma_f32 v29, -v8, v28, v24
	v_fmac_f32_e32 v28, v29, v23
	s_delay_alu instid0(VALU_DEP_1) | instskip(NEXT) | instid1(VALU_DEP_1)
	v_fma_f32 v8, -v8, v28, v24
	v_div_fmas_f32 v8, v8, v23, v28
	s_delay_alu instid0(VALU_DEP_1)
	v_div_fixup_f32 v23, v8, v6, v7
.LBB44_42:                              ;   in Loop: Header=BB44_5 Depth=1
	s_or_b32 exec_lo, exec_lo, s39
                                        ; implicit-def: $vgpr8
                                        ; implicit-def: $vgpr6
.LBB44_43:                              ;   in Loop: Header=BB44_5 Depth=1
	s_and_not1_saveexec_b32 s5, s5
; %bb.44:                               ;   in Loop: Header=BB44_5 Depth=1
	v_sub_f32_e32 v23, v8, v6
; %bb.45:                               ;   in Loop: Header=BB44_5 Depth=1
	s_or_b32 exec_lo, exec_lo, s5
	s_delay_alu instid0(VALU_DEP_1) | instskip(SKIP_2) | instid1(VALU_DEP_2)
	v_mul_f32_e32 v6, 0.5, v23
	v_add_f32_e64 v5, |v9|, v5
	s_mov_b32 s39, -1
	v_fmac_f32_e32 v6, 0.5, v27
	s_delay_alu instid0(VALU_DEP_1) | instskip(NEXT) | instid1(VALU_DEP_1)
	v_mul_f32_e32 v5, v5, v6
	v_mul_f32_e32 v6, 0x4f800000, v5
	v_cmp_gt_f32_e32 vcc_lo, 0xf800000, v5
	s_delay_alu instid0(VALU_DEP_2) | instskip(NEXT) | instid1(VALU_DEP_1)
	v_cndmask_b32_e32 v5, v5, v6, vcc_lo
	v_sqrt_f32_e32 v6, v5
	s_waitcnt_depctr 0xfff
	v_add_nc_u32_e32 v7, -1, v6
	v_add_nc_u32_e32 v8, 1, v6
	s_delay_alu instid0(VALU_DEP_2) | instskip(NEXT) | instid1(VALU_DEP_2)
	v_fma_f32 v23, -v7, v6, v5
	v_fma_f32 v24, -v8, v6, v5
	s_delay_alu instid0(VALU_DEP_2) | instskip(NEXT) | instid1(VALU_DEP_1)
	v_cmp_ge_f32_e64 s5, 0, v23
	v_cndmask_b32_e64 v6, v6, v7, s5
	s_delay_alu instid0(VALU_DEP_3) | instskip(NEXT) | instid1(VALU_DEP_1)
	v_cmp_lt_f32_e64 s5, 0, v24
	v_cndmask_b32_e64 v6, v6, v8, s5
	s_delay_alu instid0(VALU_DEP_1) | instskip(NEXT) | instid1(VALU_DEP_1)
	v_mul_f32_e32 v7, 0x37800000, v6
	v_cndmask_b32_e32 v6, v6, v7, vcc_lo
	v_cmp_class_f32_e64 vcc_lo, v5, 0x260
                                        ; implicit-def: $vgpr7
	s_delay_alu instid0(VALU_DEP_2)
	v_cndmask_b32_e32 v27, v6, v5, vcc_lo
                                        ; implicit-def: $vgpr6
.LBB44_46:                              ;   in Loop: Header=BB44_5 Depth=1
	s_and_not1_saveexec_b32 s40, s40
	s_cbranch_execz .LBB44_52
; %bb.47:                               ;   in Loop: Header=BB44_5 Depth=1
	s_mov_b32 s42, exec_lo
                                        ; implicit-def: $vgpr27
                                        ; implicit-def: $sgpr41
	v_cmpx_ngt_f32_e64 |v9|, 1.0
	s_xor_b32 s42, exec_lo, s42
	s_cbranch_execz .LBB44_49
; %bb.48:                               ;   in Loop: Header=BB44_5 Depth=1
	v_sub_f32_e64 v5, 1.0, |v9|
	s_mov_b32 s41, -1
	s_delay_alu instid0(VALU_DEP_1) | instskip(NEXT) | instid1(VALU_DEP_1)
	v_mul_f32_e32 v5, v5, v7
	v_mul_f32_e32 v6, 0x4f800000, v5
	v_cmp_gt_f32_e32 vcc_lo, 0xf800000, v5
	s_delay_alu instid0(VALU_DEP_2) | instskip(NEXT) | instid1(VALU_DEP_1)
	v_cndmask_b32_e32 v5, v5, v6, vcc_lo
	v_sqrt_f32_e32 v6, v5
	s_waitcnt_depctr 0xfff
	v_add_nc_u32_e32 v7, -1, v6
	v_add_nc_u32_e32 v8, 1, v6
	s_delay_alu instid0(VALU_DEP_2) | instskip(NEXT) | instid1(VALU_DEP_2)
	v_fma_f32 v23, -v7, v6, v5
	v_fma_f32 v24, -v8, v6, v5
	s_delay_alu instid0(VALU_DEP_2) | instskip(NEXT) | instid1(VALU_DEP_1)
	v_cmp_ge_f32_e64 s5, 0, v23
	v_cndmask_b32_e64 v6, v6, v7, s5
	s_delay_alu instid0(VALU_DEP_3) | instskip(NEXT) | instid1(VALU_DEP_1)
	v_cmp_lt_f32_e64 s5, 0, v24
	v_cndmask_b32_e64 v6, v6, v8, s5
	s_delay_alu instid0(VALU_DEP_1) | instskip(NEXT) | instid1(VALU_DEP_1)
	v_mul_f32_e32 v7, 0x37800000, v6
	v_cndmask_b32_e32 v6, v6, v7, vcc_lo
	v_cmp_class_f32_e64 vcc_lo, v5, 0x260
                                        ; implicit-def: $vgpr7
	s_delay_alu instid0(VALU_DEP_2)
	v_cndmask_b32_e32 v27, v6, v5, vcc_lo
                                        ; implicit-def: $vgpr6
.LBB44_49:                              ;   in Loop: Header=BB44_5 Depth=1
	s_and_not1_saveexec_b32 s42, s42
	s_cbranch_execz .LBB44_51
; %bb.50:                               ;   in Loop: Header=BB44_5 Depth=1
	v_mul_f32_e32 v5, v7, v6
	s_or_b32 s41, s41, exec_lo
	s_delay_alu instid0(VALU_DEP_1) | instskip(SKIP_1) | instid1(VALU_DEP_2)
	v_mul_f32_e32 v6, 0x4f800000, v5
	v_cmp_gt_f32_e32 vcc_lo, 0xf800000, v5
	v_cndmask_b32_e32 v5, v5, v6, vcc_lo
	s_delay_alu instid0(VALU_DEP_1) | instskip(SKIP_3) | instid1(VALU_DEP_2)
	v_sqrt_f32_e32 v6, v5
	s_waitcnt_depctr 0xfff
	v_add_nc_u32_e32 v7, -1, v6
	v_add_nc_u32_e32 v8, 1, v6
	v_fma_f32 v23, -v7, v6, v5
	s_delay_alu instid0(VALU_DEP_2) | instskip(NEXT) | instid1(VALU_DEP_2)
	v_fma_f32 v24, -v8, v6, v5
	v_cmp_ge_f32_e64 s5, 0, v23
	s_delay_alu instid0(VALU_DEP_1) | instskip(NEXT) | instid1(VALU_DEP_3)
	v_cndmask_b32_e64 v6, v6, v7, s5
	v_cmp_lt_f32_e64 s5, 0, v24
	s_delay_alu instid0(VALU_DEP_1) | instskip(SKIP_1) | instid1(VALU_DEP_2)
	v_cndmask_b32_e64 v6, v6, v8, s5
	v_mul_f32_e64 v8, 0x57800000, |v10|
	v_mul_f32_e32 v7, 0x37800000, v6
	s_delay_alu instid0(VALU_DEP_1) | instskip(SKIP_1) | instid1(VALU_DEP_4)
	v_cndmask_b32_e32 v6, v6, v7, vcc_lo
	v_cmp_class_f32_e64 vcc_lo, v5, 0x260
	v_mul_f32_e64 v7, |v9|, v8
	s_delay_alu instid0(VALU_DEP_3) | instskip(NEXT) | instid1(VALU_DEP_1)
	v_cndmask_b32_e32 v5, v6, v5, vcc_lo
	v_div_scale_f32 v6, null, v5, v5, v7
	v_div_scale_f32 v24, vcc_lo, v7, v5, v7
	s_delay_alu instid0(VALU_DEP_2) | instskip(SKIP_2) | instid1(VALU_DEP_1)
	v_rcp_f32_e32 v8, v6
	s_waitcnt_depctr 0xfff
	v_fma_f32 v23, -v6, v8, 1.0
	v_fmac_f32_e32 v8, v23, v8
	s_delay_alu instid0(VALU_DEP_1) | instskip(NEXT) | instid1(VALU_DEP_1)
	v_mul_f32_e32 v23, v24, v8
	v_fma_f32 v26, -v6, v23, v24
	s_delay_alu instid0(VALU_DEP_1) | instskip(SKIP_1) | instid1(VALU_DEP_2)
	v_fmac_f32_e32 v23, v26, v8
	v_mul_f32_e64 v26, 0x57800000, |v9|
	v_fma_f32 v6, -v6, v23, v24
	s_delay_alu instid0(VALU_DEP_1) | instskip(NEXT) | instid1(VALU_DEP_1)
	v_div_fmas_f32 v6, v6, v8, v23
	v_div_fixup_f32 v27, v6, v5, v7
.LBB44_51:                              ;   in Loop: Header=BB44_5 Depth=1
	s_or_b32 exec_lo, exec_lo, s42
	s_delay_alu instid0(SALU_CYCLE_1) | instskip(SKIP_1) | instid1(SALU_CYCLE_1)
	s_and_not1_b32 s5, s39, exec_lo
	s_and_b32 s39, s41, exec_lo
	s_or_b32 s39, s5, s39
.LBB44_52:                              ;   in Loop: Header=BB44_5 Depth=1
	s_or_b32 exec_lo, exec_lo, s40
	s_delay_alu instid0(SALU_CYCLE_1)
	s_and_b32 s39, s39, exec_lo
                                        ; implicit-def: $vgpr5
.LBB44_53:                              ;   in Loop: Header=BB44_5 Depth=1
	s_and_not1_saveexec_b32 s40, s6
	s_cbranch_execz .LBB44_55
; %bb.54:                               ;   in Loop: Header=BB44_5 Depth=1
	v_add_f32_e32 v5, 1.0, v5
	v_mul_f32_e64 v6, 0x4f800000, |v10|
	v_cmp_gt_f32_e64 vcc_lo, 0xf800000, |v10|
	s_or_b32 s39, s39, exec_lo
	s_delay_alu instid0(VALU_DEP_3) | instskip(NEXT) | instid1(VALU_DEP_2)
	v_mul_f32_e32 v5, 0.5, v5
	v_cndmask_b32_e64 v6, |v10|, v6, vcc_lo
	s_delay_alu instid0(VALU_DEP_2) | instskip(SKIP_1) | instid1(VALU_DEP_1)
	v_mul_f32_e32 v7, 0x4f800000, v5
	v_cmp_gt_f32_e64 s5, 0xf800000, v5
	v_cndmask_b32_e64 v5, v5, v7, s5
	s_delay_alu instid0(VALU_DEP_4) | instskip(NEXT) | instid1(VALU_DEP_1)
	v_sqrt_f32_e32 v7, v6
	v_sqrt_f32_e32 v8, v5
	s_waitcnt_depctr 0xfff
	v_add_nc_u32_e32 v23, -1, v7
	v_add_nc_u32_e32 v26, 1, v7
	v_add_nc_u32_e32 v24, -1, v8
	s_delay_alu instid0(VALU_DEP_3) | instskip(SKIP_1) | instid1(VALU_DEP_4)
	v_fma_f32 v27, -v23, v7, v6
	v_add_nc_u32_e32 v28, 1, v8
	v_fma_f32 v30, -v26, v7, v6
	s_delay_alu instid0(VALU_DEP_4) | instskip(NEXT) | instid1(VALU_DEP_4)
	v_fma_f32 v29, -v24, v8, v5
	v_cmp_ge_f32_e64 s6, 0, v27
	s_delay_alu instid0(VALU_DEP_1) | instskip(NEXT) | instid1(VALU_DEP_3)
	v_cndmask_b32_e64 v7, v7, v23, s6
	v_cmp_ge_f32_e64 s6, 0, v29
	v_fma_f32 v23, -v28, v8, v5
	s_delay_alu instid0(VALU_DEP_2) | instskip(SKIP_1) | instid1(VALU_DEP_1)
	v_cndmask_b32_e64 v8, v8, v24, s6
	v_cmp_lt_f32_e64 s6, 0, v30
	v_cndmask_b32_e64 v7, v7, v26, s6
	s_delay_alu instid0(VALU_DEP_4) | instskip(NEXT) | instid1(VALU_DEP_2)
	v_cmp_lt_f32_e64 s6, 0, v23
	v_dual_mov_b32 v26, 1.0 :: v_dual_mul_f32 v23, 0x37800000, v7
	s_delay_alu instid0(VALU_DEP_2) | instskip(NEXT) | instid1(VALU_DEP_1)
	v_cndmask_b32_e64 v8, v8, v28, s6
	v_dual_cndmask_b32 v7, v7, v23 :: v_dual_mul_f32 v24, 0x37800000, v8
	v_cmp_class_f32_e64 vcc_lo, v6, 0x260
	s_delay_alu instid0(VALU_DEP_2) | instskip(NEXT) | instid1(VALU_DEP_3)
	v_cndmask_b32_e64 v8, v8, v24, s5
	v_cndmask_b32_e32 v6, v7, v6, vcc_lo
	v_cmp_class_f32_e64 vcc_lo, v5, 0x260
	s_delay_alu instid0(VALU_DEP_3) | instskip(NEXT) | instid1(VALU_DEP_1)
	v_cndmask_b32_e32 v5, v8, v5, vcc_lo
	v_mul_f32_e32 v27, v6, v5
.LBB44_55:                              ;   in Loop: Header=BB44_5 Depth=1
	s_or_b32 exec_lo, exec_lo, s40
	s_delay_alu instid0(SALU_CYCLE_1)
	s_and_b32 s5, s39, exec_lo
.LBB44_56:                              ;   in Loop: Header=BB44_5 Depth=1
	s_or_b32 exec_lo, exec_lo, s38
	s_delay_alu instid0(SALU_CYCLE_1)
	s_and_b32 s5, s5, exec_lo
                                        ; implicit-def: $vgpr5
.LBB44_57:                              ;   in Loop: Header=BB44_5 Depth=1
	s_and_not1_saveexec_b32 s6, s37
; %bb.58:                               ;   in Loop: Header=BB44_5 Depth=1
	v_mul_f32_e32 v27, 0x4b800000, v5
	v_mul_f32_e64 v26, 0x4b800000, |v9|
	s_or_b32 s5, s5, exec_lo
                                        ; implicit-def: $vgpr25
; %bb.59:                               ;   in Loop: Header=BB44_5 Depth=1
	s_or_b32 exec_lo, exec_lo, s6
	s_xor_b32 s5, s5, -1
                                        ; implicit-def: $vgpr5
	s_delay_alu instid0(SALU_CYCLE_1) | instskip(NEXT) | instid1(SALU_CYCLE_1)
	s_and_saveexec_b32 s6, s5
	s_xor_b32 s6, exec_lo, s6
	s_cbranch_execz .LBB44_65
; %bb.60:                               ;   in Loop: Header=BB44_5 Depth=1
                                        ; implicit-def: $vgpr5
	s_and_saveexec_b32 s5, s4
	s_delay_alu instid0(SALU_CYCLE_1)
	s_xor_b32 s5, exec_lo, s5
	s_cbranch_execz .LBB44_62
; %bb.61:                               ;   in Loop: Header=BB44_5 Depth=1
	v_fma_f32 v5, |v25|, -0.5, 0.5
	v_mul_f32_e32 v6, v25, v25
	v_cmp_gt_f32_e64 vcc_lo, |v25|, 0.5
	s_delay_alu instid0(VALU_DEP_2) | instskip(NEXT) | instid1(VALU_DEP_1)
	v_cndmask_b32_e32 v5, v6, v5, vcc_lo
	v_fmaak_f32 v6, s30, v5, 0x3c5fc5da
	v_sqrt_f32_e32 v7, v5
	s_delay_alu instid0(VALU_DEP_1) | instskip(NEXT) | instid1(VALU_DEP_1)
	v_fmaak_f32 v6, v5, v6, 0x3d034c3c
	v_fmaak_f32 v6, v5, v6, 0x3d3641b1
	s_delay_alu instid0(VALU_DEP_1) | instskip(NEXT) | instid1(VALU_DEP_1)
	v_fmaak_f32 v6, v5, v6, 0x3d999bc8
	v_fmaak_f32 v6, v5, v6, 0x3e2aaaac
	s_delay_alu instid0(VALU_DEP_1) | instskip(NEXT) | instid1(VALU_DEP_1)
	v_mul_f32_e32 v5, v5, v6
	v_fmac_f32_e32 v25, v25, v5
	s_delay_alu instid0(VALU_DEP_1) | instskip(NEXT) | instid1(TRANS32_DEP_1)
	v_sub_f32_e32 v6, 0x3fc90fdb, v25
	v_fmac_f32_e32 v7, v7, v5
                                        ; implicit-def: $vgpr25
	s_delay_alu instid0(VALU_DEP_1) | instskip(NEXT) | instid1(VALU_DEP_1)
	v_add_f32_e32 v5, v7, v7
	v_cndmask_b32_e32 v5, v6, v5, vcc_lo
.LBB44_62:                              ;   in Loop: Header=BB44_5 Depth=1
	s_and_not1_saveexec_b32 s37, s5
	s_cbranch_execz .LBB44_64
; %bb.63:                               ;   in Loop: Header=BB44_5 Depth=1
	v_fma_f32 v5, |v25|, -0.5, 0.5
	v_mul_f32_e32 v6, v25, v25
	v_cmp_gt_f32_e64 vcc_lo, |v25|, 0.5
	v_cmp_lt_f32_e64 s5, 0, v25
	s_delay_alu instid0(VALU_DEP_3) | instskip(NEXT) | instid1(VALU_DEP_1)
	v_cndmask_b32_e32 v5, v6, v5, vcc_lo
	v_fmaak_f32 v6, s30, v5, 0x3c5fc5da
	v_sqrt_f32_e32 v7, v5
	s_delay_alu instid0(VALU_DEP_1) | instskip(NEXT) | instid1(VALU_DEP_1)
	v_fmaak_f32 v6, v5, v6, 0x3d034c3c
	v_fmaak_f32 v6, v5, v6, 0x3d3641b1
	s_delay_alu instid0(VALU_DEP_1) | instskip(NEXT) | instid1(VALU_DEP_1)
	v_fmaak_f32 v6, v5, v6, 0x3d999bc8
	v_fmaak_f32 v6, v5, v6, 0x3e2aaaac
	s_delay_alu instid0(VALU_DEP_1) | instskip(SKIP_3) | instid1(VALU_DEP_1)
	v_mul_f32_e32 v5, v5, v6
	s_waitcnt_depctr 0xfff
	v_fmac_f32_e32 v7, v7, v5
	v_fma_f32 v5, -v25, v5, -v25
	v_dual_add_f32 v6, v7, v7 :: v_dual_sub_f32 v5, 0x3fc90fdb, v5
	s_delay_alu instid0(VALU_DEP_1) | instskip(NEXT) | instid1(VALU_DEP_1)
	v_sub_f32_e32 v7, 0x40490fdb, v6
	v_cndmask_b32_e64 v6, v6, v7, s5
	s_delay_alu instid0(VALU_DEP_1)
	v_cndmask_b32_e32 v5, v5, v6, vcc_lo
.LBB44_64:                              ;   in Loop: Header=BB44_5 Depth=1
	s_or_b32 exec_lo, exec_lo, s37
                                        ; implicit-def: $vgpr27
                                        ; implicit-def: $vgpr26
.LBB44_65:                              ;   in Loop: Header=BB44_5 Depth=1
	s_and_not1_saveexec_b32 s6, s6
	s_cbranch_execz .LBB44_71
; %bb.66:                               ;   in Loop: Header=BB44_5 Depth=1
                                        ; implicit-def: $vgpr5
	s_and_saveexec_b32 s5, s4
	s_delay_alu instid0(SALU_CYCLE_1)
	s_xor_b32 s5, exec_lo, s5
	s_cbranch_execz .LBB44_68
; %bb.67:                               ;   in Loop: Header=BB44_5 Depth=1
	v_max_f32_e64 v5, |v27|, |v27|
	v_max_f32_e32 v6, v26, v26
	v_cmp_gt_f32_e64 vcc_lo, |v27|, v26
	v_cmp_neq_f32_e64 s4, 0, v27
	v_cmp_class_f32_e64 s37, v27, 0x204
	s_delay_alu instid0(VALU_DEP_4) | instskip(SKIP_1) | instid1(VALU_DEP_2)
	v_max_f32_e32 v7, v6, v5
	v_min_f32_e32 v5, v6, v5
	v_frexp_mant_f32_e32 v8, v7
	s_delay_alu instid0(VALU_DEP_1) | instskip(NEXT) | instid1(VALU_DEP_2)
	v_rcp_f32_e32 v6, v8
	v_frexp_mant_f32_e32 v8, v5
	v_frexp_exp_i32_f32_e32 v5, v5
	s_waitcnt_depctr 0xfff
	v_mul_f32_e32 v6, v8, v6
	v_frexp_exp_i32_f32_e32 v7, v7
	s_delay_alu instid0(VALU_DEP_1) | instskip(NEXT) | instid1(VALU_DEP_1)
	v_sub_nc_u32_e32 v5, v5, v7
	v_ldexp_f32 v5, v6, v5
	s_delay_alu instid0(VALU_DEP_1) | instskip(NEXT) | instid1(VALU_DEP_1)
	v_mul_f32_e32 v6, v5, v5
	v_fmaak_f32 v7, s31, v6, 0xbc7a590c
	s_delay_alu instid0(VALU_DEP_1) | instskip(NEXT) | instid1(VALU_DEP_1)
	v_fmaak_f32 v7, v6, v7, 0x3d29fb3f
	v_fmaak_f32 v7, v6, v7, 0xbd97d4d7
	s_delay_alu instid0(VALU_DEP_1) | instskip(NEXT) | instid1(VALU_DEP_1)
	v_fmaak_f32 v7, v6, v7, 0x3dd931b2
	;; [unrolled: 3-line block ×3, first 2 shown]
	v_fmaak_f32 v7, v6, v7, 0xbeaaaa62
	s_delay_alu instid0(VALU_DEP_1) | instskip(NEXT) | instid1(VALU_DEP_1)
	v_mul_f32_e32 v6, v6, v7
	v_fmac_f32_e32 v5, v5, v6
	s_delay_alu instid0(VALU_DEP_1) | instskip(NEXT) | instid1(VALU_DEP_1)
	v_sub_f32_e32 v6, 0x3fc90fdb, v5
	v_cndmask_b32_e32 v5, v5, v6, vcc_lo
	v_cmp_eq_f32_e32 vcc_lo, 0x7f800000, v26
	s_delay_alu instid0(VALU_DEP_2) | instskip(SKIP_2) | instid1(VALU_DEP_2)
	v_cndmask_b32_e64 v5, 0, v5, s4
	s_and_b32 s4, vcc_lo, s37
	v_cmp_o_f32_e32 vcc_lo, v26, v27
                                        ; implicit-def: $vgpr26
	v_cndmask_b32_e64 v5, v5, 0x3f490fdb, s4
	s_delay_alu instid0(VALU_DEP_1) | instskip(NEXT) | instid1(VALU_DEP_1)
	v_cndmask_b32_e32 v5, 0x7fc00000, v5, vcc_lo
	v_bfi_b32 v5, 0x7fffffff, v5, v27
                                        ; implicit-def: $vgpr27
.LBB44_68:                              ;   in Loop: Header=BB44_5 Depth=1
	s_and_not1_saveexec_b32 s37, s5
	s_cbranch_execz .LBB44_70
; %bb.69:                               ;   in Loop: Header=BB44_5 Depth=1
	v_max_f32_e64 v5, |v27|, |v27|
	v_max_f32_e32 v6, v26, v26
	v_cmp_gt_f32_e64 vcc_lo, |v27|, v26
	v_cmp_neq_f32_e64 s5, 0, v27
	v_cmp_eq_f32_e64 s4, 0x7f800000, v26
	v_cmp_class_f32_e64 s38, v27, 0x204
	v_max_f32_e32 v7, v6, v5
	v_min_f32_e32 v5, v6, v5
	s_delay_alu instid0(VALU_DEP_2) | instskip(SKIP_1) | instid1(VALU_DEP_2)
	v_frexp_mant_f32_e32 v8, v7
	v_frexp_exp_i32_f32_e32 v7, v7
	v_rcp_f32_e32 v6, v8
	s_delay_alu instid0(VALU_DEP_3) | instskip(SKIP_1) | instid1(VALU_DEP_2)
	v_frexp_exp_i32_f32_e32 v8, v5
	v_frexp_mant_f32_e32 v5, v5
	v_sub_nc_u32_e32 v7, v8, v7
	s_waitcnt_depctr 0xfff
	v_mul_f32_e32 v5, v5, v6
	s_delay_alu instid0(VALU_DEP_1) | instskip(NEXT) | instid1(VALU_DEP_1)
	v_ldexp_f32 v5, v5, v7
	v_mul_f32_e32 v6, v5, v5
	s_delay_alu instid0(VALU_DEP_1) | instskip(NEXT) | instid1(VALU_DEP_1)
	v_fmaak_f32 v7, s31, v6, 0xbc7a590c
	v_fmaak_f32 v7, v6, v7, 0x3d29fb3f
	s_delay_alu instid0(VALU_DEP_1) | instskip(NEXT) | instid1(VALU_DEP_1)
	v_fmaak_f32 v7, v6, v7, 0xbd97d4d7
	v_fmaak_f32 v7, v6, v7, 0x3dd931b2
	;; [unrolled: 3-line block ×3, first 2 shown]
	s_delay_alu instid0(VALU_DEP_1) | instskip(NEXT) | instid1(VALU_DEP_1)
	v_fmaak_f32 v7, v6, v7, 0xbeaaaa62
	v_mul_f32_e32 v6, v6, v7
	s_delay_alu instid0(VALU_DEP_1) | instskip(NEXT) | instid1(VALU_DEP_1)
	v_fmac_f32_e32 v5, v5, v6
	v_sub_f32_e32 v6, 0x3fc90fdb, v5
	s_delay_alu instid0(VALU_DEP_1) | instskip(SKIP_1) | instid1(VALU_DEP_2)
	v_cndmask_b32_e32 v5, v5, v6, vcc_lo
	v_cmp_lt_f32_e32 vcc_lo, 0, v26
	v_sub_f32_e32 v6, 0x40490fdb, v5
	s_delay_alu instid0(VALU_DEP_1) | instskip(SKIP_2) | instid1(VALU_DEP_2)
	v_cndmask_b32_e32 v5, v5, v6, vcc_lo
	v_cndmask_b32_e32 v6, 0x3f490fdb, v21, vcc_lo
	s_and_b32 vcc_lo, s4, s38
	v_cndmask_b32_e64 v5, 0x40490fdb, v5, s5
	s_delay_alu instid0(VALU_DEP_1) | instskip(SKIP_1) | instid1(VALU_DEP_2)
	v_cndmask_b32_e32 v5, v5, v6, vcc_lo
	v_cmp_o_f32_e64 vcc_lo, v27, -v26
	v_cndmask_b32_e32 v5, 0x7fc00000, v5, vcc_lo
	s_delay_alu instid0(VALU_DEP_1)
	v_bfi_b32 v5, 0x7fffffff, v5, v27
.LBB44_70:                              ;   in Loop: Header=BB44_5 Depth=1
	s_or_b32 exec_lo, exec_lo, s37
.LBB44_71:                              ;   in Loop: Header=BB44_5 Depth=1
	s_delay_alu instid0(SALU_CYCLE_1)
	s_or_b32 exec_lo, exec_lo, s6
	v_cndmask_b32_e64 v6, -v22, v22, s2
.LBB44_72:                              ;   in Loop: Header=BB44_5 Depth=1
	s_and_not1_saveexec_b32 s4, s36
	s_cbranch_execz .LBB44_74
; %bb.73:                               ;   in Loop: Header=BB44_5 Depth=1
	s_waitcnt vmcnt(0) lgkmcnt(0)
	v_dual_mov_b32 v5, s16 :: v_dual_mov_b32 v6, s17
	flat_load_b32 v5, v[5:6] glc dlc
	s_waitcnt vmcnt(0)
	v_xor_b32_e32 v6, 0x80000000, v10
	s_waitcnt lgkmcnt(0)
	v_sub_f32_e32 v5, v5, v9
	s_delay_alu instid0(VALU_DEP_1)
	v_add_f32_e32 v5, 0x3fc90fdb, v5
.LBB44_74:                              ;   in Loop: Header=BB44_5 Depth=1
	s_or_b32 exec_lo, exec_lo, s4
.LBB44_75:                              ;   in Loop: Header=BB44_5 Depth=1
	s_and_not1_saveexec_b32 s4, s35
	s_cbranch_execz .LBB44_77
; %bb.76:                               ;   in Loop: Header=BB44_5 Depth=1
	v_xor_b32_e32 v6, 0x80000000, v10
	s_waitcnt vmcnt(0) lgkmcnt(0)
	v_mov_b32_e32 v5, 0
.LBB44_77:                              ;   in Loop: Header=BB44_5 Depth=1
	s_or_b32 exec_lo, exec_lo, s4
                                        ; implicit-def: $vgpr22
                                        ; implicit-def: $vgpr8
                                        ; implicit-def: $vgpr7
.LBB44_78:                              ;   in Loop: Header=BB44_5 Depth=1
	s_and_not1_saveexec_b32 s6, s34
	s_cbranch_execz .LBB44_88
; %bb.79:                               ;   in Loop: Header=BB44_5 Depth=1
	v_cmp_lt_f32_e64 s4, |v9|, |v10|
                                        ; implicit-def: $vgpr6
                                        ; implicit-def: $vgpr5
	s_mov_b32 s5, exec_lo
	s_delay_alu instid0(VALU_DEP_1) | instskip(NEXT) | instid1(VALU_DEP_1)
	v_cndmask_b32_e64 v23, |v9|, |v10|, s4
	v_cmpx_nlt_f32_e32 0x7effffff, v23
	s_xor_b32 s34, exec_lo, s5
	s_cbranch_execz .LBB44_85
; %bb.80:                               ;   in Loop: Header=BB44_5 Depth=1
	v_cndmask_b32_e64 v24, |v10|, |v9|, s4
	v_cmp_nlt_f32_e32 vcc_lo, 0x5e000000, v23
                                        ; implicit-def: $vgpr6
                                        ; implicit-def: $vgpr5
	s_delay_alu instid0(VALU_DEP_2) | instskip(NEXT) | instid1(VALU_DEP_1)
	v_cmp_ngt_f32_e64 s5, 0x20000000, v24
	s_and_b32 s5, vcc_lo, s5
	s_delay_alu instid0(SALU_CYCLE_1) | instskip(NEXT) | instid1(SALU_CYCLE_1)
	s_and_saveexec_b32 s35, s5
	s_xor_b32 s35, exec_lo, s35
	s_cbranch_execz .LBB44_82
; %bb.81:                               ;   in Loop: Header=BB44_5 Depth=1
	s_waitcnt vmcnt(0) lgkmcnt(0)
	v_frexp_mant_f32_e32 v5, v7
	v_min_f32_e32 v6, v22, v8
	v_frexp_exp_i32_f32_e32 v7, v7
	s_delay_alu instid0(VALU_DEP_3) | instskip(NEXT) | instid1(VALU_DEP_2)
	v_rcp_f32_e32 v5, v5
	v_frexp_mant_f32_e32 v22, v6
	v_mul_f32_e32 v8, v24, v24
	v_frexp_exp_i32_f32_e32 v6, v6
	s_delay_alu instid0(VALU_DEP_1) | instskip(SKIP_2) | instid1(VALU_DEP_1)
	v_sub_nc_u32_e32 v6, v6, v7
	s_waitcnt_depctr 0xfff
	v_dual_mul_f32 v5, v22, v5 :: v_dual_fmac_f32 v8, v23, v23
	v_ldexp_f32 v5, v5, v6
	s_delay_alu instid0(VALU_DEP_2) | instskip(SKIP_1) | instid1(VALU_DEP_1)
	v_cmp_gt_f32_e32 vcc_lo, 0x800000, v8
	v_cndmask_b32_e64 v7, 1.0, 0x4f800000, vcc_lo
	v_dual_mul_f32 v6, v8, v7 :: v_dual_mul_f32 v7, v5, v5
	s_delay_alu instid0(VALU_DEP_1) | instskip(NEXT) | instid1(VALU_DEP_1)
	v_fmaak_f32 v8, s31, v7, 0xbc7a590c
	v_fmaak_f32 v8, v7, v8, 0x3d29fb3f
	s_delay_alu instid0(VALU_DEP_1) | instskip(NEXT) | instid1(VALU_DEP_1)
	v_fmaak_f32 v8, v7, v8, 0xbd97d4d7
	v_fmaak_f32 v8, v7, v8, 0x3dd931b2
	;; [unrolled: 3-line block ×3, first 2 shown]
	s_delay_alu instid0(VALU_DEP_1) | instskip(NEXT) | instid1(VALU_DEP_1)
	v_fmaak_f32 v8, v7, v8, 0xbeaaaa62
	v_mul_f32_e32 v7, v7, v8
	v_log_f32_e32 v6, v6
                                        ; implicit-def: $vgpr8
	s_delay_alu instid0(VALU_DEP_1) | instskip(SKIP_3) | instid1(VALU_DEP_2)
	v_fmac_f32_e32 v5, v5, v7
                                        ; implicit-def: $vgpr7
	s_waitcnt_depctr 0xfff
	v_mul_f32_e32 v22, 0x3f317217, v6
	v_cmp_gt_f32_e64 s5, 0x7f800000, |v6|
	v_fma_f32 v23, 0x3f317217, v6, -v22
	s_delay_alu instid0(VALU_DEP_1) | instskip(NEXT) | instid1(VALU_DEP_1)
	v_fmac_f32_e32 v23, 0x3377d1cf, v6
	v_add_f32_e32 v22, v22, v23
	s_delay_alu instid0(VALU_DEP_1) | instskip(SKIP_1) | instid1(VALU_DEP_1)
	v_cndmask_b32_e64 v6, v6, v22, s5
	v_cndmask_b32_e64 v22, 0, 0x41b17218, vcc_lo
	v_sub_f32_e32 v6, v6, v22
                                        ; implicit-def: $vgpr22
	s_delay_alu instid0(VALU_DEP_1)
	v_mul_f32_e32 v6, 0.5, v6
.LBB44_82:                              ;   in Loop: Header=BB44_5 Depth=1
	s_and_not1_saveexec_b32 s5, s35
	s_cbranch_execz .LBB44_84
; %bb.83:                               ;   in Loop: Header=BB44_5 Depth=1
	s_waitcnt vmcnt(0) lgkmcnt(0)
	v_cvt_f64_f32_e32 v[5:6], v7
	v_cmp_neq_f32_e32 vcc_lo, 0x7f800000, v7
	v_min_f32_e32 v8, v22, v8
	v_frexp_exp_i32_f32_e32 v22, v7
	s_delay_alu instid0(VALU_DEP_2) | instskip(SKIP_1) | instid1(VALU_DEP_2)
	v_frexp_exp_i32_f32_e32 v24, v8
	v_frexp_mant_f32_e32 v8, v8
	v_sub_nc_u32_e32 v22, v24, v22
	v_frexp_exp_i32_f64_e32 v5, v[5:6]
	s_delay_alu instid0(VALU_DEP_1) | instskip(NEXT) | instid1(VALU_DEP_1)
	v_sub_nc_u32_e32 v6, 0, v5
	v_ldexp_f32 v23, |v10|, v6
	v_ldexp_f32 v6, |v9|, v6
	s_delay_alu instid0(VALU_DEP_2) | instskip(NEXT) | instid1(VALU_DEP_1)
	v_mul_f32_e32 v23, v23, v23
	v_fmac_f32_e32 v23, v6, v6
	v_frexp_mant_f32_e32 v6, v7
	s_delay_alu instid0(VALU_DEP_2) | instskip(NEXT) | instid1(VALU_DEP_1)
	v_sqrt_f32_e32 v23, v23
	v_rcp_f32_e32 v6, v6
	s_waitcnt_depctr 0xfff
	v_ldexp_f32 v5, v23, v5
	s_delay_alu instid0(VALU_DEP_1) | instskip(NEXT) | instid1(VALU_DEP_1)
	v_dual_mul_f32 v6, v8, v6 :: v_dual_cndmask_b32 v7, 0x7f800000, v5
	v_ldexp_f32 v5, v6, v22
	s_delay_alu instid0(VALU_DEP_2) | instskip(NEXT) | instid1(VALU_DEP_2)
	v_cmp_gt_f32_e32 vcc_lo, 0x800000, v7
	v_mul_f32_e32 v8, v5, v5
	v_cndmask_b32_e64 v6, 1.0, 0x4f800000, vcc_lo
	s_delay_alu instid0(VALU_DEP_1) | instskip(NEXT) | instid1(VALU_DEP_1)
	v_dual_mul_f32 v6, v7, v6 :: v_dual_fmaak_f32 v7, s31, v8, 0xbc7a590c
	v_log_f32_e32 v6, v6
	s_waitcnt_depctr 0xfff
	v_mul_f32_e32 v22, 0x3f317217, v6
	s_delay_alu instid0(VALU_DEP_1) | instskip(NEXT) | instid1(VALU_DEP_1)
	v_fma_f32 v23, 0x3f317217, v6, -v22
	v_fmac_f32_e32 v23, 0x3377d1cf, v6
	s_delay_alu instid0(VALU_DEP_1) | instskip(SKIP_2) | instid1(VALU_DEP_3)
	v_add_f32_e32 v22, v22, v23
	v_cndmask_b32_e64 v23, 0, 0x41b17218, vcc_lo
	v_cmp_gt_f32_e64 vcc_lo, 0x7f800000, |v6|
	v_dual_fmaak_f32 v7, v8, v7, 0x3d29fb3f :: v_dual_cndmask_b32 v6, v6, v22
	s_delay_alu instid0(VALU_DEP_1) | instskip(NEXT) | instid1(VALU_DEP_2)
	v_fmaak_f32 v7, v8, v7, 0xbd97d4d7
	v_sub_f32_e32 v6, v6, v23
	s_delay_alu instid0(VALU_DEP_2) | instskip(NEXT) | instid1(VALU_DEP_1)
	v_fmaak_f32 v7, v8, v7, 0x3dd931b2
	v_fmaak_f32 v7, v8, v7, 0xbe1160e6
	s_delay_alu instid0(VALU_DEP_1) | instskip(NEXT) | instid1(VALU_DEP_1)
	v_fmaak_f32 v7, v8, v7, 0x3e4cb8bf
	v_fmaak_f32 v7, v8, v7, 0xbeaaaa62
	s_delay_alu instid0(VALU_DEP_1) | instskip(NEXT) | instid1(VALU_DEP_1)
	v_mul_f32_e32 v7, v8, v7
	v_fmac_f32_e32 v5, v5, v7
.LBB44_84:                              ;   in Loop: Header=BB44_5 Depth=1
	s_or_b32 exec_lo, exec_lo, s5
                                        ; implicit-def: $vgpr22
                                        ; implicit-def: $vgpr8
                                        ; implicit-def: $vgpr7
.LBB44_85:                              ;   in Loop: Header=BB44_5 Depth=1
	s_and_not1_saveexec_b32 s34, s34
	s_cbranch_execz .LBB44_87
; %bb.86:                               ;   in Loop: Header=BB44_5 Depth=1
	s_waitcnt vmcnt(0) lgkmcnt(0)
	v_div_scale_f32 v5, null, 0x402df854, 0x402df854, v9
	v_div_scale_f32 v6, null, 0x402df854, 0x402df854, v10
	v_div_scale_f32 v27, vcc_lo, v9, 0x402df854, v9
	s_delay_alu instid0(VALU_DEP_3) | instskip(NEXT) | instid1(VALU_DEP_2)
	v_rcp_f32_e32 v23, v5
	v_rcp_f32_e32 v24, v6
	v_min_f32_e32 v8, v22, v8
	s_waitcnt_depctr 0xfff
	v_fma_f32 v25, -v5, v23, 1.0
	v_fma_f32 v26, -v6, v24, 1.0
	s_delay_alu instid0(VALU_DEP_1) | instskip(SKIP_1) | instid1(VALU_DEP_2)
	v_dual_fmac_f32 v23, v25, v23 :: v_dual_fmac_f32 v24, v26, v24
	v_div_scale_f32 v25, s5, v10, 0x402df854, v10
	v_mul_f32_e32 v26, v27, v23
	s_delay_alu instid0(VALU_DEP_2) | instskip(NEXT) | instid1(VALU_DEP_2)
	v_mul_f32_e32 v28, v25, v24
	v_fma_f32 v29, -v5, v26, v27
	s_delay_alu instid0(VALU_DEP_2) | instskip(NEXT) | instid1(VALU_DEP_2)
	v_fma_f32 v30, -v6, v28, v25
	v_fmac_f32_e32 v26, v29, v23
	s_delay_alu instid0(VALU_DEP_2) | instskip(NEXT) | instid1(VALU_DEP_2)
	v_fmac_f32_e32 v28, v30, v24
	v_fma_f32 v5, -v5, v26, v27
	s_delay_alu instid0(VALU_DEP_2) | instskip(NEXT) | instid1(VALU_DEP_2)
	v_fma_f32 v6, -v6, v28, v25
	v_div_fmas_f32 v5, v5, v23, v26
	s_mov_b32 vcc_lo, s5
	s_delay_alu instid0(VALU_DEP_2) | instskip(NEXT) | instid1(VALU_DEP_2)
	v_div_fmas_f32 v6, v6, v24, v28
	v_div_fixup_f32 v23, v5, 0x402df854, v9
	s_delay_alu instid0(VALU_DEP_2) | instskip(NEXT) | instid1(VALU_DEP_1)
	v_div_fixup_f32 v24, v6, 0x402df854, v10
	v_max_f32_e64 v25, |v23|, |v24|
	s_delay_alu instid0(VALU_DEP_1) | instskip(SKIP_1) | instid1(VALU_DEP_2)
	v_cvt_f64_f32_e32 v[5:6], v25
	v_cmp_neq_f32_e32 vcc_lo, 0x7f800000, v25
	v_frexp_exp_i32_f64_e32 v5, v[5:6]
	s_delay_alu instid0(VALU_DEP_1) | instskip(NEXT) | instid1(VALU_DEP_1)
	v_sub_nc_u32_e32 v6, 0, v5
	v_ldexp_f32 v24, |v24|, v6
	v_ldexp_f32 v6, |v23|, v6
	s_delay_alu instid0(VALU_DEP_2) | instskip(NEXT) | instid1(VALU_DEP_1)
	v_mul_f32_e32 v23, v24, v24
	v_fmac_f32_e32 v23, v6, v6
	s_delay_alu instid0(VALU_DEP_1) | instskip(SKIP_2) | instid1(VALU_DEP_2)
	v_sqrt_f32_e32 v6, v23
	v_frexp_mant_f32_e32 v23, v7
	v_frexp_exp_i32_f32_e32 v7, v7
	v_rcp_f32_e32 v22, v23
	s_waitcnt_depctr 0xfff
	v_ldexp_f32 v5, v6, v5
	v_frexp_exp_i32_f32_e32 v6, v8
	v_frexp_mant_f32_e32 v8, v8
	s_delay_alu instid0(VALU_DEP_3) | instskip(NEXT) | instid1(VALU_DEP_3)
	v_cndmask_b32_e32 v23, 0x7f800000, v5, vcc_lo
	v_sub_nc_u32_e32 v5, v6, v7
	s_delay_alu instid0(VALU_DEP_3) | instskip(NEXT) | instid1(VALU_DEP_3)
	v_mul_f32_e32 v6, v8, v22
	v_cmp_gt_f32_e32 vcc_lo, 0x800000, v23
	s_delay_alu instid0(VALU_DEP_2) | instskip(SKIP_1) | instid1(VALU_DEP_1)
	v_ldexp_f32 v5, v6, v5
	v_cndmask_b32_e64 v7, 1.0, 0x4f800000, vcc_lo
	v_dual_mul_f32 v6, v23, v7 :: v_dual_mul_f32 v7, v5, v5
	s_delay_alu instid0(VALU_DEP_1) | instskip(NEXT) | instid1(VALU_DEP_1)
	v_log_f32_e32 v6, v6
	v_fmaak_f32 v8, s31, v7, 0xbc7a590c
	s_delay_alu instid0(VALU_DEP_1) | instskip(SKIP_3) | instid1(VALU_DEP_2)
	v_fmaak_f32 v8, v7, v8, 0x3d29fb3f
	s_waitcnt_depctr 0xfff
	v_mul_f32_e32 v22, 0x3f317217, v6
	v_fmaak_f32 v8, v7, v8, 0xbd97d4d7
	v_fma_f32 v23, 0x3f317217, v6, -v22
	s_delay_alu instid0(VALU_DEP_2) | instskip(NEXT) | instid1(VALU_DEP_2)
	v_fmaak_f32 v8, v7, v8, 0x3dd931b2
	v_fmac_f32_e32 v23, 0x3377d1cf, v6
	s_delay_alu instid0(VALU_DEP_2) | instskip(NEXT) | instid1(VALU_DEP_2)
	v_fmaak_f32 v8, v7, v8, 0xbe1160e6
	v_add_f32_e32 v22, v22, v23
	s_delay_alu instid0(VALU_DEP_2) | instskip(SKIP_2) | instid1(VALU_DEP_3)
	v_fmaak_f32 v8, v7, v8, 0x3e4cb8bf
	v_cndmask_b32_e64 v23, 0, 0x41b17218, vcc_lo
	v_cmp_gt_f32_e64 vcc_lo, 0x7f800000, |v6|
	v_fmaak_f32 v8, v7, v8, 0xbeaaaa62
	s_delay_alu instid0(VALU_DEP_1) | instskip(NEXT) | instid1(VALU_DEP_1)
	v_dual_cndmask_b32 v6, v6, v22 :: v_dual_mul_f32 v7, v7, v8
	v_sub_f32_e32 v6, v6, v23
	s_delay_alu instid0(VALU_DEP_1)
	v_dual_fmac_f32 v5, v5, v7 :: v_dual_add_f32 v6, 1.0, v6
.LBB44_87:                              ;   in Loop: Header=BB44_5 Depth=1
	s_or_b32 exec_lo, exec_lo, s34
	s_waitcnt vmcnt(0) lgkmcnt(0)
	s_delay_alu instid0(VALU_DEP_1)
	v_sub_f32_e32 v7, 0x3fc90fdb, v5
	v_cmp_gt_f32_e32 vcc_lo, 0, v9
	v_cndmask_b32_e64 v8, 0, 0x40490fdb, s3
	v_cmp_class_f32_e64 s3, v9, 0x204
	v_add_f32_e32 v6, 0x3f317218, v6
	v_cndmask_b32_e64 v5, v5, v7, s4
	v_cmp_class_f32_e64 s4, v10, 0x204
	s_delay_alu instid0(VALU_DEP_3) | instskip(NEXT) | instid1(VALU_DEP_3)
	v_cndmask_b32_e64 v6, -v6, v6, s2
	v_sub_f32_e32 v7, 0x40490fdb, v5
	s_delay_alu instid0(VALU_DEP_1) | instskip(SKIP_2) | instid1(VALU_DEP_3)
	v_cndmask_b32_e32 v5, v5, v7, vcc_lo
	v_cndmask_b32_e32 v7, 0x3f490fdb, v21, vcc_lo
	v_cmp_eq_f32_e32 vcc_lo, 0, v10
	v_cndmask_b32_e32 v5, v5, v8, vcc_lo
	s_and_b32 vcc_lo, s3, s4
	s_delay_alu instid0(VALU_DEP_1) | instskip(SKIP_1) | instid1(VALU_DEP_2)
	v_cndmask_b32_e32 v5, v5, v7, vcc_lo
	v_cmp_o_f32_e32 vcc_lo, v9, v10
	v_cndmask_b32_e64 v5, 0x7fc00000, |v5|, vcc_lo
.LBB44_88:                              ;   in Loop: Header=BB44_5 Depth=1
	s_or_b32 exec_lo, exec_lo, s6
.LBB44_89:                              ;   in Loop: Header=BB44_5 Depth=1
	s_and_not1_saveexec_b32 s2, s33
	s_cbranch_execz .LBB44_103
; %bb.90:                               ;   in Loop: Header=BB44_5 Depth=1
	v_cmp_neq_f32_e64 s3, 0x7f800000, |v9|
                                        ; implicit-def: $vgpr6
	s_delay_alu instid0(VALU_DEP_1) | instskip(NEXT) | instid1(SALU_CYCLE_1)
	s_and_saveexec_b32 s4, s3
	s_xor_b32 s3, exec_lo, s4
	s_cbranch_execz .LBB44_100
; %bb.91:                               ;   in Loop: Header=BB44_5 Depth=1
	v_cmp_neq_f32_e64 s4, 0x7f800000, |v10|
                                        ; implicit-def: $vgpr6
	s_delay_alu instid0(VALU_DEP_1) | instskip(NEXT) | instid1(SALU_CYCLE_1)
	s_and_saveexec_b32 s5, s4
	s_xor_b32 s4, exec_lo, s5
	s_cbranch_execz .LBB44_97
; %bb.92:                               ;   in Loop: Header=BB44_5 Depth=1
	s_mov_b32 s5, exec_lo
                                        ; implicit-def: $vgpr6
	v_cmpx_neq_f32_e32 0, v9
	s_xor_b32 s5, exec_lo, s5
	s_cbranch_execz .LBB44_94
; %bb.93:                               ;   in Loop: Header=BB44_5 Depth=1
	s_waitcnt vmcnt(0) lgkmcnt(0)
	v_add_f32_e32 v5, 0, v10
	s_delay_alu instid0(VALU_DEP_1)
	v_add_f32_e32 v6, v9, v5
.LBB44_94:                              ;   in Loop: Header=BB44_5 Depth=1
	s_or_saveexec_b32 s5, s5
	s_waitcnt vmcnt(0) lgkmcnt(0)
	s_delay_alu instid0(VALU_DEP_1)
	v_mov_b32_e32 v5, v6
	s_xor_b32 exec_lo, exec_lo, s5
	s_cbranch_execz .LBB44_96
; %bb.95:                               ;   in Loop: Header=BB44_5 Depth=1
	v_dual_mov_b32 v5, s16 :: v_dual_mov_b32 v6, s17
	flat_load_b32 v5, v[5:6] glc dlc
	s_waitcnt vmcnt(0) lgkmcnt(0)
	v_dual_add_f32 v6, v10, v10 :: v_dual_add_f32 v5, 0x3fc90fdb, v5
.LBB44_96:                              ;   in Loop: Header=BB44_5 Depth=1
	s_or_b32 exec_lo, exec_lo, s5
.LBB44_97:                              ;   in Loop: Header=BB44_5 Depth=1
	s_and_not1_saveexec_b32 s4, s4
	s_cbranch_execz .LBB44_99
; %bb.98:                               ;   in Loop: Header=BB44_5 Depth=1
	s_waitcnt vmcnt(0) lgkmcnt(0)
	v_add_f32_e32 v5, v9, v9
	v_xor_b32_e32 v6, 0x80000000, v10
.LBB44_99:                              ;   in Loop: Header=BB44_5 Depth=1
	s_or_b32 exec_lo, exec_lo, s4
.LBB44_100:                             ;   in Loop: Header=BB44_5 Depth=1
	s_and_not1_saveexec_b32 s3, s3
	s_cbranch_execz .LBB44_102
; %bb.101:                              ;   in Loop: Header=BB44_5 Depth=1
	s_waitcnt vmcnt(0) lgkmcnt(0)
	v_dual_add_f32 v5, v10, v10 :: v_dual_mov_b32 v6, 0xff800000
.LBB44_102:                             ;   in Loop: Header=BB44_5 Depth=1
	s_or_b32 exec_lo, exec_lo, s3
.LBB44_103:                             ;   in Loop: Header=BB44_5 Depth=1
	s_delay_alu instid0(SALU_CYCLE_1) | instskip(SKIP_3) | instid1(VALU_DEP_2)
	s_or_b32 exec_lo, exec_lo, s2
	v_cmp_o_f32_e32 vcc_lo, v11, v11
	v_cmp_o_f32_e64 s2, v12, v12
	v_dual_mov_b32 v7, s16 :: v_dual_mov_b32 v8, s17
	s_and_b32 s2, vcc_lo, s2
	flat_store_b32 v[7:8], v19 dlc
	s_waitcnt_vscnt null, 0x0
	s_and_saveexec_b32 s3, s2
	s_delay_alu instid0(SALU_CYCLE_1)
	s_xor_b32 s33, exec_lo, s3
	s_cbranch_execz .LBB44_187
; %bb.104:                              ;   in Loop: Header=BB44_5 Depth=1
	v_max_f32_e64 v10, |v12|, |v12|
	v_max_f32_e64 v22, |v11|, |v11|
	v_cmp_gt_i32_e64 s3, 0, v11
	v_cmp_lt_i32_e64 s4, -1, v11
	v_cmp_gt_i32_e64 s2, 0, v12
	s_mov_b32 s5, exec_lo
	v_max_f32_e32 v9, v22, v10
	s_delay_alu instid0(VALU_DEP_1)
	v_cmpx_nlt_f32_e32 0x4b000000, v9
	s_xor_b32 s34, exec_lo, s5
	s_cbranch_execz .LBB44_176
; %bb.105:                              ;   in Loop: Header=BB44_5 Depth=1
	v_cmp_neq_f32_e32 vcc_lo, 1.0, v11
	v_cmp_neq_f32_e64 s5, 0, v12
	s_delay_alu instid0(VALU_DEP_1) | instskip(NEXT) | instid1(SALU_CYCLE_1)
	s_or_b32 s5, vcc_lo, s5
	s_and_saveexec_b32 s6, s5
	s_delay_alu instid0(SALU_CYCLE_1)
	s_xor_b32 s35, exec_lo, s6
	s_cbranch_execz .LBB44_173
; %bb.106:                              ;   in Loop: Header=BB44_5 Depth=1
	v_dual_mov_b32 v7, s18 :: v_dual_mov_b32 v8, s19
	v_cmp_ngt_f32_e64 s5, 0x395db3d7, |v11|
	v_cmp_ngt_f32_e64 s6, 0x395db3d7, |v12|
	flat_store_b32 v[7:8], v20 dlc
	s_waitcnt_vscnt null, 0x0
	flat_load_b32 v7, v[7:8] glc dlc
	s_waitcnt vmcnt(0)
	s_or_b32 s5, s5, s6
	s_waitcnt lgkmcnt(0)
	v_add_f32_e32 v9, 1.0, v7
	v_dual_mov_b32 v7, s20 :: v_dual_mov_b32 v8, s21
	flat_store_b32 v[7:8], v9 dlc
	s_waitcnt_vscnt null, 0x0
	flat_load_b32 v7, v[7:8] glc dlc
	s_waitcnt vmcnt(0)
	s_and_saveexec_b32 s6, s5
	s_delay_alu instid0(SALU_CYCLE_1)
	s_xor_b32 s36, exec_lo, s6
	s_cbranch_execz .LBB44_170
; %bb.107:                              ;   in Loop: Header=BB44_5 Depth=1
	v_add_f32_e64 v9, |v11|, 1.0
	v_add_f32_e64 v8, |v11|, -1.0
	s_mov_b32 s5, exec_lo
	s_waitcnt lgkmcnt(0)
	s_delay_alu instid0(VALU_DEP_2) | instskip(NEXT) | instid1(VALU_DEP_2)
	v_max_f32_e64 v7, v10, |v9|
	v_max_f32_e64 v10, v10, |v8|
	s_delay_alu instid0(VALU_DEP_2) | instskip(NEXT) | instid1(VALU_DEP_2)
	v_cvt_f64_f32_e32 v[22:23], v7
	v_cvt_f64_f32_e32 v[24:25], v10
	v_cmp_neq_f32_e32 vcc_lo, 0x7f800000, v7
	s_delay_alu instid0(VALU_DEP_3) | instskip(NEXT) | instid1(VALU_DEP_3)
	v_frexp_exp_i32_f64_e32 v22, v[22:23]
	v_frexp_exp_i32_f64_e32 v23, v[24:25]
	s_delay_alu instid0(VALU_DEP_2) | instskip(NEXT) | instid1(VALU_DEP_2)
	v_sub_nc_u32_e32 v24, 0, v22
	v_sub_nc_u32_e32 v25, 0, v23
	s_delay_alu instid0(VALU_DEP_2) | instskip(NEXT) | instid1(VALU_DEP_2)
	v_ldexp_f32 v26, |v9|, v24
	v_ldexp_f32 v27, |v8|, v25
	;; [unrolled: 1-line block ×4, first 2 shown]
	s_delay_alu instid0(VALU_DEP_3) | instskip(NEXT) | instid1(VALU_DEP_1)
	v_dual_mul_f32 v26, v26, v26 :: v_dual_mul_f32 v27, v27, v27
	v_dual_fmac_f32 v26, v24, v24 :: v_dual_fmac_f32 v27, v25, v25
	s_delay_alu instid0(VALU_DEP_1) | instskip(NEXT) | instid1(VALU_DEP_1)
	v_sqrt_f32_e32 v24, v26
	v_sqrt_f32_e32 v25, v27
	s_waitcnt_depctr 0xfff
	v_ldexp_f32 v22, v24, v22
	v_ldexp_f32 v23, v25, v23
	s_delay_alu instid0(VALU_DEP_2) | instskip(SKIP_1) | instid1(VALU_DEP_3)
	v_cndmask_b32_e32 v24, 0x7f800000, v22, vcc_lo
	v_cmp_neq_f32_e32 vcc_lo, 0x7f800000, v10
                                        ; implicit-def: $vgpr22
	v_cndmask_b32_e32 v10, 0x7f800000, v23, vcc_lo
	s_delay_alu instid0(VALU_DEP_1) | instskip(NEXT) | instid1(VALU_DEP_1)
	v_add_f32_e32 v7, v24, v10
	v_mul_f32_e32 v7, 0.5, v7
	s_delay_alu instid0(VALU_DEP_1) | instskip(SKIP_1) | instid1(VALU_DEP_1)
	v_cmp_ngt_f32_e32 vcc_lo, 1.0, v7
	v_cndmask_b32_e32 v7, 1.0, v7, vcc_lo
	v_cmpx_ngt_f32_e32 0x41200000, v7
	s_xor_b32 s6, exec_lo, s5
	s_cbranch_execz .LBB44_109
; %bb.108:                              ;   in Loop: Header=BB44_5 Depth=1
	v_fma_f32 v22, v7, v7, -1.0
	s_delay_alu instid0(VALU_DEP_1) | instskip(SKIP_1) | instid1(VALU_DEP_2)
	v_mul_f32_e32 v23, 0x4f800000, v22
	v_cmp_gt_f32_e32 vcc_lo, 0xf800000, v22
	v_cndmask_b32_e32 v22, v22, v23, vcc_lo
	s_delay_alu instid0(VALU_DEP_1) | instskip(SKIP_3) | instid1(VALU_DEP_2)
	v_sqrt_f32_e32 v23, v22
	s_waitcnt_depctr 0xfff
	v_add_nc_u32_e32 v25, -1, v23
	v_add_nc_u32_e32 v26, 1, v23
	v_fma_f32 v27, -v25, v23, v22
	s_delay_alu instid0(VALU_DEP_2) | instskip(NEXT) | instid1(VALU_DEP_2)
	v_fma_f32 v28, -v26, v23, v22
	v_cmp_ge_f32_e64 s5, 0, v27
	s_delay_alu instid0(VALU_DEP_1) | instskip(NEXT) | instid1(VALU_DEP_3)
	v_cndmask_b32_e64 v23, v23, v25, s5
	v_cmp_lt_f32_e64 s5, 0, v28
	s_delay_alu instid0(VALU_DEP_1) | instskip(NEXT) | instid1(VALU_DEP_1)
	v_cndmask_b32_e64 v23, v23, v26, s5
	v_mul_f32_e32 v25, 0x37800000, v23
	s_delay_alu instid0(VALU_DEP_1) | instskip(SKIP_1) | instid1(VALU_DEP_2)
	v_cndmask_b32_e32 v23, v23, v25, vcc_lo
	v_cmp_class_f32_e64 vcc_lo, v22, 0x260
	v_cndmask_b32_e32 v22, v23, v22, vcc_lo
	s_delay_alu instid0(VALU_DEP_1) | instskip(NEXT) | instid1(VALU_DEP_1)
	v_add_f32_e32 v22, v7, v22
	v_cmp_gt_f32_e32 vcc_lo, 0x800000, v22
	s_delay_alu instid0(VALU_DEP_4) | instskip(NEXT) | instid1(VALU_DEP_1)
	v_cndmask_b32_e64 v23, 1.0, 0x4f800000, vcc_lo
	v_mul_f32_e32 v22, v22, v23
	s_delay_alu instid0(VALU_DEP_1) | instskip(SKIP_3) | instid1(VALU_DEP_2)
	v_log_f32_e32 v22, v22
	s_waitcnt_depctr 0xfff
	v_mul_f32_e32 v23, 0x3f317217, v22
	v_cmp_gt_f32_e64 s5, 0x7f800000, |v22|
	v_fma_f32 v25, 0x3f317217, v22, -v23
	s_delay_alu instid0(VALU_DEP_1) | instskip(NEXT) | instid1(VALU_DEP_1)
	v_fmac_f32_e32 v25, 0x3377d1cf, v22
	v_add_f32_e32 v23, v23, v25
	s_delay_alu instid0(VALU_DEP_1) | instskip(SKIP_1) | instid1(VALU_DEP_1)
	v_cndmask_b32_e64 v22, v22, v23, s5
	v_cndmask_b32_e64 v23, 0, 0x41b17218, vcc_lo
	v_sub_f32_e32 v22, v22, v23
.LBB44_109:                             ;   in Loop: Header=BB44_5 Depth=1
	s_or_saveexec_b32 s6, s6
	v_and_b32_e32 v23, 0x7fffffff, v12
	s_xor_b32 exec_lo, exec_lo, s6
	s_cbranch_execz .LBB44_131
; %bb.110:                              ;   in Loop: Header=BB44_5 Depth=1
	v_cmp_neq_f32_e64 s5, |v11|, 1.0
	v_cmp_ngt_f32_e64 s37, 0x25000000, |v12|
                                        ; implicit-def: $vgpr22
	s_delay_alu instid0(VALU_DEP_1) | instskip(NEXT) | instid1(SALU_CYCLE_1)
	s_or_b32 s5, s5, s37
	s_and_saveexec_b32 s37, s5
	s_delay_alu instid0(SALU_CYCLE_1)
	s_xor_b32 s37, exec_lo, s37
	s_cbranch_execz .LBB44_128
; %bb.111:                              ;   in Loop: Header=BB44_5 Depth=1
	v_mul_f32_e64 v22, 0x34000000, |v8|
	s_delay_alu instid0(VALU_DEP_1) | instskip(NEXT) | instid1(VALU_DEP_1)
	v_cmp_le_f32_e64 s5, v22, |v12|
                                        ; implicit-def: $vgpr22
	s_and_saveexec_b32 s38, s5
	s_delay_alu instid0(SALU_CYCLE_1)
	s_xor_b32 s38, exec_lo, s38
	s_cbranch_execz .LBB44_121
; %bb.112:                              ;   in Loop: Header=BB44_5 Depth=1
	v_mov_b32_e32 v22, v23
	s_mov_b32 s5, exec_lo
	v_cmpx_neq_f32_e32 0, v9
	s_cbranch_execz .LBB44_114
; %bb.113:                              ;   in Loop: Header=BB44_5 Depth=1
	v_mul_f32_e32 v22, v12, v12
	v_add_f32_e32 v25, v9, v24
	s_delay_alu instid0(VALU_DEP_1) | instskip(NEXT) | instid1(VALU_DEP_1)
	v_div_scale_f32 v26, null, v25, v25, v22
	v_rcp_f32_e32 v27, v26
	s_waitcnt_depctr 0xfff
	v_fma_f32 v28, -v26, v27, 1.0
	s_delay_alu instid0(VALU_DEP_1) | instskip(SKIP_1) | instid1(VALU_DEP_1)
	v_fmac_f32_e32 v27, v28, v27
	v_div_scale_f32 v28, vcc_lo, v22, v25, v22
	v_mul_f32_e32 v29, v28, v27
	s_delay_alu instid0(VALU_DEP_1) | instskip(NEXT) | instid1(VALU_DEP_1)
	v_fma_f32 v30, -v26, v29, v28
	v_fmac_f32_e32 v29, v30, v27
	s_delay_alu instid0(VALU_DEP_1) | instskip(NEXT) | instid1(VALU_DEP_1)
	v_fma_f32 v26, -v26, v29, v28
	v_div_fmas_f32 v26, v26, v27, v29
	s_delay_alu instid0(VALU_DEP_1)
	v_div_fixup_f32 v22, v26, v25, v22
.LBB44_114:                             ;   in Loop: Header=BB44_5 Depth=1
	s_or_b32 exec_lo, exec_lo, s5
	v_sub_f32_e64 v26, 1.0, |v11|
	s_mov_b32 s5, exec_lo
                                        ; implicit-def: $vgpr25
	s_delay_alu instid0(VALU_DEP_1)
	v_cmpx_ngt_f32_e32 0, v26
	s_xor_b32 s5, exec_lo, s5
	s_cbranch_execz .LBB44_118
; %bb.115:                              ;   in Loop: Header=BB44_5 Depth=1
	v_mov_b32_e32 v25, v23
	s_mov_b32 s39, exec_lo
	v_cmpx_neq_f32_e32 0, v26
	s_cbranch_execz .LBB44_117
; %bb.116:                              ;   in Loop: Header=BB44_5 Depth=1
	v_dual_mul_f32 v25, v12, v12 :: v_dual_add_f32 v26, v26, v10
	s_delay_alu instid0(VALU_DEP_1) | instskip(NEXT) | instid1(VALU_DEP_1)
	v_div_scale_f32 v27, null, v26, v26, v25
	v_rcp_f32_e32 v28, v27
	s_waitcnt_depctr 0xfff
	v_fma_f32 v29, -v27, v28, 1.0
	s_delay_alu instid0(VALU_DEP_1) | instskip(SKIP_1) | instid1(VALU_DEP_1)
	v_fmac_f32_e32 v28, v29, v28
	v_div_scale_f32 v29, vcc_lo, v25, v26, v25
	v_mul_f32_e32 v30, v29, v28
	s_delay_alu instid0(VALU_DEP_1) | instskip(NEXT) | instid1(VALU_DEP_1)
	v_fma_f32 v31, -v27, v30, v29
	v_fmac_f32_e32 v30, v31, v28
	s_delay_alu instid0(VALU_DEP_1) | instskip(NEXT) | instid1(VALU_DEP_1)
	v_fma_f32 v27, -v27, v30, v29
	v_div_fmas_f32 v27, v27, v28, v30
	s_delay_alu instid0(VALU_DEP_1)
	v_div_fixup_f32 v25, v27, v26, v25
.LBB44_117:                             ;   in Loop: Header=BB44_5 Depth=1
	s_or_b32 exec_lo, exec_lo, s39
                                        ; implicit-def: $vgpr26
.LBB44_118:                             ;   in Loop: Header=BB44_5 Depth=1
	s_and_not1_saveexec_b32 s5, s5
; %bb.119:                              ;   in Loop: Header=BB44_5 Depth=1
	v_sub_f32_e32 v25, v10, v26
; %bb.120:                              ;   in Loop: Header=BB44_5 Depth=1
	s_or_b32 exec_lo, exec_lo, s5
	s_delay_alu instid0(VALU_DEP_1) | instskip(NEXT) | instid1(VALU_DEP_1)
	v_dual_mul_f32 v25, 0.5, v25 :: v_dual_add_f32 v26, 1.0, v7
	v_fmac_f32_e32 v25, 0.5, v22
	s_delay_alu instid0(VALU_DEP_1) | instskip(NEXT) | instid1(VALU_DEP_1)
	v_mul_f32_e32 v22, v26, v25
	v_mul_f32_e32 v26, 0x4f800000, v22
	v_cmp_gt_f32_e32 vcc_lo, 0xf800000, v22
	s_delay_alu instid0(VALU_DEP_2) | instskip(NEXT) | instid1(VALU_DEP_1)
	v_cndmask_b32_e32 v22, v22, v26, vcc_lo
	v_sqrt_f32_e32 v26, v22
	s_waitcnt_depctr 0xfff
	v_add_nc_u32_e32 v27, -1, v26
	v_add_nc_u32_e32 v28, 1, v26
	s_delay_alu instid0(VALU_DEP_2) | instskip(NEXT) | instid1(VALU_DEP_2)
	v_fma_f32 v29, -v27, v26, v22
	v_fma_f32 v30, -v28, v26, v22
	s_delay_alu instid0(VALU_DEP_2) | instskip(NEXT) | instid1(VALU_DEP_1)
	v_cmp_ge_f32_e64 s5, 0, v29
	v_cndmask_b32_e64 v26, v26, v27, s5
	s_delay_alu instid0(VALU_DEP_3) | instskip(NEXT) | instid1(VALU_DEP_1)
	v_cmp_lt_f32_e64 s5, 0, v30
	v_cndmask_b32_e64 v26, v26, v28, s5
	s_delay_alu instid0(VALU_DEP_1) | instskip(NEXT) | instid1(VALU_DEP_1)
	v_mul_f32_e32 v27, 0x37800000, v26
	v_cndmask_b32_e32 v26, v26, v27, vcc_lo
	v_cmp_class_f32_e64 vcc_lo, v22, 0x260
	s_delay_alu instid0(VALU_DEP_2) | instskip(NEXT) | instid1(VALU_DEP_1)
	v_cndmask_b32_e32 v22, v26, v22, vcc_lo
	v_add_f32_e32 v22, v25, v22
	s_delay_alu instid0(VALU_DEP_1) | instskip(NEXT) | instid1(VALU_DEP_1)
	v_add_f32_e32 v27, 1.0, v22
	v_cvt_f64_f32_e32 v[25:26], v27
	s_delay_alu instid0(VALU_DEP_1) | instskip(SKIP_1) | instid1(VALU_DEP_1)
	v_frexp_exp_i32_f64_e32 v25, v[25:26]
	v_frexp_mant_f32_e32 v26, v27
	v_cmp_gt_f32_e32 vcc_lo, 0x3f2aaaab, v26
	v_add_f32_e32 v26, -1.0, v27
	s_delay_alu instid0(VALU_DEP_1) | instskip(NEXT) | instid1(VALU_DEP_1)
	v_sub_f32_e32 v29, v26, v27
	v_add_f32_e32 v29, 1.0, v29
	v_subrev_co_ci_u32_e32 v25, vcc_lo, 0, v25, vcc_lo
	s_delay_alu instid0(VALU_DEP_1) | instskip(SKIP_1) | instid1(VALU_DEP_2)
	v_sub_nc_u32_e32 v28, 0, v25
	v_cvt_f32_i32_e32 v25, v25
	v_ldexp_f32 v27, v27, v28
	v_sub_f32_e32 v26, v22, v26
	s_delay_alu instid0(VALU_DEP_2) | instskip(NEXT) | instid1(VALU_DEP_1)
	v_add_f32_e32 v30, 1.0, v27
	v_dual_add_f32 v26, v26, v29 :: v_dual_add_f32 v29, -1.0, v30
	s_delay_alu instid0(VALU_DEP_1) | instskip(NEXT) | instid1(VALU_DEP_2)
	v_ldexp_f32 v26, v26, v28
	v_sub_f32_e32 v29, v27, v29
	s_delay_alu instid0(VALU_DEP_1) | instskip(SKIP_1) | instid1(VALU_DEP_2)
	v_dual_add_f32 v29, v26, v29 :: v_dual_add_f32 v28, -1.0, v27
	v_cmp_eq_f32_e32 vcc_lo, 0x7f800000, v22
	v_add_f32_e32 v31, 1.0, v28
	s_delay_alu instid0(VALU_DEP_1) | instskip(NEXT) | instid1(VALU_DEP_4)
	v_sub_f32_e32 v27, v27, v31
	v_add_f32_e32 v31, v30, v29
	s_delay_alu instid0(VALU_DEP_1) | instskip(NEXT) | instid1(VALU_DEP_3)
	v_sub_f32_e32 v30, v31, v30
	v_add_f32_e32 v26, v26, v27
	v_rcp_f32_e32 v27, v31
	s_delay_alu instid0(VALU_DEP_2) | instskip(NEXT) | instid1(VALU_DEP_2)
	v_sub_f32_e32 v29, v29, v30
	v_add_f32_e32 v32, v28, v26
	s_delay_alu instid0(VALU_DEP_1) | instskip(SKIP_2) | instid1(VALU_DEP_1)
	v_sub_f32_e32 v28, v32, v28
	s_waitcnt_depctr 0xfff
	v_dual_mul_f32 v33, v32, v27 :: v_dual_sub_f32 v26, v26, v28
	v_mul_f32_e32 v34, v31, v33
	s_delay_alu instid0(VALU_DEP_1) | instskip(NEXT) | instid1(VALU_DEP_1)
	v_fma_f32 v30, v33, v31, -v34
	v_fmac_f32_e32 v30, v33, v29
	s_delay_alu instid0(VALU_DEP_1) | instskip(NEXT) | instid1(VALU_DEP_1)
	v_add_f32_e32 v35, v34, v30
	v_sub_f32_e32 v36, v32, v35
	s_delay_alu instid0(VALU_DEP_1) | instskip(SKIP_1) | instid1(VALU_DEP_2)
	v_sub_f32_e32 v32, v32, v36
	v_sub_f32_e32 v28, v35, v34
	;; [unrolled: 1-line block ×3, first 2 shown]
	s_delay_alu instid0(VALU_DEP_2) | instskip(NEXT) | instid1(VALU_DEP_2)
	v_sub_f32_e32 v28, v28, v30
	v_add_f32_e32 v26, v26, v32
	s_delay_alu instid0(VALU_DEP_1) | instskip(NEXT) | instid1(VALU_DEP_1)
	v_add_f32_e32 v26, v28, v26
	v_add_f32_e32 v28, v36, v26
	s_delay_alu instid0(VALU_DEP_1) | instskip(NEXT) | instid1(VALU_DEP_1)
	v_mul_f32_e32 v30, v27, v28
	v_dual_sub_f32 v35, v36, v28 :: v_dual_mul_f32 v32, v31, v30
	s_delay_alu instid0(VALU_DEP_1) | instskip(NEXT) | instid1(VALU_DEP_2)
	v_add_f32_e32 v26, v26, v35
	v_fma_f32 v31, v30, v31, -v32
	s_delay_alu instid0(VALU_DEP_1) | instskip(NEXT) | instid1(VALU_DEP_1)
	v_fmac_f32_e32 v31, v30, v29
	v_add_f32_e32 v29, v32, v31
	s_delay_alu instid0(VALU_DEP_1) | instskip(SKIP_1) | instid1(VALU_DEP_2)
	v_sub_f32_e32 v34, v28, v29
	v_sub_f32_e32 v32, v29, v32
	;; [unrolled: 1-line block ×3, first 2 shown]
	s_delay_alu instid0(VALU_DEP_1) | instskip(NEXT) | instid1(VALU_DEP_1)
	v_sub_f32_e32 v28, v28, v29
	v_dual_sub_f32 v29, v32, v31 :: v_dual_add_f32 v26, v26, v28
	v_add_f32_e32 v28, v33, v30
	s_delay_alu instid0(VALU_DEP_1) | instskip(NEXT) | instid1(VALU_DEP_1)
	v_dual_add_f32 v26, v29, v26 :: v_dual_sub_f32 v29, v28, v33
	v_add_f32_e32 v26, v34, v26
	s_delay_alu instid0(VALU_DEP_1) | instskip(NEXT) | instid1(VALU_DEP_1)
	v_dual_sub_f32 v29, v30, v29 :: v_dual_mul_f32 v26, v27, v26
	v_add_f32_e32 v26, v29, v26
	s_delay_alu instid0(VALU_DEP_1) | instskip(NEXT) | instid1(VALU_DEP_1)
	v_add_f32_e32 v27, v28, v26
	v_mul_f32_e32 v29, v27, v27
	s_delay_alu instid0(VALU_DEP_1) | instskip(SKIP_1) | instid1(VALU_DEP_2)
	v_fmaak_f32 v30, s29, v29, 0x3ecc95a3
	v_mul_f32_e32 v31, v27, v29
	v_fmaak_f32 v29, v29, v30, 0x3f2aaada
	v_ldexp_f32 v30, v27, 1
	v_sub_f32_e32 v27, v27, v28
	s_delay_alu instid0(VALU_DEP_3) | instskip(NEXT) | instid1(VALU_DEP_2)
	v_mul_f32_e32 v29, v31, v29
	v_dual_mul_f32 v31, 0x3f317218, v25 :: v_dual_sub_f32 v26, v26, v27
	s_delay_alu instid0(VALU_DEP_2) | instskip(NEXT) | instid1(VALU_DEP_2)
	v_add_f32_e32 v28, v30, v29
	v_ldexp_f32 v26, v26, 1
	s_delay_alu instid0(VALU_DEP_2) | instskip(NEXT) | instid1(VALU_DEP_4)
	v_sub_f32_e32 v27, v28, v30
	v_fma_f32 v30, 0x3f317218, v25, -v31
	s_delay_alu instid0(VALU_DEP_1) | instskip(NEXT) | instid1(VALU_DEP_1)
	v_dual_sub_f32 v27, v29, v27 :: v_dual_fmac_f32 v30, 0xb102e308, v25
	v_dual_add_f32 v25, v26, v27 :: v_dual_add_f32 v26, v31, v30
	s_delay_alu instid0(VALU_DEP_1) | instskip(NEXT) | instid1(VALU_DEP_2)
	v_add_f32_e32 v27, v28, v25
	v_sub_f32_e32 v31, v26, v31
	s_delay_alu instid0(VALU_DEP_2) | instskip(NEXT) | instid1(VALU_DEP_2)
	v_dual_add_f32 v29, v26, v27 :: v_dual_sub_f32 v28, v27, v28
	v_sub_f32_e32 v30, v30, v31
	s_delay_alu instid0(VALU_DEP_2) | instskip(NEXT) | instid1(VALU_DEP_3)
	v_sub_f32_e32 v32, v29, v26
	v_sub_f32_e32 v25, v25, v28
	s_delay_alu instid0(VALU_DEP_2) | instskip(NEXT) | instid1(VALU_DEP_2)
	v_sub_f32_e32 v33, v29, v32
	v_dual_sub_f32 v27, v27, v32 :: v_dual_add_f32 v28, v30, v25
	s_delay_alu instid0(VALU_DEP_2) | instskip(NEXT) | instid1(VALU_DEP_1)
	v_sub_f32_e32 v26, v26, v33
	v_add_f32_e32 v26, v27, v26
	s_delay_alu instid0(VALU_DEP_3) | instskip(NEXT) | instid1(VALU_DEP_2)
	v_sub_f32_e32 v27, v28, v30
	v_add_f32_e32 v26, v28, v26
	s_delay_alu instid0(VALU_DEP_2) | instskip(SKIP_1) | instid1(VALU_DEP_2)
	v_sub_f32_e32 v28, v28, v27
	v_sub_f32_e32 v25, v25, v27
	v_dual_add_f32 v31, v29, v26 :: v_dual_sub_f32 v28, v30, v28
	s_delay_alu instid0(VALU_DEP_1) | instskip(NEXT) | instid1(VALU_DEP_1)
	v_sub_f32_e32 v27, v31, v29
	v_dual_add_f32 v25, v25, v28 :: v_dual_sub_f32 v26, v26, v27
	s_delay_alu instid0(VALU_DEP_1) | instskip(NEXT) | instid1(VALU_DEP_1)
	v_add_f32_e32 v25, v25, v26
	v_add_f32_e32 v25, v31, v25
	s_delay_alu instid0(VALU_DEP_1) | instskip(SKIP_1) | instid1(VALU_DEP_2)
	v_cndmask_b32_e32 v25, v25, v22, vcc_lo
	v_cmp_ngt_f32_e32 vcc_lo, -1.0, v22
	v_cndmask_b32_e32 v25, 0x7fc00000, v25, vcc_lo
	v_cmp_neq_f32_e32 vcc_lo, -1.0, v22
	s_delay_alu instid0(VALU_DEP_2) | instskip(SKIP_1) | instid1(VALU_DEP_2)
	v_cndmask_b32_e32 v25, 0xff800000, v25, vcc_lo
	v_cmp_gt_f32_e64 vcc_lo, 0x33800000, |v22|
	v_cndmask_b32_e32 v22, v25, v22, vcc_lo
.LBB44_121:                             ;   in Loop: Header=BB44_5 Depth=1
	s_and_not1_saveexec_b32 s38, s38
	s_cbranch_execz .LBB44_127
; %bb.122:                              ;   in Loop: Header=BB44_5 Depth=1
	s_mov_b32 s39, exec_lo
                                        ; implicit-def: $vgpr22
	v_cmpx_nlt_f32_e64 |v11|, 1.0
	s_xor_b32 s39, exec_lo, s39
	s_cbranch_execz .LBB44_124
; %bb.123:                              ;   in Loop: Header=BB44_5 Depth=1
	v_mul_f32_e32 v22, v8, v9
	s_delay_alu instid0(VALU_DEP_1) | instskip(SKIP_1) | instid1(VALU_DEP_2)
	v_mul_f32_e32 v25, 0x4f800000, v22
	v_cmp_gt_f32_e32 vcc_lo, 0xf800000, v22
	v_cndmask_b32_e32 v22, v22, v25, vcc_lo
	s_delay_alu instid0(VALU_DEP_1) | instskip(SKIP_3) | instid1(VALU_DEP_2)
	v_sqrt_f32_e32 v25, v22
	s_waitcnt_depctr 0xfff
	v_add_nc_u32_e32 v26, -1, v25
	v_add_nc_u32_e32 v27, 1, v25
	v_fma_f32 v28, -v26, v25, v22
	s_delay_alu instid0(VALU_DEP_2) | instskip(NEXT) | instid1(VALU_DEP_2)
	v_fma_f32 v29, -v27, v25, v22
	v_cmp_ge_f32_e64 s5, 0, v28
	s_delay_alu instid0(VALU_DEP_1) | instskip(NEXT) | instid1(VALU_DEP_3)
	v_cndmask_b32_e64 v25, v25, v26, s5
	v_cmp_lt_f32_e64 s5, 0, v29
	s_delay_alu instid0(VALU_DEP_1) | instskip(NEXT) | instid1(VALU_DEP_1)
	v_cndmask_b32_e64 v25, v25, v27, s5
	v_mul_f32_e32 v26, 0x37800000, v25
	s_delay_alu instid0(VALU_DEP_1) | instskip(SKIP_1) | instid1(VALU_DEP_2)
	v_cndmask_b32_e32 v25, v25, v26, vcc_lo
	v_cmp_class_f32_e64 vcc_lo, v22, 0x260
	v_cndmask_b32_e32 v22, v25, v22, vcc_lo
	s_delay_alu instid0(VALU_DEP_1) | instskip(NEXT) | instid1(VALU_DEP_1)
	v_add_f32_e32 v22, v8, v22
	v_add_f32_e32 v27, 1.0, v22
	s_delay_alu instid0(VALU_DEP_1) | instskip(NEXT) | instid1(VALU_DEP_1)
	v_cvt_f64_f32_e32 v[25:26], v27
	v_frexp_exp_i32_f64_e32 v25, v[25:26]
	v_frexp_mant_f32_e32 v26, v27
	s_delay_alu instid0(VALU_DEP_1) | instskip(SKIP_1) | instid1(VALU_DEP_1)
	v_cmp_gt_f32_e32 vcc_lo, 0x3f2aaaab, v26
	v_add_f32_e32 v26, -1.0, v27
	v_sub_f32_e32 v29, v26, v27
	s_delay_alu instid0(VALU_DEP_1) | instskip(SKIP_2) | instid1(VALU_DEP_2)
	v_dual_sub_f32 v26, v22, v26 :: v_dual_add_f32 v29, 1.0, v29
	v_subrev_co_ci_u32_e32 v25, vcc_lo, 0, v25, vcc_lo
	v_cmp_eq_f32_e32 vcc_lo, 0x7f800000, v22
	v_sub_nc_u32_e32 v28, 0, v25
	v_cvt_f32_i32_e32 v25, v25
	s_delay_alu instid0(VALU_DEP_2) | instskip(SKIP_1) | instid1(VALU_DEP_2)
	v_ldexp_f32 v27, v27, v28
	v_add_f32_e32 v26, v26, v29
	v_add_f32_e32 v30, 1.0, v27
	s_delay_alu instid0(VALU_DEP_2) | instskip(NEXT) | instid1(VALU_DEP_2)
	v_ldexp_f32 v26, v26, v28
	v_add_f32_e32 v29, -1.0, v30
	s_delay_alu instid0(VALU_DEP_1) | instskip(NEXT) | instid1(VALU_DEP_1)
	v_dual_sub_f32 v29, v27, v29 :: v_dual_add_f32 v28, -1.0, v27
	v_add_f32_e32 v29, v26, v29
	s_delay_alu instid0(VALU_DEP_2) | instskip(NEXT) | instid1(VALU_DEP_1)
	v_add_f32_e32 v31, 1.0, v28
	v_sub_f32_e32 v27, v27, v31
	s_delay_alu instid0(VALU_DEP_1) | instskip(NEXT) | instid1(VALU_DEP_1)
	v_add_f32_e32 v26, v26, v27
	v_dual_add_f32 v31, v30, v29 :: v_dual_add_f32 v32, v28, v26
	s_delay_alu instid0(VALU_DEP_1) | instskip(SKIP_1) | instid1(VALU_DEP_1)
	v_rcp_f32_e32 v27, v31
	v_sub_f32_e32 v30, v31, v30
	v_dual_sub_f32 v28, v32, v28 :: v_dual_sub_f32 v29, v29, v30
	s_waitcnt_depctr 0xfff
	v_dual_sub_f32 v26, v26, v28 :: v_dual_mul_f32 v33, v32, v27
	s_delay_alu instid0(VALU_DEP_1) | instskip(NEXT) | instid1(VALU_DEP_1)
	v_mul_f32_e32 v34, v31, v33
	v_fma_f32 v30, v33, v31, -v34
	s_delay_alu instid0(VALU_DEP_1) | instskip(NEXT) | instid1(VALU_DEP_1)
	v_fmac_f32_e32 v30, v33, v29
	v_add_f32_e32 v35, v34, v30
	s_delay_alu instid0(VALU_DEP_1) | instskip(SKIP_1) | instid1(VALU_DEP_2)
	v_sub_f32_e32 v36, v32, v35
	v_sub_f32_e32 v28, v35, v34
	v_sub_f32_e32 v32, v32, v36
	s_delay_alu instid0(VALU_DEP_2) | instskip(NEXT) | instid1(VALU_DEP_2)
	v_sub_f32_e32 v28, v28, v30
	v_sub_f32_e32 v32, v32, v35
	s_delay_alu instid0(VALU_DEP_1) | instskip(NEXT) | instid1(VALU_DEP_1)
	v_add_f32_e32 v26, v26, v32
	v_add_f32_e32 v26, v28, v26
	s_delay_alu instid0(VALU_DEP_1) | instskip(NEXT) | instid1(VALU_DEP_1)
	v_add_f32_e32 v28, v36, v26
	v_mul_f32_e32 v30, v27, v28
	s_delay_alu instid0(VALU_DEP_1) | instskip(NEXT) | instid1(VALU_DEP_1)
	v_mul_f32_e32 v32, v31, v30
	v_fma_f32 v31, v30, v31, -v32
	s_delay_alu instid0(VALU_DEP_1) | instskip(SKIP_1) | instid1(VALU_DEP_2)
	v_fmac_f32_e32 v31, v30, v29
	v_sub_f32_e32 v35, v36, v28
	v_add_f32_e32 v29, v32, v31
	s_delay_alu instid0(VALU_DEP_2) | instskip(NEXT) | instid1(VALU_DEP_2)
	v_add_f32_e32 v26, v26, v35
	v_sub_f32_e32 v34, v28, v29
	v_sub_f32_e32 v32, v29, v32
	s_delay_alu instid0(VALU_DEP_2) | instskip(NEXT) | instid1(VALU_DEP_1)
	v_sub_f32_e32 v28, v28, v34
	v_sub_f32_e32 v28, v28, v29
	s_delay_alu instid0(VALU_DEP_1) | instskip(SKIP_1) | instid1(VALU_DEP_1)
	v_dual_sub_f32 v29, v32, v31 :: v_dual_add_f32 v26, v26, v28
	v_add_f32_e32 v28, v33, v30
	v_dual_add_f32 v26, v29, v26 :: v_dual_sub_f32 v29, v28, v33
	s_delay_alu instid0(VALU_DEP_1) | instskip(NEXT) | instid1(VALU_DEP_1)
	v_add_f32_e32 v26, v34, v26
	v_dual_sub_f32 v29, v30, v29 :: v_dual_mul_f32 v26, v27, v26
	s_delay_alu instid0(VALU_DEP_1) | instskip(NEXT) | instid1(VALU_DEP_1)
	v_add_f32_e32 v26, v29, v26
	v_add_f32_e32 v27, v28, v26
	s_delay_alu instid0(VALU_DEP_1) | instskip(NEXT) | instid1(VALU_DEP_1)
	v_mul_f32_e32 v29, v27, v27
	v_fmaak_f32 v30, s29, v29, 0x3ecc95a3
	v_mul_f32_e32 v31, v27, v29
	s_delay_alu instid0(VALU_DEP_2) | instskip(SKIP_2) | instid1(VALU_DEP_3)
	v_fmaak_f32 v29, v29, v30, 0x3f2aaada
	v_ldexp_f32 v30, v27, 1
	v_sub_f32_e32 v27, v27, v28
	v_mul_f32_e32 v29, v31, v29
	s_delay_alu instid0(VALU_DEP_2) | instskip(NEXT) | instid1(VALU_DEP_2)
	v_dual_mul_f32 v31, 0x3f317218, v25 :: v_dual_sub_f32 v26, v26, v27
	v_add_f32_e32 v28, v30, v29
	s_delay_alu instid0(VALU_DEP_2) | instskip(NEXT) | instid1(VALU_DEP_2)
	v_ldexp_f32 v26, v26, 1
	v_sub_f32_e32 v27, v28, v30
	s_delay_alu instid0(VALU_DEP_4) | instskip(NEXT) | instid1(VALU_DEP_1)
	v_fma_f32 v30, 0x3f317218, v25, -v31
	v_dual_sub_f32 v27, v29, v27 :: v_dual_fmac_f32 v30, 0xb102e308, v25
	s_delay_alu instid0(VALU_DEP_1) | instskip(NEXT) | instid1(VALU_DEP_1)
	v_dual_add_f32 v25, v26, v27 :: v_dual_add_f32 v26, v31, v30
	v_add_f32_e32 v27, v28, v25
	s_delay_alu instid0(VALU_DEP_2) | instskip(NEXT) | instid1(VALU_DEP_2)
	v_sub_f32_e32 v31, v26, v31
	v_dual_add_f32 v29, v26, v27 :: v_dual_sub_f32 v28, v27, v28
	s_delay_alu instid0(VALU_DEP_2) | instskip(NEXT) | instid1(VALU_DEP_2)
	v_sub_f32_e32 v30, v30, v31
	v_sub_f32_e32 v32, v29, v26
	s_delay_alu instid0(VALU_DEP_3) | instskip(NEXT) | instid1(VALU_DEP_2)
	v_sub_f32_e32 v25, v25, v28
	v_sub_f32_e32 v33, v29, v32
	s_delay_alu instid0(VALU_DEP_2) | instskip(NEXT) | instid1(VALU_DEP_2)
	v_dual_sub_f32 v27, v27, v32 :: v_dual_add_f32 v28, v30, v25
	v_sub_f32_e32 v26, v26, v33
	s_delay_alu instid0(VALU_DEP_1) | instskip(NEXT) | instid1(VALU_DEP_3)
	v_add_f32_e32 v26, v27, v26
	v_sub_f32_e32 v27, v28, v30
	s_delay_alu instid0(VALU_DEP_2) | instskip(NEXT) | instid1(VALU_DEP_2)
	v_add_f32_e32 v26, v28, v26
	v_sub_f32_e32 v28, v28, v27
	v_sub_f32_e32 v25, v25, v27
	s_delay_alu instid0(VALU_DEP_2) | instskip(NEXT) | instid1(VALU_DEP_1)
	v_dual_add_f32 v31, v29, v26 :: v_dual_sub_f32 v28, v30, v28
	v_sub_f32_e32 v27, v31, v29
	s_delay_alu instid0(VALU_DEP_1) | instskip(NEXT) | instid1(VALU_DEP_1)
	v_dual_add_f32 v25, v25, v28 :: v_dual_sub_f32 v26, v26, v27
	v_add_f32_e32 v25, v25, v26
	s_delay_alu instid0(VALU_DEP_1) | instskip(NEXT) | instid1(VALU_DEP_1)
	v_add_f32_e32 v25, v31, v25
	v_cndmask_b32_e32 v25, v25, v22, vcc_lo
	v_cmp_ngt_f32_e32 vcc_lo, -1.0, v22
	s_delay_alu instid0(VALU_DEP_2) | instskip(SKIP_1) | instid1(VALU_DEP_2)
	v_cndmask_b32_e32 v25, 0x7fc00000, v25, vcc_lo
	v_cmp_neq_f32_e32 vcc_lo, -1.0, v22
	v_cndmask_b32_e32 v25, 0xff800000, v25, vcc_lo
	v_cmp_gt_f32_e64 vcc_lo, 0x33800000, |v22|
	s_delay_alu instid0(VALU_DEP_2)
	v_cndmask_b32_e32 v22, v25, v22, vcc_lo
.LBB44_124:                             ;   in Loop: Header=BB44_5 Depth=1
	s_and_not1_saveexec_b32 s39, s39
	s_cbranch_execz .LBB44_126
; %bb.125:                              ;   in Loop: Header=BB44_5 Depth=1
	v_sub_f32_e64 v22, 1.0, |v11|
	s_delay_alu instid0(VALU_DEP_1) | instskip(NEXT) | instid1(VALU_DEP_1)
	v_mul_f32_e32 v22, v22, v9
	v_mul_f32_e32 v25, 0x4f800000, v22
	v_cmp_gt_f32_e32 vcc_lo, 0xf800000, v22
	s_delay_alu instid0(VALU_DEP_2) | instskip(NEXT) | instid1(VALU_DEP_1)
	v_cndmask_b32_e32 v22, v22, v25, vcc_lo
	v_sqrt_f32_e32 v25, v22
	s_waitcnt_depctr 0xfff
	v_add_nc_u32_e32 v26, -1, v25
	v_add_nc_u32_e32 v27, 1, v25
	s_delay_alu instid0(VALU_DEP_2) | instskip(NEXT) | instid1(VALU_DEP_2)
	v_fma_f32 v28, -v26, v25, v22
	v_fma_f32 v29, -v27, v25, v22
	s_delay_alu instid0(VALU_DEP_2) | instskip(NEXT) | instid1(VALU_DEP_1)
	v_cmp_ge_f32_e64 s5, 0, v28
	v_cndmask_b32_e64 v25, v25, v26, s5
	s_delay_alu instid0(VALU_DEP_3) | instskip(NEXT) | instid1(VALU_DEP_1)
	v_cmp_lt_f32_e64 s5, 0, v29
	v_cndmask_b32_e64 v25, v25, v27, s5
	s_delay_alu instid0(VALU_DEP_1) | instskip(NEXT) | instid1(VALU_DEP_1)
	v_mul_f32_e32 v26, 0x37800000, v25
	v_cndmask_b32_e32 v25, v25, v26, vcc_lo
	v_cmp_class_f32_e64 vcc_lo, v22, 0x260
	v_and_b32_e32 v26, 0x7fffffff, v12
	s_delay_alu instid0(VALU_DEP_3) | instskip(NEXT) | instid1(VALU_DEP_1)
	v_cndmask_b32_e32 v22, v25, v22, vcc_lo
	v_div_scale_f32 v25, null, v22, v22, v26
	v_div_scale_f32 v26, vcc_lo, v26, v22, v26
	s_delay_alu instid0(VALU_DEP_2) | instskip(SKIP_2) | instid1(VALU_DEP_1)
	v_rcp_f32_e32 v27, v25
	s_waitcnt_depctr 0xfff
	v_fma_f32 v28, -v25, v27, 1.0
	v_fmac_f32_e32 v27, v28, v27
	s_delay_alu instid0(VALU_DEP_1) | instskip(NEXT) | instid1(VALU_DEP_1)
	v_mul_f32_e32 v28, v26, v27
	v_fma_f32 v29, -v25, v28, v26
	s_delay_alu instid0(VALU_DEP_1) | instskip(NEXT) | instid1(VALU_DEP_1)
	v_fmac_f32_e32 v28, v29, v27
	v_fma_f32 v25, -v25, v28, v26
	s_delay_alu instid0(VALU_DEP_1) | instskip(NEXT) | instid1(VALU_DEP_1)
	v_div_fmas_f32 v25, v25, v27, v28
	v_div_fixup_f32 v22, v25, v22, |v12|
.LBB44_126:                             ;   in Loop: Header=BB44_5 Depth=1
	s_or_b32 exec_lo, exec_lo, s39
.LBB44_127:                             ;   in Loop: Header=BB44_5 Depth=1
	s_delay_alu instid0(SALU_CYCLE_1)
	s_or_b32 exec_lo, exec_lo, s38
.LBB44_128:                             ;   in Loop: Header=BB44_5 Depth=1
	s_and_not1_saveexec_b32 s37, s37
	s_cbranch_execz .LBB44_130
; %bb.129:                              ;   in Loop: Header=BB44_5 Depth=1
	v_mul_f32_e64 v22, 0x4f800000, |v12|
	v_cmp_gt_f32_e64 vcc_lo, 0xf800000, |v12|
	s_delay_alu instid0(VALU_DEP_1) | instskip(NEXT) | instid1(VALU_DEP_1)
	v_cndmask_b32_e64 v22, |v12|, v22, vcc_lo
	v_sqrt_f32_e32 v25, v22
	s_waitcnt_depctr 0xfff
	v_add_nc_u32_e32 v26, -1, v25
	v_add_nc_u32_e32 v27, 1, v25
	s_delay_alu instid0(VALU_DEP_2) | instskip(NEXT) | instid1(VALU_DEP_2)
	v_fma_f32 v28, -v26, v25, v22
	v_fma_f32 v29, -v27, v25, v22
	s_delay_alu instid0(VALU_DEP_2) | instskip(NEXT) | instid1(VALU_DEP_1)
	v_cmp_ge_f32_e64 s5, 0, v28
	v_cndmask_b32_e64 v25, v25, v26, s5
	s_delay_alu instid0(VALU_DEP_3) | instskip(NEXT) | instid1(VALU_DEP_1)
	v_cmp_lt_f32_e64 s5, 0, v29
	v_cndmask_b32_e64 v25, v25, v27, s5
	s_delay_alu instid0(VALU_DEP_1) | instskip(NEXT) | instid1(VALU_DEP_1)
	v_mul_f32_e32 v26, 0x37800000, v25
	v_cndmask_b32_e32 v25, v25, v26, vcc_lo
	v_cmp_class_f32_e64 vcc_lo, v22, 0x260
	s_delay_alu instid0(VALU_DEP_2)
	v_cndmask_b32_e32 v22, v25, v22, vcc_lo
.LBB44_130:                             ;   in Loop: Header=BB44_5 Depth=1
	s_or_b32 exec_lo, exec_lo, s37
.LBB44_131:                             ;   in Loop: Header=BB44_5 Depth=1
	s_delay_alu instid0(SALU_CYCLE_1) | instskip(NEXT) | instid1(SALU_CYCLE_1)
	s_or_b32 exec_lo, exec_lo, s6
	s_mov_b32 s37, exec_lo
                                        ; implicit-def: $sgpr5
                                        ; implicit-def: $vgpr25
                                        ; implicit-def: $vgpr27
                                        ; implicit-def: $vgpr26
	v_cmpx_ngt_f32_e64 0x21000000, |v11|
	s_xor_b32 s37, exec_lo, s37
	s_cbranch_execz .LBB44_155
; %bb.132:                              ;   in Loop: Header=BB44_5 Depth=1
	v_and_b32_e32 v26, 0x7fffffff, v11
	s_mov_b32 s5, 0
	s_mov_b32 s38, exec_lo
	s_delay_alu instid0(VALU_DEP_1) | instskip(NEXT) | instid1(VALU_DEP_1)
	v_div_scale_f32 v25, null, v7, v7, v26
	v_rcp_f32_e32 v27, v25
	s_waitcnt_depctr 0xfff
	v_fma_f32 v28, -v25, v27, 1.0
	s_delay_alu instid0(VALU_DEP_1) | instskip(SKIP_1) | instid1(VALU_DEP_1)
	v_fmac_f32_e32 v27, v28, v27
	v_div_scale_f32 v28, vcc_lo, v26, v7, v26
	v_mul_f32_e32 v29, v28, v27
	s_delay_alu instid0(VALU_DEP_1) | instskip(NEXT) | instid1(VALU_DEP_1)
	v_fma_f32 v30, -v25, v29, v28
	v_fmac_f32_e32 v29, v30, v27
	s_delay_alu instid0(VALU_DEP_1) | instskip(NEXT) | instid1(VALU_DEP_1)
	v_fma_f32 v25, -v25, v29, v28
	v_div_fmas_f32 v25, v25, v27, v29
                                        ; implicit-def: $vgpr27
	s_delay_alu instid0(VALU_DEP_1) | instskip(NEXT) | instid1(VALU_DEP_1)
	v_div_fixup_f32 v25, v25, v7, |v11|
	v_cmpx_lt_f32_e32 0x3f244674, v25
	s_cbranch_execz .LBB44_154
; %bb.133:                              ;   in Loop: Header=BB44_5 Depth=1
	v_cmp_neq_f32_e64 s5, |v11|, 1.0
	v_cmp_ngt_f32_e64 s6, 0x30800000, |v12|
                                        ; implicit-def: $sgpr39
                                        ; implicit-def: $vgpr27
	s_delay_alu instid0(VALU_DEP_1) | instskip(NEXT) | instid1(SALU_CYCLE_1)
	s_or_b32 s5, s5, s6
	s_and_saveexec_b32 s6, s5
	s_delay_alu instid0(SALU_CYCLE_1)
	s_xor_b32 s6, exec_lo, s6
	s_cbranch_execz .LBB44_151
; %bb.134:                              ;   in Loop: Header=BB44_5 Depth=1
	v_mul_f32_e64 v27, 0x34000000, |v8|
                                        ; implicit-def: $sgpr39
	s_delay_alu instid0(VALU_DEP_1) | instskip(NEXT) | instid1(VALU_DEP_1)
	v_cmp_le_f32_e64 s5, v27, |v12|
                                        ; implicit-def: $vgpr27
	s_and_saveexec_b32 s40, s5
	s_delay_alu instid0(SALU_CYCLE_1)
	s_xor_b32 s40, exec_lo, s40
	s_cbranch_execz .LBB44_144
; %bb.135:                              ;   in Loop: Header=BB44_5 Depth=1
	v_mov_b32_e32 v27, v23
	s_mov_b32 s5, exec_lo
	v_cmpx_neq_f32_e32 0, v9
	s_cbranch_execz .LBB44_137
; %bb.136:                              ;   in Loop: Header=BB44_5 Depth=1
	v_mul_f32_e32 v27, v12, v12
	v_add_f32_e32 v9, v9, v24
	s_delay_alu instid0(VALU_DEP_1) | instskip(NEXT) | instid1(VALU_DEP_1)
	v_div_scale_f32 v24, null, v9, v9, v27
	v_rcp_f32_e32 v28, v24
	s_waitcnt_depctr 0xfff
	v_fma_f32 v29, -v24, v28, 1.0
	s_delay_alu instid0(VALU_DEP_1) | instskip(SKIP_1) | instid1(VALU_DEP_1)
	v_fmac_f32_e32 v28, v29, v28
	v_div_scale_f32 v29, vcc_lo, v27, v9, v27
	v_mul_f32_e32 v30, v29, v28
	s_delay_alu instid0(VALU_DEP_1) | instskip(NEXT) | instid1(VALU_DEP_1)
	v_fma_f32 v31, -v24, v30, v29
	v_fmac_f32_e32 v30, v31, v28
	s_delay_alu instid0(VALU_DEP_1) | instskip(NEXT) | instid1(VALU_DEP_1)
	v_fma_f32 v24, -v24, v30, v29
	v_div_fmas_f32 v24, v24, v28, v30
	s_delay_alu instid0(VALU_DEP_1)
	v_div_fixup_f32 v27, v24, v9, v27
.LBB44_137:                             ;   in Loop: Header=BB44_5 Depth=1
	s_or_b32 exec_lo, exec_lo, s5
	s_delay_alu instid0(SALU_CYCLE_1)
	s_mov_b32 s5, exec_lo
	v_cmpx_ngt_f32_e32 0, v8
	s_xor_b32 s5, exec_lo, s5
	s_cbranch_execz .LBB44_141
; %bb.138:                              ;   in Loop: Header=BB44_5 Depth=1
	s_mov_b32 s39, exec_lo
	v_cmpx_neq_f32_e32 0, v8
	s_cbranch_execz .LBB44_140
; %bb.139:                              ;   in Loop: Header=BB44_5 Depth=1
	v_mul_f32_e32 v9, v12, v12
	v_add_f32_e32 v8, v8, v10
	s_delay_alu instid0(VALU_DEP_1) | instskip(NEXT) | instid1(VALU_DEP_1)
	v_div_scale_f32 v10, null, v8, v8, v9
	v_rcp_f32_e32 v12, v10
	s_waitcnt_depctr 0xfff
	v_fma_f32 v23, -v10, v12, 1.0
	s_delay_alu instid0(VALU_DEP_1) | instskip(SKIP_1) | instid1(VALU_DEP_1)
	v_fmac_f32_e32 v12, v23, v12
	v_div_scale_f32 v23, vcc_lo, v9, v8, v9
	v_mul_f32_e32 v24, v23, v12
	s_delay_alu instid0(VALU_DEP_1) | instskip(NEXT) | instid1(VALU_DEP_1)
	v_fma_f32 v28, -v10, v24, v23
	v_fmac_f32_e32 v24, v28, v12
	s_delay_alu instid0(VALU_DEP_1) | instskip(NEXT) | instid1(VALU_DEP_1)
	v_fma_f32 v10, -v10, v24, v23
	v_div_fmas_f32 v10, v10, v12, v24
	s_delay_alu instid0(VALU_DEP_1)
	v_div_fixup_f32 v23, v10, v8, v9
.LBB44_140:                             ;   in Loop: Header=BB44_5 Depth=1
	s_or_b32 exec_lo, exec_lo, s39
                                        ; implicit-def: $vgpr10
                                        ; implicit-def: $vgpr8
.LBB44_141:                             ;   in Loop: Header=BB44_5 Depth=1
	s_and_not1_saveexec_b32 s5, s5
; %bb.142:                              ;   in Loop: Header=BB44_5 Depth=1
	v_sub_f32_e32 v23, v10, v8
; %bb.143:                              ;   in Loop: Header=BB44_5 Depth=1
	s_or_b32 exec_lo, exec_lo, s5
	s_delay_alu instid0(VALU_DEP_1) | instskip(SKIP_2) | instid1(VALU_DEP_2)
	v_mul_f32_e32 v8, 0.5, v23
	v_add_f32_e64 v7, |v11|, v7
	s_mov_b32 s39, -1
	v_fmac_f32_e32 v8, 0.5, v27
	s_delay_alu instid0(VALU_DEP_1) | instskip(NEXT) | instid1(VALU_DEP_1)
	v_mul_f32_e32 v7, v7, v8
	v_mul_f32_e32 v8, 0x4f800000, v7
	v_cmp_gt_f32_e32 vcc_lo, 0xf800000, v7
	s_delay_alu instid0(VALU_DEP_2) | instskip(NEXT) | instid1(VALU_DEP_1)
	v_cndmask_b32_e32 v7, v7, v8, vcc_lo
	v_sqrt_f32_e32 v8, v7
	s_waitcnt_depctr 0xfff
	v_add_nc_u32_e32 v9, -1, v8
	v_add_nc_u32_e32 v10, 1, v8
	s_delay_alu instid0(VALU_DEP_2) | instskip(NEXT) | instid1(VALU_DEP_2)
	v_fma_f32 v11, -v9, v8, v7
	v_fma_f32 v12, -v10, v8, v7
	s_delay_alu instid0(VALU_DEP_2) | instskip(NEXT) | instid1(VALU_DEP_1)
	v_cmp_ge_f32_e64 s5, 0, v11
	v_cndmask_b32_e64 v8, v8, v9, s5
	s_delay_alu instid0(VALU_DEP_3) | instskip(NEXT) | instid1(VALU_DEP_1)
	v_cmp_lt_f32_e64 s5, 0, v12
	v_cndmask_b32_e64 v8, v8, v10, s5
	s_delay_alu instid0(VALU_DEP_1) | instskip(NEXT) | instid1(VALU_DEP_1)
	v_mul_f32_e32 v9, 0x37800000, v8
	v_cndmask_b32_e32 v8, v8, v9, vcc_lo
	v_cmp_class_f32_e64 vcc_lo, v7, 0x260
                                        ; implicit-def: $vgpr9_vgpr10_vgpr11_vgpr12
                                        ; implicit-def: $vgpr9
	s_delay_alu instid0(VALU_DEP_2)
	v_cndmask_b32_e32 v27, v8, v7, vcc_lo
                                        ; implicit-def: $vgpr8
.LBB44_144:                             ;   in Loop: Header=BB44_5 Depth=1
	s_and_not1_saveexec_b32 s40, s40
	s_cbranch_execz .LBB44_150
; %bb.145:                              ;   in Loop: Header=BB44_5 Depth=1
	s_mov_b32 s42, exec_lo
                                        ; implicit-def: $vgpr27
                                        ; implicit-def: $sgpr41
	v_cmpx_ngt_f32_e64 |v11|, 1.0
	s_xor_b32 s42, exec_lo, s42
	s_cbranch_execz .LBB44_147
; %bb.146:                              ;   in Loop: Header=BB44_5 Depth=1
	v_sub_f32_e64 v7, 1.0, |v11|
	s_mov_b32 s41, -1
	s_delay_alu instid0(VALU_DEP_1) | instskip(NEXT) | instid1(VALU_DEP_1)
	v_mul_f32_e32 v7, v7, v9
	v_mul_f32_e32 v8, 0x4f800000, v7
	v_cmp_gt_f32_e32 vcc_lo, 0xf800000, v7
	s_delay_alu instid0(VALU_DEP_2) | instskip(NEXT) | instid1(VALU_DEP_1)
	v_cndmask_b32_e32 v7, v7, v8, vcc_lo
	v_sqrt_f32_e32 v8, v7
	s_waitcnt_depctr 0xfff
	v_add_nc_u32_e32 v9, -1, v8
	v_add_nc_u32_e32 v10, 1, v8
	s_delay_alu instid0(VALU_DEP_2) | instskip(NEXT) | instid1(VALU_DEP_2)
	v_fma_f32 v11, -v9, v8, v7
	v_fma_f32 v12, -v10, v8, v7
	s_delay_alu instid0(VALU_DEP_2) | instskip(NEXT) | instid1(VALU_DEP_1)
	v_cmp_ge_f32_e64 s5, 0, v11
	v_cndmask_b32_e64 v8, v8, v9, s5
	s_delay_alu instid0(VALU_DEP_3) | instskip(NEXT) | instid1(VALU_DEP_1)
	v_cmp_lt_f32_e64 s5, 0, v12
	v_cndmask_b32_e64 v8, v8, v10, s5
	s_delay_alu instid0(VALU_DEP_1) | instskip(NEXT) | instid1(VALU_DEP_1)
	v_mul_f32_e32 v9, 0x37800000, v8
	v_cndmask_b32_e32 v8, v8, v9, vcc_lo
	v_cmp_class_f32_e64 vcc_lo, v7, 0x260
                                        ; implicit-def: $vgpr9_vgpr10_vgpr11_vgpr12
                                        ; implicit-def: $vgpr9
	s_delay_alu instid0(VALU_DEP_2)
	v_cndmask_b32_e32 v27, v8, v7, vcc_lo
                                        ; implicit-def: $vgpr8
.LBB44_147:                             ;   in Loop: Header=BB44_5 Depth=1
	s_and_not1_saveexec_b32 s42, s42
	s_cbranch_execz .LBB44_149
; %bb.148:                              ;   in Loop: Header=BB44_5 Depth=1
	v_mul_f32_e32 v7, v9, v8
	v_mul_f32_e64 v26, 0x57800000, |v11|
	s_or_b32 s41, s41, exec_lo
	s_delay_alu instid0(VALU_DEP_2) | instskip(SKIP_1) | instid1(VALU_DEP_2)
	v_mul_f32_e32 v8, 0x4f800000, v7
	v_cmp_gt_f32_e32 vcc_lo, 0xf800000, v7
	v_cndmask_b32_e32 v7, v7, v8, vcc_lo
	s_delay_alu instid0(VALU_DEP_1) | instskip(SKIP_3) | instid1(VALU_DEP_2)
	v_sqrt_f32_e32 v8, v7
	s_waitcnt_depctr 0xfff
	v_add_nc_u32_e32 v9, -1, v8
	v_add_nc_u32_e32 v10, 1, v8
	v_fma_f32 v23, -v9, v8, v7
	s_delay_alu instid0(VALU_DEP_2) | instskip(NEXT) | instid1(VALU_DEP_2)
	v_fma_f32 v24, -v10, v8, v7
	v_cmp_ge_f32_e64 s5, 0, v23
	s_delay_alu instid0(VALU_DEP_1) | instskip(NEXT) | instid1(VALU_DEP_3)
	v_cndmask_b32_e64 v8, v8, v9, s5
	v_cmp_lt_f32_e64 s5, 0, v24
	s_delay_alu instid0(VALU_DEP_1) | instskip(SKIP_1) | instid1(VALU_DEP_2)
	v_cndmask_b32_e64 v8, v8, v10, s5
	v_mul_f32_e64 v10, 0x57800000, |v12|
	v_mul_f32_e32 v9, 0x37800000, v8
	s_delay_alu instid0(VALU_DEP_1) | instskip(SKIP_1) | instid1(VALU_DEP_4)
	v_cndmask_b32_e32 v8, v8, v9, vcc_lo
	v_cmp_class_f32_e64 vcc_lo, v7, 0x260
	v_mul_f32_e64 v9, |v11|, v10
	s_delay_alu instid0(VALU_DEP_3) | instskip(NEXT) | instid1(VALU_DEP_1)
	v_cndmask_b32_e32 v7, v8, v7, vcc_lo
	v_div_scale_f32 v8, null, v7, v7, v9
	v_div_scale_f32 v23, vcc_lo, v9, v7, v9
	s_delay_alu instid0(VALU_DEP_2) | instskip(SKIP_2) | instid1(VALU_DEP_1)
	v_rcp_f32_e32 v10, v8
	s_waitcnt_depctr 0xfff
	v_fma_f32 v12, -v8, v10, 1.0
	v_fmac_f32_e32 v10, v12, v10
	s_delay_alu instid0(VALU_DEP_1) | instskip(NEXT) | instid1(VALU_DEP_1)
	v_mul_f32_e32 v12, v23, v10
	v_fma_f32 v24, -v8, v12, v23
	s_delay_alu instid0(VALU_DEP_1) | instskip(NEXT) | instid1(VALU_DEP_1)
	v_fmac_f32_e32 v12, v24, v10
	v_fma_f32 v8, -v8, v12, v23
	s_delay_alu instid0(VALU_DEP_1) | instskip(NEXT) | instid1(VALU_DEP_1)
	v_div_fmas_f32 v8, v8, v10, v12
	v_div_fixup_f32 v27, v8, v7, v9
.LBB44_149:                             ;   in Loop: Header=BB44_5 Depth=1
	s_or_b32 exec_lo, exec_lo, s42
	s_delay_alu instid0(SALU_CYCLE_1) | instskip(SKIP_1) | instid1(SALU_CYCLE_1)
	s_and_not1_b32 s5, s39, exec_lo
	s_and_b32 s39, s41, exec_lo
	s_or_b32 s39, s5, s39
.LBB44_150:                             ;   in Loop: Header=BB44_5 Depth=1
	s_or_b32 exec_lo, exec_lo, s40
	s_delay_alu instid0(SALU_CYCLE_1)
	s_and_b32 s39, s39, exec_lo
                                        ; implicit-def: $vgpr9_vgpr10_vgpr11_vgpr12
                                        ; implicit-def: $vgpr7
.LBB44_151:                             ;   in Loop: Header=BB44_5 Depth=1
	s_and_not1_saveexec_b32 s40, s6
	s_cbranch_execz .LBB44_153
; %bb.152:                              ;   in Loop: Header=BB44_5 Depth=1
	v_add_f32_e32 v7, 1.0, v7
	v_mul_f32_e64 v8, 0x4f800000, |v12|
	v_cmp_gt_f32_e64 vcc_lo, 0xf800000, |v12|
	s_or_b32 s39, s39, exec_lo
	s_delay_alu instid0(VALU_DEP_3) | instskip(NEXT) | instid1(VALU_DEP_2)
	v_mul_f32_e32 v7, 0.5, v7
	v_cndmask_b32_e64 v8, |v12|, v8, vcc_lo
	s_delay_alu instid0(VALU_DEP_2) | instskip(SKIP_1) | instid1(VALU_DEP_1)
	v_mul_f32_e32 v9, 0x4f800000, v7
	v_cmp_gt_f32_e64 s5, 0xf800000, v7
	v_cndmask_b32_e64 v7, v7, v9, s5
	s_delay_alu instid0(VALU_DEP_4) | instskip(NEXT) | instid1(VALU_DEP_1)
	v_sqrt_f32_e32 v9, v8
	v_sqrt_f32_e32 v10, v7
	s_waitcnt_depctr 0xfff
	v_add_nc_u32_e32 v11, -1, v9
	v_add_nc_u32_e32 v23, 1, v9
	v_add_nc_u32_e32 v12, -1, v10
	s_delay_alu instid0(VALU_DEP_3) | instskip(SKIP_1) | instid1(VALU_DEP_4)
	v_fma_f32 v24, -v11, v9, v8
	v_add_nc_u32_e32 v26, 1, v10
	v_fma_f32 v28, -v23, v9, v8
	s_delay_alu instid0(VALU_DEP_4) | instskip(NEXT) | instid1(VALU_DEP_4)
	v_fma_f32 v27, -v12, v10, v7
	v_cmp_ge_f32_e64 s6, 0, v24
	s_delay_alu instid0(VALU_DEP_1) | instskip(NEXT) | instid1(VALU_DEP_3)
	v_cndmask_b32_e64 v9, v9, v11, s6
	v_cmp_ge_f32_e64 s6, 0, v27
	v_fma_f32 v11, -v26, v10, v7
	s_delay_alu instid0(VALU_DEP_2) | instskip(SKIP_1) | instid1(VALU_DEP_1)
	v_cndmask_b32_e64 v10, v10, v12, s6
	v_cmp_lt_f32_e64 s6, 0, v28
	v_cndmask_b32_e64 v9, v9, v23, s6
	s_delay_alu instid0(VALU_DEP_4) | instskip(NEXT) | instid1(VALU_DEP_2)
	v_cmp_lt_f32_e64 s6, 0, v11
	v_mul_f32_e32 v11, 0x37800000, v9
	s_delay_alu instid0(VALU_DEP_2) | instskip(NEXT) | instid1(VALU_DEP_2)
	v_cndmask_b32_e64 v10, v10, v26, s6
	v_dual_mov_b32 v26, 1.0 :: v_dual_cndmask_b32 v9, v9, v11
	s_delay_alu instid0(VALU_DEP_2) | instskip(SKIP_1) | instid1(VALU_DEP_2)
	v_mul_f32_e32 v12, 0x37800000, v10
	v_cmp_class_f32_e64 vcc_lo, v8, 0x260
	v_cndmask_b32_e64 v10, v10, v12, s5
	s_delay_alu instid0(VALU_DEP_4) | instskip(SKIP_1) | instid1(VALU_DEP_3)
	v_cndmask_b32_e32 v8, v9, v8, vcc_lo
	v_cmp_class_f32_e64 vcc_lo, v7, 0x260
	v_cndmask_b32_e32 v7, v10, v7, vcc_lo
	s_delay_alu instid0(VALU_DEP_1)
	v_mul_f32_e32 v27, v8, v7
.LBB44_153:                             ;   in Loop: Header=BB44_5 Depth=1
	s_or_b32 exec_lo, exec_lo, s40
	s_delay_alu instid0(SALU_CYCLE_1)
	s_and_b32 s5, s39, exec_lo
.LBB44_154:                             ;   in Loop: Header=BB44_5 Depth=1
	s_or_b32 exec_lo, exec_lo, s38
	s_delay_alu instid0(SALU_CYCLE_1)
	s_and_b32 s5, s5, exec_lo
                                        ; implicit-def: $vgpr7
                                        ; implicit-def: $vgpr9_vgpr10_vgpr11_vgpr12
.LBB44_155:                             ;   in Loop: Header=BB44_5 Depth=1
	s_and_not1_saveexec_b32 s6, s37
; %bb.156:                              ;   in Loop: Header=BB44_5 Depth=1
	v_mul_f32_e32 v27, 0x4b800000, v7
	v_mul_f32_e64 v26, 0x4b800000, |v11|
	s_or_b32 s5, s5, exec_lo
                                        ; implicit-def: $vgpr25
; %bb.157:                              ;   in Loop: Header=BB44_5 Depth=1
	s_or_b32 exec_lo, exec_lo, s6
	s_xor_b32 s5, s5, -1
	s_delay_alu instid0(SALU_CYCLE_1) | instskip(NEXT) | instid1(SALU_CYCLE_1)
	s_and_saveexec_b32 s6, s5
	s_xor_b32 s6, exec_lo, s6
	s_cbranch_execz .LBB44_163
; %bb.158:                              ;   in Loop: Header=BB44_5 Depth=1
	s_and_saveexec_b32 s5, s4
	s_delay_alu instid0(SALU_CYCLE_1)
	s_xor_b32 s5, exec_lo, s5
	s_cbranch_execz .LBB44_160
; %bb.159:                              ;   in Loop: Header=BB44_5 Depth=1
	v_fma_f32 v7, |v25|, -0.5, 0.5
	v_mul_f32_e32 v8, v25, v25
	v_cmp_gt_f32_e64 vcc_lo, |v25|, 0.5
	s_delay_alu instid0(VALU_DEP_2) | instskip(NEXT) | instid1(VALU_DEP_1)
	v_cndmask_b32_e32 v7, v8, v7, vcc_lo
	v_fmaak_f32 v8, s30, v7, 0x3c5fc5da
	v_sqrt_f32_e32 v9, v7
	s_delay_alu instid0(VALU_DEP_1) | instskip(NEXT) | instid1(VALU_DEP_1)
	v_fmaak_f32 v8, v7, v8, 0x3d034c3c
	v_fmaak_f32 v8, v7, v8, 0x3d3641b1
	s_delay_alu instid0(VALU_DEP_1) | instskip(NEXT) | instid1(VALU_DEP_1)
	v_fmaak_f32 v8, v7, v8, 0x3d999bc8
	v_fmaak_f32 v8, v7, v8, 0x3e2aaaac
	s_delay_alu instid0(VALU_DEP_1) | instskip(NEXT) | instid1(VALU_DEP_1)
	v_mul_f32_e32 v7, v7, v8
	v_fmac_f32_e32 v25, v25, v7
	s_delay_alu instid0(TRANS32_DEP_1) | instid1(VALU_DEP_1)
	v_dual_fmac_f32 v9, v9, v7 :: v_dual_sub_f32 v8, 0x3fc90fdb, v25
	s_delay_alu instid0(VALU_DEP_1) | instskip(NEXT) | instid1(VALU_DEP_1)
	v_add_f32_e32 v7, v9, v9
                                        ; implicit-def: $vgpr25
	v_cndmask_b32_e32 v7, v8, v7, vcc_lo
.LBB44_160:                             ;   in Loop: Header=BB44_5 Depth=1
	s_and_not1_saveexec_b32 s37, s5
	s_cbranch_execz .LBB44_162
; %bb.161:                              ;   in Loop: Header=BB44_5 Depth=1
	v_fma_f32 v7, |v25|, -0.5, 0.5
	v_mul_f32_e32 v8, v25, v25
	v_cmp_gt_f32_e64 vcc_lo, |v25|, 0.5
	v_cmp_lt_f32_e64 s5, 0, v25
	s_delay_alu instid0(VALU_DEP_3) | instskip(NEXT) | instid1(VALU_DEP_1)
	v_cndmask_b32_e32 v7, v8, v7, vcc_lo
	v_fmaak_f32 v8, s30, v7, 0x3c5fc5da
	v_sqrt_f32_e32 v9, v7
	s_delay_alu instid0(VALU_DEP_1) | instskip(NEXT) | instid1(VALU_DEP_1)
	v_fmaak_f32 v8, v7, v8, 0x3d034c3c
	v_fmaak_f32 v8, v7, v8, 0x3d3641b1
	s_delay_alu instid0(VALU_DEP_1) | instskip(NEXT) | instid1(VALU_DEP_1)
	v_fmaak_f32 v8, v7, v8, 0x3d999bc8
	v_fmaak_f32 v8, v7, v8, 0x3e2aaaac
	s_delay_alu instid0(VALU_DEP_1) | instskip(SKIP_3) | instid1(VALU_DEP_1)
	v_mul_f32_e32 v7, v7, v8
	s_waitcnt_depctr 0xfff
	v_fmac_f32_e32 v9, v9, v7
	v_fma_f32 v7, -v25, v7, -v25
	v_dual_add_f32 v8, v9, v9 :: v_dual_sub_f32 v7, 0x3fc90fdb, v7
	s_delay_alu instid0(VALU_DEP_1) | instskip(NEXT) | instid1(VALU_DEP_1)
	v_sub_f32_e32 v9, 0x40490fdb, v8
	v_cndmask_b32_e64 v8, v8, v9, s5
	s_delay_alu instid0(VALU_DEP_1)
	v_cndmask_b32_e32 v7, v7, v8, vcc_lo
.LBB44_162:                             ;   in Loop: Header=BB44_5 Depth=1
	s_or_b32 exec_lo, exec_lo, s37
                                        ; implicit-def: $vgpr27
                                        ; implicit-def: $vgpr26
.LBB44_163:                             ;   in Loop: Header=BB44_5 Depth=1
	s_and_not1_saveexec_b32 s6, s6
	s_cbranch_execz .LBB44_169
; %bb.164:                              ;   in Loop: Header=BB44_5 Depth=1
	s_and_saveexec_b32 s5, s4
	s_delay_alu instid0(SALU_CYCLE_1)
	s_xor_b32 s5, exec_lo, s5
	s_cbranch_execz .LBB44_166
; %bb.165:                              ;   in Loop: Header=BB44_5 Depth=1
	v_max_f32_e64 v7, |v27|, |v27|
	v_max_f32_e32 v8, v26, v26
	v_cmp_gt_f32_e64 vcc_lo, |v27|, v26
	v_cmp_neq_f32_e64 s4, 0, v27
	v_cmp_class_f32_e64 s37, v27, 0x204
	s_delay_alu instid0(VALU_DEP_4) | instskip(SKIP_1) | instid1(VALU_DEP_2)
	v_max_f32_e32 v9, v8, v7
	v_min_f32_e32 v7, v8, v7
	v_frexp_mant_f32_e32 v10, v9
	s_delay_alu instid0(VALU_DEP_1) | instskip(NEXT) | instid1(VALU_DEP_2)
	v_rcp_f32_e32 v8, v10
	v_frexp_mant_f32_e32 v10, v7
	v_frexp_exp_i32_f32_e32 v7, v7
	s_waitcnt_depctr 0xfff
	v_mul_f32_e32 v8, v10, v8
	v_frexp_exp_i32_f32_e32 v9, v9
	s_delay_alu instid0(VALU_DEP_1) | instskip(NEXT) | instid1(VALU_DEP_1)
	v_sub_nc_u32_e32 v7, v7, v9
	v_ldexp_f32 v7, v8, v7
	s_delay_alu instid0(VALU_DEP_1) | instskip(NEXT) | instid1(VALU_DEP_1)
	v_mul_f32_e32 v8, v7, v7
	v_fmaak_f32 v9, s31, v8, 0xbc7a590c
	s_delay_alu instid0(VALU_DEP_1) | instskip(NEXT) | instid1(VALU_DEP_1)
	v_fmaak_f32 v9, v8, v9, 0x3d29fb3f
	v_fmaak_f32 v9, v8, v9, 0xbd97d4d7
	s_delay_alu instid0(VALU_DEP_1) | instskip(NEXT) | instid1(VALU_DEP_1)
	v_fmaak_f32 v9, v8, v9, 0x3dd931b2
	;; [unrolled: 3-line block ×3, first 2 shown]
	v_fmaak_f32 v9, v8, v9, 0xbeaaaa62
	s_delay_alu instid0(VALU_DEP_1) | instskip(NEXT) | instid1(VALU_DEP_1)
	v_mul_f32_e32 v8, v8, v9
	v_fmac_f32_e32 v7, v7, v8
	s_delay_alu instid0(VALU_DEP_1) | instskip(NEXT) | instid1(VALU_DEP_1)
	v_sub_f32_e32 v8, 0x3fc90fdb, v7
	v_cndmask_b32_e32 v7, v7, v8, vcc_lo
	v_cmp_eq_f32_e32 vcc_lo, 0x7f800000, v26
	s_delay_alu instid0(VALU_DEP_2) | instskip(SKIP_2) | instid1(VALU_DEP_2)
	v_cndmask_b32_e64 v7, 0, v7, s4
	s_and_b32 s4, vcc_lo, s37
	v_cmp_o_f32_e32 vcc_lo, v26, v27
                                        ; implicit-def: $vgpr26
	v_cndmask_b32_e64 v7, v7, 0x3f490fdb, s4
	s_delay_alu instid0(VALU_DEP_1) | instskip(NEXT) | instid1(VALU_DEP_1)
	v_cndmask_b32_e32 v7, 0x7fc00000, v7, vcc_lo
	v_bfi_b32 v7, 0x7fffffff, v7, v27
                                        ; implicit-def: $vgpr27
.LBB44_166:                             ;   in Loop: Header=BB44_5 Depth=1
	s_and_not1_saveexec_b32 s37, s5
	s_cbranch_execz .LBB44_168
; %bb.167:                              ;   in Loop: Header=BB44_5 Depth=1
	v_max_f32_e64 v7, |v27|, |v27|
	v_max_f32_e32 v8, v26, v26
	v_cmp_gt_f32_e64 vcc_lo, |v27|, v26
	v_cmp_neq_f32_e64 s5, 0, v27
	v_cmp_eq_f32_e64 s4, 0x7f800000, v26
	v_cmp_class_f32_e64 s38, v27, 0x204
	v_max_f32_e32 v9, v8, v7
	v_min_f32_e32 v7, v8, v7
	s_delay_alu instid0(VALU_DEP_2) | instskip(SKIP_1) | instid1(VALU_DEP_2)
	v_frexp_mant_f32_e32 v10, v9
	v_frexp_exp_i32_f32_e32 v9, v9
	v_rcp_f32_e32 v8, v10
	s_delay_alu instid0(VALU_DEP_3) | instskip(SKIP_1) | instid1(VALU_DEP_2)
	v_frexp_exp_i32_f32_e32 v10, v7
	v_frexp_mant_f32_e32 v7, v7
	v_sub_nc_u32_e32 v9, v10, v9
	s_waitcnt_depctr 0xfff
	v_mul_f32_e32 v7, v7, v8
	s_delay_alu instid0(VALU_DEP_1) | instskip(NEXT) | instid1(VALU_DEP_1)
	v_ldexp_f32 v7, v7, v9
	v_mul_f32_e32 v8, v7, v7
	s_delay_alu instid0(VALU_DEP_1) | instskip(NEXT) | instid1(VALU_DEP_1)
	v_fmaak_f32 v9, s31, v8, 0xbc7a590c
	v_fmaak_f32 v9, v8, v9, 0x3d29fb3f
	s_delay_alu instid0(VALU_DEP_1) | instskip(NEXT) | instid1(VALU_DEP_1)
	v_fmaak_f32 v9, v8, v9, 0xbd97d4d7
	v_fmaak_f32 v9, v8, v9, 0x3dd931b2
	;; [unrolled: 3-line block ×3, first 2 shown]
	s_delay_alu instid0(VALU_DEP_1) | instskip(NEXT) | instid1(VALU_DEP_1)
	v_fmaak_f32 v9, v8, v9, 0xbeaaaa62
	v_mul_f32_e32 v8, v8, v9
	s_delay_alu instid0(VALU_DEP_1) | instskip(NEXT) | instid1(VALU_DEP_1)
	v_fmac_f32_e32 v7, v7, v8
	v_sub_f32_e32 v8, 0x3fc90fdb, v7
	s_delay_alu instid0(VALU_DEP_1) | instskip(SKIP_1) | instid1(VALU_DEP_2)
	v_cndmask_b32_e32 v7, v7, v8, vcc_lo
	v_cmp_lt_f32_e32 vcc_lo, 0, v26
	v_sub_f32_e32 v8, 0x40490fdb, v7
	s_delay_alu instid0(VALU_DEP_1) | instskip(SKIP_2) | instid1(VALU_DEP_2)
	v_cndmask_b32_e32 v7, v7, v8, vcc_lo
	v_cndmask_b32_e32 v8, 0x3f490fdb, v21, vcc_lo
	s_and_b32 vcc_lo, s4, s38
	v_cndmask_b32_e64 v7, 0x40490fdb, v7, s5
	s_delay_alu instid0(VALU_DEP_1) | instskip(SKIP_1) | instid1(VALU_DEP_2)
	v_cndmask_b32_e32 v7, v7, v8, vcc_lo
	v_cmp_o_f32_e64 vcc_lo, v27, -v26
	v_cndmask_b32_e32 v7, 0x7fc00000, v7, vcc_lo
	s_delay_alu instid0(VALU_DEP_1)
	v_bfi_b32 v7, 0x7fffffff, v7, v27
.LBB44_168:                             ;   in Loop: Header=BB44_5 Depth=1
	s_or_b32 exec_lo, exec_lo, s37
.LBB44_169:                             ;   in Loop: Header=BB44_5 Depth=1
	s_delay_alu instid0(SALU_CYCLE_1)
	s_or_b32 exec_lo, exec_lo, s6
	v_cndmask_b32_e64 v8, -v22, v22, s2
                                        ; implicit-def: $vgpr9_vgpr10_vgpr11_vgpr12
.LBB44_170:                             ;   in Loop: Header=BB44_5 Depth=1
	s_and_not1_saveexec_b32 s4, s36
	s_cbranch_execz .LBB44_172
; %bb.171:                              ;   in Loop: Header=BB44_5 Depth=1
	s_waitcnt lgkmcnt(0)
	v_dual_mov_b32 v7, s16 :: v_dual_mov_b32 v8, s17
	flat_load_b32 v7, v[7:8] glc dlc
	s_waitcnt vmcnt(0)
	v_xor_b32_e32 v8, 0x80000000, v12
	s_waitcnt lgkmcnt(0)
	v_sub_f32_e32 v7, v7, v11
	s_delay_alu instid0(VALU_DEP_1)
	v_add_f32_e32 v7, 0x3fc90fdb, v7
.LBB44_172:                             ;   in Loop: Header=BB44_5 Depth=1
	s_or_b32 exec_lo, exec_lo, s4
                                        ; implicit-def: $vgpr9_vgpr10_vgpr11_vgpr12
.LBB44_173:                             ;   in Loop: Header=BB44_5 Depth=1
	s_and_not1_saveexec_b32 s4, s35
	s_cbranch_execz .LBB44_175
; %bb.174:                              ;   in Loop: Header=BB44_5 Depth=1
	v_xor_b32_e32 v8, 0x80000000, v12
	s_waitcnt lgkmcnt(0)
	v_mov_b32_e32 v7, 0
.LBB44_175:                             ;   in Loop: Header=BB44_5 Depth=1
	s_or_b32 exec_lo, exec_lo, s4
                                        ; implicit-def: $vgpr9_vgpr10_vgpr11_vgpr12
                                        ; implicit-def: $vgpr22
                                        ; implicit-def: $vgpr10
                                        ; implicit-def: $vgpr9
.LBB44_176:                             ;   in Loop: Header=BB44_5 Depth=1
	s_and_not1_saveexec_b32 s6, s34
	s_cbranch_execz .LBB44_186
; %bb.177:                              ;   in Loop: Header=BB44_5 Depth=1
	v_cmp_lt_f32_e64 s4, |v11|, |v12|
                                        ; implicit-def: $vgpr8
                                        ; implicit-def: $vgpr7
	s_mov_b32 s5, exec_lo
	s_delay_alu instid0(VALU_DEP_1) | instskip(NEXT) | instid1(VALU_DEP_1)
	v_cndmask_b32_e64 v23, |v11|, |v12|, s4
	v_cmpx_nlt_f32_e32 0x7effffff, v23
	s_xor_b32 s34, exec_lo, s5
	s_cbranch_execz .LBB44_183
; %bb.178:                              ;   in Loop: Header=BB44_5 Depth=1
	v_cndmask_b32_e64 v24, |v12|, |v11|, s4
	v_cmp_nlt_f32_e32 vcc_lo, 0x5e000000, v23
                                        ; implicit-def: $vgpr8
                                        ; implicit-def: $vgpr7
	s_delay_alu instid0(VALU_DEP_2) | instskip(NEXT) | instid1(VALU_DEP_1)
	v_cmp_ngt_f32_e64 s5, 0x20000000, v24
	s_and_b32 s5, vcc_lo, s5
	s_delay_alu instid0(SALU_CYCLE_1) | instskip(NEXT) | instid1(SALU_CYCLE_1)
	s_and_saveexec_b32 s35, s5
	s_xor_b32 s35, exec_lo, s35
	s_cbranch_execz .LBB44_180
; %bb.179:                              ;   in Loop: Header=BB44_5 Depth=1
	s_waitcnt lgkmcnt(0)
	v_frexp_mant_f32_e32 v7, v9
	v_min_f32_e32 v8, v22, v10
	v_frexp_exp_i32_f32_e32 v9, v9
	s_delay_alu instid0(VALU_DEP_3) | instskip(NEXT) | instid1(VALU_DEP_2)
	v_rcp_f32_e32 v7, v7
	v_frexp_mant_f32_e32 v22, v8
	v_mul_f32_e32 v10, v24, v24
	v_frexp_exp_i32_f32_e32 v8, v8
	s_delay_alu instid0(VALU_DEP_1) | instskip(SKIP_3) | instid1(VALU_DEP_2)
	v_sub_nc_u32_e32 v8, v8, v9
	s_waitcnt_depctr 0xfff
	v_mul_f32_e32 v7, v22, v7
	v_fmac_f32_e32 v10, v23, v23
	v_ldexp_f32 v7, v7, v8
	s_delay_alu instid0(VALU_DEP_2) | instskip(SKIP_1) | instid1(VALU_DEP_1)
	v_cmp_gt_f32_e32 vcc_lo, 0x800000, v10
	v_cndmask_b32_e64 v9, 1.0, 0x4f800000, vcc_lo
	v_dual_mul_f32 v8, v10, v9 :: v_dual_mul_f32 v9, v7, v7
	s_delay_alu instid0(VALU_DEP_1) | instskip(NEXT) | instid1(VALU_DEP_1)
	v_fmaak_f32 v10, s31, v9, 0xbc7a590c
	v_fmaak_f32 v10, v9, v10, 0x3d29fb3f
	s_delay_alu instid0(VALU_DEP_1) | instskip(NEXT) | instid1(VALU_DEP_1)
	v_fmaak_f32 v10, v9, v10, 0xbd97d4d7
	v_fmaak_f32 v10, v9, v10, 0x3dd931b2
	;; [unrolled: 3-line block ×3, first 2 shown]
	s_delay_alu instid0(VALU_DEP_1) | instskip(NEXT) | instid1(VALU_DEP_1)
	v_fmaak_f32 v10, v9, v10, 0xbeaaaa62
	v_mul_f32_e32 v9, v9, v10
	v_log_f32_e32 v8, v8
                                        ; implicit-def: $vgpr10
	s_delay_alu instid0(VALU_DEP_1) | instskip(SKIP_3) | instid1(VALU_DEP_2)
	v_fmac_f32_e32 v7, v7, v9
                                        ; implicit-def: $vgpr9
	s_waitcnt_depctr 0xfff
	v_mul_f32_e32 v22, 0x3f317217, v8
	v_cmp_gt_f32_e64 s5, 0x7f800000, |v8|
	v_fma_f32 v23, 0x3f317217, v8, -v22
	s_delay_alu instid0(VALU_DEP_1) | instskip(NEXT) | instid1(VALU_DEP_1)
	v_fmac_f32_e32 v23, 0x3377d1cf, v8
	v_add_f32_e32 v22, v22, v23
	s_delay_alu instid0(VALU_DEP_1) | instskip(SKIP_1) | instid1(VALU_DEP_1)
	v_cndmask_b32_e64 v8, v8, v22, s5
	v_cndmask_b32_e64 v22, 0, 0x41b17218, vcc_lo
	v_sub_f32_e32 v8, v8, v22
                                        ; implicit-def: $vgpr22
	s_delay_alu instid0(VALU_DEP_1)
	v_mul_f32_e32 v8, 0.5, v8
.LBB44_180:                             ;   in Loop: Header=BB44_5 Depth=1
	s_and_not1_saveexec_b32 s5, s35
	s_cbranch_execz .LBB44_182
; %bb.181:                              ;   in Loop: Header=BB44_5 Depth=1
	s_waitcnt lgkmcnt(0)
	v_cvt_f64_f32_e32 v[7:8], v9
	v_cmp_neq_f32_e32 vcc_lo, 0x7f800000, v9
	v_min_f32_e32 v10, v22, v10
	v_frexp_exp_i32_f32_e32 v22, v9
	s_delay_alu instid0(VALU_DEP_2) | instskip(SKIP_1) | instid1(VALU_DEP_2)
	v_frexp_exp_i32_f32_e32 v24, v10
	v_frexp_mant_f32_e32 v10, v10
	v_sub_nc_u32_e32 v22, v24, v22
	v_frexp_exp_i32_f64_e32 v7, v[7:8]
	s_delay_alu instid0(VALU_DEP_1) | instskip(NEXT) | instid1(VALU_DEP_1)
	v_sub_nc_u32_e32 v8, 0, v7
	v_ldexp_f32 v23, |v12|, v8
	v_ldexp_f32 v8, |v11|, v8
	s_delay_alu instid0(VALU_DEP_2) | instskip(NEXT) | instid1(VALU_DEP_1)
	v_mul_f32_e32 v23, v23, v23
	v_fmac_f32_e32 v23, v8, v8
	v_frexp_mant_f32_e32 v8, v9
	s_delay_alu instid0(VALU_DEP_2) | instskip(NEXT) | instid1(VALU_DEP_1)
	v_sqrt_f32_e32 v23, v23
	v_rcp_f32_e32 v8, v8
	s_waitcnt_depctr 0xfff
	v_ldexp_f32 v7, v23, v7
	s_delay_alu instid0(VALU_DEP_1) | instskip(NEXT) | instid1(VALU_DEP_1)
	v_dual_mul_f32 v8, v10, v8 :: v_dual_cndmask_b32 v9, 0x7f800000, v7
	v_ldexp_f32 v7, v8, v22
	s_delay_alu instid0(VALU_DEP_2) | instskip(NEXT) | instid1(VALU_DEP_2)
	v_cmp_gt_f32_e32 vcc_lo, 0x800000, v9
	v_mul_f32_e32 v10, v7, v7
	v_cndmask_b32_e64 v8, 1.0, 0x4f800000, vcc_lo
	s_delay_alu instid0(VALU_DEP_1) | instskip(NEXT) | instid1(VALU_DEP_1)
	v_dual_mul_f32 v8, v9, v8 :: v_dual_fmaak_f32 v9, s31, v10, 0xbc7a590c
	v_log_f32_e32 v8, v8
	s_waitcnt_depctr 0xfff
	v_mul_f32_e32 v22, 0x3f317217, v8
	s_delay_alu instid0(VALU_DEP_1) | instskip(NEXT) | instid1(VALU_DEP_1)
	v_fma_f32 v23, 0x3f317217, v8, -v22
	v_fmac_f32_e32 v23, 0x3377d1cf, v8
	s_delay_alu instid0(VALU_DEP_1) | instskip(SKIP_2) | instid1(VALU_DEP_3)
	v_add_f32_e32 v22, v22, v23
	v_cndmask_b32_e64 v23, 0, 0x41b17218, vcc_lo
	v_cmp_gt_f32_e64 vcc_lo, 0x7f800000, |v8|
	v_dual_fmaak_f32 v9, v10, v9, 0x3d29fb3f :: v_dual_cndmask_b32 v8, v8, v22
	s_delay_alu instid0(VALU_DEP_1) | instskip(NEXT) | instid1(VALU_DEP_1)
	v_dual_fmaak_f32 v9, v10, v9, 0xbd97d4d7 :: v_dual_sub_f32 v8, v8, v23
	v_fmaak_f32 v9, v10, v9, 0x3dd931b2
	s_delay_alu instid0(VALU_DEP_1) | instskip(NEXT) | instid1(VALU_DEP_1)
	v_fmaak_f32 v9, v10, v9, 0xbe1160e6
	v_fmaak_f32 v9, v10, v9, 0x3e4cb8bf
	s_delay_alu instid0(VALU_DEP_1) | instskip(NEXT) | instid1(VALU_DEP_1)
	v_fmaak_f32 v9, v10, v9, 0xbeaaaa62
	v_mul_f32_e32 v9, v10, v9
	s_delay_alu instid0(VALU_DEP_1)
	v_fmac_f32_e32 v7, v7, v9
.LBB44_182:                             ;   in Loop: Header=BB44_5 Depth=1
	s_or_b32 exec_lo, exec_lo, s5
                                        ; implicit-def: $vgpr22
                                        ; implicit-def: $vgpr10
                                        ; implicit-def: $vgpr9
.LBB44_183:                             ;   in Loop: Header=BB44_5 Depth=1
	s_and_not1_saveexec_b32 s34, s34
	s_cbranch_execz .LBB44_185
; %bb.184:                              ;   in Loop: Header=BB44_5 Depth=1
	s_waitcnt lgkmcnt(0)
	v_div_scale_f32 v7, null, 0x402df854, 0x402df854, v11
	v_div_scale_f32 v8, null, 0x402df854, 0x402df854, v12
	v_div_scale_f32 v27, vcc_lo, v11, 0x402df854, v11
	s_delay_alu instid0(VALU_DEP_3) | instskip(NEXT) | instid1(VALU_DEP_2)
	v_rcp_f32_e32 v23, v7
	v_rcp_f32_e32 v24, v8
	v_min_f32_e32 v10, v22, v10
	s_waitcnt_depctr 0xfff
	v_fma_f32 v25, -v7, v23, 1.0
	v_fma_f32 v26, -v8, v24, 1.0
	s_delay_alu instid0(VALU_DEP_1) | instskip(SKIP_1) | instid1(VALU_DEP_2)
	v_dual_fmac_f32 v23, v25, v23 :: v_dual_fmac_f32 v24, v26, v24
	v_div_scale_f32 v25, s5, v12, 0x402df854, v12
	v_mul_f32_e32 v26, v27, v23
	s_delay_alu instid0(VALU_DEP_2) | instskip(NEXT) | instid1(VALU_DEP_2)
	v_mul_f32_e32 v28, v25, v24
	v_fma_f32 v29, -v7, v26, v27
	s_delay_alu instid0(VALU_DEP_2) | instskip(NEXT) | instid1(VALU_DEP_2)
	v_fma_f32 v30, -v8, v28, v25
	v_fmac_f32_e32 v26, v29, v23
	s_delay_alu instid0(VALU_DEP_2) | instskip(NEXT) | instid1(VALU_DEP_2)
	v_fmac_f32_e32 v28, v30, v24
	v_fma_f32 v7, -v7, v26, v27
	s_delay_alu instid0(VALU_DEP_2) | instskip(NEXT) | instid1(VALU_DEP_2)
	v_fma_f32 v8, -v8, v28, v25
	v_div_fmas_f32 v7, v7, v23, v26
	s_mov_b32 vcc_lo, s5
	s_delay_alu instid0(VALU_DEP_2) | instskip(NEXT) | instid1(VALU_DEP_2)
	v_div_fmas_f32 v8, v8, v24, v28
	v_div_fixup_f32 v23, v7, 0x402df854, v11
	s_delay_alu instid0(VALU_DEP_2) | instskip(NEXT) | instid1(VALU_DEP_1)
	v_div_fixup_f32 v24, v8, 0x402df854, v12
	v_max_f32_e64 v25, |v23|, |v24|
	s_delay_alu instid0(VALU_DEP_1) | instskip(SKIP_1) | instid1(VALU_DEP_2)
	v_cvt_f64_f32_e32 v[7:8], v25
	v_cmp_neq_f32_e32 vcc_lo, 0x7f800000, v25
	v_frexp_exp_i32_f64_e32 v7, v[7:8]
	s_delay_alu instid0(VALU_DEP_1) | instskip(NEXT) | instid1(VALU_DEP_1)
	v_sub_nc_u32_e32 v8, 0, v7
	v_ldexp_f32 v24, |v24|, v8
	v_ldexp_f32 v8, |v23|, v8
	s_delay_alu instid0(VALU_DEP_2) | instskip(NEXT) | instid1(VALU_DEP_1)
	v_mul_f32_e32 v23, v24, v24
	v_fmac_f32_e32 v23, v8, v8
	s_delay_alu instid0(VALU_DEP_1) | instskip(SKIP_2) | instid1(VALU_DEP_2)
	v_sqrt_f32_e32 v8, v23
	v_frexp_mant_f32_e32 v23, v9
	v_frexp_exp_i32_f32_e32 v9, v9
	v_rcp_f32_e32 v22, v23
	s_waitcnt_depctr 0xfff
	v_ldexp_f32 v7, v8, v7
	v_frexp_exp_i32_f32_e32 v8, v10
	v_frexp_mant_f32_e32 v10, v10
	s_delay_alu instid0(VALU_DEP_3) | instskip(NEXT) | instid1(VALU_DEP_3)
	v_cndmask_b32_e32 v23, 0x7f800000, v7, vcc_lo
	v_sub_nc_u32_e32 v7, v8, v9
	s_delay_alu instid0(VALU_DEP_3) | instskip(NEXT) | instid1(VALU_DEP_3)
	v_mul_f32_e32 v8, v10, v22
	v_cmp_gt_f32_e32 vcc_lo, 0x800000, v23
	s_delay_alu instid0(VALU_DEP_2) | instskip(SKIP_1) | instid1(VALU_DEP_1)
	v_ldexp_f32 v7, v8, v7
	v_cndmask_b32_e64 v9, 1.0, 0x4f800000, vcc_lo
	v_mul_f32_e32 v8, v23, v9
	s_delay_alu instid0(VALU_DEP_3) | instskip(NEXT) | instid1(VALU_DEP_1)
	v_mul_f32_e32 v9, v7, v7
	v_fmaak_f32 v10, s31, v9, 0xbc7a590c
	s_delay_alu instid0(VALU_DEP_1) | instskip(NEXT) | instid1(VALU_DEP_1)
	v_fmaak_f32 v10, v9, v10, 0x3d29fb3f
	v_fmaak_f32 v10, v9, v10, 0xbd97d4d7
	s_delay_alu instid0(VALU_DEP_1) | instskip(NEXT) | instid1(VALU_DEP_1)
	v_fmaak_f32 v10, v9, v10, 0x3dd931b2
	;; [unrolled: 3-line block ×3, first 2 shown]
	v_fmaak_f32 v10, v9, v10, 0xbeaaaa62
	s_delay_alu instid0(VALU_DEP_1) | instskip(SKIP_3) | instid1(VALU_DEP_1)
	v_mul_f32_e32 v9, v9, v10
	v_log_f32_e32 v8, v8
	s_waitcnt_depctr 0xfff
	v_dual_fmac_f32 v7, v7, v9 :: v_dual_mul_f32 v22, 0x3f317217, v8
	v_fma_f32 v23, 0x3f317217, v8, -v22
	s_delay_alu instid0(VALU_DEP_1) | instskip(NEXT) | instid1(VALU_DEP_1)
	v_fmac_f32_e32 v23, 0x3377d1cf, v8
	v_add_f32_e32 v22, v22, v23
	v_cndmask_b32_e64 v23, 0, 0x41b17218, vcc_lo
	v_cmp_gt_f32_e64 vcc_lo, 0x7f800000, |v8|
	s_delay_alu instid0(VALU_DEP_3) | instskip(NEXT) | instid1(VALU_DEP_1)
	v_cndmask_b32_e32 v8, v8, v22, vcc_lo
	v_sub_f32_e32 v8, v8, v23
	s_delay_alu instid0(VALU_DEP_1)
	v_add_f32_e32 v8, 1.0, v8
.LBB44_185:                             ;   in Loop: Header=BB44_5 Depth=1
	s_or_b32 exec_lo, exec_lo, s34
	s_waitcnt lgkmcnt(0)
	v_sub_f32_e32 v9, 0x3fc90fdb, v7
	v_cmp_gt_f32_e32 vcc_lo, 0, v11
	v_cndmask_b32_e64 v10, 0, 0x40490fdb, s3
	v_cmp_class_f32_e64 s3, v11, 0x204
	v_add_f32_e32 v8, 0x3f317218, v8
	v_cndmask_b32_e64 v7, v7, v9, s4
	v_cmp_class_f32_e64 s4, v12, 0x204
	s_delay_alu instid0(VALU_DEP_3) | instskip(NEXT) | instid1(VALU_DEP_3)
	v_cndmask_b32_e64 v8, -v8, v8, s2
	v_sub_f32_e32 v9, 0x40490fdb, v7
	s_delay_alu instid0(VALU_DEP_1) | instskip(SKIP_2) | instid1(VALU_DEP_3)
	v_cndmask_b32_e32 v7, v7, v9, vcc_lo
	v_cndmask_b32_e32 v9, 0x3f490fdb, v21, vcc_lo
	v_cmp_eq_f32_e32 vcc_lo, 0, v12
	v_cndmask_b32_e32 v7, v7, v10, vcc_lo
	s_and_b32 vcc_lo, s3, s4
	s_delay_alu instid0(VALU_DEP_1) | instskip(SKIP_1) | instid1(VALU_DEP_2)
	v_cndmask_b32_e32 v7, v7, v9, vcc_lo
	v_cmp_o_f32_e32 vcc_lo, v11, v12
	v_cndmask_b32_e64 v7, 0x7fc00000, |v7|, vcc_lo
.LBB44_186:                             ;   in Loop: Header=BB44_5 Depth=1
	s_or_b32 exec_lo, exec_lo, s6
                                        ; implicit-def: $vgpr9_vgpr10_vgpr11_vgpr12
.LBB44_187:                             ;   in Loop: Header=BB44_5 Depth=1
	s_and_not1_saveexec_b32 s2, s33
	s_cbranch_execz .LBB44_201
; %bb.188:                              ;   in Loop: Header=BB44_5 Depth=1
	v_cmp_neq_f32_e64 s3, 0x7f800000, |v11|
	s_delay_alu instid0(VALU_DEP_1) | instskip(NEXT) | instid1(SALU_CYCLE_1)
	s_and_saveexec_b32 s4, s3
	s_xor_b32 s3, exec_lo, s4
	s_cbranch_execz .LBB44_198
; %bb.189:                              ;   in Loop: Header=BB44_5 Depth=1
	v_cmp_neq_f32_e64 s4, 0x7f800000, |v12|
	s_delay_alu instid0(VALU_DEP_1) | instskip(NEXT) | instid1(SALU_CYCLE_1)
	s_and_saveexec_b32 s5, s4
	s_xor_b32 s4, exec_lo, s5
	s_cbranch_execz .LBB44_195
; %bb.190:                              ;   in Loop: Header=BB44_5 Depth=1
	s_mov_b32 s5, exec_lo
	v_cmpx_neq_f32_e32 0, v11
	s_xor_b32 s5, exec_lo, s5
	s_cbranch_execz .LBB44_192
; %bb.191:                              ;   in Loop: Header=BB44_5 Depth=1
	s_waitcnt lgkmcnt(0)
	v_add_f32_e32 v7, 0, v12
	s_delay_alu instid0(VALU_DEP_1)
	v_add_f32_e32 v8, v11, v7
                                        ; implicit-def: $vgpr9_vgpr10_vgpr11_vgpr12
.LBB44_192:                             ;   in Loop: Header=BB44_5 Depth=1
	s_or_saveexec_b32 s5, s5
	s_waitcnt lgkmcnt(0)
	s_delay_alu instid0(VALU_DEP_1)
	v_mov_b32_e32 v7, v8
	s_xor_b32 exec_lo, exec_lo, s5
	s_cbranch_execz .LBB44_194
; %bb.193:                              ;   in Loop: Header=BB44_5 Depth=1
	v_dual_mov_b32 v7, s16 :: v_dual_mov_b32 v8, s17
	flat_load_b32 v7, v[7:8] glc dlc
	s_waitcnt vmcnt(0) lgkmcnt(0)
	v_dual_add_f32 v8, v12, v12 :: v_dual_add_f32 v7, 0x3fc90fdb, v7
.LBB44_194:                             ;   in Loop: Header=BB44_5 Depth=1
	s_or_b32 exec_lo, exec_lo, s5
                                        ; implicit-def: $vgpr9_vgpr10_vgpr11_vgpr12
.LBB44_195:                             ;   in Loop: Header=BB44_5 Depth=1
	s_and_not1_saveexec_b32 s4, s4
	s_cbranch_execz .LBB44_197
; %bb.196:                              ;   in Loop: Header=BB44_5 Depth=1
	s_waitcnt lgkmcnt(0)
	v_add_f32_e32 v7, v11, v11
	v_xor_b32_e32 v8, 0x80000000, v12
.LBB44_197:                             ;   in Loop: Header=BB44_5 Depth=1
	s_or_b32 exec_lo, exec_lo, s4
                                        ; implicit-def: $vgpr9_vgpr10_vgpr11_vgpr12
.LBB44_198:                             ;   in Loop: Header=BB44_5 Depth=1
	s_and_not1_saveexec_b32 s3, s3
	s_cbranch_execz .LBB44_200
; %bb.199:                              ;   in Loop: Header=BB44_5 Depth=1
	s_waitcnt lgkmcnt(0)
	v_dual_add_f32 v7, v12, v12 :: v_dual_mov_b32 v8, 0xff800000
.LBB44_200:                             ;   in Loop: Header=BB44_5 Depth=1
	s_or_b32 exec_lo, exec_lo, s3
.LBB44_201:                             ;   in Loop: Header=BB44_5 Depth=1
	s_delay_alu instid0(SALU_CYCLE_1) | instskip(SKIP_4) | instid1(VALU_DEP_2)
	s_or_b32 exec_lo, exec_lo, s2
	s_waitcnt vmcnt(0)
	v_cmp_o_f32_e32 vcc_lo, v1, v1
	v_cmp_o_f32_e64 s2, v2, v2
	v_dual_mov_b32 v9, s16 :: v_dual_mov_b32 v10, s17
	s_and_b32 s2, vcc_lo, s2
	flat_store_b32 v[9:10], v19 dlc
	s_waitcnt_vscnt null, 0x0
                                        ; implicit-def: $vgpr10
	s_and_saveexec_b32 s3, s2
	s_delay_alu instid0(SALU_CYCLE_1)
	s_xor_b32 s33, exec_lo, s3
	s_cbranch_execz .LBB44_285
; %bb.202:                              ;   in Loop: Header=BB44_5 Depth=1
	v_max_f32_e64 v12, |v2|, |v2|
	v_max_f32_e64 v22, |v1|, |v1|
	v_cmp_gt_i32_e64 s3, 0, v1
	v_cmp_lt_i32_e64 s4, -1, v1
	v_cmp_gt_i32_e64 s2, 0, v2
                                        ; implicit-def: $vgpr10
	s_mov_b32 s5, exec_lo
	v_max_f32_e32 v11, v22, v12
	s_delay_alu instid0(VALU_DEP_1)
	v_cmpx_nlt_f32_e32 0x4b000000, v11
	s_xor_b32 s34, exec_lo, s5
	s_cbranch_execz .LBB44_274
; %bb.203:                              ;   in Loop: Header=BB44_5 Depth=1
	v_cmp_neq_f32_e32 vcc_lo, 1.0, v1
	v_cmp_neq_f32_e64 s5, 0, v2
                                        ; implicit-def: $vgpr10
	s_delay_alu instid0(VALU_DEP_1) | instskip(NEXT) | instid1(SALU_CYCLE_1)
	s_or_b32 s5, vcc_lo, s5
	s_and_saveexec_b32 s6, s5
	s_delay_alu instid0(SALU_CYCLE_1)
	s_xor_b32 s35, exec_lo, s6
	s_cbranch_execz .LBB44_271
; %bb.204:                              ;   in Loop: Header=BB44_5 Depth=1
	v_dual_mov_b32 v9, s18 :: v_dual_mov_b32 v10, s19
	v_cmp_ngt_f32_e64 s5, 0x395db3d7, |v1|
	v_cmp_ngt_f32_e64 s6, 0x395db3d7, |v2|
	flat_store_b32 v[9:10], v20 dlc
	s_waitcnt_vscnt null, 0x0
	flat_load_b32 v9, v[9:10] glc dlc
	s_waitcnt vmcnt(0)
	s_or_b32 s5, s5, s6
	s_waitcnt lgkmcnt(0)
	v_add_f32_e32 v11, 1.0, v9
	v_dual_mov_b32 v9, s20 :: v_dual_mov_b32 v10, s21
	flat_store_b32 v[9:10], v11 dlc
	s_waitcnt_vscnt null, 0x0
	flat_load_b32 v9, v[9:10] glc dlc
	s_waitcnt vmcnt(0)
                                        ; implicit-def: $vgpr10
	s_and_saveexec_b32 s6, s5
	s_delay_alu instid0(SALU_CYCLE_1)
	s_xor_b32 s36, exec_lo, s6
	s_cbranch_execz .LBB44_268
; %bb.205:                              ;   in Loop: Header=BB44_5 Depth=1
	v_add_f32_e64 v11, |v1|, 1.0
	v_add_f32_e64 v10, |v1|, -1.0
	s_mov_b32 s5, exec_lo
	s_waitcnt vmcnt(0) lgkmcnt(0)
	s_delay_alu instid0(VALU_DEP_2) | instskip(NEXT) | instid1(VALU_DEP_2)
	v_max_f32_e64 v9, v12, |v11|
	v_max_f32_e64 v12, v12, |v10|
	s_delay_alu instid0(VALU_DEP_2) | instskip(NEXT) | instid1(VALU_DEP_2)
	v_cvt_f64_f32_e32 v[22:23], v9
	v_cvt_f64_f32_e32 v[24:25], v12
	v_cmp_neq_f32_e32 vcc_lo, 0x7f800000, v9
	s_delay_alu instid0(VALU_DEP_3) | instskip(NEXT) | instid1(VALU_DEP_3)
	v_frexp_exp_i32_f64_e32 v22, v[22:23]
	v_frexp_exp_i32_f64_e32 v23, v[24:25]
	s_delay_alu instid0(VALU_DEP_2) | instskip(NEXT) | instid1(VALU_DEP_2)
	v_sub_nc_u32_e32 v24, 0, v22
	v_sub_nc_u32_e32 v25, 0, v23
	s_delay_alu instid0(VALU_DEP_2) | instskip(NEXT) | instid1(VALU_DEP_2)
	v_ldexp_f32 v26, |v11|, v24
	v_ldexp_f32 v27, |v10|, v25
	;; [unrolled: 1-line block ×4, first 2 shown]
	s_delay_alu instid0(VALU_DEP_3) | instskip(NEXT) | instid1(VALU_DEP_1)
	v_dual_mul_f32 v26, v26, v26 :: v_dual_mul_f32 v27, v27, v27
	v_dual_fmac_f32 v26, v24, v24 :: v_dual_fmac_f32 v27, v25, v25
	s_delay_alu instid0(VALU_DEP_1) | instskip(NEXT) | instid1(VALU_DEP_1)
	v_sqrt_f32_e32 v24, v26
	v_sqrt_f32_e32 v25, v27
	s_waitcnt_depctr 0xfff
	v_ldexp_f32 v22, v24, v22
	v_ldexp_f32 v23, v25, v23
	s_delay_alu instid0(VALU_DEP_2) | instskip(SKIP_1) | instid1(VALU_DEP_3)
	v_cndmask_b32_e32 v24, 0x7f800000, v22, vcc_lo
	v_cmp_neq_f32_e32 vcc_lo, 0x7f800000, v12
                                        ; implicit-def: $vgpr22
	v_cndmask_b32_e32 v12, 0x7f800000, v23, vcc_lo
	s_delay_alu instid0(VALU_DEP_1) | instskip(NEXT) | instid1(VALU_DEP_1)
	v_add_f32_e32 v9, v24, v12
	v_mul_f32_e32 v9, 0.5, v9
	s_delay_alu instid0(VALU_DEP_1) | instskip(SKIP_1) | instid1(VALU_DEP_1)
	v_cmp_ngt_f32_e32 vcc_lo, 1.0, v9
	v_cndmask_b32_e32 v9, 1.0, v9, vcc_lo
	v_cmpx_ngt_f32_e32 0x41200000, v9
	s_xor_b32 s6, exec_lo, s5
	s_cbranch_execz .LBB44_207
; %bb.206:                              ;   in Loop: Header=BB44_5 Depth=1
	v_fma_f32 v22, v9, v9, -1.0
	s_delay_alu instid0(VALU_DEP_1) | instskip(SKIP_1) | instid1(VALU_DEP_2)
	v_mul_f32_e32 v23, 0x4f800000, v22
	v_cmp_gt_f32_e32 vcc_lo, 0xf800000, v22
	v_cndmask_b32_e32 v22, v22, v23, vcc_lo
	s_delay_alu instid0(VALU_DEP_1) | instskip(SKIP_3) | instid1(VALU_DEP_2)
	v_sqrt_f32_e32 v23, v22
	s_waitcnt_depctr 0xfff
	v_add_nc_u32_e32 v25, -1, v23
	v_add_nc_u32_e32 v26, 1, v23
	v_fma_f32 v27, -v25, v23, v22
	s_delay_alu instid0(VALU_DEP_2) | instskip(NEXT) | instid1(VALU_DEP_2)
	v_fma_f32 v28, -v26, v23, v22
	v_cmp_ge_f32_e64 s5, 0, v27
	s_delay_alu instid0(VALU_DEP_1) | instskip(NEXT) | instid1(VALU_DEP_3)
	v_cndmask_b32_e64 v23, v23, v25, s5
	v_cmp_lt_f32_e64 s5, 0, v28
	s_delay_alu instid0(VALU_DEP_1) | instskip(NEXT) | instid1(VALU_DEP_1)
	v_cndmask_b32_e64 v23, v23, v26, s5
	v_mul_f32_e32 v25, 0x37800000, v23
	s_delay_alu instid0(VALU_DEP_1) | instskip(SKIP_1) | instid1(VALU_DEP_2)
	v_cndmask_b32_e32 v23, v23, v25, vcc_lo
	v_cmp_class_f32_e64 vcc_lo, v22, 0x260
	v_cndmask_b32_e32 v22, v23, v22, vcc_lo
	s_delay_alu instid0(VALU_DEP_1) | instskip(NEXT) | instid1(VALU_DEP_1)
	v_add_f32_e32 v22, v9, v22
	v_cmp_gt_f32_e32 vcc_lo, 0x800000, v22
	s_delay_alu instid0(VALU_DEP_4) | instskip(NEXT) | instid1(VALU_DEP_1)
	v_cndmask_b32_e64 v23, 1.0, 0x4f800000, vcc_lo
	v_mul_f32_e32 v22, v22, v23
	s_delay_alu instid0(VALU_DEP_1) | instskip(SKIP_3) | instid1(VALU_DEP_2)
	v_log_f32_e32 v22, v22
	s_waitcnt_depctr 0xfff
	v_mul_f32_e32 v23, 0x3f317217, v22
	v_cmp_gt_f32_e64 s5, 0x7f800000, |v22|
	v_fma_f32 v25, 0x3f317217, v22, -v23
	s_delay_alu instid0(VALU_DEP_1) | instskip(NEXT) | instid1(VALU_DEP_1)
	v_fmac_f32_e32 v25, 0x3377d1cf, v22
	v_add_f32_e32 v23, v23, v25
	s_delay_alu instid0(VALU_DEP_1) | instskip(SKIP_1) | instid1(VALU_DEP_1)
	v_cndmask_b32_e64 v22, v22, v23, s5
	v_cndmask_b32_e64 v23, 0, 0x41b17218, vcc_lo
	v_sub_f32_e32 v22, v22, v23
.LBB44_207:                             ;   in Loop: Header=BB44_5 Depth=1
	s_or_saveexec_b32 s6, s6
	v_and_b32_e32 v23, 0x7fffffff, v2
	s_xor_b32 exec_lo, exec_lo, s6
	s_cbranch_execz .LBB44_229
; %bb.208:                              ;   in Loop: Header=BB44_5 Depth=1
	v_cmp_neq_f32_e64 s5, |v1|, 1.0
	v_cmp_ngt_f32_e64 s37, 0x25000000, |v2|
                                        ; implicit-def: $vgpr22
	s_delay_alu instid0(VALU_DEP_1) | instskip(NEXT) | instid1(SALU_CYCLE_1)
	s_or_b32 s5, s5, s37
	s_and_saveexec_b32 s37, s5
	s_delay_alu instid0(SALU_CYCLE_1)
	s_xor_b32 s37, exec_lo, s37
	s_cbranch_execz .LBB44_226
; %bb.209:                              ;   in Loop: Header=BB44_5 Depth=1
	v_mul_f32_e64 v22, 0x34000000, |v10|
	s_delay_alu instid0(VALU_DEP_1) | instskip(NEXT) | instid1(VALU_DEP_1)
	v_cmp_le_f32_e64 s5, v22, |v2|
                                        ; implicit-def: $vgpr22
	s_and_saveexec_b32 s38, s5
	s_delay_alu instid0(SALU_CYCLE_1)
	s_xor_b32 s38, exec_lo, s38
	s_cbranch_execz .LBB44_219
; %bb.210:                              ;   in Loop: Header=BB44_5 Depth=1
	v_mov_b32_e32 v22, v23
	s_mov_b32 s5, exec_lo
	v_cmpx_neq_f32_e32 0, v11
	s_cbranch_execz .LBB44_212
; %bb.211:                              ;   in Loop: Header=BB44_5 Depth=1
	v_dual_mul_f32 v22, v2, v2 :: v_dual_add_f32 v25, v11, v24
	s_delay_alu instid0(VALU_DEP_1) | instskip(NEXT) | instid1(VALU_DEP_1)
	v_div_scale_f32 v26, null, v25, v25, v22
	v_rcp_f32_e32 v27, v26
	s_waitcnt_depctr 0xfff
	v_fma_f32 v28, -v26, v27, 1.0
	s_delay_alu instid0(VALU_DEP_1) | instskip(SKIP_1) | instid1(VALU_DEP_1)
	v_fmac_f32_e32 v27, v28, v27
	v_div_scale_f32 v28, vcc_lo, v22, v25, v22
	v_mul_f32_e32 v29, v28, v27
	s_delay_alu instid0(VALU_DEP_1) | instskip(NEXT) | instid1(VALU_DEP_1)
	v_fma_f32 v30, -v26, v29, v28
	v_fmac_f32_e32 v29, v30, v27
	s_delay_alu instid0(VALU_DEP_1) | instskip(NEXT) | instid1(VALU_DEP_1)
	v_fma_f32 v26, -v26, v29, v28
	v_div_fmas_f32 v26, v26, v27, v29
	s_delay_alu instid0(VALU_DEP_1)
	v_div_fixup_f32 v22, v26, v25, v22
.LBB44_212:                             ;   in Loop: Header=BB44_5 Depth=1
	s_or_b32 exec_lo, exec_lo, s5
	v_sub_f32_e64 v26, 1.0, |v1|
	s_mov_b32 s5, exec_lo
                                        ; implicit-def: $vgpr25
	s_delay_alu instid0(VALU_DEP_1)
	v_cmpx_ngt_f32_e32 0, v26
	s_xor_b32 s5, exec_lo, s5
	s_cbranch_execz .LBB44_216
; %bb.213:                              ;   in Loop: Header=BB44_5 Depth=1
	v_mov_b32_e32 v25, v23
	s_mov_b32 s39, exec_lo
	v_cmpx_neq_f32_e32 0, v26
	s_cbranch_execz .LBB44_215
; %bb.214:                              ;   in Loop: Header=BB44_5 Depth=1
	v_mul_f32_e32 v25, v2, v2
	v_add_f32_e32 v26, v26, v12
	s_delay_alu instid0(VALU_DEP_1) | instskip(NEXT) | instid1(VALU_DEP_1)
	v_div_scale_f32 v27, null, v26, v26, v25
	v_rcp_f32_e32 v28, v27
	s_waitcnt_depctr 0xfff
	v_fma_f32 v29, -v27, v28, 1.0
	s_delay_alu instid0(VALU_DEP_1) | instskip(SKIP_1) | instid1(VALU_DEP_1)
	v_fmac_f32_e32 v28, v29, v28
	v_div_scale_f32 v29, vcc_lo, v25, v26, v25
	v_mul_f32_e32 v30, v29, v28
	s_delay_alu instid0(VALU_DEP_1) | instskip(NEXT) | instid1(VALU_DEP_1)
	v_fma_f32 v31, -v27, v30, v29
	v_fmac_f32_e32 v30, v31, v28
	s_delay_alu instid0(VALU_DEP_1) | instskip(NEXT) | instid1(VALU_DEP_1)
	v_fma_f32 v27, -v27, v30, v29
	v_div_fmas_f32 v27, v27, v28, v30
	s_delay_alu instid0(VALU_DEP_1)
	v_div_fixup_f32 v25, v27, v26, v25
.LBB44_215:                             ;   in Loop: Header=BB44_5 Depth=1
	s_or_b32 exec_lo, exec_lo, s39
                                        ; implicit-def: $vgpr26
.LBB44_216:                             ;   in Loop: Header=BB44_5 Depth=1
	s_and_not1_saveexec_b32 s5, s5
; %bb.217:                              ;   in Loop: Header=BB44_5 Depth=1
	v_sub_f32_e32 v25, v12, v26
; %bb.218:                              ;   in Loop: Header=BB44_5 Depth=1
	s_or_b32 exec_lo, exec_lo, s5
	s_delay_alu instid0(VALU_DEP_1) | instskip(NEXT) | instid1(VALU_DEP_1)
	v_mul_f32_e32 v25, 0.5, v25
	v_dual_add_f32 v26, 1.0, v9 :: v_dual_fmac_f32 v25, 0.5, v22
	s_delay_alu instid0(VALU_DEP_1) | instskip(NEXT) | instid1(VALU_DEP_1)
	v_mul_f32_e32 v22, v26, v25
	v_mul_f32_e32 v26, 0x4f800000, v22
	v_cmp_gt_f32_e32 vcc_lo, 0xf800000, v22
	s_delay_alu instid0(VALU_DEP_2) | instskip(NEXT) | instid1(VALU_DEP_1)
	v_cndmask_b32_e32 v22, v22, v26, vcc_lo
	v_sqrt_f32_e32 v26, v22
	s_waitcnt_depctr 0xfff
	v_add_nc_u32_e32 v27, -1, v26
	v_add_nc_u32_e32 v28, 1, v26
	s_delay_alu instid0(VALU_DEP_2) | instskip(NEXT) | instid1(VALU_DEP_2)
	v_fma_f32 v29, -v27, v26, v22
	v_fma_f32 v30, -v28, v26, v22
	s_delay_alu instid0(VALU_DEP_2) | instskip(NEXT) | instid1(VALU_DEP_1)
	v_cmp_ge_f32_e64 s5, 0, v29
	v_cndmask_b32_e64 v26, v26, v27, s5
	s_delay_alu instid0(VALU_DEP_3) | instskip(NEXT) | instid1(VALU_DEP_1)
	v_cmp_lt_f32_e64 s5, 0, v30
	v_cndmask_b32_e64 v26, v26, v28, s5
	s_delay_alu instid0(VALU_DEP_1) | instskip(NEXT) | instid1(VALU_DEP_1)
	v_mul_f32_e32 v27, 0x37800000, v26
	v_cndmask_b32_e32 v26, v26, v27, vcc_lo
	v_cmp_class_f32_e64 vcc_lo, v22, 0x260
	s_delay_alu instid0(VALU_DEP_2) | instskip(NEXT) | instid1(VALU_DEP_1)
	v_cndmask_b32_e32 v22, v26, v22, vcc_lo
	v_add_f32_e32 v22, v25, v22
	s_delay_alu instid0(VALU_DEP_1) | instskip(NEXT) | instid1(VALU_DEP_1)
	v_add_f32_e32 v27, 1.0, v22
	v_cvt_f64_f32_e32 v[25:26], v27
	s_delay_alu instid0(VALU_DEP_1) | instskip(SKIP_1) | instid1(VALU_DEP_1)
	v_frexp_exp_i32_f64_e32 v25, v[25:26]
	v_frexp_mant_f32_e32 v26, v27
	v_cmp_gt_f32_e32 vcc_lo, 0x3f2aaaab, v26
	v_add_f32_e32 v26, -1.0, v27
	s_delay_alu instid0(VALU_DEP_1) | instskip(NEXT) | instid1(VALU_DEP_1)
	v_sub_f32_e32 v29, v26, v27
	v_add_f32_e32 v29, 1.0, v29
	v_subrev_co_ci_u32_e32 v25, vcc_lo, 0, v25, vcc_lo
	s_delay_alu instid0(VALU_DEP_1) | instskip(SKIP_1) | instid1(VALU_DEP_2)
	v_sub_nc_u32_e32 v28, 0, v25
	v_cvt_f32_i32_e32 v25, v25
	v_ldexp_f32 v27, v27, v28
	v_sub_f32_e32 v26, v22, v26
	s_delay_alu instid0(VALU_DEP_1) | instskip(NEXT) | instid1(VALU_DEP_1)
	v_add_f32_e32 v26, v26, v29
	v_ldexp_f32 v26, v26, v28
	s_delay_alu instid0(VALU_DEP_4) | instskip(NEXT) | instid1(VALU_DEP_1)
	v_add_f32_e32 v30, 1.0, v27
	v_add_f32_e32 v29, -1.0, v30
	s_delay_alu instid0(VALU_DEP_1) | instskip(NEXT) | instid1(VALU_DEP_1)
	v_sub_f32_e32 v29, v27, v29
	v_dual_add_f32 v29, v26, v29 :: v_dual_add_f32 v28, -1.0, v27
	s_delay_alu instid0(VALU_DEP_1) | instskip(SKIP_1) | instid1(VALU_DEP_2)
	v_add_f32_e32 v31, 1.0, v28
	v_cmp_eq_f32_e32 vcc_lo, 0x7f800000, v22
	v_sub_f32_e32 v27, v27, v31
	s_delay_alu instid0(VALU_DEP_4) | instskip(NEXT) | instid1(VALU_DEP_1)
	v_add_f32_e32 v31, v30, v29
	v_sub_f32_e32 v30, v31, v30
	s_delay_alu instid0(VALU_DEP_3) | instskip(SKIP_1) | instid1(VALU_DEP_2)
	v_add_f32_e32 v26, v26, v27
	v_rcp_f32_e32 v27, v31
	v_sub_f32_e32 v29, v29, v30
	s_delay_alu instid0(VALU_DEP_2) | instskip(NEXT) | instid1(VALU_DEP_1)
	v_add_f32_e32 v32, v28, v26
	v_sub_f32_e32 v28, v32, v28
	s_waitcnt_depctr 0xfff
	v_dual_mul_f32 v33, v32, v27 :: v_dual_sub_f32 v26, v26, v28
	s_delay_alu instid0(VALU_DEP_1) | instskip(NEXT) | instid1(VALU_DEP_1)
	v_mul_f32_e32 v34, v31, v33
	v_fma_f32 v30, v33, v31, -v34
	s_delay_alu instid0(VALU_DEP_1) | instskip(NEXT) | instid1(VALU_DEP_1)
	v_fmac_f32_e32 v30, v33, v29
	v_add_f32_e32 v35, v34, v30
	s_delay_alu instid0(VALU_DEP_1) | instskip(NEXT) | instid1(VALU_DEP_1)
	v_sub_f32_e32 v36, v32, v35
	v_sub_f32_e32 v32, v32, v36
	;; [unrolled: 1-line block ×3, first 2 shown]
	s_delay_alu instid0(VALU_DEP_2) | instskip(NEXT) | instid1(VALU_DEP_2)
	v_sub_f32_e32 v32, v32, v35
	v_sub_f32_e32 v28, v28, v30
	s_delay_alu instid0(VALU_DEP_2) | instskip(NEXT) | instid1(VALU_DEP_1)
	v_add_f32_e32 v26, v26, v32
	v_add_f32_e32 v26, v28, v26
	s_delay_alu instid0(VALU_DEP_1) | instskip(NEXT) | instid1(VALU_DEP_1)
	v_add_f32_e32 v28, v36, v26
	v_mul_f32_e32 v30, v27, v28
	s_delay_alu instid0(VALU_DEP_1) | instskip(NEXT) | instid1(VALU_DEP_1)
	v_dual_sub_f32 v35, v36, v28 :: v_dual_mul_f32 v32, v31, v30
	v_add_f32_e32 v26, v26, v35
	s_delay_alu instid0(VALU_DEP_2) | instskip(NEXT) | instid1(VALU_DEP_1)
	v_fma_f32 v31, v30, v31, -v32
	v_fmac_f32_e32 v31, v30, v29
	s_delay_alu instid0(VALU_DEP_1) | instskip(NEXT) | instid1(VALU_DEP_1)
	v_add_f32_e32 v29, v32, v31
	v_sub_f32_e32 v34, v28, v29
	v_sub_f32_e32 v32, v29, v32
	s_delay_alu instid0(VALU_DEP_2) | instskip(NEXT) | instid1(VALU_DEP_1)
	v_sub_f32_e32 v28, v28, v34
	v_sub_f32_e32 v28, v28, v29
	s_delay_alu instid0(VALU_DEP_1) | instskip(SKIP_1) | instid1(VALU_DEP_1)
	v_dual_sub_f32 v29, v32, v31 :: v_dual_add_f32 v26, v26, v28
	v_add_f32_e32 v28, v33, v30
	v_dual_add_f32 v26, v29, v26 :: v_dual_sub_f32 v29, v28, v33
	s_delay_alu instid0(VALU_DEP_1) | instskip(NEXT) | instid1(VALU_DEP_1)
	v_add_f32_e32 v26, v34, v26
	v_dual_sub_f32 v29, v30, v29 :: v_dual_mul_f32 v26, v27, v26
	s_delay_alu instid0(VALU_DEP_1) | instskip(NEXT) | instid1(VALU_DEP_1)
	v_add_f32_e32 v26, v29, v26
	v_add_f32_e32 v27, v28, v26
	s_delay_alu instid0(VALU_DEP_1) | instskip(NEXT) | instid1(VALU_DEP_1)
	v_mul_f32_e32 v29, v27, v27
	v_fmaak_f32 v30, s29, v29, 0x3ecc95a3
	v_mul_f32_e32 v31, v27, v29
	s_delay_alu instid0(VALU_DEP_2) | instskip(SKIP_2) | instid1(VALU_DEP_3)
	v_fmaak_f32 v29, v29, v30, 0x3f2aaada
	v_ldexp_f32 v30, v27, 1
	v_sub_f32_e32 v27, v27, v28
	v_mul_f32_e32 v29, v31, v29
	s_delay_alu instid0(VALU_DEP_2) | instskip(NEXT) | instid1(VALU_DEP_2)
	v_dual_mul_f32 v31, 0x3f317218, v25 :: v_dual_sub_f32 v26, v26, v27
	v_add_f32_e32 v28, v30, v29
	s_delay_alu instid0(VALU_DEP_2) | instskip(NEXT) | instid1(VALU_DEP_2)
	v_ldexp_f32 v26, v26, 1
	v_sub_f32_e32 v27, v28, v30
	s_delay_alu instid0(VALU_DEP_4) | instskip(NEXT) | instid1(VALU_DEP_1)
	v_fma_f32 v30, 0x3f317218, v25, -v31
	v_dual_sub_f32 v27, v29, v27 :: v_dual_fmac_f32 v30, 0xb102e308, v25
	s_delay_alu instid0(VALU_DEP_1) | instskip(NEXT) | instid1(VALU_DEP_1)
	v_dual_add_f32 v25, v26, v27 :: v_dual_add_f32 v26, v31, v30
	v_add_f32_e32 v27, v28, v25
	s_delay_alu instid0(VALU_DEP_2) | instskip(NEXT) | instid1(VALU_DEP_2)
	v_sub_f32_e32 v31, v26, v31
	v_dual_add_f32 v29, v26, v27 :: v_dual_sub_f32 v28, v27, v28
	s_delay_alu instid0(VALU_DEP_2) | instskip(NEXT) | instid1(VALU_DEP_2)
	v_sub_f32_e32 v30, v30, v31
	v_sub_f32_e32 v32, v29, v26
	s_delay_alu instid0(VALU_DEP_3) | instskip(NEXT) | instid1(VALU_DEP_2)
	v_sub_f32_e32 v25, v25, v28
	v_sub_f32_e32 v33, v29, v32
	s_delay_alu instid0(VALU_DEP_2) | instskip(NEXT) | instid1(VALU_DEP_2)
	v_dual_sub_f32 v27, v27, v32 :: v_dual_add_f32 v28, v30, v25
	v_sub_f32_e32 v26, v26, v33
	s_delay_alu instid0(VALU_DEP_1) | instskip(NEXT) | instid1(VALU_DEP_3)
	v_add_f32_e32 v26, v27, v26
	v_sub_f32_e32 v27, v28, v30
	s_delay_alu instid0(VALU_DEP_2) | instskip(NEXT) | instid1(VALU_DEP_2)
	v_add_f32_e32 v26, v28, v26
	v_sub_f32_e32 v28, v28, v27
	v_sub_f32_e32 v25, v25, v27
	s_delay_alu instid0(VALU_DEP_2) | instskip(NEXT) | instid1(VALU_DEP_1)
	v_dual_add_f32 v31, v29, v26 :: v_dual_sub_f32 v28, v30, v28
	v_sub_f32_e32 v27, v31, v29
	s_delay_alu instid0(VALU_DEP_1) | instskip(NEXT) | instid1(VALU_DEP_1)
	v_dual_add_f32 v25, v25, v28 :: v_dual_sub_f32 v26, v26, v27
	v_add_f32_e32 v25, v25, v26
	s_delay_alu instid0(VALU_DEP_1) | instskip(NEXT) | instid1(VALU_DEP_1)
	v_add_f32_e32 v25, v31, v25
	v_cndmask_b32_e32 v25, v25, v22, vcc_lo
	v_cmp_ngt_f32_e32 vcc_lo, -1.0, v22
	s_delay_alu instid0(VALU_DEP_2) | instskip(SKIP_1) | instid1(VALU_DEP_2)
	v_cndmask_b32_e32 v25, 0x7fc00000, v25, vcc_lo
	v_cmp_neq_f32_e32 vcc_lo, -1.0, v22
	v_cndmask_b32_e32 v25, 0xff800000, v25, vcc_lo
	v_cmp_gt_f32_e64 vcc_lo, 0x33800000, |v22|
	s_delay_alu instid0(VALU_DEP_2)
	v_cndmask_b32_e32 v22, v25, v22, vcc_lo
.LBB44_219:                             ;   in Loop: Header=BB44_5 Depth=1
	s_and_not1_saveexec_b32 s38, s38
	s_cbranch_execz .LBB44_225
; %bb.220:                              ;   in Loop: Header=BB44_5 Depth=1
	s_mov_b32 s39, exec_lo
                                        ; implicit-def: $vgpr22
	v_cmpx_nlt_f32_e64 |v1|, 1.0
	s_xor_b32 s39, exec_lo, s39
	s_cbranch_execz .LBB44_222
; %bb.221:                              ;   in Loop: Header=BB44_5 Depth=1
	v_mul_f32_e32 v22, v10, v11
	s_delay_alu instid0(VALU_DEP_1) | instskip(SKIP_1) | instid1(VALU_DEP_2)
	v_mul_f32_e32 v25, 0x4f800000, v22
	v_cmp_gt_f32_e32 vcc_lo, 0xf800000, v22
	v_cndmask_b32_e32 v22, v22, v25, vcc_lo
	s_delay_alu instid0(VALU_DEP_1) | instskip(SKIP_3) | instid1(VALU_DEP_2)
	v_sqrt_f32_e32 v25, v22
	s_waitcnt_depctr 0xfff
	v_add_nc_u32_e32 v26, -1, v25
	v_add_nc_u32_e32 v27, 1, v25
	v_fma_f32 v28, -v26, v25, v22
	s_delay_alu instid0(VALU_DEP_2) | instskip(NEXT) | instid1(VALU_DEP_2)
	v_fma_f32 v29, -v27, v25, v22
	v_cmp_ge_f32_e64 s5, 0, v28
	s_delay_alu instid0(VALU_DEP_1) | instskip(NEXT) | instid1(VALU_DEP_3)
	v_cndmask_b32_e64 v25, v25, v26, s5
	v_cmp_lt_f32_e64 s5, 0, v29
	s_delay_alu instid0(VALU_DEP_1) | instskip(NEXT) | instid1(VALU_DEP_1)
	v_cndmask_b32_e64 v25, v25, v27, s5
	v_mul_f32_e32 v26, 0x37800000, v25
	s_delay_alu instid0(VALU_DEP_1) | instskip(SKIP_1) | instid1(VALU_DEP_2)
	v_cndmask_b32_e32 v25, v25, v26, vcc_lo
	v_cmp_class_f32_e64 vcc_lo, v22, 0x260
	v_cndmask_b32_e32 v22, v25, v22, vcc_lo
	s_delay_alu instid0(VALU_DEP_1) | instskip(NEXT) | instid1(VALU_DEP_1)
	v_add_f32_e32 v22, v10, v22
	v_add_f32_e32 v27, 1.0, v22
	s_delay_alu instid0(VALU_DEP_1) | instskip(NEXT) | instid1(VALU_DEP_1)
	v_cvt_f64_f32_e32 v[25:26], v27
	v_frexp_exp_i32_f64_e32 v25, v[25:26]
	v_frexp_mant_f32_e32 v26, v27
	s_delay_alu instid0(VALU_DEP_1) | instskip(SKIP_1) | instid1(VALU_DEP_1)
	v_cmp_gt_f32_e32 vcc_lo, 0x3f2aaaab, v26
	v_add_f32_e32 v26, -1.0, v27
	v_sub_f32_e32 v29, v26, v27
	s_delay_alu instid0(VALU_DEP_1) | instskip(SKIP_2) | instid1(VALU_DEP_2)
	v_add_f32_e32 v29, 1.0, v29
	v_subrev_co_ci_u32_e32 v25, vcc_lo, 0, v25, vcc_lo
	v_cmp_eq_f32_e32 vcc_lo, 0x7f800000, v22
	v_sub_nc_u32_e32 v28, 0, v25
	v_cvt_f32_i32_e32 v25, v25
	s_delay_alu instid0(VALU_DEP_2) | instskip(SKIP_1) | instid1(VALU_DEP_1)
	v_ldexp_f32 v27, v27, v28
	v_sub_f32_e32 v26, v22, v26
	v_add_f32_e32 v26, v26, v29
	s_delay_alu instid0(VALU_DEP_1) | instskip(NEXT) | instid1(VALU_DEP_4)
	v_ldexp_f32 v26, v26, v28
	v_add_f32_e32 v28, -1.0, v27
	s_delay_alu instid0(VALU_DEP_1) | instskip(NEXT) | instid1(VALU_DEP_1)
	v_dual_add_f32 v30, 1.0, v27 :: v_dual_add_f32 v31, 1.0, v28
	v_add_f32_e32 v29, -1.0, v30
	s_delay_alu instid0(VALU_DEP_1) | instskip(NEXT) | instid1(VALU_DEP_3)
	v_sub_f32_e32 v29, v27, v29
	v_sub_f32_e32 v27, v27, v31
	s_delay_alu instid0(VALU_DEP_2) | instskip(NEXT) | instid1(VALU_DEP_2)
	v_add_f32_e32 v29, v26, v29
	v_add_f32_e32 v26, v26, v27
	s_delay_alu instid0(VALU_DEP_1) | instskip(NEXT) | instid1(VALU_DEP_1)
	v_dual_add_f32 v31, v30, v29 :: v_dual_add_f32 v32, v28, v26
	v_rcp_f32_e32 v27, v31
	v_sub_f32_e32 v30, v31, v30
	s_delay_alu instid0(VALU_DEP_1) | instskip(SKIP_2) | instid1(VALU_DEP_1)
	v_dual_sub_f32 v28, v32, v28 :: v_dual_sub_f32 v29, v29, v30
	s_waitcnt_depctr 0xfff
	v_dual_sub_f32 v26, v26, v28 :: v_dual_mul_f32 v33, v32, v27
	v_mul_f32_e32 v34, v31, v33
	s_delay_alu instid0(VALU_DEP_1) | instskip(NEXT) | instid1(VALU_DEP_1)
	v_fma_f32 v30, v33, v31, -v34
	v_fmac_f32_e32 v30, v33, v29
	s_delay_alu instid0(VALU_DEP_1) | instskip(NEXT) | instid1(VALU_DEP_1)
	v_add_f32_e32 v35, v34, v30
	v_sub_f32_e32 v36, v32, v35
	v_sub_f32_e32 v28, v35, v34
	s_delay_alu instid0(VALU_DEP_2) | instskip(NEXT) | instid1(VALU_DEP_2)
	v_sub_f32_e32 v32, v32, v36
	v_sub_f32_e32 v28, v28, v30
	s_delay_alu instid0(VALU_DEP_2) | instskip(NEXT) | instid1(VALU_DEP_1)
	v_sub_f32_e32 v32, v32, v35
	v_add_f32_e32 v26, v26, v32
	s_delay_alu instid0(VALU_DEP_1) | instskip(NEXT) | instid1(VALU_DEP_1)
	v_add_f32_e32 v26, v28, v26
	v_add_f32_e32 v28, v36, v26
	s_delay_alu instid0(VALU_DEP_1) | instskip(NEXT) | instid1(VALU_DEP_1)
	v_mul_f32_e32 v30, v27, v28
	v_mul_f32_e32 v32, v31, v30
	s_delay_alu instid0(VALU_DEP_1) | instskip(NEXT) | instid1(VALU_DEP_1)
	v_fma_f32 v31, v30, v31, -v32
	v_fmac_f32_e32 v31, v30, v29
	v_sub_f32_e32 v35, v36, v28
	s_delay_alu instid0(VALU_DEP_2) | instskip(NEXT) | instid1(VALU_DEP_2)
	v_add_f32_e32 v29, v32, v31
	v_add_f32_e32 v26, v26, v35
	s_delay_alu instid0(VALU_DEP_2) | instskip(SKIP_1) | instid1(VALU_DEP_2)
	v_sub_f32_e32 v34, v28, v29
	v_sub_f32_e32 v32, v29, v32
	;; [unrolled: 1-line block ×3, first 2 shown]
	s_delay_alu instid0(VALU_DEP_1) | instskip(NEXT) | instid1(VALU_DEP_1)
	v_sub_f32_e32 v28, v28, v29
	v_dual_sub_f32 v29, v32, v31 :: v_dual_add_f32 v26, v26, v28
	v_add_f32_e32 v28, v33, v30
	s_delay_alu instid0(VALU_DEP_1) | instskip(NEXT) | instid1(VALU_DEP_1)
	v_dual_add_f32 v26, v29, v26 :: v_dual_sub_f32 v29, v28, v33
	v_add_f32_e32 v26, v34, v26
	s_delay_alu instid0(VALU_DEP_1) | instskip(NEXT) | instid1(VALU_DEP_1)
	v_dual_sub_f32 v29, v30, v29 :: v_dual_mul_f32 v26, v27, v26
	v_add_f32_e32 v26, v29, v26
	s_delay_alu instid0(VALU_DEP_1) | instskip(NEXT) | instid1(VALU_DEP_1)
	v_add_f32_e32 v27, v28, v26
	v_mul_f32_e32 v29, v27, v27
	s_delay_alu instid0(VALU_DEP_1) | instskip(SKIP_1) | instid1(VALU_DEP_2)
	v_fmaak_f32 v30, s29, v29, 0x3ecc95a3
	v_mul_f32_e32 v31, v27, v29
	v_fmaak_f32 v29, v29, v30, 0x3f2aaada
	v_ldexp_f32 v30, v27, 1
	v_sub_f32_e32 v27, v27, v28
	s_delay_alu instid0(VALU_DEP_3) | instskip(NEXT) | instid1(VALU_DEP_2)
	v_mul_f32_e32 v29, v31, v29
	v_dual_mul_f32 v31, 0x3f317218, v25 :: v_dual_sub_f32 v26, v26, v27
	s_delay_alu instid0(VALU_DEP_2) | instskip(NEXT) | instid1(VALU_DEP_2)
	v_add_f32_e32 v28, v30, v29
	v_ldexp_f32 v26, v26, 1
	s_delay_alu instid0(VALU_DEP_2) | instskip(NEXT) | instid1(VALU_DEP_4)
	v_sub_f32_e32 v27, v28, v30
	v_fma_f32 v30, 0x3f317218, v25, -v31
	s_delay_alu instid0(VALU_DEP_1) | instskip(NEXT) | instid1(VALU_DEP_1)
	v_dual_sub_f32 v27, v29, v27 :: v_dual_fmac_f32 v30, 0xb102e308, v25
	v_dual_add_f32 v25, v26, v27 :: v_dual_add_f32 v26, v31, v30
	s_delay_alu instid0(VALU_DEP_1) | instskip(NEXT) | instid1(VALU_DEP_2)
	v_add_f32_e32 v27, v28, v25
	v_sub_f32_e32 v31, v26, v31
	s_delay_alu instid0(VALU_DEP_2) | instskip(NEXT) | instid1(VALU_DEP_2)
	v_dual_add_f32 v29, v26, v27 :: v_dual_sub_f32 v28, v27, v28
	v_sub_f32_e32 v30, v30, v31
	s_delay_alu instid0(VALU_DEP_2) | instskip(NEXT) | instid1(VALU_DEP_3)
	v_sub_f32_e32 v32, v29, v26
	v_sub_f32_e32 v25, v25, v28
	s_delay_alu instid0(VALU_DEP_2) | instskip(NEXT) | instid1(VALU_DEP_2)
	v_sub_f32_e32 v33, v29, v32
	v_dual_sub_f32 v27, v27, v32 :: v_dual_add_f32 v28, v30, v25
	s_delay_alu instid0(VALU_DEP_2) | instskip(NEXT) | instid1(VALU_DEP_1)
	v_sub_f32_e32 v26, v26, v33
	v_add_f32_e32 v26, v27, v26
	s_delay_alu instid0(VALU_DEP_3) | instskip(NEXT) | instid1(VALU_DEP_2)
	v_sub_f32_e32 v27, v28, v30
	v_add_f32_e32 v26, v28, v26
	s_delay_alu instid0(VALU_DEP_2) | instskip(SKIP_1) | instid1(VALU_DEP_2)
	v_sub_f32_e32 v28, v28, v27
	v_sub_f32_e32 v25, v25, v27
	v_dual_add_f32 v31, v29, v26 :: v_dual_sub_f32 v28, v30, v28
	s_delay_alu instid0(VALU_DEP_1) | instskip(NEXT) | instid1(VALU_DEP_1)
	v_sub_f32_e32 v27, v31, v29
	v_dual_add_f32 v25, v25, v28 :: v_dual_sub_f32 v26, v26, v27
	s_delay_alu instid0(VALU_DEP_1) | instskip(NEXT) | instid1(VALU_DEP_1)
	v_add_f32_e32 v25, v25, v26
	v_add_f32_e32 v25, v31, v25
	s_delay_alu instid0(VALU_DEP_1) | instskip(SKIP_1) | instid1(VALU_DEP_2)
	v_cndmask_b32_e32 v25, v25, v22, vcc_lo
	v_cmp_ngt_f32_e32 vcc_lo, -1.0, v22
	v_cndmask_b32_e32 v25, 0x7fc00000, v25, vcc_lo
	v_cmp_neq_f32_e32 vcc_lo, -1.0, v22
	s_delay_alu instid0(VALU_DEP_2) | instskip(SKIP_1) | instid1(VALU_DEP_2)
	v_cndmask_b32_e32 v25, 0xff800000, v25, vcc_lo
	v_cmp_gt_f32_e64 vcc_lo, 0x33800000, |v22|
	v_cndmask_b32_e32 v22, v25, v22, vcc_lo
.LBB44_222:                             ;   in Loop: Header=BB44_5 Depth=1
	s_and_not1_saveexec_b32 s39, s39
	s_cbranch_execz .LBB44_224
; %bb.223:                              ;   in Loop: Header=BB44_5 Depth=1
	v_sub_f32_e64 v22, 1.0, |v1|
	s_delay_alu instid0(VALU_DEP_1) | instskip(NEXT) | instid1(VALU_DEP_1)
	v_mul_f32_e32 v22, v22, v11
	v_mul_f32_e32 v25, 0x4f800000, v22
	v_cmp_gt_f32_e32 vcc_lo, 0xf800000, v22
	s_delay_alu instid0(VALU_DEP_2) | instskip(NEXT) | instid1(VALU_DEP_1)
	v_cndmask_b32_e32 v22, v22, v25, vcc_lo
	v_sqrt_f32_e32 v25, v22
	s_waitcnt_depctr 0xfff
	v_add_nc_u32_e32 v26, -1, v25
	v_add_nc_u32_e32 v27, 1, v25
	s_delay_alu instid0(VALU_DEP_2) | instskip(NEXT) | instid1(VALU_DEP_2)
	v_fma_f32 v28, -v26, v25, v22
	v_fma_f32 v29, -v27, v25, v22
	s_delay_alu instid0(VALU_DEP_2) | instskip(NEXT) | instid1(VALU_DEP_1)
	v_cmp_ge_f32_e64 s5, 0, v28
	v_cndmask_b32_e64 v25, v25, v26, s5
	s_delay_alu instid0(VALU_DEP_3) | instskip(NEXT) | instid1(VALU_DEP_1)
	v_cmp_lt_f32_e64 s5, 0, v29
	v_cndmask_b32_e64 v25, v25, v27, s5
	s_delay_alu instid0(VALU_DEP_1) | instskip(NEXT) | instid1(VALU_DEP_1)
	v_mul_f32_e32 v26, 0x37800000, v25
	v_cndmask_b32_e32 v25, v25, v26, vcc_lo
	v_cmp_class_f32_e64 vcc_lo, v22, 0x260
	v_and_b32_e32 v26, 0x7fffffff, v2
	s_delay_alu instid0(VALU_DEP_3) | instskip(NEXT) | instid1(VALU_DEP_1)
	v_cndmask_b32_e32 v22, v25, v22, vcc_lo
	v_div_scale_f32 v25, null, v22, v22, v26
	v_div_scale_f32 v26, vcc_lo, v26, v22, v26
	s_delay_alu instid0(VALU_DEP_2) | instskip(SKIP_2) | instid1(VALU_DEP_1)
	v_rcp_f32_e32 v27, v25
	s_waitcnt_depctr 0xfff
	v_fma_f32 v28, -v25, v27, 1.0
	v_fmac_f32_e32 v27, v28, v27
	s_delay_alu instid0(VALU_DEP_1) | instskip(NEXT) | instid1(VALU_DEP_1)
	v_mul_f32_e32 v28, v26, v27
	v_fma_f32 v29, -v25, v28, v26
	s_delay_alu instid0(VALU_DEP_1) | instskip(NEXT) | instid1(VALU_DEP_1)
	v_fmac_f32_e32 v28, v29, v27
	v_fma_f32 v25, -v25, v28, v26
	s_delay_alu instid0(VALU_DEP_1) | instskip(NEXT) | instid1(VALU_DEP_1)
	v_div_fmas_f32 v25, v25, v27, v28
	v_div_fixup_f32 v22, v25, v22, |v2|
.LBB44_224:                             ;   in Loop: Header=BB44_5 Depth=1
	s_or_b32 exec_lo, exec_lo, s39
.LBB44_225:                             ;   in Loop: Header=BB44_5 Depth=1
	s_delay_alu instid0(SALU_CYCLE_1)
	s_or_b32 exec_lo, exec_lo, s38
.LBB44_226:                             ;   in Loop: Header=BB44_5 Depth=1
	s_and_not1_saveexec_b32 s37, s37
	s_cbranch_execz .LBB44_228
; %bb.227:                              ;   in Loop: Header=BB44_5 Depth=1
	v_mul_f32_e64 v22, 0x4f800000, |v2|
	v_cmp_gt_f32_e64 vcc_lo, 0xf800000, |v2|
	s_delay_alu instid0(VALU_DEP_1) | instskip(NEXT) | instid1(VALU_DEP_1)
	v_cndmask_b32_e64 v22, |v2|, v22, vcc_lo
	v_sqrt_f32_e32 v25, v22
	s_waitcnt_depctr 0xfff
	v_add_nc_u32_e32 v26, -1, v25
	v_add_nc_u32_e32 v27, 1, v25
	s_delay_alu instid0(VALU_DEP_2) | instskip(NEXT) | instid1(VALU_DEP_2)
	v_fma_f32 v28, -v26, v25, v22
	v_fma_f32 v29, -v27, v25, v22
	s_delay_alu instid0(VALU_DEP_2) | instskip(NEXT) | instid1(VALU_DEP_1)
	v_cmp_ge_f32_e64 s5, 0, v28
	v_cndmask_b32_e64 v25, v25, v26, s5
	s_delay_alu instid0(VALU_DEP_3) | instskip(NEXT) | instid1(VALU_DEP_1)
	v_cmp_lt_f32_e64 s5, 0, v29
	v_cndmask_b32_e64 v25, v25, v27, s5
	s_delay_alu instid0(VALU_DEP_1) | instskip(NEXT) | instid1(VALU_DEP_1)
	v_mul_f32_e32 v26, 0x37800000, v25
	v_cndmask_b32_e32 v25, v25, v26, vcc_lo
	v_cmp_class_f32_e64 vcc_lo, v22, 0x260
	s_delay_alu instid0(VALU_DEP_2)
	v_cndmask_b32_e32 v22, v25, v22, vcc_lo
.LBB44_228:                             ;   in Loop: Header=BB44_5 Depth=1
	s_or_b32 exec_lo, exec_lo, s37
.LBB44_229:                             ;   in Loop: Header=BB44_5 Depth=1
	s_delay_alu instid0(SALU_CYCLE_1) | instskip(NEXT) | instid1(SALU_CYCLE_1)
	s_or_b32 exec_lo, exec_lo, s6
	s_mov_b32 s37, exec_lo
                                        ; implicit-def: $sgpr5
                                        ; implicit-def: $vgpr25
                                        ; implicit-def: $vgpr27
                                        ; implicit-def: $vgpr26
	v_cmpx_ngt_f32_e64 0x21000000, |v1|
	s_xor_b32 s37, exec_lo, s37
	s_cbranch_execz .LBB44_253
; %bb.230:                              ;   in Loop: Header=BB44_5 Depth=1
	v_and_b32_e32 v26, 0x7fffffff, v1
	s_mov_b32 s5, 0
	s_mov_b32 s38, exec_lo
	s_delay_alu instid0(VALU_DEP_1) | instskip(NEXT) | instid1(VALU_DEP_1)
	v_div_scale_f32 v25, null, v9, v9, v26
	v_rcp_f32_e32 v27, v25
	s_waitcnt_depctr 0xfff
	v_fma_f32 v28, -v25, v27, 1.0
	s_delay_alu instid0(VALU_DEP_1) | instskip(SKIP_1) | instid1(VALU_DEP_1)
	v_fmac_f32_e32 v27, v28, v27
	v_div_scale_f32 v28, vcc_lo, v26, v9, v26
	v_mul_f32_e32 v29, v28, v27
	s_delay_alu instid0(VALU_DEP_1) | instskip(NEXT) | instid1(VALU_DEP_1)
	v_fma_f32 v30, -v25, v29, v28
	v_fmac_f32_e32 v29, v30, v27
	s_delay_alu instid0(VALU_DEP_1) | instskip(NEXT) | instid1(VALU_DEP_1)
	v_fma_f32 v25, -v25, v29, v28
	v_div_fmas_f32 v25, v25, v27, v29
                                        ; implicit-def: $vgpr27
	s_delay_alu instid0(VALU_DEP_1) | instskip(NEXT) | instid1(VALU_DEP_1)
	v_div_fixup_f32 v25, v25, v9, |v1|
	v_cmpx_lt_f32_e32 0x3f244674, v25
	s_cbranch_execz .LBB44_252
; %bb.231:                              ;   in Loop: Header=BB44_5 Depth=1
	v_cmp_neq_f32_e64 s5, |v1|, 1.0
	v_cmp_ngt_f32_e64 s6, 0x30800000, |v2|
                                        ; implicit-def: $sgpr39
                                        ; implicit-def: $vgpr27
	s_delay_alu instid0(VALU_DEP_1) | instskip(NEXT) | instid1(SALU_CYCLE_1)
	s_or_b32 s5, s5, s6
	s_and_saveexec_b32 s6, s5
	s_delay_alu instid0(SALU_CYCLE_1)
	s_xor_b32 s6, exec_lo, s6
	s_cbranch_execz .LBB44_249
; %bb.232:                              ;   in Loop: Header=BB44_5 Depth=1
	v_mul_f32_e64 v27, 0x34000000, |v10|
                                        ; implicit-def: $sgpr39
	s_delay_alu instid0(VALU_DEP_1) | instskip(NEXT) | instid1(VALU_DEP_1)
	v_cmp_le_f32_e64 s5, v27, |v2|
                                        ; implicit-def: $vgpr27
	s_and_saveexec_b32 s40, s5
	s_delay_alu instid0(SALU_CYCLE_1)
	s_xor_b32 s40, exec_lo, s40
	s_cbranch_execz .LBB44_242
; %bb.233:                              ;   in Loop: Header=BB44_5 Depth=1
	v_mov_b32_e32 v27, v23
	s_mov_b32 s5, exec_lo
	v_cmpx_neq_f32_e32 0, v11
	s_cbranch_execz .LBB44_235
; %bb.234:                              ;   in Loop: Header=BB44_5 Depth=1
	v_mul_f32_e32 v27, v2, v2
	v_add_f32_e32 v11, v11, v24
	s_delay_alu instid0(VALU_DEP_1) | instskip(NEXT) | instid1(VALU_DEP_1)
	v_div_scale_f32 v24, null, v11, v11, v27
	v_rcp_f32_e32 v28, v24
	s_waitcnt_depctr 0xfff
	v_fma_f32 v29, -v24, v28, 1.0
	s_delay_alu instid0(VALU_DEP_1) | instskip(SKIP_1) | instid1(VALU_DEP_1)
	v_fmac_f32_e32 v28, v29, v28
	v_div_scale_f32 v29, vcc_lo, v27, v11, v27
	v_mul_f32_e32 v30, v29, v28
	s_delay_alu instid0(VALU_DEP_1) | instskip(NEXT) | instid1(VALU_DEP_1)
	v_fma_f32 v31, -v24, v30, v29
	v_fmac_f32_e32 v30, v31, v28
	s_delay_alu instid0(VALU_DEP_1) | instskip(NEXT) | instid1(VALU_DEP_1)
	v_fma_f32 v24, -v24, v30, v29
	v_div_fmas_f32 v24, v24, v28, v30
	s_delay_alu instid0(VALU_DEP_1)
	v_div_fixup_f32 v27, v24, v11, v27
.LBB44_235:                             ;   in Loop: Header=BB44_5 Depth=1
	s_or_b32 exec_lo, exec_lo, s5
	s_delay_alu instid0(SALU_CYCLE_1)
	s_mov_b32 s5, exec_lo
	v_cmpx_ngt_f32_e32 0, v10
	s_xor_b32 s5, exec_lo, s5
	s_cbranch_execz .LBB44_239
; %bb.236:                              ;   in Loop: Header=BB44_5 Depth=1
	s_mov_b32 s39, exec_lo
	v_cmpx_neq_f32_e32 0, v10
	s_cbranch_execz .LBB44_238
; %bb.237:                              ;   in Loop: Header=BB44_5 Depth=1
	v_mul_f32_e32 v11, v2, v2
	v_add_f32_e32 v10, v10, v12
	s_delay_alu instid0(VALU_DEP_1) | instskip(NEXT) | instid1(VALU_DEP_1)
	v_div_scale_f32 v12, null, v10, v10, v11
	v_rcp_f32_e32 v23, v12
	s_waitcnt_depctr 0xfff
	v_fma_f32 v24, -v12, v23, 1.0
	s_delay_alu instid0(VALU_DEP_1) | instskip(SKIP_1) | instid1(VALU_DEP_1)
	v_fmac_f32_e32 v23, v24, v23
	v_div_scale_f32 v24, vcc_lo, v11, v10, v11
	v_mul_f32_e32 v28, v24, v23
	s_delay_alu instid0(VALU_DEP_1) | instskip(NEXT) | instid1(VALU_DEP_1)
	v_fma_f32 v29, -v12, v28, v24
	v_fmac_f32_e32 v28, v29, v23
	s_delay_alu instid0(VALU_DEP_1) | instskip(NEXT) | instid1(VALU_DEP_1)
	v_fma_f32 v12, -v12, v28, v24
	v_div_fmas_f32 v12, v12, v23, v28
	s_delay_alu instid0(VALU_DEP_1)
	v_div_fixup_f32 v23, v12, v10, v11
.LBB44_238:                             ;   in Loop: Header=BB44_5 Depth=1
	s_or_b32 exec_lo, exec_lo, s39
                                        ; implicit-def: $vgpr12
                                        ; implicit-def: $vgpr10
.LBB44_239:                             ;   in Loop: Header=BB44_5 Depth=1
	s_and_not1_saveexec_b32 s5, s5
; %bb.240:                              ;   in Loop: Header=BB44_5 Depth=1
	v_sub_f32_e32 v23, v12, v10
; %bb.241:                              ;   in Loop: Header=BB44_5 Depth=1
	s_or_b32 exec_lo, exec_lo, s5
	s_delay_alu instid0(VALU_DEP_1) | instskip(SKIP_2) | instid1(VALU_DEP_2)
	v_mul_f32_e32 v10, 0.5, v23
	v_add_f32_e64 v9, |v1|, v9
	s_mov_b32 s39, -1
	v_fmac_f32_e32 v10, 0.5, v27
	s_delay_alu instid0(VALU_DEP_1) | instskip(NEXT) | instid1(VALU_DEP_1)
	v_mul_f32_e32 v9, v9, v10
	v_mul_f32_e32 v10, 0x4f800000, v9
	v_cmp_gt_f32_e32 vcc_lo, 0xf800000, v9
	s_delay_alu instid0(VALU_DEP_2) | instskip(NEXT) | instid1(VALU_DEP_1)
	v_cndmask_b32_e32 v9, v9, v10, vcc_lo
	v_sqrt_f32_e32 v10, v9
	s_waitcnt_depctr 0xfff
	v_add_nc_u32_e32 v11, -1, v10
	v_add_nc_u32_e32 v12, 1, v10
	s_delay_alu instid0(VALU_DEP_2) | instskip(NEXT) | instid1(VALU_DEP_2)
	v_fma_f32 v23, -v11, v10, v9
	v_fma_f32 v24, -v12, v10, v9
	s_delay_alu instid0(VALU_DEP_2) | instskip(NEXT) | instid1(VALU_DEP_1)
	v_cmp_ge_f32_e64 s5, 0, v23
	v_cndmask_b32_e64 v10, v10, v11, s5
	s_delay_alu instid0(VALU_DEP_3) | instskip(NEXT) | instid1(VALU_DEP_1)
	v_cmp_lt_f32_e64 s5, 0, v24
	v_cndmask_b32_e64 v10, v10, v12, s5
	s_delay_alu instid0(VALU_DEP_1) | instskip(NEXT) | instid1(VALU_DEP_1)
	v_mul_f32_e32 v11, 0x37800000, v10
	v_cndmask_b32_e32 v10, v10, v11, vcc_lo
	v_cmp_class_f32_e64 vcc_lo, v9, 0x260
                                        ; implicit-def: $vgpr11
	s_delay_alu instid0(VALU_DEP_2)
	v_cndmask_b32_e32 v27, v10, v9, vcc_lo
                                        ; implicit-def: $vgpr10
.LBB44_242:                             ;   in Loop: Header=BB44_5 Depth=1
	s_and_not1_saveexec_b32 s40, s40
	s_cbranch_execz .LBB44_248
; %bb.243:                              ;   in Loop: Header=BB44_5 Depth=1
	s_mov_b32 s42, exec_lo
                                        ; implicit-def: $vgpr27
                                        ; implicit-def: $sgpr41
	v_cmpx_ngt_f32_e64 |v1|, 1.0
	s_xor_b32 s42, exec_lo, s42
	s_cbranch_execz .LBB44_245
; %bb.244:                              ;   in Loop: Header=BB44_5 Depth=1
	v_sub_f32_e64 v9, 1.0, |v1|
	s_mov_b32 s41, -1
	s_delay_alu instid0(VALU_DEP_1) | instskip(NEXT) | instid1(VALU_DEP_1)
	v_mul_f32_e32 v9, v9, v11
	v_mul_f32_e32 v10, 0x4f800000, v9
	v_cmp_gt_f32_e32 vcc_lo, 0xf800000, v9
	s_delay_alu instid0(VALU_DEP_2) | instskip(NEXT) | instid1(VALU_DEP_1)
	v_cndmask_b32_e32 v9, v9, v10, vcc_lo
	v_sqrt_f32_e32 v10, v9
	s_waitcnt_depctr 0xfff
	v_add_nc_u32_e32 v11, -1, v10
	v_add_nc_u32_e32 v12, 1, v10
	s_delay_alu instid0(VALU_DEP_2) | instskip(NEXT) | instid1(VALU_DEP_2)
	v_fma_f32 v23, -v11, v10, v9
	v_fma_f32 v24, -v12, v10, v9
	s_delay_alu instid0(VALU_DEP_2) | instskip(NEXT) | instid1(VALU_DEP_1)
	v_cmp_ge_f32_e64 s5, 0, v23
	v_cndmask_b32_e64 v10, v10, v11, s5
	s_delay_alu instid0(VALU_DEP_3) | instskip(NEXT) | instid1(VALU_DEP_1)
	v_cmp_lt_f32_e64 s5, 0, v24
	v_cndmask_b32_e64 v10, v10, v12, s5
	s_delay_alu instid0(VALU_DEP_1) | instskip(NEXT) | instid1(VALU_DEP_1)
	v_mul_f32_e32 v11, 0x37800000, v10
	v_cndmask_b32_e32 v10, v10, v11, vcc_lo
	v_cmp_class_f32_e64 vcc_lo, v9, 0x260
                                        ; implicit-def: $vgpr11
	s_delay_alu instid0(VALU_DEP_2)
	v_cndmask_b32_e32 v27, v10, v9, vcc_lo
                                        ; implicit-def: $vgpr10
.LBB44_245:                             ;   in Loop: Header=BB44_5 Depth=1
	s_and_not1_saveexec_b32 s42, s42
	s_cbranch_execz .LBB44_247
; %bb.246:                              ;   in Loop: Header=BB44_5 Depth=1
	v_mul_f32_e32 v9, v11, v10
	s_or_b32 s41, s41, exec_lo
	s_delay_alu instid0(VALU_DEP_1) | instskip(SKIP_1) | instid1(VALU_DEP_2)
	v_mul_f32_e32 v10, 0x4f800000, v9
	v_cmp_gt_f32_e32 vcc_lo, 0xf800000, v9
	v_cndmask_b32_e32 v9, v9, v10, vcc_lo
	s_delay_alu instid0(VALU_DEP_1) | instskip(SKIP_3) | instid1(VALU_DEP_2)
	v_sqrt_f32_e32 v10, v9
	s_waitcnt_depctr 0xfff
	v_add_nc_u32_e32 v11, -1, v10
	v_add_nc_u32_e32 v12, 1, v10
	v_fma_f32 v23, -v11, v10, v9
	s_delay_alu instid0(VALU_DEP_2) | instskip(NEXT) | instid1(VALU_DEP_2)
	v_fma_f32 v24, -v12, v10, v9
	v_cmp_ge_f32_e64 s5, 0, v23
	s_delay_alu instid0(VALU_DEP_1) | instskip(NEXT) | instid1(VALU_DEP_3)
	v_cndmask_b32_e64 v10, v10, v11, s5
	v_cmp_lt_f32_e64 s5, 0, v24
	s_delay_alu instid0(VALU_DEP_1) | instskip(SKIP_1) | instid1(VALU_DEP_2)
	v_cndmask_b32_e64 v10, v10, v12, s5
	v_mul_f32_e64 v12, 0x57800000, |v2|
	v_mul_f32_e32 v11, 0x37800000, v10
	s_delay_alu instid0(VALU_DEP_1) | instskip(SKIP_1) | instid1(VALU_DEP_4)
	v_cndmask_b32_e32 v10, v10, v11, vcc_lo
	v_cmp_class_f32_e64 vcc_lo, v9, 0x260
	v_mul_f32_e64 v11, |v1|, v12
	s_delay_alu instid0(VALU_DEP_3) | instskip(NEXT) | instid1(VALU_DEP_1)
	v_cndmask_b32_e32 v9, v10, v9, vcc_lo
	v_div_scale_f32 v10, null, v9, v9, v11
	v_div_scale_f32 v24, vcc_lo, v11, v9, v11
	s_delay_alu instid0(VALU_DEP_2) | instskip(SKIP_2) | instid1(VALU_DEP_1)
	v_rcp_f32_e32 v12, v10
	s_waitcnt_depctr 0xfff
	v_fma_f32 v23, -v10, v12, 1.0
	v_fmac_f32_e32 v12, v23, v12
	s_delay_alu instid0(VALU_DEP_1) | instskip(NEXT) | instid1(VALU_DEP_1)
	v_mul_f32_e32 v23, v24, v12
	v_fma_f32 v26, -v10, v23, v24
	s_delay_alu instid0(VALU_DEP_1) | instskip(SKIP_1) | instid1(VALU_DEP_2)
	v_fmac_f32_e32 v23, v26, v12
	v_mul_f32_e64 v26, 0x57800000, |v1|
	v_fma_f32 v10, -v10, v23, v24
	s_delay_alu instid0(VALU_DEP_1) | instskip(NEXT) | instid1(VALU_DEP_1)
	v_div_fmas_f32 v10, v10, v12, v23
	v_div_fixup_f32 v27, v10, v9, v11
.LBB44_247:                             ;   in Loop: Header=BB44_5 Depth=1
	s_or_b32 exec_lo, exec_lo, s42
	s_delay_alu instid0(SALU_CYCLE_1) | instskip(SKIP_1) | instid1(SALU_CYCLE_1)
	s_and_not1_b32 s5, s39, exec_lo
	s_and_b32 s39, s41, exec_lo
	s_or_b32 s39, s5, s39
.LBB44_248:                             ;   in Loop: Header=BB44_5 Depth=1
	s_or_b32 exec_lo, exec_lo, s40
	s_delay_alu instid0(SALU_CYCLE_1)
	s_and_b32 s39, s39, exec_lo
                                        ; implicit-def: $vgpr9
.LBB44_249:                             ;   in Loop: Header=BB44_5 Depth=1
	s_and_not1_saveexec_b32 s40, s6
	s_cbranch_execz .LBB44_251
; %bb.250:                              ;   in Loop: Header=BB44_5 Depth=1
	v_add_f32_e32 v9, 1.0, v9
	v_mul_f32_e64 v10, 0x4f800000, |v2|
	v_cmp_gt_f32_e64 vcc_lo, 0xf800000, |v2|
	s_or_b32 s39, s39, exec_lo
	s_delay_alu instid0(VALU_DEP_3) | instskip(NEXT) | instid1(VALU_DEP_2)
	v_mul_f32_e32 v9, 0.5, v9
	v_cndmask_b32_e64 v10, |v2|, v10, vcc_lo
	s_delay_alu instid0(VALU_DEP_2) | instskip(SKIP_1) | instid1(VALU_DEP_1)
	v_mul_f32_e32 v11, 0x4f800000, v9
	v_cmp_gt_f32_e64 s5, 0xf800000, v9
	v_cndmask_b32_e64 v9, v9, v11, s5
	s_delay_alu instid0(VALU_DEP_4) | instskip(NEXT) | instid1(VALU_DEP_1)
	v_sqrt_f32_e32 v11, v10
	v_sqrt_f32_e32 v12, v9
	s_waitcnt_depctr 0xfff
	v_add_nc_u32_e32 v23, -1, v11
	v_add_nc_u32_e32 v26, 1, v11
	v_add_nc_u32_e32 v24, -1, v12
	s_delay_alu instid0(VALU_DEP_3) | instskip(SKIP_1) | instid1(VALU_DEP_4)
	v_fma_f32 v27, -v23, v11, v10
	v_add_nc_u32_e32 v28, 1, v12
	v_fma_f32 v30, -v26, v11, v10
	s_delay_alu instid0(VALU_DEP_4) | instskip(NEXT) | instid1(VALU_DEP_4)
	v_fma_f32 v29, -v24, v12, v9
	v_cmp_ge_f32_e64 s6, 0, v27
	s_delay_alu instid0(VALU_DEP_1) | instskip(NEXT) | instid1(VALU_DEP_3)
	v_cndmask_b32_e64 v11, v11, v23, s6
	v_cmp_ge_f32_e64 s6, 0, v29
	v_fma_f32 v23, -v28, v12, v9
	s_delay_alu instid0(VALU_DEP_2) | instskip(SKIP_1) | instid1(VALU_DEP_1)
	v_cndmask_b32_e64 v12, v12, v24, s6
	v_cmp_lt_f32_e64 s6, 0, v30
	v_cndmask_b32_e64 v11, v11, v26, s6
	s_delay_alu instid0(VALU_DEP_4) | instskip(NEXT) | instid1(VALU_DEP_2)
	v_cmp_lt_f32_e64 s6, 0, v23
	v_dual_mov_b32 v26, 1.0 :: v_dual_mul_f32 v23, 0x37800000, v11
	s_delay_alu instid0(VALU_DEP_2) | instskip(NEXT) | instid1(VALU_DEP_1)
	v_cndmask_b32_e64 v12, v12, v28, s6
	v_dual_cndmask_b32 v11, v11, v23 :: v_dual_mul_f32 v24, 0x37800000, v12
	v_cmp_class_f32_e64 vcc_lo, v10, 0x260
	s_delay_alu instid0(VALU_DEP_2) | instskip(NEXT) | instid1(VALU_DEP_3)
	v_cndmask_b32_e64 v12, v12, v24, s5
	v_cndmask_b32_e32 v10, v11, v10, vcc_lo
	v_cmp_class_f32_e64 vcc_lo, v9, 0x260
	s_delay_alu instid0(VALU_DEP_3) | instskip(NEXT) | instid1(VALU_DEP_1)
	v_cndmask_b32_e32 v9, v12, v9, vcc_lo
	v_mul_f32_e32 v27, v10, v9
.LBB44_251:                             ;   in Loop: Header=BB44_5 Depth=1
	s_or_b32 exec_lo, exec_lo, s40
	s_delay_alu instid0(SALU_CYCLE_1)
	s_and_b32 s5, s39, exec_lo
.LBB44_252:                             ;   in Loop: Header=BB44_5 Depth=1
	s_or_b32 exec_lo, exec_lo, s38
	s_delay_alu instid0(SALU_CYCLE_1)
	s_and_b32 s5, s5, exec_lo
                                        ; implicit-def: $vgpr9
.LBB44_253:                             ;   in Loop: Header=BB44_5 Depth=1
	s_and_not1_saveexec_b32 s6, s37
; %bb.254:                              ;   in Loop: Header=BB44_5 Depth=1
	v_mul_f32_e32 v27, 0x4b800000, v9
	v_mul_f32_e64 v26, 0x4b800000, |v1|
	s_or_b32 s5, s5, exec_lo
                                        ; implicit-def: $vgpr25
; %bb.255:                              ;   in Loop: Header=BB44_5 Depth=1
	s_or_b32 exec_lo, exec_lo, s6
	s_xor_b32 s5, s5, -1
                                        ; implicit-def: $vgpr9
	s_delay_alu instid0(SALU_CYCLE_1) | instskip(NEXT) | instid1(SALU_CYCLE_1)
	s_and_saveexec_b32 s6, s5
	s_xor_b32 s6, exec_lo, s6
	s_cbranch_execz .LBB44_261
; %bb.256:                              ;   in Loop: Header=BB44_5 Depth=1
                                        ; implicit-def: $vgpr9
	s_and_saveexec_b32 s5, s4
	s_delay_alu instid0(SALU_CYCLE_1)
	s_xor_b32 s5, exec_lo, s5
	s_cbranch_execz .LBB44_258
; %bb.257:                              ;   in Loop: Header=BB44_5 Depth=1
	v_fma_f32 v9, |v25|, -0.5, 0.5
	v_mul_f32_e32 v10, v25, v25
	v_cmp_gt_f32_e64 vcc_lo, |v25|, 0.5
	s_delay_alu instid0(VALU_DEP_2) | instskip(NEXT) | instid1(VALU_DEP_1)
	v_cndmask_b32_e32 v9, v10, v9, vcc_lo
	v_fmaak_f32 v10, s30, v9, 0x3c5fc5da
	v_sqrt_f32_e32 v11, v9
	s_delay_alu instid0(VALU_DEP_1) | instskip(NEXT) | instid1(VALU_DEP_1)
	v_fmaak_f32 v10, v9, v10, 0x3d034c3c
	v_fmaak_f32 v10, v9, v10, 0x3d3641b1
	s_delay_alu instid0(VALU_DEP_1) | instskip(NEXT) | instid1(VALU_DEP_1)
	v_fmaak_f32 v10, v9, v10, 0x3d999bc8
	v_fmaak_f32 v10, v9, v10, 0x3e2aaaac
	s_delay_alu instid0(VALU_DEP_1) | instskip(NEXT) | instid1(VALU_DEP_1)
	v_mul_f32_e32 v9, v9, v10
	v_fmac_f32_e32 v25, v25, v9
	s_delay_alu instid0(VALU_DEP_1) | instskip(NEXT) | instid1(TRANS32_DEP_1)
	v_sub_f32_e32 v10, 0x3fc90fdb, v25
	v_fmac_f32_e32 v11, v11, v9
                                        ; implicit-def: $vgpr25
	s_delay_alu instid0(VALU_DEP_1) | instskip(NEXT) | instid1(VALU_DEP_1)
	v_add_f32_e32 v9, v11, v11
	v_cndmask_b32_e32 v9, v10, v9, vcc_lo
.LBB44_258:                             ;   in Loop: Header=BB44_5 Depth=1
	s_and_not1_saveexec_b32 s37, s5
	s_cbranch_execz .LBB44_260
; %bb.259:                              ;   in Loop: Header=BB44_5 Depth=1
	v_fma_f32 v9, |v25|, -0.5, 0.5
	v_mul_f32_e32 v10, v25, v25
	v_cmp_gt_f32_e64 vcc_lo, |v25|, 0.5
	v_cmp_lt_f32_e64 s5, 0, v25
	s_delay_alu instid0(VALU_DEP_3) | instskip(NEXT) | instid1(VALU_DEP_1)
	v_cndmask_b32_e32 v9, v10, v9, vcc_lo
	v_fmaak_f32 v10, s30, v9, 0x3c5fc5da
	v_sqrt_f32_e32 v11, v9
	s_delay_alu instid0(VALU_DEP_1) | instskip(NEXT) | instid1(VALU_DEP_1)
	v_fmaak_f32 v10, v9, v10, 0x3d034c3c
	v_fmaak_f32 v10, v9, v10, 0x3d3641b1
	s_delay_alu instid0(VALU_DEP_1) | instskip(NEXT) | instid1(VALU_DEP_1)
	v_fmaak_f32 v10, v9, v10, 0x3d999bc8
	v_fmaak_f32 v10, v9, v10, 0x3e2aaaac
	s_delay_alu instid0(VALU_DEP_1) | instskip(SKIP_3) | instid1(VALU_DEP_1)
	v_mul_f32_e32 v9, v9, v10
	s_waitcnt_depctr 0xfff
	v_fmac_f32_e32 v11, v11, v9
	v_fma_f32 v9, -v25, v9, -v25
	v_dual_add_f32 v10, v11, v11 :: v_dual_sub_f32 v9, 0x3fc90fdb, v9
	s_delay_alu instid0(VALU_DEP_1) | instskip(NEXT) | instid1(VALU_DEP_1)
	v_sub_f32_e32 v11, 0x40490fdb, v10
	v_cndmask_b32_e64 v10, v10, v11, s5
	s_delay_alu instid0(VALU_DEP_1)
	v_cndmask_b32_e32 v9, v9, v10, vcc_lo
.LBB44_260:                             ;   in Loop: Header=BB44_5 Depth=1
	s_or_b32 exec_lo, exec_lo, s37
                                        ; implicit-def: $vgpr27
                                        ; implicit-def: $vgpr26
.LBB44_261:                             ;   in Loop: Header=BB44_5 Depth=1
	s_and_not1_saveexec_b32 s6, s6
	s_cbranch_execz .LBB44_267
; %bb.262:                              ;   in Loop: Header=BB44_5 Depth=1
                                        ; implicit-def: $vgpr9
	s_and_saveexec_b32 s5, s4
	s_delay_alu instid0(SALU_CYCLE_1)
	s_xor_b32 s5, exec_lo, s5
	s_cbranch_execz .LBB44_264
; %bb.263:                              ;   in Loop: Header=BB44_5 Depth=1
	v_max_f32_e64 v9, |v27|, |v27|
	v_max_f32_e32 v10, v26, v26
	v_cmp_gt_f32_e64 vcc_lo, |v27|, v26
	v_cmp_neq_f32_e64 s4, 0, v27
	v_cmp_class_f32_e64 s37, v27, 0x204
	s_delay_alu instid0(VALU_DEP_4) | instskip(SKIP_1) | instid1(VALU_DEP_2)
	v_max_f32_e32 v11, v10, v9
	v_min_f32_e32 v9, v10, v9
	v_frexp_mant_f32_e32 v12, v11
	s_delay_alu instid0(VALU_DEP_1) | instskip(NEXT) | instid1(VALU_DEP_2)
	v_rcp_f32_e32 v10, v12
	v_frexp_mant_f32_e32 v12, v9
	v_frexp_exp_i32_f32_e32 v9, v9
	s_waitcnt_depctr 0xfff
	v_mul_f32_e32 v10, v12, v10
	v_frexp_exp_i32_f32_e32 v11, v11
	s_delay_alu instid0(VALU_DEP_1) | instskip(NEXT) | instid1(VALU_DEP_1)
	v_sub_nc_u32_e32 v9, v9, v11
	v_ldexp_f32 v9, v10, v9
	s_delay_alu instid0(VALU_DEP_1) | instskip(NEXT) | instid1(VALU_DEP_1)
	v_mul_f32_e32 v10, v9, v9
	v_fmaak_f32 v11, s31, v10, 0xbc7a590c
	s_delay_alu instid0(VALU_DEP_1) | instskip(NEXT) | instid1(VALU_DEP_1)
	v_fmaak_f32 v11, v10, v11, 0x3d29fb3f
	v_fmaak_f32 v11, v10, v11, 0xbd97d4d7
	s_delay_alu instid0(VALU_DEP_1) | instskip(NEXT) | instid1(VALU_DEP_1)
	v_fmaak_f32 v11, v10, v11, 0x3dd931b2
	;; [unrolled: 3-line block ×3, first 2 shown]
	v_fmaak_f32 v11, v10, v11, 0xbeaaaa62
	s_delay_alu instid0(VALU_DEP_1) | instskip(NEXT) | instid1(VALU_DEP_1)
	v_mul_f32_e32 v10, v10, v11
	v_fmac_f32_e32 v9, v9, v10
	s_delay_alu instid0(VALU_DEP_1) | instskip(NEXT) | instid1(VALU_DEP_1)
	v_sub_f32_e32 v10, 0x3fc90fdb, v9
	v_cndmask_b32_e32 v9, v9, v10, vcc_lo
	v_cmp_eq_f32_e32 vcc_lo, 0x7f800000, v26
	s_delay_alu instid0(VALU_DEP_2) | instskip(SKIP_2) | instid1(VALU_DEP_2)
	v_cndmask_b32_e64 v9, 0, v9, s4
	s_and_b32 s4, vcc_lo, s37
	v_cmp_o_f32_e32 vcc_lo, v26, v27
                                        ; implicit-def: $vgpr26
	v_cndmask_b32_e64 v9, v9, 0x3f490fdb, s4
	s_delay_alu instid0(VALU_DEP_1) | instskip(NEXT) | instid1(VALU_DEP_1)
	v_cndmask_b32_e32 v9, 0x7fc00000, v9, vcc_lo
	v_bfi_b32 v9, 0x7fffffff, v9, v27
                                        ; implicit-def: $vgpr27
.LBB44_264:                             ;   in Loop: Header=BB44_5 Depth=1
	s_and_not1_saveexec_b32 s37, s5
	s_cbranch_execz .LBB44_266
; %bb.265:                              ;   in Loop: Header=BB44_5 Depth=1
	v_max_f32_e64 v9, |v27|, |v27|
	v_max_f32_e32 v10, v26, v26
	v_cmp_gt_f32_e64 vcc_lo, |v27|, v26
	v_cmp_neq_f32_e64 s5, 0, v27
	v_cmp_eq_f32_e64 s4, 0x7f800000, v26
	v_cmp_class_f32_e64 s38, v27, 0x204
	v_max_f32_e32 v11, v10, v9
	v_min_f32_e32 v9, v10, v9
	s_delay_alu instid0(VALU_DEP_2) | instskip(SKIP_1) | instid1(VALU_DEP_2)
	v_frexp_mant_f32_e32 v12, v11
	v_frexp_exp_i32_f32_e32 v11, v11
	v_rcp_f32_e32 v10, v12
	s_delay_alu instid0(VALU_DEP_3) | instskip(SKIP_1) | instid1(VALU_DEP_2)
	v_frexp_exp_i32_f32_e32 v12, v9
	v_frexp_mant_f32_e32 v9, v9
	v_sub_nc_u32_e32 v11, v12, v11
	s_waitcnt_depctr 0xfff
	v_mul_f32_e32 v9, v9, v10
	s_delay_alu instid0(VALU_DEP_1) | instskip(NEXT) | instid1(VALU_DEP_1)
	v_ldexp_f32 v9, v9, v11
	v_mul_f32_e32 v10, v9, v9
	s_delay_alu instid0(VALU_DEP_1) | instskip(NEXT) | instid1(VALU_DEP_1)
	v_fmaak_f32 v11, s31, v10, 0xbc7a590c
	v_fmaak_f32 v11, v10, v11, 0x3d29fb3f
	s_delay_alu instid0(VALU_DEP_1) | instskip(NEXT) | instid1(VALU_DEP_1)
	v_fmaak_f32 v11, v10, v11, 0xbd97d4d7
	v_fmaak_f32 v11, v10, v11, 0x3dd931b2
	;; [unrolled: 3-line block ×3, first 2 shown]
	s_delay_alu instid0(VALU_DEP_1) | instskip(NEXT) | instid1(VALU_DEP_1)
	v_fmaak_f32 v11, v10, v11, 0xbeaaaa62
	v_mul_f32_e32 v10, v10, v11
	s_delay_alu instid0(VALU_DEP_1) | instskip(NEXT) | instid1(VALU_DEP_1)
	v_fmac_f32_e32 v9, v9, v10
	v_sub_f32_e32 v10, 0x3fc90fdb, v9
	s_delay_alu instid0(VALU_DEP_1) | instskip(SKIP_1) | instid1(VALU_DEP_2)
	v_cndmask_b32_e32 v9, v9, v10, vcc_lo
	v_cmp_lt_f32_e32 vcc_lo, 0, v26
	v_sub_f32_e32 v10, 0x40490fdb, v9
	s_delay_alu instid0(VALU_DEP_1) | instskip(SKIP_2) | instid1(VALU_DEP_2)
	v_cndmask_b32_e32 v9, v9, v10, vcc_lo
	v_cndmask_b32_e32 v10, 0x3f490fdb, v21, vcc_lo
	s_and_b32 vcc_lo, s4, s38
	v_cndmask_b32_e64 v9, 0x40490fdb, v9, s5
	s_delay_alu instid0(VALU_DEP_1) | instskip(SKIP_1) | instid1(VALU_DEP_2)
	v_cndmask_b32_e32 v9, v9, v10, vcc_lo
	v_cmp_o_f32_e64 vcc_lo, v27, -v26
	v_cndmask_b32_e32 v9, 0x7fc00000, v9, vcc_lo
	s_delay_alu instid0(VALU_DEP_1)
	v_bfi_b32 v9, 0x7fffffff, v9, v27
.LBB44_266:                             ;   in Loop: Header=BB44_5 Depth=1
	s_or_b32 exec_lo, exec_lo, s37
.LBB44_267:                             ;   in Loop: Header=BB44_5 Depth=1
	s_delay_alu instid0(SALU_CYCLE_1)
	s_or_b32 exec_lo, exec_lo, s6
	v_cndmask_b32_e64 v10, -v22, v22, s2
.LBB44_268:                             ;   in Loop: Header=BB44_5 Depth=1
	s_and_not1_saveexec_b32 s4, s36
	s_cbranch_execz .LBB44_270
; %bb.269:                              ;   in Loop: Header=BB44_5 Depth=1
	s_waitcnt vmcnt(0) lgkmcnt(0)
	v_dual_mov_b32 v9, s16 :: v_dual_mov_b32 v10, s17
	flat_load_b32 v9, v[9:10] glc dlc
	s_waitcnt vmcnt(0)
	v_xor_b32_e32 v10, 0x80000000, v2
	s_waitcnt lgkmcnt(0)
	v_sub_f32_e32 v9, v9, v1
	s_delay_alu instid0(VALU_DEP_1)
	v_add_f32_e32 v9, 0x3fc90fdb, v9
.LBB44_270:                             ;   in Loop: Header=BB44_5 Depth=1
	s_or_b32 exec_lo, exec_lo, s4
.LBB44_271:                             ;   in Loop: Header=BB44_5 Depth=1
	s_and_not1_saveexec_b32 s4, s35
	s_cbranch_execz .LBB44_273
; %bb.272:                              ;   in Loop: Header=BB44_5 Depth=1
	v_xor_b32_e32 v10, 0x80000000, v2
	s_waitcnt vmcnt(0) lgkmcnt(0)
	v_mov_b32_e32 v9, 0
.LBB44_273:                             ;   in Loop: Header=BB44_5 Depth=1
	s_or_b32 exec_lo, exec_lo, s4
                                        ; implicit-def: $vgpr22
                                        ; implicit-def: $vgpr12
                                        ; implicit-def: $vgpr11
.LBB44_274:                             ;   in Loop: Header=BB44_5 Depth=1
	s_and_not1_saveexec_b32 s6, s34
	s_cbranch_execz .LBB44_284
; %bb.275:                              ;   in Loop: Header=BB44_5 Depth=1
	v_cmp_lt_f32_e64 s4, |v1|, |v2|
                                        ; implicit-def: $vgpr10
                                        ; implicit-def: $vgpr9
	s_mov_b32 s5, exec_lo
	s_delay_alu instid0(VALU_DEP_1) | instskip(NEXT) | instid1(VALU_DEP_1)
	v_cndmask_b32_e64 v23, |v1|, |v2|, s4
	v_cmpx_nlt_f32_e32 0x7effffff, v23
	s_xor_b32 s34, exec_lo, s5
	s_cbranch_execz .LBB44_281
; %bb.276:                              ;   in Loop: Header=BB44_5 Depth=1
	v_cndmask_b32_e64 v24, |v2|, |v1|, s4
	v_cmp_nlt_f32_e32 vcc_lo, 0x5e000000, v23
                                        ; implicit-def: $vgpr10
                                        ; implicit-def: $vgpr9
	s_delay_alu instid0(VALU_DEP_2) | instskip(NEXT) | instid1(VALU_DEP_1)
	v_cmp_ngt_f32_e64 s5, 0x20000000, v24
	s_and_b32 s5, vcc_lo, s5
	s_delay_alu instid0(SALU_CYCLE_1) | instskip(NEXT) | instid1(SALU_CYCLE_1)
	s_and_saveexec_b32 s35, s5
	s_xor_b32 s35, exec_lo, s35
	s_cbranch_execz .LBB44_278
; %bb.277:                              ;   in Loop: Header=BB44_5 Depth=1
	s_waitcnt vmcnt(0) lgkmcnt(0)
	v_frexp_mant_f32_e32 v9, v11
	v_min_f32_e32 v10, v22, v12
	v_frexp_exp_i32_f32_e32 v11, v11
	s_delay_alu instid0(VALU_DEP_3) | instskip(NEXT) | instid1(VALU_DEP_2)
	v_rcp_f32_e32 v9, v9
	v_frexp_mant_f32_e32 v22, v10
	v_mul_f32_e32 v12, v24, v24
	v_frexp_exp_i32_f32_e32 v10, v10
	s_delay_alu instid0(VALU_DEP_1) | instskip(SKIP_2) | instid1(VALU_DEP_1)
	v_sub_nc_u32_e32 v10, v10, v11
	s_waitcnt_depctr 0xfff
	v_dual_mul_f32 v9, v22, v9 :: v_dual_fmac_f32 v12, v23, v23
	v_ldexp_f32 v9, v9, v10
	s_delay_alu instid0(VALU_DEP_2) | instskip(SKIP_1) | instid1(VALU_DEP_1)
	v_cmp_gt_f32_e32 vcc_lo, 0x800000, v12
	v_cndmask_b32_e64 v11, 1.0, 0x4f800000, vcc_lo
	v_dual_mul_f32 v10, v12, v11 :: v_dual_mul_f32 v11, v9, v9
	s_delay_alu instid0(VALU_DEP_1) | instskip(NEXT) | instid1(VALU_DEP_1)
	v_fmaak_f32 v12, s31, v11, 0xbc7a590c
	v_fmaak_f32 v12, v11, v12, 0x3d29fb3f
	s_delay_alu instid0(VALU_DEP_1) | instskip(NEXT) | instid1(VALU_DEP_1)
	v_fmaak_f32 v12, v11, v12, 0xbd97d4d7
	v_fmaak_f32 v12, v11, v12, 0x3dd931b2
	;; [unrolled: 3-line block ×3, first 2 shown]
	s_delay_alu instid0(VALU_DEP_1) | instskip(NEXT) | instid1(VALU_DEP_1)
	v_fmaak_f32 v12, v11, v12, 0xbeaaaa62
	v_mul_f32_e32 v11, v11, v12
	v_log_f32_e32 v10, v10
                                        ; implicit-def: $vgpr12
	s_delay_alu instid0(VALU_DEP_1) | instskip(SKIP_3) | instid1(VALU_DEP_2)
	v_fmac_f32_e32 v9, v9, v11
                                        ; implicit-def: $vgpr11
	s_waitcnt_depctr 0xfff
	v_mul_f32_e32 v22, 0x3f317217, v10
	v_cmp_gt_f32_e64 s5, 0x7f800000, |v10|
	v_fma_f32 v23, 0x3f317217, v10, -v22
	s_delay_alu instid0(VALU_DEP_1) | instskip(NEXT) | instid1(VALU_DEP_1)
	v_fmac_f32_e32 v23, 0x3377d1cf, v10
	v_add_f32_e32 v22, v22, v23
	s_delay_alu instid0(VALU_DEP_1) | instskip(SKIP_1) | instid1(VALU_DEP_1)
	v_cndmask_b32_e64 v10, v10, v22, s5
	v_cndmask_b32_e64 v22, 0, 0x41b17218, vcc_lo
	v_sub_f32_e32 v10, v10, v22
                                        ; implicit-def: $vgpr22
	s_delay_alu instid0(VALU_DEP_1)
	v_mul_f32_e32 v10, 0.5, v10
.LBB44_278:                             ;   in Loop: Header=BB44_5 Depth=1
	s_and_not1_saveexec_b32 s5, s35
	s_cbranch_execz .LBB44_280
; %bb.279:                              ;   in Loop: Header=BB44_5 Depth=1
	s_waitcnt vmcnt(0) lgkmcnt(0)
	v_cvt_f64_f32_e32 v[9:10], v11
	v_cmp_neq_f32_e32 vcc_lo, 0x7f800000, v11
	v_min_f32_e32 v12, v22, v12
	v_frexp_exp_i32_f32_e32 v22, v11
	s_delay_alu instid0(VALU_DEP_2) | instskip(SKIP_1) | instid1(VALU_DEP_2)
	v_frexp_exp_i32_f32_e32 v24, v12
	v_frexp_mant_f32_e32 v12, v12
	v_sub_nc_u32_e32 v22, v24, v22
	v_frexp_exp_i32_f64_e32 v9, v[9:10]
	s_delay_alu instid0(VALU_DEP_1) | instskip(NEXT) | instid1(VALU_DEP_1)
	v_sub_nc_u32_e32 v10, 0, v9
	v_ldexp_f32 v23, |v2|, v10
	v_ldexp_f32 v10, |v1|, v10
	s_delay_alu instid0(VALU_DEP_2) | instskip(NEXT) | instid1(VALU_DEP_1)
	v_mul_f32_e32 v23, v23, v23
	v_fmac_f32_e32 v23, v10, v10
	v_frexp_mant_f32_e32 v10, v11
	s_delay_alu instid0(VALU_DEP_2) | instskip(NEXT) | instid1(VALU_DEP_1)
	v_sqrt_f32_e32 v23, v23
	v_rcp_f32_e32 v10, v10
	s_waitcnt_depctr 0xfff
	v_ldexp_f32 v9, v23, v9
	s_delay_alu instid0(VALU_DEP_1) | instskip(NEXT) | instid1(VALU_DEP_1)
	v_dual_mul_f32 v10, v12, v10 :: v_dual_cndmask_b32 v11, 0x7f800000, v9
	v_ldexp_f32 v9, v10, v22
	s_delay_alu instid0(VALU_DEP_2) | instskip(NEXT) | instid1(VALU_DEP_2)
	v_cmp_gt_f32_e32 vcc_lo, 0x800000, v11
	v_mul_f32_e32 v12, v9, v9
	v_cndmask_b32_e64 v10, 1.0, 0x4f800000, vcc_lo
	s_delay_alu instid0(VALU_DEP_1) | instskip(NEXT) | instid1(VALU_DEP_1)
	v_dual_mul_f32 v10, v11, v10 :: v_dual_fmaak_f32 v11, s31, v12, 0xbc7a590c
	v_log_f32_e32 v10, v10
	s_waitcnt_depctr 0xfff
	v_mul_f32_e32 v22, 0x3f317217, v10
	s_delay_alu instid0(VALU_DEP_1) | instskip(NEXT) | instid1(VALU_DEP_1)
	v_fma_f32 v23, 0x3f317217, v10, -v22
	v_fmac_f32_e32 v23, 0x3377d1cf, v10
	s_delay_alu instid0(VALU_DEP_1) | instskip(SKIP_2) | instid1(VALU_DEP_3)
	v_add_f32_e32 v22, v22, v23
	v_cndmask_b32_e64 v23, 0, 0x41b17218, vcc_lo
	v_cmp_gt_f32_e64 vcc_lo, 0x7f800000, |v10|
	v_dual_fmaak_f32 v11, v12, v11, 0x3d29fb3f :: v_dual_cndmask_b32 v10, v10, v22
	s_delay_alu instid0(VALU_DEP_1) | instskip(NEXT) | instid1(VALU_DEP_2)
	v_fmaak_f32 v11, v12, v11, 0xbd97d4d7
	v_sub_f32_e32 v10, v10, v23
	s_delay_alu instid0(VALU_DEP_2) | instskip(NEXT) | instid1(VALU_DEP_1)
	v_fmaak_f32 v11, v12, v11, 0x3dd931b2
	v_fmaak_f32 v11, v12, v11, 0xbe1160e6
	s_delay_alu instid0(VALU_DEP_1) | instskip(NEXT) | instid1(VALU_DEP_1)
	v_fmaak_f32 v11, v12, v11, 0x3e4cb8bf
	v_fmaak_f32 v11, v12, v11, 0xbeaaaa62
	s_delay_alu instid0(VALU_DEP_1) | instskip(NEXT) | instid1(VALU_DEP_1)
	v_mul_f32_e32 v11, v12, v11
	v_fmac_f32_e32 v9, v9, v11
.LBB44_280:                             ;   in Loop: Header=BB44_5 Depth=1
	s_or_b32 exec_lo, exec_lo, s5
                                        ; implicit-def: $vgpr22
                                        ; implicit-def: $vgpr12
                                        ; implicit-def: $vgpr11
.LBB44_281:                             ;   in Loop: Header=BB44_5 Depth=1
	s_and_not1_saveexec_b32 s34, s34
	s_cbranch_execz .LBB44_283
; %bb.282:                              ;   in Loop: Header=BB44_5 Depth=1
	s_waitcnt vmcnt(0) lgkmcnt(0)
	v_div_scale_f32 v9, null, 0x402df854, 0x402df854, v1
	v_div_scale_f32 v10, null, 0x402df854, 0x402df854, v2
	v_div_scale_f32 v27, vcc_lo, v1, 0x402df854, v1
	s_delay_alu instid0(VALU_DEP_3) | instskip(NEXT) | instid1(VALU_DEP_2)
	v_rcp_f32_e32 v23, v9
	v_rcp_f32_e32 v24, v10
	v_min_f32_e32 v12, v22, v12
	s_waitcnt_depctr 0xfff
	v_fma_f32 v25, -v9, v23, 1.0
	v_fma_f32 v26, -v10, v24, 1.0
	s_delay_alu instid0(VALU_DEP_1) | instskip(SKIP_1) | instid1(VALU_DEP_2)
	v_dual_fmac_f32 v23, v25, v23 :: v_dual_fmac_f32 v24, v26, v24
	v_div_scale_f32 v25, s5, v2, 0x402df854, v2
	v_mul_f32_e32 v26, v27, v23
	s_delay_alu instid0(VALU_DEP_2) | instskip(NEXT) | instid1(VALU_DEP_2)
	v_mul_f32_e32 v28, v25, v24
	v_fma_f32 v29, -v9, v26, v27
	s_delay_alu instid0(VALU_DEP_2) | instskip(NEXT) | instid1(VALU_DEP_2)
	v_fma_f32 v30, -v10, v28, v25
	v_fmac_f32_e32 v26, v29, v23
	s_delay_alu instid0(VALU_DEP_2) | instskip(NEXT) | instid1(VALU_DEP_2)
	v_fmac_f32_e32 v28, v30, v24
	v_fma_f32 v9, -v9, v26, v27
	s_delay_alu instid0(VALU_DEP_2) | instskip(NEXT) | instid1(VALU_DEP_2)
	v_fma_f32 v10, -v10, v28, v25
	v_div_fmas_f32 v9, v9, v23, v26
	s_mov_b32 vcc_lo, s5
	s_delay_alu instid0(VALU_DEP_2) | instskip(NEXT) | instid1(VALU_DEP_2)
	v_div_fmas_f32 v10, v10, v24, v28
	v_div_fixup_f32 v23, v9, 0x402df854, v1
	s_delay_alu instid0(VALU_DEP_2) | instskip(NEXT) | instid1(VALU_DEP_1)
	v_div_fixup_f32 v24, v10, 0x402df854, v2
	v_max_f32_e64 v25, |v23|, |v24|
	s_delay_alu instid0(VALU_DEP_1) | instskip(SKIP_1) | instid1(VALU_DEP_2)
	v_cvt_f64_f32_e32 v[9:10], v25
	v_cmp_neq_f32_e32 vcc_lo, 0x7f800000, v25
	v_frexp_exp_i32_f64_e32 v9, v[9:10]
	s_delay_alu instid0(VALU_DEP_1) | instskip(NEXT) | instid1(VALU_DEP_1)
	v_sub_nc_u32_e32 v10, 0, v9
	v_ldexp_f32 v24, |v24|, v10
	v_ldexp_f32 v10, |v23|, v10
	s_delay_alu instid0(VALU_DEP_2) | instskip(NEXT) | instid1(VALU_DEP_1)
	v_mul_f32_e32 v23, v24, v24
	v_fmac_f32_e32 v23, v10, v10
	s_delay_alu instid0(VALU_DEP_1) | instskip(SKIP_2) | instid1(VALU_DEP_2)
	v_sqrt_f32_e32 v10, v23
	v_frexp_mant_f32_e32 v23, v11
	v_frexp_exp_i32_f32_e32 v11, v11
	v_rcp_f32_e32 v22, v23
	s_waitcnt_depctr 0xfff
	v_ldexp_f32 v9, v10, v9
	v_frexp_exp_i32_f32_e32 v10, v12
	v_frexp_mant_f32_e32 v12, v12
	s_delay_alu instid0(VALU_DEP_3) | instskip(NEXT) | instid1(VALU_DEP_3)
	v_cndmask_b32_e32 v23, 0x7f800000, v9, vcc_lo
	v_sub_nc_u32_e32 v9, v10, v11
	s_delay_alu instid0(VALU_DEP_3) | instskip(NEXT) | instid1(VALU_DEP_3)
	v_mul_f32_e32 v10, v12, v22
	v_cmp_gt_f32_e32 vcc_lo, 0x800000, v23
	s_delay_alu instid0(VALU_DEP_2) | instskip(SKIP_1) | instid1(VALU_DEP_1)
	v_ldexp_f32 v9, v10, v9
	v_cndmask_b32_e64 v11, 1.0, 0x4f800000, vcc_lo
	v_dual_mul_f32 v10, v23, v11 :: v_dual_mul_f32 v11, v9, v9
	s_delay_alu instid0(VALU_DEP_1) | instskip(NEXT) | instid1(VALU_DEP_1)
	v_log_f32_e32 v10, v10
	v_fmaak_f32 v12, s31, v11, 0xbc7a590c
	s_delay_alu instid0(VALU_DEP_1) | instskip(SKIP_3) | instid1(VALU_DEP_2)
	v_fmaak_f32 v12, v11, v12, 0x3d29fb3f
	s_waitcnt_depctr 0xfff
	v_mul_f32_e32 v22, 0x3f317217, v10
	v_fmaak_f32 v12, v11, v12, 0xbd97d4d7
	v_fma_f32 v23, 0x3f317217, v10, -v22
	s_delay_alu instid0(VALU_DEP_2) | instskip(NEXT) | instid1(VALU_DEP_2)
	v_fmaak_f32 v12, v11, v12, 0x3dd931b2
	v_fmac_f32_e32 v23, 0x3377d1cf, v10
	s_delay_alu instid0(VALU_DEP_2) | instskip(NEXT) | instid1(VALU_DEP_2)
	v_fmaak_f32 v12, v11, v12, 0xbe1160e6
	v_add_f32_e32 v22, v22, v23
	s_delay_alu instid0(VALU_DEP_2) | instskip(SKIP_2) | instid1(VALU_DEP_3)
	v_fmaak_f32 v12, v11, v12, 0x3e4cb8bf
	v_cndmask_b32_e64 v23, 0, 0x41b17218, vcc_lo
	v_cmp_gt_f32_e64 vcc_lo, 0x7f800000, |v10|
	v_fmaak_f32 v12, v11, v12, 0xbeaaaa62
	s_delay_alu instid0(VALU_DEP_1) | instskip(NEXT) | instid1(VALU_DEP_1)
	v_dual_cndmask_b32 v10, v10, v22 :: v_dual_mul_f32 v11, v11, v12
	v_sub_f32_e32 v10, v10, v23
	s_delay_alu instid0(VALU_DEP_1)
	v_dual_fmac_f32 v9, v9, v11 :: v_dual_add_f32 v10, 1.0, v10
.LBB44_283:                             ;   in Loop: Header=BB44_5 Depth=1
	s_or_b32 exec_lo, exec_lo, s34
	s_waitcnt vmcnt(0) lgkmcnt(0)
	s_delay_alu instid0(VALU_DEP_1)
	v_sub_f32_e32 v11, 0x3fc90fdb, v9
	v_cmp_gt_f32_e32 vcc_lo, 0, v1
	v_cndmask_b32_e64 v12, 0, 0x40490fdb, s3
	v_cmp_class_f32_e64 s3, v1, 0x204
	v_add_f32_e32 v10, 0x3f317218, v10
	v_cndmask_b32_e64 v9, v9, v11, s4
	v_cmp_class_f32_e64 s4, v2, 0x204
	s_delay_alu instid0(VALU_DEP_3) | instskip(NEXT) | instid1(VALU_DEP_3)
	v_cndmask_b32_e64 v10, -v10, v10, s2
	v_sub_f32_e32 v11, 0x40490fdb, v9
	s_delay_alu instid0(VALU_DEP_1) | instskip(SKIP_2) | instid1(VALU_DEP_3)
	v_cndmask_b32_e32 v9, v9, v11, vcc_lo
	v_cndmask_b32_e32 v11, 0x3f490fdb, v21, vcc_lo
	v_cmp_eq_f32_e32 vcc_lo, 0, v2
	v_cndmask_b32_e32 v9, v9, v12, vcc_lo
	s_and_b32 vcc_lo, s3, s4
	s_delay_alu instid0(VALU_DEP_1) | instskip(SKIP_1) | instid1(VALU_DEP_2)
	v_cndmask_b32_e32 v9, v9, v11, vcc_lo
	v_cmp_o_f32_e32 vcc_lo, v1, v2
	v_cndmask_b32_e64 v9, 0x7fc00000, |v9|, vcc_lo
.LBB44_284:                             ;   in Loop: Header=BB44_5 Depth=1
	s_or_b32 exec_lo, exec_lo, s6
.LBB44_285:                             ;   in Loop: Header=BB44_5 Depth=1
	s_and_not1_saveexec_b32 s2, s33
	s_cbranch_execz .LBB44_299
; %bb.286:                              ;   in Loop: Header=BB44_5 Depth=1
	v_cmp_neq_f32_e64 s3, 0x7f800000, |v1|
                                        ; implicit-def: $vgpr10
	s_delay_alu instid0(VALU_DEP_1) | instskip(NEXT) | instid1(SALU_CYCLE_1)
	s_and_saveexec_b32 s4, s3
	s_xor_b32 s3, exec_lo, s4
	s_cbranch_execz .LBB44_296
; %bb.287:                              ;   in Loop: Header=BB44_5 Depth=1
	v_cmp_neq_f32_e64 s4, 0x7f800000, |v2|
                                        ; implicit-def: $vgpr10
	s_delay_alu instid0(VALU_DEP_1) | instskip(NEXT) | instid1(SALU_CYCLE_1)
	s_and_saveexec_b32 s5, s4
	s_xor_b32 s4, exec_lo, s5
	s_cbranch_execz .LBB44_293
; %bb.288:                              ;   in Loop: Header=BB44_5 Depth=1
	s_mov_b32 s5, exec_lo
                                        ; implicit-def: $vgpr10
	v_cmpx_neq_f32_e32 0, v1
	s_xor_b32 s5, exec_lo, s5
	s_cbranch_execz .LBB44_290
; %bb.289:                              ;   in Loop: Header=BB44_5 Depth=1
	s_waitcnt vmcnt(0) lgkmcnt(0)
	v_add_f32_e32 v9, 0, v2
	s_delay_alu instid0(VALU_DEP_1)
	v_add_f32_e32 v10, v1, v9
.LBB44_290:                             ;   in Loop: Header=BB44_5 Depth=1
	s_or_saveexec_b32 s5, s5
	s_waitcnt vmcnt(0) lgkmcnt(0)
	s_delay_alu instid0(VALU_DEP_1)
	v_mov_b32_e32 v9, v10
	s_xor_b32 exec_lo, exec_lo, s5
	s_cbranch_execz .LBB44_292
; %bb.291:                              ;   in Loop: Header=BB44_5 Depth=1
	v_dual_mov_b32 v9, s16 :: v_dual_mov_b32 v10, s17
	flat_load_b32 v9, v[9:10] glc dlc
	s_waitcnt vmcnt(0) lgkmcnt(0)
	v_dual_add_f32 v10, v2, v2 :: v_dual_add_f32 v9, 0x3fc90fdb, v9
.LBB44_292:                             ;   in Loop: Header=BB44_5 Depth=1
	s_or_b32 exec_lo, exec_lo, s5
.LBB44_293:                             ;   in Loop: Header=BB44_5 Depth=1
	s_and_not1_saveexec_b32 s4, s4
	s_cbranch_execz .LBB44_295
; %bb.294:                              ;   in Loop: Header=BB44_5 Depth=1
	s_waitcnt vmcnt(0) lgkmcnt(0)
	v_add_f32_e32 v9, v1, v1
	v_xor_b32_e32 v10, 0x80000000, v2
.LBB44_295:                             ;   in Loop: Header=BB44_5 Depth=1
	s_or_b32 exec_lo, exec_lo, s4
.LBB44_296:                             ;   in Loop: Header=BB44_5 Depth=1
	s_and_not1_saveexec_b32 s3, s3
	s_cbranch_execz .LBB44_298
; %bb.297:                              ;   in Loop: Header=BB44_5 Depth=1
	s_waitcnt vmcnt(0) lgkmcnt(0)
	v_dual_add_f32 v9, v2, v2 :: v_dual_mov_b32 v10, 0xff800000
.LBB44_298:                             ;   in Loop: Header=BB44_5 Depth=1
	s_or_b32 exec_lo, exec_lo, s3
.LBB44_299:                             ;   in Loop: Header=BB44_5 Depth=1
	s_delay_alu instid0(SALU_CYCLE_1) | instskip(SKIP_3) | instid1(VALU_DEP_2)
	s_or_b32 exec_lo, exec_lo, s2
	v_cmp_o_f32_e32 vcc_lo, v3, v3
	v_cmp_o_f32_e64 s2, v4, v4
	v_dual_mov_b32 v1, s16 :: v_dual_mov_b32 v2, s17
	s_and_b32 s2, vcc_lo, s2
	flat_store_b32 v[1:2], v19 dlc
	s_waitcnt_vscnt null, 0x0
	s_and_saveexec_b32 s3, s2
	s_delay_alu instid0(SALU_CYCLE_1)
	s_xor_b32 s33, exec_lo, s3
	s_cbranch_execz .LBB44_383
; %bb.300:                              ;   in Loop: Header=BB44_5 Depth=1
	v_max_f32_e64 v22, |v4|, |v4|
	v_max_f32_e64 v2, |v3|, |v3|
	v_cmp_gt_i32_e64 s3, 0, v3
	v_cmp_lt_i32_e64 s4, -1, v3
	v_cmp_gt_i32_e64 s2, 0, v4
	s_mov_b32 s5, exec_lo
	v_max_f32_e32 v1, v2, v22
	s_delay_alu instid0(VALU_DEP_1)
	v_cmpx_nlt_f32_e32 0x4b000000, v1
	s_xor_b32 s34, exec_lo, s5
	s_cbranch_execz .LBB44_372
; %bb.301:                              ;   in Loop: Header=BB44_5 Depth=1
	v_cmp_neq_f32_e32 vcc_lo, 1.0, v3
	v_cmp_neq_f32_e64 s5, 0, v4
	s_delay_alu instid0(VALU_DEP_1) | instskip(NEXT) | instid1(SALU_CYCLE_1)
	s_or_b32 s5, vcc_lo, s5
	s_and_saveexec_b32 s6, s5
	s_delay_alu instid0(SALU_CYCLE_1)
	s_xor_b32 s35, exec_lo, s6
	s_cbranch_execz .LBB44_369
; %bb.302:                              ;   in Loop: Header=BB44_5 Depth=1
	v_dual_mov_b32 v1, s18 :: v_dual_mov_b32 v2, s19
	v_cmp_ngt_f32_e64 s5, 0x395db3d7, |v3|
	v_cmp_ngt_f32_e64 s6, 0x395db3d7, |v4|
	flat_store_b32 v[1:2], v20 dlc
	s_waitcnt_vscnt null, 0x0
	flat_load_b32 v1, v[1:2] glc dlc
	s_waitcnt vmcnt(0)
	s_or_b32 s5, s5, s6
	s_waitcnt lgkmcnt(0)
	v_add_f32_e32 v11, 1.0, v1
	v_dual_mov_b32 v1, s20 :: v_dual_mov_b32 v2, s21
	flat_store_b32 v[1:2], v11 dlc
	s_waitcnt_vscnt null, 0x0
	flat_load_b32 v1, v[1:2] glc dlc
	s_waitcnt vmcnt(0)
	s_and_saveexec_b32 s6, s5
	s_delay_alu instid0(SALU_CYCLE_1)
	s_xor_b32 s36, exec_lo, s6
	s_cbranch_execz .LBB44_366
; %bb.303:                              ;   in Loop: Header=BB44_5 Depth=1
	v_add_f32_e64 v2, |v3|, 1.0
	s_waitcnt lgkmcnt(0)
	v_add_f32_e64 v1, |v3|, -1.0
	s_mov_b32 s5, exec_lo
	s_delay_alu instid0(VALU_DEP_2) | instskip(NEXT) | instid1(VALU_DEP_2)
	v_max_f32_e64 v24, v22, |v2|
	v_max_f32_e64 v25, v22, |v1|
	s_delay_alu instid0(VALU_DEP_2) | instskip(NEXT) | instid1(VALU_DEP_2)
	v_cvt_f64_f32_e32 v[11:12], v24
	v_cvt_f64_f32_e32 v[22:23], v25
	v_cmp_neq_f32_e32 vcc_lo, 0x7f800000, v24
	s_delay_alu instid0(VALU_DEP_3) | instskip(NEXT) | instid1(VALU_DEP_3)
	v_frexp_exp_i32_f64_e32 v11, v[11:12]
	v_frexp_exp_i32_f64_e32 v12, v[22:23]
	s_delay_alu instid0(VALU_DEP_2) | instskip(NEXT) | instid1(VALU_DEP_2)
	v_sub_nc_u32_e32 v22, 0, v11
	v_sub_nc_u32_e32 v23, 0, v12
	s_delay_alu instid0(VALU_DEP_2) | instskip(NEXT) | instid1(VALU_DEP_2)
	v_ldexp_f32 v26, |v2|, v22
	v_ldexp_f32 v27, |v1|, v23
	;; [unrolled: 1-line block ×4, first 2 shown]
	s_delay_alu instid0(VALU_DEP_3) | instskip(NEXT) | instid1(VALU_DEP_1)
	v_dual_mul_f32 v26, v26, v26 :: v_dual_mul_f32 v27, v27, v27
	v_dual_fmac_f32 v26, v22, v22 :: v_dual_fmac_f32 v27, v23, v23
	s_delay_alu instid0(VALU_DEP_1) | instskip(NEXT) | instid1(VALU_DEP_1)
	v_sqrt_f32_e32 v22, v26
	v_sqrt_f32_e32 v23, v27
	s_waitcnt_depctr 0xfff
	v_ldexp_f32 v11, v22, v11
	v_ldexp_f32 v12, v23, v12
	s_delay_alu instid0(VALU_DEP_2) | instskip(SKIP_1) | instid1(VALU_DEP_3)
	v_cndmask_b32_e32 v24, 0x7f800000, v11, vcc_lo
	v_cmp_neq_f32_e32 vcc_lo, 0x7f800000, v25
	v_cndmask_b32_e32 v22, 0x7f800000, v12, vcc_lo
                                        ; implicit-def: $vgpr12
	s_delay_alu instid0(VALU_DEP_1) | instskip(NEXT) | instid1(VALU_DEP_1)
	v_add_f32_e32 v11, v24, v22
	v_mul_f32_e32 v11, 0.5, v11
	s_delay_alu instid0(VALU_DEP_1) | instskip(SKIP_1) | instid1(VALU_DEP_1)
	v_cmp_ngt_f32_e32 vcc_lo, 1.0, v11
	v_cndmask_b32_e32 v11, 1.0, v11, vcc_lo
	v_cmpx_ngt_f32_e32 0x41200000, v11
	s_xor_b32 s6, exec_lo, s5
	s_cbranch_execz .LBB44_305
; %bb.304:                              ;   in Loop: Header=BB44_5 Depth=1
	v_fma_f32 v12, v11, v11, -1.0
	s_delay_alu instid0(VALU_DEP_1) | instskip(SKIP_1) | instid1(VALU_DEP_2)
	v_mul_f32_e32 v23, 0x4f800000, v12
	v_cmp_gt_f32_e32 vcc_lo, 0xf800000, v12
	v_cndmask_b32_e32 v12, v12, v23, vcc_lo
	s_delay_alu instid0(VALU_DEP_1) | instskip(SKIP_3) | instid1(VALU_DEP_2)
	v_sqrt_f32_e32 v23, v12
	s_waitcnt_depctr 0xfff
	v_add_nc_u32_e32 v25, -1, v23
	v_add_nc_u32_e32 v26, 1, v23
	v_fma_f32 v27, -v25, v23, v12
	s_delay_alu instid0(VALU_DEP_2) | instskip(NEXT) | instid1(VALU_DEP_2)
	v_fma_f32 v28, -v26, v23, v12
	v_cmp_ge_f32_e64 s5, 0, v27
	s_delay_alu instid0(VALU_DEP_1) | instskip(NEXT) | instid1(VALU_DEP_3)
	v_cndmask_b32_e64 v23, v23, v25, s5
	v_cmp_lt_f32_e64 s5, 0, v28
	s_delay_alu instid0(VALU_DEP_1) | instskip(NEXT) | instid1(VALU_DEP_1)
	v_cndmask_b32_e64 v23, v23, v26, s5
	v_mul_f32_e32 v25, 0x37800000, v23
	s_delay_alu instid0(VALU_DEP_1) | instskip(SKIP_1) | instid1(VALU_DEP_2)
	v_cndmask_b32_e32 v23, v23, v25, vcc_lo
	v_cmp_class_f32_e64 vcc_lo, v12, 0x260
	v_cndmask_b32_e32 v12, v23, v12, vcc_lo
	s_delay_alu instid0(VALU_DEP_1) | instskip(NEXT) | instid1(VALU_DEP_1)
	v_add_f32_e32 v12, v11, v12
	v_cmp_gt_f32_e32 vcc_lo, 0x800000, v12
	s_delay_alu instid0(VALU_DEP_4) | instskip(NEXT) | instid1(VALU_DEP_1)
	v_cndmask_b32_e64 v23, 1.0, 0x4f800000, vcc_lo
	v_mul_f32_e32 v12, v12, v23
	s_delay_alu instid0(VALU_DEP_1) | instskip(SKIP_3) | instid1(VALU_DEP_2)
	v_log_f32_e32 v12, v12
	s_waitcnt_depctr 0xfff
	v_mul_f32_e32 v23, 0x3f317217, v12
	v_cmp_gt_f32_e64 s5, 0x7f800000, |v12|
	v_fma_f32 v25, 0x3f317217, v12, -v23
	s_delay_alu instid0(VALU_DEP_1) | instskip(NEXT) | instid1(VALU_DEP_1)
	v_fmac_f32_e32 v25, 0x3377d1cf, v12
	v_add_f32_e32 v23, v23, v25
	s_delay_alu instid0(VALU_DEP_1) | instskip(SKIP_1) | instid1(VALU_DEP_1)
	v_cndmask_b32_e64 v12, v12, v23, s5
	v_cndmask_b32_e64 v23, 0, 0x41b17218, vcc_lo
	v_sub_f32_e32 v12, v12, v23
.LBB44_305:                             ;   in Loop: Header=BB44_5 Depth=1
	s_or_saveexec_b32 s6, s6
	v_and_b32_e32 v23, 0x7fffffff, v4
	s_xor_b32 exec_lo, exec_lo, s6
	s_cbranch_execz .LBB44_327
; %bb.306:                              ;   in Loop: Header=BB44_5 Depth=1
	v_cmp_neq_f32_e64 s5, |v3|, 1.0
	v_cmp_ngt_f32_e64 s37, 0x25000000, |v4|
                                        ; implicit-def: $vgpr12
	s_delay_alu instid0(VALU_DEP_1) | instskip(NEXT) | instid1(SALU_CYCLE_1)
	s_or_b32 s5, s5, s37
	s_and_saveexec_b32 s37, s5
	s_delay_alu instid0(SALU_CYCLE_1)
	s_xor_b32 s37, exec_lo, s37
	s_cbranch_execz .LBB44_324
; %bb.307:                              ;   in Loop: Header=BB44_5 Depth=1
	v_mul_f32_e64 v12, 0x34000000, |v1|
	s_delay_alu instid0(VALU_DEP_1) | instskip(NEXT) | instid1(VALU_DEP_1)
	v_cmp_le_f32_e64 s5, v12, |v4|
                                        ; implicit-def: $vgpr12
	s_and_saveexec_b32 s38, s5
	s_delay_alu instid0(SALU_CYCLE_1)
	s_xor_b32 s38, exec_lo, s38
	s_cbranch_execz .LBB44_317
; %bb.308:                              ;   in Loop: Header=BB44_5 Depth=1
	v_mov_b32_e32 v12, v23
	s_mov_b32 s5, exec_lo
	v_cmpx_neq_f32_e32 0, v2
	s_cbranch_execz .LBB44_310
; %bb.309:                              ;   in Loop: Header=BB44_5 Depth=1
	v_mul_f32_e32 v12, v4, v4
	v_add_f32_e32 v25, v2, v24
	s_delay_alu instid0(VALU_DEP_1) | instskip(NEXT) | instid1(VALU_DEP_1)
	v_div_scale_f32 v26, null, v25, v25, v12
	v_rcp_f32_e32 v27, v26
	s_waitcnt_depctr 0xfff
	v_fma_f32 v28, -v26, v27, 1.0
	s_delay_alu instid0(VALU_DEP_1) | instskip(SKIP_1) | instid1(VALU_DEP_1)
	v_fmac_f32_e32 v27, v28, v27
	v_div_scale_f32 v28, vcc_lo, v12, v25, v12
	v_mul_f32_e32 v29, v28, v27
	s_delay_alu instid0(VALU_DEP_1) | instskip(NEXT) | instid1(VALU_DEP_1)
	v_fma_f32 v30, -v26, v29, v28
	v_fmac_f32_e32 v29, v30, v27
	s_delay_alu instid0(VALU_DEP_1) | instskip(NEXT) | instid1(VALU_DEP_1)
	v_fma_f32 v26, -v26, v29, v28
	v_div_fmas_f32 v26, v26, v27, v29
	s_delay_alu instid0(VALU_DEP_1)
	v_div_fixup_f32 v12, v26, v25, v12
.LBB44_310:                             ;   in Loop: Header=BB44_5 Depth=1
	s_or_b32 exec_lo, exec_lo, s5
	v_sub_f32_e64 v26, 1.0, |v3|
	s_mov_b32 s5, exec_lo
                                        ; implicit-def: $vgpr25
	s_delay_alu instid0(VALU_DEP_1)
	v_cmpx_ngt_f32_e32 0, v26
	s_xor_b32 s5, exec_lo, s5
	s_cbranch_execz .LBB44_314
; %bb.311:                              ;   in Loop: Header=BB44_5 Depth=1
	v_mov_b32_e32 v25, v23
	s_mov_b32 s39, exec_lo
	v_cmpx_neq_f32_e32 0, v26
	s_cbranch_execz .LBB44_313
; %bb.312:                              ;   in Loop: Header=BB44_5 Depth=1
	v_dual_mul_f32 v25, v4, v4 :: v_dual_add_f32 v26, v26, v22
	s_delay_alu instid0(VALU_DEP_1) | instskip(NEXT) | instid1(VALU_DEP_1)
	v_div_scale_f32 v27, null, v26, v26, v25
	v_rcp_f32_e32 v28, v27
	s_waitcnt_depctr 0xfff
	v_fma_f32 v29, -v27, v28, 1.0
	s_delay_alu instid0(VALU_DEP_1) | instskip(SKIP_1) | instid1(VALU_DEP_1)
	v_fmac_f32_e32 v28, v29, v28
	v_div_scale_f32 v29, vcc_lo, v25, v26, v25
	v_mul_f32_e32 v30, v29, v28
	s_delay_alu instid0(VALU_DEP_1) | instskip(NEXT) | instid1(VALU_DEP_1)
	v_fma_f32 v31, -v27, v30, v29
	v_fmac_f32_e32 v30, v31, v28
	s_delay_alu instid0(VALU_DEP_1) | instskip(NEXT) | instid1(VALU_DEP_1)
	v_fma_f32 v27, -v27, v30, v29
	v_div_fmas_f32 v27, v27, v28, v30
	s_delay_alu instid0(VALU_DEP_1)
	v_div_fixup_f32 v25, v27, v26, v25
.LBB44_313:                             ;   in Loop: Header=BB44_5 Depth=1
	s_or_b32 exec_lo, exec_lo, s39
                                        ; implicit-def: $vgpr26
.LBB44_314:                             ;   in Loop: Header=BB44_5 Depth=1
	s_and_not1_saveexec_b32 s5, s5
; %bb.315:                              ;   in Loop: Header=BB44_5 Depth=1
	v_sub_f32_e32 v25, v22, v26
; %bb.316:                              ;   in Loop: Header=BB44_5 Depth=1
	s_or_b32 exec_lo, exec_lo, s5
	s_delay_alu instid0(VALU_DEP_1) | instskip(NEXT) | instid1(VALU_DEP_1)
	v_dual_mul_f32 v25, 0.5, v25 :: v_dual_add_f32 v26, 1.0, v11
	v_fmac_f32_e32 v25, 0.5, v12
	s_delay_alu instid0(VALU_DEP_1) | instskip(NEXT) | instid1(VALU_DEP_1)
	v_mul_f32_e32 v12, v26, v25
	v_mul_f32_e32 v26, 0x4f800000, v12
	v_cmp_gt_f32_e32 vcc_lo, 0xf800000, v12
	s_delay_alu instid0(VALU_DEP_2) | instskip(NEXT) | instid1(VALU_DEP_1)
	v_cndmask_b32_e32 v12, v12, v26, vcc_lo
	v_sqrt_f32_e32 v26, v12
	s_waitcnt_depctr 0xfff
	v_add_nc_u32_e32 v27, -1, v26
	v_add_nc_u32_e32 v28, 1, v26
	s_delay_alu instid0(VALU_DEP_2) | instskip(NEXT) | instid1(VALU_DEP_2)
	v_fma_f32 v29, -v27, v26, v12
	v_fma_f32 v30, -v28, v26, v12
	s_delay_alu instid0(VALU_DEP_2) | instskip(NEXT) | instid1(VALU_DEP_1)
	v_cmp_ge_f32_e64 s5, 0, v29
	v_cndmask_b32_e64 v26, v26, v27, s5
	s_delay_alu instid0(VALU_DEP_3) | instskip(NEXT) | instid1(VALU_DEP_1)
	v_cmp_lt_f32_e64 s5, 0, v30
	v_cndmask_b32_e64 v26, v26, v28, s5
	s_delay_alu instid0(VALU_DEP_1) | instskip(NEXT) | instid1(VALU_DEP_1)
	v_mul_f32_e32 v27, 0x37800000, v26
	v_cndmask_b32_e32 v26, v26, v27, vcc_lo
	v_cmp_class_f32_e64 vcc_lo, v12, 0x260
	s_delay_alu instid0(VALU_DEP_2) | instskip(NEXT) | instid1(VALU_DEP_1)
	v_cndmask_b32_e32 v12, v26, v12, vcc_lo
	v_add_f32_e32 v12, v25, v12
	s_delay_alu instid0(VALU_DEP_1) | instskip(NEXT) | instid1(VALU_DEP_1)
	v_add_f32_e32 v27, 1.0, v12
	v_cvt_f64_f32_e32 v[25:26], v27
	s_delay_alu instid0(VALU_DEP_1) | instskip(SKIP_1) | instid1(VALU_DEP_1)
	v_frexp_exp_i32_f64_e32 v25, v[25:26]
	v_frexp_mant_f32_e32 v26, v27
	v_cmp_gt_f32_e32 vcc_lo, 0x3f2aaaab, v26
	v_add_f32_e32 v26, -1.0, v27
	s_delay_alu instid0(VALU_DEP_1) | instskip(NEXT) | instid1(VALU_DEP_1)
	v_dual_sub_f32 v29, v26, v27 :: v_dual_sub_f32 v26, v12, v26
	v_add_f32_e32 v29, 1.0, v29
	v_subrev_co_ci_u32_e32 v25, vcc_lo, 0, v25, vcc_lo
	v_cmp_eq_f32_e32 vcc_lo, 0x7f800000, v12
	s_delay_alu instid0(VALU_DEP_2) | instskip(SKIP_1) | instid1(VALU_DEP_2)
	v_sub_nc_u32_e32 v28, 0, v25
	v_cvt_f32_i32_e32 v25, v25
	v_ldexp_f32 v27, v27, v28
	v_add_f32_e32 v26, v26, v29
	s_delay_alu instid0(VALU_DEP_1) | instskip(NEXT) | instid1(VALU_DEP_3)
	v_ldexp_f32 v26, v26, v28
	v_add_f32_e32 v30, 1.0, v27
	s_delay_alu instid0(VALU_DEP_1) | instskip(NEXT) | instid1(VALU_DEP_1)
	v_add_f32_e32 v29, -1.0, v30
	v_sub_f32_e32 v29, v27, v29
	s_delay_alu instid0(VALU_DEP_1) | instskip(NEXT) | instid1(VALU_DEP_1)
	v_dual_add_f32 v29, v26, v29 :: v_dual_add_f32 v28, -1.0, v27
	v_add_f32_e32 v31, 1.0, v28
	s_delay_alu instid0(VALU_DEP_1) | instskip(NEXT) | instid1(VALU_DEP_3)
	v_sub_f32_e32 v27, v27, v31
	v_add_f32_e32 v31, v30, v29
	s_delay_alu instid0(VALU_DEP_1) | instskip(NEXT) | instid1(VALU_DEP_3)
	v_sub_f32_e32 v30, v31, v30
	v_add_f32_e32 v26, v26, v27
	v_rcp_f32_e32 v27, v31
	s_delay_alu instid0(VALU_DEP_2) | instskip(NEXT) | instid1(VALU_DEP_2)
	v_sub_f32_e32 v29, v29, v30
	v_add_f32_e32 v32, v28, v26
	s_delay_alu instid0(VALU_DEP_1) | instskip(SKIP_2) | instid1(VALU_DEP_1)
	v_sub_f32_e32 v28, v32, v28
	s_waitcnt_depctr 0xfff
	v_dual_mul_f32 v33, v32, v27 :: v_dual_sub_f32 v26, v26, v28
	v_mul_f32_e32 v34, v31, v33
	s_delay_alu instid0(VALU_DEP_1) | instskip(NEXT) | instid1(VALU_DEP_1)
	v_fma_f32 v30, v33, v31, -v34
	v_fmac_f32_e32 v30, v33, v29
	s_delay_alu instid0(VALU_DEP_1) | instskip(NEXT) | instid1(VALU_DEP_1)
	v_add_f32_e32 v35, v34, v30
	v_sub_f32_e32 v36, v32, v35
	s_delay_alu instid0(VALU_DEP_1) | instskip(SKIP_1) | instid1(VALU_DEP_2)
	v_sub_f32_e32 v32, v32, v36
	v_sub_f32_e32 v28, v35, v34
	;; [unrolled: 1-line block ×3, first 2 shown]
	s_delay_alu instid0(VALU_DEP_2) | instskip(NEXT) | instid1(VALU_DEP_2)
	v_sub_f32_e32 v28, v28, v30
	v_add_f32_e32 v26, v26, v32
	s_delay_alu instid0(VALU_DEP_1) | instskip(NEXT) | instid1(VALU_DEP_1)
	v_add_f32_e32 v26, v28, v26
	v_add_f32_e32 v28, v36, v26
	s_delay_alu instid0(VALU_DEP_1) | instskip(NEXT) | instid1(VALU_DEP_1)
	v_mul_f32_e32 v30, v27, v28
	v_dual_sub_f32 v35, v36, v28 :: v_dual_mul_f32 v32, v31, v30
	s_delay_alu instid0(VALU_DEP_1) | instskip(NEXT) | instid1(VALU_DEP_2)
	v_add_f32_e32 v26, v26, v35
	v_fma_f32 v31, v30, v31, -v32
	s_delay_alu instid0(VALU_DEP_1) | instskip(NEXT) | instid1(VALU_DEP_1)
	v_fmac_f32_e32 v31, v30, v29
	v_add_f32_e32 v29, v32, v31
	s_delay_alu instid0(VALU_DEP_1) | instskip(SKIP_1) | instid1(VALU_DEP_2)
	v_sub_f32_e32 v34, v28, v29
	v_sub_f32_e32 v32, v29, v32
	;; [unrolled: 1-line block ×3, first 2 shown]
	s_delay_alu instid0(VALU_DEP_1) | instskip(NEXT) | instid1(VALU_DEP_1)
	v_sub_f32_e32 v28, v28, v29
	v_dual_sub_f32 v29, v32, v31 :: v_dual_add_f32 v26, v26, v28
	v_add_f32_e32 v28, v33, v30
	s_delay_alu instid0(VALU_DEP_1) | instskip(NEXT) | instid1(VALU_DEP_1)
	v_dual_add_f32 v26, v29, v26 :: v_dual_sub_f32 v29, v28, v33
	v_add_f32_e32 v26, v34, v26
	s_delay_alu instid0(VALU_DEP_1) | instskip(NEXT) | instid1(VALU_DEP_1)
	v_dual_sub_f32 v29, v30, v29 :: v_dual_mul_f32 v26, v27, v26
	v_add_f32_e32 v26, v29, v26
	s_delay_alu instid0(VALU_DEP_1) | instskip(NEXT) | instid1(VALU_DEP_1)
	v_add_f32_e32 v27, v28, v26
	v_mul_f32_e32 v29, v27, v27
	s_delay_alu instid0(VALU_DEP_1) | instskip(SKIP_1) | instid1(VALU_DEP_2)
	v_fmaak_f32 v30, s29, v29, 0x3ecc95a3
	v_mul_f32_e32 v31, v27, v29
	v_fmaak_f32 v29, v29, v30, 0x3f2aaada
	v_ldexp_f32 v30, v27, 1
	v_sub_f32_e32 v27, v27, v28
	s_delay_alu instid0(VALU_DEP_3) | instskip(NEXT) | instid1(VALU_DEP_2)
	v_mul_f32_e32 v29, v31, v29
	v_dual_mul_f32 v31, 0x3f317218, v25 :: v_dual_sub_f32 v26, v26, v27
	s_delay_alu instid0(VALU_DEP_2) | instskip(NEXT) | instid1(VALU_DEP_2)
	v_add_f32_e32 v28, v30, v29
	v_ldexp_f32 v26, v26, 1
	s_delay_alu instid0(VALU_DEP_2) | instskip(NEXT) | instid1(VALU_DEP_4)
	v_sub_f32_e32 v27, v28, v30
	v_fma_f32 v30, 0x3f317218, v25, -v31
	s_delay_alu instid0(VALU_DEP_1) | instskip(NEXT) | instid1(VALU_DEP_1)
	v_dual_sub_f32 v27, v29, v27 :: v_dual_fmac_f32 v30, 0xb102e308, v25
	v_dual_add_f32 v25, v26, v27 :: v_dual_add_f32 v26, v31, v30
	s_delay_alu instid0(VALU_DEP_1) | instskip(NEXT) | instid1(VALU_DEP_2)
	v_add_f32_e32 v27, v28, v25
	v_sub_f32_e32 v31, v26, v31
	s_delay_alu instid0(VALU_DEP_2) | instskip(NEXT) | instid1(VALU_DEP_2)
	v_dual_add_f32 v29, v26, v27 :: v_dual_sub_f32 v28, v27, v28
	v_sub_f32_e32 v30, v30, v31
	s_delay_alu instid0(VALU_DEP_2) | instskip(NEXT) | instid1(VALU_DEP_3)
	v_sub_f32_e32 v32, v29, v26
	v_sub_f32_e32 v25, v25, v28
	s_delay_alu instid0(VALU_DEP_2) | instskip(NEXT) | instid1(VALU_DEP_2)
	v_sub_f32_e32 v33, v29, v32
	v_dual_sub_f32 v27, v27, v32 :: v_dual_add_f32 v28, v30, v25
	s_delay_alu instid0(VALU_DEP_2) | instskip(NEXT) | instid1(VALU_DEP_1)
	v_sub_f32_e32 v26, v26, v33
	v_add_f32_e32 v26, v27, v26
	s_delay_alu instid0(VALU_DEP_3) | instskip(NEXT) | instid1(VALU_DEP_2)
	v_sub_f32_e32 v27, v28, v30
	v_add_f32_e32 v26, v28, v26
	s_delay_alu instid0(VALU_DEP_2) | instskip(SKIP_1) | instid1(VALU_DEP_2)
	v_sub_f32_e32 v28, v28, v27
	v_sub_f32_e32 v25, v25, v27
	v_dual_add_f32 v31, v29, v26 :: v_dual_sub_f32 v28, v30, v28
	s_delay_alu instid0(VALU_DEP_1) | instskip(NEXT) | instid1(VALU_DEP_1)
	v_sub_f32_e32 v27, v31, v29
	v_dual_add_f32 v25, v25, v28 :: v_dual_sub_f32 v26, v26, v27
	s_delay_alu instid0(VALU_DEP_1) | instskip(NEXT) | instid1(VALU_DEP_1)
	v_add_f32_e32 v25, v25, v26
	v_add_f32_e32 v25, v31, v25
	s_delay_alu instid0(VALU_DEP_1) | instskip(SKIP_1) | instid1(VALU_DEP_2)
	v_cndmask_b32_e32 v25, v25, v12, vcc_lo
	v_cmp_ngt_f32_e32 vcc_lo, -1.0, v12
	v_cndmask_b32_e32 v25, 0x7fc00000, v25, vcc_lo
	v_cmp_neq_f32_e32 vcc_lo, -1.0, v12
	s_delay_alu instid0(VALU_DEP_2) | instskip(SKIP_1) | instid1(VALU_DEP_2)
	v_cndmask_b32_e32 v25, 0xff800000, v25, vcc_lo
	v_cmp_gt_f32_e64 vcc_lo, 0x33800000, |v12|
	v_cndmask_b32_e32 v12, v25, v12, vcc_lo
.LBB44_317:                             ;   in Loop: Header=BB44_5 Depth=1
	s_and_not1_saveexec_b32 s38, s38
	s_cbranch_execz .LBB44_323
; %bb.318:                              ;   in Loop: Header=BB44_5 Depth=1
	s_mov_b32 s39, exec_lo
                                        ; implicit-def: $vgpr12
	v_cmpx_nlt_f32_e64 |v3|, 1.0
	s_xor_b32 s39, exec_lo, s39
	s_cbranch_execz .LBB44_320
; %bb.319:                              ;   in Loop: Header=BB44_5 Depth=1
	v_mul_f32_e32 v12, v1, v2
	s_delay_alu instid0(VALU_DEP_1) | instskip(SKIP_1) | instid1(VALU_DEP_2)
	v_mul_f32_e32 v25, 0x4f800000, v12
	v_cmp_gt_f32_e32 vcc_lo, 0xf800000, v12
	v_cndmask_b32_e32 v12, v12, v25, vcc_lo
	s_delay_alu instid0(VALU_DEP_1) | instskip(SKIP_3) | instid1(VALU_DEP_2)
	v_sqrt_f32_e32 v25, v12
	s_waitcnt_depctr 0xfff
	v_add_nc_u32_e32 v26, -1, v25
	v_add_nc_u32_e32 v27, 1, v25
	v_fma_f32 v28, -v26, v25, v12
	s_delay_alu instid0(VALU_DEP_2) | instskip(NEXT) | instid1(VALU_DEP_2)
	v_fma_f32 v29, -v27, v25, v12
	v_cmp_ge_f32_e64 s5, 0, v28
	s_delay_alu instid0(VALU_DEP_1) | instskip(NEXT) | instid1(VALU_DEP_3)
	v_cndmask_b32_e64 v25, v25, v26, s5
	v_cmp_lt_f32_e64 s5, 0, v29
	s_delay_alu instid0(VALU_DEP_1) | instskip(NEXT) | instid1(VALU_DEP_1)
	v_cndmask_b32_e64 v25, v25, v27, s5
	v_mul_f32_e32 v26, 0x37800000, v25
	s_delay_alu instid0(VALU_DEP_1) | instskip(SKIP_1) | instid1(VALU_DEP_2)
	v_cndmask_b32_e32 v25, v25, v26, vcc_lo
	v_cmp_class_f32_e64 vcc_lo, v12, 0x260
	v_cndmask_b32_e32 v12, v25, v12, vcc_lo
	s_delay_alu instid0(VALU_DEP_1) | instskip(NEXT) | instid1(VALU_DEP_1)
	v_add_f32_e32 v12, v1, v12
	v_add_f32_e32 v27, 1.0, v12
	s_delay_alu instid0(VALU_DEP_1) | instskip(NEXT) | instid1(VALU_DEP_1)
	v_cvt_f64_f32_e32 v[25:26], v27
	v_frexp_exp_i32_f64_e32 v25, v[25:26]
	v_frexp_mant_f32_e32 v26, v27
	s_delay_alu instid0(VALU_DEP_1) | instskip(SKIP_1) | instid1(VALU_DEP_1)
	v_cmp_gt_f32_e32 vcc_lo, 0x3f2aaaab, v26
	v_add_f32_e32 v26, -1.0, v27
	v_sub_f32_e32 v29, v26, v27
	s_delay_alu instid0(VALU_DEP_1) | instskip(SKIP_2) | instid1(VALU_DEP_2)
	v_add_f32_e32 v29, 1.0, v29
	v_subrev_co_ci_u32_e32 v25, vcc_lo, 0, v25, vcc_lo
	v_cmp_eq_f32_e32 vcc_lo, 0x7f800000, v12
	v_sub_nc_u32_e32 v28, 0, v25
	v_cvt_f32_i32_e32 v25, v25
	s_delay_alu instid0(VALU_DEP_2) | instskip(SKIP_1) | instid1(VALU_DEP_1)
	v_ldexp_f32 v27, v27, v28
	v_sub_f32_e32 v26, v12, v26
	v_add_f32_e32 v26, v26, v29
	s_delay_alu instid0(VALU_DEP_1) | instskip(NEXT) | instid1(VALU_DEP_4)
	v_ldexp_f32 v26, v26, v28
	v_add_f32_e32 v28, -1.0, v27
	s_delay_alu instid0(VALU_DEP_1) | instskip(NEXT) | instid1(VALU_DEP_1)
	v_dual_add_f32 v30, 1.0, v27 :: v_dual_add_f32 v31, 1.0, v28
	v_add_f32_e32 v29, -1.0, v30
	s_delay_alu instid0(VALU_DEP_1) | instskip(NEXT) | instid1(VALU_DEP_3)
	v_sub_f32_e32 v29, v27, v29
	v_sub_f32_e32 v27, v27, v31
	s_delay_alu instid0(VALU_DEP_2) | instskip(NEXT) | instid1(VALU_DEP_2)
	v_add_f32_e32 v29, v26, v29
	v_add_f32_e32 v26, v26, v27
	s_delay_alu instid0(VALU_DEP_1) | instskip(NEXT) | instid1(VALU_DEP_1)
	v_dual_add_f32 v31, v30, v29 :: v_dual_add_f32 v32, v28, v26
	v_rcp_f32_e32 v27, v31
	v_sub_f32_e32 v30, v31, v30
	s_delay_alu instid0(VALU_DEP_1) | instskip(SKIP_2) | instid1(VALU_DEP_1)
	v_dual_sub_f32 v28, v32, v28 :: v_dual_sub_f32 v29, v29, v30
	s_waitcnt_depctr 0xfff
	v_dual_sub_f32 v26, v26, v28 :: v_dual_mul_f32 v33, v32, v27
	v_mul_f32_e32 v34, v31, v33
	s_delay_alu instid0(VALU_DEP_1) | instskip(NEXT) | instid1(VALU_DEP_1)
	v_fma_f32 v30, v33, v31, -v34
	v_fmac_f32_e32 v30, v33, v29
	s_delay_alu instid0(VALU_DEP_1) | instskip(NEXT) | instid1(VALU_DEP_1)
	v_add_f32_e32 v35, v34, v30
	v_sub_f32_e32 v36, v32, v35
	v_sub_f32_e32 v28, v35, v34
	s_delay_alu instid0(VALU_DEP_2) | instskip(NEXT) | instid1(VALU_DEP_2)
	v_sub_f32_e32 v32, v32, v36
	v_sub_f32_e32 v28, v28, v30
	s_delay_alu instid0(VALU_DEP_2) | instskip(NEXT) | instid1(VALU_DEP_1)
	v_sub_f32_e32 v32, v32, v35
	v_add_f32_e32 v26, v26, v32
	s_delay_alu instid0(VALU_DEP_1) | instskip(NEXT) | instid1(VALU_DEP_1)
	v_add_f32_e32 v26, v28, v26
	v_add_f32_e32 v28, v36, v26
	s_delay_alu instid0(VALU_DEP_1) | instskip(NEXT) | instid1(VALU_DEP_1)
	v_mul_f32_e32 v30, v27, v28
	v_mul_f32_e32 v32, v31, v30
	s_delay_alu instid0(VALU_DEP_1) | instskip(NEXT) | instid1(VALU_DEP_1)
	v_fma_f32 v31, v30, v31, -v32
	v_fmac_f32_e32 v31, v30, v29
	v_sub_f32_e32 v35, v36, v28
	s_delay_alu instid0(VALU_DEP_2) | instskip(NEXT) | instid1(VALU_DEP_2)
	v_add_f32_e32 v29, v32, v31
	v_add_f32_e32 v26, v26, v35
	s_delay_alu instid0(VALU_DEP_2) | instskip(SKIP_1) | instid1(VALU_DEP_2)
	v_sub_f32_e32 v34, v28, v29
	v_sub_f32_e32 v32, v29, v32
	v_sub_f32_e32 v28, v28, v34
	s_delay_alu instid0(VALU_DEP_1) | instskip(NEXT) | instid1(VALU_DEP_1)
	v_sub_f32_e32 v28, v28, v29
	v_dual_sub_f32 v29, v32, v31 :: v_dual_add_f32 v26, v26, v28
	v_add_f32_e32 v28, v33, v30
	s_delay_alu instid0(VALU_DEP_1) | instskip(NEXT) | instid1(VALU_DEP_1)
	v_dual_add_f32 v26, v29, v26 :: v_dual_sub_f32 v29, v28, v33
	v_add_f32_e32 v26, v34, v26
	s_delay_alu instid0(VALU_DEP_1) | instskip(NEXT) | instid1(VALU_DEP_1)
	v_dual_sub_f32 v29, v30, v29 :: v_dual_mul_f32 v26, v27, v26
	v_add_f32_e32 v26, v29, v26
	s_delay_alu instid0(VALU_DEP_1) | instskip(NEXT) | instid1(VALU_DEP_1)
	v_add_f32_e32 v27, v28, v26
	v_mul_f32_e32 v29, v27, v27
	s_delay_alu instid0(VALU_DEP_1) | instskip(SKIP_1) | instid1(VALU_DEP_2)
	v_fmaak_f32 v30, s29, v29, 0x3ecc95a3
	v_mul_f32_e32 v31, v27, v29
	v_fmaak_f32 v29, v29, v30, 0x3f2aaada
	v_ldexp_f32 v30, v27, 1
	v_sub_f32_e32 v27, v27, v28
	s_delay_alu instid0(VALU_DEP_3) | instskip(NEXT) | instid1(VALU_DEP_2)
	v_mul_f32_e32 v29, v31, v29
	v_dual_mul_f32 v31, 0x3f317218, v25 :: v_dual_sub_f32 v26, v26, v27
	s_delay_alu instid0(VALU_DEP_2) | instskip(NEXT) | instid1(VALU_DEP_2)
	v_add_f32_e32 v28, v30, v29
	v_ldexp_f32 v26, v26, 1
	s_delay_alu instid0(VALU_DEP_2) | instskip(NEXT) | instid1(VALU_DEP_4)
	v_sub_f32_e32 v27, v28, v30
	v_fma_f32 v30, 0x3f317218, v25, -v31
	s_delay_alu instid0(VALU_DEP_1) | instskip(NEXT) | instid1(VALU_DEP_1)
	v_dual_sub_f32 v27, v29, v27 :: v_dual_fmac_f32 v30, 0xb102e308, v25
	v_dual_add_f32 v25, v26, v27 :: v_dual_add_f32 v26, v31, v30
	s_delay_alu instid0(VALU_DEP_1) | instskip(NEXT) | instid1(VALU_DEP_2)
	v_add_f32_e32 v27, v28, v25
	v_sub_f32_e32 v31, v26, v31
	s_delay_alu instid0(VALU_DEP_2) | instskip(NEXT) | instid1(VALU_DEP_2)
	v_dual_add_f32 v29, v26, v27 :: v_dual_sub_f32 v28, v27, v28
	v_sub_f32_e32 v30, v30, v31
	s_delay_alu instid0(VALU_DEP_2) | instskip(NEXT) | instid1(VALU_DEP_3)
	v_sub_f32_e32 v32, v29, v26
	v_sub_f32_e32 v25, v25, v28
	s_delay_alu instid0(VALU_DEP_2) | instskip(NEXT) | instid1(VALU_DEP_2)
	v_sub_f32_e32 v33, v29, v32
	v_dual_sub_f32 v27, v27, v32 :: v_dual_add_f32 v28, v30, v25
	s_delay_alu instid0(VALU_DEP_2) | instskip(NEXT) | instid1(VALU_DEP_1)
	v_sub_f32_e32 v26, v26, v33
	v_add_f32_e32 v26, v27, v26
	s_delay_alu instid0(VALU_DEP_3) | instskip(NEXT) | instid1(VALU_DEP_2)
	v_sub_f32_e32 v27, v28, v30
	v_add_f32_e32 v26, v28, v26
	s_delay_alu instid0(VALU_DEP_2) | instskip(SKIP_1) | instid1(VALU_DEP_2)
	v_sub_f32_e32 v28, v28, v27
	v_sub_f32_e32 v25, v25, v27
	v_dual_add_f32 v31, v29, v26 :: v_dual_sub_f32 v28, v30, v28
	s_delay_alu instid0(VALU_DEP_1) | instskip(NEXT) | instid1(VALU_DEP_1)
	v_sub_f32_e32 v27, v31, v29
	v_dual_add_f32 v25, v25, v28 :: v_dual_sub_f32 v26, v26, v27
	s_delay_alu instid0(VALU_DEP_1) | instskip(NEXT) | instid1(VALU_DEP_1)
	v_add_f32_e32 v25, v25, v26
	v_add_f32_e32 v25, v31, v25
	s_delay_alu instid0(VALU_DEP_1) | instskip(SKIP_1) | instid1(VALU_DEP_2)
	v_cndmask_b32_e32 v25, v25, v12, vcc_lo
	v_cmp_ngt_f32_e32 vcc_lo, -1.0, v12
	v_cndmask_b32_e32 v25, 0x7fc00000, v25, vcc_lo
	v_cmp_neq_f32_e32 vcc_lo, -1.0, v12
	s_delay_alu instid0(VALU_DEP_2) | instskip(SKIP_1) | instid1(VALU_DEP_2)
	v_cndmask_b32_e32 v25, 0xff800000, v25, vcc_lo
	v_cmp_gt_f32_e64 vcc_lo, 0x33800000, |v12|
	v_cndmask_b32_e32 v12, v25, v12, vcc_lo
.LBB44_320:                             ;   in Loop: Header=BB44_5 Depth=1
	s_and_not1_saveexec_b32 s39, s39
	s_cbranch_execz .LBB44_322
; %bb.321:                              ;   in Loop: Header=BB44_5 Depth=1
	v_sub_f32_e64 v12, 1.0, |v3|
	s_delay_alu instid0(VALU_DEP_1) | instskip(NEXT) | instid1(VALU_DEP_1)
	v_mul_f32_e32 v12, v12, v2
	v_mul_f32_e32 v25, 0x4f800000, v12
	v_cmp_gt_f32_e32 vcc_lo, 0xf800000, v12
	s_delay_alu instid0(VALU_DEP_2) | instskip(NEXT) | instid1(VALU_DEP_1)
	v_cndmask_b32_e32 v12, v12, v25, vcc_lo
	v_sqrt_f32_e32 v25, v12
	s_waitcnt_depctr 0xfff
	v_add_nc_u32_e32 v26, -1, v25
	v_add_nc_u32_e32 v27, 1, v25
	s_delay_alu instid0(VALU_DEP_2) | instskip(NEXT) | instid1(VALU_DEP_2)
	v_fma_f32 v28, -v26, v25, v12
	v_fma_f32 v29, -v27, v25, v12
	s_delay_alu instid0(VALU_DEP_2) | instskip(NEXT) | instid1(VALU_DEP_1)
	v_cmp_ge_f32_e64 s5, 0, v28
	v_cndmask_b32_e64 v25, v25, v26, s5
	s_delay_alu instid0(VALU_DEP_3) | instskip(NEXT) | instid1(VALU_DEP_1)
	v_cmp_lt_f32_e64 s5, 0, v29
	v_cndmask_b32_e64 v25, v25, v27, s5
	s_delay_alu instid0(VALU_DEP_1) | instskip(NEXT) | instid1(VALU_DEP_1)
	v_mul_f32_e32 v26, 0x37800000, v25
	v_cndmask_b32_e32 v25, v25, v26, vcc_lo
	v_cmp_class_f32_e64 vcc_lo, v12, 0x260
	v_and_b32_e32 v26, 0x7fffffff, v4
	s_delay_alu instid0(VALU_DEP_3) | instskip(NEXT) | instid1(VALU_DEP_1)
	v_cndmask_b32_e32 v12, v25, v12, vcc_lo
	v_div_scale_f32 v25, null, v12, v12, v26
	v_div_scale_f32 v26, vcc_lo, v26, v12, v26
	s_delay_alu instid0(VALU_DEP_2) | instskip(SKIP_2) | instid1(VALU_DEP_1)
	v_rcp_f32_e32 v27, v25
	s_waitcnt_depctr 0xfff
	v_fma_f32 v28, -v25, v27, 1.0
	v_fmac_f32_e32 v27, v28, v27
	s_delay_alu instid0(VALU_DEP_1) | instskip(NEXT) | instid1(VALU_DEP_1)
	v_mul_f32_e32 v28, v26, v27
	v_fma_f32 v29, -v25, v28, v26
	s_delay_alu instid0(VALU_DEP_1) | instskip(NEXT) | instid1(VALU_DEP_1)
	v_fmac_f32_e32 v28, v29, v27
	v_fma_f32 v25, -v25, v28, v26
	s_delay_alu instid0(VALU_DEP_1) | instskip(NEXT) | instid1(VALU_DEP_1)
	v_div_fmas_f32 v25, v25, v27, v28
	v_div_fixup_f32 v12, v25, v12, |v4|
.LBB44_322:                             ;   in Loop: Header=BB44_5 Depth=1
	s_or_b32 exec_lo, exec_lo, s39
.LBB44_323:                             ;   in Loop: Header=BB44_5 Depth=1
	s_delay_alu instid0(SALU_CYCLE_1)
	s_or_b32 exec_lo, exec_lo, s38
.LBB44_324:                             ;   in Loop: Header=BB44_5 Depth=1
	s_and_not1_saveexec_b32 s37, s37
	s_cbranch_execz .LBB44_326
; %bb.325:                              ;   in Loop: Header=BB44_5 Depth=1
	v_mul_f32_e64 v12, 0x4f800000, |v4|
	v_cmp_gt_f32_e64 vcc_lo, 0xf800000, |v4|
	s_delay_alu instid0(VALU_DEP_1) | instskip(NEXT) | instid1(VALU_DEP_1)
	v_cndmask_b32_e64 v12, |v4|, v12, vcc_lo
	v_sqrt_f32_e32 v25, v12
	s_waitcnt_depctr 0xfff
	v_add_nc_u32_e32 v26, -1, v25
	v_add_nc_u32_e32 v27, 1, v25
	s_delay_alu instid0(VALU_DEP_2) | instskip(NEXT) | instid1(VALU_DEP_2)
	v_fma_f32 v28, -v26, v25, v12
	v_fma_f32 v29, -v27, v25, v12
	s_delay_alu instid0(VALU_DEP_2) | instskip(NEXT) | instid1(VALU_DEP_1)
	v_cmp_ge_f32_e64 s5, 0, v28
	v_cndmask_b32_e64 v25, v25, v26, s5
	s_delay_alu instid0(VALU_DEP_3) | instskip(NEXT) | instid1(VALU_DEP_1)
	v_cmp_lt_f32_e64 s5, 0, v29
	v_cndmask_b32_e64 v25, v25, v27, s5
	s_delay_alu instid0(VALU_DEP_1) | instskip(NEXT) | instid1(VALU_DEP_1)
	v_mul_f32_e32 v26, 0x37800000, v25
	v_cndmask_b32_e32 v25, v25, v26, vcc_lo
	v_cmp_class_f32_e64 vcc_lo, v12, 0x260
	s_delay_alu instid0(VALU_DEP_2)
	v_cndmask_b32_e32 v12, v25, v12, vcc_lo
.LBB44_326:                             ;   in Loop: Header=BB44_5 Depth=1
	s_or_b32 exec_lo, exec_lo, s37
.LBB44_327:                             ;   in Loop: Header=BB44_5 Depth=1
	s_delay_alu instid0(SALU_CYCLE_1) | instskip(NEXT) | instid1(SALU_CYCLE_1)
	s_or_b32 exec_lo, exec_lo, s6
	s_mov_b32 s37, exec_lo
                                        ; implicit-def: $sgpr5
                                        ; implicit-def: $vgpr25
                                        ; implicit-def: $vgpr27
                                        ; implicit-def: $vgpr26
	v_cmpx_ngt_f32_e64 0x21000000, |v3|
	s_xor_b32 s37, exec_lo, s37
	s_cbranch_execz .LBB44_351
; %bb.328:                              ;   in Loop: Header=BB44_5 Depth=1
	v_and_b32_e32 v26, 0x7fffffff, v3
	s_mov_b32 s5, 0
	s_mov_b32 s38, exec_lo
	s_delay_alu instid0(VALU_DEP_1) | instskip(NEXT) | instid1(VALU_DEP_1)
	v_div_scale_f32 v25, null, v11, v11, v26
	v_rcp_f32_e32 v27, v25
	s_waitcnt_depctr 0xfff
	v_fma_f32 v28, -v25, v27, 1.0
	s_delay_alu instid0(VALU_DEP_1) | instskip(SKIP_1) | instid1(VALU_DEP_1)
	v_fmac_f32_e32 v27, v28, v27
	v_div_scale_f32 v28, vcc_lo, v26, v11, v26
	v_mul_f32_e32 v29, v28, v27
	s_delay_alu instid0(VALU_DEP_1) | instskip(NEXT) | instid1(VALU_DEP_1)
	v_fma_f32 v30, -v25, v29, v28
	v_fmac_f32_e32 v29, v30, v27
	s_delay_alu instid0(VALU_DEP_1) | instskip(NEXT) | instid1(VALU_DEP_1)
	v_fma_f32 v25, -v25, v29, v28
	v_div_fmas_f32 v25, v25, v27, v29
                                        ; implicit-def: $vgpr27
	s_delay_alu instid0(VALU_DEP_1) | instskip(NEXT) | instid1(VALU_DEP_1)
	v_div_fixup_f32 v25, v25, v11, |v3|
	v_cmpx_lt_f32_e32 0x3f244674, v25
	s_cbranch_execz .LBB44_350
; %bb.329:                              ;   in Loop: Header=BB44_5 Depth=1
	v_cmp_neq_f32_e64 s5, |v3|, 1.0
	v_cmp_ngt_f32_e64 s6, 0x30800000, |v4|
                                        ; implicit-def: $sgpr39
                                        ; implicit-def: $vgpr27
	s_delay_alu instid0(VALU_DEP_1) | instskip(NEXT) | instid1(SALU_CYCLE_1)
	s_or_b32 s5, s5, s6
	s_and_saveexec_b32 s6, s5
	s_delay_alu instid0(SALU_CYCLE_1)
	s_xor_b32 s6, exec_lo, s6
	s_cbranch_execz .LBB44_347
; %bb.330:                              ;   in Loop: Header=BB44_5 Depth=1
	v_mul_f32_e64 v27, 0x34000000, |v1|
                                        ; implicit-def: $sgpr39
	s_delay_alu instid0(VALU_DEP_1) | instskip(NEXT) | instid1(VALU_DEP_1)
	v_cmp_le_f32_e64 s5, v27, |v4|
                                        ; implicit-def: $vgpr27
	s_and_saveexec_b32 s40, s5
	s_delay_alu instid0(SALU_CYCLE_1)
	s_xor_b32 s40, exec_lo, s40
	s_cbranch_execz .LBB44_340
; %bb.331:                              ;   in Loop: Header=BB44_5 Depth=1
	v_mov_b32_e32 v27, v23
	s_mov_b32 s5, exec_lo
	v_cmpx_neq_f32_e32 0, v2
	s_cbranch_execz .LBB44_333
; %bb.332:                              ;   in Loop: Header=BB44_5 Depth=1
	v_mul_f32_e32 v27, v4, v4
	v_add_f32_e32 v2, v2, v24
	s_delay_alu instid0(VALU_DEP_1) | instskip(NEXT) | instid1(VALU_DEP_1)
	v_div_scale_f32 v24, null, v2, v2, v27
	v_rcp_f32_e32 v28, v24
	s_waitcnt_depctr 0xfff
	v_fma_f32 v29, -v24, v28, 1.0
	s_delay_alu instid0(VALU_DEP_1) | instskip(SKIP_1) | instid1(VALU_DEP_1)
	v_fmac_f32_e32 v28, v29, v28
	v_div_scale_f32 v29, vcc_lo, v27, v2, v27
	v_mul_f32_e32 v30, v29, v28
	s_delay_alu instid0(VALU_DEP_1) | instskip(NEXT) | instid1(VALU_DEP_1)
	v_fma_f32 v31, -v24, v30, v29
	v_fmac_f32_e32 v30, v31, v28
	s_delay_alu instid0(VALU_DEP_1) | instskip(NEXT) | instid1(VALU_DEP_1)
	v_fma_f32 v24, -v24, v30, v29
	v_div_fmas_f32 v24, v24, v28, v30
	s_delay_alu instid0(VALU_DEP_1)
	v_div_fixup_f32 v27, v24, v2, v27
.LBB44_333:                             ;   in Loop: Header=BB44_5 Depth=1
	s_or_b32 exec_lo, exec_lo, s5
	s_delay_alu instid0(SALU_CYCLE_1)
	s_mov_b32 s5, exec_lo
	v_cmpx_ngt_f32_e32 0, v1
	s_xor_b32 s5, exec_lo, s5
	s_cbranch_execz .LBB44_337
; %bb.334:                              ;   in Loop: Header=BB44_5 Depth=1
	s_mov_b32 s39, exec_lo
	v_cmpx_neq_f32_e32 0, v1
	s_cbranch_execz .LBB44_336
; %bb.335:                              ;   in Loop: Header=BB44_5 Depth=1
	v_dual_mul_f32 v2, v4, v4 :: v_dual_add_f32 v1, v1, v22
	s_delay_alu instid0(VALU_DEP_1) | instskip(NEXT) | instid1(VALU_DEP_1)
	v_div_scale_f32 v4, null, v1, v1, v2
	v_rcp_f32_e32 v22, v4
	s_waitcnt_depctr 0xfff
	v_fma_f32 v23, -v4, v22, 1.0
	s_delay_alu instid0(VALU_DEP_1) | instskip(SKIP_1) | instid1(VALU_DEP_1)
	v_fmac_f32_e32 v22, v23, v22
	v_div_scale_f32 v23, vcc_lo, v2, v1, v2
	v_mul_f32_e32 v24, v23, v22
	s_delay_alu instid0(VALU_DEP_1) | instskip(NEXT) | instid1(VALU_DEP_1)
	v_fma_f32 v28, -v4, v24, v23
	v_fmac_f32_e32 v24, v28, v22
	s_delay_alu instid0(VALU_DEP_1) | instskip(NEXT) | instid1(VALU_DEP_1)
	v_fma_f32 v4, -v4, v24, v23
	v_div_fmas_f32 v4, v4, v22, v24
	s_delay_alu instid0(VALU_DEP_1)
	v_div_fixup_f32 v23, v4, v1, v2
.LBB44_336:                             ;   in Loop: Header=BB44_5 Depth=1
	s_or_b32 exec_lo, exec_lo, s39
                                        ; implicit-def: $vgpr22
                                        ; implicit-def: $vgpr1
.LBB44_337:                             ;   in Loop: Header=BB44_5 Depth=1
	s_and_not1_saveexec_b32 s5, s5
; %bb.338:                              ;   in Loop: Header=BB44_5 Depth=1
	v_sub_f32_e32 v23, v22, v1
; %bb.339:                              ;   in Loop: Header=BB44_5 Depth=1
	s_or_b32 exec_lo, exec_lo, s5
	s_delay_alu instid0(VALU_DEP_1) | instskip(SKIP_2) | instid1(VALU_DEP_2)
	v_mul_f32_e32 v1, 0.5, v23
	v_add_f32_e64 v2, |v3|, v11
	s_mov_b32 s39, -1
	v_fmac_f32_e32 v1, 0.5, v27
	s_delay_alu instid0(VALU_DEP_1) | instskip(NEXT) | instid1(VALU_DEP_1)
	v_mul_f32_e32 v1, v2, v1
	v_mul_f32_e32 v2, 0x4f800000, v1
	v_cmp_gt_f32_e32 vcc_lo, 0xf800000, v1
	s_delay_alu instid0(VALU_DEP_2) | instskip(NEXT) | instid1(VALU_DEP_1)
	v_cndmask_b32_e32 v1, v1, v2, vcc_lo
	v_sqrt_f32_e32 v2, v1
	s_waitcnt_depctr 0xfff
	v_add_nc_u32_e32 v3, -1, v2
	v_add_nc_u32_e32 v4, 1, v2
	s_delay_alu instid0(VALU_DEP_2) | instskip(NEXT) | instid1(VALU_DEP_2)
	v_fma_f32 v11, -v3, v2, v1
	v_fma_f32 v22, -v4, v2, v1
	s_delay_alu instid0(VALU_DEP_2) | instskip(NEXT) | instid1(VALU_DEP_1)
	v_cmp_ge_f32_e64 s5, 0, v11
	v_cndmask_b32_e64 v2, v2, v3, s5
	s_delay_alu instid0(VALU_DEP_3) | instskip(NEXT) | instid1(VALU_DEP_1)
	v_cmp_lt_f32_e64 s5, 0, v22
	v_cndmask_b32_e64 v2, v2, v4, s5
	s_delay_alu instid0(VALU_DEP_1) | instskip(NEXT) | instid1(VALU_DEP_1)
	v_mul_f32_e32 v3, 0x37800000, v2
	v_cndmask_b32_e32 v2, v2, v3, vcc_lo
	v_cmp_class_f32_e64 vcc_lo, v1, 0x260
	s_delay_alu instid0(VALU_DEP_2)
	v_cndmask_b32_e32 v27, v2, v1, vcc_lo
                                        ; implicit-def: $vgpr1_vgpr2_vgpr3_vgpr4
                                        ; implicit-def: $vgpr2
                                        ; implicit-def: $vgpr1
.LBB44_340:                             ;   in Loop: Header=BB44_5 Depth=1
	s_and_not1_saveexec_b32 s40, s40
	s_cbranch_execz .LBB44_346
; %bb.341:                              ;   in Loop: Header=BB44_5 Depth=1
	s_mov_b32 s42, exec_lo
                                        ; implicit-def: $vgpr27
                                        ; implicit-def: $sgpr41
	v_cmpx_ngt_f32_e64 |v3|, 1.0
	s_xor_b32 s42, exec_lo, s42
	s_cbranch_execz .LBB44_343
; %bb.342:                              ;   in Loop: Header=BB44_5 Depth=1
	v_sub_f32_e64 v1, 1.0, |v3|
	s_mov_b32 s41, -1
	s_delay_alu instid0(VALU_DEP_1) | instskip(NEXT) | instid1(VALU_DEP_1)
	v_mul_f32_e32 v1, v1, v2
	v_mul_f32_e32 v2, 0x4f800000, v1
	v_cmp_gt_f32_e32 vcc_lo, 0xf800000, v1
	s_delay_alu instid0(VALU_DEP_2) | instskip(NEXT) | instid1(VALU_DEP_1)
	v_cndmask_b32_e32 v1, v1, v2, vcc_lo
	v_sqrt_f32_e32 v2, v1
	s_waitcnt_depctr 0xfff
	v_add_nc_u32_e32 v3, -1, v2
	v_add_nc_u32_e32 v4, 1, v2
	s_delay_alu instid0(VALU_DEP_2) | instskip(NEXT) | instid1(VALU_DEP_2)
	v_fma_f32 v11, -v3, v2, v1
	v_fma_f32 v22, -v4, v2, v1
	s_delay_alu instid0(VALU_DEP_2) | instskip(NEXT) | instid1(VALU_DEP_1)
	v_cmp_ge_f32_e64 s5, 0, v11
	v_cndmask_b32_e64 v2, v2, v3, s5
	s_delay_alu instid0(VALU_DEP_3) | instskip(NEXT) | instid1(VALU_DEP_1)
	v_cmp_lt_f32_e64 s5, 0, v22
	v_cndmask_b32_e64 v2, v2, v4, s5
	s_delay_alu instid0(VALU_DEP_1) | instskip(NEXT) | instid1(VALU_DEP_1)
	v_mul_f32_e32 v3, 0x37800000, v2
	v_cndmask_b32_e32 v2, v2, v3, vcc_lo
	v_cmp_class_f32_e64 vcc_lo, v1, 0x260
	s_delay_alu instid0(VALU_DEP_2)
	v_cndmask_b32_e32 v27, v2, v1, vcc_lo
                                        ; implicit-def: $vgpr1_vgpr2_vgpr3_vgpr4
                                        ; implicit-def: $vgpr2
                                        ; implicit-def: $vgpr1
.LBB44_343:                             ;   in Loop: Header=BB44_5 Depth=1
	s_and_not1_saveexec_b32 s42, s42
	s_cbranch_execz .LBB44_345
; %bb.344:                              ;   in Loop: Header=BB44_5 Depth=1
	v_mul_f32_e32 v1, v2, v1
	v_mul_f32_e64 v4, 0x57800000, |v4|
	v_mul_f32_e64 v26, 0x57800000, |v3|
	s_or_b32 s41, s41, exec_lo
	s_delay_alu instid0(VALU_DEP_3) | instskip(SKIP_2) | instid1(VALU_DEP_3)
	v_mul_f32_e32 v2, 0x4f800000, v1
	v_cmp_gt_f32_e32 vcc_lo, 0xf800000, v1
	v_mul_f32_e64 v4, |v3|, v4
	v_cndmask_b32_e32 v1, v1, v2, vcc_lo
	s_delay_alu instid0(VALU_DEP_1) | instskip(SKIP_3) | instid1(VALU_DEP_2)
	v_sqrt_f32_e32 v2, v1
	s_waitcnt_depctr 0xfff
	v_add_nc_u32_e32 v11, -1, v2
	v_add_nc_u32_e32 v22, 1, v2
	v_fma_f32 v23, -v11, v2, v1
	s_delay_alu instid0(VALU_DEP_2) | instskip(NEXT) | instid1(VALU_DEP_2)
	v_fma_f32 v24, -v22, v2, v1
	v_cmp_ge_f32_e64 s5, 0, v23
	s_delay_alu instid0(VALU_DEP_1) | instskip(NEXT) | instid1(VALU_DEP_3)
	v_cndmask_b32_e64 v2, v2, v11, s5
	v_cmp_lt_f32_e64 s5, 0, v24
	s_delay_alu instid0(VALU_DEP_1) | instskip(NEXT) | instid1(VALU_DEP_1)
	v_cndmask_b32_e64 v2, v2, v22, s5
	v_mul_f32_e32 v11, 0x37800000, v2
	s_delay_alu instid0(VALU_DEP_1) | instskip(SKIP_1) | instid1(VALU_DEP_2)
	v_cndmask_b32_e32 v2, v2, v11, vcc_lo
	v_cmp_class_f32_e64 vcc_lo, v1, 0x260
	v_cndmask_b32_e32 v1, v2, v1, vcc_lo
	s_delay_alu instid0(VALU_DEP_1) | instskip(SKIP_1) | instid1(VALU_DEP_2)
	v_div_scale_f32 v2, null, v1, v1, v4
	v_div_scale_f32 v23, vcc_lo, v4, v1, v4
	v_rcp_f32_e32 v11, v2
	s_waitcnt_depctr 0xfff
	v_fma_f32 v22, -v2, v11, 1.0
	s_delay_alu instid0(VALU_DEP_1) | instskip(NEXT) | instid1(VALU_DEP_1)
	v_fmac_f32_e32 v11, v22, v11
	v_mul_f32_e32 v22, v23, v11
	s_delay_alu instid0(VALU_DEP_1) | instskip(NEXT) | instid1(VALU_DEP_1)
	v_fma_f32 v24, -v2, v22, v23
	v_fmac_f32_e32 v22, v24, v11
	s_delay_alu instid0(VALU_DEP_1) | instskip(NEXT) | instid1(VALU_DEP_1)
	v_fma_f32 v2, -v2, v22, v23
	v_div_fmas_f32 v2, v2, v11, v22
	s_delay_alu instid0(VALU_DEP_1)
	v_div_fixup_f32 v27, v2, v1, v4
.LBB44_345:                             ;   in Loop: Header=BB44_5 Depth=1
	s_or_b32 exec_lo, exec_lo, s42
	s_delay_alu instid0(SALU_CYCLE_1) | instskip(SKIP_1) | instid1(SALU_CYCLE_1)
	s_and_not1_b32 s5, s39, exec_lo
	s_and_b32 s39, s41, exec_lo
	s_or_b32 s39, s5, s39
.LBB44_346:                             ;   in Loop: Header=BB44_5 Depth=1
	s_or_b32 exec_lo, exec_lo, s40
	s_delay_alu instid0(SALU_CYCLE_1)
	s_and_b32 s39, s39, exec_lo
                                        ; implicit-def: $vgpr1_vgpr2_vgpr3_vgpr4
                                        ; implicit-def: $vgpr11
.LBB44_347:                             ;   in Loop: Header=BB44_5 Depth=1
	s_and_not1_saveexec_b32 s40, s6
	s_cbranch_execz .LBB44_349
; %bb.348:                              ;   in Loop: Header=BB44_5 Depth=1
	v_add_f32_e32 v1, 1.0, v11
	v_mul_f32_e64 v2, 0x4f800000, |v4|
	v_cmp_gt_f32_e64 vcc_lo, 0xf800000, |v4|
	s_or_b32 s39, s39, exec_lo
	s_delay_alu instid0(VALU_DEP_3) | instskip(NEXT) | instid1(VALU_DEP_2)
	v_mul_f32_e32 v1, 0.5, v1
	v_cndmask_b32_e64 v2, |v4|, v2, vcc_lo
	s_delay_alu instid0(VALU_DEP_2) | instskip(SKIP_1) | instid1(VALU_DEP_1)
	v_mul_f32_e32 v3, 0x4f800000, v1
	v_cmp_gt_f32_e64 s5, 0xf800000, v1
	v_cndmask_b32_e64 v1, v1, v3, s5
	s_delay_alu instid0(VALU_DEP_4) | instskip(NEXT) | instid1(VALU_DEP_1)
	v_sqrt_f32_e32 v3, v2
	v_sqrt_f32_e32 v4, v1
	s_waitcnt_depctr 0xfff
	v_add_nc_u32_e32 v11, -1, v3
	v_add_nc_u32_e32 v23, 1, v3
	v_add_nc_u32_e32 v22, -1, v4
	s_delay_alu instid0(VALU_DEP_3) | instskip(SKIP_1) | instid1(VALU_DEP_4)
	v_fma_f32 v24, -v11, v3, v2
	v_add_nc_u32_e32 v26, 1, v4
	v_fma_f32 v28, -v23, v3, v2
	s_delay_alu instid0(VALU_DEP_4) | instskip(NEXT) | instid1(VALU_DEP_4)
	v_fma_f32 v27, -v22, v4, v1
	v_cmp_ge_f32_e64 s6, 0, v24
	s_delay_alu instid0(VALU_DEP_1) | instskip(NEXT) | instid1(VALU_DEP_3)
	v_cndmask_b32_e64 v3, v3, v11, s6
	v_cmp_ge_f32_e64 s6, 0, v27
	v_fma_f32 v11, -v26, v4, v1
	s_delay_alu instid0(VALU_DEP_2) | instskip(SKIP_1) | instid1(VALU_DEP_1)
	v_cndmask_b32_e64 v4, v4, v22, s6
	v_cmp_lt_f32_e64 s6, 0, v28
	v_cndmask_b32_e64 v3, v3, v23, s6
	s_delay_alu instid0(VALU_DEP_4) | instskip(NEXT) | instid1(VALU_DEP_2)
	v_cmp_lt_f32_e64 s6, 0, v11
	v_mul_f32_e32 v11, 0x37800000, v3
	s_delay_alu instid0(VALU_DEP_2) | instskip(NEXT) | instid1(VALU_DEP_2)
	v_cndmask_b32_e64 v4, v4, v26, s6
	v_dual_mov_b32 v26, 1.0 :: v_dual_cndmask_b32 v3, v3, v11
	s_delay_alu instid0(VALU_DEP_2) | instskip(SKIP_1) | instid1(VALU_DEP_2)
	v_mul_f32_e32 v22, 0x37800000, v4
	v_cmp_class_f32_e64 vcc_lo, v2, 0x260
	v_cndmask_b32_e64 v4, v4, v22, s5
	s_delay_alu instid0(VALU_DEP_4) | instskip(SKIP_1) | instid1(VALU_DEP_3)
	v_cndmask_b32_e32 v2, v3, v2, vcc_lo
	v_cmp_class_f32_e64 vcc_lo, v1, 0x260
	v_cndmask_b32_e32 v1, v4, v1, vcc_lo
	s_delay_alu instid0(VALU_DEP_1)
	v_mul_f32_e32 v27, v2, v1
.LBB44_349:                             ;   in Loop: Header=BB44_5 Depth=1
	s_or_b32 exec_lo, exec_lo, s40
	s_delay_alu instid0(SALU_CYCLE_1)
	s_and_b32 s5, s39, exec_lo
.LBB44_350:                             ;   in Loop: Header=BB44_5 Depth=1
	s_or_b32 exec_lo, exec_lo, s38
	s_delay_alu instid0(SALU_CYCLE_1)
	s_and_b32 s5, s5, exec_lo
                                        ; implicit-def: $vgpr11
                                        ; implicit-def: $vgpr1_vgpr2_vgpr3_vgpr4
.LBB44_351:                             ;   in Loop: Header=BB44_5 Depth=1
	s_and_not1_saveexec_b32 s6, s37
; %bb.352:                              ;   in Loop: Header=BB44_5 Depth=1
	v_mul_f32_e32 v27, 0x4b800000, v11
	v_mul_f32_e64 v26, 0x4b800000, |v3|
	s_or_b32 s5, s5, exec_lo
                                        ; implicit-def: $vgpr25
; %bb.353:                              ;   in Loop: Header=BB44_5 Depth=1
	s_or_b32 exec_lo, exec_lo, s6
	s_xor_b32 s5, s5, -1
	s_delay_alu instid0(SALU_CYCLE_1) | instskip(NEXT) | instid1(SALU_CYCLE_1)
	s_and_saveexec_b32 s6, s5
	s_xor_b32 s6, exec_lo, s6
	s_cbranch_execz .LBB44_359
; %bb.354:                              ;   in Loop: Header=BB44_5 Depth=1
	s_and_saveexec_b32 s5, s4
	s_delay_alu instid0(SALU_CYCLE_1)
	s_xor_b32 s5, exec_lo, s5
	s_cbranch_execz .LBB44_356
; %bb.355:                              ;   in Loop: Header=BB44_5 Depth=1
	v_fma_f32 v1, |v25|, -0.5, 0.5
	v_mul_f32_e32 v2, v25, v25
	v_cmp_gt_f32_e64 vcc_lo, |v25|, 0.5
	s_delay_alu instid0(VALU_DEP_2) | instskip(NEXT) | instid1(VALU_DEP_1)
	v_cndmask_b32_e32 v1, v2, v1, vcc_lo
	v_fmaak_f32 v2, s30, v1, 0x3c5fc5da
	v_sqrt_f32_e32 v3, v1
	s_delay_alu instid0(VALU_DEP_1) | instskip(NEXT) | instid1(VALU_DEP_1)
	v_fmaak_f32 v2, v1, v2, 0x3d034c3c
	v_fmaak_f32 v2, v1, v2, 0x3d3641b1
	s_delay_alu instid0(VALU_DEP_1) | instskip(NEXT) | instid1(VALU_DEP_1)
	v_fmaak_f32 v2, v1, v2, 0x3d999bc8
	v_fmaak_f32 v2, v1, v2, 0x3e2aaaac
	s_delay_alu instid0(VALU_DEP_1) | instskip(NEXT) | instid1(VALU_DEP_1)
	v_mul_f32_e32 v1, v1, v2
	v_fmac_f32_e32 v25, v25, v1
	s_delay_alu instid0(VALU_DEP_1) | instskip(NEXT) | instid1(TRANS32_DEP_1)
	v_sub_f32_e32 v2, 0x3fc90fdb, v25
	v_fmac_f32_e32 v3, v3, v1
                                        ; implicit-def: $vgpr25
	s_delay_alu instid0(VALU_DEP_1) | instskip(NEXT) | instid1(VALU_DEP_1)
	v_add_f32_e32 v1, v3, v3
	v_cndmask_b32_e32 v11, v2, v1, vcc_lo
.LBB44_356:                             ;   in Loop: Header=BB44_5 Depth=1
	s_and_not1_saveexec_b32 s37, s5
	s_cbranch_execz .LBB44_358
; %bb.357:                              ;   in Loop: Header=BB44_5 Depth=1
	v_fma_f32 v1, |v25|, -0.5, 0.5
	v_mul_f32_e32 v2, v25, v25
	v_cmp_gt_f32_e64 vcc_lo, |v25|, 0.5
	v_cmp_lt_f32_e64 s5, 0, v25
	s_delay_alu instid0(VALU_DEP_3) | instskip(NEXT) | instid1(VALU_DEP_1)
	v_cndmask_b32_e32 v1, v2, v1, vcc_lo
	v_fmaak_f32 v2, s30, v1, 0x3c5fc5da
	v_sqrt_f32_e32 v3, v1
	s_delay_alu instid0(VALU_DEP_1) | instskip(NEXT) | instid1(VALU_DEP_1)
	v_fmaak_f32 v2, v1, v2, 0x3d034c3c
	v_fmaak_f32 v2, v1, v2, 0x3d3641b1
	s_delay_alu instid0(VALU_DEP_1) | instskip(NEXT) | instid1(VALU_DEP_1)
	v_fmaak_f32 v2, v1, v2, 0x3d999bc8
	v_fmaak_f32 v2, v1, v2, 0x3e2aaaac
	s_delay_alu instid0(VALU_DEP_1) | instskip(SKIP_3) | instid1(VALU_DEP_1)
	v_mul_f32_e32 v1, v1, v2
	s_waitcnt_depctr 0xfff
	v_fmac_f32_e32 v3, v3, v1
	v_fma_f32 v1, -v25, v1, -v25
	v_dual_add_f32 v2, v3, v3 :: v_dual_sub_f32 v1, 0x3fc90fdb, v1
	s_delay_alu instid0(VALU_DEP_1) | instskip(NEXT) | instid1(VALU_DEP_1)
	v_sub_f32_e32 v3, 0x40490fdb, v2
	v_cndmask_b32_e64 v2, v2, v3, s5
	s_delay_alu instid0(VALU_DEP_1)
	v_cndmask_b32_e32 v11, v1, v2, vcc_lo
.LBB44_358:                             ;   in Loop: Header=BB44_5 Depth=1
	s_or_b32 exec_lo, exec_lo, s37
                                        ; implicit-def: $vgpr27
                                        ; implicit-def: $vgpr26
.LBB44_359:                             ;   in Loop: Header=BB44_5 Depth=1
	s_and_not1_saveexec_b32 s6, s6
	s_cbranch_execz .LBB44_365
; %bb.360:                              ;   in Loop: Header=BB44_5 Depth=1
	s_and_saveexec_b32 s5, s4
	s_delay_alu instid0(SALU_CYCLE_1)
	s_xor_b32 s5, exec_lo, s5
	s_cbranch_execz .LBB44_362
; %bb.361:                              ;   in Loop: Header=BB44_5 Depth=1
	v_max_f32_e64 v1, |v27|, |v27|
	v_max_f32_e32 v2, v26, v26
	v_cmp_gt_f32_e64 vcc_lo, |v27|, v26
	v_cmp_neq_f32_e64 s4, 0, v27
	v_cmp_class_f32_e64 s37, v27, 0x204
	s_delay_alu instid0(VALU_DEP_4) | instskip(SKIP_1) | instid1(VALU_DEP_2)
	v_max_f32_e32 v3, v2, v1
	v_min_f32_e32 v1, v2, v1
	v_frexp_mant_f32_e32 v4, v3
	s_delay_alu instid0(VALU_DEP_1) | instskip(NEXT) | instid1(VALU_DEP_2)
	v_rcp_f32_e32 v2, v4
	v_frexp_mant_f32_e32 v4, v1
	v_frexp_exp_i32_f32_e32 v1, v1
	s_waitcnt_depctr 0xfff
	v_mul_f32_e32 v2, v4, v2
	v_frexp_exp_i32_f32_e32 v3, v3
	s_delay_alu instid0(VALU_DEP_1) | instskip(NEXT) | instid1(VALU_DEP_1)
	v_sub_nc_u32_e32 v1, v1, v3
	v_ldexp_f32 v1, v2, v1
	s_delay_alu instid0(VALU_DEP_1) | instskip(NEXT) | instid1(VALU_DEP_1)
	v_mul_f32_e32 v2, v1, v1
	v_fmaak_f32 v3, s31, v2, 0xbc7a590c
	s_delay_alu instid0(VALU_DEP_1) | instskip(NEXT) | instid1(VALU_DEP_1)
	v_fmaak_f32 v3, v2, v3, 0x3d29fb3f
	v_fmaak_f32 v3, v2, v3, 0xbd97d4d7
	s_delay_alu instid0(VALU_DEP_1) | instskip(NEXT) | instid1(VALU_DEP_1)
	v_fmaak_f32 v3, v2, v3, 0x3dd931b2
	;; [unrolled: 3-line block ×3, first 2 shown]
	v_fmaak_f32 v3, v2, v3, 0xbeaaaa62
	s_delay_alu instid0(VALU_DEP_1) | instskip(NEXT) | instid1(VALU_DEP_1)
	v_mul_f32_e32 v2, v2, v3
	v_fmac_f32_e32 v1, v1, v2
	s_delay_alu instid0(VALU_DEP_1) | instskip(NEXT) | instid1(VALU_DEP_1)
	v_sub_f32_e32 v2, 0x3fc90fdb, v1
	v_cndmask_b32_e32 v1, v1, v2, vcc_lo
	v_cmp_eq_f32_e32 vcc_lo, 0x7f800000, v26
	s_delay_alu instid0(VALU_DEP_2) | instskip(SKIP_2) | instid1(VALU_DEP_2)
	v_cndmask_b32_e64 v1, 0, v1, s4
	s_and_b32 s4, vcc_lo, s37
	v_cmp_o_f32_e32 vcc_lo, v26, v27
                                        ; implicit-def: $vgpr26
	v_cndmask_b32_e64 v1, v1, 0x3f490fdb, s4
	s_delay_alu instid0(VALU_DEP_1) | instskip(NEXT) | instid1(VALU_DEP_1)
	v_cndmask_b32_e32 v1, 0x7fc00000, v1, vcc_lo
	v_bfi_b32 v11, 0x7fffffff, v1, v27
                                        ; implicit-def: $vgpr27
.LBB44_362:                             ;   in Loop: Header=BB44_5 Depth=1
	s_and_not1_saveexec_b32 s37, s5
	s_cbranch_execz .LBB44_364
; %bb.363:                              ;   in Loop: Header=BB44_5 Depth=1
	v_max_f32_e64 v1, |v27|, |v27|
	v_max_f32_e32 v2, v26, v26
	v_cmp_gt_f32_e64 vcc_lo, |v27|, v26
	v_cmp_neq_f32_e64 s5, 0, v27
	v_cmp_eq_f32_e64 s4, 0x7f800000, v26
	v_cmp_class_f32_e64 s38, v27, 0x204
	v_max_f32_e32 v3, v2, v1
	v_min_f32_e32 v1, v2, v1
	s_delay_alu instid0(VALU_DEP_2) | instskip(SKIP_1) | instid1(VALU_DEP_2)
	v_frexp_mant_f32_e32 v4, v3
	v_frexp_exp_i32_f32_e32 v3, v3
	v_rcp_f32_e32 v2, v4
	s_delay_alu instid0(VALU_DEP_3) | instskip(SKIP_1) | instid1(VALU_DEP_2)
	v_frexp_exp_i32_f32_e32 v4, v1
	v_frexp_mant_f32_e32 v1, v1
	v_sub_nc_u32_e32 v3, v4, v3
	s_waitcnt_depctr 0xfff
	v_mul_f32_e32 v1, v1, v2
	s_delay_alu instid0(VALU_DEP_1) | instskip(NEXT) | instid1(VALU_DEP_1)
	v_ldexp_f32 v1, v1, v3
	v_mul_f32_e32 v2, v1, v1
	s_delay_alu instid0(VALU_DEP_1) | instskip(NEXT) | instid1(VALU_DEP_1)
	v_fmaak_f32 v3, s31, v2, 0xbc7a590c
	v_fmaak_f32 v3, v2, v3, 0x3d29fb3f
	s_delay_alu instid0(VALU_DEP_1) | instskip(NEXT) | instid1(VALU_DEP_1)
	v_fmaak_f32 v3, v2, v3, 0xbd97d4d7
	v_fmaak_f32 v3, v2, v3, 0x3dd931b2
	;; [unrolled: 3-line block ×3, first 2 shown]
	s_delay_alu instid0(VALU_DEP_1) | instskip(NEXT) | instid1(VALU_DEP_1)
	v_fmaak_f32 v3, v2, v3, 0xbeaaaa62
	v_mul_f32_e32 v2, v2, v3
	s_delay_alu instid0(VALU_DEP_1) | instskip(NEXT) | instid1(VALU_DEP_1)
	v_fmac_f32_e32 v1, v1, v2
	v_sub_f32_e32 v2, 0x3fc90fdb, v1
	s_delay_alu instid0(VALU_DEP_1) | instskip(SKIP_1) | instid1(VALU_DEP_2)
	v_cndmask_b32_e32 v1, v1, v2, vcc_lo
	v_cmp_lt_f32_e32 vcc_lo, 0, v26
	v_sub_f32_e32 v2, 0x40490fdb, v1
	s_delay_alu instid0(VALU_DEP_1) | instskip(SKIP_2) | instid1(VALU_DEP_2)
	v_cndmask_b32_e32 v1, v1, v2, vcc_lo
	v_cndmask_b32_e32 v2, 0x3f490fdb, v21, vcc_lo
	s_and_b32 vcc_lo, s4, s38
	v_cndmask_b32_e64 v1, 0x40490fdb, v1, s5
	s_delay_alu instid0(VALU_DEP_1) | instskip(SKIP_1) | instid1(VALU_DEP_2)
	v_cndmask_b32_e32 v1, v1, v2, vcc_lo
	v_cmp_o_f32_e64 vcc_lo, v27, -v26
	v_cndmask_b32_e32 v1, 0x7fc00000, v1, vcc_lo
	s_delay_alu instid0(VALU_DEP_1)
	v_bfi_b32 v11, 0x7fffffff, v1, v27
.LBB44_364:                             ;   in Loop: Header=BB44_5 Depth=1
	s_or_b32 exec_lo, exec_lo, s37
.LBB44_365:                             ;   in Loop: Header=BB44_5 Depth=1
	s_delay_alu instid0(SALU_CYCLE_1)
	s_or_b32 exec_lo, exec_lo, s6
	v_cndmask_b32_e64 v12, -v12, v12, s2
                                        ; implicit-def: $vgpr1_vgpr2_vgpr3_vgpr4
.LBB44_366:                             ;   in Loop: Header=BB44_5 Depth=1
	s_and_not1_saveexec_b32 s4, s36
	s_cbranch_execz .LBB44_368
; %bb.367:                              ;   in Loop: Header=BB44_5 Depth=1
	s_waitcnt lgkmcnt(0)
	v_dual_mov_b32 v1, s16 :: v_dual_mov_b32 v2, s17
	v_xor_b32_e32 v12, 0x80000000, v4
	flat_load_b32 v1, v[1:2] glc dlc
	s_waitcnt vmcnt(0) lgkmcnt(0)
	v_sub_f32_e32 v1, v1, v3
	s_delay_alu instid0(VALU_DEP_1)
	v_add_f32_e32 v11, 0x3fc90fdb, v1
.LBB44_368:                             ;   in Loop: Header=BB44_5 Depth=1
	s_or_b32 exec_lo, exec_lo, s4
                                        ; implicit-def: $vgpr1_vgpr2_vgpr3_vgpr4
.LBB44_369:                             ;   in Loop: Header=BB44_5 Depth=1
	s_and_not1_saveexec_b32 s4, s35
; %bb.370:                              ;   in Loop: Header=BB44_5 Depth=1
	v_xor_b32_e32 v12, 0x80000000, v4
	v_mov_b32_e32 v11, 0
; %bb.371:                              ;   in Loop: Header=BB44_5 Depth=1
	s_or_b32 exec_lo, exec_lo, s4
                                        ; implicit-def: $vgpr1_vgpr2_vgpr3_vgpr4
                                        ; implicit-def: $vgpr22
                                        ; implicit-def: $vgpr2
                                        ; implicit-def: $vgpr1
.LBB44_372:                             ;   in Loop: Header=BB44_5 Depth=1
	s_and_not1_saveexec_b32 s6, s34
	s_cbranch_execz .LBB44_382
; %bb.373:                              ;   in Loop: Header=BB44_5 Depth=1
	v_cmp_lt_f32_e64 s4, |v3|, |v4|
                                        ; implicit-def: $vgpr12
                                        ; implicit-def: $vgpr11
	s_mov_b32 s5, exec_lo
	s_delay_alu instid0(VALU_DEP_1) | instskip(NEXT) | instid1(VALU_DEP_1)
	v_cndmask_b32_e64 v23, |v3|, |v4|, s4
	v_cmpx_nlt_f32_e32 0x7effffff, v23
	s_xor_b32 s34, exec_lo, s5
	s_cbranch_execz .LBB44_379
; %bb.374:                              ;   in Loop: Header=BB44_5 Depth=1
	v_cndmask_b32_e64 v24, |v4|, |v3|, s4
	v_cmp_nlt_f32_e32 vcc_lo, 0x5e000000, v23
                                        ; implicit-def: $vgpr12
                                        ; implicit-def: $vgpr11
	s_delay_alu instid0(VALU_DEP_2) | instskip(NEXT) | instid1(VALU_DEP_1)
	v_cmp_ngt_f32_e64 s5, 0x20000000, v24
	s_and_b32 s5, vcc_lo, s5
	s_delay_alu instid0(SALU_CYCLE_1) | instskip(NEXT) | instid1(SALU_CYCLE_1)
	s_and_saveexec_b32 s35, s5
	s_xor_b32 s35, exec_lo, s35
	s_cbranch_execz .LBB44_376
; %bb.375:                              ;   in Loop: Header=BB44_5 Depth=1
	s_waitcnt lgkmcnt(0)
	v_frexp_mant_f32_e32 v11, v1
	v_min_f32_e32 v2, v2, v22
	v_frexp_exp_i32_f32_e32 v1, v1
	s_delay_alu instid0(VALU_DEP_3) | instskip(NEXT) | instid1(VALU_DEP_2)
	v_rcp_f32_e32 v11, v11
	v_frexp_mant_f32_e32 v22, v2
	v_mul_f32_e32 v12, v24, v24
	v_frexp_exp_i32_f32_e32 v2, v2
	s_delay_alu instid0(VALU_DEP_1) | instskip(SKIP_3) | instid1(VALU_DEP_2)
	v_sub_nc_u32_e32 v1, v2, v1
	s_waitcnt_depctr 0xfff
	v_mul_f32_e32 v11, v22, v11
	v_fmac_f32_e32 v12, v23, v23
	v_ldexp_f32 v11, v11, v1
	s_delay_alu instid0(VALU_DEP_2) | instskip(SKIP_1) | instid1(VALU_DEP_1)
	v_cmp_gt_f32_e32 vcc_lo, 0x800000, v12
	v_cndmask_b32_e64 v2, 1.0, 0x4f800000, vcc_lo
	v_dual_mul_f32 v1, v12, v2 :: v_dual_mul_f32 v2, v11, v11
	s_delay_alu instid0(VALU_DEP_1) | instskip(NEXT) | instid1(VALU_DEP_1)
	v_log_f32_e32 v1, v1
	v_fmaak_f32 v12, s31, v2, 0xbc7a590c
	s_delay_alu instid0(VALU_DEP_1) | instskip(SKIP_4) | instid1(VALU_DEP_3)
	v_fmaak_f32 v12, v2, v12, 0x3d29fb3f
	s_waitcnt_depctr 0xfff
	v_mul_f32_e32 v22, 0x3f317217, v1
	v_fmaak_f32 v12, v2, v12, 0xbd97d4d7
	v_cmp_gt_f32_e64 s5, 0x7f800000, |v1|
	v_fma_f32 v23, 0x3f317217, v1, -v22
	s_delay_alu instid0(VALU_DEP_3) | instskip(NEXT) | instid1(VALU_DEP_2)
	v_fmaak_f32 v12, v2, v12, 0x3dd931b2
	v_fmac_f32_e32 v23, 0x3377d1cf, v1
	s_delay_alu instid0(VALU_DEP_2) | instskip(NEXT) | instid1(VALU_DEP_2)
	v_fmaak_f32 v12, v2, v12, 0xbe1160e6
	v_add_f32_e32 v22, v22, v23
	s_delay_alu instid0(VALU_DEP_2) | instskip(NEXT) | instid1(VALU_DEP_2)
	v_fmaak_f32 v12, v2, v12, 0x3e4cb8bf
	v_cndmask_b32_e64 v1, v1, v22, s5
	v_cndmask_b32_e64 v22, 0, 0x41b17218, vcc_lo
	s_delay_alu instid0(VALU_DEP_1) | instskip(NEXT) | instid1(VALU_DEP_1)
	v_dual_fmaak_f32 v12, v2, v12, 0xbeaaaa62 :: v_dual_sub_f32 v1, v1, v22
	v_mul_f32_e32 v2, v2, v12
                                        ; implicit-def: $vgpr22
	s_delay_alu instid0(VALU_DEP_1)
	v_dual_mul_f32 v12, 0.5, v1 :: v_dual_fmac_f32 v11, v11, v2
                                        ; implicit-def: $vgpr1
                                        ; implicit-def: $vgpr2
.LBB44_376:                             ;   in Loop: Header=BB44_5 Depth=1
	s_and_not1_saveexec_b32 s5, s35
	s_cbranch_execz .LBB44_378
; %bb.377:                              ;   in Loop: Header=BB44_5 Depth=1
	s_waitcnt lgkmcnt(0)
	v_cvt_f64_f32_e32 v[11:12], v1
	v_cmp_neq_f32_e32 vcc_lo, 0x7f800000, v1
	v_min_f32_e32 v2, v2, v22
	v_frexp_exp_i32_f32_e32 v22, v1
	s_delay_alu instid0(VALU_DEP_2) | instskip(SKIP_1) | instid1(VALU_DEP_2)
	v_frexp_exp_i32_f32_e32 v24, v2
	v_frexp_mant_f32_e32 v2, v2
	v_sub_nc_u32_e32 v22, v24, v22
	v_frexp_exp_i32_f64_e32 v11, v[11:12]
	s_delay_alu instid0(VALU_DEP_1) | instskip(NEXT) | instid1(VALU_DEP_1)
	v_sub_nc_u32_e32 v12, 0, v11
	v_ldexp_f32 v23, |v4|, v12
	v_ldexp_f32 v12, |v3|, v12
	s_delay_alu instid0(VALU_DEP_2) | instskip(NEXT) | instid1(VALU_DEP_1)
	v_mul_f32_e32 v23, v23, v23
	v_fmac_f32_e32 v23, v12, v12
	v_frexp_mant_f32_e32 v12, v1
	s_delay_alu instid0(VALU_DEP_2) | instskip(NEXT) | instid1(VALU_DEP_1)
	v_sqrt_f32_e32 v23, v23
	v_rcp_f32_e32 v12, v12
	s_waitcnt_depctr 0xfff
	v_ldexp_f32 v11, v23, v11
	s_delay_alu instid0(VALU_DEP_1) | instskip(NEXT) | instid1(VALU_DEP_1)
	v_dual_mul_f32 v2, v2, v12 :: v_dual_cndmask_b32 v1, 0x7f800000, v11
	v_ldexp_f32 v11, v2, v22
	s_delay_alu instid0(VALU_DEP_2) | instskip(NEXT) | instid1(VALU_DEP_2)
	v_cmp_gt_f32_e32 vcc_lo, 0x800000, v1
	v_mul_f32_e32 v12, v11, v11
	v_cndmask_b32_e64 v2, 1.0, 0x4f800000, vcc_lo
	s_delay_alu instid0(VALU_DEP_1) | instskip(NEXT) | instid1(VALU_DEP_1)
	v_dual_mul_f32 v1, v1, v2 :: v_dual_fmaak_f32 v2, s31, v12, 0xbc7a590c
	v_log_f32_e32 v1, v1
	s_delay_alu instid0(VALU_DEP_1) | instskip(NEXT) | instid1(VALU_DEP_1)
	v_fmaak_f32 v2, v12, v2, 0x3d29fb3f
	v_fmaak_f32 v2, v12, v2, 0xbd97d4d7
	s_delay_alu instid0(VALU_DEP_1) | instskip(NEXT) | instid1(VALU_DEP_1)
	v_fmaak_f32 v2, v12, v2, 0x3dd931b2
	v_fmaak_f32 v2, v12, v2, 0xbe1160e6
	;; [unrolled: 3-line block ×3, first 2 shown]
	s_delay_alu instid0(VALU_DEP_1)
	v_mul_f32_e32 v2, v12, v2
	s_delay_alu instid0(TRANS32_DEP_1) | instid1(VALU_DEP_1)
	v_dual_mul_f32 v22, 0x3f317217, v1 :: v_dual_fmac_f32 v11, v11, v2
	s_delay_alu instid0(VALU_DEP_1) | instskip(NEXT) | instid1(VALU_DEP_1)
	v_fma_f32 v23, 0x3f317217, v1, -v22
	v_fmac_f32_e32 v23, 0x3377d1cf, v1
	s_delay_alu instid0(VALU_DEP_1) | instskip(SKIP_2) | instid1(VALU_DEP_3)
	v_add_f32_e32 v22, v22, v23
	v_cndmask_b32_e64 v23, 0, 0x41b17218, vcc_lo
	v_cmp_gt_f32_e64 vcc_lo, 0x7f800000, |v1|
	v_cndmask_b32_e32 v1, v1, v22, vcc_lo
	s_delay_alu instid0(VALU_DEP_1)
	v_sub_f32_e32 v12, v1, v23
.LBB44_378:                             ;   in Loop: Header=BB44_5 Depth=1
	s_or_b32 exec_lo, exec_lo, s5
                                        ; implicit-def: $vgpr2
                                        ; implicit-def: $vgpr22
                                        ; implicit-def: $vgpr1
.LBB44_379:                             ;   in Loop: Header=BB44_5 Depth=1
	s_and_not1_saveexec_b32 s34, s34
	s_cbranch_execz .LBB44_381
; %bb.380:                              ;   in Loop: Header=BB44_5 Depth=1
	v_div_scale_f32 v11, null, 0x402df854, 0x402df854, v3
	v_div_scale_f32 v12, null, 0x402df854, 0x402df854, v4
	v_div_scale_f32 v27, vcc_lo, v3, 0x402df854, v3
	s_delay_alu instid0(VALU_DEP_3) | instskip(NEXT) | instid1(VALU_DEP_2)
	v_rcp_f32_e32 v23, v11
	v_rcp_f32_e32 v24, v12
	v_min_f32_e32 v2, v2, v22
	s_waitcnt_depctr 0xfff
	v_fma_f32 v25, -v11, v23, 1.0
	v_fma_f32 v26, -v12, v24, 1.0
	s_delay_alu instid0(VALU_DEP_1) | instskip(SKIP_1) | instid1(VALU_DEP_2)
	v_dual_fmac_f32 v23, v25, v23 :: v_dual_fmac_f32 v24, v26, v24
	v_div_scale_f32 v25, s5, v4, 0x402df854, v4
	v_mul_f32_e32 v26, v27, v23
	s_delay_alu instid0(VALU_DEP_2) | instskip(NEXT) | instid1(VALU_DEP_2)
	v_mul_f32_e32 v28, v25, v24
	v_fma_f32 v29, -v11, v26, v27
	s_delay_alu instid0(VALU_DEP_2) | instskip(NEXT) | instid1(VALU_DEP_2)
	v_fma_f32 v30, -v12, v28, v25
	v_fmac_f32_e32 v26, v29, v23
	s_delay_alu instid0(VALU_DEP_2) | instskip(NEXT) | instid1(VALU_DEP_2)
	v_fmac_f32_e32 v28, v30, v24
	v_fma_f32 v11, -v11, v26, v27
	s_delay_alu instid0(VALU_DEP_2) | instskip(NEXT) | instid1(VALU_DEP_2)
	v_fma_f32 v12, -v12, v28, v25
	v_div_fmas_f32 v11, v11, v23, v26
	s_mov_b32 vcc_lo, s5
	s_delay_alu instid0(VALU_DEP_2) | instskip(NEXT) | instid1(VALU_DEP_2)
	v_div_fmas_f32 v12, v12, v24, v28
	v_div_fixup_f32 v23, v11, 0x402df854, v3
	s_delay_alu instid0(VALU_DEP_2) | instskip(NEXT) | instid1(VALU_DEP_1)
	v_div_fixup_f32 v24, v12, 0x402df854, v4
	v_max_f32_e64 v25, |v23|, |v24|
	s_delay_alu instid0(VALU_DEP_1) | instskip(SKIP_1) | instid1(VALU_DEP_2)
	v_cvt_f64_f32_e32 v[11:12], v25
	v_cmp_neq_f32_e32 vcc_lo, 0x7f800000, v25
	v_frexp_exp_i32_f64_e32 v11, v[11:12]
	s_delay_alu instid0(VALU_DEP_1) | instskip(NEXT) | instid1(VALU_DEP_1)
	v_sub_nc_u32_e32 v12, 0, v11
	v_ldexp_f32 v24, |v24|, v12
	v_ldexp_f32 v12, |v23|, v12
	s_delay_alu instid0(VALU_DEP_2) | instskip(NEXT) | instid1(VALU_DEP_1)
	v_mul_f32_e32 v23, v24, v24
	v_fmac_f32_e32 v23, v12, v12
	s_delay_alu instid0(VALU_DEP_1) | instskip(SKIP_3) | instid1(VALU_DEP_2)
	v_sqrt_f32_e32 v12, v23
	s_waitcnt lgkmcnt(0)
	v_frexp_mant_f32_e32 v23, v1
	v_frexp_exp_i32_f32_e32 v1, v1
	v_rcp_f32_e32 v22, v23
	s_waitcnt_depctr 0xfff
	v_ldexp_f32 v11, v12, v11
	v_frexp_exp_i32_f32_e32 v12, v2
	v_frexp_mant_f32_e32 v2, v2
	s_delay_alu instid0(VALU_DEP_3) | instskip(NEXT) | instid1(VALU_DEP_3)
	v_cndmask_b32_e32 v23, 0x7f800000, v11, vcc_lo
	v_sub_nc_u32_e32 v1, v12, v1
	s_delay_alu instid0(VALU_DEP_3) | instskip(NEXT) | instid1(VALU_DEP_3)
	v_mul_f32_e32 v2, v2, v22
	v_cmp_gt_f32_e32 vcc_lo, 0x800000, v23
	s_delay_alu instid0(VALU_DEP_2) | instskip(SKIP_1) | instid1(VALU_DEP_1)
	v_ldexp_f32 v11, v2, v1
	v_cndmask_b32_e64 v12, 1.0, 0x4f800000, vcc_lo
	v_mul_f32_e32 v1, v23, v12
	s_delay_alu instid0(VALU_DEP_1) | instskip(SKIP_2) | instid1(VALU_DEP_1)
	v_log_f32_e32 v1, v1
	s_waitcnt_depctr 0xfff
	v_mul_f32_e32 v22, 0x3f317217, v1
	v_fma_f32 v23, 0x3f317217, v1, -v22
	s_delay_alu instid0(VALU_DEP_1) | instskip(NEXT) | instid1(VALU_DEP_1)
	v_fmac_f32_e32 v23, 0x3377d1cf, v1
	v_add_f32_e32 v22, v22, v23
	v_cndmask_b32_e64 v23, 0, 0x41b17218, vcc_lo
	v_cmp_gt_f32_e64 vcc_lo, 0x7f800000, |v1|
	s_delay_alu instid0(VALU_DEP_3) | instskip(NEXT) | instid1(VALU_DEP_1)
	v_dual_mul_f32 v2, v11, v11 :: v_dual_cndmask_b32 v1, v1, v22
	v_dual_fmaak_f32 v12, s31, v2, 0xbc7a590c :: v_dual_sub_f32 v1, v1, v23
	s_delay_alu instid0(VALU_DEP_1) | instskip(NEXT) | instid1(VALU_DEP_1)
	v_fmaak_f32 v12, v2, v12, 0x3d29fb3f
	v_fmaak_f32 v12, v2, v12, 0xbd97d4d7
	s_delay_alu instid0(VALU_DEP_1) | instskip(NEXT) | instid1(VALU_DEP_1)
	v_fmaak_f32 v12, v2, v12, 0x3dd931b2
	v_fmaak_f32 v12, v2, v12, 0xbe1160e6
	s_delay_alu instid0(VALU_DEP_1) | instskip(NEXT) | instid1(VALU_DEP_1)
	v_fmaak_f32 v12, v2, v12, 0x3e4cb8bf
	v_fmaak_f32 v12, v2, v12, 0xbeaaaa62
	s_delay_alu instid0(VALU_DEP_1) | instskip(NEXT) | instid1(VALU_DEP_1)
	v_mul_f32_e32 v2, v2, v12
	v_dual_add_f32 v12, 1.0, v1 :: v_dual_fmac_f32 v11, v11, v2
.LBB44_381:                             ;   in Loop: Header=BB44_5 Depth=1
	s_or_b32 exec_lo, exec_lo, s34
	s_waitcnt lgkmcnt(0)
	s_delay_alu instid0(VALU_DEP_1) | instskip(SKIP_1) | instid1(VALU_DEP_2)
	v_sub_f32_e32 v1, 0x3fc90fdb, v11
	v_cmp_gt_f32_e32 vcc_lo, 0, v3
	v_cndmask_b32_e64 v1, v11, v1, s4
	v_cndmask_b32_e64 v11, 0, 0x40490fdb, s3
	v_cmp_class_f32_e64 s3, v3, 0x204
	v_cmp_class_f32_e64 s4, v4, 0x204
	s_delay_alu instid0(VALU_DEP_4) | instskip(NEXT) | instid1(VALU_DEP_1)
	v_sub_f32_e32 v2, 0x40490fdb, v1
	v_cndmask_b32_e32 v1, v1, v2, vcc_lo
	v_cndmask_b32_e32 v2, 0x3f490fdb, v21, vcc_lo
	v_cmp_eq_f32_e32 vcc_lo, 0, v4
	s_delay_alu instid0(VALU_DEP_3) | instskip(SKIP_1) | instid1(VALU_DEP_1)
	v_cndmask_b32_e32 v1, v1, v11, vcc_lo
	s_and_b32 vcc_lo, s3, s4
	v_dual_cndmask_b32 v1, v1, v2 :: v_dual_add_f32 v2, 0x3f317218, v12
	v_cmp_o_f32_e32 vcc_lo, v3, v4
	s_delay_alu instid0(VALU_DEP_2) | instskip(NEXT) | instid1(VALU_DEP_3)
	v_cndmask_b32_e64 v12, -v2, v2, s2
	v_cndmask_b32_e64 v11, 0x7fc00000, |v1|, vcc_lo
.LBB44_382:                             ;   in Loop: Header=BB44_5 Depth=1
	s_or_b32 exec_lo, exec_lo, s6
                                        ; implicit-def: $vgpr1_vgpr2_vgpr3_vgpr4
.LBB44_383:                             ;   in Loop: Header=BB44_5 Depth=1
	s_and_not1_saveexec_b32 s2, s33
	s_cbranch_execz .LBB44_4
; %bb.384:                              ;   in Loop: Header=BB44_5 Depth=1
	v_cmp_neq_f32_e64 s3, 0x7f800000, |v3|
	s_delay_alu instid0(VALU_DEP_1) | instskip(NEXT) | instid1(SALU_CYCLE_1)
	s_and_saveexec_b32 s4, s3
	s_xor_b32 s3, exec_lo, s4
	s_cbranch_execz .LBB44_394
; %bb.385:                              ;   in Loop: Header=BB44_5 Depth=1
	v_cmp_neq_f32_e64 s4, 0x7f800000, |v4|
	s_delay_alu instid0(VALU_DEP_1) | instskip(NEXT) | instid1(SALU_CYCLE_1)
	s_and_saveexec_b32 s5, s4
	s_xor_b32 s4, exec_lo, s5
	s_cbranch_execz .LBB44_391
; %bb.386:                              ;   in Loop: Header=BB44_5 Depth=1
	s_mov_b32 s5, exec_lo
	v_cmpx_neq_f32_e32 0, v3
	s_xor_b32 s5, exec_lo, s5
	s_cbranch_execz .LBB44_388
; %bb.387:                              ;   in Loop: Header=BB44_5 Depth=1
	s_waitcnt lgkmcnt(0)
	v_add_f32_e32 v1, 0, v4
	s_delay_alu instid0(VALU_DEP_1)
	v_add_f32_e32 v12, v3, v1
                                        ; implicit-def: $vgpr1_vgpr2_vgpr3_vgpr4
.LBB44_388:                             ;   in Loop: Header=BB44_5 Depth=1
	s_or_saveexec_b32 s5, s5
	s_delay_alu instid0(VALU_DEP_1)
	v_mov_b32_e32 v11, v12
	s_xor_b32 exec_lo, exec_lo, s5
	s_cbranch_execz .LBB44_390
; %bb.389:                              ;   in Loop: Header=BB44_5 Depth=1
	s_waitcnt lgkmcnt(0)
	v_dual_mov_b32 v1, s16 :: v_dual_mov_b32 v2, s17
	v_add_f32_e32 v12, v4, v4
	flat_load_b32 v1, v[1:2] glc dlc
	s_waitcnt vmcnt(0) lgkmcnt(0)
	v_add_f32_e32 v11, 0x3fc90fdb, v1
.LBB44_390:                             ;   in Loop: Header=BB44_5 Depth=1
	s_or_b32 exec_lo, exec_lo, s5
                                        ; implicit-def: $vgpr1_vgpr2_vgpr3_vgpr4
.LBB44_391:                             ;   in Loop: Header=BB44_5 Depth=1
	s_and_not1_saveexec_b32 s4, s4
; %bb.392:                              ;   in Loop: Header=BB44_5 Depth=1
	v_add_f32_e32 v11, v3, v3
	v_xor_b32_e32 v12, 0x80000000, v4
; %bb.393:                              ;   in Loop: Header=BB44_5 Depth=1
	s_or_b32 exec_lo, exec_lo, s4
                                        ; implicit-def: $vgpr1_vgpr2_vgpr3_vgpr4
.LBB44_394:                             ;   in Loop: Header=BB44_5 Depth=1
	s_and_not1_saveexec_b32 s3, s3
	s_cbranch_execz .LBB44_3
; %bb.395:                              ;   in Loop: Header=BB44_5 Depth=1
	v_dual_add_f32 v11, v4, v4 :: v_dual_mov_b32 v12, 0xff800000
	s_branch .LBB44_3
.LBB44_396:
	s_or_b32 exec_lo, exec_lo, s27
	s_mov_b32 s2, 0
.LBB44_397:
	s_delay_alu instid0(SALU_CYCLE_1)
	s_and_not1_b32 vcc_lo, exec_lo, s2
	s_cbranch_vccnz .LBB44_809
; %bb.398:
	v_cmp_lt_i64_e64 s2, s[12:13], 1
	s_delay_alu instid0(VALU_DEP_1)
	s_and_b32 vcc_lo, exec_lo, s2
	s_cbranch_vccnz .LBB44_809
; %bb.399:
	s_load_b32 s0, s[0:1], 0xc5c
	v_dual_mov_b32 v1, 0 :: v_dual_mov_b32 v30, 0x248d3132
	v_cmp_gt_u64_e64 s1, 0x10000, s[12:13]
	v_lshl_or_b32 v2, v0, 3, 4
	s_delay_alu instid0(VALU_DEP_3) | instskip(SKIP_2) | instid1(VALU_DEP_2)
	v_dual_mov_b32 v32, 0x4016cbe4 :: v_dual_mov_b32 v3, v1
	s_mov_b64 s[16:17], src_private_base
	s_mov_b32 s16, 8
	v_add_co_u32 v14, s2, s24, v2
	v_mov_b32_e32 v31, 0xd800000
	v_add_co_ci_u32_e64 v15, null, s25, 0, s2
	s_mov_b32 s15, 0
	s_mov_b32 s18, 0
	;; [unrolled: 1-line block ×6, first 2 shown]
	s_waitcnt lgkmcnt(0)
	s_and_b32 s26, s0, 0xffff
	s_and_b32 s0, s1, exec_lo
	v_add_lshl_u32 v6, v0, s26, 3
	v_mad_u64_u32 v[4:5], null, s26, 24, v[2:3]
	v_add_co_u32 v16, s0, s8, v2
	s_delay_alu instid0(VALU_DEP_1) | instskip(NEXT) | instid1(VALU_DEP_4)
	v_add_co_ci_u32_e64 v17, null, s9, 0, s0
	v_add_co_u32 v18, s0, s8, v6
	s_delay_alu instid0(VALU_DEP_1)
	v_add_co_ci_u32_e64 v19, null, s9, 0, s0
	v_add_co_u32 v22, s0, s24, v6
	s_cselect_b32 s23, s13, 0
	s_cselect_b32 s22, s12, 0x10000
	v_add_co_ci_u32_e64 v23, null, s25, 0, s0
	s_lshl_b32 s0, s26, 4
	v_add_co_u32 v20, vcc_lo, s24, v4
	v_add_co_u32 v2, s0, v2, s0
	v_add_co_ci_u32_e32 v21, vcc_lo, s25, v5, vcc_lo
	v_add_co_ci_u32_e64 v3, null, 0, 0, s0
	v_add_co_u32 v24, vcc_lo, s8, v4
	v_add_co_ci_u32_e32 v25, vcc_lo, s9, v5, vcc_lo
	v_add_co_u32 v26, vcc_lo, s24, v2
	s_delay_alu instid0(VALU_DEP_4)
	v_add_co_ci_u32_e32 v27, vcc_lo, s25, v3, vcc_lo
	v_add_co_u32 v28, vcc_lo, s8, v2
	v_add_co_ci_u32_e32 v29, vcc_lo, s9, v3, vcc_lo
	v_dual_mov_b32 v2, s16 :: v_dual_mov_b32 v3, s17
	s_lshl_b32 s14, s26, 2
	s_lshl_b32 s27, s26, 1
	s_mul_i32 s28, s26, 3
	s_lshl_b32 s29, s26, 5
	s_mov_b32 s9, 0x3e9b6dac
	s_mov_b32 s31, 0x3b2d2a58
	s_mov_b64 s[24:25], s[14:15]
	s_branch .LBB44_401
.LBB44_400:                             ;   in Loop: Header=BB44_401 Depth=1
	s_or_b32 exec_lo, exec_lo, s0
	v_add_co_u32 v0, vcc_lo, v0, s14
	v_add_co_ci_u32_e32 v1, vcc_lo, 0, v1, vcc_lo
	v_add_co_u32 v14, vcc_lo, v14, s29
	v_add_co_ci_u32_e32 v15, vcc_lo, 0, v15, vcc_lo
	;; [unrolled: 2-line block ×7, first 2 shown]
	v_cmp_ge_i64_e64 s0, s[24:25], s[12:13]
	v_cmp_lt_u64_e64 s1, 0xffff, s[24:25]
	v_add_co_u32 v26, vcc_lo, v26, s29
	v_add_co_ci_u32_e32 v27, vcc_lo, 0, v27, vcc_lo
	v_add_co_u32 v28, vcc_lo, v28, s29
	v_add_co_ci_u32_e32 v29, vcc_lo, 0, v29, vcc_lo
	s_or_b32 s0, s0, s1
	s_add_u32 s24, s24, s14
	s_addc_u32 s25, s25, 0
	s_and_b32 vcc_lo, exec_lo, s0
	s_cbranch_vccnz .LBB44_809
.LBB44_401:                             ; =>This Inner Loop Header: Depth=1
	v_cmp_gt_u64_e64 s0, s[22:23], v[0:1]
	s_waitcnt vmcnt(0) lgkmcnt(2)
	v_dual_mov_b32 v11, 0 :: v_dual_mov_b32 v10, 0
	s_delay_alu instid0(VALU_DEP_2)
	s_and_saveexec_b32 s1, s0
	s_cbranch_execz .LBB44_403
; %bb.402:                              ;   in Loop: Header=BB44_401 Depth=1
	v_add_co_u32 v4, vcc_lo, v14, s10
	v_add_co_ci_u32_e32 v5, vcc_lo, s11, v15, vcc_lo
	global_load_b64 v[10:11], v[4:5], off offset:-4
.LBB44_403:                             ;   in Loop: Header=BB44_401 Depth=1
	s_or_b32 exec_lo, exec_lo, s1
	v_add_co_u32 v4, vcc_lo, s26, v0
	v_add_co_ci_u32_e32 v5, vcc_lo, 0, v1, vcc_lo
	s_waitcnt lgkmcnt(1)
	v_dual_mov_b32 v9, 0 :: v_dual_mov_b32 v12, 0
	v_mov_b32_e32 v13, 0
	s_delay_alu instid0(VALU_DEP_3) | instskip(NEXT) | instid1(VALU_DEP_1)
	v_cmp_gt_u64_e64 s1, s[22:23], v[4:5]
	s_and_saveexec_b32 s2, s1
	s_cbranch_execz .LBB44_405
; %bb.404:                              ;   in Loop: Header=BB44_401 Depth=1
	v_add_co_u32 v4, vcc_lo, v22, s10
	v_add_co_ci_u32_e32 v5, vcc_lo, s11, v23, vcc_lo
	global_load_b64 v[12:13], v[4:5], off
.LBB44_405:                             ;   in Loop: Header=BB44_401 Depth=1
	s_or_b32 exec_lo, exec_lo, s2
	v_add_co_u32 v4, vcc_lo, s27, v0
	v_add_co_ci_u32_e32 v5, vcc_lo, 0, v1, vcc_lo
	s_waitcnt lgkmcnt(0)
	v_mov_b32_e32 v8, 0
	s_delay_alu instid0(VALU_DEP_2) | instskip(NEXT) | instid1(VALU_DEP_1)
	v_cmp_gt_u64_e64 s2, s[22:23], v[4:5]
	s_and_saveexec_b32 s3, s2
	s_cbranch_execz .LBB44_407
; %bb.406:                              ;   in Loop: Header=BB44_401 Depth=1
	v_add_co_u32 v4, vcc_lo, v26, s10
	v_add_co_ci_u32_e32 v5, vcc_lo, s11, v27, vcc_lo
	global_load_b64 v[8:9], v[4:5], off offset:-4
.LBB44_407:                             ;   in Loop: Header=BB44_401 Depth=1
	s_or_b32 exec_lo, exec_lo, s3
	v_add_co_u32 v4, vcc_lo, s28, v0
	v_add_co_ci_u32_e32 v5, vcc_lo, 0, v1, vcc_lo
	s_delay_alu instid0(VALU_DEP_1) | instskip(SKIP_1) | instid1(VALU_DEP_2)
	v_cmp_gt_u64_e64 s3, s[22:23], v[4:5]
	v_dual_mov_b32 v5, 0 :: v_dual_mov_b32 v4, 0
	s_and_saveexec_b32 s4, s3
	s_cbranch_execz .LBB44_409
; %bb.408:                              ;   in Loop: Header=BB44_401 Depth=1
	v_add_co_u32 v4, vcc_lo, v20, s10
	v_add_co_ci_u32_e32 v5, vcc_lo, s11, v21, vcc_lo
	global_load_b64 v[4:5], v[4:5], off offset:-4
.LBB44_409:                             ;   in Loop: Header=BB44_401 Depth=1
	s_or_b32 exec_lo, exec_lo, s4
	s_waitcnt vmcnt(0)
	v_cmp_o_f32_e32 vcc_lo, v10, v10
	v_cmp_o_f32_e64 s4, v11, v11
	flat_store_b32 v[2:3], v30 dlc
	s_waitcnt_vscnt null, 0x0
                                        ; implicit-def: $vgpr7
	s_and_b32 s4, vcc_lo, s4
	s_delay_alu instid0(SALU_CYCLE_1) | instskip(NEXT) | instid1(SALU_CYCLE_1)
	s_and_saveexec_b32 s5, s4
	s_xor_b32 s15, exec_lo, s5
	s_cbranch_execz .LBB44_493
; %bb.410:                              ;   in Loop: Header=BB44_401 Depth=1
	v_max_f32_e64 v35, |v10|, |v10|
	v_max_f32_e64 v34, |v11|, |v11|
	v_cmp_gt_i32_e64 s5, 0, v10
	v_cmp_lt_i32_e64 s6, -1, v10
	v_cmp_gt_i32_e64 s4, 0, v11
                                        ; implicit-def: $vgpr7
	s_mov_b32 s7, exec_lo
	v_max_f32_e32 v33, v34, v35
	s_delay_alu instid0(VALU_DEP_1)
	v_cmpx_nlt_f32_e32 0x4b000000, v33
	s_xor_b32 s33, exec_lo, s7
	s_cbranch_execz .LBB44_482
; %bb.411:                              ;   in Loop: Header=BB44_401 Depth=1
	v_cmp_neq_f32_e32 vcc_lo, 1.0, v10
	v_cmp_neq_f32_e64 s7, 0, v11
                                        ; implicit-def: $vgpr7
	s_delay_alu instid0(VALU_DEP_1) | instskip(NEXT) | instid1(SALU_CYCLE_1)
	s_or_b32 s7, s7, vcc_lo
	s_and_saveexec_b32 s8, s7
	s_delay_alu instid0(SALU_CYCLE_1)
	s_xor_b32 s34, exec_lo, s8
	s_cbranch_execz .LBB44_479
; %bb.412:                              ;   in Loop: Header=BB44_401 Depth=1
	v_dual_mov_b32 v6, s18 :: v_dual_mov_b32 v7, s19
	v_cmp_ngt_f32_e64 s7, 0x395db3d7, |v10|
	v_cmp_ngt_f32_e64 s8, 0x395db3d7, |v11|
	flat_store_b32 v[6:7], v31 dlc
	s_waitcnt_vscnt null, 0x0
	flat_load_b32 v6, v[6:7] glc dlc
	s_waitcnt vmcnt(0)
	s_or_b32 s7, s8, s7
	s_waitcnt lgkmcnt(0)
	v_dual_add_f32 v33, 1.0, v6 :: v_dual_mov_b32 v6, s20
	v_mov_b32_e32 v7, s21
	flat_store_b32 v[6:7], v33 dlc
	s_waitcnt_vscnt null, 0x0
	flat_load_b32 v6, v[6:7] glc dlc
	s_waitcnt vmcnt(0)
                                        ; implicit-def: $vgpr7
	s_and_saveexec_b32 s8, s7
	s_delay_alu instid0(SALU_CYCLE_1)
	s_xor_b32 s35, exec_lo, s8
	s_cbranch_execz .LBB44_476
; %bb.413:                              ;   in Loop: Header=BB44_401 Depth=1
	v_add_f32_e64 v33, |v10|, 1.0
	s_waitcnt vmcnt(0) lgkmcnt(0)
	v_add_f32_e64 v6, |v10|, -1.0
	s_mov_b32 s7, exec_lo
	s_delay_alu instid0(VALU_DEP_2) | instskip(NEXT) | instid1(VALU_DEP_2)
	v_max_f32_e64 v7, v34, |v33|
	v_max_f32_e64 v38, v34, |v6|
	s_delay_alu instid0(VALU_DEP_2) | instskip(NEXT) | instid1(VALU_DEP_2)
	v_cvt_f64_f32_e32 v[34:35], v7
	v_cvt_f64_f32_e32 v[36:37], v38
	v_cmp_neq_f32_e32 vcc_lo, 0x7f800000, v7
	s_delay_alu instid0(VALU_DEP_3) | instskip(NEXT) | instid1(VALU_DEP_3)
	v_frexp_exp_i32_f64_e32 v34, v[34:35]
	v_frexp_exp_i32_f64_e32 v35, v[36:37]
	s_delay_alu instid0(VALU_DEP_2) | instskip(NEXT) | instid1(VALU_DEP_2)
	v_sub_nc_u32_e32 v36, 0, v34
	v_sub_nc_u32_e32 v37, 0, v35
	s_delay_alu instid0(VALU_DEP_2) | instskip(NEXT) | instid1(VALU_DEP_2)
	v_ldexp_f32 v39, |v33|, v36
	v_ldexp_f32 v40, |v6|, v37
	;; [unrolled: 1-line block ×4, first 2 shown]
	s_delay_alu instid0(VALU_DEP_3) | instskip(NEXT) | instid1(VALU_DEP_1)
	v_dual_mul_f32 v39, v39, v39 :: v_dual_mul_f32 v40, v40, v40
	v_dual_fmac_f32 v39, v36, v36 :: v_dual_fmac_f32 v40, v37, v37
	s_delay_alu instid0(VALU_DEP_1) | instskip(NEXT) | instid1(VALU_DEP_1)
	v_sqrt_f32_e32 v36, v39
	v_sqrt_f32_e32 v37, v40
	s_waitcnt_depctr 0xfff
	v_ldexp_f32 v34, v36, v34
	v_ldexp_f32 v35, v37, v35
	s_delay_alu instid0(VALU_DEP_2) | instskip(SKIP_1) | instid1(VALU_DEP_3)
	v_cndmask_b32_e32 v37, 0x7f800000, v34, vcc_lo
	v_cmp_neq_f32_e32 vcc_lo, 0x7f800000, v38
                                        ; implicit-def: $vgpr34
	v_cndmask_b32_e32 v35, 0x7f800000, v35, vcc_lo
	s_delay_alu instid0(VALU_DEP_1) | instskip(NEXT) | instid1(VALU_DEP_1)
	v_add_f32_e32 v7, v37, v35
	v_mul_f32_e32 v7, 0.5, v7
	s_delay_alu instid0(VALU_DEP_1) | instskip(SKIP_1) | instid1(VALU_DEP_1)
	v_cmp_ngt_f32_e32 vcc_lo, 1.0, v7
	v_cndmask_b32_e32 v7, 1.0, v7, vcc_lo
	v_cmpx_ngt_f32_e32 0x41200000, v7
	s_xor_b32 s8, exec_lo, s7
	s_cbranch_execz .LBB44_415
; %bb.414:                              ;   in Loop: Header=BB44_401 Depth=1
	v_fma_f32 v34, v7, v7, -1.0
	s_delay_alu instid0(VALU_DEP_1) | instskip(SKIP_1) | instid1(VALU_DEP_2)
	v_mul_f32_e32 v36, 0x4f800000, v34
	v_cmp_gt_f32_e32 vcc_lo, 0xf800000, v34
	v_cndmask_b32_e32 v34, v34, v36, vcc_lo
	s_delay_alu instid0(VALU_DEP_1) | instskip(SKIP_3) | instid1(VALU_DEP_2)
	v_sqrt_f32_e32 v36, v34
	s_waitcnt_depctr 0xfff
	v_add_nc_u32_e32 v38, -1, v36
	v_add_nc_u32_e32 v39, 1, v36
	v_fma_f32 v40, -v38, v36, v34
	s_delay_alu instid0(VALU_DEP_2) | instskip(NEXT) | instid1(VALU_DEP_2)
	v_fma_f32 v41, -v39, v36, v34
	v_cmp_ge_f32_e64 s7, 0, v40
	s_delay_alu instid0(VALU_DEP_1) | instskip(NEXT) | instid1(VALU_DEP_3)
	v_cndmask_b32_e64 v36, v36, v38, s7
	v_cmp_lt_f32_e64 s7, 0, v41
	s_delay_alu instid0(VALU_DEP_1) | instskip(NEXT) | instid1(VALU_DEP_1)
	v_cndmask_b32_e64 v36, v36, v39, s7
	v_mul_f32_e32 v38, 0x37800000, v36
	s_delay_alu instid0(VALU_DEP_1) | instskip(SKIP_1) | instid1(VALU_DEP_2)
	v_cndmask_b32_e32 v36, v36, v38, vcc_lo
	v_cmp_class_f32_e64 vcc_lo, v34, 0x260
	v_cndmask_b32_e32 v34, v36, v34, vcc_lo
	s_delay_alu instid0(VALU_DEP_1) | instskip(NEXT) | instid1(VALU_DEP_1)
	v_add_f32_e32 v34, v7, v34
	v_cmp_gt_f32_e32 vcc_lo, 0x800000, v34
	s_delay_alu instid0(VALU_DEP_4) | instskip(NEXT) | instid1(VALU_DEP_1)
	v_cndmask_b32_e64 v36, 1.0, 0x4f800000, vcc_lo
	v_mul_f32_e32 v34, v34, v36
	s_delay_alu instid0(VALU_DEP_1) | instskip(SKIP_3) | instid1(VALU_DEP_2)
	v_log_f32_e32 v34, v34
	s_waitcnt_depctr 0xfff
	v_mul_f32_e32 v36, 0x3f317217, v34
	v_cmp_gt_f32_e64 s7, 0x7f800000, |v34|
	v_fma_f32 v38, 0x3f317217, v34, -v36
	s_delay_alu instid0(VALU_DEP_1) | instskip(NEXT) | instid1(VALU_DEP_1)
	v_fmac_f32_e32 v38, 0x3377d1cf, v34
	v_add_f32_e32 v36, v36, v38
	s_delay_alu instid0(VALU_DEP_1) | instskip(SKIP_1) | instid1(VALU_DEP_1)
	v_cndmask_b32_e64 v34, v34, v36, s7
	v_cndmask_b32_e64 v36, 0, 0x41b17218, vcc_lo
	v_sub_f32_e32 v34, v34, v36
.LBB44_415:                             ;   in Loop: Header=BB44_401 Depth=1
	s_or_saveexec_b32 s8, s8
	v_and_b32_e32 v36, 0x7fffffff, v11
	s_xor_b32 exec_lo, exec_lo, s8
	s_cbranch_execz .LBB44_437
; %bb.416:                              ;   in Loop: Header=BB44_401 Depth=1
	v_cmp_neq_f32_e64 s7, |v10|, 1.0
	v_cmp_ngt_f32_e64 s36, 0x25000000, |v11|
                                        ; implicit-def: $vgpr34
	s_delay_alu instid0(VALU_DEP_1) | instskip(NEXT) | instid1(SALU_CYCLE_1)
	s_or_b32 s7, s36, s7
	s_and_saveexec_b32 s36, s7
	s_delay_alu instid0(SALU_CYCLE_1)
	s_xor_b32 s36, exec_lo, s36
	s_cbranch_execz .LBB44_434
; %bb.417:                              ;   in Loop: Header=BB44_401 Depth=1
	v_mul_f32_e64 v34, 0x34000000, |v6|
	s_delay_alu instid0(VALU_DEP_1) | instskip(NEXT) | instid1(VALU_DEP_1)
	v_cmp_le_f32_e64 s7, v34, |v11|
                                        ; implicit-def: $vgpr34
	s_and_saveexec_b32 s37, s7
	s_delay_alu instid0(SALU_CYCLE_1)
	s_xor_b32 s37, exec_lo, s37
	s_cbranch_execz .LBB44_427
; %bb.418:                              ;   in Loop: Header=BB44_401 Depth=1
	v_mov_b32_e32 v34, v36
	s_mov_b32 s7, exec_lo
	v_cmpx_neq_f32_e32 0, v33
	s_cbranch_execz .LBB44_420
; %bb.419:                              ;   in Loop: Header=BB44_401 Depth=1
	v_mul_f32_e32 v34, v11, v11
	v_add_f32_e32 v38, v33, v37
	s_delay_alu instid0(VALU_DEP_1) | instskip(NEXT) | instid1(VALU_DEP_1)
	v_div_scale_f32 v39, null, v38, v38, v34
	v_rcp_f32_e32 v40, v39
	s_waitcnt_depctr 0xfff
	v_fma_f32 v41, -v39, v40, 1.0
	s_delay_alu instid0(VALU_DEP_1) | instskip(SKIP_1) | instid1(VALU_DEP_1)
	v_fmac_f32_e32 v40, v41, v40
	v_div_scale_f32 v41, vcc_lo, v34, v38, v34
	v_mul_f32_e32 v42, v41, v40
	s_delay_alu instid0(VALU_DEP_1) | instskip(NEXT) | instid1(VALU_DEP_1)
	v_fma_f32 v43, -v39, v42, v41
	v_fmac_f32_e32 v42, v43, v40
	s_delay_alu instid0(VALU_DEP_1) | instskip(NEXT) | instid1(VALU_DEP_1)
	v_fma_f32 v39, -v39, v42, v41
	v_div_fmas_f32 v39, v39, v40, v42
	s_delay_alu instid0(VALU_DEP_1)
	v_div_fixup_f32 v34, v39, v38, v34
.LBB44_420:                             ;   in Loop: Header=BB44_401 Depth=1
	s_or_b32 exec_lo, exec_lo, s7
	v_sub_f32_e64 v39, 1.0, |v10|
	s_mov_b32 s7, exec_lo
                                        ; implicit-def: $vgpr38
	s_delay_alu instid0(VALU_DEP_1)
	v_cmpx_ngt_f32_e32 0, v39
	s_xor_b32 s7, exec_lo, s7
	s_cbranch_execz .LBB44_424
; %bb.421:                              ;   in Loop: Header=BB44_401 Depth=1
	v_mov_b32_e32 v38, v36
	s_mov_b32 s38, exec_lo
	v_cmpx_neq_f32_e32 0, v39
	s_cbranch_execz .LBB44_423
; %bb.422:                              ;   in Loop: Header=BB44_401 Depth=1
	v_mul_f32_e32 v38, v11, v11
	v_add_f32_e32 v39, v39, v35
	s_delay_alu instid0(VALU_DEP_1) | instskip(NEXT) | instid1(VALU_DEP_1)
	v_div_scale_f32 v40, null, v39, v39, v38
	v_rcp_f32_e32 v41, v40
	s_waitcnt_depctr 0xfff
	v_fma_f32 v42, -v40, v41, 1.0
	s_delay_alu instid0(VALU_DEP_1) | instskip(SKIP_1) | instid1(VALU_DEP_1)
	v_fmac_f32_e32 v41, v42, v41
	v_div_scale_f32 v42, vcc_lo, v38, v39, v38
	v_mul_f32_e32 v43, v42, v41
	s_delay_alu instid0(VALU_DEP_1) | instskip(NEXT) | instid1(VALU_DEP_1)
	v_fma_f32 v44, -v40, v43, v42
	v_fmac_f32_e32 v43, v44, v41
	s_delay_alu instid0(VALU_DEP_1) | instskip(NEXT) | instid1(VALU_DEP_1)
	v_fma_f32 v40, -v40, v43, v42
	v_div_fmas_f32 v40, v40, v41, v43
	s_delay_alu instid0(VALU_DEP_1)
	v_div_fixup_f32 v38, v40, v39, v38
.LBB44_423:                             ;   in Loop: Header=BB44_401 Depth=1
	s_or_b32 exec_lo, exec_lo, s38
                                        ; implicit-def: $vgpr39
.LBB44_424:                             ;   in Loop: Header=BB44_401 Depth=1
	s_and_not1_saveexec_b32 s7, s7
; %bb.425:                              ;   in Loop: Header=BB44_401 Depth=1
	v_sub_f32_e32 v38, v35, v39
; %bb.426:                              ;   in Loop: Header=BB44_401 Depth=1
	s_or_b32 exec_lo, exec_lo, s7
	s_delay_alu instid0(VALU_DEP_1) | instskip(NEXT) | instid1(VALU_DEP_1)
	v_dual_mul_f32 v38, 0.5, v38 :: v_dual_add_f32 v39, 1.0, v7
	v_fmac_f32_e32 v38, 0.5, v34
	s_delay_alu instid0(VALU_DEP_1) | instskip(NEXT) | instid1(VALU_DEP_1)
	v_mul_f32_e32 v34, v39, v38
	v_mul_f32_e32 v39, 0x4f800000, v34
	v_cmp_gt_f32_e32 vcc_lo, 0xf800000, v34
	s_delay_alu instid0(VALU_DEP_2) | instskip(NEXT) | instid1(VALU_DEP_1)
	v_cndmask_b32_e32 v34, v34, v39, vcc_lo
	v_sqrt_f32_e32 v39, v34
	s_waitcnt_depctr 0xfff
	v_add_nc_u32_e32 v40, -1, v39
	v_add_nc_u32_e32 v41, 1, v39
	s_delay_alu instid0(VALU_DEP_2) | instskip(NEXT) | instid1(VALU_DEP_2)
	v_fma_f32 v42, -v40, v39, v34
	v_fma_f32 v43, -v41, v39, v34
	s_delay_alu instid0(VALU_DEP_2) | instskip(NEXT) | instid1(VALU_DEP_1)
	v_cmp_ge_f32_e64 s7, 0, v42
	v_cndmask_b32_e64 v39, v39, v40, s7
	s_delay_alu instid0(VALU_DEP_3) | instskip(NEXT) | instid1(VALU_DEP_1)
	v_cmp_lt_f32_e64 s7, 0, v43
	v_cndmask_b32_e64 v39, v39, v41, s7
	s_delay_alu instid0(VALU_DEP_1) | instskip(NEXT) | instid1(VALU_DEP_1)
	v_mul_f32_e32 v40, 0x37800000, v39
	v_cndmask_b32_e32 v39, v39, v40, vcc_lo
	v_cmp_class_f32_e64 vcc_lo, v34, 0x260
	s_delay_alu instid0(VALU_DEP_2) | instskip(NEXT) | instid1(VALU_DEP_1)
	v_cndmask_b32_e32 v34, v39, v34, vcc_lo
	v_add_f32_e32 v34, v38, v34
	s_delay_alu instid0(VALU_DEP_1) | instskip(NEXT) | instid1(VALU_DEP_1)
	v_add_f32_e32 v40, 1.0, v34
	v_cvt_f64_f32_e32 v[38:39], v40
	s_delay_alu instid0(VALU_DEP_1) | instskip(SKIP_1) | instid1(VALU_DEP_1)
	v_frexp_exp_i32_f64_e32 v38, v[38:39]
	v_frexp_mant_f32_e32 v39, v40
	v_cmp_gt_f32_e32 vcc_lo, 0x3f2aaaab, v39
	v_add_f32_e32 v39, -1.0, v40
	s_delay_alu instid0(VALU_DEP_1) | instskip(NEXT) | instid1(VALU_DEP_1)
	v_dual_sub_f32 v42, v39, v40 :: v_dual_sub_f32 v39, v34, v39
	v_add_f32_e32 v42, 1.0, v42
	s_delay_alu instid0(VALU_DEP_1) | instskip(SKIP_1) | instid1(VALU_DEP_1)
	v_add_f32_e32 v39, v39, v42
	v_subrev_co_ci_u32_e32 v38, vcc_lo, 0, v38, vcc_lo
	v_sub_nc_u32_e32 v41, 0, v38
	v_cvt_f32_i32_e32 v38, v38
	s_delay_alu instid0(VALU_DEP_2) | instskip(SKIP_1) | instid1(VALU_DEP_2)
	v_ldexp_f32 v40, v40, v41
	v_ldexp_f32 v39, v39, v41
	v_add_f32_e32 v43, 1.0, v40
	v_add_f32_e32 v41, -1.0, v40
	v_cmp_eq_f32_e32 vcc_lo, 0x7f800000, v34
	s_delay_alu instid0(VALU_DEP_3) | instskip(NEXT) | instid1(VALU_DEP_3)
	v_add_f32_e32 v42, -1.0, v43
	v_add_f32_e32 v44, 1.0, v41
	s_delay_alu instid0(VALU_DEP_2) | instskip(NEXT) | instid1(VALU_DEP_2)
	v_sub_f32_e32 v42, v40, v42
	v_sub_f32_e32 v40, v40, v44
	s_delay_alu instid0(VALU_DEP_2) | instskip(NEXT) | instid1(VALU_DEP_2)
	v_add_f32_e32 v42, v39, v42
	v_add_f32_e32 v39, v39, v40
	s_delay_alu instid0(VALU_DEP_1) | instskip(NEXT) | instid1(VALU_DEP_1)
	v_dual_add_f32 v45, v41, v39 :: v_dual_add_f32 v44, v43, v42
	v_sub_f32_e32 v41, v45, v41
	s_delay_alu instid0(VALU_DEP_2) | instskip(SKIP_1) | instid1(VALU_DEP_1)
	v_rcp_f32_e32 v40, v44
	v_sub_f32_e32 v43, v44, v43
	v_dual_sub_f32 v39, v39, v41 :: v_dual_sub_f32 v42, v42, v43
	s_waitcnt_depctr 0xfff
	v_mul_f32_e32 v46, v45, v40
	s_delay_alu instid0(VALU_DEP_1) | instskip(NEXT) | instid1(VALU_DEP_1)
	v_mul_f32_e32 v47, v44, v46
	v_fma_f32 v43, v46, v44, -v47
	s_delay_alu instid0(VALU_DEP_1) | instskip(NEXT) | instid1(VALU_DEP_1)
	v_fmac_f32_e32 v43, v46, v42
	v_add_f32_e32 v48, v47, v43
	s_delay_alu instid0(VALU_DEP_1) | instskip(NEXT) | instid1(VALU_DEP_1)
	v_sub_f32_e32 v49, v45, v48
	v_sub_f32_e32 v45, v45, v49
	s_delay_alu instid0(VALU_DEP_1) | instskip(SKIP_1) | instid1(VALU_DEP_2)
	v_sub_f32_e32 v45, v45, v48
	v_sub_f32_e32 v41, v48, v47
	v_add_f32_e32 v39, v39, v45
	s_delay_alu instid0(VALU_DEP_2) | instskip(NEXT) | instid1(VALU_DEP_1)
	v_sub_f32_e32 v41, v41, v43
	v_add_f32_e32 v39, v41, v39
	s_delay_alu instid0(VALU_DEP_1) | instskip(NEXT) | instid1(VALU_DEP_1)
	v_add_f32_e32 v41, v49, v39
	v_mul_f32_e32 v43, v40, v41
	s_delay_alu instid0(VALU_DEP_1) | instskip(NEXT) | instid1(VALU_DEP_1)
	v_dual_sub_f32 v48, v49, v41 :: v_dual_mul_f32 v45, v44, v43
	v_add_f32_e32 v39, v39, v48
	s_delay_alu instid0(VALU_DEP_2) | instskip(NEXT) | instid1(VALU_DEP_1)
	v_fma_f32 v44, v43, v44, -v45
	v_fmac_f32_e32 v44, v43, v42
	s_delay_alu instid0(VALU_DEP_1) | instskip(NEXT) | instid1(VALU_DEP_1)
	v_add_f32_e32 v42, v45, v44
	v_sub_f32_e32 v47, v41, v42
	s_delay_alu instid0(VALU_DEP_1) | instskip(NEXT) | instid1(VALU_DEP_1)
	v_sub_f32_e32 v41, v41, v47
	v_sub_f32_e32 v41, v41, v42
	s_delay_alu instid0(VALU_DEP_1) | instskip(SKIP_2) | instid1(VALU_DEP_1)
	v_add_f32_e32 v39, v39, v41
	v_add_f32_e32 v41, v46, v43
	v_sub_f32_e32 v45, v42, v45
	v_sub_f32_e32 v42, v45, v44
	s_delay_alu instid0(VALU_DEP_1) | instskip(NEXT) | instid1(VALU_DEP_1)
	v_dual_add_f32 v39, v42, v39 :: v_dual_sub_f32 v42, v41, v46
	v_add_f32_e32 v39, v47, v39
	s_delay_alu instid0(VALU_DEP_1) | instskip(NEXT) | instid1(VALU_DEP_1)
	v_dual_sub_f32 v42, v43, v42 :: v_dual_mul_f32 v39, v40, v39
	v_add_f32_e32 v39, v42, v39
	s_delay_alu instid0(VALU_DEP_1) | instskip(NEXT) | instid1(VALU_DEP_1)
	v_add_f32_e32 v40, v41, v39
	v_mul_f32_e32 v42, v40, v40
	s_delay_alu instid0(VALU_DEP_1) | instskip(SKIP_1) | instid1(VALU_DEP_2)
	v_fmaak_f32 v43, s9, v42, 0x3ecc95a3
	v_mul_f32_e32 v44, v40, v42
	v_fmaak_f32 v42, v42, v43, 0x3f2aaada
	v_ldexp_f32 v43, v40, 1
	v_sub_f32_e32 v40, v40, v41
	s_delay_alu instid0(VALU_DEP_3) | instskip(SKIP_1) | instid1(VALU_DEP_2)
	v_mul_f32_e32 v42, v44, v42
	v_mul_f32_e32 v44, 0x3f317218, v38
	v_add_f32_e32 v41, v43, v42
	s_delay_alu instid0(VALU_DEP_1) | instskip(NEXT) | instid1(VALU_DEP_3)
	v_dual_sub_f32 v39, v39, v40 :: v_dual_sub_f32 v40, v41, v43
	v_fma_f32 v43, 0x3f317218, v38, -v44
	s_delay_alu instid0(VALU_DEP_2) | instskip(NEXT) | instid1(VALU_DEP_2)
	v_ldexp_f32 v39, v39, 1
	v_dual_sub_f32 v40, v42, v40 :: v_dual_fmac_f32 v43, 0xb102e308, v38
	s_delay_alu instid0(VALU_DEP_1) | instskip(NEXT) | instid1(VALU_DEP_1)
	v_dual_add_f32 v38, v39, v40 :: v_dual_add_f32 v39, v44, v43
	v_add_f32_e32 v40, v41, v38
	s_delay_alu instid0(VALU_DEP_1) | instskip(NEXT) | instid1(VALU_DEP_1)
	v_add_f32_e32 v42, v39, v40
	v_sub_f32_e32 v45, v42, v39
	s_delay_alu instid0(VALU_DEP_1) | instskip(SKIP_2) | instid1(VALU_DEP_2)
	v_sub_f32_e32 v46, v42, v45
	v_sub_f32_e32 v41, v40, v41
	;; [unrolled: 1-line block ×5, first 2 shown]
	s_delay_alu instid0(VALU_DEP_1) | instskip(NEXT) | instid1(VALU_DEP_1)
	v_sub_f32_e32 v43, v43, v44
	v_add_f32_e32 v41, v43, v38
	v_sub_f32_e32 v39, v39, v46
	s_delay_alu instid0(VALU_DEP_1) | instskip(NEXT) | instid1(VALU_DEP_3)
	v_add_f32_e32 v39, v40, v39
	v_sub_f32_e32 v40, v41, v43
	s_delay_alu instid0(VALU_DEP_1) | instskip(NEXT) | instid1(VALU_DEP_1)
	v_dual_sub_f32 v38, v38, v40 :: v_dual_add_f32 v39, v41, v39
	v_dual_sub_f32 v41, v41, v40 :: v_dual_add_f32 v44, v42, v39
	s_delay_alu instid0(VALU_DEP_1) | instskip(NEXT) | instid1(VALU_DEP_1)
	v_dual_sub_f32 v41, v43, v41 :: v_dual_sub_f32 v40, v44, v42
	v_dual_add_f32 v38, v38, v41 :: v_dual_sub_f32 v39, v39, v40
	s_delay_alu instid0(VALU_DEP_1) | instskip(NEXT) | instid1(VALU_DEP_1)
	v_add_f32_e32 v38, v38, v39
	v_add_f32_e32 v38, v44, v38
	s_delay_alu instid0(VALU_DEP_1) | instskip(SKIP_1) | instid1(VALU_DEP_2)
	v_cndmask_b32_e32 v38, v38, v34, vcc_lo
	v_cmp_ngt_f32_e32 vcc_lo, -1.0, v34
	v_cndmask_b32_e32 v38, 0x7fc00000, v38, vcc_lo
	v_cmp_neq_f32_e32 vcc_lo, -1.0, v34
	s_delay_alu instid0(VALU_DEP_2) | instskip(SKIP_1) | instid1(VALU_DEP_2)
	v_cndmask_b32_e32 v38, 0xff800000, v38, vcc_lo
	v_cmp_gt_f32_e64 vcc_lo, 0x33800000, |v34|
	v_cndmask_b32_e32 v34, v38, v34, vcc_lo
.LBB44_427:                             ;   in Loop: Header=BB44_401 Depth=1
	s_and_not1_saveexec_b32 s37, s37
	s_cbranch_execz .LBB44_433
; %bb.428:                              ;   in Loop: Header=BB44_401 Depth=1
	s_mov_b32 s38, exec_lo
                                        ; implicit-def: $vgpr34
	v_cmpx_nlt_f32_e64 |v10|, 1.0
	s_xor_b32 s38, exec_lo, s38
	s_cbranch_execz .LBB44_430
; %bb.429:                              ;   in Loop: Header=BB44_401 Depth=1
	v_mul_f32_e32 v34, v6, v33
	s_delay_alu instid0(VALU_DEP_1) | instskip(SKIP_1) | instid1(VALU_DEP_2)
	v_mul_f32_e32 v38, 0x4f800000, v34
	v_cmp_gt_f32_e32 vcc_lo, 0xf800000, v34
	v_cndmask_b32_e32 v34, v34, v38, vcc_lo
	s_delay_alu instid0(VALU_DEP_1) | instskip(SKIP_3) | instid1(VALU_DEP_2)
	v_sqrt_f32_e32 v38, v34
	s_waitcnt_depctr 0xfff
	v_add_nc_u32_e32 v39, -1, v38
	v_add_nc_u32_e32 v40, 1, v38
	v_fma_f32 v41, -v39, v38, v34
	s_delay_alu instid0(VALU_DEP_2) | instskip(NEXT) | instid1(VALU_DEP_2)
	v_fma_f32 v42, -v40, v38, v34
	v_cmp_ge_f32_e64 s7, 0, v41
	s_delay_alu instid0(VALU_DEP_1) | instskip(NEXT) | instid1(VALU_DEP_3)
	v_cndmask_b32_e64 v38, v38, v39, s7
	v_cmp_lt_f32_e64 s7, 0, v42
	s_delay_alu instid0(VALU_DEP_1) | instskip(NEXT) | instid1(VALU_DEP_1)
	v_cndmask_b32_e64 v38, v38, v40, s7
	v_mul_f32_e32 v39, 0x37800000, v38
	s_delay_alu instid0(VALU_DEP_1) | instskip(SKIP_1) | instid1(VALU_DEP_2)
	v_cndmask_b32_e32 v38, v38, v39, vcc_lo
	v_cmp_class_f32_e64 vcc_lo, v34, 0x260
	v_cndmask_b32_e32 v34, v38, v34, vcc_lo
	s_delay_alu instid0(VALU_DEP_1) | instskip(NEXT) | instid1(VALU_DEP_1)
	v_add_f32_e32 v34, v6, v34
	v_add_f32_e32 v40, 1.0, v34
	s_delay_alu instid0(VALU_DEP_1) | instskip(NEXT) | instid1(VALU_DEP_1)
	v_cvt_f64_f32_e32 v[38:39], v40
	v_frexp_exp_i32_f64_e32 v38, v[38:39]
	v_frexp_mant_f32_e32 v39, v40
	s_delay_alu instid0(VALU_DEP_1) | instskip(SKIP_1) | instid1(VALU_DEP_1)
	v_cmp_gt_f32_e32 vcc_lo, 0x3f2aaaab, v39
	v_add_f32_e32 v39, -1.0, v40
	v_dual_sub_f32 v42, v39, v40 :: v_dual_sub_f32 v39, v34, v39
	s_delay_alu instid0(VALU_DEP_1) | instskip(NEXT) | instid1(VALU_DEP_1)
	v_add_f32_e32 v42, 1.0, v42
	v_add_f32_e32 v39, v39, v42
	v_subrev_co_ci_u32_e32 v38, vcc_lo, 0, v38, vcc_lo
	s_delay_alu instid0(VALU_DEP_1) | instskip(SKIP_1) | instid1(VALU_DEP_2)
	v_sub_nc_u32_e32 v41, 0, v38
	v_cvt_f32_i32_e32 v38, v38
	v_ldexp_f32 v40, v40, v41
	v_ldexp_f32 v39, v39, v41
	s_delay_alu instid0(VALU_DEP_2) | instskip(NEXT) | instid1(VALU_DEP_1)
	v_add_f32_e32 v43, 1.0, v40
	v_dual_add_f32 v41, -1.0, v40 :: v_dual_add_f32 v42, -1.0, v43
	s_delay_alu instid0(VALU_DEP_1) | instskip(NEXT) | instid1(VALU_DEP_2)
	v_add_f32_e32 v44, 1.0, v41
	v_sub_f32_e32 v42, v40, v42
	s_delay_alu instid0(VALU_DEP_2) | instskip(NEXT) | instid1(VALU_DEP_2)
	v_sub_f32_e32 v40, v40, v44
	v_add_f32_e32 v42, v39, v42
	s_delay_alu instid0(VALU_DEP_2) | instskip(SKIP_1) | instid1(VALU_DEP_2)
	v_add_f32_e32 v39, v39, v40
	v_cmp_eq_f32_e32 vcc_lo, 0x7f800000, v34
	v_dual_add_f32 v44, v43, v42 :: v_dual_add_f32 v45, v41, v39
	s_delay_alu instid0(VALU_DEP_1) | instskip(NEXT) | instid1(VALU_DEP_1)
	v_rcp_f32_e32 v40, v44
	v_sub_f32_e32 v41, v45, v41
	v_sub_f32_e32 v43, v44, v43
	s_delay_alu instid0(VALU_DEP_1) | instskip(SKIP_2) | instid1(VALU_DEP_1)
	v_dual_sub_f32 v39, v39, v41 :: v_dual_sub_f32 v42, v42, v43
	s_waitcnt_depctr 0xfff
	v_mul_f32_e32 v46, v45, v40
	v_mul_f32_e32 v47, v44, v46
	s_delay_alu instid0(VALU_DEP_1) | instskip(NEXT) | instid1(VALU_DEP_1)
	v_fma_f32 v43, v46, v44, -v47
	v_fmac_f32_e32 v43, v46, v42
	s_delay_alu instid0(VALU_DEP_1) | instskip(NEXT) | instid1(VALU_DEP_1)
	v_add_f32_e32 v48, v47, v43
	v_sub_f32_e32 v49, v45, v48
	v_sub_f32_e32 v41, v48, v47
	s_delay_alu instid0(VALU_DEP_2) | instskip(NEXT) | instid1(VALU_DEP_2)
	v_sub_f32_e32 v45, v45, v49
	v_sub_f32_e32 v41, v41, v43
	s_delay_alu instid0(VALU_DEP_2) | instskip(NEXT) | instid1(VALU_DEP_1)
	v_sub_f32_e32 v45, v45, v48
	v_add_f32_e32 v39, v39, v45
	s_delay_alu instid0(VALU_DEP_1) | instskip(NEXT) | instid1(VALU_DEP_1)
	v_add_f32_e32 v39, v41, v39
	v_add_f32_e32 v41, v49, v39
	s_delay_alu instid0(VALU_DEP_1) | instskip(NEXT) | instid1(VALU_DEP_1)
	v_mul_f32_e32 v43, v40, v41
	v_dual_sub_f32 v48, v49, v41 :: v_dual_mul_f32 v45, v44, v43
	s_delay_alu instid0(VALU_DEP_1) | instskip(NEXT) | instid1(VALU_DEP_2)
	v_add_f32_e32 v39, v39, v48
	v_fma_f32 v44, v43, v44, -v45
	s_delay_alu instid0(VALU_DEP_1) | instskip(NEXT) | instid1(VALU_DEP_1)
	v_fmac_f32_e32 v44, v43, v42
	v_add_f32_e32 v42, v45, v44
	s_delay_alu instid0(VALU_DEP_1) | instskip(NEXT) | instid1(VALU_DEP_1)
	v_sub_f32_e32 v47, v41, v42
	v_sub_f32_e32 v41, v41, v47
	s_delay_alu instid0(VALU_DEP_1) | instskip(NEXT) | instid1(VALU_DEP_1)
	v_sub_f32_e32 v41, v41, v42
	v_add_f32_e32 v39, v39, v41
	v_add_f32_e32 v41, v46, v43
	v_sub_f32_e32 v45, v42, v45
	s_delay_alu instid0(VALU_DEP_1) | instskip(NEXT) | instid1(VALU_DEP_1)
	v_sub_f32_e32 v42, v45, v44
	v_dual_add_f32 v39, v42, v39 :: v_dual_sub_f32 v42, v41, v46
	s_delay_alu instid0(VALU_DEP_1) | instskip(NEXT) | instid1(VALU_DEP_1)
	v_add_f32_e32 v39, v47, v39
	v_dual_sub_f32 v42, v43, v42 :: v_dual_mul_f32 v39, v40, v39
	s_delay_alu instid0(VALU_DEP_1) | instskip(NEXT) | instid1(VALU_DEP_1)
	v_add_f32_e32 v39, v42, v39
	v_add_f32_e32 v40, v41, v39
	s_delay_alu instid0(VALU_DEP_1) | instskip(NEXT) | instid1(VALU_DEP_1)
	v_mul_f32_e32 v42, v40, v40
	v_fmaak_f32 v43, s9, v42, 0x3ecc95a3
	v_mul_f32_e32 v44, v40, v42
	s_delay_alu instid0(VALU_DEP_2) | instskip(SKIP_1) | instid1(VALU_DEP_2)
	v_fmaak_f32 v42, v42, v43, 0x3f2aaada
	v_ldexp_f32 v43, v40, 1
	v_mul_f32_e32 v42, v44, v42
	v_mul_f32_e32 v44, 0x3f317218, v38
	s_delay_alu instid0(VALU_DEP_2) | instskip(NEXT) | instid1(VALU_DEP_1)
	v_dual_sub_f32 v40, v40, v41 :: v_dual_add_f32 v41, v43, v42
	v_dual_sub_f32 v39, v39, v40 :: v_dual_sub_f32 v40, v41, v43
	s_delay_alu instid0(VALU_DEP_3) | instskip(NEXT) | instid1(VALU_DEP_2)
	v_fma_f32 v43, 0x3f317218, v38, -v44
	v_ldexp_f32 v39, v39, 1
	s_delay_alu instid0(VALU_DEP_2) | instskip(NEXT) | instid1(VALU_DEP_1)
	v_dual_sub_f32 v40, v42, v40 :: v_dual_fmac_f32 v43, 0xb102e308, v38
	v_dual_add_f32 v38, v39, v40 :: v_dual_add_f32 v39, v44, v43
	s_delay_alu instid0(VALU_DEP_1) | instskip(NEXT) | instid1(VALU_DEP_1)
	v_add_f32_e32 v40, v41, v38
	v_add_f32_e32 v42, v39, v40
	s_delay_alu instid0(VALU_DEP_1) | instskip(NEXT) | instid1(VALU_DEP_1)
	v_sub_f32_e32 v45, v42, v39
	v_sub_f32_e32 v46, v42, v45
	;; [unrolled: 1-line block ×3, first 2 shown]
	s_delay_alu instid0(VALU_DEP_1) | instskip(SKIP_1) | instid1(VALU_DEP_1)
	v_sub_f32_e32 v38, v38, v41
	v_sub_f32_e32 v44, v39, v44
	v_dual_sub_f32 v40, v40, v45 :: v_dual_sub_f32 v43, v43, v44
	s_delay_alu instid0(VALU_DEP_1) | instskip(SKIP_1) | instid1(VALU_DEP_1)
	v_add_f32_e32 v41, v43, v38
	v_sub_f32_e32 v39, v39, v46
	v_add_f32_e32 v39, v40, v39
	s_delay_alu instid0(VALU_DEP_3) | instskip(NEXT) | instid1(VALU_DEP_1)
	v_sub_f32_e32 v40, v41, v43
	v_dual_sub_f32 v38, v38, v40 :: v_dual_add_f32 v39, v41, v39
	s_delay_alu instid0(VALU_DEP_1) | instskip(NEXT) | instid1(VALU_DEP_1)
	v_dual_sub_f32 v41, v41, v40 :: v_dual_add_f32 v44, v42, v39
	v_dual_sub_f32 v40, v44, v42 :: v_dual_sub_f32 v41, v43, v41
	s_delay_alu instid0(VALU_DEP_1) | instskip(NEXT) | instid1(VALU_DEP_1)
	v_dual_sub_f32 v39, v39, v40 :: v_dual_add_f32 v38, v38, v41
	v_add_f32_e32 v38, v38, v39
	s_delay_alu instid0(VALU_DEP_1) | instskip(NEXT) | instid1(VALU_DEP_1)
	v_add_f32_e32 v38, v44, v38
	v_cndmask_b32_e32 v38, v38, v34, vcc_lo
	v_cmp_ngt_f32_e32 vcc_lo, -1.0, v34
	s_delay_alu instid0(VALU_DEP_2) | instskip(SKIP_1) | instid1(VALU_DEP_2)
	v_cndmask_b32_e32 v38, 0x7fc00000, v38, vcc_lo
	v_cmp_neq_f32_e32 vcc_lo, -1.0, v34
	v_cndmask_b32_e32 v38, 0xff800000, v38, vcc_lo
	v_cmp_gt_f32_e64 vcc_lo, 0x33800000, |v34|
	s_delay_alu instid0(VALU_DEP_2)
	v_cndmask_b32_e32 v34, v38, v34, vcc_lo
.LBB44_430:                             ;   in Loop: Header=BB44_401 Depth=1
	s_and_not1_saveexec_b32 s38, s38
	s_cbranch_execz .LBB44_432
; %bb.431:                              ;   in Loop: Header=BB44_401 Depth=1
	v_sub_f32_e64 v34, 1.0, |v10|
	s_delay_alu instid0(VALU_DEP_1) | instskip(NEXT) | instid1(VALU_DEP_1)
	v_mul_f32_e32 v34, v34, v33
	v_mul_f32_e32 v38, 0x4f800000, v34
	v_cmp_gt_f32_e32 vcc_lo, 0xf800000, v34
	s_delay_alu instid0(VALU_DEP_2) | instskip(NEXT) | instid1(VALU_DEP_1)
	v_cndmask_b32_e32 v34, v34, v38, vcc_lo
	v_sqrt_f32_e32 v38, v34
	s_waitcnt_depctr 0xfff
	v_add_nc_u32_e32 v39, -1, v38
	v_add_nc_u32_e32 v40, 1, v38
	s_delay_alu instid0(VALU_DEP_2) | instskip(NEXT) | instid1(VALU_DEP_2)
	v_fma_f32 v41, -v39, v38, v34
	v_fma_f32 v42, -v40, v38, v34
	s_delay_alu instid0(VALU_DEP_2) | instskip(NEXT) | instid1(VALU_DEP_1)
	v_cmp_ge_f32_e64 s7, 0, v41
	v_cndmask_b32_e64 v38, v38, v39, s7
	s_delay_alu instid0(VALU_DEP_3) | instskip(NEXT) | instid1(VALU_DEP_1)
	v_cmp_lt_f32_e64 s7, 0, v42
	v_cndmask_b32_e64 v38, v38, v40, s7
	s_delay_alu instid0(VALU_DEP_1) | instskip(NEXT) | instid1(VALU_DEP_1)
	v_mul_f32_e32 v39, 0x37800000, v38
	v_cndmask_b32_e32 v38, v38, v39, vcc_lo
	v_and_b32_e32 v39, 0x7fffffff, v11
	v_cmp_class_f32_e64 vcc_lo, v34, 0x260
	s_delay_alu instid0(VALU_DEP_3) | instskip(NEXT) | instid1(VALU_DEP_1)
	v_cndmask_b32_e32 v34, v38, v34, vcc_lo
	v_div_scale_f32 v38, null, v34, v34, v39
	v_div_scale_f32 v39, vcc_lo, v39, v34, v39
	s_delay_alu instid0(VALU_DEP_2) | instskip(SKIP_2) | instid1(VALU_DEP_1)
	v_rcp_f32_e32 v40, v38
	s_waitcnt_depctr 0xfff
	v_fma_f32 v41, -v38, v40, 1.0
	v_fmac_f32_e32 v40, v41, v40
	s_delay_alu instid0(VALU_DEP_1) | instskip(NEXT) | instid1(VALU_DEP_1)
	v_mul_f32_e32 v41, v39, v40
	v_fma_f32 v42, -v38, v41, v39
	s_delay_alu instid0(VALU_DEP_1) | instskip(NEXT) | instid1(VALU_DEP_1)
	v_fmac_f32_e32 v41, v42, v40
	v_fma_f32 v38, -v38, v41, v39
	s_delay_alu instid0(VALU_DEP_1) | instskip(NEXT) | instid1(VALU_DEP_1)
	v_div_fmas_f32 v38, v38, v40, v41
	v_div_fixup_f32 v34, v38, v34, |v11|
.LBB44_432:                             ;   in Loop: Header=BB44_401 Depth=1
	s_or_b32 exec_lo, exec_lo, s38
.LBB44_433:                             ;   in Loop: Header=BB44_401 Depth=1
	s_delay_alu instid0(SALU_CYCLE_1)
	s_or_b32 exec_lo, exec_lo, s37
.LBB44_434:                             ;   in Loop: Header=BB44_401 Depth=1
	s_and_not1_saveexec_b32 s36, s36
	s_cbranch_execz .LBB44_436
; %bb.435:                              ;   in Loop: Header=BB44_401 Depth=1
	v_mul_f32_e64 v34, 0x4f800000, |v11|
	v_cmp_gt_f32_e64 vcc_lo, 0xf800000, |v11|
	s_delay_alu instid0(VALU_DEP_1) | instskip(NEXT) | instid1(VALU_DEP_1)
	v_cndmask_b32_e64 v34, |v11|, v34, vcc_lo
	v_sqrt_f32_e32 v38, v34
	s_waitcnt_depctr 0xfff
	v_add_nc_u32_e32 v39, -1, v38
	v_add_nc_u32_e32 v40, 1, v38
	s_delay_alu instid0(VALU_DEP_2) | instskip(NEXT) | instid1(VALU_DEP_2)
	v_fma_f32 v41, -v39, v38, v34
	v_fma_f32 v42, -v40, v38, v34
	s_delay_alu instid0(VALU_DEP_2) | instskip(NEXT) | instid1(VALU_DEP_1)
	v_cmp_ge_f32_e64 s7, 0, v41
	v_cndmask_b32_e64 v38, v38, v39, s7
	s_delay_alu instid0(VALU_DEP_3) | instskip(NEXT) | instid1(VALU_DEP_1)
	v_cmp_lt_f32_e64 s7, 0, v42
	v_cndmask_b32_e64 v38, v38, v40, s7
	s_delay_alu instid0(VALU_DEP_1) | instskip(NEXT) | instid1(VALU_DEP_1)
	v_mul_f32_e32 v39, 0x37800000, v38
	v_cndmask_b32_e32 v38, v38, v39, vcc_lo
	v_cmp_class_f32_e64 vcc_lo, v34, 0x260
	s_delay_alu instid0(VALU_DEP_2)
	v_cndmask_b32_e32 v34, v38, v34, vcc_lo
.LBB44_436:                             ;   in Loop: Header=BB44_401 Depth=1
	s_or_b32 exec_lo, exec_lo, s36
.LBB44_437:                             ;   in Loop: Header=BB44_401 Depth=1
	s_delay_alu instid0(SALU_CYCLE_1) | instskip(NEXT) | instid1(SALU_CYCLE_1)
	s_or_b32 exec_lo, exec_lo, s8
	s_mov_b32 s36, exec_lo
                                        ; implicit-def: $sgpr7
                                        ; implicit-def: $vgpr38
                                        ; implicit-def: $vgpr40
                                        ; implicit-def: $vgpr39
	v_cmpx_ngt_f32_e64 0x21000000, |v10|
	s_xor_b32 s36, exec_lo, s36
	s_cbranch_execz .LBB44_461
; %bb.438:                              ;   in Loop: Header=BB44_401 Depth=1
	v_and_b32_e32 v39, 0x7fffffff, v10
	s_mov_b32 s7, 0
	s_mov_b32 s37, exec_lo
	s_delay_alu instid0(VALU_DEP_1) | instskip(NEXT) | instid1(VALU_DEP_1)
	v_div_scale_f32 v38, null, v7, v7, v39
	v_rcp_f32_e32 v40, v38
	s_waitcnt_depctr 0xfff
	v_fma_f32 v41, -v38, v40, 1.0
	s_delay_alu instid0(VALU_DEP_1) | instskip(SKIP_1) | instid1(VALU_DEP_1)
	v_fmac_f32_e32 v40, v41, v40
	v_div_scale_f32 v41, vcc_lo, v39, v7, v39
	v_mul_f32_e32 v42, v41, v40
	s_delay_alu instid0(VALU_DEP_1) | instskip(NEXT) | instid1(VALU_DEP_1)
	v_fma_f32 v43, -v38, v42, v41
	v_fmac_f32_e32 v42, v43, v40
	s_delay_alu instid0(VALU_DEP_1) | instskip(NEXT) | instid1(VALU_DEP_1)
	v_fma_f32 v38, -v38, v42, v41
	v_div_fmas_f32 v38, v38, v40, v42
                                        ; implicit-def: $vgpr40
	s_delay_alu instid0(VALU_DEP_1) | instskip(NEXT) | instid1(VALU_DEP_1)
	v_div_fixup_f32 v38, v38, v7, |v10|
	v_cmpx_lt_f32_e32 0x3f244674, v38
	s_cbranch_execz .LBB44_460
; %bb.439:                              ;   in Loop: Header=BB44_401 Depth=1
	v_cmp_neq_f32_e64 s7, |v10|, 1.0
	v_cmp_ngt_f32_e64 s8, 0x30800000, |v11|
                                        ; implicit-def: $sgpr38
                                        ; implicit-def: $vgpr40
	s_delay_alu instid0(VALU_DEP_1) | instskip(NEXT) | instid1(SALU_CYCLE_1)
	s_or_b32 s7, s8, s7
	s_and_saveexec_b32 s8, s7
	s_delay_alu instid0(SALU_CYCLE_1)
	s_xor_b32 s8, exec_lo, s8
	s_cbranch_execz .LBB44_457
; %bb.440:                              ;   in Loop: Header=BB44_401 Depth=1
	v_mul_f32_e64 v40, 0x34000000, |v6|
                                        ; implicit-def: $sgpr38
	s_delay_alu instid0(VALU_DEP_1) | instskip(NEXT) | instid1(VALU_DEP_1)
	v_cmp_le_f32_e64 s7, v40, |v11|
                                        ; implicit-def: $vgpr40
	s_and_saveexec_b32 s39, s7
	s_delay_alu instid0(SALU_CYCLE_1)
	s_xor_b32 s39, exec_lo, s39
	s_cbranch_execz .LBB44_450
; %bb.441:                              ;   in Loop: Header=BB44_401 Depth=1
	v_mov_b32_e32 v40, v36
	s_mov_b32 s7, exec_lo
	v_cmpx_neq_f32_e32 0, v33
	s_cbranch_execz .LBB44_443
; %bb.442:                              ;   in Loop: Header=BB44_401 Depth=1
	v_dual_mul_f32 v40, v11, v11 :: v_dual_add_f32 v33, v33, v37
	s_delay_alu instid0(VALU_DEP_1) | instskip(NEXT) | instid1(VALU_DEP_1)
	v_div_scale_f32 v37, null, v33, v33, v40
	v_rcp_f32_e32 v41, v37
	s_waitcnt_depctr 0xfff
	v_fma_f32 v42, -v37, v41, 1.0
	s_delay_alu instid0(VALU_DEP_1) | instskip(SKIP_1) | instid1(VALU_DEP_1)
	v_fmac_f32_e32 v41, v42, v41
	v_div_scale_f32 v42, vcc_lo, v40, v33, v40
	v_mul_f32_e32 v43, v42, v41
	s_delay_alu instid0(VALU_DEP_1) | instskip(NEXT) | instid1(VALU_DEP_1)
	v_fma_f32 v44, -v37, v43, v42
	v_fmac_f32_e32 v43, v44, v41
	s_delay_alu instid0(VALU_DEP_1) | instskip(NEXT) | instid1(VALU_DEP_1)
	v_fma_f32 v37, -v37, v43, v42
	v_div_fmas_f32 v37, v37, v41, v43
	s_delay_alu instid0(VALU_DEP_1)
	v_div_fixup_f32 v40, v37, v33, v40
.LBB44_443:                             ;   in Loop: Header=BB44_401 Depth=1
	s_or_b32 exec_lo, exec_lo, s7
	s_delay_alu instid0(SALU_CYCLE_1)
	s_mov_b32 s7, exec_lo
	v_cmpx_ngt_f32_e32 0, v6
	s_xor_b32 s7, exec_lo, s7
	s_cbranch_execz .LBB44_447
; %bb.444:                              ;   in Loop: Header=BB44_401 Depth=1
	s_mov_b32 s38, exec_lo
	v_cmpx_neq_f32_e32 0, v6
	s_cbranch_execz .LBB44_446
; %bb.445:                              ;   in Loop: Header=BB44_401 Depth=1
	v_mul_f32_e32 v11, v11, v11
	v_add_f32_e32 v6, v6, v35
	s_delay_alu instid0(VALU_DEP_1) | instskip(NEXT) | instid1(VALU_DEP_1)
	v_div_scale_f32 v33, null, v6, v6, v11
	v_rcp_f32_e32 v35, v33
	s_waitcnt_depctr 0xfff
	v_fma_f32 v36, -v33, v35, 1.0
	s_delay_alu instid0(VALU_DEP_1) | instskip(SKIP_1) | instid1(VALU_DEP_1)
	v_fmac_f32_e32 v35, v36, v35
	v_div_scale_f32 v36, vcc_lo, v11, v6, v11
	v_mul_f32_e32 v37, v36, v35
	s_delay_alu instid0(VALU_DEP_1) | instskip(NEXT) | instid1(VALU_DEP_1)
	v_fma_f32 v41, -v33, v37, v36
	v_fmac_f32_e32 v37, v41, v35
	s_delay_alu instid0(VALU_DEP_1) | instskip(NEXT) | instid1(VALU_DEP_1)
	v_fma_f32 v33, -v33, v37, v36
	v_div_fmas_f32 v33, v33, v35, v37
	s_delay_alu instid0(VALU_DEP_1)
	v_div_fixup_f32 v36, v33, v6, v11
.LBB44_446:                             ;   in Loop: Header=BB44_401 Depth=1
	s_or_b32 exec_lo, exec_lo, s38
                                        ; implicit-def: $vgpr35
                                        ; implicit-def: $vgpr6
.LBB44_447:                             ;   in Loop: Header=BB44_401 Depth=1
	s_and_not1_saveexec_b32 s7, s7
; %bb.448:                              ;   in Loop: Header=BB44_401 Depth=1
	v_sub_f32_e32 v36, v35, v6
; %bb.449:                              ;   in Loop: Header=BB44_401 Depth=1
	s_or_b32 exec_lo, exec_lo, s7
	s_delay_alu instid0(VALU_DEP_1) | instskip(SKIP_2) | instid1(VALU_DEP_2)
	v_mul_f32_e32 v6, 0.5, v36
	v_add_f32_e64 v7, |v10|, v7
	s_mov_b32 s38, -1
	v_fmac_f32_e32 v6, 0.5, v40
	s_delay_alu instid0(VALU_DEP_1) | instskip(NEXT) | instid1(VALU_DEP_1)
	v_mul_f32_e32 v6, v7, v6
	v_mul_f32_e32 v7, 0x4f800000, v6
	v_cmp_gt_f32_e32 vcc_lo, 0xf800000, v6
	s_delay_alu instid0(VALU_DEP_2) | instskip(NEXT) | instid1(VALU_DEP_1)
	v_cndmask_b32_e32 v6, v6, v7, vcc_lo
	v_sqrt_f32_e32 v7, v6
	s_waitcnt_depctr 0xfff
	v_add_nc_u32_e32 v10, -1, v7
	v_add_nc_u32_e32 v11, 1, v7
	s_delay_alu instid0(VALU_DEP_2) | instskip(NEXT) | instid1(VALU_DEP_2)
	v_fma_f32 v33, -v10, v7, v6
	v_fma_f32 v35, -v11, v7, v6
	s_delay_alu instid0(VALU_DEP_2) | instskip(NEXT) | instid1(VALU_DEP_1)
	v_cmp_ge_f32_e64 s7, 0, v33
                                        ; implicit-def: $vgpr33
	v_cndmask_b32_e64 v7, v7, v10, s7
	s_delay_alu instid0(VALU_DEP_3) | instskip(NEXT) | instid1(VALU_DEP_1)
	v_cmp_lt_f32_e64 s7, 0, v35
	v_cndmask_b32_e64 v7, v7, v11, s7
                                        ; implicit-def: $vgpr11
	s_delay_alu instid0(VALU_DEP_1) | instskip(NEXT) | instid1(VALU_DEP_1)
	v_mul_f32_e32 v10, 0x37800000, v7
	v_cndmask_b32_e32 v7, v7, v10, vcc_lo
	v_cmp_class_f32_e64 vcc_lo, v6, 0x260
	s_delay_alu instid0(VALU_DEP_2)
	v_cndmask_b32_e32 v40, v7, v6, vcc_lo
                                        ; implicit-def: $vgpr6
.LBB44_450:                             ;   in Loop: Header=BB44_401 Depth=1
	s_and_not1_saveexec_b32 s39, s39
	s_cbranch_execz .LBB44_456
; %bb.451:                              ;   in Loop: Header=BB44_401 Depth=1
	s_mov_b32 s41, exec_lo
                                        ; implicit-def: $vgpr40
                                        ; implicit-def: $sgpr40
	v_cmpx_ngt_f32_e64 |v10|, 1.0
	s_xor_b32 s41, exec_lo, s41
	s_cbranch_execz .LBB44_453
; %bb.452:                              ;   in Loop: Header=BB44_401 Depth=1
	v_sub_f32_e64 v6, 1.0, |v10|
	s_mov_b32 s40, -1
	s_delay_alu instid0(VALU_DEP_1) | instskip(NEXT) | instid1(VALU_DEP_1)
	v_mul_f32_e32 v6, v6, v33
	v_mul_f32_e32 v7, 0x4f800000, v6
	v_cmp_gt_f32_e32 vcc_lo, 0xf800000, v6
	s_delay_alu instid0(VALU_DEP_2) | instskip(NEXT) | instid1(VALU_DEP_1)
	v_cndmask_b32_e32 v6, v6, v7, vcc_lo
	v_sqrt_f32_e32 v7, v6
	s_waitcnt_depctr 0xfff
	v_add_nc_u32_e32 v10, -1, v7
	v_add_nc_u32_e32 v11, 1, v7
	s_delay_alu instid0(VALU_DEP_2) | instskip(NEXT) | instid1(VALU_DEP_2)
	v_fma_f32 v33, -v10, v7, v6
	v_fma_f32 v35, -v11, v7, v6
	s_delay_alu instid0(VALU_DEP_2) | instskip(NEXT) | instid1(VALU_DEP_1)
	v_cmp_ge_f32_e64 s7, 0, v33
                                        ; implicit-def: $vgpr33
	v_cndmask_b32_e64 v7, v7, v10, s7
	s_delay_alu instid0(VALU_DEP_3) | instskip(NEXT) | instid1(VALU_DEP_1)
	v_cmp_lt_f32_e64 s7, 0, v35
	v_cndmask_b32_e64 v7, v7, v11, s7
                                        ; implicit-def: $vgpr11
	s_delay_alu instid0(VALU_DEP_1) | instskip(NEXT) | instid1(VALU_DEP_1)
	v_mul_f32_e32 v10, 0x37800000, v7
	v_cndmask_b32_e32 v7, v7, v10, vcc_lo
	v_cmp_class_f32_e64 vcc_lo, v6, 0x260
	s_delay_alu instid0(VALU_DEP_2)
	v_cndmask_b32_e32 v40, v7, v6, vcc_lo
                                        ; implicit-def: $vgpr6
.LBB44_453:                             ;   in Loop: Header=BB44_401 Depth=1
	s_and_not1_saveexec_b32 s41, s41
	s_cbranch_execz .LBB44_455
; %bb.454:                              ;   in Loop: Header=BB44_401 Depth=1
	v_mul_f32_e32 v6, v33, v6
	v_mul_f32_e64 v11, 0x57800000, |v11|
	v_mul_f32_e64 v39, 0x57800000, |v10|
	s_or_b32 s40, s40, exec_lo
	s_delay_alu instid0(VALU_DEP_3) | instskip(SKIP_2) | instid1(VALU_DEP_3)
	v_mul_f32_e32 v7, 0x4f800000, v6
	v_cmp_gt_f32_e32 vcc_lo, 0xf800000, v6
	v_mul_f32_e64 v11, |v10|, v11
	v_cndmask_b32_e32 v6, v6, v7, vcc_lo
	s_delay_alu instid0(VALU_DEP_1) | instskip(SKIP_3) | instid1(VALU_DEP_2)
	v_sqrt_f32_e32 v7, v6
	s_waitcnt_depctr 0xfff
	v_add_nc_u32_e32 v33, -1, v7
	v_add_nc_u32_e32 v35, 1, v7
	v_fma_f32 v36, -v33, v7, v6
	s_delay_alu instid0(VALU_DEP_2) | instskip(NEXT) | instid1(VALU_DEP_2)
	v_fma_f32 v37, -v35, v7, v6
	v_cmp_ge_f32_e64 s7, 0, v36
	s_delay_alu instid0(VALU_DEP_1) | instskip(NEXT) | instid1(VALU_DEP_3)
	v_cndmask_b32_e64 v7, v7, v33, s7
	v_cmp_lt_f32_e64 s7, 0, v37
	s_delay_alu instid0(VALU_DEP_1) | instskip(NEXT) | instid1(VALU_DEP_1)
	v_cndmask_b32_e64 v7, v7, v35, s7
	v_mul_f32_e32 v33, 0x37800000, v7
	s_delay_alu instid0(VALU_DEP_1) | instskip(SKIP_1) | instid1(VALU_DEP_2)
	v_cndmask_b32_e32 v7, v7, v33, vcc_lo
	v_cmp_class_f32_e64 vcc_lo, v6, 0x260
	v_cndmask_b32_e32 v6, v7, v6, vcc_lo
	s_delay_alu instid0(VALU_DEP_1) | instskip(SKIP_1) | instid1(VALU_DEP_2)
	v_div_scale_f32 v7, null, v6, v6, v11
	v_div_scale_f32 v36, vcc_lo, v11, v6, v11
	v_rcp_f32_e32 v33, v7
	s_waitcnt_depctr 0xfff
	v_fma_f32 v35, -v7, v33, 1.0
	s_delay_alu instid0(VALU_DEP_1) | instskip(NEXT) | instid1(VALU_DEP_1)
	v_fmac_f32_e32 v33, v35, v33
	v_mul_f32_e32 v35, v36, v33
	s_delay_alu instid0(VALU_DEP_1) | instskip(NEXT) | instid1(VALU_DEP_1)
	v_fma_f32 v37, -v7, v35, v36
	v_fmac_f32_e32 v35, v37, v33
	s_delay_alu instid0(VALU_DEP_1) | instskip(NEXT) | instid1(VALU_DEP_1)
	v_fma_f32 v7, -v7, v35, v36
	v_div_fmas_f32 v7, v7, v33, v35
	s_delay_alu instid0(VALU_DEP_1)
	v_div_fixup_f32 v40, v7, v6, v11
.LBB44_455:                             ;   in Loop: Header=BB44_401 Depth=1
	s_or_b32 exec_lo, exec_lo, s41
	s_delay_alu instid0(SALU_CYCLE_1) | instskip(SKIP_1) | instid1(SALU_CYCLE_1)
	s_and_not1_b32 s7, s38, exec_lo
	s_and_b32 s38, s40, exec_lo
	s_or_b32 s38, s7, s38
.LBB44_456:                             ;   in Loop: Header=BB44_401 Depth=1
	s_or_b32 exec_lo, exec_lo, s39
	s_delay_alu instid0(SALU_CYCLE_1)
	s_and_b32 s38, s38, exec_lo
                                        ; implicit-def: $vgpr11
                                        ; implicit-def: $vgpr7
.LBB44_457:                             ;   in Loop: Header=BB44_401 Depth=1
	s_and_not1_saveexec_b32 s39, s8
	s_cbranch_execz .LBB44_459
; %bb.458:                              ;   in Loop: Header=BB44_401 Depth=1
	v_add_f32_e32 v6, 1.0, v7
	v_mul_f32_e64 v7, 0x4f800000, |v11|
	v_cmp_gt_f32_e64 vcc_lo, 0xf800000, |v11|
	s_or_b32 s38, s38, exec_lo
	s_delay_alu instid0(VALU_DEP_3) | instskip(NEXT) | instid1(VALU_DEP_2)
	v_mul_f32_e32 v6, 0.5, v6
	v_cndmask_b32_e64 v7, |v11|, v7, vcc_lo
	s_delay_alu instid0(VALU_DEP_2) | instskip(SKIP_1) | instid1(VALU_DEP_1)
	v_mul_f32_e32 v10, 0x4f800000, v6
	v_cmp_gt_f32_e64 s7, 0xf800000, v6
	v_cndmask_b32_e64 v6, v6, v10, s7
	s_delay_alu instid0(VALU_DEP_4) | instskip(NEXT) | instid1(VALU_DEP_1)
	v_sqrt_f32_e32 v10, v7
	v_sqrt_f32_e32 v11, v6
	s_waitcnt_depctr 0xfff
	v_add_nc_u32_e32 v33, -1, v10
	v_add_nc_u32_e32 v36, 1, v10
	v_add_nc_u32_e32 v35, -1, v11
	s_delay_alu instid0(VALU_DEP_3) | instskip(SKIP_1) | instid1(VALU_DEP_4)
	v_fma_f32 v37, -v33, v10, v7
	v_add_nc_u32_e32 v39, 1, v11
	v_fma_f32 v41, -v36, v10, v7
	s_delay_alu instid0(VALU_DEP_4) | instskip(NEXT) | instid1(VALU_DEP_4)
	v_fma_f32 v40, -v35, v11, v6
	v_cmp_ge_f32_e64 s8, 0, v37
	s_delay_alu instid0(VALU_DEP_1) | instskip(NEXT) | instid1(VALU_DEP_3)
	v_cndmask_b32_e64 v10, v10, v33, s8
	v_cmp_ge_f32_e64 s8, 0, v40
	v_fma_f32 v33, -v39, v11, v6
	s_delay_alu instid0(VALU_DEP_2) | instskip(SKIP_1) | instid1(VALU_DEP_1)
	v_cndmask_b32_e64 v11, v11, v35, s8
	v_cmp_lt_f32_e64 s8, 0, v41
	v_cndmask_b32_e64 v10, v10, v36, s8
	s_delay_alu instid0(VALU_DEP_4) | instskip(NEXT) | instid1(VALU_DEP_2)
	v_cmp_lt_f32_e64 s8, 0, v33
	v_mul_f32_e32 v33, 0x37800000, v10
	s_delay_alu instid0(VALU_DEP_2) | instskip(NEXT) | instid1(VALU_DEP_2)
	v_cndmask_b32_e64 v11, v11, v39, s8
	v_dual_mov_b32 v39, 1.0 :: v_dual_cndmask_b32 v10, v10, v33
	s_delay_alu instid0(VALU_DEP_2) | instskip(SKIP_1) | instid1(VALU_DEP_2)
	v_mul_f32_e32 v35, 0x37800000, v11
	v_cmp_class_f32_e64 vcc_lo, v7, 0x260
	v_cndmask_b32_e64 v11, v11, v35, s7
	s_delay_alu instid0(VALU_DEP_4) | instskip(SKIP_1) | instid1(VALU_DEP_3)
	v_cndmask_b32_e32 v7, v10, v7, vcc_lo
	v_cmp_class_f32_e64 vcc_lo, v6, 0x260
	v_cndmask_b32_e32 v6, v11, v6, vcc_lo
	s_delay_alu instid0(VALU_DEP_1)
	v_mul_f32_e32 v40, v7, v6
.LBB44_459:                             ;   in Loop: Header=BB44_401 Depth=1
	s_or_b32 exec_lo, exec_lo, s39
	s_delay_alu instid0(SALU_CYCLE_1)
	s_and_b32 s7, s38, exec_lo
.LBB44_460:                             ;   in Loop: Header=BB44_401 Depth=1
	s_or_b32 exec_lo, exec_lo, s37
	s_delay_alu instid0(SALU_CYCLE_1)
	s_and_b32 s7, s7, exec_lo
                                        ; implicit-def: $vgpr7
                                        ; implicit-def: $vgpr10
.LBB44_461:                             ;   in Loop: Header=BB44_401 Depth=1
	s_and_not1_saveexec_b32 s8, s36
; %bb.462:                              ;   in Loop: Header=BB44_401 Depth=1
	v_mul_f32_e32 v40, 0x4b800000, v7
	v_mul_f32_e64 v39, 0x4b800000, |v10|
	s_or_b32 s7, s7, exec_lo
                                        ; implicit-def: $vgpr38
; %bb.463:                              ;   in Loop: Header=BB44_401 Depth=1
	s_or_b32 exec_lo, exec_lo, s8
	s_xor_b32 s7, s7, -1
                                        ; implicit-def: $vgpr6
	s_delay_alu instid0(SALU_CYCLE_1) | instskip(NEXT) | instid1(SALU_CYCLE_1)
	s_and_saveexec_b32 s8, s7
	s_xor_b32 s8, exec_lo, s8
	s_cbranch_execz .LBB44_469
; %bb.464:                              ;   in Loop: Header=BB44_401 Depth=1
                                        ; implicit-def: $vgpr6
	s_and_saveexec_b32 s7, s6
	s_delay_alu instid0(SALU_CYCLE_1)
	s_xor_b32 s7, exec_lo, s7
	s_cbranch_execz .LBB44_466
; %bb.465:                              ;   in Loop: Header=BB44_401 Depth=1
	v_fma_f32 v6, |v38|, -0.5, 0.5
	v_mul_f32_e32 v7, v38, v38
	v_cmp_gt_f32_e64 vcc_lo, |v38|, 0.5
	s_delay_alu instid0(VALU_DEP_2) | instskip(NEXT) | instid1(VALU_DEP_1)
	v_cndmask_b32_e32 v6, v7, v6, vcc_lo
	v_fmaak_f32 v7, s30, v6, 0x3c5fc5da
	v_sqrt_f32_e32 v10, v6
	s_delay_alu instid0(VALU_DEP_1) | instskip(NEXT) | instid1(VALU_DEP_1)
	v_fmaak_f32 v7, v6, v7, 0x3d034c3c
	v_fmaak_f32 v7, v6, v7, 0x3d3641b1
	s_delay_alu instid0(VALU_DEP_1) | instskip(NEXT) | instid1(VALU_DEP_1)
	v_fmaak_f32 v7, v6, v7, 0x3d999bc8
	v_fmaak_f32 v7, v6, v7, 0x3e2aaaac
	s_delay_alu instid0(VALU_DEP_1) | instskip(NEXT) | instid1(VALU_DEP_1)
	v_mul_f32_e32 v6, v6, v7
	v_fmac_f32_e32 v38, v38, v6
	s_delay_alu instid0(VALU_DEP_1) | instskip(NEXT) | instid1(TRANS32_DEP_1)
	v_sub_f32_e32 v7, 0x3fc90fdb, v38
	v_fmac_f32_e32 v10, v10, v6
                                        ; implicit-def: $vgpr38
	s_delay_alu instid0(VALU_DEP_1) | instskip(NEXT) | instid1(VALU_DEP_1)
	v_add_f32_e32 v6, v10, v10
	v_cndmask_b32_e32 v6, v7, v6, vcc_lo
.LBB44_466:                             ;   in Loop: Header=BB44_401 Depth=1
	s_and_not1_saveexec_b32 s36, s7
	s_cbranch_execz .LBB44_468
; %bb.467:                              ;   in Loop: Header=BB44_401 Depth=1
	v_fma_f32 v6, |v38|, -0.5, 0.5
	v_mul_f32_e32 v7, v38, v38
	v_cmp_gt_f32_e64 vcc_lo, |v38|, 0.5
	v_cmp_lt_f32_e64 s7, 0, v38
	s_delay_alu instid0(VALU_DEP_3) | instskip(NEXT) | instid1(VALU_DEP_1)
	v_cndmask_b32_e32 v6, v7, v6, vcc_lo
	v_fmaak_f32 v7, s30, v6, 0x3c5fc5da
	v_sqrt_f32_e32 v10, v6
	s_delay_alu instid0(VALU_DEP_1) | instskip(NEXT) | instid1(VALU_DEP_1)
	v_fmaak_f32 v7, v6, v7, 0x3d034c3c
	v_fmaak_f32 v7, v6, v7, 0x3d3641b1
	s_delay_alu instid0(VALU_DEP_1) | instskip(NEXT) | instid1(VALU_DEP_1)
	v_fmaak_f32 v7, v6, v7, 0x3d999bc8
	v_fmaak_f32 v7, v6, v7, 0x3e2aaaac
	s_delay_alu instid0(VALU_DEP_1) | instskip(SKIP_3) | instid1(VALU_DEP_2)
	v_mul_f32_e32 v6, v6, v7
	s_waitcnt_depctr 0xfff
	v_fmac_f32_e32 v10, v10, v6
	v_fma_f32 v6, -v38, v6, -v38
	v_add_f32_e32 v7, v10, v10
	s_delay_alu instid0(VALU_DEP_2) | instskip(NEXT) | instid1(VALU_DEP_2)
	v_sub_f32_e32 v6, 0x3fc90fdb, v6
	v_sub_f32_e32 v10, 0x40490fdb, v7
	s_delay_alu instid0(VALU_DEP_1) | instskip(NEXT) | instid1(VALU_DEP_1)
	v_cndmask_b32_e64 v7, v7, v10, s7
	v_cndmask_b32_e32 v6, v6, v7, vcc_lo
.LBB44_468:                             ;   in Loop: Header=BB44_401 Depth=1
	s_or_b32 exec_lo, exec_lo, s36
                                        ; implicit-def: $vgpr40
                                        ; implicit-def: $vgpr39
.LBB44_469:                             ;   in Loop: Header=BB44_401 Depth=1
	s_and_not1_saveexec_b32 s8, s8
	s_cbranch_execz .LBB44_475
; %bb.470:                              ;   in Loop: Header=BB44_401 Depth=1
                                        ; implicit-def: $vgpr6
	s_and_saveexec_b32 s7, s6
	s_delay_alu instid0(SALU_CYCLE_1)
	s_xor_b32 s7, exec_lo, s7
	s_cbranch_execz .LBB44_472
; %bb.471:                              ;   in Loop: Header=BB44_401 Depth=1
	v_max_f32_e64 v6, |v40|, |v40|
	v_max_f32_e32 v7, v39, v39
	v_cmp_gt_f32_e64 vcc_lo, |v40|, v39
	v_cmp_neq_f32_e64 s6, 0, v40
	v_cmp_class_f32_e64 s36, v40, 0x204
	s_delay_alu instid0(VALU_DEP_4) | instskip(SKIP_1) | instid1(VALU_DEP_2)
	v_max_f32_e32 v10, v7, v6
	v_min_f32_e32 v6, v7, v6
	v_frexp_mant_f32_e32 v11, v10
	v_frexp_exp_i32_f32_e32 v10, v10
	s_delay_alu instid0(VALU_DEP_2) | instskip(NEXT) | instid1(VALU_DEP_3)
	v_rcp_f32_e32 v7, v11
	v_frexp_mant_f32_e32 v11, v6
	v_frexp_exp_i32_f32_e32 v6, v6
	s_delay_alu instid0(VALU_DEP_1) | instskip(SKIP_2) | instid1(VALU_DEP_1)
	v_sub_nc_u32_e32 v6, v6, v10
	s_waitcnt_depctr 0xfff
	v_mul_f32_e32 v7, v11, v7
	v_ldexp_f32 v6, v7, v6
	s_delay_alu instid0(VALU_DEP_1) | instskip(NEXT) | instid1(VALU_DEP_1)
	v_mul_f32_e32 v7, v6, v6
	v_fmaak_f32 v10, s31, v7, 0xbc7a590c
	s_delay_alu instid0(VALU_DEP_1) | instskip(NEXT) | instid1(VALU_DEP_1)
	v_fmaak_f32 v10, v7, v10, 0x3d29fb3f
	v_fmaak_f32 v10, v7, v10, 0xbd97d4d7
	s_delay_alu instid0(VALU_DEP_1) | instskip(NEXT) | instid1(VALU_DEP_1)
	v_fmaak_f32 v10, v7, v10, 0x3dd931b2
	;; [unrolled: 3-line block ×3, first 2 shown]
	v_fmaak_f32 v10, v7, v10, 0xbeaaaa62
	s_delay_alu instid0(VALU_DEP_1) | instskip(NEXT) | instid1(VALU_DEP_1)
	v_mul_f32_e32 v7, v7, v10
	v_fmac_f32_e32 v6, v6, v7
	s_delay_alu instid0(VALU_DEP_1) | instskip(NEXT) | instid1(VALU_DEP_1)
	v_sub_f32_e32 v7, 0x3fc90fdb, v6
	v_cndmask_b32_e32 v6, v6, v7, vcc_lo
	v_cmp_eq_f32_e32 vcc_lo, 0x7f800000, v39
	s_delay_alu instid0(VALU_DEP_2) | instskip(SKIP_2) | instid1(VALU_DEP_2)
	v_cndmask_b32_e64 v6, 0, v6, s6
	s_and_b32 s6, vcc_lo, s36
	v_cmp_o_f32_e32 vcc_lo, v39, v40
                                        ; implicit-def: $vgpr39
	v_cndmask_b32_e64 v6, v6, 0x3f490fdb, s6
	s_delay_alu instid0(VALU_DEP_1) | instskip(NEXT) | instid1(VALU_DEP_1)
	v_cndmask_b32_e32 v6, 0x7fc00000, v6, vcc_lo
	v_bfi_b32 v6, 0x7fffffff, v6, v40
                                        ; implicit-def: $vgpr40
.LBB44_472:                             ;   in Loop: Header=BB44_401 Depth=1
	s_and_not1_saveexec_b32 s36, s7
	s_cbranch_execz .LBB44_474
; %bb.473:                              ;   in Loop: Header=BB44_401 Depth=1
	v_max_f32_e64 v6, |v40|, |v40|
	v_max_f32_e32 v7, v39, v39
	v_cmp_gt_f32_e64 vcc_lo, |v40|, v39
	v_cmp_neq_f32_e64 s7, 0, v40
	v_cmp_eq_f32_e64 s6, 0x7f800000, v39
	v_cmp_class_f32_e64 s37, v40, 0x204
	v_max_f32_e32 v10, v7, v6
	v_min_f32_e32 v6, v7, v6
	s_delay_alu instid0(VALU_DEP_2) | instskip(SKIP_1) | instid1(VALU_DEP_2)
	v_frexp_mant_f32_e32 v11, v10
	v_frexp_exp_i32_f32_e32 v10, v10
	v_rcp_f32_e32 v7, v11
	s_delay_alu instid0(VALU_DEP_3) | instskip(SKIP_1) | instid1(VALU_DEP_2)
	v_frexp_exp_i32_f32_e32 v11, v6
	v_frexp_mant_f32_e32 v6, v6
	v_sub_nc_u32_e32 v10, v11, v10
	s_waitcnt_depctr 0xfff
	v_mul_f32_e32 v6, v6, v7
	s_delay_alu instid0(VALU_DEP_1) | instskip(NEXT) | instid1(VALU_DEP_1)
	v_ldexp_f32 v6, v6, v10
	v_mul_f32_e32 v7, v6, v6
	s_delay_alu instid0(VALU_DEP_1) | instskip(NEXT) | instid1(VALU_DEP_1)
	v_fmaak_f32 v10, s31, v7, 0xbc7a590c
	v_fmaak_f32 v10, v7, v10, 0x3d29fb3f
	s_delay_alu instid0(VALU_DEP_1) | instskip(NEXT) | instid1(VALU_DEP_1)
	v_fmaak_f32 v10, v7, v10, 0xbd97d4d7
	v_fmaak_f32 v10, v7, v10, 0x3dd931b2
	;; [unrolled: 3-line block ×3, first 2 shown]
	s_delay_alu instid0(VALU_DEP_1) | instskip(NEXT) | instid1(VALU_DEP_1)
	v_fmaak_f32 v10, v7, v10, 0xbeaaaa62
	v_mul_f32_e32 v7, v7, v10
	s_delay_alu instid0(VALU_DEP_1) | instskip(NEXT) | instid1(VALU_DEP_1)
	v_fmac_f32_e32 v6, v6, v7
	v_sub_f32_e32 v7, 0x3fc90fdb, v6
	s_delay_alu instid0(VALU_DEP_1) | instskip(SKIP_1) | instid1(VALU_DEP_2)
	v_cndmask_b32_e32 v6, v6, v7, vcc_lo
	v_cmp_lt_f32_e32 vcc_lo, 0, v39
	v_sub_f32_e32 v7, 0x40490fdb, v6
	s_delay_alu instid0(VALU_DEP_1) | instskip(SKIP_2) | instid1(VALU_DEP_2)
	v_cndmask_b32_e32 v6, v6, v7, vcc_lo
	v_cndmask_b32_e32 v7, 0x3f490fdb, v32, vcc_lo
	s_and_b32 vcc_lo, s6, s37
	v_cndmask_b32_e64 v6, 0x40490fdb, v6, s7
	s_delay_alu instid0(VALU_DEP_1) | instskip(SKIP_1) | instid1(VALU_DEP_2)
	v_cndmask_b32_e32 v6, v6, v7, vcc_lo
	v_cmp_o_f32_e64 vcc_lo, v40, -v39
	v_cndmask_b32_e32 v6, 0x7fc00000, v6, vcc_lo
	s_delay_alu instid0(VALU_DEP_1)
	v_bfi_b32 v6, 0x7fffffff, v6, v40
.LBB44_474:                             ;   in Loop: Header=BB44_401 Depth=1
	s_or_b32 exec_lo, exec_lo, s36
.LBB44_475:                             ;   in Loop: Header=BB44_401 Depth=1
	s_delay_alu instid0(SALU_CYCLE_1)
	s_or_b32 exec_lo, exec_lo, s8
	v_cndmask_b32_e64 v7, -v34, v34, s4
                                        ; implicit-def: $vgpr10
.LBB44_476:                             ;   in Loop: Header=BB44_401 Depth=1
	s_and_not1_saveexec_b32 s6, s35
	s_cbranch_execz .LBB44_478
; %bb.477:                              ;   in Loop: Header=BB44_401 Depth=1
	s_waitcnt vmcnt(0) lgkmcnt(0)
	v_dual_mov_b32 v6, s16 :: v_dual_mov_b32 v7, s17
	flat_load_b32 v6, v[6:7] glc dlc
	s_waitcnt vmcnt(0)
	v_xor_b32_e32 v7, 0x80000000, v11
	s_waitcnt lgkmcnt(0)
	v_sub_f32_e32 v6, v6, v10
	s_delay_alu instid0(VALU_DEP_1)
	v_add_f32_e32 v6, 0x3fc90fdb, v6
.LBB44_478:                             ;   in Loop: Header=BB44_401 Depth=1
	s_or_b32 exec_lo, exec_lo, s6
                                        ; implicit-def: $vgpr11
.LBB44_479:                             ;   in Loop: Header=BB44_401 Depth=1
	s_and_not1_saveexec_b32 s6, s34
	s_cbranch_execz .LBB44_481
; %bb.480:                              ;   in Loop: Header=BB44_401 Depth=1
	v_xor_b32_e32 v7, 0x80000000, v11
	s_waitcnt vmcnt(0) lgkmcnt(0)
	v_mov_b32_e32 v6, 0
.LBB44_481:                             ;   in Loop: Header=BB44_401 Depth=1
	s_or_b32 exec_lo, exec_lo, s6
                                        ; implicit-def: $vgpr10
                                        ; implicit-def: $vgpr35
                                        ; implicit-def: $vgpr34
                                        ; implicit-def: $vgpr33
.LBB44_482:                             ;   in Loop: Header=BB44_401 Depth=1
	s_and_not1_saveexec_b32 s8, s33
	s_cbranch_execz .LBB44_492
; %bb.483:                              ;   in Loop: Header=BB44_401 Depth=1
	v_cmp_lt_f32_e64 s6, |v10|, |v11|
                                        ; implicit-def: $vgpr7
                                        ; implicit-def: $vgpr6
	s_mov_b32 s7, exec_lo
	s_delay_alu instid0(VALU_DEP_1) | instskip(NEXT) | instid1(VALU_DEP_1)
	v_cndmask_b32_e64 v36, |v10|, |v11|, s6
	v_cmpx_nlt_f32_e32 0x7effffff, v36
	s_xor_b32 s33, exec_lo, s7
	s_cbranch_execz .LBB44_489
; %bb.484:                              ;   in Loop: Header=BB44_401 Depth=1
	v_cndmask_b32_e64 v37, |v11|, |v10|, s6
	v_cmp_nlt_f32_e32 vcc_lo, 0x5e000000, v36
                                        ; implicit-def: $vgpr7
                                        ; implicit-def: $vgpr6
	s_delay_alu instid0(VALU_DEP_2) | instskip(NEXT) | instid1(VALU_DEP_1)
	v_cmp_ngt_f32_e64 s7, 0x20000000, v37
	s_and_b32 s7, vcc_lo, s7
	s_delay_alu instid0(SALU_CYCLE_1) | instskip(NEXT) | instid1(SALU_CYCLE_1)
	s_and_saveexec_b32 s34, s7
	s_xor_b32 s34, exec_lo, s34
	s_cbranch_execz .LBB44_486
; %bb.485:                              ;   in Loop: Header=BB44_401 Depth=1
	s_waitcnt vmcnt(0) lgkmcnt(0)
	v_frexp_mant_f32_e32 v6, v33
	v_dual_min_f32 v7, v35, v34 :: v_dual_mul_f32 v34, v37, v37
	v_frexp_exp_i32_f32_e32 v33, v33
	s_delay_alu instid0(VALU_DEP_3) | instskip(NEXT) | instid1(VALU_DEP_2)
	v_rcp_f32_e32 v6, v6
	v_frexp_mant_f32_e32 v35, v7
	v_frexp_exp_i32_f32_e32 v7, v7
	s_delay_alu instid0(VALU_DEP_1) | instskip(SKIP_2) | instid1(VALU_DEP_1)
	v_sub_nc_u32_e32 v7, v7, v33
	s_waitcnt_depctr 0xfff
	v_mul_f32_e32 v6, v35, v6
	v_ldexp_f32 v6, v6, v7
	v_fmac_f32_e32 v34, v36, v36
	s_delay_alu instid0(VALU_DEP_1) | instskip(SKIP_1) | instid1(VALU_DEP_1)
	v_cmp_gt_f32_e32 vcc_lo, 0x800000, v34
	v_cndmask_b32_e64 v33, 1.0, 0x4f800000, vcc_lo
	v_mul_f32_e32 v7, v34, v33
	v_mul_f32_e32 v33, v6, v6
	s_delay_alu instid0(VALU_DEP_2) | instskip(SKIP_3) | instid1(VALU_DEP_2)
	v_log_f32_e32 v7, v7
	s_waitcnt_depctr 0xfff
	v_mul_f32_e32 v35, 0x3f317217, v7
	v_cmp_gt_f32_e64 s7, 0x7f800000, |v7|
	v_fma_f32 v36, 0x3f317217, v7, -v35
	s_delay_alu instid0(VALU_DEP_1) | instskip(NEXT) | instid1(VALU_DEP_1)
	v_fmac_f32_e32 v36, 0x3377d1cf, v7
	v_dual_fmaak_f32 v34, s31, v33, 0xbc7a590c :: v_dual_add_f32 v35, v35, v36
	s_delay_alu instid0(VALU_DEP_1) | instskip(SKIP_1) | instid1(VALU_DEP_1)
	v_cndmask_b32_e64 v7, v7, v35, s7
	v_cndmask_b32_e64 v35, 0, 0x41b17218, vcc_lo
	v_dual_fmaak_f32 v34, v33, v34, 0x3d29fb3f :: v_dual_sub_f32 v7, v7, v35
	s_delay_alu instid0(VALU_DEP_1) | instskip(NEXT) | instid1(VALU_DEP_1)
	v_fmaak_f32 v34, v33, v34, 0xbd97d4d7
                                        ; implicit-def: $vgpr35
	v_dual_mul_f32 v7, 0.5, v7 :: v_dual_fmaak_f32 v34, v33, v34, 0x3dd931b2
	s_delay_alu instid0(VALU_DEP_1) | instskip(NEXT) | instid1(VALU_DEP_1)
	v_fmaak_f32 v34, v33, v34, 0xbe1160e6
	v_fmaak_f32 v34, v33, v34, 0x3e4cb8bf
	s_delay_alu instid0(VALU_DEP_1) | instskip(NEXT) | instid1(VALU_DEP_1)
	v_fmaak_f32 v34, v33, v34, 0xbeaaaa62
	v_mul_f32_e32 v33, v33, v34
                                        ; implicit-def: $vgpr34
	s_delay_alu instid0(VALU_DEP_1)
	v_fmac_f32_e32 v6, v6, v33
                                        ; implicit-def: $vgpr33
.LBB44_486:                             ;   in Loop: Header=BB44_401 Depth=1
	s_and_not1_saveexec_b32 s7, s34
	s_cbranch_execz .LBB44_488
; %bb.487:                              ;   in Loop: Header=BB44_401 Depth=1
	s_waitcnt vmcnt(0) lgkmcnt(0)
	v_cvt_f64_f32_e32 v[6:7], v33
	v_min_f32_e32 v34, v35, v34
	v_cmp_neq_f32_e32 vcc_lo, 0x7f800000, v33
	v_frexp_exp_i32_f32_e32 v35, v33
	s_delay_alu instid0(VALU_DEP_3) | instskip(SKIP_1) | instid1(VALU_DEP_2)
	v_frexp_exp_i32_f32_e32 v37, v34
	v_frexp_mant_f32_e32 v34, v34
	v_sub_nc_u32_e32 v35, v37, v35
	v_frexp_exp_i32_f64_e32 v6, v[6:7]
	s_delay_alu instid0(VALU_DEP_1) | instskip(NEXT) | instid1(VALU_DEP_1)
	v_sub_nc_u32_e32 v7, 0, v6
	v_ldexp_f32 v36, |v11|, v7
	v_ldexp_f32 v7, |v10|, v7
	s_delay_alu instid0(VALU_DEP_2) | instskip(NEXT) | instid1(VALU_DEP_1)
	v_mul_f32_e32 v36, v36, v36
	v_fmac_f32_e32 v36, v7, v7
	v_frexp_mant_f32_e32 v7, v33
	s_delay_alu instid0(VALU_DEP_2) | instskip(NEXT) | instid1(VALU_DEP_1)
	v_sqrt_f32_e32 v36, v36
	v_rcp_f32_e32 v7, v7
	s_waitcnt_depctr 0xfff
	v_ldexp_f32 v6, v36, v6
	v_mul_f32_e32 v7, v34, v7
	s_delay_alu instid0(VALU_DEP_2) | instskip(NEXT) | instid1(VALU_DEP_2)
	v_cndmask_b32_e32 v33, 0x7f800000, v6, vcc_lo
	v_ldexp_f32 v6, v7, v35
	s_delay_alu instid0(VALU_DEP_2) | instskip(SKIP_1) | instid1(VALU_DEP_1)
	v_cmp_gt_f32_e32 vcc_lo, 0x800000, v33
	v_cndmask_b32_e64 v7, 1.0, 0x4f800000, vcc_lo
	v_mul_f32_e32 v7, v33, v7
	s_delay_alu instid0(VALU_DEP_1) | instskip(SKIP_2) | instid1(VALU_DEP_1)
	v_log_f32_e32 v7, v7
	s_waitcnt_depctr 0xfff
	v_dual_mul_f32 v34, v6, v6 :: v_dual_mul_f32 v35, 0x3f317217, v7
	v_fmaak_f32 v33, s31, v34, 0xbc7a590c
	s_delay_alu instid0(VALU_DEP_2) | instskip(NEXT) | instid1(VALU_DEP_2)
	v_fma_f32 v36, 0x3f317217, v7, -v35
	v_fmaak_f32 v33, v34, v33, 0x3d29fb3f
	s_delay_alu instid0(VALU_DEP_1) | instskip(NEXT) | instid1(VALU_DEP_1)
	v_fmaak_f32 v33, v34, v33, 0xbd97d4d7
	v_fmaak_f32 v33, v34, v33, 0x3dd931b2
	s_delay_alu instid0(VALU_DEP_1) | instskip(NEXT) | instid1(VALU_DEP_1)
	v_fmaak_f32 v33, v34, v33, 0xbe1160e6
	;; [unrolled: 3-line block ×3, first 2 shown]
	v_dual_fmac_f32 v36, 0x3377d1cf, v7 :: v_dual_mul_f32 v33, v34, v33
	s_delay_alu instid0(VALU_DEP_1) | instskip(SKIP_2) | instid1(VALU_DEP_3)
	v_add_f32_e32 v35, v35, v36
	v_cndmask_b32_e64 v36, 0, 0x41b17218, vcc_lo
	v_cmp_gt_f32_e64 vcc_lo, 0x7f800000, |v7|
	v_dual_fmac_f32 v6, v6, v33 :: v_dual_cndmask_b32 v7, v7, v35
	s_delay_alu instid0(VALU_DEP_1)
	v_sub_f32_e32 v7, v7, v36
.LBB44_488:                             ;   in Loop: Header=BB44_401 Depth=1
	s_or_b32 exec_lo, exec_lo, s7
                                        ; implicit-def: $vgpr35
                                        ; implicit-def: $vgpr34
                                        ; implicit-def: $vgpr33
.LBB44_489:                             ;   in Loop: Header=BB44_401 Depth=1
	s_and_not1_saveexec_b32 s33, s33
	s_cbranch_execz .LBB44_491
; %bb.490:                              ;   in Loop: Header=BB44_401 Depth=1
	s_waitcnt vmcnt(0) lgkmcnt(0)
	v_div_scale_f32 v6, null, 0x402df854, 0x402df854, v10
	v_div_scale_f32 v7, null, 0x402df854, 0x402df854, v11
	v_div_scale_f32 v40, vcc_lo, v10, 0x402df854, v10
	s_delay_alu instid0(VALU_DEP_3) | instskip(NEXT) | instid1(VALU_DEP_2)
	v_rcp_f32_e32 v36, v6
	v_rcp_f32_e32 v37, v7
	v_min_f32_e32 v34, v35, v34
	s_waitcnt_depctr 0xfff
	v_fma_f32 v38, -v6, v36, 1.0
	v_fma_f32 v39, -v7, v37, 1.0
	s_delay_alu instid0(VALU_DEP_1) | instskip(SKIP_1) | instid1(VALU_DEP_2)
	v_dual_fmac_f32 v36, v38, v36 :: v_dual_fmac_f32 v37, v39, v37
	v_div_scale_f32 v38, s7, v11, 0x402df854, v11
	v_mul_f32_e32 v39, v40, v36
	s_delay_alu instid0(VALU_DEP_2) | instskip(NEXT) | instid1(VALU_DEP_2)
	v_mul_f32_e32 v41, v38, v37
	v_fma_f32 v42, -v6, v39, v40
	s_delay_alu instid0(VALU_DEP_2) | instskip(NEXT) | instid1(VALU_DEP_2)
	v_fma_f32 v43, -v7, v41, v38
	v_fmac_f32_e32 v39, v42, v36
	s_delay_alu instid0(VALU_DEP_2) | instskip(NEXT) | instid1(VALU_DEP_2)
	v_fmac_f32_e32 v41, v43, v37
	v_fma_f32 v6, -v6, v39, v40
	s_delay_alu instid0(VALU_DEP_2) | instskip(NEXT) | instid1(VALU_DEP_2)
	v_fma_f32 v7, -v7, v41, v38
	v_div_fmas_f32 v6, v6, v36, v39
	s_mov_b32 vcc_lo, s7
	s_delay_alu instid0(VALU_DEP_2) | instskip(NEXT) | instid1(VALU_DEP_2)
	v_div_fmas_f32 v7, v7, v37, v41
	v_div_fixup_f32 v36, v6, 0x402df854, v10
	s_delay_alu instid0(VALU_DEP_2) | instskip(NEXT) | instid1(VALU_DEP_1)
	v_div_fixup_f32 v37, v7, 0x402df854, v11
	v_max_f32_e64 v38, |v36|, |v37|
	s_delay_alu instid0(VALU_DEP_1) | instskip(SKIP_1) | instid1(VALU_DEP_2)
	v_cvt_f64_f32_e32 v[6:7], v38
	v_cmp_neq_f32_e32 vcc_lo, 0x7f800000, v38
	v_frexp_exp_i32_f64_e32 v6, v[6:7]
	s_delay_alu instid0(VALU_DEP_1) | instskip(NEXT) | instid1(VALU_DEP_1)
	v_sub_nc_u32_e32 v7, 0, v6
	v_ldexp_f32 v37, |v37|, v7
	v_ldexp_f32 v7, |v36|, v7
	s_delay_alu instid0(VALU_DEP_2) | instskip(NEXT) | instid1(VALU_DEP_1)
	v_mul_f32_e32 v36, v37, v37
	v_fmac_f32_e32 v36, v7, v7
	s_delay_alu instid0(VALU_DEP_1) | instskip(SKIP_2) | instid1(VALU_DEP_2)
	v_sqrt_f32_e32 v7, v36
	v_frexp_mant_f32_e32 v36, v33
	v_frexp_exp_i32_f32_e32 v33, v33
	v_rcp_f32_e32 v35, v36
	s_waitcnt_depctr 0xfff
	v_ldexp_f32 v6, v7, v6
	v_frexp_exp_i32_f32_e32 v7, v34
	v_frexp_mant_f32_e32 v34, v34
	s_delay_alu instid0(VALU_DEP_3) | instskip(NEXT) | instid1(VALU_DEP_3)
	v_cndmask_b32_e32 v36, 0x7f800000, v6, vcc_lo
	v_sub_nc_u32_e32 v6, v7, v33
	s_delay_alu instid0(VALU_DEP_3) | instskip(NEXT) | instid1(VALU_DEP_3)
	v_mul_f32_e32 v7, v34, v35
	v_cmp_gt_f32_e32 vcc_lo, 0x800000, v36
	s_delay_alu instid0(VALU_DEP_2) | instskip(SKIP_1) | instid1(VALU_DEP_1)
	v_ldexp_f32 v6, v7, v6
	v_cndmask_b32_e64 v33, 1.0, 0x4f800000, vcc_lo
	v_mul_f32_e32 v7, v36, v33
	s_delay_alu instid0(VALU_DEP_3) | instskip(NEXT) | instid1(VALU_DEP_1)
	v_mul_f32_e32 v33, v6, v6
	v_fmaak_f32 v34, s31, v33, 0xbc7a590c
	s_delay_alu instid0(VALU_DEP_1) | instskip(NEXT) | instid1(VALU_DEP_4)
	v_fmaak_f32 v34, v33, v34, 0x3d29fb3f
	v_log_f32_e32 v7, v7
	s_waitcnt_depctr 0xfff
	v_mul_f32_e32 v35, 0x3f317217, v7
	s_delay_alu instid0(VALU_DEP_1) | instskip(NEXT) | instid1(VALU_DEP_1)
	v_fma_f32 v36, 0x3f317217, v7, -v35
	v_fmac_f32_e32 v36, 0x3377d1cf, v7
	v_fmaak_f32 v34, v33, v34, 0xbd97d4d7
	s_delay_alu instid0(VALU_DEP_1) | instskip(NEXT) | instid1(VALU_DEP_1)
	v_fmaak_f32 v34, v33, v34, 0x3dd931b2
	v_fmaak_f32 v34, v33, v34, 0xbe1160e6
	s_delay_alu instid0(VALU_DEP_1) | instskip(NEXT) | instid1(VALU_DEP_1)
	v_fmaak_f32 v34, v33, v34, 0x3e4cb8bf
	v_fmaak_f32 v34, v33, v34, 0xbeaaaa62
	s_delay_alu instid0(VALU_DEP_1) | instskip(NEXT) | instid1(VALU_DEP_1)
	v_mul_f32_e32 v33, v33, v34
	v_dual_fmac_f32 v6, v6, v33 :: v_dual_add_f32 v35, v35, v36
	v_cndmask_b32_e64 v36, 0, 0x41b17218, vcc_lo
	v_cmp_gt_f32_e64 vcc_lo, 0x7f800000, |v7|
	s_delay_alu instid0(VALU_DEP_3) | instskip(NEXT) | instid1(VALU_DEP_1)
	v_cndmask_b32_e32 v7, v7, v35, vcc_lo
	v_sub_f32_e32 v7, v7, v36
	s_delay_alu instid0(VALU_DEP_1)
	v_add_f32_e32 v7, 1.0, v7
.LBB44_491:                             ;   in Loop: Header=BB44_401 Depth=1
	s_or_b32 exec_lo, exec_lo, s33
	s_waitcnt vmcnt(0) lgkmcnt(0)
	v_sub_f32_e32 v33, 0x3fc90fdb, v6
	v_cmp_gt_f32_e32 vcc_lo, 0, v10
	v_cndmask_b32_e64 v34, 0, 0x40490fdb, s5
	v_cmp_class_f32_e64 s5, v10, 0x204
	v_add_f32_e32 v7, 0x3f317218, v7
	v_cndmask_b32_e64 v6, v6, v33, s6
	v_cmp_class_f32_e64 s6, v11, 0x204
	s_delay_alu instid0(VALU_DEP_3) | instskip(NEXT) | instid1(VALU_DEP_3)
	v_cndmask_b32_e64 v7, -v7, v7, s4
	v_sub_f32_e32 v33, 0x40490fdb, v6
	s_delay_alu instid0(VALU_DEP_1) | instskip(SKIP_2) | instid1(VALU_DEP_3)
	v_cndmask_b32_e32 v6, v6, v33, vcc_lo
	v_cndmask_b32_e32 v33, 0x3f490fdb, v32, vcc_lo
	v_cmp_eq_f32_e32 vcc_lo, 0, v11
	v_cndmask_b32_e32 v6, v6, v34, vcc_lo
	s_and_b32 vcc_lo, s6, s5
	s_delay_alu instid0(VALU_DEP_1) | instskip(SKIP_1) | instid1(VALU_DEP_2)
	v_cndmask_b32_e32 v6, v6, v33, vcc_lo
	v_cmp_o_f32_e32 vcc_lo, v10, v11
	v_cndmask_b32_e64 v6, 0x7fc00000, |v6|, vcc_lo
.LBB44_492:                             ;   in Loop: Header=BB44_401 Depth=1
	s_or_b32 exec_lo, exec_lo, s8
                                        ; implicit-def: $vgpr11
.LBB44_493:                             ;   in Loop: Header=BB44_401 Depth=1
	s_and_not1_saveexec_b32 s4, s15
	s_cbranch_execz .LBB44_507
; %bb.494:                              ;   in Loop: Header=BB44_401 Depth=1
	v_cmp_neq_f32_e64 s5, 0x7f800000, |v10|
                                        ; implicit-def: $vgpr7
	s_delay_alu instid0(VALU_DEP_1) | instskip(NEXT) | instid1(SALU_CYCLE_1)
	s_and_saveexec_b32 s6, s5
	s_xor_b32 s5, exec_lo, s6
	s_cbranch_execz .LBB44_504
; %bb.495:                              ;   in Loop: Header=BB44_401 Depth=1
	v_cmp_neq_f32_e64 s6, 0x7f800000, |v11|
                                        ; implicit-def: $vgpr7
	s_delay_alu instid0(VALU_DEP_1) | instskip(NEXT) | instid1(SALU_CYCLE_1)
	s_and_saveexec_b32 s7, s6
	s_xor_b32 s6, exec_lo, s7
	s_cbranch_execz .LBB44_501
; %bb.496:                              ;   in Loop: Header=BB44_401 Depth=1
	s_mov_b32 s7, exec_lo
                                        ; implicit-def: $vgpr7
	v_cmpx_neq_f32_e32 0, v10
	s_xor_b32 s7, exec_lo, s7
	s_cbranch_execz .LBB44_498
; %bb.497:                              ;   in Loop: Header=BB44_401 Depth=1
	s_waitcnt vmcnt(0) lgkmcnt(0)
	v_add_f32_e32 v6, 0, v11
                                        ; implicit-def: $vgpr11
	s_delay_alu instid0(VALU_DEP_1)
	v_add_f32_e32 v7, v6, v10
.LBB44_498:                             ;   in Loop: Header=BB44_401 Depth=1
	s_or_saveexec_b32 s7, s7
	s_waitcnt vmcnt(0) lgkmcnt(0)
	s_delay_alu instid0(VALU_DEP_1)
	v_mov_b32_e32 v6, v7
	s_xor_b32 exec_lo, exec_lo, s7
	s_cbranch_execz .LBB44_500
; %bb.499:                              ;   in Loop: Header=BB44_401 Depth=1
	v_dual_mov_b32 v6, s16 :: v_dual_mov_b32 v7, s17
	flat_load_b32 v6, v[6:7] glc dlc
	s_waitcnt vmcnt(0) lgkmcnt(0)
	v_dual_add_f32 v7, v11, v11 :: v_dual_add_f32 v6, 0x3fc90fdb, v6
.LBB44_500:                             ;   in Loop: Header=BB44_401 Depth=1
	s_or_b32 exec_lo, exec_lo, s7
                                        ; implicit-def: $vgpr10
.LBB44_501:                             ;   in Loop: Header=BB44_401 Depth=1
	s_and_not1_saveexec_b32 s6, s6
	s_cbranch_execz .LBB44_503
; %bb.502:                              ;   in Loop: Header=BB44_401 Depth=1
	s_waitcnt vmcnt(0) lgkmcnt(0)
	v_add_f32_e32 v6, v10, v10
	v_xor_b32_e32 v7, 0x80000000, v11
.LBB44_503:                             ;   in Loop: Header=BB44_401 Depth=1
	s_or_b32 exec_lo, exec_lo, s6
                                        ; implicit-def: $vgpr11
.LBB44_504:                             ;   in Loop: Header=BB44_401 Depth=1
	s_and_not1_saveexec_b32 s5, s5
	s_cbranch_execz .LBB44_506
; %bb.505:                              ;   in Loop: Header=BB44_401 Depth=1
	s_waitcnt vmcnt(0) lgkmcnt(0)
	v_dual_add_f32 v6, v11, v11 :: v_dual_mov_b32 v7, 0xff800000
.LBB44_506:                             ;   in Loop: Header=BB44_401 Depth=1
	s_or_b32 exec_lo, exec_lo, s5
.LBB44_507:                             ;   in Loop: Header=BB44_401 Depth=1
	s_delay_alu instid0(SALU_CYCLE_1) | instskip(SKIP_3) | instid1(VALU_DEP_2)
	s_or_b32 exec_lo, exec_lo, s4
	v_cmp_o_f32_e32 vcc_lo, v12, v12
	v_cmp_o_f32_e64 s4, v13, v13
	v_dual_mov_b32 v10, s16 :: v_dual_mov_b32 v11, s17
	s_and_b32 s4, vcc_lo, s4
	flat_store_b32 v[10:11], v30 dlc
	s_waitcnt_vscnt null, 0x0
                                        ; implicit-def: $vgpr11
	s_and_saveexec_b32 s5, s4
	s_delay_alu instid0(SALU_CYCLE_1)
	s_xor_b32 s15, exec_lo, s5
	s_cbranch_execz .LBB44_591
; %bb.508:                              ;   in Loop: Header=BB44_401 Depth=1
	v_max_f32_e64 v35, |v12|, |v12|
	v_max_f32_e64 v34, |v13|, |v13|
	v_cmp_gt_i32_e64 s5, 0, v12
	v_cmp_lt_i32_e64 s6, -1, v12
	v_cmp_gt_i32_e64 s4, 0, v13
                                        ; implicit-def: $vgpr11
	s_mov_b32 s7, exec_lo
	v_max_f32_e32 v33, v34, v35
	s_delay_alu instid0(VALU_DEP_1)
	v_cmpx_nlt_f32_e32 0x4b000000, v33
	s_xor_b32 s33, exec_lo, s7
	s_cbranch_execz .LBB44_580
; %bb.509:                              ;   in Loop: Header=BB44_401 Depth=1
	v_cmp_neq_f32_e32 vcc_lo, 1.0, v12
	v_cmp_neq_f32_e64 s7, 0, v13
                                        ; implicit-def: $vgpr11
	s_delay_alu instid0(VALU_DEP_1) | instskip(NEXT) | instid1(SALU_CYCLE_1)
	s_or_b32 s7, s7, vcc_lo
	s_and_saveexec_b32 s8, s7
	s_delay_alu instid0(SALU_CYCLE_1)
	s_xor_b32 s34, exec_lo, s8
	s_cbranch_execz .LBB44_577
; %bb.510:                              ;   in Loop: Header=BB44_401 Depth=1
	v_dual_mov_b32 v10, s18 :: v_dual_mov_b32 v11, s19
	v_cmp_ngt_f32_e64 s7, 0x395db3d7, |v12|
	v_cmp_ngt_f32_e64 s8, 0x395db3d7, |v13|
	flat_store_b32 v[10:11], v31 dlc
	s_waitcnt_vscnt null, 0x0
	flat_load_b32 v10, v[10:11] glc dlc
	s_waitcnt vmcnt(0)
	s_or_b32 s7, s8, s7
	s_waitcnt lgkmcnt(0)
	v_dual_add_f32 v33, 1.0, v10 :: v_dual_mov_b32 v10, s20
	v_mov_b32_e32 v11, s21
	flat_store_b32 v[10:11], v33 dlc
	s_waitcnt_vscnt null, 0x0
	flat_load_b32 v10, v[10:11] glc dlc
	s_waitcnt vmcnt(0)
                                        ; implicit-def: $vgpr11
	s_and_saveexec_b32 s8, s7
	s_delay_alu instid0(SALU_CYCLE_1)
	s_xor_b32 s35, exec_lo, s8
	s_cbranch_execz .LBB44_574
; %bb.511:                              ;   in Loop: Header=BB44_401 Depth=1
	v_add_f32_e64 v33, |v12|, 1.0
	v_add_f32_e64 v11, |v12|, -1.0
	s_mov_b32 s7, exec_lo
	s_waitcnt vmcnt(0) lgkmcnt(0)
	s_delay_alu instid0(VALU_DEP_2) | instskip(NEXT) | instid1(VALU_DEP_2)
	v_max_f32_e64 v10, v34, |v33|
	v_max_f32_e64 v38, v34, |v11|
	s_delay_alu instid0(VALU_DEP_2) | instskip(NEXT) | instid1(VALU_DEP_2)
	v_cvt_f64_f32_e32 v[34:35], v10
	v_cvt_f64_f32_e32 v[36:37], v38
	v_cmp_neq_f32_e32 vcc_lo, 0x7f800000, v10
	s_delay_alu instid0(VALU_DEP_3) | instskip(NEXT) | instid1(VALU_DEP_3)
	v_frexp_exp_i32_f64_e32 v34, v[34:35]
	v_frexp_exp_i32_f64_e32 v35, v[36:37]
	s_delay_alu instid0(VALU_DEP_2) | instskip(NEXT) | instid1(VALU_DEP_2)
	v_sub_nc_u32_e32 v36, 0, v34
	v_sub_nc_u32_e32 v37, 0, v35
	s_delay_alu instid0(VALU_DEP_2) | instskip(NEXT) | instid1(VALU_DEP_2)
	v_ldexp_f32 v39, |v33|, v36
	v_ldexp_f32 v40, |v11|, v37
	;; [unrolled: 1-line block ×4, first 2 shown]
	s_delay_alu instid0(VALU_DEP_3) | instskip(NEXT) | instid1(VALU_DEP_1)
	v_dual_mul_f32 v39, v39, v39 :: v_dual_mul_f32 v40, v40, v40
	v_dual_fmac_f32 v39, v36, v36 :: v_dual_fmac_f32 v40, v37, v37
	s_delay_alu instid0(VALU_DEP_1) | instskip(NEXT) | instid1(VALU_DEP_1)
	v_sqrt_f32_e32 v36, v39
	v_sqrt_f32_e32 v37, v40
	s_waitcnt_depctr 0xfff
	v_ldexp_f32 v34, v36, v34
	v_ldexp_f32 v35, v37, v35
	s_delay_alu instid0(VALU_DEP_2) | instskip(SKIP_1) | instid1(VALU_DEP_3)
	v_cndmask_b32_e32 v37, 0x7f800000, v34, vcc_lo
	v_cmp_neq_f32_e32 vcc_lo, 0x7f800000, v38
                                        ; implicit-def: $vgpr34
	v_cndmask_b32_e32 v35, 0x7f800000, v35, vcc_lo
	s_delay_alu instid0(VALU_DEP_1) | instskip(NEXT) | instid1(VALU_DEP_1)
	v_add_f32_e32 v10, v37, v35
	v_mul_f32_e32 v10, 0.5, v10
	s_delay_alu instid0(VALU_DEP_1) | instskip(SKIP_1) | instid1(VALU_DEP_1)
	v_cmp_ngt_f32_e32 vcc_lo, 1.0, v10
	v_cndmask_b32_e32 v10, 1.0, v10, vcc_lo
	v_cmpx_ngt_f32_e32 0x41200000, v10
	s_xor_b32 s8, exec_lo, s7
	s_cbranch_execz .LBB44_513
; %bb.512:                              ;   in Loop: Header=BB44_401 Depth=1
	v_fma_f32 v34, v10, v10, -1.0
	s_delay_alu instid0(VALU_DEP_1) | instskip(SKIP_1) | instid1(VALU_DEP_2)
	v_mul_f32_e32 v36, 0x4f800000, v34
	v_cmp_gt_f32_e32 vcc_lo, 0xf800000, v34
	v_cndmask_b32_e32 v34, v34, v36, vcc_lo
	s_delay_alu instid0(VALU_DEP_1) | instskip(SKIP_3) | instid1(VALU_DEP_2)
	v_sqrt_f32_e32 v36, v34
	s_waitcnt_depctr 0xfff
	v_add_nc_u32_e32 v38, -1, v36
	v_add_nc_u32_e32 v39, 1, v36
	v_fma_f32 v40, -v38, v36, v34
	s_delay_alu instid0(VALU_DEP_2) | instskip(NEXT) | instid1(VALU_DEP_2)
	v_fma_f32 v41, -v39, v36, v34
	v_cmp_ge_f32_e64 s7, 0, v40
	s_delay_alu instid0(VALU_DEP_1) | instskip(NEXT) | instid1(VALU_DEP_3)
	v_cndmask_b32_e64 v36, v36, v38, s7
	v_cmp_lt_f32_e64 s7, 0, v41
	s_delay_alu instid0(VALU_DEP_1) | instskip(NEXT) | instid1(VALU_DEP_1)
	v_cndmask_b32_e64 v36, v36, v39, s7
	v_mul_f32_e32 v38, 0x37800000, v36
	s_delay_alu instid0(VALU_DEP_1) | instskip(SKIP_1) | instid1(VALU_DEP_2)
	v_cndmask_b32_e32 v36, v36, v38, vcc_lo
	v_cmp_class_f32_e64 vcc_lo, v34, 0x260
	v_cndmask_b32_e32 v34, v36, v34, vcc_lo
	s_delay_alu instid0(VALU_DEP_1) | instskip(NEXT) | instid1(VALU_DEP_1)
	v_add_f32_e32 v34, v10, v34
	v_cmp_gt_f32_e32 vcc_lo, 0x800000, v34
	s_delay_alu instid0(VALU_DEP_4) | instskip(NEXT) | instid1(VALU_DEP_1)
	v_cndmask_b32_e64 v36, 1.0, 0x4f800000, vcc_lo
	v_mul_f32_e32 v34, v34, v36
	s_delay_alu instid0(VALU_DEP_1) | instskip(SKIP_3) | instid1(VALU_DEP_2)
	v_log_f32_e32 v34, v34
	s_waitcnt_depctr 0xfff
	v_mul_f32_e32 v36, 0x3f317217, v34
	v_cmp_gt_f32_e64 s7, 0x7f800000, |v34|
	v_fma_f32 v38, 0x3f317217, v34, -v36
	s_delay_alu instid0(VALU_DEP_1) | instskip(NEXT) | instid1(VALU_DEP_1)
	v_fmac_f32_e32 v38, 0x3377d1cf, v34
	v_add_f32_e32 v36, v36, v38
	s_delay_alu instid0(VALU_DEP_1) | instskip(SKIP_1) | instid1(VALU_DEP_1)
	v_cndmask_b32_e64 v34, v34, v36, s7
	v_cndmask_b32_e64 v36, 0, 0x41b17218, vcc_lo
	v_sub_f32_e32 v34, v34, v36
.LBB44_513:                             ;   in Loop: Header=BB44_401 Depth=1
	s_or_saveexec_b32 s8, s8
	v_and_b32_e32 v36, 0x7fffffff, v13
	s_xor_b32 exec_lo, exec_lo, s8
	s_cbranch_execz .LBB44_535
; %bb.514:                              ;   in Loop: Header=BB44_401 Depth=1
	v_cmp_neq_f32_e64 s7, |v12|, 1.0
	v_cmp_ngt_f32_e64 s36, 0x25000000, |v13|
                                        ; implicit-def: $vgpr34
	s_delay_alu instid0(VALU_DEP_1) | instskip(NEXT) | instid1(SALU_CYCLE_1)
	s_or_b32 s7, s36, s7
	s_and_saveexec_b32 s36, s7
	s_delay_alu instid0(SALU_CYCLE_1)
	s_xor_b32 s36, exec_lo, s36
	s_cbranch_execz .LBB44_532
; %bb.515:                              ;   in Loop: Header=BB44_401 Depth=1
	v_mul_f32_e64 v34, 0x34000000, |v11|
	s_delay_alu instid0(VALU_DEP_1) | instskip(NEXT) | instid1(VALU_DEP_1)
	v_cmp_le_f32_e64 s7, v34, |v13|
                                        ; implicit-def: $vgpr34
	s_and_saveexec_b32 s37, s7
	s_delay_alu instid0(SALU_CYCLE_1)
	s_xor_b32 s37, exec_lo, s37
	s_cbranch_execz .LBB44_525
; %bb.516:                              ;   in Loop: Header=BB44_401 Depth=1
	v_mov_b32_e32 v34, v36
	s_mov_b32 s7, exec_lo
	v_cmpx_neq_f32_e32 0, v33
	s_cbranch_execz .LBB44_518
; %bb.517:                              ;   in Loop: Header=BB44_401 Depth=1
	v_mul_f32_e32 v34, v13, v13
	v_add_f32_e32 v38, v33, v37
	s_delay_alu instid0(VALU_DEP_1) | instskip(NEXT) | instid1(VALU_DEP_1)
	v_div_scale_f32 v39, null, v38, v38, v34
	v_rcp_f32_e32 v40, v39
	s_waitcnt_depctr 0xfff
	v_fma_f32 v41, -v39, v40, 1.0
	s_delay_alu instid0(VALU_DEP_1) | instskip(SKIP_1) | instid1(VALU_DEP_1)
	v_fmac_f32_e32 v40, v41, v40
	v_div_scale_f32 v41, vcc_lo, v34, v38, v34
	v_mul_f32_e32 v42, v41, v40
	s_delay_alu instid0(VALU_DEP_1) | instskip(NEXT) | instid1(VALU_DEP_1)
	v_fma_f32 v43, -v39, v42, v41
	v_fmac_f32_e32 v42, v43, v40
	s_delay_alu instid0(VALU_DEP_1) | instskip(NEXT) | instid1(VALU_DEP_1)
	v_fma_f32 v39, -v39, v42, v41
	v_div_fmas_f32 v39, v39, v40, v42
	s_delay_alu instid0(VALU_DEP_1)
	v_div_fixup_f32 v34, v39, v38, v34
.LBB44_518:                             ;   in Loop: Header=BB44_401 Depth=1
	s_or_b32 exec_lo, exec_lo, s7
	v_sub_f32_e64 v39, 1.0, |v12|
	s_mov_b32 s7, exec_lo
                                        ; implicit-def: $vgpr38
	s_delay_alu instid0(VALU_DEP_1)
	v_cmpx_ngt_f32_e32 0, v39
	s_xor_b32 s7, exec_lo, s7
	s_cbranch_execz .LBB44_522
; %bb.519:                              ;   in Loop: Header=BB44_401 Depth=1
	v_mov_b32_e32 v38, v36
	s_mov_b32 s38, exec_lo
	v_cmpx_neq_f32_e32 0, v39
	s_cbranch_execz .LBB44_521
; %bb.520:                              ;   in Loop: Header=BB44_401 Depth=1
	v_dual_mul_f32 v38, v13, v13 :: v_dual_add_f32 v39, v39, v35
	s_delay_alu instid0(VALU_DEP_1) | instskip(NEXT) | instid1(VALU_DEP_1)
	v_div_scale_f32 v40, null, v39, v39, v38
	v_rcp_f32_e32 v41, v40
	s_waitcnt_depctr 0xfff
	v_fma_f32 v42, -v40, v41, 1.0
	s_delay_alu instid0(VALU_DEP_1) | instskip(SKIP_1) | instid1(VALU_DEP_1)
	v_fmac_f32_e32 v41, v42, v41
	v_div_scale_f32 v42, vcc_lo, v38, v39, v38
	v_mul_f32_e32 v43, v42, v41
	s_delay_alu instid0(VALU_DEP_1) | instskip(NEXT) | instid1(VALU_DEP_1)
	v_fma_f32 v44, -v40, v43, v42
	v_fmac_f32_e32 v43, v44, v41
	s_delay_alu instid0(VALU_DEP_1) | instskip(NEXT) | instid1(VALU_DEP_1)
	v_fma_f32 v40, -v40, v43, v42
	v_div_fmas_f32 v40, v40, v41, v43
	s_delay_alu instid0(VALU_DEP_1)
	v_div_fixup_f32 v38, v40, v39, v38
.LBB44_521:                             ;   in Loop: Header=BB44_401 Depth=1
	s_or_b32 exec_lo, exec_lo, s38
                                        ; implicit-def: $vgpr39
.LBB44_522:                             ;   in Loop: Header=BB44_401 Depth=1
	s_and_not1_saveexec_b32 s7, s7
; %bb.523:                              ;   in Loop: Header=BB44_401 Depth=1
	v_sub_f32_e32 v38, v35, v39
; %bb.524:                              ;   in Loop: Header=BB44_401 Depth=1
	s_or_b32 exec_lo, exec_lo, s7
	s_delay_alu instid0(VALU_DEP_1) | instskip(SKIP_1) | instid1(VALU_DEP_2)
	v_mul_f32_e32 v38, 0.5, v38
	v_add_f32_e32 v39, 1.0, v10
	v_fmac_f32_e32 v38, 0.5, v34
	s_delay_alu instid0(VALU_DEP_1) | instskip(NEXT) | instid1(VALU_DEP_1)
	v_mul_f32_e32 v34, v39, v38
	v_mul_f32_e32 v39, 0x4f800000, v34
	v_cmp_gt_f32_e32 vcc_lo, 0xf800000, v34
	s_delay_alu instid0(VALU_DEP_2) | instskip(NEXT) | instid1(VALU_DEP_1)
	v_cndmask_b32_e32 v34, v34, v39, vcc_lo
	v_sqrt_f32_e32 v39, v34
	s_waitcnt_depctr 0xfff
	v_add_nc_u32_e32 v40, -1, v39
	v_add_nc_u32_e32 v41, 1, v39
	s_delay_alu instid0(VALU_DEP_2) | instskip(NEXT) | instid1(VALU_DEP_2)
	v_fma_f32 v42, -v40, v39, v34
	v_fma_f32 v43, -v41, v39, v34
	s_delay_alu instid0(VALU_DEP_2) | instskip(NEXT) | instid1(VALU_DEP_1)
	v_cmp_ge_f32_e64 s7, 0, v42
	v_cndmask_b32_e64 v39, v39, v40, s7
	s_delay_alu instid0(VALU_DEP_3) | instskip(NEXT) | instid1(VALU_DEP_1)
	v_cmp_lt_f32_e64 s7, 0, v43
	v_cndmask_b32_e64 v39, v39, v41, s7
	s_delay_alu instid0(VALU_DEP_1) | instskip(NEXT) | instid1(VALU_DEP_1)
	v_mul_f32_e32 v40, 0x37800000, v39
	v_cndmask_b32_e32 v39, v39, v40, vcc_lo
	v_cmp_class_f32_e64 vcc_lo, v34, 0x260
	s_delay_alu instid0(VALU_DEP_2) | instskip(NEXT) | instid1(VALU_DEP_1)
	v_cndmask_b32_e32 v34, v39, v34, vcc_lo
	v_add_f32_e32 v34, v38, v34
	s_delay_alu instid0(VALU_DEP_1) | instskip(NEXT) | instid1(VALU_DEP_1)
	v_add_f32_e32 v40, 1.0, v34
	v_cvt_f64_f32_e32 v[38:39], v40
	s_delay_alu instid0(VALU_DEP_1) | instskip(SKIP_1) | instid1(VALU_DEP_1)
	v_frexp_exp_i32_f64_e32 v38, v[38:39]
	v_frexp_mant_f32_e32 v39, v40
	v_cmp_gt_f32_e32 vcc_lo, 0x3f2aaaab, v39
	v_add_f32_e32 v39, -1.0, v40
	s_delay_alu instid0(VALU_DEP_1) | instskip(SKIP_1) | instid1(VALU_DEP_1)
	v_dual_sub_f32 v42, v39, v40 :: v_dual_sub_f32 v39, v34, v39
	v_subrev_co_ci_u32_e32 v38, vcc_lo, 0, v38, vcc_lo
	v_sub_nc_u32_e32 v41, 0, v38
	v_cvt_f32_i32_e32 v38, v38
	s_delay_alu instid0(VALU_DEP_2) | instskip(NEXT) | instid1(VALU_DEP_1)
	v_ldexp_f32 v40, v40, v41
	v_dual_add_f32 v43, 1.0, v40 :: v_dual_add_f32 v42, 1.0, v42
	s_delay_alu instid0(VALU_DEP_1) | instskip(NEXT) | instid1(VALU_DEP_1)
	v_dual_add_f32 v39, v39, v42 :: v_dual_add_f32 v42, -1.0, v43
	v_ldexp_f32 v39, v39, v41
	s_delay_alu instid0(VALU_DEP_2) | instskip(NEXT) | instid1(VALU_DEP_1)
	v_dual_add_f32 v41, -1.0, v40 :: v_dual_sub_f32 v42, v40, v42
	v_add_f32_e32 v44, 1.0, v41
	s_delay_alu instid0(VALU_DEP_2) | instskip(NEXT) | instid1(VALU_DEP_2)
	v_add_f32_e32 v42, v39, v42
	v_sub_f32_e32 v40, v40, v44
	s_delay_alu instid0(VALU_DEP_1) | instskip(SKIP_1) | instid1(VALU_DEP_2)
	v_add_f32_e32 v39, v39, v40
	v_cmp_eq_f32_e32 vcc_lo, 0x7f800000, v34
	v_add_f32_e32 v45, v41, v39
	s_delay_alu instid0(VALU_DEP_1) | instskip(NEXT) | instid1(VALU_DEP_1)
	v_dual_sub_f32 v41, v45, v41 :: v_dual_add_f32 v44, v43, v42
	v_sub_f32_e32 v39, v39, v41
	s_delay_alu instid0(VALU_DEP_2) | instskip(SKIP_1) | instid1(VALU_DEP_1)
	v_rcp_f32_e32 v40, v44
	v_sub_f32_e32 v43, v44, v43
	v_sub_f32_e32 v42, v42, v43
	s_waitcnt_depctr 0xfff
	v_mul_f32_e32 v46, v45, v40
	s_delay_alu instid0(VALU_DEP_1) | instskip(NEXT) | instid1(VALU_DEP_1)
	v_mul_f32_e32 v47, v44, v46
	v_fma_f32 v43, v46, v44, -v47
	s_delay_alu instid0(VALU_DEP_1) | instskip(NEXT) | instid1(VALU_DEP_1)
	v_fmac_f32_e32 v43, v46, v42
	v_add_f32_e32 v48, v47, v43
	s_delay_alu instid0(VALU_DEP_1) | instskip(NEXT) | instid1(VALU_DEP_1)
	v_sub_f32_e32 v49, v45, v48
	v_sub_f32_e32 v45, v45, v49
	s_delay_alu instid0(VALU_DEP_1) | instskip(SKIP_1) | instid1(VALU_DEP_2)
	v_sub_f32_e32 v45, v45, v48
	v_sub_f32_e32 v41, v48, v47
	v_add_f32_e32 v39, v39, v45
	s_delay_alu instid0(VALU_DEP_2) | instskip(NEXT) | instid1(VALU_DEP_1)
	v_sub_f32_e32 v41, v41, v43
	v_add_f32_e32 v39, v41, v39
	s_delay_alu instid0(VALU_DEP_1) | instskip(NEXT) | instid1(VALU_DEP_1)
	v_add_f32_e32 v41, v49, v39
	v_mul_f32_e32 v43, v40, v41
	s_delay_alu instid0(VALU_DEP_1) | instskip(NEXT) | instid1(VALU_DEP_1)
	v_dual_sub_f32 v48, v49, v41 :: v_dual_mul_f32 v45, v44, v43
	v_add_f32_e32 v39, v39, v48
	s_delay_alu instid0(VALU_DEP_2) | instskip(NEXT) | instid1(VALU_DEP_1)
	v_fma_f32 v44, v43, v44, -v45
	v_fmac_f32_e32 v44, v43, v42
	s_delay_alu instid0(VALU_DEP_1) | instskip(NEXT) | instid1(VALU_DEP_1)
	v_add_f32_e32 v42, v45, v44
	v_sub_f32_e32 v47, v41, v42
	s_delay_alu instid0(VALU_DEP_1) | instskip(NEXT) | instid1(VALU_DEP_1)
	v_sub_f32_e32 v41, v41, v47
	v_sub_f32_e32 v41, v41, v42
	s_delay_alu instid0(VALU_DEP_1) | instskip(SKIP_2) | instid1(VALU_DEP_1)
	v_add_f32_e32 v39, v39, v41
	v_add_f32_e32 v41, v46, v43
	v_sub_f32_e32 v45, v42, v45
	v_sub_f32_e32 v42, v45, v44
	s_delay_alu instid0(VALU_DEP_1) | instskip(NEXT) | instid1(VALU_DEP_1)
	v_dual_add_f32 v39, v42, v39 :: v_dual_sub_f32 v42, v41, v46
	v_add_f32_e32 v39, v47, v39
	s_delay_alu instid0(VALU_DEP_1) | instskip(NEXT) | instid1(VALU_DEP_1)
	v_dual_sub_f32 v42, v43, v42 :: v_dual_mul_f32 v39, v40, v39
	v_add_f32_e32 v39, v42, v39
	s_delay_alu instid0(VALU_DEP_1) | instskip(NEXT) | instid1(VALU_DEP_1)
	v_add_f32_e32 v40, v41, v39
	v_mul_f32_e32 v42, v40, v40
	s_delay_alu instid0(VALU_DEP_1) | instskip(SKIP_1) | instid1(VALU_DEP_2)
	v_fmaak_f32 v43, s9, v42, 0x3ecc95a3
	v_mul_f32_e32 v44, v40, v42
	v_fmaak_f32 v42, v42, v43, 0x3f2aaada
	v_ldexp_f32 v43, v40, 1
	v_sub_f32_e32 v40, v40, v41
	s_delay_alu instid0(VALU_DEP_3) | instskip(SKIP_1) | instid1(VALU_DEP_2)
	v_mul_f32_e32 v42, v44, v42
	v_mul_f32_e32 v44, 0x3f317218, v38
	v_add_f32_e32 v41, v43, v42
	s_delay_alu instid0(VALU_DEP_1) | instskip(NEXT) | instid1(VALU_DEP_3)
	v_dual_sub_f32 v39, v39, v40 :: v_dual_sub_f32 v40, v41, v43
	v_fma_f32 v43, 0x3f317218, v38, -v44
	s_delay_alu instid0(VALU_DEP_2) | instskip(NEXT) | instid1(VALU_DEP_2)
	v_ldexp_f32 v39, v39, 1
	v_dual_sub_f32 v40, v42, v40 :: v_dual_fmac_f32 v43, 0xb102e308, v38
	s_delay_alu instid0(VALU_DEP_1) | instskip(NEXT) | instid1(VALU_DEP_1)
	v_dual_add_f32 v38, v39, v40 :: v_dual_add_f32 v39, v44, v43
	v_add_f32_e32 v40, v41, v38
	s_delay_alu instid0(VALU_DEP_1) | instskip(NEXT) | instid1(VALU_DEP_1)
	v_add_f32_e32 v42, v39, v40
	v_sub_f32_e32 v45, v42, v39
	s_delay_alu instid0(VALU_DEP_1) | instskip(SKIP_2) | instid1(VALU_DEP_2)
	v_sub_f32_e32 v46, v42, v45
	v_sub_f32_e32 v41, v40, v41
	;; [unrolled: 1-line block ×5, first 2 shown]
	s_delay_alu instid0(VALU_DEP_1) | instskip(NEXT) | instid1(VALU_DEP_1)
	v_sub_f32_e32 v43, v43, v44
	v_add_f32_e32 v41, v43, v38
	v_sub_f32_e32 v39, v39, v46
	s_delay_alu instid0(VALU_DEP_1) | instskip(NEXT) | instid1(VALU_DEP_3)
	v_add_f32_e32 v39, v40, v39
	v_sub_f32_e32 v40, v41, v43
	s_delay_alu instid0(VALU_DEP_1) | instskip(NEXT) | instid1(VALU_DEP_1)
	v_dual_sub_f32 v38, v38, v40 :: v_dual_add_f32 v39, v41, v39
	v_dual_sub_f32 v41, v41, v40 :: v_dual_add_f32 v44, v42, v39
	s_delay_alu instid0(VALU_DEP_1) | instskip(NEXT) | instid1(VALU_DEP_1)
	v_dual_sub_f32 v41, v43, v41 :: v_dual_sub_f32 v40, v44, v42
	v_dual_add_f32 v38, v38, v41 :: v_dual_sub_f32 v39, v39, v40
	s_delay_alu instid0(VALU_DEP_1) | instskip(NEXT) | instid1(VALU_DEP_1)
	v_add_f32_e32 v38, v38, v39
	v_add_f32_e32 v38, v44, v38
	s_delay_alu instid0(VALU_DEP_1) | instskip(SKIP_1) | instid1(VALU_DEP_2)
	v_cndmask_b32_e32 v38, v38, v34, vcc_lo
	v_cmp_ngt_f32_e32 vcc_lo, -1.0, v34
	v_cndmask_b32_e32 v38, 0x7fc00000, v38, vcc_lo
	v_cmp_neq_f32_e32 vcc_lo, -1.0, v34
	s_delay_alu instid0(VALU_DEP_2) | instskip(SKIP_1) | instid1(VALU_DEP_2)
	v_cndmask_b32_e32 v38, 0xff800000, v38, vcc_lo
	v_cmp_gt_f32_e64 vcc_lo, 0x33800000, |v34|
	v_cndmask_b32_e32 v34, v38, v34, vcc_lo
.LBB44_525:                             ;   in Loop: Header=BB44_401 Depth=1
	s_and_not1_saveexec_b32 s37, s37
	s_cbranch_execz .LBB44_531
; %bb.526:                              ;   in Loop: Header=BB44_401 Depth=1
	s_mov_b32 s38, exec_lo
                                        ; implicit-def: $vgpr34
	v_cmpx_nlt_f32_e64 |v12|, 1.0
	s_xor_b32 s38, exec_lo, s38
	s_cbranch_execz .LBB44_528
; %bb.527:                              ;   in Loop: Header=BB44_401 Depth=1
	v_mul_f32_e32 v34, v11, v33
	s_delay_alu instid0(VALU_DEP_1) | instskip(SKIP_1) | instid1(VALU_DEP_2)
	v_mul_f32_e32 v38, 0x4f800000, v34
	v_cmp_gt_f32_e32 vcc_lo, 0xf800000, v34
	v_cndmask_b32_e32 v34, v34, v38, vcc_lo
	s_delay_alu instid0(VALU_DEP_1) | instskip(SKIP_3) | instid1(VALU_DEP_2)
	v_sqrt_f32_e32 v38, v34
	s_waitcnt_depctr 0xfff
	v_add_nc_u32_e32 v39, -1, v38
	v_add_nc_u32_e32 v40, 1, v38
	v_fma_f32 v41, -v39, v38, v34
	s_delay_alu instid0(VALU_DEP_2) | instskip(NEXT) | instid1(VALU_DEP_2)
	v_fma_f32 v42, -v40, v38, v34
	v_cmp_ge_f32_e64 s7, 0, v41
	s_delay_alu instid0(VALU_DEP_1) | instskip(NEXT) | instid1(VALU_DEP_3)
	v_cndmask_b32_e64 v38, v38, v39, s7
	v_cmp_lt_f32_e64 s7, 0, v42
	s_delay_alu instid0(VALU_DEP_1) | instskip(NEXT) | instid1(VALU_DEP_1)
	v_cndmask_b32_e64 v38, v38, v40, s7
	v_mul_f32_e32 v39, 0x37800000, v38
	s_delay_alu instid0(VALU_DEP_1) | instskip(SKIP_1) | instid1(VALU_DEP_2)
	v_cndmask_b32_e32 v38, v38, v39, vcc_lo
	v_cmp_class_f32_e64 vcc_lo, v34, 0x260
	v_cndmask_b32_e32 v34, v38, v34, vcc_lo
	s_delay_alu instid0(VALU_DEP_1) | instskip(NEXT) | instid1(VALU_DEP_1)
	v_add_f32_e32 v34, v11, v34
	v_add_f32_e32 v40, 1.0, v34
	s_delay_alu instid0(VALU_DEP_1) | instskip(NEXT) | instid1(VALU_DEP_1)
	v_cvt_f64_f32_e32 v[38:39], v40
	v_frexp_exp_i32_f64_e32 v38, v[38:39]
	v_frexp_mant_f32_e32 v39, v40
	s_delay_alu instid0(VALU_DEP_1) | instskip(SKIP_1) | instid1(VALU_DEP_1)
	v_cmp_gt_f32_e32 vcc_lo, 0x3f2aaaab, v39
	v_add_f32_e32 v39, -1.0, v40
	v_dual_sub_f32 v42, v39, v40 :: v_dual_sub_f32 v39, v34, v39
	s_delay_alu instid0(VALU_DEP_1) | instskip(NEXT) | instid1(VALU_DEP_1)
	v_add_f32_e32 v42, 1.0, v42
	v_add_f32_e32 v39, v39, v42
	v_subrev_co_ci_u32_e32 v38, vcc_lo, 0, v38, vcc_lo
	s_delay_alu instid0(VALU_DEP_1) | instskip(SKIP_1) | instid1(VALU_DEP_2)
	v_sub_nc_u32_e32 v41, 0, v38
	v_cvt_f32_i32_e32 v38, v38
	v_ldexp_f32 v40, v40, v41
	v_ldexp_f32 v39, v39, v41
	s_delay_alu instid0(VALU_DEP_2) | instskip(NEXT) | instid1(VALU_DEP_1)
	v_add_f32_e32 v43, 1.0, v40
	v_dual_add_f32 v41, -1.0, v40 :: v_dual_add_f32 v42, -1.0, v43
	s_delay_alu instid0(VALU_DEP_1) | instskip(NEXT) | instid1(VALU_DEP_2)
	v_add_f32_e32 v44, 1.0, v41
	v_sub_f32_e32 v42, v40, v42
	s_delay_alu instid0(VALU_DEP_2) | instskip(NEXT) | instid1(VALU_DEP_2)
	v_sub_f32_e32 v40, v40, v44
	v_add_f32_e32 v42, v39, v42
	s_delay_alu instid0(VALU_DEP_2) | instskip(NEXT) | instid1(VALU_DEP_1)
	v_add_f32_e32 v39, v39, v40
	v_add_f32_e32 v45, v41, v39
	v_cmp_eq_f32_e32 vcc_lo, 0x7f800000, v34
	s_delay_alu instid0(VALU_DEP_2) | instskip(NEXT) | instid1(VALU_DEP_1)
	v_dual_sub_f32 v41, v45, v41 :: v_dual_add_f32 v44, v43, v42
	v_sub_f32_e32 v39, v39, v41
	s_delay_alu instid0(VALU_DEP_2) | instskip(SKIP_1) | instid1(VALU_DEP_1)
	v_rcp_f32_e32 v40, v44
	v_sub_f32_e32 v43, v44, v43
	v_sub_f32_e32 v42, v42, v43
	s_waitcnt_depctr 0xfff
	v_mul_f32_e32 v46, v45, v40
	s_delay_alu instid0(VALU_DEP_1) | instskip(NEXT) | instid1(VALU_DEP_1)
	v_mul_f32_e32 v47, v44, v46
	v_fma_f32 v43, v46, v44, -v47
	s_delay_alu instid0(VALU_DEP_1) | instskip(NEXT) | instid1(VALU_DEP_1)
	v_fmac_f32_e32 v43, v46, v42
	v_add_f32_e32 v48, v47, v43
	s_delay_alu instid0(VALU_DEP_1) | instskip(SKIP_1) | instid1(VALU_DEP_2)
	v_sub_f32_e32 v49, v45, v48
	v_sub_f32_e32 v41, v48, v47
	;; [unrolled: 1-line block ×3, first 2 shown]
	s_delay_alu instid0(VALU_DEP_1) | instskip(NEXT) | instid1(VALU_DEP_3)
	v_sub_f32_e32 v45, v45, v48
	v_sub_f32_e32 v41, v41, v43
	s_delay_alu instid0(VALU_DEP_2) | instskip(NEXT) | instid1(VALU_DEP_1)
	v_add_f32_e32 v39, v39, v45
	v_add_f32_e32 v39, v41, v39
	s_delay_alu instid0(VALU_DEP_1) | instskip(NEXT) | instid1(VALU_DEP_1)
	v_add_f32_e32 v41, v49, v39
	v_mul_f32_e32 v43, v40, v41
	s_delay_alu instid0(VALU_DEP_1) | instskip(NEXT) | instid1(VALU_DEP_1)
	v_dual_sub_f32 v48, v49, v41 :: v_dual_mul_f32 v45, v44, v43
	v_add_f32_e32 v39, v39, v48
	s_delay_alu instid0(VALU_DEP_2) | instskip(NEXT) | instid1(VALU_DEP_1)
	v_fma_f32 v44, v43, v44, -v45
	v_fmac_f32_e32 v44, v43, v42
	s_delay_alu instid0(VALU_DEP_1) | instskip(NEXT) | instid1(VALU_DEP_1)
	v_add_f32_e32 v42, v45, v44
	v_sub_f32_e32 v47, v41, v42
	s_delay_alu instid0(VALU_DEP_1) | instskip(NEXT) | instid1(VALU_DEP_1)
	v_sub_f32_e32 v41, v41, v47
	v_sub_f32_e32 v41, v41, v42
	s_delay_alu instid0(VALU_DEP_1) | instskip(SKIP_2) | instid1(VALU_DEP_1)
	v_add_f32_e32 v39, v39, v41
	v_add_f32_e32 v41, v46, v43
	v_sub_f32_e32 v45, v42, v45
	v_sub_f32_e32 v42, v45, v44
	s_delay_alu instid0(VALU_DEP_1) | instskip(NEXT) | instid1(VALU_DEP_1)
	v_dual_add_f32 v39, v42, v39 :: v_dual_sub_f32 v42, v41, v46
	v_add_f32_e32 v39, v47, v39
	s_delay_alu instid0(VALU_DEP_1) | instskip(NEXT) | instid1(VALU_DEP_1)
	v_dual_sub_f32 v42, v43, v42 :: v_dual_mul_f32 v39, v40, v39
	v_add_f32_e32 v39, v42, v39
	s_delay_alu instid0(VALU_DEP_1) | instskip(NEXT) | instid1(VALU_DEP_1)
	v_add_f32_e32 v40, v41, v39
	v_mul_f32_e32 v42, v40, v40
	s_delay_alu instid0(VALU_DEP_1) | instskip(SKIP_1) | instid1(VALU_DEP_2)
	v_fmaak_f32 v43, s9, v42, 0x3ecc95a3
	v_mul_f32_e32 v44, v40, v42
	v_fmaak_f32 v42, v42, v43, 0x3f2aaada
	v_ldexp_f32 v43, v40, 1
	s_delay_alu instid0(VALU_DEP_2) | instskip(SKIP_1) | instid1(VALU_DEP_2)
	v_mul_f32_e32 v42, v44, v42
	v_mul_f32_e32 v44, 0x3f317218, v38
	v_dual_sub_f32 v40, v40, v41 :: v_dual_add_f32 v41, v43, v42
	s_delay_alu instid0(VALU_DEP_1) | instskip(NEXT) | instid1(VALU_DEP_3)
	v_dual_sub_f32 v39, v39, v40 :: v_dual_sub_f32 v40, v41, v43
	v_fma_f32 v43, 0x3f317218, v38, -v44
	s_delay_alu instid0(VALU_DEP_2) | instskip(NEXT) | instid1(VALU_DEP_2)
	v_ldexp_f32 v39, v39, 1
	v_dual_sub_f32 v40, v42, v40 :: v_dual_fmac_f32 v43, 0xb102e308, v38
	s_delay_alu instid0(VALU_DEP_1) | instskip(NEXT) | instid1(VALU_DEP_1)
	v_dual_add_f32 v38, v39, v40 :: v_dual_add_f32 v39, v44, v43
	v_add_f32_e32 v40, v41, v38
	s_delay_alu instid0(VALU_DEP_1) | instskip(NEXT) | instid1(VALU_DEP_1)
	v_add_f32_e32 v42, v39, v40
	v_sub_f32_e32 v45, v42, v39
	s_delay_alu instid0(VALU_DEP_1) | instskip(SKIP_1) | instid1(VALU_DEP_1)
	v_sub_f32_e32 v46, v42, v45
	v_sub_f32_e32 v41, v40, v41
	;; [unrolled: 1-line block ×4, first 2 shown]
	s_delay_alu instid0(VALU_DEP_1) | instskip(NEXT) | instid1(VALU_DEP_1)
	v_dual_sub_f32 v40, v40, v45 :: v_dual_sub_f32 v43, v43, v44
	v_add_f32_e32 v41, v43, v38
	v_sub_f32_e32 v39, v39, v46
	s_delay_alu instid0(VALU_DEP_1) | instskip(NEXT) | instid1(VALU_DEP_3)
	v_add_f32_e32 v39, v40, v39
	v_sub_f32_e32 v40, v41, v43
	s_delay_alu instid0(VALU_DEP_1) | instskip(NEXT) | instid1(VALU_DEP_1)
	v_dual_sub_f32 v38, v38, v40 :: v_dual_add_f32 v39, v41, v39
	v_dual_sub_f32 v41, v41, v40 :: v_dual_add_f32 v44, v42, v39
	s_delay_alu instid0(VALU_DEP_1) | instskip(NEXT) | instid1(VALU_DEP_1)
	v_dual_sub_f32 v40, v44, v42 :: v_dual_sub_f32 v41, v43, v41
	v_dual_sub_f32 v39, v39, v40 :: v_dual_add_f32 v38, v38, v41
	s_delay_alu instid0(VALU_DEP_1) | instskip(NEXT) | instid1(VALU_DEP_1)
	v_add_f32_e32 v38, v38, v39
	v_add_f32_e32 v38, v44, v38
	s_delay_alu instid0(VALU_DEP_1) | instskip(SKIP_1) | instid1(VALU_DEP_2)
	v_cndmask_b32_e32 v38, v38, v34, vcc_lo
	v_cmp_ngt_f32_e32 vcc_lo, -1.0, v34
	v_cndmask_b32_e32 v38, 0x7fc00000, v38, vcc_lo
	v_cmp_neq_f32_e32 vcc_lo, -1.0, v34
	s_delay_alu instid0(VALU_DEP_2) | instskip(SKIP_1) | instid1(VALU_DEP_2)
	v_cndmask_b32_e32 v38, 0xff800000, v38, vcc_lo
	v_cmp_gt_f32_e64 vcc_lo, 0x33800000, |v34|
	v_cndmask_b32_e32 v34, v38, v34, vcc_lo
.LBB44_528:                             ;   in Loop: Header=BB44_401 Depth=1
	s_and_not1_saveexec_b32 s38, s38
	s_cbranch_execz .LBB44_530
; %bb.529:                              ;   in Loop: Header=BB44_401 Depth=1
	v_sub_f32_e64 v34, 1.0, |v12|
	s_delay_alu instid0(VALU_DEP_1) | instskip(NEXT) | instid1(VALU_DEP_1)
	v_mul_f32_e32 v34, v34, v33
	v_mul_f32_e32 v38, 0x4f800000, v34
	v_cmp_gt_f32_e32 vcc_lo, 0xf800000, v34
	s_delay_alu instid0(VALU_DEP_2) | instskip(NEXT) | instid1(VALU_DEP_1)
	v_cndmask_b32_e32 v34, v34, v38, vcc_lo
	v_sqrt_f32_e32 v38, v34
	s_waitcnt_depctr 0xfff
	v_add_nc_u32_e32 v39, -1, v38
	v_add_nc_u32_e32 v40, 1, v38
	s_delay_alu instid0(VALU_DEP_2) | instskip(NEXT) | instid1(VALU_DEP_2)
	v_fma_f32 v41, -v39, v38, v34
	v_fma_f32 v42, -v40, v38, v34
	s_delay_alu instid0(VALU_DEP_2) | instskip(NEXT) | instid1(VALU_DEP_1)
	v_cmp_ge_f32_e64 s7, 0, v41
	v_cndmask_b32_e64 v38, v38, v39, s7
	s_delay_alu instid0(VALU_DEP_3) | instskip(NEXT) | instid1(VALU_DEP_1)
	v_cmp_lt_f32_e64 s7, 0, v42
	v_cndmask_b32_e64 v38, v38, v40, s7
	s_delay_alu instid0(VALU_DEP_1) | instskip(NEXT) | instid1(VALU_DEP_1)
	v_mul_f32_e32 v39, 0x37800000, v38
	v_dual_cndmask_b32 v38, v38, v39 :: v_dual_and_b32 v39, 0x7fffffff, v13
	v_cmp_class_f32_e64 vcc_lo, v34, 0x260
	s_delay_alu instid0(VALU_DEP_2) | instskip(NEXT) | instid1(VALU_DEP_1)
	v_cndmask_b32_e32 v34, v38, v34, vcc_lo
	v_div_scale_f32 v38, null, v34, v34, v39
	v_div_scale_f32 v39, vcc_lo, v39, v34, v39
	s_delay_alu instid0(VALU_DEP_2) | instskip(SKIP_2) | instid1(VALU_DEP_1)
	v_rcp_f32_e32 v40, v38
	s_waitcnt_depctr 0xfff
	v_fma_f32 v41, -v38, v40, 1.0
	v_fmac_f32_e32 v40, v41, v40
	s_delay_alu instid0(VALU_DEP_1) | instskip(NEXT) | instid1(VALU_DEP_1)
	v_mul_f32_e32 v41, v39, v40
	v_fma_f32 v42, -v38, v41, v39
	s_delay_alu instid0(VALU_DEP_1) | instskip(NEXT) | instid1(VALU_DEP_1)
	v_fmac_f32_e32 v41, v42, v40
	v_fma_f32 v38, -v38, v41, v39
	s_delay_alu instid0(VALU_DEP_1) | instskip(NEXT) | instid1(VALU_DEP_1)
	v_div_fmas_f32 v38, v38, v40, v41
	v_div_fixup_f32 v34, v38, v34, |v13|
.LBB44_530:                             ;   in Loop: Header=BB44_401 Depth=1
	s_or_b32 exec_lo, exec_lo, s38
.LBB44_531:                             ;   in Loop: Header=BB44_401 Depth=1
	s_delay_alu instid0(SALU_CYCLE_1)
	s_or_b32 exec_lo, exec_lo, s37
.LBB44_532:                             ;   in Loop: Header=BB44_401 Depth=1
	s_and_not1_saveexec_b32 s36, s36
	s_cbranch_execz .LBB44_534
; %bb.533:                              ;   in Loop: Header=BB44_401 Depth=1
	v_mul_f32_e64 v34, 0x4f800000, |v13|
	v_cmp_gt_f32_e64 vcc_lo, 0xf800000, |v13|
	s_delay_alu instid0(VALU_DEP_1) | instskip(NEXT) | instid1(VALU_DEP_1)
	v_cndmask_b32_e64 v34, |v13|, v34, vcc_lo
	v_sqrt_f32_e32 v38, v34
	s_waitcnt_depctr 0xfff
	v_add_nc_u32_e32 v39, -1, v38
	v_add_nc_u32_e32 v40, 1, v38
	s_delay_alu instid0(VALU_DEP_2) | instskip(NEXT) | instid1(VALU_DEP_2)
	v_fma_f32 v41, -v39, v38, v34
	v_fma_f32 v42, -v40, v38, v34
	s_delay_alu instid0(VALU_DEP_2) | instskip(NEXT) | instid1(VALU_DEP_1)
	v_cmp_ge_f32_e64 s7, 0, v41
	v_cndmask_b32_e64 v38, v38, v39, s7
	s_delay_alu instid0(VALU_DEP_3) | instskip(NEXT) | instid1(VALU_DEP_1)
	v_cmp_lt_f32_e64 s7, 0, v42
	v_cndmask_b32_e64 v38, v38, v40, s7
	s_delay_alu instid0(VALU_DEP_1) | instskip(NEXT) | instid1(VALU_DEP_1)
	v_mul_f32_e32 v39, 0x37800000, v38
	v_cndmask_b32_e32 v38, v38, v39, vcc_lo
	v_cmp_class_f32_e64 vcc_lo, v34, 0x260
	s_delay_alu instid0(VALU_DEP_2)
	v_cndmask_b32_e32 v34, v38, v34, vcc_lo
.LBB44_534:                             ;   in Loop: Header=BB44_401 Depth=1
	s_or_b32 exec_lo, exec_lo, s36
.LBB44_535:                             ;   in Loop: Header=BB44_401 Depth=1
	s_delay_alu instid0(SALU_CYCLE_1) | instskip(NEXT) | instid1(SALU_CYCLE_1)
	s_or_b32 exec_lo, exec_lo, s8
	s_mov_b32 s36, exec_lo
                                        ; implicit-def: $sgpr7
                                        ; implicit-def: $vgpr38
                                        ; implicit-def: $vgpr40
                                        ; implicit-def: $vgpr39
	v_cmpx_ngt_f32_e64 0x21000000, |v12|
	s_xor_b32 s36, exec_lo, s36
	s_cbranch_execz .LBB44_559
; %bb.536:                              ;   in Loop: Header=BB44_401 Depth=1
	v_and_b32_e32 v39, 0x7fffffff, v12
	s_mov_b32 s7, 0
	s_mov_b32 s37, exec_lo
	s_delay_alu instid0(VALU_DEP_1) | instskip(NEXT) | instid1(VALU_DEP_1)
	v_div_scale_f32 v38, null, v10, v10, v39
	v_rcp_f32_e32 v40, v38
	s_waitcnt_depctr 0xfff
	v_fma_f32 v41, -v38, v40, 1.0
	s_delay_alu instid0(VALU_DEP_1) | instskip(SKIP_1) | instid1(VALU_DEP_1)
	v_fmac_f32_e32 v40, v41, v40
	v_div_scale_f32 v41, vcc_lo, v39, v10, v39
	v_mul_f32_e32 v42, v41, v40
	s_delay_alu instid0(VALU_DEP_1) | instskip(NEXT) | instid1(VALU_DEP_1)
	v_fma_f32 v43, -v38, v42, v41
	v_fmac_f32_e32 v42, v43, v40
	s_delay_alu instid0(VALU_DEP_1) | instskip(NEXT) | instid1(VALU_DEP_1)
	v_fma_f32 v38, -v38, v42, v41
	v_div_fmas_f32 v38, v38, v40, v42
                                        ; implicit-def: $vgpr40
	s_delay_alu instid0(VALU_DEP_1) | instskip(NEXT) | instid1(VALU_DEP_1)
	v_div_fixup_f32 v38, v38, v10, |v12|
	v_cmpx_lt_f32_e32 0x3f244674, v38
	s_cbranch_execz .LBB44_558
; %bb.537:                              ;   in Loop: Header=BB44_401 Depth=1
	v_cmp_neq_f32_e64 s7, |v12|, 1.0
	v_cmp_ngt_f32_e64 s8, 0x30800000, |v13|
                                        ; implicit-def: $sgpr38
                                        ; implicit-def: $vgpr40
	s_delay_alu instid0(VALU_DEP_1) | instskip(NEXT) | instid1(SALU_CYCLE_1)
	s_or_b32 s7, s8, s7
	s_and_saveexec_b32 s8, s7
	s_delay_alu instid0(SALU_CYCLE_1)
	s_xor_b32 s8, exec_lo, s8
	s_cbranch_execz .LBB44_555
; %bb.538:                              ;   in Loop: Header=BB44_401 Depth=1
	v_mul_f32_e64 v40, 0x34000000, |v11|
                                        ; implicit-def: $sgpr38
	s_delay_alu instid0(VALU_DEP_1) | instskip(NEXT) | instid1(VALU_DEP_1)
	v_cmp_le_f32_e64 s7, v40, |v13|
                                        ; implicit-def: $vgpr40
	s_and_saveexec_b32 s39, s7
	s_delay_alu instid0(SALU_CYCLE_1)
	s_xor_b32 s39, exec_lo, s39
	s_cbranch_execz .LBB44_548
; %bb.539:                              ;   in Loop: Header=BB44_401 Depth=1
	v_mov_b32_e32 v40, v36
	s_mov_b32 s7, exec_lo
	v_cmpx_neq_f32_e32 0, v33
	s_cbranch_execz .LBB44_541
; %bb.540:                              ;   in Loop: Header=BB44_401 Depth=1
	v_mul_f32_e32 v40, v13, v13
	v_add_f32_e32 v33, v33, v37
	s_delay_alu instid0(VALU_DEP_1) | instskip(NEXT) | instid1(VALU_DEP_1)
	v_div_scale_f32 v37, null, v33, v33, v40
	v_rcp_f32_e32 v41, v37
	s_waitcnt_depctr 0xfff
	v_fma_f32 v42, -v37, v41, 1.0
	s_delay_alu instid0(VALU_DEP_1) | instskip(SKIP_1) | instid1(VALU_DEP_1)
	v_fmac_f32_e32 v41, v42, v41
	v_div_scale_f32 v42, vcc_lo, v40, v33, v40
	v_mul_f32_e32 v43, v42, v41
	s_delay_alu instid0(VALU_DEP_1) | instskip(NEXT) | instid1(VALU_DEP_1)
	v_fma_f32 v44, -v37, v43, v42
	v_fmac_f32_e32 v43, v44, v41
	s_delay_alu instid0(VALU_DEP_1) | instskip(NEXT) | instid1(VALU_DEP_1)
	v_fma_f32 v37, -v37, v43, v42
	v_div_fmas_f32 v37, v37, v41, v43
	s_delay_alu instid0(VALU_DEP_1)
	v_div_fixup_f32 v40, v37, v33, v40
.LBB44_541:                             ;   in Loop: Header=BB44_401 Depth=1
	s_or_b32 exec_lo, exec_lo, s7
	s_delay_alu instid0(SALU_CYCLE_1)
	s_mov_b32 s7, exec_lo
	v_cmpx_ngt_f32_e32 0, v11
	s_xor_b32 s7, exec_lo, s7
	s_cbranch_execz .LBB44_545
; %bb.542:                              ;   in Loop: Header=BB44_401 Depth=1
	s_mov_b32 s38, exec_lo
	v_cmpx_neq_f32_e32 0, v11
	s_cbranch_execz .LBB44_544
; %bb.543:                              ;   in Loop: Header=BB44_401 Depth=1
	v_mul_f32_e32 v13, v13, v13
	v_add_f32_e32 v11, v11, v35
	s_delay_alu instid0(VALU_DEP_1) | instskip(NEXT) | instid1(VALU_DEP_1)
	v_div_scale_f32 v33, null, v11, v11, v13
	v_rcp_f32_e32 v35, v33
	s_waitcnt_depctr 0xfff
	v_fma_f32 v36, -v33, v35, 1.0
	s_delay_alu instid0(VALU_DEP_1) | instskip(SKIP_1) | instid1(VALU_DEP_1)
	v_fmac_f32_e32 v35, v36, v35
	v_div_scale_f32 v36, vcc_lo, v13, v11, v13
	v_mul_f32_e32 v37, v36, v35
	s_delay_alu instid0(VALU_DEP_1) | instskip(NEXT) | instid1(VALU_DEP_1)
	v_fma_f32 v41, -v33, v37, v36
	v_fmac_f32_e32 v37, v41, v35
	s_delay_alu instid0(VALU_DEP_1) | instskip(NEXT) | instid1(VALU_DEP_1)
	v_fma_f32 v33, -v33, v37, v36
	v_div_fmas_f32 v33, v33, v35, v37
	s_delay_alu instid0(VALU_DEP_1)
	v_div_fixup_f32 v36, v33, v11, v13
.LBB44_544:                             ;   in Loop: Header=BB44_401 Depth=1
	s_or_b32 exec_lo, exec_lo, s38
                                        ; implicit-def: $vgpr35
                                        ; implicit-def: $vgpr11
.LBB44_545:                             ;   in Loop: Header=BB44_401 Depth=1
	s_and_not1_saveexec_b32 s7, s7
; %bb.546:                              ;   in Loop: Header=BB44_401 Depth=1
	v_sub_f32_e32 v36, v35, v11
; %bb.547:                              ;   in Loop: Header=BB44_401 Depth=1
	s_or_b32 exec_lo, exec_lo, s7
	s_delay_alu instid0(VALU_DEP_1) | instskip(SKIP_2) | instid1(VALU_DEP_2)
	v_mul_f32_e32 v11, 0.5, v36
	v_add_f32_e64 v10, |v12|, v10
	s_mov_b32 s38, -1
	v_fmac_f32_e32 v11, 0.5, v40
	s_delay_alu instid0(VALU_DEP_1) | instskip(NEXT) | instid1(VALU_DEP_1)
	v_mul_f32_e32 v10, v10, v11
	v_mul_f32_e32 v11, 0x4f800000, v10
	v_cmp_gt_f32_e32 vcc_lo, 0xf800000, v10
	s_delay_alu instid0(VALU_DEP_2) | instskip(NEXT) | instid1(VALU_DEP_1)
	v_cndmask_b32_e32 v10, v10, v11, vcc_lo
	v_sqrt_f32_e32 v11, v10
	s_waitcnt_depctr 0xfff
	v_add_nc_u32_e32 v12, -1, v11
	v_add_nc_u32_e32 v13, 1, v11
	s_delay_alu instid0(VALU_DEP_2) | instskip(NEXT) | instid1(VALU_DEP_2)
	v_fma_f32 v33, -v12, v11, v10
	v_fma_f32 v35, -v13, v11, v10
	s_delay_alu instid0(VALU_DEP_2) | instskip(NEXT) | instid1(VALU_DEP_1)
	v_cmp_ge_f32_e64 s7, 0, v33
                                        ; implicit-def: $vgpr33
	v_cndmask_b32_e64 v11, v11, v12, s7
	s_delay_alu instid0(VALU_DEP_3) | instskip(NEXT) | instid1(VALU_DEP_1)
	v_cmp_lt_f32_e64 s7, 0, v35
	v_cndmask_b32_e64 v11, v11, v13, s7
                                        ; implicit-def: $vgpr13
	s_delay_alu instid0(VALU_DEP_1) | instskip(NEXT) | instid1(VALU_DEP_1)
	v_mul_f32_e32 v12, 0x37800000, v11
	v_cndmask_b32_e32 v11, v11, v12, vcc_lo
	v_cmp_class_f32_e64 vcc_lo, v10, 0x260
	s_delay_alu instid0(VALU_DEP_2)
	v_cndmask_b32_e32 v40, v11, v10, vcc_lo
                                        ; implicit-def: $vgpr11
.LBB44_548:                             ;   in Loop: Header=BB44_401 Depth=1
	s_and_not1_saveexec_b32 s39, s39
	s_cbranch_execz .LBB44_554
; %bb.549:                              ;   in Loop: Header=BB44_401 Depth=1
	s_mov_b32 s41, exec_lo
                                        ; implicit-def: $vgpr40
                                        ; implicit-def: $sgpr40
	v_cmpx_ngt_f32_e64 |v12|, 1.0
	s_xor_b32 s41, exec_lo, s41
	s_cbranch_execz .LBB44_551
; %bb.550:                              ;   in Loop: Header=BB44_401 Depth=1
	v_sub_f32_e64 v10, 1.0, |v12|
	s_mov_b32 s40, -1
	s_delay_alu instid0(VALU_DEP_1) | instskip(NEXT) | instid1(VALU_DEP_1)
	v_mul_f32_e32 v10, v10, v33
	v_mul_f32_e32 v11, 0x4f800000, v10
	v_cmp_gt_f32_e32 vcc_lo, 0xf800000, v10
	s_delay_alu instid0(VALU_DEP_2) | instskip(NEXT) | instid1(VALU_DEP_1)
	v_cndmask_b32_e32 v10, v10, v11, vcc_lo
	v_sqrt_f32_e32 v11, v10
	s_waitcnt_depctr 0xfff
	v_add_nc_u32_e32 v12, -1, v11
	v_add_nc_u32_e32 v13, 1, v11
	s_delay_alu instid0(VALU_DEP_2) | instskip(NEXT) | instid1(VALU_DEP_2)
	v_fma_f32 v33, -v12, v11, v10
	v_fma_f32 v35, -v13, v11, v10
	s_delay_alu instid0(VALU_DEP_2) | instskip(NEXT) | instid1(VALU_DEP_1)
	v_cmp_ge_f32_e64 s7, 0, v33
                                        ; implicit-def: $vgpr33
	v_cndmask_b32_e64 v11, v11, v12, s7
	s_delay_alu instid0(VALU_DEP_3) | instskip(NEXT) | instid1(VALU_DEP_1)
	v_cmp_lt_f32_e64 s7, 0, v35
	v_cndmask_b32_e64 v11, v11, v13, s7
                                        ; implicit-def: $vgpr13
	s_delay_alu instid0(VALU_DEP_1) | instskip(NEXT) | instid1(VALU_DEP_1)
	v_mul_f32_e32 v12, 0x37800000, v11
	v_cndmask_b32_e32 v11, v11, v12, vcc_lo
	v_cmp_class_f32_e64 vcc_lo, v10, 0x260
	s_delay_alu instid0(VALU_DEP_2)
	v_cndmask_b32_e32 v40, v11, v10, vcc_lo
                                        ; implicit-def: $vgpr11
.LBB44_551:                             ;   in Loop: Header=BB44_401 Depth=1
	s_and_not1_saveexec_b32 s41, s41
	s_cbranch_execz .LBB44_553
; %bb.552:                              ;   in Loop: Header=BB44_401 Depth=1
	v_mul_f32_e32 v10, v33, v11
	v_mul_f32_e64 v13, 0x57800000, |v13|
	v_mul_f32_e64 v39, 0x57800000, |v12|
	s_or_b32 s40, s40, exec_lo
	s_delay_alu instid0(VALU_DEP_3) | instskip(SKIP_2) | instid1(VALU_DEP_3)
	v_mul_f32_e32 v11, 0x4f800000, v10
	v_cmp_gt_f32_e32 vcc_lo, 0xf800000, v10
	v_mul_f32_e64 v13, |v12|, v13
	v_cndmask_b32_e32 v10, v10, v11, vcc_lo
	s_delay_alu instid0(VALU_DEP_1) | instskip(SKIP_3) | instid1(VALU_DEP_2)
	v_sqrt_f32_e32 v11, v10
	s_waitcnt_depctr 0xfff
	v_add_nc_u32_e32 v33, -1, v11
	v_add_nc_u32_e32 v35, 1, v11
	v_fma_f32 v36, -v33, v11, v10
	s_delay_alu instid0(VALU_DEP_2) | instskip(NEXT) | instid1(VALU_DEP_2)
	v_fma_f32 v37, -v35, v11, v10
	v_cmp_ge_f32_e64 s7, 0, v36
	s_delay_alu instid0(VALU_DEP_1) | instskip(NEXT) | instid1(VALU_DEP_3)
	v_cndmask_b32_e64 v11, v11, v33, s7
	v_cmp_lt_f32_e64 s7, 0, v37
	s_delay_alu instid0(VALU_DEP_1) | instskip(NEXT) | instid1(VALU_DEP_1)
	v_cndmask_b32_e64 v11, v11, v35, s7
	v_mul_f32_e32 v33, 0x37800000, v11
	s_delay_alu instid0(VALU_DEP_1) | instskip(SKIP_1) | instid1(VALU_DEP_2)
	v_cndmask_b32_e32 v11, v11, v33, vcc_lo
	v_cmp_class_f32_e64 vcc_lo, v10, 0x260
	v_cndmask_b32_e32 v10, v11, v10, vcc_lo
	s_delay_alu instid0(VALU_DEP_1) | instskip(SKIP_1) | instid1(VALU_DEP_2)
	v_div_scale_f32 v11, null, v10, v10, v13
	v_div_scale_f32 v36, vcc_lo, v13, v10, v13
	v_rcp_f32_e32 v33, v11
	s_waitcnt_depctr 0xfff
	v_fma_f32 v35, -v11, v33, 1.0
	s_delay_alu instid0(VALU_DEP_1) | instskip(NEXT) | instid1(VALU_DEP_1)
	v_fmac_f32_e32 v33, v35, v33
	v_mul_f32_e32 v35, v36, v33
	s_delay_alu instid0(VALU_DEP_1) | instskip(NEXT) | instid1(VALU_DEP_1)
	v_fma_f32 v37, -v11, v35, v36
	v_fmac_f32_e32 v35, v37, v33
	s_delay_alu instid0(VALU_DEP_1) | instskip(NEXT) | instid1(VALU_DEP_1)
	v_fma_f32 v11, -v11, v35, v36
	v_div_fmas_f32 v11, v11, v33, v35
	s_delay_alu instid0(VALU_DEP_1)
	v_div_fixup_f32 v40, v11, v10, v13
.LBB44_553:                             ;   in Loop: Header=BB44_401 Depth=1
	s_or_b32 exec_lo, exec_lo, s41
	s_delay_alu instid0(SALU_CYCLE_1) | instskip(SKIP_1) | instid1(SALU_CYCLE_1)
	s_and_not1_b32 s7, s38, exec_lo
	s_and_b32 s38, s40, exec_lo
	s_or_b32 s38, s7, s38
.LBB44_554:                             ;   in Loop: Header=BB44_401 Depth=1
	s_or_b32 exec_lo, exec_lo, s39
	s_delay_alu instid0(SALU_CYCLE_1)
	s_and_b32 s38, s38, exec_lo
                                        ; implicit-def: $vgpr13
                                        ; implicit-def: $vgpr10
.LBB44_555:                             ;   in Loop: Header=BB44_401 Depth=1
	s_and_not1_saveexec_b32 s39, s8
	s_cbranch_execz .LBB44_557
; %bb.556:                              ;   in Loop: Header=BB44_401 Depth=1
	v_add_f32_e32 v10, 1.0, v10
	v_mul_f32_e64 v11, 0x4f800000, |v13|
	v_cmp_gt_f32_e64 vcc_lo, 0xf800000, |v13|
	s_or_b32 s38, s38, exec_lo
	s_delay_alu instid0(VALU_DEP_3) | instskip(NEXT) | instid1(VALU_DEP_2)
	v_mul_f32_e32 v10, 0.5, v10
	v_cndmask_b32_e64 v11, |v13|, v11, vcc_lo
	s_delay_alu instid0(VALU_DEP_2) | instskip(SKIP_1) | instid1(VALU_DEP_1)
	v_mul_f32_e32 v12, 0x4f800000, v10
	v_cmp_gt_f32_e64 s7, 0xf800000, v10
	v_cndmask_b32_e64 v10, v10, v12, s7
	s_delay_alu instid0(VALU_DEP_4) | instskip(NEXT) | instid1(VALU_DEP_1)
	v_sqrt_f32_e32 v12, v11
	v_sqrt_f32_e32 v13, v10
	s_waitcnt_depctr 0xfff
	v_add_nc_u32_e32 v33, -1, v12
	v_add_nc_u32_e32 v36, 1, v12
	v_add_nc_u32_e32 v35, -1, v13
	s_delay_alu instid0(VALU_DEP_3) | instskip(SKIP_1) | instid1(VALU_DEP_4)
	v_fma_f32 v37, -v33, v12, v11
	v_add_nc_u32_e32 v39, 1, v13
	v_fma_f32 v41, -v36, v12, v11
	s_delay_alu instid0(VALU_DEP_4) | instskip(NEXT) | instid1(VALU_DEP_4)
	v_fma_f32 v40, -v35, v13, v10
	v_cmp_ge_f32_e64 s8, 0, v37
	s_delay_alu instid0(VALU_DEP_1) | instskip(NEXT) | instid1(VALU_DEP_3)
	v_cndmask_b32_e64 v12, v12, v33, s8
	v_cmp_ge_f32_e64 s8, 0, v40
	v_fma_f32 v33, -v39, v13, v10
	s_delay_alu instid0(VALU_DEP_2) | instskip(SKIP_1) | instid1(VALU_DEP_1)
	v_cndmask_b32_e64 v13, v13, v35, s8
	v_cmp_lt_f32_e64 s8, 0, v41
	v_cndmask_b32_e64 v12, v12, v36, s8
	s_delay_alu instid0(VALU_DEP_4) | instskip(NEXT) | instid1(VALU_DEP_1)
	v_cmp_lt_f32_e64 s8, 0, v33
	v_cndmask_b32_e64 v13, v13, v39, s8
	v_mov_b32_e32 v39, 1.0
	s_delay_alu instid0(VALU_DEP_2) | instskip(NEXT) | instid1(VALU_DEP_1)
	v_mul_f32_e32 v35, 0x37800000, v13
	v_cndmask_b32_e64 v13, v13, v35, s7
	v_mul_f32_e32 v33, 0x37800000, v12
	s_delay_alu instid0(VALU_DEP_1) | instskip(SKIP_1) | instid1(VALU_DEP_2)
	v_cndmask_b32_e32 v12, v12, v33, vcc_lo
	v_cmp_class_f32_e64 vcc_lo, v11, 0x260
	v_cndmask_b32_e32 v11, v12, v11, vcc_lo
	v_cmp_class_f32_e64 vcc_lo, v10, 0x260
	v_cndmask_b32_e32 v10, v13, v10, vcc_lo
	s_delay_alu instid0(VALU_DEP_1)
	v_mul_f32_e32 v40, v11, v10
.LBB44_557:                             ;   in Loop: Header=BB44_401 Depth=1
	s_or_b32 exec_lo, exec_lo, s39
	s_delay_alu instid0(SALU_CYCLE_1)
	s_and_b32 s7, s38, exec_lo
.LBB44_558:                             ;   in Loop: Header=BB44_401 Depth=1
	s_or_b32 exec_lo, exec_lo, s37
	s_delay_alu instid0(SALU_CYCLE_1)
	s_and_b32 s7, s7, exec_lo
                                        ; implicit-def: $vgpr10
                                        ; implicit-def: $vgpr12
.LBB44_559:                             ;   in Loop: Header=BB44_401 Depth=1
	s_and_not1_saveexec_b32 s8, s36
; %bb.560:                              ;   in Loop: Header=BB44_401 Depth=1
	v_mul_f32_e32 v40, 0x4b800000, v10
	v_mul_f32_e64 v39, 0x4b800000, |v12|
	s_or_b32 s7, s7, exec_lo
                                        ; implicit-def: $vgpr38
; %bb.561:                              ;   in Loop: Header=BB44_401 Depth=1
	s_or_b32 exec_lo, exec_lo, s8
	s_xor_b32 s7, s7, -1
                                        ; implicit-def: $vgpr10
	s_delay_alu instid0(SALU_CYCLE_1) | instskip(NEXT) | instid1(SALU_CYCLE_1)
	s_and_saveexec_b32 s8, s7
	s_xor_b32 s8, exec_lo, s8
	s_cbranch_execz .LBB44_567
; %bb.562:                              ;   in Loop: Header=BB44_401 Depth=1
                                        ; implicit-def: $vgpr10
	s_and_saveexec_b32 s7, s6
	s_delay_alu instid0(SALU_CYCLE_1)
	s_xor_b32 s7, exec_lo, s7
	s_cbranch_execz .LBB44_564
; %bb.563:                              ;   in Loop: Header=BB44_401 Depth=1
	v_fma_f32 v10, |v38|, -0.5, 0.5
	v_mul_f32_e32 v11, v38, v38
	v_cmp_gt_f32_e64 vcc_lo, |v38|, 0.5
	s_delay_alu instid0(VALU_DEP_2) | instskip(NEXT) | instid1(VALU_DEP_1)
	v_cndmask_b32_e32 v10, v11, v10, vcc_lo
	v_fmaak_f32 v11, s30, v10, 0x3c5fc5da
	v_sqrt_f32_e32 v12, v10
	s_delay_alu instid0(VALU_DEP_1) | instskip(NEXT) | instid1(VALU_DEP_1)
	v_fmaak_f32 v11, v10, v11, 0x3d034c3c
	v_fmaak_f32 v11, v10, v11, 0x3d3641b1
	s_delay_alu instid0(VALU_DEP_1) | instskip(NEXT) | instid1(VALU_DEP_1)
	v_fmaak_f32 v11, v10, v11, 0x3d999bc8
	v_fmaak_f32 v11, v10, v11, 0x3e2aaaac
	s_delay_alu instid0(VALU_DEP_1) | instskip(NEXT) | instid1(VALU_DEP_1)
	v_mul_f32_e32 v10, v10, v11
	v_fmac_f32_e32 v38, v38, v10
	s_delay_alu instid0(VALU_DEP_1) | instskip(NEXT) | instid1(TRANS32_DEP_1)
	v_sub_f32_e32 v11, 0x3fc90fdb, v38
	v_fmac_f32_e32 v12, v12, v10
                                        ; implicit-def: $vgpr38
	s_delay_alu instid0(VALU_DEP_1) | instskip(NEXT) | instid1(VALU_DEP_1)
	v_add_f32_e32 v10, v12, v12
	v_cndmask_b32_e32 v10, v11, v10, vcc_lo
.LBB44_564:                             ;   in Loop: Header=BB44_401 Depth=1
	s_and_not1_saveexec_b32 s36, s7
	s_cbranch_execz .LBB44_566
; %bb.565:                              ;   in Loop: Header=BB44_401 Depth=1
	v_fma_f32 v10, |v38|, -0.5, 0.5
	v_mul_f32_e32 v11, v38, v38
	v_cmp_gt_f32_e64 vcc_lo, |v38|, 0.5
	v_cmp_lt_f32_e64 s7, 0, v38
	s_delay_alu instid0(VALU_DEP_3) | instskip(NEXT) | instid1(VALU_DEP_1)
	v_cndmask_b32_e32 v10, v11, v10, vcc_lo
	v_fmaak_f32 v11, s30, v10, 0x3c5fc5da
	v_sqrt_f32_e32 v12, v10
	s_delay_alu instid0(VALU_DEP_1) | instskip(NEXT) | instid1(VALU_DEP_1)
	v_fmaak_f32 v11, v10, v11, 0x3d034c3c
	v_fmaak_f32 v11, v10, v11, 0x3d3641b1
	s_delay_alu instid0(VALU_DEP_1) | instskip(NEXT) | instid1(VALU_DEP_1)
	v_fmaak_f32 v11, v10, v11, 0x3d999bc8
	v_fmaak_f32 v11, v10, v11, 0x3e2aaaac
	s_delay_alu instid0(VALU_DEP_1) | instskip(SKIP_3) | instid1(VALU_DEP_1)
	v_mul_f32_e32 v10, v10, v11
	s_waitcnt_depctr 0xfff
	v_fmac_f32_e32 v12, v12, v10
	v_fma_f32 v10, -v38, v10, -v38
	v_dual_add_f32 v11, v12, v12 :: v_dual_sub_f32 v10, 0x3fc90fdb, v10
	s_delay_alu instid0(VALU_DEP_1) | instskip(NEXT) | instid1(VALU_DEP_1)
	v_sub_f32_e32 v12, 0x40490fdb, v11
	v_cndmask_b32_e64 v11, v11, v12, s7
	s_delay_alu instid0(VALU_DEP_1)
	v_cndmask_b32_e32 v10, v10, v11, vcc_lo
.LBB44_566:                             ;   in Loop: Header=BB44_401 Depth=1
	s_or_b32 exec_lo, exec_lo, s36
                                        ; implicit-def: $vgpr40
                                        ; implicit-def: $vgpr39
.LBB44_567:                             ;   in Loop: Header=BB44_401 Depth=1
	s_and_not1_saveexec_b32 s8, s8
	s_cbranch_execz .LBB44_573
; %bb.568:                              ;   in Loop: Header=BB44_401 Depth=1
                                        ; implicit-def: $vgpr10
	s_and_saveexec_b32 s7, s6
	s_delay_alu instid0(SALU_CYCLE_1)
	s_xor_b32 s7, exec_lo, s7
	s_cbranch_execz .LBB44_570
; %bb.569:                              ;   in Loop: Header=BB44_401 Depth=1
	v_max_f32_e64 v10, |v40|, |v40|
	v_max_f32_e32 v11, v39, v39
	v_cmp_gt_f32_e64 vcc_lo, |v40|, v39
	v_cmp_neq_f32_e64 s6, 0, v40
	v_cmp_class_f32_e64 s36, v40, 0x204
	s_delay_alu instid0(VALU_DEP_4) | instskip(SKIP_1) | instid1(VALU_DEP_2)
	v_max_f32_e32 v12, v11, v10
	v_min_f32_e32 v10, v11, v10
	v_frexp_mant_f32_e32 v13, v12
	s_delay_alu instid0(VALU_DEP_1) | instskip(NEXT) | instid1(VALU_DEP_2)
	v_rcp_f32_e32 v11, v13
	v_frexp_mant_f32_e32 v13, v10
	v_frexp_exp_i32_f32_e32 v10, v10
	s_waitcnt_depctr 0xfff
	v_mul_f32_e32 v11, v13, v11
	v_frexp_exp_i32_f32_e32 v12, v12
	s_delay_alu instid0(VALU_DEP_1) | instskip(NEXT) | instid1(VALU_DEP_1)
	v_sub_nc_u32_e32 v10, v10, v12
	v_ldexp_f32 v10, v11, v10
	s_delay_alu instid0(VALU_DEP_1) | instskip(NEXT) | instid1(VALU_DEP_1)
	v_mul_f32_e32 v11, v10, v10
	v_fmaak_f32 v12, s31, v11, 0xbc7a590c
	s_delay_alu instid0(VALU_DEP_1) | instskip(NEXT) | instid1(VALU_DEP_1)
	v_fmaak_f32 v12, v11, v12, 0x3d29fb3f
	v_fmaak_f32 v12, v11, v12, 0xbd97d4d7
	s_delay_alu instid0(VALU_DEP_1) | instskip(NEXT) | instid1(VALU_DEP_1)
	v_fmaak_f32 v12, v11, v12, 0x3dd931b2
	v_fmaak_f32 v12, v11, v12, 0xbe1160e6
	s_delay_alu instid0(VALU_DEP_1) | instskip(NEXT) | instid1(VALU_DEP_1)
	v_fmaak_f32 v12, v11, v12, 0x3e4cb8bf
	v_fmaak_f32 v12, v11, v12, 0xbeaaaa62
	s_delay_alu instid0(VALU_DEP_1) | instskip(NEXT) | instid1(VALU_DEP_1)
	v_mul_f32_e32 v11, v11, v12
	v_fmac_f32_e32 v10, v10, v11
	s_delay_alu instid0(VALU_DEP_1) | instskip(NEXT) | instid1(VALU_DEP_1)
	v_sub_f32_e32 v11, 0x3fc90fdb, v10
	v_cndmask_b32_e32 v10, v10, v11, vcc_lo
	v_cmp_eq_f32_e32 vcc_lo, 0x7f800000, v39
	s_delay_alu instid0(VALU_DEP_2) | instskip(SKIP_2) | instid1(VALU_DEP_2)
	v_cndmask_b32_e64 v10, 0, v10, s6
	s_and_b32 s6, vcc_lo, s36
	v_cmp_o_f32_e32 vcc_lo, v39, v40
                                        ; implicit-def: $vgpr39
	v_cndmask_b32_e64 v10, v10, 0x3f490fdb, s6
	s_delay_alu instid0(VALU_DEP_1) | instskip(NEXT) | instid1(VALU_DEP_1)
	v_cndmask_b32_e32 v10, 0x7fc00000, v10, vcc_lo
	v_bfi_b32 v10, 0x7fffffff, v10, v40
                                        ; implicit-def: $vgpr40
.LBB44_570:                             ;   in Loop: Header=BB44_401 Depth=1
	s_and_not1_saveexec_b32 s36, s7
	s_cbranch_execz .LBB44_572
; %bb.571:                              ;   in Loop: Header=BB44_401 Depth=1
	v_max_f32_e64 v10, |v40|, |v40|
	v_max_f32_e32 v11, v39, v39
	v_cmp_gt_f32_e64 vcc_lo, |v40|, v39
	v_cmp_neq_f32_e64 s7, 0, v40
	v_cmp_eq_f32_e64 s6, 0x7f800000, v39
	v_cmp_class_f32_e64 s37, v40, 0x204
	v_max_f32_e32 v12, v11, v10
	v_min_f32_e32 v10, v11, v10
	s_delay_alu instid0(VALU_DEP_2) | instskip(SKIP_1) | instid1(VALU_DEP_2)
	v_frexp_mant_f32_e32 v13, v12
	v_frexp_exp_i32_f32_e32 v12, v12
	v_rcp_f32_e32 v11, v13
	s_delay_alu instid0(VALU_DEP_3) | instskip(SKIP_1) | instid1(VALU_DEP_2)
	v_frexp_exp_i32_f32_e32 v13, v10
	v_frexp_mant_f32_e32 v10, v10
	v_sub_nc_u32_e32 v12, v13, v12
	s_waitcnt_depctr 0xfff
	v_mul_f32_e32 v10, v10, v11
	s_delay_alu instid0(VALU_DEP_1) | instskip(NEXT) | instid1(VALU_DEP_1)
	v_ldexp_f32 v10, v10, v12
	v_mul_f32_e32 v11, v10, v10
	s_delay_alu instid0(VALU_DEP_1) | instskip(NEXT) | instid1(VALU_DEP_1)
	v_fmaak_f32 v12, s31, v11, 0xbc7a590c
	v_fmaak_f32 v12, v11, v12, 0x3d29fb3f
	s_delay_alu instid0(VALU_DEP_1) | instskip(NEXT) | instid1(VALU_DEP_1)
	v_fmaak_f32 v12, v11, v12, 0xbd97d4d7
	v_fmaak_f32 v12, v11, v12, 0x3dd931b2
	;; [unrolled: 3-line block ×3, first 2 shown]
	s_delay_alu instid0(VALU_DEP_1) | instskip(NEXT) | instid1(VALU_DEP_1)
	v_fmaak_f32 v12, v11, v12, 0xbeaaaa62
	v_mul_f32_e32 v11, v11, v12
	s_delay_alu instid0(VALU_DEP_1) | instskip(NEXT) | instid1(VALU_DEP_1)
	v_fmac_f32_e32 v10, v10, v11
	v_sub_f32_e32 v11, 0x3fc90fdb, v10
	s_delay_alu instid0(VALU_DEP_1) | instskip(SKIP_1) | instid1(VALU_DEP_2)
	v_cndmask_b32_e32 v10, v10, v11, vcc_lo
	v_cmp_lt_f32_e32 vcc_lo, 0, v39
	v_sub_f32_e32 v11, 0x40490fdb, v10
	s_delay_alu instid0(VALU_DEP_1) | instskip(SKIP_2) | instid1(VALU_DEP_2)
	v_cndmask_b32_e32 v10, v10, v11, vcc_lo
	v_cndmask_b32_e32 v11, 0x3f490fdb, v32, vcc_lo
	s_and_b32 vcc_lo, s6, s37
	v_cndmask_b32_e64 v10, 0x40490fdb, v10, s7
	s_delay_alu instid0(VALU_DEP_1) | instskip(SKIP_1) | instid1(VALU_DEP_2)
	v_cndmask_b32_e32 v10, v10, v11, vcc_lo
	v_cmp_o_f32_e64 vcc_lo, v40, -v39
	v_cndmask_b32_e32 v10, 0x7fc00000, v10, vcc_lo
	s_delay_alu instid0(VALU_DEP_1)
	v_bfi_b32 v10, 0x7fffffff, v10, v40
.LBB44_572:                             ;   in Loop: Header=BB44_401 Depth=1
	s_or_b32 exec_lo, exec_lo, s36
.LBB44_573:                             ;   in Loop: Header=BB44_401 Depth=1
	s_delay_alu instid0(SALU_CYCLE_1)
	s_or_b32 exec_lo, exec_lo, s8
	v_cndmask_b32_e64 v11, -v34, v34, s4
                                        ; implicit-def: $vgpr12
.LBB44_574:                             ;   in Loop: Header=BB44_401 Depth=1
	s_and_not1_saveexec_b32 s6, s35
	s_cbranch_execz .LBB44_576
; %bb.575:                              ;   in Loop: Header=BB44_401 Depth=1
	s_waitcnt vmcnt(0) lgkmcnt(0)
	v_dual_mov_b32 v10, s16 :: v_dual_mov_b32 v11, s17
	flat_load_b32 v10, v[10:11] glc dlc
	s_waitcnt vmcnt(0)
	v_xor_b32_e32 v11, 0x80000000, v13
	s_waitcnt lgkmcnt(0)
	v_sub_f32_e32 v10, v10, v12
	s_delay_alu instid0(VALU_DEP_1)
	v_add_f32_e32 v10, 0x3fc90fdb, v10
.LBB44_576:                             ;   in Loop: Header=BB44_401 Depth=1
	s_or_b32 exec_lo, exec_lo, s6
                                        ; implicit-def: $vgpr13
.LBB44_577:                             ;   in Loop: Header=BB44_401 Depth=1
	s_and_not1_saveexec_b32 s6, s34
	s_cbranch_execz .LBB44_579
; %bb.578:                              ;   in Loop: Header=BB44_401 Depth=1
	v_xor_b32_e32 v11, 0x80000000, v13
	s_waitcnt vmcnt(0) lgkmcnt(0)
	v_mov_b32_e32 v10, 0
.LBB44_579:                             ;   in Loop: Header=BB44_401 Depth=1
	s_or_b32 exec_lo, exec_lo, s6
                                        ; implicit-def: $vgpr12
                                        ; implicit-def: $vgpr35
                                        ; implicit-def: $vgpr34
                                        ; implicit-def: $vgpr33
.LBB44_580:                             ;   in Loop: Header=BB44_401 Depth=1
	s_and_not1_saveexec_b32 s8, s33
	s_cbranch_execz .LBB44_590
; %bb.581:                              ;   in Loop: Header=BB44_401 Depth=1
	v_cmp_lt_f32_e64 s6, |v12|, |v13|
                                        ; implicit-def: $vgpr11
                                        ; implicit-def: $vgpr10
	s_mov_b32 s7, exec_lo
	s_delay_alu instid0(VALU_DEP_1) | instskip(NEXT) | instid1(VALU_DEP_1)
	v_cndmask_b32_e64 v36, |v12|, |v13|, s6
	v_cmpx_nlt_f32_e32 0x7effffff, v36
	s_xor_b32 s33, exec_lo, s7
	s_cbranch_execz .LBB44_587
; %bb.582:                              ;   in Loop: Header=BB44_401 Depth=1
	v_cndmask_b32_e64 v37, |v13|, |v12|, s6
	v_cmp_nlt_f32_e32 vcc_lo, 0x5e000000, v36
                                        ; implicit-def: $vgpr11
                                        ; implicit-def: $vgpr10
	s_delay_alu instid0(VALU_DEP_2) | instskip(NEXT) | instid1(VALU_DEP_1)
	v_cmp_ngt_f32_e64 s7, 0x20000000, v37
	s_and_b32 s7, vcc_lo, s7
	s_delay_alu instid0(SALU_CYCLE_1) | instskip(NEXT) | instid1(SALU_CYCLE_1)
	s_and_saveexec_b32 s34, s7
	s_xor_b32 s34, exec_lo, s34
	s_cbranch_execz .LBB44_584
; %bb.583:                              ;   in Loop: Header=BB44_401 Depth=1
	s_waitcnt vmcnt(0) lgkmcnt(0)
	v_frexp_mant_f32_e32 v10, v33
	v_dual_min_f32 v11, v35, v34 :: v_dual_mul_f32 v34, v37, v37
	v_frexp_exp_i32_f32_e32 v33, v33
	s_delay_alu instid0(VALU_DEP_3) | instskip(NEXT) | instid1(VALU_DEP_2)
	v_rcp_f32_e32 v10, v10
	v_frexp_mant_f32_e32 v35, v11
	v_frexp_exp_i32_f32_e32 v11, v11
	s_delay_alu instid0(VALU_DEP_1) | instskip(SKIP_2) | instid1(VALU_DEP_1)
	v_sub_nc_u32_e32 v11, v11, v33
	s_waitcnt_depctr 0xfff
	v_mul_f32_e32 v10, v35, v10
	v_ldexp_f32 v10, v10, v11
	v_fmac_f32_e32 v34, v36, v36
	s_delay_alu instid0(VALU_DEP_1) | instskip(SKIP_1) | instid1(VALU_DEP_1)
	v_cmp_gt_f32_e32 vcc_lo, 0x800000, v34
	v_cndmask_b32_e64 v33, 1.0, 0x4f800000, vcc_lo
	v_mul_f32_e32 v11, v34, v33
	v_mul_f32_e32 v33, v10, v10
	s_delay_alu instid0(VALU_DEP_2) | instskip(SKIP_3) | instid1(VALU_DEP_2)
	v_log_f32_e32 v11, v11
	s_waitcnt_depctr 0xfff
	v_mul_f32_e32 v35, 0x3f317217, v11
	v_cmp_gt_f32_e64 s7, 0x7f800000, |v11|
	v_fma_f32 v36, 0x3f317217, v11, -v35
	s_delay_alu instid0(VALU_DEP_1) | instskip(NEXT) | instid1(VALU_DEP_1)
	v_fmac_f32_e32 v36, 0x3377d1cf, v11
	v_dual_fmaak_f32 v34, s31, v33, 0xbc7a590c :: v_dual_add_f32 v35, v35, v36
	s_delay_alu instid0(VALU_DEP_1) | instskip(SKIP_1) | instid1(VALU_DEP_1)
	v_cndmask_b32_e64 v11, v11, v35, s7
	v_cndmask_b32_e64 v35, 0, 0x41b17218, vcc_lo
	v_dual_fmaak_f32 v34, v33, v34, 0x3d29fb3f :: v_dual_sub_f32 v11, v11, v35
	s_delay_alu instid0(VALU_DEP_1) | instskip(NEXT) | instid1(VALU_DEP_1)
	v_fmaak_f32 v34, v33, v34, 0xbd97d4d7
                                        ; implicit-def: $vgpr35
	v_dual_mul_f32 v11, 0.5, v11 :: v_dual_fmaak_f32 v34, v33, v34, 0x3dd931b2
	s_delay_alu instid0(VALU_DEP_1) | instskip(NEXT) | instid1(VALU_DEP_1)
	v_fmaak_f32 v34, v33, v34, 0xbe1160e6
	v_fmaak_f32 v34, v33, v34, 0x3e4cb8bf
	s_delay_alu instid0(VALU_DEP_1) | instskip(NEXT) | instid1(VALU_DEP_1)
	v_fmaak_f32 v34, v33, v34, 0xbeaaaa62
	v_mul_f32_e32 v33, v33, v34
                                        ; implicit-def: $vgpr34
	s_delay_alu instid0(VALU_DEP_1)
	v_fmac_f32_e32 v10, v10, v33
                                        ; implicit-def: $vgpr33
.LBB44_584:                             ;   in Loop: Header=BB44_401 Depth=1
	s_and_not1_saveexec_b32 s7, s34
	s_cbranch_execz .LBB44_586
; %bb.585:                              ;   in Loop: Header=BB44_401 Depth=1
	s_waitcnt vmcnt(0) lgkmcnt(0)
	v_cvt_f64_f32_e32 v[10:11], v33
	v_min_f32_e32 v34, v35, v34
	v_cmp_neq_f32_e32 vcc_lo, 0x7f800000, v33
	v_frexp_exp_i32_f32_e32 v35, v33
	s_delay_alu instid0(VALU_DEP_3) | instskip(SKIP_1) | instid1(VALU_DEP_2)
	v_frexp_exp_i32_f32_e32 v37, v34
	v_frexp_mant_f32_e32 v34, v34
	v_sub_nc_u32_e32 v35, v37, v35
	v_frexp_exp_i32_f64_e32 v10, v[10:11]
	s_delay_alu instid0(VALU_DEP_1) | instskip(NEXT) | instid1(VALU_DEP_1)
	v_sub_nc_u32_e32 v11, 0, v10
	v_ldexp_f32 v36, |v13|, v11
	v_ldexp_f32 v11, |v12|, v11
	s_delay_alu instid0(VALU_DEP_2) | instskip(NEXT) | instid1(VALU_DEP_1)
	v_mul_f32_e32 v36, v36, v36
	v_fmac_f32_e32 v36, v11, v11
	v_frexp_mant_f32_e32 v11, v33
	s_delay_alu instid0(VALU_DEP_2) | instskip(NEXT) | instid1(VALU_DEP_1)
	v_sqrt_f32_e32 v36, v36
	v_rcp_f32_e32 v11, v11
	s_waitcnt_depctr 0xfff
	v_ldexp_f32 v10, v36, v10
	v_mul_f32_e32 v11, v34, v11
	s_delay_alu instid0(VALU_DEP_2) | instskip(NEXT) | instid1(VALU_DEP_2)
	v_cndmask_b32_e32 v33, 0x7f800000, v10, vcc_lo
	v_ldexp_f32 v10, v11, v35
	s_delay_alu instid0(VALU_DEP_2) | instskip(SKIP_1) | instid1(VALU_DEP_1)
	v_cmp_gt_f32_e32 vcc_lo, 0x800000, v33
	v_cndmask_b32_e64 v11, 1.0, 0x4f800000, vcc_lo
	v_mul_f32_e32 v11, v33, v11
	s_delay_alu instid0(VALU_DEP_1) | instskip(SKIP_2) | instid1(VALU_DEP_1)
	v_log_f32_e32 v11, v11
	s_waitcnt_depctr 0xfff
	v_dual_mul_f32 v34, v10, v10 :: v_dual_mul_f32 v35, 0x3f317217, v11
	v_fmaak_f32 v33, s31, v34, 0xbc7a590c
	s_delay_alu instid0(VALU_DEP_2) | instskip(NEXT) | instid1(VALU_DEP_2)
	v_fma_f32 v36, 0x3f317217, v11, -v35
	v_fmaak_f32 v33, v34, v33, 0x3d29fb3f
	s_delay_alu instid0(VALU_DEP_1) | instskip(NEXT) | instid1(VALU_DEP_1)
	v_fmaak_f32 v33, v34, v33, 0xbd97d4d7
	v_fmaak_f32 v33, v34, v33, 0x3dd931b2
	s_delay_alu instid0(VALU_DEP_1) | instskip(NEXT) | instid1(VALU_DEP_1)
	v_fmaak_f32 v33, v34, v33, 0xbe1160e6
	;; [unrolled: 3-line block ×3, first 2 shown]
	v_dual_fmac_f32 v36, 0x3377d1cf, v11 :: v_dual_mul_f32 v33, v34, v33
	s_delay_alu instid0(VALU_DEP_1) | instskip(SKIP_2) | instid1(VALU_DEP_3)
	v_add_f32_e32 v35, v35, v36
	v_cndmask_b32_e64 v36, 0, 0x41b17218, vcc_lo
	v_cmp_gt_f32_e64 vcc_lo, 0x7f800000, |v11|
	v_dual_fmac_f32 v10, v10, v33 :: v_dual_cndmask_b32 v11, v11, v35
	s_delay_alu instid0(VALU_DEP_1)
	v_sub_f32_e32 v11, v11, v36
.LBB44_586:                             ;   in Loop: Header=BB44_401 Depth=1
	s_or_b32 exec_lo, exec_lo, s7
                                        ; implicit-def: $vgpr35
                                        ; implicit-def: $vgpr34
                                        ; implicit-def: $vgpr33
.LBB44_587:                             ;   in Loop: Header=BB44_401 Depth=1
	s_and_not1_saveexec_b32 s33, s33
	s_cbranch_execz .LBB44_589
; %bb.588:                              ;   in Loop: Header=BB44_401 Depth=1
	s_waitcnt vmcnt(0) lgkmcnt(0)
	v_div_scale_f32 v10, null, 0x402df854, 0x402df854, v12
	v_div_scale_f32 v11, null, 0x402df854, 0x402df854, v13
	v_div_scale_f32 v40, vcc_lo, v12, 0x402df854, v12
	s_delay_alu instid0(VALU_DEP_3) | instskip(NEXT) | instid1(VALU_DEP_2)
	v_rcp_f32_e32 v36, v10
	v_rcp_f32_e32 v37, v11
	v_min_f32_e32 v34, v35, v34
	s_waitcnt_depctr 0xfff
	v_fma_f32 v38, -v10, v36, 1.0
	v_fma_f32 v39, -v11, v37, 1.0
	s_delay_alu instid0(VALU_DEP_1) | instskip(SKIP_1) | instid1(VALU_DEP_2)
	v_dual_fmac_f32 v36, v38, v36 :: v_dual_fmac_f32 v37, v39, v37
	v_div_scale_f32 v38, s7, v13, 0x402df854, v13
	v_mul_f32_e32 v39, v40, v36
	s_delay_alu instid0(VALU_DEP_2) | instskip(NEXT) | instid1(VALU_DEP_2)
	v_mul_f32_e32 v41, v38, v37
	v_fma_f32 v42, -v10, v39, v40
	s_delay_alu instid0(VALU_DEP_2) | instskip(NEXT) | instid1(VALU_DEP_2)
	v_fma_f32 v43, -v11, v41, v38
	v_fmac_f32_e32 v39, v42, v36
	s_delay_alu instid0(VALU_DEP_2) | instskip(NEXT) | instid1(VALU_DEP_2)
	v_fmac_f32_e32 v41, v43, v37
	v_fma_f32 v10, -v10, v39, v40
	s_delay_alu instid0(VALU_DEP_2) | instskip(NEXT) | instid1(VALU_DEP_2)
	v_fma_f32 v11, -v11, v41, v38
	v_div_fmas_f32 v10, v10, v36, v39
	s_mov_b32 vcc_lo, s7
	s_delay_alu instid0(VALU_DEP_2) | instskip(NEXT) | instid1(VALU_DEP_2)
	v_div_fmas_f32 v11, v11, v37, v41
	v_div_fixup_f32 v36, v10, 0x402df854, v12
	s_delay_alu instid0(VALU_DEP_2) | instskip(NEXT) | instid1(VALU_DEP_1)
	v_div_fixup_f32 v37, v11, 0x402df854, v13
	v_max_f32_e64 v38, |v36|, |v37|
	s_delay_alu instid0(VALU_DEP_1) | instskip(SKIP_1) | instid1(VALU_DEP_2)
	v_cvt_f64_f32_e32 v[10:11], v38
	v_cmp_neq_f32_e32 vcc_lo, 0x7f800000, v38
	v_frexp_exp_i32_f64_e32 v10, v[10:11]
	s_delay_alu instid0(VALU_DEP_1) | instskip(NEXT) | instid1(VALU_DEP_1)
	v_sub_nc_u32_e32 v11, 0, v10
	v_ldexp_f32 v37, |v37|, v11
	v_ldexp_f32 v11, |v36|, v11
	s_delay_alu instid0(VALU_DEP_2) | instskip(NEXT) | instid1(VALU_DEP_1)
	v_mul_f32_e32 v36, v37, v37
	v_fmac_f32_e32 v36, v11, v11
	s_delay_alu instid0(VALU_DEP_1) | instskip(SKIP_2) | instid1(VALU_DEP_2)
	v_sqrt_f32_e32 v11, v36
	v_frexp_mant_f32_e32 v36, v33
	v_frexp_exp_i32_f32_e32 v33, v33
	v_rcp_f32_e32 v35, v36
	s_waitcnt_depctr 0xfff
	v_ldexp_f32 v10, v11, v10
	v_frexp_exp_i32_f32_e32 v11, v34
	v_frexp_mant_f32_e32 v34, v34
	s_delay_alu instid0(VALU_DEP_3) | instskip(NEXT) | instid1(VALU_DEP_3)
	v_cndmask_b32_e32 v36, 0x7f800000, v10, vcc_lo
	v_sub_nc_u32_e32 v10, v11, v33
	s_delay_alu instid0(VALU_DEP_3) | instskip(NEXT) | instid1(VALU_DEP_3)
	v_mul_f32_e32 v11, v34, v35
	v_cmp_gt_f32_e32 vcc_lo, 0x800000, v36
	s_delay_alu instid0(VALU_DEP_2) | instskip(SKIP_1) | instid1(VALU_DEP_1)
	v_ldexp_f32 v10, v11, v10
	v_cndmask_b32_e64 v33, 1.0, 0x4f800000, vcc_lo
	v_mul_f32_e32 v11, v36, v33
	s_delay_alu instid0(VALU_DEP_3) | instskip(NEXT) | instid1(VALU_DEP_1)
	v_mul_f32_e32 v33, v10, v10
	v_fmaak_f32 v34, s31, v33, 0xbc7a590c
	s_delay_alu instid0(VALU_DEP_1) | instskip(NEXT) | instid1(VALU_DEP_4)
	v_fmaak_f32 v34, v33, v34, 0x3d29fb3f
	v_log_f32_e32 v11, v11
	s_waitcnt_depctr 0xfff
	v_mul_f32_e32 v35, 0x3f317217, v11
	s_delay_alu instid0(VALU_DEP_1) | instskip(NEXT) | instid1(VALU_DEP_1)
	v_fma_f32 v36, 0x3f317217, v11, -v35
	v_fmac_f32_e32 v36, 0x3377d1cf, v11
	v_fmaak_f32 v34, v33, v34, 0xbd97d4d7
	s_delay_alu instid0(VALU_DEP_1) | instskip(NEXT) | instid1(VALU_DEP_1)
	v_fmaak_f32 v34, v33, v34, 0x3dd931b2
	v_fmaak_f32 v34, v33, v34, 0xbe1160e6
	s_delay_alu instid0(VALU_DEP_1) | instskip(NEXT) | instid1(VALU_DEP_1)
	v_fmaak_f32 v34, v33, v34, 0x3e4cb8bf
	v_fmaak_f32 v34, v33, v34, 0xbeaaaa62
	s_delay_alu instid0(VALU_DEP_1) | instskip(NEXT) | instid1(VALU_DEP_1)
	v_mul_f32_e32 v33, v33, v34
	v_dual_fmac_f32 v10, v10, v33 :: v_dual_add_f32 v35, v35, v36
	v_cndmask_b32_e64 v36, 0, 0x41b17218, vcc_lo
	v_cmp_gt_f32_e64 vcc_lo, 0x7f800000, |v11|
	s_delay_alu instid0(VALU_DEP_3) | instskip(NEXT) | instid1(VALU_DEP_1)
	v_cndmask_b32_e32 v11, v11, v35, vcc_lo
	v_sub_f32_e32 v11, v11, v36
	s_delay_alu instid0(VALU_DEP_1)
	v_add_f32_e32 v11, 1.0, v11
.LBB44_589:                             ;   in Loop: Header=BB44_401 Depth=1
	s_or_b32 exec_lo, exec_lo, s33
	s_waitcnt vmcnt(0) lgkmcnt(0)
	v_sub_f32_e32 v33, 0x3fc90fdb, v10
	v_cmp_gt_f32_e32 vcc_lo, 0, v12
	v_cndmask_b32_e64 v34, 0, 0x40490fdb, s5
	v_cmp_class_f32_e64 s5, v12, 0x204
	v_add_f32_e32 v11, 0x3f317218, v11
	v_cndmask_b32_e64 v10, v10, v33, s6
	v_cmp_class_f32_e64 s6, v13, 0x204
	s_delay_alu instid0(VALU_DEP_3) | instskip(NEXT) | instid1(VALU_DEP_3)
	v_cndmask_b32_e64 v11, -v11, v11, s4
	v_sub_f32_e32 v33, 0x40490fdb, v10
	s_delay_alu instid0(VALU_DEP_1) | instskip(SKIP_2) | instid1(VALU_DEP_3)
	v_cndmask_b32_e32 v10, v10, v33, vcc_lo
	v_cndmask_b32_e32 v33, 0x3f490fdb, v32, vcc_lo
	v_cmp_eq_f32_e32 vcc_lo, 0, v13
	v_cndmask_b32_e32 v10, v10, v34, vcc_lo
	s_and_b32 vcc_lo, s6, s5
	s_delay_alu instid0(VALU_DEP_1) | instskip(SKIP_1) | instid1(VALU_DEP_2)
	v_cndmask_b32_e32 v10, v10, v33, vcc_lo
	v_cmp_o_f32_e32 vcc_lo, v12, v13
	v_cndmask_b32_e64 v10, 0x7fc00000, |v10|, vcc_lo
.LBB44_590:                             ;   in Loop: Header=BB44_401 Depth=1
	s_or_b32 exec_lo, exec_lo, s8
                                        ; implicit-def: $vgpr13
.LBB44_591:                             ;   in Loop: Header=BB44_401 Depth=1
	s_and_not1_saveexec_b32 s4, s15
	s_cbranch_execz .LBB44_605
; %bb.592:                              ;   in Loop: Header=BB44_401 Depth=1
	v_cmp_neq_f32_e64 s5, 0x7f800000, |v12|
                                        ; implicit-def: $vgpr11
	s_delay_alu instid0(VALU_DEP_1) | instskip(NEXT) | instid1(SALU_CYCLE_1)
	s_and_saveexec_b32 s6, s5
	s_xor_b32 s5, exec_lo, s6
	s_cbranch_execz .LBB44_602
; %bb.593:                              ;   in Loop: Header=BB44_401 Depth=1
	v_cmp_neq_f32_e64 s6, 0x7f800000, |v13|
                                        ; implicit-def: $vgpr11
	s_delay_alu instid0(VALU_DEP_1) | instskip(NEXT) | instid1(SALU_CYCLE_1)
	s_and_saveexec_b32 s7, s6
	s_xor_b32 s6, exec_lo, s7
	s_cbranch_execz .LBB44_599
; %bb.594:                              ;   in Loop: Header=BB44_401 Depth=1
	s_mov_b32 s7, exec_lo
                                        ; implicit-def: $vgpr11
	v_cmpx_neq_f32_e32 0, v12
	s_xor_b32 s7, exec_lo, s7
	s_cbranch_execz .LBB44_596
; %bb.595:                              ;   in Loop: Header=BB44_401 Depth=1
	s_waitcnt vmcnt(0) lgkmcnt(0)
	v_add_f32_e32 v10, 0, v13
                                        ; implicit-def: $vgpr13
	s_delay_alu instid0(VALU_DEP_1)
	v_add_f32_e32 v11, v10, v12
.LBB44_596:                             ;   in Loop: Header=BB44_401 Depth=1
	s_or_saveexec_b32 s7, s7
	s_waitcnt vmcnt(0) lgkmcnt(0)
	s_delay_alu instid0(VALU_DEP_1)
	v_mov_b32_e32 v10, v11
	s_xor_b32 exec_lo, exec_lo, s7
	s_cbranch_execz .LBB44_598
; %bb.597:                              ;   in Loop: Header=BB44_401 Depth=1
	v_dual_mov_b32 v10, s16 :: v_dual_mov_b32 v11, s17
	flat_load_b32 v10, v[10:11] glc dlc
	s_waitcnt vmcnt(0) lgkmcnt(0)
	v_dual_add_f32 v11, v13, v13 :: v_dual_add_f32 v10, 0x3fc90fdb, v10
.LBB44_598:                             ;   in Loop: Header=BB44_401 Depth=1
	s_or_b32 exec_lo, exec_lo, s7
                                        ; implicit-def: $vgpr12
.LBB44_599:                             ;   in Loop: Header=BB44_401 Depth=1
	s_and_not1_saveexec_b32 s6, s6
	s_cbranch_execz .LBB44_601
; %bb.600:                              ;   in Loop: Header=BB44_401 Depth=1
	s_waitcnt vmcnt(0) lgkmcnt(0)
	v_add_f32_e32 v10, v12, v12
	v_xor_b32_e32 v11, 0x80000000, v13
.LBB44_601:                             ;   in Loop: Header=BB44_401 Depth=1
	s_or_b32 exec_lo, exec_lo, s6
                                        ; implicit-def: $vgpr13
.LBB44_602:                             ;   in Loop: Header=BB44_401 Depth=1
	s_and_not1_saveexec_b32 s5, s5
	s_cbranch_execz .LBB44_604
; %bb.603:                              ;   in Loop: Header=BB44_401 Depth=1
	s_waitcnt vmcnt(0) lgkmcnt(0)
	v_dual_add_f32 v10, v13, v13 :: v_dual_mov_b32 v11, 0xff800000
.LBB44_604:                             ;   in Loop: Header=BB44_401 Depth=1
	s_or_b32 exec_lo, exec_lo, s5
.LBB44_605:                             ;   in Loop: Header=BB44_401 Depth=1
	s_delay_alu instid0(SALU_CYCLE_1) | instskip(SKIP_3) | instid1(VALU_DEP_2)
	s_or_b32 exec_lo, exec_lo, s4
	v_cmp_o_f32_e32 vcc_lo, v8, v8
	v_cmp_o_f32_e64 s4, v9, v9
	v_dual_mov_b32 v12, s16 :: v_dual_mov_b32 v13, s17
	s_and_b32 s4, vcc_lo, s4
	flat_store_b32 v[12:13], v30 dlc
	s_waitcnt_vscnt null, 0x0
                                        ; implicit-def: $vgpr13
	s_and_saveexec_b32 s5, s4
	s_delay_alu instid0(SALU_CYCLE_1)
	s_xor_b32 s15, exec_lo, s5
	s_cbranch_execz .LBB44_689
; %bb.606:                              ;   in Loop: Header=BB44_401 Depth=1
	v_max_f32_e64 v35, |v8|, |v8|
	v_max_f32_e64 v34, |v9|, |v9|
	v_cmp_gt_i32_e64 s5, 0, v8
	v_cmp_lt_i32_e64 s6, -1, v8
	v_cmp_gt_i32_e64 s4, 0, v9
                                        ; implicit-def: $vgpr13
	s_mov_b32 s7, exec_lo
	v_max_f32_e32 v33, v34, v35
	s_delay_alu instid0(VALU_DEP_1)
	v_cmpx_nlt_f32_e32 0x4b000000, v33
	s_xor_b32 s33, exec_lo, s7
	s_cbranch_execz .LBB44_678
; %bb.607:                              ;   in Loop: Header=BB44_401 Depth=1
	v_cmp_neq_f32_e32 vcc_lo, 1.0, v8
	v_cmp_neq_f32_e64 s7, 0, v9
                                        ; implicit-def: $vgpr13
	s_delay_alu instid0(VALU_DEP_1) | instskip(NEXT) | instid1(SALU_CYCLE_1)
	s_or_b32 s7, s7, vcc_lo
	s_and_saveexec_b32 s8, s7
	s_delay_alu instid0(SALU_CYCLE_1)
	s_xor_b32 s34, exec_lo, s8
	s_cbranch_execz .LBB44_675
; %bb.608:                              ;   in Loop: Header=BB44_401 Depth=1
	v_dual_mov_b32 v12, s18 :: v_dual_mov_b32 v13, s19
	v_cmp_ngt_f32_e64 s7, 0x395db3d7, |v8|
	v_cmp_ngt_f32_e64 s8, 0x395db3d7, |v9|
	flat_store_b32 v[12:13], v31 dlc
	s_waitcnt_vscnt null, 0x0
	flat_load_b32 v12, v[12:13] glc dlc
	s_waitcnt vmcnt(0)
	s_or_b32 s7, s8, s7
	s_waitcnt lgkmcnt(0)
	v_dual_add_f32 v33, 1.0, v12 :: v_dual_mov_b32 v12, s20
	v_mov_b32_e32 v13, s21
	flat_store_b32 v[12:13], v33 dlc
	s_waitcnt_vscnt null, 0x0
	flat_load_b32 v12, v[12:13] glc dlc
	s_waitcnt vmcnt(0)
                                        ; implicit-def: $vgpr13
	s_and_saveexec_b32 s8, s7
	s_delay_alu instid0(SALU_CYCLE_1)
	s_xor_b32 s35, exec_lo, s8
	s_cbranch_execz .LBB44_672
; %bb.609:                              ;   in Loop: Header=BB44_401 Depth=1
	v_add_f32_e64 v33, |v8|, 1.0
	v_add_f32_e64 v13, |v8|, -1.0
	s_mov_b32 s7, exec_lo
	s_waitcnt vmcnt(0) lgkmcnt(0)
	s_delay_alu instid0(VALU_DEP_2) | instskip(NEXT) | instid1(VALU_DEP_2)
	v_max_f32_e64 v12, v34, |v33|
	v_max_f32_e64 v38, v34, |v13|
	s_delay_alu instid0(VALU_DEP_2) | instskip(NEXT) | instid1(VALU_DEP_2)
	v_cvt_f64_f32_e32 v[34:35], v12
	v_cvt_f64_f32_e32 v[36:37], v38
	v_cmp_neq_f32_e32 vcc_lo, 0x7f800000, v12
	s_delay_alu instid0(VALU_DEP_3) | instskip(NEXT) | instid1(VALU_DEP_3)
	v_frexp_exp_i32_f64_e32 v34, v[34:35]
	v_frexp_exp_i32_f64_e32 v35, v[36:37]
	s_delay_alu instid0(VALU_DEP_2) | instskip(NEXT) | instid1(VALU_DEP_2)
	v_sub_nc_u32_e32 v36, 0, v34
	v_sub_nc_u32_e32 v37, 0, v35
	s_delay_alu instid0(VALU_DEP_2) | instskip(NEXT) | instid1(VALU_DEP_2)
	v_ldexp_f32 v39, |v33|, v36
	v_ldexp_f32 v40, |v13|, v37
	;; [unrolled: 1-line block ×4, first 2 shown]
	s_delay_alu instid0(VALU_DEP_3) | instskip(NEXT) | instid1(VALU_DEP_1)
	v_dual_mul_f32 v39, v39, v39 :: v_dual_mul_f32 v40, v40, v40
	v_dual_fmac_f32 v39, v36, v36 :: v_dual_fmac_f32 v40, v37, v37
	s_delay_alu instid0(VALU_DEP_1) | instskip(NEXT) | instid1(VALU_DEP_1)
	v_sqrt_f32_e32 v36, v39
	v_sqrt_f32_e32 v37, v40
	s_waitcnt_depctr 0xfff
	v_ldexp_f32 v34, v36, v34
	v_ldexp_f32 v35, v37, v35
	s_delay_alu instid0(VALU_DEP_2) | instskip(SKIP_1) | instid1(VALU_DEP_3)
	v_cndmask_b32_e32 v37, 0x7f800000, v34, vcc_lo
	v_cmp_neq_f32_e32 vcc_lo, 0x7f800000, v38
                                        ; implicit-def: $vgpr34
	v_cndmask_b32_e32 v35, 0x7f800000, v35, vcc_lo
	s_delay_alu instid0(VALU_DEP_1) | instskip(NEXT) | instid1(VALU_DEP_1)
	v_add_f32_e32 v12, v37, v35
	v_mul_f32_e32 v12, 0.5, v12
	s_delay_alu instid0(VALU_DEP_1) | instskip(SKIP_1) | instid1(VALU_DEP_1)
	v_cmp_ngt_f32_e32 vcc_lo, 1.0, v12
	v_cndmask_b32_e32 v12, 1.0, v12, vcc_lo
	v_cmpx_ngt_f32_e32 0x41200000, v12
	s_xor_b32 s8, exec_lo, s7
	s_cbranch_execz .LBB44_611
; %bb.610:                              ;   in Loop: Header=BB44_401 Depth=1
	v_fma_f32 v34, v12, v12, -1.0
	s_delay_alu instid0(VALU_DEP_1) | instskip(SKIP_1) | instid1(VALU_DEP_2)
	v_mul_f32_e32 v36, 0x4f800000, v34
	v_cmp_gt_f32_e32 vcc_lo, 0xf800000, v34
	v_cndmask_b32_e32 v34, v34, v36, vcc_lo
	s_delay_alu instid0(VALU_DEP_1) | instskip(SKIP_3) | instid1(VALU_DEP_2)
	v_sqrt_f32_e32 v36, v34
	s_waitcnt_depctr 0xfff
	v_add_nc_u32_e32 v38, -1, v36
	v_add_nc_u32_e32 v39, 1, v36
	v_fma_f32 v40, -v38, v36, v34
	s_delay_alu instid0(VALU_DEP_2) | instskip(NEXT) | instid1(VALU_DEP_2)
	v_fma_f32 v41, -v39, v36, v34
	v_cmp_ge_f32_e64 s7, 0, v40
	s_delay_alu instid0(VALU_DEP_1) | instskip(NEXT) | instid1(VALU_DEP_3)
	v_cndmask_b32_e64 v36, v36, v38, s7
	v_cmp_lt_f32_e64 s7, 0, v41
	s_delay_alu instid0(VALU_DEP_1) | instskip(NEXT) | instid1(VALU_DEP_1)
	v_cndmask_b32_e64 v36, v36, v39, s7
	v_mul_f32_e32 v38, 0x37800000, v36
	s_delay_alu instid0(VALU_DEP_1) | instskip(SKIP_1) | instid1(VALU_DEP_2)
	v_cndmask_b32_e32 v36, v36, v38, vcc_lo
	v_cmp_class_f32_e64 vcc_lo, v34, 0x260
	v_cndmask_b32_e32 v34, v36, v34, vcc_lo
	s_delay_alu instid0(VALU_DEP_1) | instskip(NEXT) | instid1(VALU_DEP_1)
	v_add_f32_e32 v34, v12, v34
	v_cmp_gt_f32_e32 vcc_lo, 0x800000, v34
	s_delay_alu instid0(VALU_DEP_4) | instskip(NEXT) | instid1(VALU_DEP_1)
	v_cndmask_b32_e64 v36, 1.0, 0x4f800000, vcc_lo
	v_mul_f32_e32 v34, v34, v36
	s_delay_alu instid0(VALU_DEP_1) | instskip(SKIP_3) | instid1(VALU_DEP_2)
	v_log_f32_e32 v34, v34
	s_waitcnt_depctr 0xfff
	v_mul_f32_e32 v36, 0x3f317217, v34
	v_cmp_gt_f32_e64 s7, 0x7f800000, |v34|
	v_fma_f32 v38, 0x3f317217, v34, -v36
	s_delay_alu instid0(VALU_DEP_1) | instskip(NEXT) | instid1(VALU_DEP_1)
	v_fmac_f32_e32 v38, 0x3377d1cf, v34
	v_add_f32_e32 v36, v36, v38
	s_delay_alu instid0(VALU_DEP_1) | instskip(SKIP_1) | instid1(VALU_DEP_1)
	v_cndmask_b32_e64 v34, v34, v36, s7
	v_cndmask_b32_e64 v36, 0, 0x41b17218, vcc_lo
	v_sub_f32_e32 v34, v34, v36
.LBB44_611:                             ;   in Loop: Header=BB44_401 Depth=1
	s_or_saveexec_b32 s8, s8
	v_and_b32_e32 v36, 0x7fffffff, v9
	s_xor_b32 exec_lo, exec_lo, s8
	s_cbranch_execz .LBB44_633
; %bb.612:                              ;   in Loop: Header=BB44_401 Depth=1
	v_cmp_neq_f32_e64 s7, |v8|, 1.0
	v_cmp_ngt_f32_e64 s36, 0x25000000, |v9|
                                        ; implicit-def: $vgpr34
	s_delay_alu instid0(VALU_DEP_1) | instskip(NEXT) | instid1(SALU_CYCLE_1)
	s_or_b32 s7, s36, s7
	s_and_saveexec_b32 s36, s7
	s_delay_alu instid0(SALU_CYCLE_1)
	s_xor_b32 s36, exec_lo, s36
	s_cbranch_execz .LBB44_630
; %bb.613:                              ;   in Loop: Header=BB44_401 Depth=1
	v_mul_f32_e64 v34, 0x34000000, |v13|
	s_delay_alu instid0(VALU_DEP_1) | instskip(NEXT) | instid1(VALU_DEP_1)
	v_cmp_le_f32_e64 s7, v34, |v9|
                                        ; implicit-def: $vgpr34
	s_and_saveexec_b32 s37, s7
	s_delay_alu instid0(SALU_CYCLE_1)
	s_xor_b32 s37, exec_lo, s37
	s_cbranch_execz .LBB44_623
; %bb.614:                              ;   in Loop: Header=BB44_401 Depth=1
	v_mov_b32_e32 v34, v36
	s_mov_b32 s7, exec_lo
	v_cmpx_neq_f32_e32 0, v33
	s_cbranch_execz .LBB44_616
; %bb.615:                              ;   in Loop: Header=BB44_401 Depth=1
	v_mul_f32_e32 v34, v9, v9
	v_add_f32_e32 v38, v33, v37
	s_delay_alu instid0(VALU_DEP_1) | instskip(NEXT) | instid1(VALU_DEP_1)
	v_div_scale_f32 v39, null, v38, v38, v34
	v_rcp_f32_e32 v40, v39
	s_waitcnt_depctr 0xfff
	v_fma_f32 v41, -v39, v40, 1.0
	s_delay_alu instid0(VALU_DEP_1) | instskip(SKIP_1) | instid1(VALU_DEP_1)
	v_fmac_f32_e32 v40, v41, v40
	v_div_scale_f32 v41, vcc_lo, v34, v38, v34
	v_mul_f32_e32 v42, v41, v40
	s_delay_alu instid0(VALU_DEP_1) | instskip(NEXT) | instid1(VALU_DEP_1)
	v_fma_f32 v43, -v39, v42, v41
	v_fmac_f32_e32 v42, v43, v40
	s_delay_alu instid0(VALU_DEP_1) | instskip(NEXT) | instid1(VALU_DEP_1)
	v_fma_f32 v39, -v39, v42, v41
	v_div_fmas_f32 v39, v39, v40, v42
	s_delay_alu instid0(VALU_DEP_1)
	v_div_fixup_f32 v34, v39, v38, v34
.LBB44_616:                             ;   in Loop: Header=BB44_401 Depth=1
	s_or_b32 exec_lo, exec_lo, s7
	v_sub_f32_e64 v39, 1.0, |v8|
	s_mov_b32 s7, exec_lo
                                        ; implicit-def: $vgpr38
	s_delay_alu instid0(VALU_DEP_1)
	v_cmpx_ngt_f32_e32 0, v39
	s_xor_b32 s7, exec_lo, s7
	s_cbranch_execz .LBB44_620
; %bb.617:                              ;   in Loop: Header=BB44_401 Depth=1
	v_mov_b32_e32 v38, v36
	s_mov_b32 s38, exec_lo
	v_cmpx_neq_f32_e32 0, v39
	s_cbranch_execz .LBB44_619
; %bb.618:                              ;   in Loop: Header=BB44_401 Depth=1
	v_dual_mul_f32 v38, v9, v9 :: v_dual_add_f32 v39, v39, v35
	s_delay_alu instid0(VALU_DEP_1) | instskip(NEXT) | instid1(VALU_DEP_1)
	v_div_scale_f32 v40, null, v39, v39, v38
	v_rcp_f32_e32 v41, v40
	s_waitcnt_depctr 0xfff
	v_fma_f32 v42, -v40, v41, 1.0
	s_delay_alu instid0(VALU_DEP_1) | instskip(SKIP_1) | instid1(VALU_DEP_1)
	v_fmac_f32_e32 v41, v42, v41
	v_div_scale_f32 v42, vcc_lo, v38, v39, v38
	v_mul_f32_e32 v43, v42, v41
	s_delay_alu instid0(VALU_DEP_1) | instskip(NEXT) | instid1(VALU_DEP_1)
	v_fma_f32 v44, -v40, v43, v42
	v_fmac_f32_e32 v43, v44, v41
	s_delay_alu instid0(VALU_DEP_1) | instskip(NEXT) | instid1(VALU_DEP_1)
	v_fma_f32 v40, -v40, v43, v42
	v_div_fmas_f32 v40, v40, v41, v43
	s_delay_alu instid0(VALU_DEP_1)
	v_div_fixup_f32 v38, v40, v39, v38
.LBB44_619:                             ;   in Loop: Header=BB44_401 Depth=1
	s_or_b32 exec_lo, exec_lo, s38
                                        ; implicit-def: $vgpr39
.LBB44_620:                             ;   in Loop: Header=BB44_401 Depth=1
	s_and_not1_saveexec_b32 s7, s7
; %bb.621:                              ;   in Loop: Header=BB44_401 Depth=1
	v_sub_f32_e32 v38, v35, v39
; %bb.622:                              ;   in Loop: Header=BB44_401 Depth=1
	s_or_b32 exec_lo, exec_lo, s7
	s_delay_alu instid0(VALU_DEP_1) | instskip(NEXT) | instid1(VALU_DEP_1)
	v_dual_mul_f32 v38, 0.5, v38 :: v_dual_add_f32 v39, 1.0, v12
	v_fmac_f32_e32 v38, 0.5, v34
	s_delay_alu instid0(VALU_DEP_1) | instskip(NEXT) | instid1(VALU_DEP_1)
	v_mul_f32_e32 v34, v39, v38
	v_mul_f32_e32 v39, 0x4f800000, v34
	v_cmp_gt_f32_e32 vcc_lo, 0xf800000, v34
	s_delay_alu instid0(VALU_DEP_2) | instskip(NEXT) | instid1(VALU_DEP_1)
	v_cndmask_b32_e32 v34, v34, v39, vcc_lo
	v_sqrt_f32_e32 v39, v34
	s_waitcnt_depctr 0xfff
	v_add_nc_u32_e32 v40, -1, v39
	v_add_nc_u32_e32 v41, 1, v39
	s_delay_alu instid0(VALU_DEP_2) | instskip(NEXT) | instid1(VALU_DEP_2)
	v_fma_f32 v42, -v40, v39, v34
	v_fma_f32 v43, -v41, v39, v34
	s_delay_alu instid0(VALU_DEP_2) | instskip(NEXT) | instid1(VALU_DEP_1)
	v_cmp_ge_f32_e64 s7, 0, v42
	v_cndmask_b32_e64 v39, v39, v40, s7
	s_delay_alu instid0(VALU_DEP_3) | instskip(NEXT) | instid1(VALU_DEP_1)
	v_cmp_lt_f32_e64 s7, 0, v43
	v_cndmask_b32_e64 v39, v39, v41, s7
	s_delay_alu instid0(VALU_DEP_1) | instskip(NEXT) | instid1(VALU_DEP_1)
	v_mul_f32_e32 v40, 0x37800000, v39
	v_cndmask_b32_e32 v39, v39, v40, vcc_lo
	v_cmp_class_f32_e64 vcc_lo, v34, 0x260
	s_delay_alu instid0(VALU_DEP_2) | instskip(NEXT) | instid1(VALU_DEP_1)
	v_cndmask_b32_e32 v34, v39, v34, vcc_lo
	v_add_f32_e32 v34, v38, v34
	s_delay_alu instid0(VALU_DEP_1) | instskip(NEXT) | instid1(VALU_DEP_1)
	v_add_f32_e32 v40, 1.0, v34
	v_cvt_f64_f32_e32 v[38:39], v40
	s_delay_alu instid0(VALU_DEP_1) | instskip(SKIP_1) | instid1(VALU_DEP_1)
	v_frexp_exp_i32_f64_e32 v38, v[38:39]
	v_frexp_mant_f32_e32 v39, v40
	v_cmp_gt_f32_e32 vcc_lo, 0x3f2aaaab, v39
	v_add_f32_e32 v39, -1.0, v40
	s_delay_alu instid0(VALU_DEP_1) | instskip(NEXT) | instid1(VALU_DEP_1)
	v_dual_sub_f32 v42, v39, v40 :: v_dual_sub_f32 v39, v34, v39
	v_add_f32_e32 v42, 1.0, v42
	s_delay_alu instid0(VALU_DEP_1) | instskip(SKIP_1) | instid1(VALU_DEP_1)
	v_add_f32_e32 v39, v39, v42
	v_subrev_co_ci_u32_e32 v38, vcc_lo, 0, v38, vcc_lo
	v_sub_nc_u32_e32 v41, 0, v38
	v_cvt_f32_i32_e32 v38, v38
	s_delay_alu instid0(VALU_DEP_2) | instskip(SKIP_1) | instid1(VALU_DEP_2)
	v_ldexp_f32 v40, v40, v41
	v_ldexp_f32 v39, v39, v41
	v_add_f32_e32 v43, 1.0, v40
	v_add_f32_e32 v41, -1.0, v40
	v_cmp_eq_f32_e32 vcc_lo, 0x7f800000, v34
	s_delay_alu instid0(VALU_DEP_3) | instskip(NEXT) | instid1(VALU_DEP_3)
	v_add_f32_e32 v42, -1.0, v43
	v_add_f32_e32 v44, 1.0, v41
	s_delay_alu instid0(VALU_DEP_2) | instskip(NEXT) | instid1(VALU_DEP_2)
	v_sub_f32_e32 v42, v40, v42
	v_sub_f32_e32 v40, v40, v44
	s_delay_alu instid0(VALU_DEP_2) | instskip(NEXT) | instid1(VALU_DEP_2)
	v_add_f32_e32 v42, v39, v42
	v_add_f32_e32 v39, v39, v40
	s_delay_alu instid0(VALU_DEP_1) | instskip(NEXT) | instid1(VALU_DEP_1)
	v_dual_add_f32 v45, v41, v39 :: v_dual_add_f32 v44, v43, v42
	v_sub_f32_e32 v41, v45, v41
	s_delay_alu instid0(VALU_DEP_2) | instskip(SKIP_1) | instid1(VALU_DEP_1)
	v_rcp_f32_e32 v40, v44
	v_sub_f32_e32 v43, v44, v43
	v_dual_sub_f32 v39, v39, v41 :: v_dual_sub_f32 v42, v42, v43
	s_waitcnt_depctr 0xfff
	v_mul_f32_e32 v46, v45, v40
	s_delay_alu instid0(VALU_DEP_1) | instskip(NEXT) | instid1(VALU_DEP_1)
	v_mul_f32_e32 v47, v44, v46
	v_fma_f32 v43, v46, v44, -v47
	s_delay_alu instid0(VALU_DEP_1) | instskip(NEXT) | instid1(VALU_DEP_1)
	v_fmac_f32_e32 v43, v46, v42
	v_add_f32_e32 v48, v47, v43
	s_delay_alu instid0(VALU_DEP_1) | instskip(NEXT) | instid1(VALU_DEP_1)
	v_sub_f32_e32 v49, v45, v48
	v_sub_f32_e32 v45, v45, v49
	s_delay_alu instid0(VALU_DEP_1) | instskip(SKIP_1) | instid1(VALU_DEP_2)
	v_sub_f32_e32 v45, v45, v48
	v_sub_f32_e32 v41, v48, v47
	v_add_f32_e32 v39, v39, v45
	s_delay_alu instid0(VALU_DEP_2) | instskip(NEXT) | instid1(VALU_DEP_1)
	v_sub_f32_e32 v41, v41, v43
	v_add_f32_e32 v39, v41, v39
	s_delay_alu instid0(VALU_DEP_1) | instskip(NEXT) | instid1(VALU_DEP_1)
	v_add_f32_e32 v41, v49, v39
	v_mul_f32_e32 v43, v40, v41
	s_delay_alu instid0(VALU_DEP_1) | instskip(NEXT) | instid1(VALU_DEP_1)
	v_dual_sub_f32 v48, v49, v41 :: v_dual_mul_f32 v45, v44, v43
	v_add_f32_e32 v39, v39, v48
	s_delay_alu instid0(VALU_DEP_2) | instskip(NEXT) | instid1(VALU_DEP_1)
	v_fma_f32 v44, v43, v44, -v45
	v_fmac_f32_e32 v44, v43, v42
	s_delay_alu instid0(VALU_DEP_1) | instskip(NEXT) | instid1(VALU_DEP_1)
	v_add_f32_e32 v42, v45, v44
	v_sub_f32_e32 v47, v41, v42
	s_delay_alu instid0(VALU_DEP_1) | instskip(NEXT) | instid1(VALU_DEP_1)
	v_sub_f32_e32 v41, v41, v47
	v_sub_f32_e32 v41, v41, v42
	s_delay_alu instid0(VALU_DEP_1) | instskip(SKIP_2) | instid1(VALU_DEP_1)
	v_add_f32_e32 v39, v39, v41
	v_add_f32_e32 v41, v46, v43
	v_sub_f32_e32 v45, v42, v45
	v_sub_f32_e32 v42, v45, v44
	s_delay_alu instid0(VALU_DEP_1) | instskip(NEXT) | instid1(VALU_DEP_1)
	v_dual_add_f32 v39, v42, v39 :: v_dual_sub_f32 v42, v41, v46
	v_add_f32_e32 v39, v47, v39
	s_delay_alu instid0(VALU_DEP_1) | instskip(NEXT) | instid1(VALU_DEP_1)
	v_dual_sub_f32 v42, v43, v42 :: v_dual_mul_f32 v39, v40, v39
	v_add_f32_e32 v39, v42, v39
	s_delay_alu instid0(VALU_DEP_1) | instskip(NEXT) | instid1(VALU_DEP_1)
	v_add_f32_e32 v40, v41, v39
	v_mul_f32_e32 v42, v40, v40
	s_delay_alu instid0(VALU_DEP_1) | instskip(SKIP_1) | instid1(VALU_DEP_2)
	v_fmaak_f32 v43, s9, v42, 0x3ecc95a3
	v_mul_f32_e32 v44, v40, v42
	v_fmaak_f32 v42, v42, v43, 0x3f2aaada
	v_ldexp_f32 v43, v40, 1
	v_sub_f32_e32 v40, v40, v41
	s_delay_alu instid0(VALU_DEP_3) | instskip(SKIP_1) | instid1(VALU_DEP_2)
	v_mul_f32_e32 v42, v44, v42
	v_mul_f32_e32 v44, 0x3f317218, v38
	v_add_f32_e32 v41, v43, v42
	s_delay_alu instid0(VALU_DEP_1) | instskip(NEXT) | instid1(VALU_DEP_3)
	v_dual_sub_f32 v39, v39, v40 :: v_dual_sub_f32 v40, v41, v43
	v_fma_f32 v43, 0x3f317218, v38, -v44
	s_delay_alu instid0(VALU_DEP_2) | instskip(NEXT) | instid1(VALU_DEP_2)
	v_ldexp_f32 v39, v39, 1
	v_dual_sub_f32 v40, v42, v40 :: v_dual_fmac_f32 v43, 0xb102e308, v38
	s_delay_alu instid0(VALU_DEP_1) | instskip(NEXT) | instid1(VALU_DEP_1)
	v_dual_add_f32 v38, v39, v40 :: v_dual_add_f32 v39, v44, v43
	v_add_f32_e32 v40, v41, v38
	s_delay_alu instid0(VALU_DEP_1) | instskip(NEXT) | instid1(VALU_DEP_1)
	v_add_f32_e32 v42, v39, v40
	v_sub_f32_e32 v45, v42, v39
	s_delay_alu instid0(VALU_DEP_1) | instskip(SKIP_2) | instid1(VALU_DEP_2)
	v_sub_f32_e32 v46, v42, v45
	v_sub_f32_e32 v41, v40, v41
	;; [unrolled: 1-line block ×5, first 2 shown]
	s_delay_alu instid0(VALU_DEP_1) | instskip(NEXT) | instid1(VALU_DEP_1)
	v_sub_f32_e32 v43, v43, v44
	v_add_f32_e32 v41, v43, v38
	v_sub_f32_e32 v39, v39, v46
	s_delay_alu instid0(VALU_DEP_1) | instskip(NEXT) | instid1(VALU_DEP_3)
	v_add_f32_e32 v39, v40, v39
	v_sub_f32_e32 v40, v41, v43
	s_delay_alu instid0(VALU_DEP_1) | instskip(NEXT) | instid1(VALU_DEP_1)
	v_dual_sub_f32 v38, v38, v40 :: v_dual_add_f32 v39, v41, v39
	v_dual_sub_f32 v41, v41, v40 :: v_dual_add_f32 v44, v42, v39
	s_delay_alu instid0(VALU_DEP_1) | instskip(NEXT) | instid1(VALU_DEP_1)
	v_dual_sub_f32 v41, v43, v41 :: v_dual_sub_f32 v40, v44, v42
	v_dual_add_f32 v38, v38, v41 :: v_dual_sub_f32 v39, v39, v40
	s_delay_alu instid0(VALU_DEP_1) | instskip(NEXT) | instid1(VALU_DEP_1)
	v_add_f32_e32 v38, v38, v39
	v_add_f32_e32 v38, v44, v38
	s_delay_alu instid0(VALU_DEP_1) | instskip(SKIP_1) | instid1(VALU_DEP_2)
	v_cndmask_b32_e32 v38, v38, v34, vcc_lo
	v_cmp_ngt_f32_e32 vcc_lo, -1.0, v34
	v_cndmask_b32_e32 v38, 0x7fc00000, v38, vcc_lo
	v_cmp_neq_f32_e32 vcc_lo, -1.0, v34
	s_delay_alu instid0(VALU_DEP_2) | instskip(SKIP_1) | instid1(VALU_DEP_2)
	v_cndmask_b32_e32 v38, 0xff800000, v38, vcc_lo
	v_cmp_gt_f32_e64 vcc_lo, 0x33800000, |v34|
	v_cndmask_b32_e32 v34, v38, v34, vcc_lo
.LBB44_623:                             ;   in Loop: Header=BB44_401 Depth=1
	s_and_not1_saveexec_b32 s37, s37
	s_cbranch_execz .LBB44_629
; %bb.624:                              ;   in Loop: Header=BB44_401 Depth=1
	s_mov_b32 s38, exec_lo
                                        ; implicit-def: $vgpr34
	v_cmpx_nlt_f32_e64 |v8|, 1.0
	s_xor_b32 s38, exec_lo, s38
	s_cbranch_execz .LBB44_626
; %bb.625:                              ;   in Loop: Header=BB44_401 Depth=1
	v_mul_f32_e32 v34, v13, v33
	s_delay_alu instid0(VALU_DEP_1) | instskip(SKIP_1) | instid1(VALU_DEP_2)
	v_mul_f32_e32 v38, 0x4f800000, v34
	v_cmp_gt_f32_e32 vcc_lo, 0xf800000, v34
	v_cndmask_b32_e32 v34, v34, v38, vcc_lo
	s_delay_alu instid0(VALU_DEP_1) | instskip(SKIP_3) | instid1(VALU_DEP_2)
	v_sqrt_f32_e32 v38, v34
	s_waitcnt_depctr 0xfff
	v_add_nc_u32_e32 v39, -1, v38
	v_add_nc_u32_e32 v40, 1, v38
	v_fma_f32 v41, -v39, v38, v34
	s_delay_alu instid0(VALU_DEP_2) | instskip(NEXT) | instid1(VALU_DEP_2)
	v_fma_f32 v42, -v40, v38, v34
	v_cmp_ge_f32_e64 s7, 0, v41
	s_delay_alu instid0(VALU_DEP_1) | instskip(NEXT) | instid1(VALU_DEP_3)
	v_cndmask_b32_e64 v38, v38, v39, s7
	v_cmp_lt_f32_e64 s7, 0, v42
	s_delay_alu instid0(VALU_DEP_1) | instskip(NEXT) | instid1(VALU_DEP_1)
	v_cndmask_b32_e64 v38, v38, v40, s7
	v_mul_f32_e32 v39, 0x37800000, v38
	s_delay_alu instid0(VALU_DEP_1) | instskip(SKIP_1) | instid1(VALU_DEP_2)
	v_cndmask_b32_e32 v38, v38, v39, vcc_lo
	v_cmp_class_f32_e64 vcc_lo, v34, 0x260
	v_cndmask_b32_e32 v34, v38, v34, vcc_lo
	s_delay_alu instid0(VALU_DEP_1) | instskip(NEXT) | instid1(VALU_DEP_1)
	v_add_f32_e32 v34, v13, v34
	v_add_f32_e32 v40, 1.0, v34
	s_delay_alu instid0(VALU_DEP_1) | instskip(NEXT) | instid1(VALU_DEP_1)
	v_cvt_f64_f32_e32 v[38:39], v40
	v_frexp_exp_i32_f64_e32 v38, v[38:39]
	v_frexp_mant_f32_e32 v39, v40
	s_delay_alu instid0(VALU_DEP_1) | instskip(SKIP_1) | instid1(VALU_DEP_1)
	v_cmp_gt_f32_e32 vcc_lo, 0x3f2aaaab, v39
	v_add_f32_e32 v39, -1.0, v40
	v_dual_sub_f32 v42, v39, v40 :: v_dual_sub_f32 v39, v34, v39
	s_delay_alu instid0(VALU_DEP_1) | instskip(NEXT) | instid1(VALU_DEP_1)
	v_add_f32_e32 v42, 1.0, v42
	v_add_f32_e32 v39, v39, v42
	v_subrev_co_ci_u32_e32 v38, vcc_lo, 0, v38, vcc_lo
	s_delay_alu instid0(VALU_DEP_1) | instskip(SKIP_1) | instid1(VALU_DEP_2)
	v_sub_nc_u32_e32 v41, 0, v38
	v_cvt_f32_i32_e32 v38, v38
	v_ldexp_f32 v40, v40, v41
	v_ldexp_f32 v39, v39, v41
	s_delay_alu instid0(VALU_DEP_2) | instskip(NEXT) | instid1(VALU_DEP_1)
	v_add_f32_e32 v43, 1.0, v40
	v_dual_add_f32 v41, -1.0, v40 :: v_dual_add_f32 v42, -1.0, v43
	s_delay_alu instid0(VALU_DEP_1) | instskip(NEXT) | instid1(VALU_DEP_2)
	v_add_f32_e32 v44, 1.0, v41
	v_sub_f32_e32 v42, v40, v42
	s_delay_alu instid0(VALU_DEP_2) | instskip(NEXT) | instid1(VALU_DEP_2)
	v_sub_f32_e32 v40, v40, v44
	v_add_f32_e32 v42, v39, v42
	s_delay_alu instid0(VALU_DEP_2) | instskip(SKIP_1) | instid1(VALU_DEP_2)
	v_add_f32_e32 v39, v39, v40
	v_cmp_eq_f32_e32 vcc_lo, 0x7f800000, v34
	v_dual_add_f32 v44, v43, v42 :: v_dual_add_f32 v45, v41, v39
	s_delay_alu instid0(VALU_DEP_1) | instskip(NEXT) | instid1(VALU_DEP_1)
	v_rcp_f32_e32 v40, v44
	v_sub_f32_e32 v41, v45, v41
	v_sub_f32_e32 v43, v44, v43
	s_delay_alu instid0(VALU_DEP_1) | instskip(SKIP_2) | instid1(VALU_DEP_1)
	v_dual_sub_f32 v39, v39, v41 :: v_dual_sub_f32 v42, v42, v43
	s_waitcnt_depctr 0xfff
	v_mul_f32_e32 v46, v45, v40
	v_mul_f32_e32 v47, v44, v46
	s_delay_alu instid0(VALU_DEP_1) | instskip(NEXT) | instid1(VALU_DEP_1)
	v_fma_f32 v43, v46, v44, -v47
	v_fmac_f32_e32 v43, v46, v42
	s_delay_alu instid0(VALU_DEP_1) | instskip(NEXT) | instid1(VALU_DEP_1)
	v_add_f32_e32 v48, v47, v43
	v_sub_f32_e32 v49, v45, v48
	v_sub_f32_e32 v41, v48, v47
	s_delay_alu instid0(VALU_DEP_2) | instskip(NEXT) | instid1(VALU_DEP_2)
	v_sub_f32_e32 v45, v45, v49
	v_sub_f32_e32 v41, v41, v43
	s_delay_alu instid0(VALU_DEP_2) | instskip(NEXT) | instid1(VALU_DEP_1)
	v_sub_f32_e32 v45, v45, v48
	v_add_f32_e32 v39, v39, v45
	s_delay_alu instid0(VALU_DEP_1) | instskip(NEXT) | instid1(VALU_DEP_1)
	v_add_f32_e32 v39, v41, v39
	v_add_f32_e32 v41, v49, v39
	s_delay_alu instid0(VALU_DEP_1) | instskip(NEXT) | instid1(VALU_DEP_1)
	v_mul_f32_e32 v43, v40, v41
	v_dual_sub_f32 v48, v49, v41 :: v_dual_mul_f32 v45, v44, v43
	s_delay_alu instid0(VALU_DEP_1) | instskip(NEXT) | instid1(VALU_DEP_2)
	v_add_f32_e32 v39, v39, v48
	v_fma_f32 v44, v43, v44, -v45
	s_delay_alu instid0(VALU_DEP_1) | instskip(NEXT) | instid1(VALU_DEP_1)
	v_fmac_f32_e32 v44, v43, v42
	v_add_f32_e32 v42, v45, v44
	s_delay_alu instid0(VALU_DEP_1) | instskip(NEXT) | instid1(VALU_DEP_1)
	v_sub_f32_e32 v47, v41, v42
	v_sub_f32_e32 v41, v41, v47
	s_delay_alu instid0(VALU_DEP_1) | instskip(NEXT) | instid1(VALU_DEP_1)
	v_sub_f32_e32 v41, v41, v42
	v_add_f32_e32 v39, v39, v41
	v_add_f32_e32 v41, v46, v43
	v_sub_f32_e32 v45, v42, v45
	s_delay_alu instid0(VALU_DEP_1) | instskip(NEXT) | instid1(VALU_DEP_1)
	v_sub_f32_e32 v42, v45, v44
	v_dual_add_f32 v39, v42, v39 :: v_dual_sub_f32 v42, v41, v46
	s_delay_alu instid0(VALU_DEP_1) | instskip(NEXT) | instid1(VALU_DEP_1)
	v_add_f32_e32 v39, v47, v39
	v_dual_sub_f32 v42, v43, v42 :: v_dual_mul_f32 v39, v40, v39
	s_delay_alu instid0(VALU_DEP_1) | instskip(NEXT) | instid1(VALU_DEP_1)
	v_add_f32_e32 v39, v42, v39
	v_add_f32_e32 v40, v41, v39
	s_delay_alu instid0(VALU_DEP_1) | instskip(NEXT) | instid1(VALU_DEP_1)
	v_mul_f32_e32 v42, v40, v40
	v_fmaak_f32 v43, s9, v42, 0x3ecc95a3
	v_mul_f32_e32 v44, v40, v42
	s_delay_alu instid0(VALU_DEP_2) | instskip(SKIP_1) | instid1(VALU_DEP_2)
	v_fmaak_f32 v42, v42, v43, 0x3f2aaada
	v_ldexp_f32 v43, v40, 1
	v_mul_f32_e32 v42, v44, v42
	v_mul_f32_e32 v44, 0x3f317218, v38
	s_delay_alu instid0(VALU_DEP_2) | instskip(NEXT) | instid1(VALU_DEP_1)
	v_dual_sub_f32 v40, v40, v41 :: v_dual_add_f32 v41, v43, v42
	v_dual_sub_f32 v39, v39, v40 :: v_dual_sub_f32 v40, v41, v43
	s_delay_alu instid0(VALU_DEP_3) | instskip(NEXT) | instid1(VALU_DEP_2)
	v_fma_f32 v43, 0x3f317218, v38, -v44
	v_ldexp_f32 v39, v39, 1
	s_delay_alu instid0(VALU_DEP_2) | instskip(NEXT) | instid1(VALU_DEP_1)
	v_dual_sub_f32 v40, v42, v40 :: v_dual_fmac_f32 v43, 0xb102e308, v38
	v_dual_add_f32 v38, v39, v40 :: v_dual_add_f32 v39, v44, v43
	s_delay_alu instid0(VALU_DEP_1) | instskip(NEXT) | instid1(VALU_DEP_1)
	v_add_f32_e32 v40, v41, v38
	v_add_f32_e32 v42, v39, v40
	s_delay_alu instid0(VALU_DEP_1) | instskip(NEXT) | instid1(VALU_DEP_1)
	v_sub_f32_e32 v45, v42, v39
	v_sub_f32_e32 v46, v42, v45
	v_sub_f32_e32 v41, v40, v41
	s_delay_alu instid0(VALU_DEP_1) | instskip(SKIP_1) | instid1(VALU_DEP_1)
	v_sub_f32_e32 v38, v38, v41
	v_sub_f32_e32 v44, v39, v44
	v_dual_sub_f32 v40, v40, v45 :: v_dual_sub_f32 v43, v43, v44
	s_delay_alu instid0(VALU_DEP_1) | instskip(SKIP_1) | instid1(VALU_DEP_1)
	v_add_f32_e32 v41, v43, v38
	v_sub_f32_e32 v39, v39, v46
	v_add_f32_e32 v39, v40, v39
	s_delay_alu instid0(VALU_DEP_3) | instskip(NEXT) | instid1(VALU_DEP_1)
	v_sub_f32_e32 v40, v41, v43
	v_dual_sub_f32 v38, v38, v40 :: v_dual_add_f32 v39, v41, v39
	s_delay_alu instid0(VALU_DEP_1) | instskip(NEXT) | instid1(VALU_DEP_1)
	v_dual_sub_f32 v41, v41, v40 :: v_dual_add_f32 v44, v42, v39
	v_dual_sub_f32 v40, v44, v42 :: v_dual_sub_f32 v41, v43, v41
	s_delay_alu instid0(VALU_DEP_1) | instskip(NEXT) | instid1(VALU_DEP_1)
	v_dual_sub_f32 v39, v39, v40 :: v_dual_add_f32 v38, v38, v41
	v_add_f32_e32 v38, v38, v39
	s_delay_alu instid0(VALU_DEP_1) | instskip(NEXT) | instid1(VALU_DEP_1)
	v_add_f32_e32 v38, v44, v38
	v_cndmask_b32_e32 v38, v38, v34, vcc_lo
	v_cmp_ngt_f32_e32 vcc_lo, -1.0, v34
	s_delay_alu instid0(VALU_DEP_2) | instskip(SKIP_1) | instid1(VALU_DEP_2)
	v_cndmask_b32_e32 v38, 0x7fc00000, v38, vcc_lo
	v_cmp_neq_f32_e32 vcc_lo, -1.0, v34
	v_cndmask_b32_e32 v38, 0xff800000, v38, vcc_lo
	v_cmp_gt_f32_e64 vcc_lo, 0x33800000, |v34|
	s_delay_alu instid0(VALU_DEP_2)
	v_cndmask_b32_e32 v34, v38, v34, vcc_lo
.LBB44_626:                             ;   in Loop: Header=BB44_401 Depth=1
	s_and_not1_saveexec_b32 s38, s38
	s_cbranch_execz .LBB44_628
; %bb.627:                              ;   in Loop: Header=BB44_401 Depth=1
	v_sub_f32_e64 v34, 1.0, |v8|
	s_delay_alu instid0(VALU_DEP_1) | instskip(NEXT) | instid1(VALU_DEP_1)
	v_mul_f32_e32 v34, v34, v33
	v_mul_f32_e32 v38, 0x4f800000, v34
	v_cmp_gt_f32_e32 vcc_lo, 0xf800000, v34
	s_delay_alu instid0(VALU_DEP_2) | instskip(NEXT) | instid1(VALU_DEP_1)
	v_cndmask_b32_e32 v34, v34, v38, vcc_lo
	v_sqrt_f32_e32 v38, v34
	s_waitcnt_depctr 0xfff
	v_add_nc_u32_e32 v39, -1, v38
	v_add_nc_u32_e32 v40, 1, v38
	s_delay_alu instid0(VALU_DEP_2) | instskip(NEXT) | instid1(VALU_DEP_2)
	v_fma_f32 v41, -v39, v38, v34
	v_fma_f32 v42, -v40, v38, v34
	s_delay_alu instid0(VALU_DEP_2) | instskip(NEXT) | instid1(VALU_DEP_1)
	v_cmp_ge_f32_e64 s7, 0, v41
	v_cndmask_b32_e64 v38, v38, v39, s7
	s_delay_alu instid0(VALU_DEP_3) | instskip(NEXT) | instid1(VALU_DEP_1)
	v_cmp_lt_f32_e64 s7, 0, v42
	v_cndmask_b32_e64 v38, v38, v40, s7
	s_delay_alu instid0(VALU_DEP_1) | instskip(NEXT) | instid1(VALU_DEP_1)
	v_mul_f32_e32 v39, 0x37800000, v38
	v_dual_cndmask_b32 v38, v38, v39 :: v_dual_and_b32 v39, 0x7fffffff, v9
	v_cmp_class_f32_e64 vcc_lo, v34, 0x260
	s_delay_alu instid0(VALU_DEP_2) | instskip(NEXT) | instid1(VALU_DEP_1)
	v_cndmask_b32_e32 v34, v38, v34, vcc_lo
	v_div_scale_f32 v38, null, v34, v34, v39
	v_div_scale_f32 v39, vcc_lo, v39, v34, v39
	s_delay_alu instid0(VALU_DEP_2) | instskip(SKIP_2) | instid1(VALU_DEP_1)
	v_rcp_f32_e32 v40, v38
	s_waitcnt_depctr 0xfff
	v_fma_f32 v41, -v38, v40, 1.0
	v_fmac_f32_e32 v40, v41, v40
	s_delay_alu instid0(VALU_DEP_1) | instskip(NEXT) | instid1(VALU_DEP_1)
	v_mul_f32_e32 v41, v39, v40
	v_fma_f32 v42, -v38, v41, v39
	s_delay_alu instid0(VALU_DEP_1) | instskip(NEXT) | instid1(VALU_DEP_1)
	v_fmac_f32_e32 v41, v42, v40
	v_fma_f32 v38, -v38, v41, v39
	s_delay_alu instid0(VALU_DEP_1) | instskip(NEXT) | instid1(VALU_DEP_1)
	v_div_fmas_f32 v38, v38, v40, v41
	v_div_fixup_f32 v34, v38, v34, |v9|
.LBB44_628:                             ;   in Loop: Header=BB44_401 Depth=1
	s_or_b32 exec_lo, exec_lo, s38
.LBB44_629:                             ;   in Loop: Header=BB44_401 Depth=1
	s_delay_alu instid0(SALU_CYCLE_1)
	s_or_b32 exec_lo, exec_lo, s37
.LBB44_630:                             ;   in Loop: Header=BB44_401 Depth=1
	s_and_not1_saveexec_b32 s36, s36
	s_cbranch_execz .LBB44_632
; %bb.631:                              ;   in Loop: Header=BB44_401 Depth=1
	v_mul_f32_e64 v34, 0x4f800000, |v9|
	v_cmp_gt_f32_e64 vcc_lo, 0xf800000, |v9|
	s_delay_alu instid0(VALU_DEP_1) | instskip(NEXT) | instid1(VALU_DEP_1)
	v_cndmask_b32_e64 v34, |v9|, v34, vcc_lo
	v_sqrt_f32_e32 v38, v34
	s_waitcnt_depctr 0xfff
	v_add_nc_u32_e32 v39, -1, v38
	v_add_nc_u32_e32 v40, 1, v38
	s_delay_alu instid0(VALU_DEP_2) | instskip(NEXT) | instid1(VALU_DEP_2)
	v_fma_f32 v41, -v39, v38, v34
	v_fma_f32 v42, -v40, v38, v34
	s_delay_alu instid0(VALU_DEP_2) | instskip(NEXT) | instid1(VALU_DEP_1)
	v_cmp_ge_f32_e64 s7, 0, v41
	v_cndmask_b32_e64 v38, v38, v39, s7
	s_delay_alu instid0(VALU_DEP_3) | instskip(NEXT) | instid1(VALU_DEP_1)
	v_cmp_lt_f32_e64 s7, 0, v42
	v_cndmask_b32_e64 v38, v38, v40, s7
	s_delay_alu instid0(VALU_DEP_1) | instskip(NEXT) | instid1(VALU_DEP_1)
	v_mul_f32_e32 v39, 0x37800000, v38
	v_cndmask_b32_e32 v38, v38, v39, vcc_lo
	v_cmp_class_f32_e64 vcc_lo, v34, 0x260
	s_delay_alu instid0(VALU_DEP_2)
	v_cndmask_b32_e32 v34, v38, v34, vcc_lo
.LBB44_632:                             ;   in Loop: Header=BB44_401 Depth=1
	s_or_b32 exec_lo, exec_lo, s36
.LBB44_633:                             ;   in Loop: Header=BB44_401 Depth=1
	s_delay_alu instid0(SALU_CYCLE_1) | instskip(NEXT) | instid1(SALU_CYCLE_1)
	s_or_b32 exec_lo, exec_lo, s8
	s_mov_b32 s36, exec_lo
                                        ; implicit-def: $sgpr7
                                        ; implicit-def: $vgpr38
                                        ; implicit-def: $vgpr40
                                        ; implicit-def: $vgpr39
	v_cmpx_ngt_f32_e64 0x21000000, |v8|
	s_xor_b32 s36, exec_lo, s36
	s_cbranch_execz .LBB44_657
; %bb.634:                              ;   in Loop: Header=BB44_401 Depth=1
	v_and_b32_e32 v39, 0x7fffffff, v8
	s_mov_b32 s7, 0
	s_mov_b32 s37, exec_lo
	s_delay_alu instid0(VALU_DEP_1) | instskip(NEXT) | instid1(VALU_DEP_1)
	v_div_scale_f32 v38, null, v12, v12, v39
	v_rcp_f32_e32 v40, v38
	s_waitcnt_depctr 0xfff
	v_fma_f32 v41, -v38, v40, 1.0
	s_delay_alu instid0(VALU_DEP_1) | instskip(SKIP_1) | instid1(VALU_DEP_1)
	v_fmac_f32_e32 v40, v41, v40
	v_div_scale_f32 v41, vcc_lo, v39, v12, v39
	v_mul_f32_e32 v42, v41, v40
	s_delay_alu instid0(VALU_DEP_1) | instskip(NEXT) | instid1(VALU_DEP_1)
	v_fma_f32 v43, -v38, v42, v41
	v_fmac_f32_e32 v42, v43, v40
	s_delay_alu instid0(VALU_DEP_1) | instskip(NEXT) | instid1(VALU_DEP_1)
	v_fma_f32 v38, -v38, v42, v41
	v_div_fmas_f32 v38, v38, v40, v42
                                        ; implicit-def: $vgpr40
	s_delay_alu instid0(VALU_DEP_1) | instskip(NEXT) | instid1(VALU_DEP_1)
	v_div_fixup_f32 v38, v38, v12, |v8|
	v_cmpx_lt_f32_e32 0x3f244674, v38
	s_cbranch_execz .LBB44_656
; %bb.635:                              ;   in Loop: Header=BB44_401 Depth=1
	v_cmp_neq_f32_e64 s7, |v8|, 1.0
	v_cmp_ngt_f32_e64 s8, 0x30800000, |v9|
                                        ; implicit-def: $sgpr38
                                        ; implicit-def: $vgpr40
	s_delay_alu instid0(VALU_DEP_1) | instskip(NEXT) | instid1(SALU_CYCLE_1)
	s_or_b32 s7, s8, s7
	s_and_saveexec_b32 s8, s7
	s_delay_alu instid0(SALU_CYCLE_1)
	s_xor_b32 s8, exec_lo, s8
	s_cbranch_execz .LBB44_653
; %bb.636:                              ;   in Loop: Header=BB44_401 Depth=1
	v_mul_f32_e64 v40, 0x34000000, |v13|
                                        ; implicit-def: $sgpr38
	s_delay_alu instid0(VALU_DEP_1) | instskip(NEXT) | instid1(VALU_DEP_1)
	v_cmp_le_f32_e64 s7, v40, |v9|
                                        ; implicit-def: $vgpr40
	s_and_saveexec_b32 s39, s7
	s_delay_alu instid0(SALU_CYCLE_1)
	s_xor_b32 s39, exec_lo, s39
	s_cbranch_execz .LBB44_646
; %bb.637:                              ;   in Loop: Header=BB44_401 Depth=1
	v_mov_b32_e32 v40, v36
	s_mov_b32 s7, exec_lo
	v_cmpx_neq_f32_e32 0, v33
	s_cbranch_execz .LBB44_639
; %bb.638:                              ;   in Loop: Header=BB44_401 Depth=1
	v_mul_f32_e32 v40, v9, v9
	v_add_f32_e32 v33, v33, v37
	s_delay_alu instid0(VALU_DEP_1) | instskip(NEXT) | instid1(VALU_DEP_1)
	v_div_scale_f32 v37, null, v33, v33, v40
	v_rcp_f32_e32 v41, v37
	s_waitcnt_depctr 0xfff
	v_fma_f32 v42, -v37, v41, 1.0
	s_delay_alu instid0(VALU_DEP_1) | instskip(SKIP_1) | instid1(VALU_DEP_1)
	v_fmac_f32_e32 v41, v42, v41
	v_div_scale_f32 v42, vcc_lo, v40, v33, v40
	v_mul_f32_e32 v43, v42, v41
	s_delay_alu instid0(VALU_DEP_1) | instskip(NEXT) | instid1(VALU_DEP_1)
	v_fma_f32 v44, -v37, v43, v42
	v_fmac_f32_e32 v43, v44, v41
	s_delay_alu instid0(VALU_DEP_1) | instskip(NEXT) | instid1(VALU_DEP_1)
	v_fma_f32 v37, -v37, v43, v42
	v_div_fmas_f32 v37, v37, v41, v43
	s_delay_alu instid0(VALU_DEP_1)
	v_div_fixup_f32 v40, v37, v33, v40
.LBB44_639:                             ;   in Loop: Header=BB44_401 Depth=1
	s_or_b32 exec_lo, exec_lo, s7
	s_delay_alu instid0(SALU_CYCLE_1)
	s_mov_b32 s7, exec_lo
	v_cmpx_ngt_f32_e32 0, v13
	s_xor_b32 s7, exec_lo, s7
	s_cbranch_execz .LBB44_643
; %bb.640:                              ;   in Loop: Header=BB44_401 Depth=1
	s_mov_b32 s38, exec_lo
	v_cmpx_neq_f32_e32 0, v13
	s_cbranch_execz .LBB44_642
; %bb.641:                              ;   in Loop: Header=BB44_401 Depth=1
	v_mul_f32_e32 v9, v9, v9
	v_add_f32_e32 v13, v13, v35
	s_delay_alu instid0(VALU_DEP_1) | instskip(NEXT) | instid1(VALU_DEP_1)
	v_div_scale_f32 v33, null, v13, v13, v9
	v_rcp_f32_e32 v35, v33
	s_waitcnt_depctr 0xfff
	v_fma_f32 v36, -v33, v35, 1.0
	s_delay_alu instid0(VALU_DEP_1) | instskip(SKIP_1) | instid1(VALU_DEP_1)
	v_fmac_f32_e32 v35, v36, v35
	v_div_scale_f32 v36, vcc_lo, v9, v13, v9
	v_mul_f32_e32 v37, v36, v35
	s_delay_alu instid0(VALU_DEP_1) | instskip(NEXT) | instid1(VALU_DEP_1)
	v_fma_f32 v41, -v33, v37, v36
	v_fmac_f32_e32 v37, v41, v35
	s_delay_alu instid0(VALU_DEP_1) | instskip(NEXT) | instid1(VALU_DEP_1)
	v_fma_f32 v33, -v33, v37, v36
	v_div_fmas_f32 v33, v33, v35, v37
	s_delay_alu instid0(VALU_DEP_1)
	v_div_fixup_f32 v36, v33, v13, v9
.LBB44_642:                             ;   in Loop: Header=BB44_401 Depth=1
	s_or_b32 exec_lo, exec_lo, s38
                                        ; implicit-def: $vgpr35
                                        ; implicit-def: $vgpr13
.LBB44_643:                             ;   in Loop: Header=BB44_401 Depth=1
	s_and_not1_saveexec_b32 s7, s7
; %bb.644:                              ;   in Loop: Header=BB44_401 Depth=1
	v_sub_f32_e32 v36, v35, v13
; %bb.645:                              ;   in Loop: Header=BB44_401 Depth=1
	s_or_b32 exec_lo, exec_lo, s7
	s_delay_alu instid0(VALU_DEP_1) | instskip(SKIP_2) | instid1(VALU_DEP_2)
	v_mul_f32_e32 v9, 0.5, v36
	v_add_f32_e64 v8, |v8|, v12
	s_mov_b32 s38, -1
	v_fmac_f32_e32 v9, 0.5, v40
	s_delay_alu instid0(VALU_DEP_1) | instskip(NEXT) | instid1(VALU_DEP_1)
	v_mul_f32_e32 v8, v8, v9
	v_mul_f32_e32 v9, 0x4f800000, v8
	v_cmp_gt_f32_e32 vcc_lo, 0xf800000, v8
	s_delay_alu instid0(VALU_DEP_2) | instskip(NEXT) | instid1(VALU_DEP_1)
	v_cndmask_b32_e32 v8, v8, v9, vcc_lo
	v_sqrt_f32_e32 v9, v8
	s_waitcnt_depctr 0xfff
	v_add_nc_u32_e32 v12, -1, v9
	v_add_nc_u32_e32 v13, 1, v9
	s_delay_alu instid0(VALU_DEP_2) | instskip(NEXT) | instid1(VALU_DEP_2)
	v_fma_f32 v33, -v12, v9, v8
	v_fma_f32 v35, -v13, v9, v8
	s_delay_alu instid0(VALU_DEP_2) | instskip(NEXT) | instid1(VALU_DEP_1)
	v_cmp_ge_f32_e64 s7, 0, v33
                                        ; implicit-def: $vgpr33
	v_cndmask_b32_e64 v9, v9, v12, s7
	s_delay_alu instid0(VALU_DEP_3) | instskip(NEXT) | instid1(VALU_DEP_1)
	v_cmp_lt_f32_e64 s7, 0, v35
	v_cndmask_b32_e64 v9, v9, v13, s7
                                        ; implicit-def: $vgpr13
	s_delay_alu instid0(VALU_DEP_1) | instskip(NEXT) | instid1(VALU_DEP_1)
	v_mul_f32_e32 v12, 0x37800000, v9
	v_cndmask_b32_e32 v9, v9, v12, vcc_lo
	v_cmp_class_f32_e64 vcc_lo, v8, 0x260
	s_delay_alu instid0(VALU_DEP_2)
	v_cndmask_b32_e32 v40, v9, v8, vcc_lo
                                        ; implicit-def: $vgpr9
.LBB44_646:                             ;   in Loop: Header=BB44_401 Depth=1
	s_and_not1_saveexec_b32 s39, s39
	s_cbranch_execz .LBB44_652
; %bb.647:                              ;   in Loop: Header=BB44_401 Depth=1
	s_mov_b32 s41, exec_lo
                                        ; implicit-def: $vgpr40
                                        ; implicit-def: $sgpr40
	v_cmpx_ngt_f32_e64 |v8|, 1.0
	s_xor_b32 s41, exec_lo, s41
	s_cbranch_execz .LBB44_649
; %bb.648:                              ;   in Loop: Header=BB44_401 Depth=1
	v_sub_f32_e64 v8, 1.0, |v8|
	s_mov_b32 s40, -1
	s_delay_alu instid0(VALU_DEP_1) | instskip(NEXT) | instid1(VALU_DEP_1)
	v_mul_f32_e32 v8, v8, v33
	v_mul_f32_e32 v9, 0x4f800000, v8
	v_cmp_gt_f32_e32 vcc_lo, 0xf800000, v8
	s_delay_alu instid0(VALU_DEP_2) | instskip(NEXT) | instid1(VALU_DEP_1)
	v_cndmask_b32_e32 v8, v8, v9, vcc_lo
	v_sqrt_f32_e32 v9, v8
	s_waitcnt_depctr 0xfff
	v_add_nc_u32_e32 v12, -1, v9
	v_add_nc_u32_e32 v13, 1, v9
	s_delay_alu instid0(VALU_DEP_2) | instskip(NEXT) | instid1(VALU_DEP_2)
	v_fma_f32 v33, -v12, v9, v8
	v_fma_f32 v35, -v13, v9, v8
	s_delay_alu instid0(VALU_DEP_2) | instskip(NEXT) | instid1(VALU_DEP_1)
	v_cmp_ge_f32_e64 s7, 0, v33
                                        ; implicit-def: $vgpr33
	v_cndmask_b32_e64 v9, v9, v12, s7
	s_delay_alu instid0(VALU_DEP_3) | instskip(NEXT) | instid1(VALU_DEP_1)
	v_cmp_lt_f32_e64 s7, 0, v35
	v_cndmask_b32_e64 v9, v9, v13, s7
                                        ; implicit-def: $vgpr13
	s_delay_alu instid0(VALU_DEP_1) | instskip(NEXT) | instid1(VALU_DEP_1)
	v_mul_f32_e32 v12, 0x37800000, v9
	v_cndmask_b32_e32 v9, v9, v12, vcc_lo
	v_cmp_class_f32_e64 vcc_lo, v8, 0x260
	s_delay_alu instid0(VALU_DEP_2)
	v_cndmask_b32_e32 v40, v9, v8, vcc_lo
                                        ; implicit-def: $vgpr9
.LBB44_649:                             ;   in Loop: Header=BB44_401 Depth=1
	s_and_not1_saveexec_b32 s41, s41
	s_cbranch_execz .LBB44_651
; %bb.650:                              ;   in Loop: Header=BB44_401 Depth=1
	v_mul_f32_e32 v12, v33, v13
	v_mul_f32_e64 v9, 0x57800000, |v9|
	v_mul_f32_e64 v39, 0x57800000, |v8|
	s_or_b32 s40, s40, exec_lo
	s_delay_alu instid0(VALU_DEP_3) | instskip(SKIP_2) | instid1(VALU_DEP_3)
	v_mul_f32_e32 v13, 0x4f800000, v12
	v_cmp_gt_f32_e32 vcc_lo, 0xf800000, v12
	v_mul_f32_e64 v9, |v8|, v9
	v_cndmask_b32_e32 v12, v12, v13, vcc_lo
	s_delay_alu instid0(VALU_DEP_1) | instskip(SKIP_3) | instid1(VALU_DEP_2)
	v_sqrt_f32_e32 v13, v12
	s_waitcnt_depctr 0xfff
	v_add_nc_u32_e32 v33, -1, v13
	v_add_nc_u32_e32 v35, 1, v13
	v_fma_f32 v36, -v33, v13, v12
	s_delay_alu instid0(VALU_DEP_2) | instskip(NEXT) | instid1(VALU_DEP_2)
	v_fma_f32 v37, -v35, v13, v12
	v_cmp_ge_f32_e64 s7, 0, v36
	s_delay_alu instid0(VALU_DEP_1) | instskip(NEXT) | instid1(VALU_DEP_3)
	v_cndmask_b32_e64 v13, v13, v33, s7
	v_cmp_lt_f32_e64 s7, 0, v37
	s_delay_alu instid0(VALU_DEP_1) | instskip(NEXT) | instid1(VALU_DEP_1)
	v_cndmask_b32_e64 v13, v13, v35, s7
	v_mul_f32_e32 v33, 0x37800000, v13
	s_delay_alu instid0(VALU_DEP_1) | instskip(SKIP_1) | instid1(VALU_DEP_2)
	v_cndmask_b32_e32 v13, v13, v33, vcc_lo
	v_cmp_class_f32_e64 vcc_lo, v12, 0x260
	v_cndmask_b32_e32 v12, v13, v12, vcc_lo
	s_delay_alu instid0(VALU_DEP_1) | instskip(SKIP_1) | instid1(VALU_DEP_2)
	v_div_scale_f32 v13, null, v12, v12, v9
	v_div_scale_f32 v36, vcc_lo, v9, v12, v9
	v_rcp_f32_e32 v33, v13
	s_waitcnt_depctr 0xfff
	v_fma_f32 v35, -v13, v33, 1.0
	s_delay_alu instid0(VALU_DEP_1) | instskip(NEXT) | instid1(VALU_DEP_1)
	v_fmac_f32_e32 v33, v35, v33
	v_mul_f32_e32 v35, v36, v33
	s_delay_alu instid0(VALU_DEP_1) | instskip(NEXT) | instid1(VALU_DEP_1)
	v_fma_f32 v37, -v13, v35, v36
	v_fmac_f32_e32 v35, v37, v33
	s_delay_alu instid0(VALU_DEP_1) | instskip(NEXT) | instid1(VALU_DEP_1)
	v_fma_f32 v13, -v13, v35, v36
	v_div_fmas_f32 v13, v13, v33, v35
	s_delay_alu instid0(VALU_DEP_1)
	v_div_fixup_f32 v40, v13, v12, v9
.LBB44_651:                             ;   in Loop: Header=BB44_401 Depth=1
	s_or_b32 exec_lo, exec_lo, s41
	s_delay_alu instid0(SALU_CYCLE_1) | instskip(SKIP_1) | instid1(SALU_CYCLE_1)
	s_and_not1_b32 s7, s38, exec_lo
	s_and_b32 s38, s40, exec_lo
	s_or_b32 s38, s7, s38
.LBB44_652:                             ;   in Loop: Header=BB44_401 Depth=1
	s_or_b32 exec_lo, exec_lo, s39
	s_delay_alu instid0(SALU_CYCLE_1)
	s_and_b32 s38, s38, exec_lo
                                        ; implicit-def: $vgpr9
                                        ; implicit-def: $vgpr12
.LBB44_653:                             ;   in Loop: Header=BB44_401 Depth=1
	s_and_not1_saveexec_b32 s39, s8
	s_cbranch_execz .LBB44_655
; %bb.654:                              ;   in Loop: Header=BB44_401 Depth=1
	v_add_f32_e32 v8, 1.0, v12
	v_mul_f32_e64 v12, 0x4f800000, |v9|
	v_cmp_gt_f32_e64 vcc_lo, 0xf800000, |v9|
	s_or_b32 s38, s38, exec_lo
	s_delay_alu instid0(VALU_DEP_3) | instskip(NEXT) | instid1(VALU_DEP_2)
	v_mul_f32_e32 v8, 0.5, v8
	v_cndmask_b32_e64 v9, |v9|, v12, vcc_lo
	s_delay_alu instid0(VALU_DEP_2) | instskip(SKIP_1) | instid1(VALU_DEP_3)
	v_mul_f32_e32 v13, 0x4f800000, v8
	v_cmp_gt_f32_e64 s7, 0xf800000, v8
	v_sqrt_f32_e32 v12, v9
	s_delay_alu instid0(VALU_DEP_1) | instskip(NEXT) | instid1(VALU_DEP_1)
	v_cndmask_b32_e64 v8, v8, v13, s7
	v_sqrt_f32_e32 v13, v8
	s_waitcnt_depctr 0xfff
	v_add_nc_u32_e32 v33, -1, v12
	v_add_nc_u32_e32 v36, 1, v12
	s_delay_alu instid0(VALU_DEP_2) | instskip(NEXT) | instid1(VALU_DEP_2)
	v_fma_f32 v37, -v33, v12, v9
	v_fma_f32 v41, -v36, v12, v9
	v_add_nc_u32_e32 v35, -1, v13
	s_delay_alu instid0(VALU_DEP_3) | instskip(SKIP_1) | instid1(VALU_DEP_3)
	v_cmp_ge_f32_e64 s8, 0, v37
	v_add_nc_u32_e32 v39, 1, v13
	v_fma_f32 v40, -v35, v13, v8
	s_delay_alu instid0(VALU_DEP_3) | instskip(NEXT) | instid1(VALU_DEP_3)
	v_cndmask_b32_e64 v12, v12, v33, s8
	v_fma_f32 v33, -v39, v13, v8
	s_delay_alu instid0(VALU_DEP_3) | instskip(NEXT) | instid1(VALU_DEP_1)
	v_cmp_ge_f32_e64 s8, 0, v40
	v_cndmask_b32_e64 v13, v13, v35, s8
	v_cmp_lt_f32_e64 s8, 0, v41
	s_delay_alu instid0(VALU_DEP_1) | instskip(SKIP_1) | instid1(VALU_DEP_2)
	v_cndmask_b32_e64 v12, v12, v36, s8
	v_cmp_lt_f32_e64 s8, 0, v33
	v_mul_f32_e32 v33, 0x37800000, v12
	s_delay_alu instid0(VALU_DEP_2) | instskip(NEXT) | instid1(VALU_DEP_2)
	v_cndmask_b32_e64 v13, v13, v39, s8
	v_dual_mov_b32 v39, 1.0 :: v_dual_cndmask_b32 v12, v12, v33
	s_delay_alu instid0(VALU_DEP_2) | instskip(SKIP_1) | instid1(VALU_DEP_2)
	v_mul_f32_e32 v35, 0x37800000, v13
	v_cmp_class_f32_e64 vcc_lo, v9, 0x260
	v_cndmask_b32_e64 v13, v13, v35, s7
	s_delay_alu instid0(VALU_DEP_4) | instskip(SKIP_1) | instid1(VALU_DEP_3)
	v_cndmask_b32_e32 v9, v12, v9, vcc_lo
	v_cmp_class_f32_e64 vcc_lo, v8, 0x260
	v_cndmask_b32_e32 v8, v13, v8, vcc_lo
	s_delay_alu instid0(VALU_DEP_1)
	v_mul_f32_e32 v40, v9, v8
.LBB44_655:                             ;   in Loop: Header=BB44_401 Depth=1
	s_or_b32 exec_lo, exec_lo, s39
	s_delay_alu instid0(SALU_CYCLE_1)
	s_and_b32 s7, s38, exec_lo
.LBB44_656:                             ;   in Loop: Header=BB44_401 Depth=1
	s_or_b32 exec_lo, exec_lo, s37
	s_delay_alu instid0(SALU_CYCLE_1)
	s_and_b32 s7, s7, exec_lo
                                        ; implicit-def: $vgpr12
                                        ; implicit-def: $vgpr8
.LBB44_657:                             ;   in Loop: Header=BB44_401 Depth=1
	s_and_not1_saveexec_b32 s8, s36
; %bb.658:                              ;   in Loop: Header=BB44_401 Depth=1
	v_mul_f32_e32 v40, 0x4b800000, v12
	v_mul_f32_e64 v39, 0x4b800000, |v8|
	s_or_b32 s7, s7, exec_lo
                                        ; implicit-def: $vgpr38
; %bb.659:                              ;   in Loop: Header=BB44_401 Depth=1
	s_or_b32 exec_lo, exec_lo, s8
	s_xor_b32 s7, s7, -1
                                        ; implicit-def: $vgpr12
	s_delay_alu instid0(SALU_CYCLE_1) | instskip(NEXT) | instid1(SALU_CYCLE_1)
	s_and_saveexec_b32 s8, s7
	s_xor_b32 s8, exec_lo, s8
	s_cbranch_execz .LBB44_665
; %bb.660:                              ;   in Loop: Header=BB44_401 Depth=1
                                        ; implicit-def: $vgpr12
	s_and_saveexec_b32 s7, s6
	s_delay_alu instid0(SALU_CYCLE_1)
	s_xor_b32 s7, exec_lo, s7
	s_cbranch_execz .LBB44_662
; %bb.661:                              ;   in Loop: Header=BB44_401 Depth=1
	v_fma_f32 v8, |v38|, -0.5, 0.5
	v_mul_f32_e32 v9, v38, v38
	v_cmp_gt_f32_e64 vcc_lo, |v38|, 0.5
	s_delay_alu instid0(VALU_DEP_2) | instskip(NEXT) | instid1(VALU_DEP_1)
	v_cndmask_b32_e32 v8, v9, v8, vcc_lo
	v_fmaak_f32 v9, s30, v8, 0x3c5fc5da
	v_sqrt_f32_e32 v12, v8
	s_delay_alu instid0(VALU_DEP_1) | instskip(NEXT) | instid1(VALU_DEP_1)
	v_fmaak_f32 v9, v8, v9, 0x3d034c3c
	v_fmaak_f32 v9, v8, v9, 0x3d3641b1
	s_delay_alu instid0(VALU_DEP_1) | instskip(NEXT) | instid1(VALU_DEP_1)
	v_fmaak_f32 v9, v8, v9, 0x3d999bc8
	v_fmaak_f32 v9, v8, v9, 0x3e2aaaac
	s_delay_alu instid0(VALU_DEP_1) | instskip(NEXT) | instid1(VALU_DEP_1)
	v_mul_f32_e32 v8, v8, v9
	v_fmac_f32_e32 v38, v38, v8
	s_delay_alu instid0(TRANS32_DEP_1) | instid1(VALU_DEP_1)
	v_dual_fmac_f32 v12, v12, v8 :: v_dual_sub_f32 v9, 0x3fc90fdb, v38
	s_delay_alu instid0(VALU_DEP_1) | instskip(NEXT) | instid1(VALU_DEP_1)
	v_add_f32_e32 v8, v12, v12
                                        ; implicit-def: $vgpr38
	v_cndmask_b32_e32 v12, v9, v8, vcc_lo
.LBB44_662:                             ;   in Loop: Header=BB44_401 Depth=1
	s_and_not1_saveexec_b32 s36, s7
	s_cbranch_execz .LBB44_664
; %bb.663:                              ;   in Loop: Header=BB44_401 Depth=1
	v_fma_f32 v8, |v38|, -0.5, 0.5
	v_mul_f32_e32 v9, v38, v38
	v_cmp_gt_f32_e64 vcc_lo, |v38|, 0.5
	v_cmp_lt_f32_e64 s7, 0, v38
	s_delay_alu instid0(VALU_DEP_3) | instskip(NEXT) | instid1(VALU_DEP_1)
	v_cndmask_b32_e32 v8, v9, v8, vcc_lo
	v_fmaak_f32 v9, s30, v8, 0x3c5fc5da
	v_sqrt_f32_e32 v12, v8
	s_delay_alu instid0(VALU_DEP_1) | instskip(NEXT) | instid1(VALU_DEP_1)
	v_fmaak_f32 v9, v8, v9, 0x3d034c3c
	v_fmaak_f32 v9, v8, v9, 0x3d3641b1
	s_delay_alu instid0(VALU_DEP_1) | instskip(NEXT) | instid1(VALU_DEP_1)
	v_fmaak_f32 v9, v8, v9, 0x3d999bc8
	v_fmaak_f32 v9, v8, v9, 0x3e2aaaac
	s_delay_alu instid0(VALU_DEP_1) | instskip(SKIP_3) | instid1(VALU_DEP_2)
	v_mul_f32_e32 v8, v8, v9
	s_waitcnt_depctr 0xfff
	v_fmac_f32_e32 v12, v12, v8
	v_fma_f32 v8, -v38, v8, -v38
	v_add_f32_e32 v9, v12, v12
	s_delay_alu instid0(VALU_DEP_2) | instskip(NEXT) | instid1(VALU_DEP_2)
	v_sub_f32_e32 v8, 0x3fc90fdb, v8
	v_sub_f32_e32 v12, 0x40490fdb, v9
	s_delay_alu instid0(VALU_DEP_1) | instskip(NEXT) | instid1(VALU_DEP_1)
	v_cndmask_b32_e64 v9, v9, v12, s7
	v_cndmask_b32_e32 v12, v8, v9, vcc_lo
.LBB44_664:                             ;   in Loop: Header=BB44_401 Depth=1
	s_or_b32 exec_lo, exec_lo, s36
                                        ; implicit-def: $vgpr40
                                        ; implicit-def: $vgpr39
.LBB44_665:                             ;   in Loop: Header=BB44_401 Depth=1
	s_and_not1_saveexec_b32 s8, s8
	s_cbranch_execz .LBB44_671
; %bb.666:                              ;   in Loop: Header=BB44_401 Depth=1
                                        ; implicit-def: $vgpr12
	s_and_saveexec_b32 s7, s6
	s_delay_alu instid0(SALU_CYCLE_1)
	s_xor_b32 s7, exec_lo, s7
	s_cbranch_execz .LBB44_668
; %bb.667:                              ;   in Loop: Header=BB44_401 Depth=1
	v_max_f32_e64 v8, |v40|, |v40|
	v_max_f32_e32 v9, v39, v39
	v_cmp_gt_f32_e64 vcc_lo, |v40|, v39
	v_cmp_neq_f32_e64 s6, 0, v40
	v_cmp_class_f32_e64 s36, v40, 0x204
	s_delay_alu instid0(VALU_DEP_4) | instskip(SKIP_1) | instid1(VALU_DEP_2)
	v_max_f32_e32 v12, v9, v8
	v_min_f32_e32 v8, v9, v8
	v_frexp_mant_f32_e32 v13, v12
	v_frexp_exp_i32_f32_e32 v12, v12
	s_delay_alu instid0(VALU_DEP_2) | instskip(NEXT) | instid1(VALU_DEP_3)
	v_rcp_f32_e32 v9, v13
	v_frexp_mant_f32_e32 v13, v8
	v_frexp_exp_i32_f32_e32 v8, v8
	s_delay_alu instid0(VALU_DEP_1) | instskip(SKIP_2) | instid1(VALU_DEP_1)
	v_sub_nc_u32_e32 v8, v8, v12
	s_waitcnt_depctr 0xfff
	v_mul_f32_e32 v9, v13, v9
	v_ldexp_f32 v8, v9, v8
	s_delay_alu instid0(VALU_DEP_1) | instskip(NEXT) | instid1(VALU_DEP_1)
	v_mul_f32_e32 v9, v8, v8
	v_fmaak_f32 v12, s31, v9, 0xbc7a590c
	s_delay_alu instid0(VALU_DEP_1) | instskip(NEXT) | instid1(VALU_DEP_1)
	v_fmaak_f32 v12, v9, v12, 0x3d29fb3f
	v_fmaak_f32 v12, v9, v12, 0xbd97d4d7
	s_delay_alu instid0(VALU_DEP_1) | instskip(NEXT) | instid1(VALU_DEP_1)
	v_fmaak_f32 v12, v9, v12, 0x3dd931b2
	;; [unrolled: 3-line block ×3, first 2 shown]
	v_fmaak_f32 v12, v9, v12, 0xbeaaaa62
	s_delay_alu instid0(VALU_DEP_1) | instskip(NEXT) | instid1(VALU_DEP_1)
	v_mul_f32_e32 v9, v9, v12
	v_fmac_f32_e32 v8, v8, v9
	s_delay_alu instid0(VALU_DEP_1) | instskip(NEXT) | instid1(VALU_DEP_1)
	v_sub_f32_e32 v9, 0x3fc90fdb, v8
	v_cndmask_b32_e32 v8, v8, v9, vcc_lo
	v_cmp_eq_f32_e32 vcc_lo, 0x7f800000, v39
	s_delay_alu instid0(VALU_DEP_2) | instskip(SKIP_2) | instid1(VALU_DEP_2)
	v_cndmask_b32_e64 v8, 0, v8, s6
	s_and_b32 s6, vcc_lo, s36
	v_cmp_o_f32_e32 vcc_lo, v39, v40
                                        ; implicit-def: $vgpr39
	v_cndmask_b32_e64 v8, v8, 0x3f490fdb, s6
	s_delay_alu instid0(VALU_DEP_1) | instskip(NEXT) | instid1(VALU_DEP_1)
	v_cndmask_b32_e32 v8, 0x7fc00000, v8, vcc_lo
	v_bfi_b32 v12, 0x7fffffff, v8, v40
                                        ; implicit-def: $vgpr40
.LBB44_668:                             ;   in Loop: Header=BB44_401 Depth=1
	s_and_not1_saveexec_b32 s36, s7
	s_cbranch_execz .LBB44_670
; %bb.669:                              ;   in Loop: Header=BB44_401 Depth=1
	v_max_f32_e64 v8, |v40|, |v40|
	v_max_f32_e32 v9, v39, v39
	v_cmp_gt_f32_e64 vcc_lo, |v40|, v39
	v_cmp_neq_f32_e64 s7, 0, v40
	v_cmp_eq_f32_e64 s6, 0x7f800000, v39
	v_cmp_class_f32_e64 s37, v40, 0x204
	v_max_f32_e32 v12, v9, v8
	v_min_f32_e32 v8, v9, v8
	s_delay_alu instid0(VALU_DEP_2) | instskip(SKIP_1) | instid1(VALU_DEP_2)
	v_frexp_mant_f32_e32 v13, v12
	v_frexp_exp_i32_f32_e32 v12, v12
	v_rcp_f32_e32 v9, v13
	s_delay_alu instid0(VALU_DEP_3) | instskip(SKIP_1) | instid1(VALU_DEP_2)
	v_frexp_exp_i32_f32_e32 v13, v8
	v_frexp_mant_f32_e32 v8, v8
	v_sub_nc_u32_e32 v12, v13, v12
	s_waitcnt_depctr 0xfff
	v_mul_f32_e32 v8, v8, v9
	s_delay_alu instid0(VALU_DEP_1) | instskip(NEXT) | instid1(VALU_DEP_1)
	v_ldexp_f32 v8, v8, v12
	v_mul_f32_e32 v9, v8, v8
	s_delay_alu instid0(VALU_DEP_1) | instskip(NEXT) | instid1(VALU_DEP_1)
	v_fmaak_f32 v12, s31, v9, 0xbc7a590c
	v_fmaak_f32 v12, v9, v12, 0x3d29fb3f
	s_delay_alu instid0(VALU_DEP_1) | instskip(NEXT) | instid1(VALU_DEP_1)
	v_fmaak_f32 v12, v9, v12, 0xbd97d4d7
	v_fmaak_f32 v12, v9, v12, 0x3dd931b2
	;; [unrolled: 3-line block ×3, first 2 shown]
	s_delay_alu instid0(VALU_DEP_1) | instskip(NEXT) | instid1(VALU_DEP_1)
	v_fmaak_f32 v12, v9, v12, 0xbeaaaa62
	v_mul_f32_e32 v9, v9, v12
	s_delay_alu instid0(VALU_DEP_1) | instskip(NEXT) | instid1(VALU_DEP_1)
	v_fmac_f32_e32 v8, v8, v9
	v_sub_f32_e32 v9, 0x3fc90fdb, v8
	s_delay_alu instid0(VALU_DEP_1) | instskip(SKIP_1) | instid1(VALU_DEP_2)
	v_cndmask_b32_e32 v8, v8, v9, vcc_lo
	v_cmp_lt_f32_e32 vcc_lo, 0, v39
	v_sub_f32_e32 v9, 0x40490fdb, v8
	s_delay_alu instid0(VALU_DEP_1) | instskip(SKIP_2) | instid1(VALU_DEP_2)
	v_cndmask_b32_e32 v8, v8, v9, vcc_lo
	v_cndmask_b32_e32 v9, 0x3f490fdb, v32, vcc_lo
	s_and_b32 vcc_lo, s6, s37
	v_cndmask_b32_e64 v8, 0x40490fdb, v8, s7
	s_delay_alu instid0(VALU_DEP_1) | instskip(SKIP_1) | instid1(VALU_DEP_2)
	v_cndmask_b32_e32 v8, v8, v9, vcc_lo
	v_cmp_o_f32_e64 vcc_lo, v40, -v39
	v_cndmask_b32_e32 v8, 0x7fc00000, v8, vcc_lo
	s_delay_alu instid0(VALU_DEP_1)
	v_bfi_b32 v12, 0x7fffffff, v8, v40
.LBB44_670:                             ;   in Loop: Header=BB44_401 Depth=1
	s_or_b32 exec_lo, exec_lo, s36
.LBB44_671:                             ;   in Loop: Header=BB44_401 Depth=1
	s_delay_alu instid0(SALU_CYCLE_1)
	s_or_b32 exec_lo, exec_lo, s8
	v_cndmask_b32_e64 v13, -v34, v34, s4
                                        ; implicit-def: $vgpr8
.LBB44_672:                             ;   in Loop: Header=BB44_401 Depth=1
	s_and_not1_saveexec_b32 s6, s35
	s_cbranch_execz .LBB44_674
; %bb.673:                              ;   in Loop: Header=BB44_401 Depth=1
	s_waitcnt vmcnt(0) lgkmcnt(0)
	v_dual_mov_b32 v12, s16 :: v_dual_mov_b32 v13, s17
	flat_load_b32 v12, v[12:13] glc dlc
	s_waitcnt vmcnt(0)
	v_xor_b32_e32 v13, 0x80000000, v9
	s_waitcnt lgkmcnt(0)
	v_sub_f32_e32 v8, v12, v8
	s_delay_alu instid0(VALU_DEP_1)
	v_add_f32_e32 v12, 0x3fc90fdb, v8
.LBB44_674:                             ;   in Loop: Header=BB44_401 Depth=1
	s_or_b32 exec_lo, exec_lo, s6
                                        ; implicit-def: $vgpr9
.LBB44_675:                             ;   in Loop: Header=BB44_401 Depth=1
	s_and_not1_saveexec_b32 s6, s34
	s_cbranch_execz .LBB44_677
; %bb.676:                              ;   in Loop: Header=BB44_401 Depth=1
	v_xor_b32_e32 v13, 0x80000000, v9
	s_waitcnt vmcnt(0) lgkmcnt(0)
	v_mov_b32_e32 v12, 0
.LBB44_677:                             ;   in Loop: Header=BB44_401 Depth=1
	s_or_b32 exec_lo, exec_lo, s6
                                        ; implicit-def: $vgpr8
                                        ; implicit-def: $vgpr35
                                        ; implicit-def: $vgpr34
                                        ; implicit-def: $vgpr33
.LBB44_678:                             ;   in Loop: Header=BB44_401 Depth=1
	s_and_not1_saveexec_b32 s8, s33
	s_cbranch_execz .LBB44_688
; %bb.679:                              ;   in Loop: Header=BB44_401 Depth=1
	v_cmp_lt_f32_e64 s6, |v8|, |v9|
                                        ; implicit-def: $vgpr13
                                        ; implicit-def: $vgpr12
	s_mov_b32 s7, exec_lo
	s_delay_alu instid0(VALU_DEP_1) | instskip(NEXT) | instid1(VALU_DEP_1)
	v_cndmask_b32_e64 v36, |v8|, |v9|, s6
	v_cmpx_nlt_f32_e32 0x7effffff, v36
	s_xor_b32 s33, exec_lo, s7
	s_cbranch_execz .LBB44_685
; %bb.680:                              ;   in Loop: Header=BB44_401 Depth=1
	v_cndmask_b32_e64 v37, |v9|, |v8|, s6
	v_cmp_nlt_f32_e32 vcc_lo, 0x5e000000, v36
                                        ; implicit-def: $vgpr13
                                        ; implicit-def: $vgpr12
	s_delay_alu instid0(VALU_DEP_2) | instskip(NEXT) | instid1(VALU_DEP_1)
	v_cmp_ngt_f32_e64 s7, 0x20000000, v37
	s_and_b32 s7, vcc_lo, s7
	s_delay_alu instid0(SALU_CYCLE_1) | instskip(NEXT) | instid1(SALU_CYCLE_1)
	s_and_saveexec_b32 s34, s7
	s_xor_b32 s34, exec_lo, s34
	s_cbranch_execz .LBB44_682
; %bb.681:                              ;   in Loop: Header=BB44_401 Depth=1
	s_waitcnt vmcnt(0) lgkmcnt(0)
	v_frexp_mant_f32_e32 v12, v33
	v_dual_min_f32 v13, v35, v34 :: v_dual_mul_f32 v34, v37, v37
	v_frexp_exp_i32_f32_e32 v33, v33
	s_delay_alu instid0(VALU_DEP_3) | instskip(NEXT) | instid1(VALU_DEP_2)
	v_rcp_f32_e32 v12, v12
	v_frexp_mant_f32_e32 v35, v13
	s_delay_alu instid0(VALU_DEP_3) | instskip(SKIP_1) | instid1(VALU_DEP_2)
	v_fmac_f32_e32 v34, v36, v36
	v_frexp_exp_i32_f32_e32 v13, v13
	v_cmp_gt_f32_e32 vcc_lo, 0x800000, v34
	s_delay_alu instid0(VALU_DEP_2) | instskip(SKIP_1) | instid1(TRANS32_DEP_1)
	v_sub_nc_u32_e32 v13, v13, v33
	v_cndmask_b32_e64 v33, 1.0, 0x4f800000, vcc_lo
	v_mul_f32_e32 v12, v35, v12
	s_delay_alu instid0(VALU_DEP_1) | instskip(NEXT) | instid1(VALU_DEP_3)
	v_ldexp_f32 v12, v12, v13
	v_mul_f32_e32 v13, v34, v33
	s_delay_alu instid0(VALU_DEP_1) | instskip(SKIP_3) | instid1(VALU_DEP_2)
	v_log_f32_e32 v13, v13
	s_waitcnt_depctr 0xfff
	v_mul_f32_e32 v35, 0x3f317217, v13
	v_cmp_gt_f32_e64 s7, 0x7f800000, |v13|
	v_fma_f32 v36, 0x3f317217, v13, -v35
	s_delay_alu instid0(VALU_DEP_1) | instskip(NEXT) | instid1(VALU_DEP_1)
	v_dual_mul_f32 v33, v12, v12 :: v_dual_fmac_f32 v36, 0x3377d1cf, v13
	v_dual_fmaak_f32 v34, s31, v33, 0xbc7a590c :: v_dual_add_f32 v35, v35, v36
	s_delay_alu instid0(VALU_DEP_1) | instskip(SKIP_1) | instid1(VALU_DEP_1)
	v_cndmask_b32_e64 v13, v13, v35, s7
	v_cndmask_b32_e64 v35, 0, 0x41b17218, vcc_lo
	v_sub_f32_e32 v13, v13, v35
	s_delay_alu instid0(VALU_DEP_4) | instskip(NEXT) | instid1(VALU_DEP_1)
	v_fmaak_f32 v34, v33, v34, 0x3d29fb3f
                                        ; implicit-def: $vgpr35
	v_dual_mul_f32 v13, 0.5, v13 :: v_dual_fmaak_f32 v34, v33, v34, 0xbd97d4d7
	s_delay_alu instid0(VALU_DEP_1) | instskip(NEXT) | instid1(VALU_DEP_1)
	v_fmaak_f32 v34, v33, v34, 0x3dd931b2
	v_fmaak_f32 v34, v33, v34, 0xbe1160e6
	s_delay_alu instid0(VALU_DEP_1) | instskip(NEXT) | instid1(VALU_DEP_1)
	v_fmaak_f32 v34, v33, v34, 0x3e4cb8bf
	v_fmaak_f32 v34, v33, v34, 0xbeaaaa62
	s_delay_alu instid0(VALU_DEP_1) | instskip(NEXT) | instid1(VALU_DEP_1)
	v_mul_f32_e32 v33, v33, v34
                                        ; implicit-def: $vgpr34
	v_fmac_f32_e32 v12, v12, v33
                                        ; implicit-def: $vgpr33
.LBB44_682:                             ;   in Loop: Header=BB44_401 Depth=1
	s_and_not1_saveexec_b32 s7, s34
	s_cbranch_execz .LBB44_684
; %bb.683:                              ;   in Loop: Header=BB44_401 Depth=1
	s_waitcnt vmcnt(0) lgkmcnt(0)
	v_cvt_f64_f32_e32 v[12:13], v33
	v_min_f32_e32 v34, v35, v34
	v_cmp_neq_f32_e32 vcc_lo, 0x7f800000, v33
	v_frexp_exp_i32_f32_e32 v35, v33
	s_delay_alu instid0(VALU_DEP_3) | instskip(SKIP_1) | instid1(VALU_DEP_2)
	v_frexp_exp_i32_f32_e32 v37, v34
	v_frexp_mant_f32_e32 v34, v34
	v_sub_nc_u32_e32 v35, v37, v35
	v_frexp_exp_i32_f64_e32 v12, v[12:13]
	s_delay_alu instid0(VALU_DEP_1) | instskip(NEXT) | instid1(VALU_DEP_1)
	v_sub_nc_u32_e32 v13, 0, v12
	v_ldexp_f32 v36, |v9|, v13
	v_ldexp_f32 v13, |v8|, v13
	s_delay_alu instid0(VALU_DEP_2) | instskip(NEXT) | instid1(VALU_DEP_1)
	v_mul_f32_e32 v36, v36, v36
	v_fmac_f32_e32 v36, v13, v13
	v_frexp_mant_f32_e32 v13, v33
	s_delay_alu instid0(VALU_DEP_2) | instskip(NEXT) | instid1(VALU_DEP_1)
	v_sqrt_f32_e32 v36, v36
	v_rcp_f32_e32 v13, v13
	s_waitcnt_depctr 0xfff
	v_ldexp_f32 v12, v36, v12
	v_mul_f32_e32 v13, v34, v13
	s_delay_alu instid0(VALU_DEP_2) | instskip(NEXT) | instid1(VALU_DEP_2)
	v_cndmask_b32_e32 v33, 0x7f800000, v12, vcc_lo
	v_ldexp_f32 v12, v13, v35
	s_delay_alu instid0(VALU_DEP_2) | instskip(SKIP_1) | instid1(VALU_DEP_1)
	v_cmp_gt_f32_e32 vcc_lo, 0x800000, v33
	v_cndmask_b32_e64 v13, 1.0, 0x4f800000, vcc_lo
	v_mul_f32_e32 v13, v33, v13
	s_delay_alu instid0(VALU_DEP_1) | instskip(SKIP_2) | instid1(VALU_DEP_1)
	v_log_f32_e32 v13, v13
	s_waitcnt_depctr 0xfff
	v_dual_mul_f32 v34, v12, v12 :: v_dual_mul_f32 v35, 0x3f317217, v13
	v_fmaak_f32 v33, s31, v34, 0xbc7a590c
	s_delay_alu instid0(VALU_DEP_2) | instskip(NEXT) | instid1(VALU_DEP_2)
	v_fma_f32 v36, 0x3f317217, v13, -v35
	v_fmaak_f32 v33, v34, v33, 0x3d29fb3f
	s_delay_alu instid0(VALU_DEP_2) | instskip(NEXT) | instid1(VALU_DEP_2)
	v_fmac_f32_e32 v36, 0x3377d1cf, v13
	v_fmaak_f32 v33, v34, v33, 0xbd97d4d7
	s_delay_alu instid0(VALU_DEP_1) | instskip(NEXT) | instid1(VALU_DEP_1)
	v_fmaak_f32 v33, v34, v33, 0x3dd931b2
	v_fmaak_f32 v33, v34, v33, 0xbe1160e6
	s_delay_alu instid0(VALU_DEP_1) | instskip(NEXT) | instid1(VALU_DEP_1)
	v_fmaak_f32 v33, v34, v33, 0x3e4cb8bf
	v_fmaak_f32 v33, v34, v33, 0xbeaaaa62
	s_delay_alu instid0(VALU_DEP_1) | instskip(SKIP_3) | instid1(VALU_DEP_3)
	v_mul_f32_e32 v33, v34, v33
	v_add_f32_e32 v35, v35, v36
	v_cndmask_b32_e64 v36, 0, 0x41b17218, vcc_lo
	v_cmp_gt_f32_e64 vcc_lo, 0x7f800000, |v13|
	v_dual_fmac_f32 v12, v12, v33 :: v_dual_cndmask_b32 v13, v13, v35
	s_delay_alu instid0(VALU_DEP_1)
	v_sub_f32_e32 v13, v13, v36
.LBB44_684:                             ;   in Loop: Header=BB44_401 Depth=1
	s_or_b32 exec_lo, exec_lo, s7
                                        ; implicit-def: $vgpr35
                                        ; implicit-def: $vgpr34
                                        ; implicit-def: $vgpr33
.LBB44_685:                             ;   in Loop: Header=BB44_401 Depth=1
	s_and_not1_saveexec_b32 s33, s33
	s_cbranch_execz .LBB44_687
; %bb.686:                              ;   in Loop: Header=BB44_401 Depth=1
	s_waitcnt vmcnt(0) lgkmcnt(0)
	v_div_scale_f32 v12, null, 0x402df854, 0x402df854, v8
	v_div_scale_f32 v13, null, 0x402df854, 0x402df854, v9
	v_div_scale_f32 v40, vcc_lo, v8, 0x402df854, v8
	s_delay_alu instid0(VALU_DEP_3) | instskip(NEXT) | instid1(VALU_DEP_2)
	v_rcp_f32_e32 v36, v12
	v_rcp_f32_e32 v37, v13
	v_min_f32_e32 v34, v35, v34
	s_waitcnt_depctr 0xfff
	v_fma_f32 v38, -v12, v36, 1.0
	v_fma_f32 v39, -v13, v37, 1.0
	s_delay_alu instid0(VALU_DEP_1) | instskip(SKIP_1) | instid1(VALU_DEP_2)
	v_dual_fmac_f32 v36, v38, v36 :: v_dual_fmac_f32 v37, v39, v37
	v_div_scale_f32 v38, s7, v9, 0x402df854, v9
	v_mul_f32_e32 v39, v40, v36
	s_delay_alu instid0(VALU_DEP_2) | instskip(NEXT) | instid1(VALU_DEP_2)
	v_mul_f32_e32 v41, v38, v37
	v_fma_f32 v42, -v12, v39, v40
	s_delay_alu instid0(VALU_DEP_2) | instskip(NEXT) | instid1(VALU_DEP_2)
	v_fma_f32 v43, -v13, v41, v38
	v_fmac_f32_e32 v39, v42, v36
	s_delay_alu instid0(VALU_DEP_2) | instskip(NEXT) | instid1(VALU_DEP_2)
	v_fmac_f32_e32 v41, v43, v37
	v_fma_f32 v12, -v12, v39, v40
	s_delay_alu instid0(VALU_DEP_2) | instskip(NEXT) | instid1(VALU_DEP_2)
	v_fma_f32 v13, -v13, v41, v38
	v_div_fmas_f32 v12, v12, v36, v39
	s_mov_b32 vcc_lo, s7
	s_delay_alu instid0(VALU_DEP_2) | instskip(NEXT) | instid1(VALU_DEP_2)
	v_div_fmas_f32 v13, v13, v37, v41
	v_div_fixup_f32 v36, v12, 0x402df854, v8
	s_delay_alu instid0(VALU_DEP_2) | instskip(NEXT) | instid1(VALU_DEP_1)
	v_div_fixup_f32 v37, v13, 0x402df854, v9
	v_max_f32_e64 v38, |v36|, |v37|
	s_delay_alu instid0(VALU_DEP_1) | instskip(SKIP_1) | instid1(VALU_DEP_2)
	v_cvt_f64_f32_e32 v[12:13], v38
	v_cmp_neq_f32_e32 vcc_lo, 0x7f800000, v38
	v_frexp_exp_i32_f64_e32 v12, v[12:13]
	s_delay_alu instid0(VALU_DEP_1) | instskip(NEXT) | instid1(VALU_DEP_1)
	v_sub_nc_u32_e32 v13, 0, v12
	v_ldexp_f32 v37, |v37|, v13
	v_ldexp_f32 v13, |v36|, v13
	s_delay_alu instid0(VALU_DEP_2) | instskip(NEXT) | instid1(VALU_DEP_1)
	v_mul_f32_e32 v36, v37, v37
	v_fmac_f32_e32 v36, v13, v13
	s_delay_alu instid0(VALU_DEP_1) | instskip(SKIP_2) | instid1(VALU_DEP_2)
	v_sqrt_f32_e32 v13, v36
	v_frexp_mant_f32_e32 v36, v33
	v_frexp_exp_i32_f32_e32 v33, v33
	v_rcp_f32_e32 v35, v36
	s_waitcnt_depctr 0xfff
	v_ldexp_f32 v12, v13, v12
	v_frexp_exp_i32_f32_e32 v13, v34
	v_frexp_mant_f32_e32 v34, v34
	s_delay_alu instid0(VALU_DEP_3) | instskip(NEXT) | instid1(VALU_DEP_3)
	v_cndmask_b32_e32 v36, 0x7f800000, v12, vcc_lo
	v_sub_nc_u32_e32 v12, v13, v33
	s_delay_alu instid0(VALU_DEP_3) | instskip(NEXT) | instid1(VALU_DEP_3)
	v_mul_f32_e32 v13, v34, v35
	v_cmp_gt_f32_e32 vcc_lo, 0x800000, v36
	s_delay_alu instid0(VALU_DEP_2) | instskip(SKIP_1) | instid1(VALU_DEP_1)
	v_ldexp_f32 v12, v13, v12
	v_cndmask_b32_e64 v33, 1.0, 0x4f800000, vcc_lo
	v_mul_f32_e32 v13, v36, v33
	s_delay_alu instid0(VALU_DEP_3) | instskip(NEXT) | instid1(VALU_DEP_1)
	v_mul_f32_e32 v33, v12, v12
	v_fmaak_f32 v34, s31, v33, 0xbc7a590c
	s_delay_alu instid0(VALU_DEP_1) | instskip(NEXT) | instid1(VALU_DEP_4)
	v_fmaak_f32 v34, v33, v34, 0x3d29fb3f
	v_log_f32_e32 v13, v13
	s_waitcnt_depctr 0xfff
	v_mul_f32_e32 v35, 0x3f317217, v13
	s_delay_alu instid0(VALU_DEP_1) | instskip(NEXT) | instid1(VALU_DEP_1)
	v_fma_f32 v36, 0x3f317217, v13, -v35
	v_fmac_f32_e32 v36, 0x3377d1cf, v13
	s_delay_alu instid0(VALU_DEP_1) | instskip(SKIP_2) | instid1(VALU_DEP_3)
	v_dual_fmaak_f32 v34, v33, v34, 0xbd97d4d7 :: v_dual_add_f32 v35, v35, v36
	v_cndmask_b32_e64 v36, 0, 0x41b17218, vcc_lo
	v_cmp_gt_f32_e64 vcc_lo, 0x7f800000, |v13|
	v_cndmask_b32_e32 v13, v13, v35, vcc_lo
	s_delay_alu instid0(VALU_DEP_1) | instskip(NEXT) | instid1(VALU_DEP_1)
	v_sub_f32_e32 v13, v13, v36
	v_dual_fmaak_f32 v34, v33, v34, 0x3dd931b2 :: v_dual_add_f32 v13, 1.0, v13
	s_delay_alu instid0(VALU_DEP_1) | instskip(NEXT) | instid1(VALU_DEP_1)
	v_fmaak_f32 v34, v33, v34, 0xbe1160e6
	v_fmaak_f32 v34, v33, v34, 0x3e4cb8bf
	s_delay_alu instid0(VALU_DEP_1) | instskip(NEXT) | instid1(VALU_DEP_1)
	v_fmaak_f32 v34, v33, v34, 0xbeaaaa62
	v_mul_f32_e32 v33, v33, v34
	s_delay_alu instid0(VALU_DEP_1)
	v_fmac_f32_e32 v12, v12, v33
.LBB44_687:                             ;   in Loop: Header=BB44_401 Depth=1
	s_or_b32 exec_lo, exec_lo, s33
	v_cndmask_b32_e64 v34, 0, 0x40490fdb, s5
	s_waitcnt vmcnt(0) lgkmcnt(0)
	s_delay_alu instid0(VALU_DEP_2) | instskip(SKIP_3) | instid1(VALU_DEP_4)
	v_sub_f32_e32 v33, 0x3fc90fdb, v12
	v_cmp_gt_f32_e32 vcc_lo, 0, v8
	v_cmp_class_f32_e64 s5, v8, 0x204
	v_add_f32_e32 v13, 0x3f317218, v13
	v_cndmask_b32_e64 v12, v12, v33, s6
	v_cmp_class_f32_e64 s6, v9, 0x204
	s_delay_alu instid0(VALU_DEP_3) | instskip(NEXT) | instid1(VALU_DEP_3)
	v_cndmask_b32_e64 v13, -v13, v13, s4
	v_sub_f32_e32 v33, 0x40490fdb, v12
	s_delay_alu instid0(VALU_DEP_1) | instskip(SKIP_2) | instid1(VALU_DEP_3)
	v_cndmask_b32_e32 v12, v12, v33, vcc_lo
	v_cndmask_b32_e32 v33, 0x3f490fdb, v32, vcc_lo
	v_cmp_eq_f32_e32 vcc_lo, 0, v9
	v_cndmask_b32_e32 v12, v12, v34, vcc_lo
	s_and_b32 vcc_lo, s6, s5
	s_delay_alu instid0(VALU_DEP_1) | instskip(SKIP_1) | instid1(VALU_DEP_2)
	v_cndmask_b32_e32 v12, v12, v33, vcc_lo
	v_cmp_o_f32_e32 vcc_lo, v8, v9
	v_cndmask_b32_e64 v12, 0x7fc00000, |v12|, vcc_lo
.LBB44_688:                             ;   in Loop: Header=BB44_401 Depth=1
	s_or_b32 exec_lo, exec_lo, s8
                                        ; implicit-def: $vgpr9
.LBB44_689:                             ;   in Loop: Header=BB44_401 Depth=1
	s_and_not1_saveexec_b32 s4, s15
	s_cbranch_execz .LBB44_703
; %bb.690:                              ;   in Loop: Header=BB44_401 Depth=1
	v_cmp_neq_f32_e64 s5, 0x7f800000, |v8|
                                        ; implicit-def: $vgpr13
	s_delay_alu instid0(VALU_DEP_1) | instskip(NEXT) | instid1(SALU_CYCLE_1)
	s_and_saveexec_b32 s6, s5
	s_xor_b32 s5, exec_lo, s6
	s_cbranch_execz .LBB44_700
; %bb.691:                              ;   in Loop: Header=BB44_401 Depth=1
	v_cmp_neq_f32_e64 s6, 0x7f800000, |v9|
                                        ; implicit-def: $vgpr13
	s_delay_alu instid0(VALU_DEP_1) | instskip(NEXT) | instid1(SALU_CYCLE_1)
	s_and_saveexec_b32 s7, s6
	s_xor_b32 s6, exec_lo, s7
	s_cbranch_execz .LBB44_697
; %bb.692:                              ;   in Loop: Header=BB44_401 Depth=1
	s_mov_b32 s7, exec_lo
                                        ; implicit-def: $vgpr13
	v_cmpx_neq_f32_e32 0, v8
	s_xor_b32 s7, exec_lo, s7
; %bb.693:                              ;   in Loop: Header=BB44_401 Depth=1
	v_add_f32_e32 v9, 0, v9
	s_delay_alu instid0(VALU_DEP_1)
	v_add_f32_e32 v13, v9, v8
                                        ; implicit-def: $vgpr9
; %bb.694:                              ;   in Loop: Header=BB44_401 Depth=1
	s_or_saveexec_b32 s7, s7
	s_waitcnt vmcnt(0) lgkmcnt(0)
	s_delay_alu instid0(VALU_DEP_1)
	v_mov_b32_e32 v12, v13
	s_xor_b32 exec_lo, exec_lo, s7
	s_cbranch_execz .LBB44_696
; %bb.695:                              ;   in Loop: Header=BB44_401 Depth=1
	v_dual_mov_b32 v12, s16 :: v_dual_mov_b32 v13, s17
	flat_load_b32 v8, v[12:13] glc dlc
	s_waitcnt vmcnt(0) lgkmcnt(0)
	v_dual_add_f32 v13, v9, v9 :: v_dual_add_f32 v12, 0x3fc90fdb, v8
.LBB44_696:                             ;   in Loop: Header=BB44_401 Depth=1
	s_or_b32 exec_lo, exec_lo, s7
                                        ; implicit-def: $vgpr8
.LBB44_697:                             ;   in Loop: Header=BB44_401 Depth=1
	s_and_not1_saveexec_b32 s6, s6
	s_cbranch_execz .LBB44_699
; %bb.698:                              ;   in Loop: Header=BB44_401 Depth=1
	s_waitcnt vmcnt(0) lgkmcnt(0)
	v_add_f32_e32 v12, v8, v8
	v_xor_b32_e32 v13, 0x80000000, v9
.LBB44_699:                             ;   in Loop: Header=BB44_401 Depth=1
	s_or_b32 exec_lo, exec_lo, s6
                                        ; implicit-def: $vgpr9
.LBB44_700:                             ;   in Loop: Header=BB44_401 Depth=1
	s_and_not1_saveexec_b32 s5, s5
	s_cbranch_execz .LBB44_702
; %bb.701:                              ;   in Loop: Header=BB44_401 Depth=1
	s_waitcnt vmcnt(0) lgkmcnt(0)
	v_dual_add_f32 v12, v9, v9 :: v_dual_mov_b32 v13, 0xff800000
.LBB44_702:                             ;   in Loop: Header=BB44_401 Depth=1
	s_or_b32 exec_lo, exec_lo, s5
.LBB44_703:                             ;   in Loop: Header=BB44_401 Depth=1
	s_delay_alu instid0(SALU_CYCLE_1) | instskip(SKIP_3) | instid1(VALU_DEP_2)
	s_or_b32 exec_lo, exec_lo, s4
	v_cmp_o_f32_e32 vcc_lo, v4, v4
	v_cmp_o_f32_e64 s4, v5, v5
	v_dual_mov_b32 v8, s16 :: v_dual_mov_b32 v9, s17
	s_and_b32 s4, vcc_lo, s4
	flat_store_b32 v[8:9], v30 dlc
	s_waitcnt_vscnt null, 0x0
                                        ; implicit-def: $vgpr9
	s_and_saveexec_b32 s5, s4
	s_delay_alu instid0(SALU_CYCLE_1)
	s_xor_b32 s15, exec_lo, s5
	s_cbranch_execnz .LBB44_709
; %bb.704:                              ;   in Loop: Header=BB44_401 Depth=1
	s_and_not1_saveexec_b32 s4, s15
	s_cbranch_execnz .LBB44_792
.LBB44_705:                             ;   in Loop: Header=BB44_401 Depth=1
	s_or_b32 exec_lo, exec_lo, s4
	s_and_saveexec_b32 s4, s0
	s_delay_alu instid0(SALU_CYCLE_1)
	s_xor_b32 s0, exec_lo, s4
	s_cbranch_execnz .LBB44_805
.LBB44_706:                             ;   in Loop: Header=BB44_401 Depth=1
	s_or_b32 exec_lo, exec_lo, s0
	s_and_saveexec_b32 s0, s1
	s_cbranch_execnz .LBB44_806
.LBB44_707:                             ;   in Loop: Header=BB44_401 Depth=1
	s_or_b32 exec_lo, exec_lo, s0
	s_and_saveexec_b32 s0, s2
	s_cbranch_execnz .LBB44_807
.LBB44_708:                             ;   in Loop: Header=BB44_401 Depth=1
	s_or_b32 exec_lo, exec_lo, s0
	s_and_saveexec_b32 s0, s3
	s_cbranch_execz .LBB44_400
	s_branch .LBB44_808
.LBB44_709:                             ;   in Loop: Header=BB44_401 Depth=1
	v_max_f32_e64 v35, |v4|, |v4|
	v_max_f32_e64 v34, |v5|, |v5|
	v_cmp_gt_i32_e64 s5, 0, v4
	v_cmp_lt_i32_e64 s6, -1, v4
	v_cmp_gt_i32_e64 s4, 0, v5
                                        ; implicit-def: $vgpr9
	s_mov_b32 s7, exec_lo
	v_max_f32_e32 v33, v34, v35
	s_delay_alu instid0(VALU_DEP_1)
	v_cmpx_nlt_f32_e32 0x4b000000, v33
	s_xor_b32 s33, exec_lo, s7
	s_cbranch_execz .LBB44_781
; %bb.710:                              ;   in Loop: Header=BB44_401 Depth=1
	v_cmp_neq_f32_e32 vcc_lo, 1.0, v4
	v_cmp_neq_f32_e64 s7, 0, v5
                                        ; implicit-def: $vgpr9
	s_delay_alu instid0(VALU_DEP_1) | instskip(NEXT) | instid1(SALU_CYCLE_1)
	s_or_b32 s7, s7, vcc_lo
	s_and_saveexec_b32 s8, s7
	s_delay_alu instid0(SALU_CYCLE_1)
	s_xor_b32 s34, exec_lo, s8
	s_cbranch_execz .LBB44_778
; %bb.711:                              ;   in Loop: Header=BB44_401 Depth=1
	v_dual_mov_b32 v8, s18 :: v_dual_mov_b32 v9, s19
	v_cmp_ngt_f32_e64 s7, 0x395db3d7, |v4|
	v_cmp_ngt_f32_e64 s8, 0x395db3d7, |v5|
	flat_store_b32 v[8:9], v31 dlc
	s_waitcnt_vscnt null, 0x0
	flat_load_b32 v8, v[8:9] glc dlc
	s_waitcnt vmcnt(0)
	s_or_b32 s7, s8, s7
	s_waitcnt lgkmcnt(0)
	v_dual_add_f32 v33, 1.0, v8 :: v_dual_mov_b32 v8, s20
	v_mov_b32_e32 v9, s21
	flat_store_b32 v[8:9], v33 dlc
	s_waitcnt_vscnt null, 0x0
	flat_load_b32 v8, v[8:9] glc dlc
	s_waitcnt vmcnt(0)
                                        ; implicit-def: $vgpr9
	s_and_saveexec_b32 s8, s7
	s_delay_alu instid0(SALU_CYCLE_1)
	s_xor_b32 s35, exec_lo, s8
	s_cbranch_execz .LBB44_775
; %bb.712:                              ;   in Loop: Header=BB44_401 Depth=1
	v_add_f32_e64 v33, |v4|, 1.0
	v_add_f32_e64 v9, |v4|, -1.0
	s_mov_b32 s7, exec_lo
	s_waitcnt vmcnt(0) lgkmcnt(0)
	s_delay_alu instid0(VALU_DEP_2) | instskip(NEXT) | instid1(VALU_DEP_2)
	v_max_f32_e64 v8, v34, |v33|
	v_max_f32_e64 v38, v34, |v9|
	s_delay_alu instid0(VALU_DEP_2) | instskip(NEXT) | instid1(VALU_DEP_2)
	v_cvt_f64_f32_e32 v[34:35], v8
	v_cvt_f64_f32_e32 v[36:37], v38
	v_cmp_neq_f32_e32 vcc_lo, 0x7f800000, v8
	s_delay_alu instid0(VALU_DEP_3) | instskip(NEXT) | instid1(VALU_DEP_3)
	v_frexp_exp_i32_f64_e32 v34, v[34:35]
	v_frexp_exp_i32_f64_e32 v35, v[36:37]
	s_delay_alu instid0(VALU_DEP_2) | instskip(NEXT) | instid1(VALU_DEP_2)
	v_sub_nc_u32_e32 v36, 0, v34
	v_sub_nc_u32_e32 v37, 0, v35
	s_delay_alu instid0(VALU_DEP_2) | instskip(NEXT) | instid1(VALU_DEP_2)
	v_ldexp_f32 v39, |v33|, v36
	v_ldexp_f32 v40, |v9|, v37
	;; [unrolled: 1-line block ×4, first 2 shown]
	s_delay_alu instid0(VALU_DEP_3) | instskip(NEXT) | instid1(VALU_DEP_1)
	v_dual_mul_f32 v39, v39, v39 :: v_dual_mul_f32 v40, v40, v40
	v_dual_fmac_f32 v39, v36, v36 :: v_dual_fmac_f32 v40, v37, v37
	s_delay_alu instid0(VALU_DEP_1) | instskip(NEXT) | instid1(VALU_DEP_1)
	v_sqrt_f32_e32 v36, v39
	v_sqrt_f32_e32 v37, v40
	s_waitcnt_depctr 0xfff
	v_ldexp_f32 v34, v36, v34
	v_ldexp_f32 v35, v37, v35
	s_delay_alu instid0(VALU_DEP_2) | instskip(SKIP_1) | instid1(VALU_DEP_3)
	v_cndmask_b32_e32 v37, 0x7f800000, v34, vcc_lo
	v_cmp_neq_f32_e32 vcc_lo, 0x7f800000, v38
                                        ; implicit-def: $vgpr34
	v_cndmask_b32_e32 v35, 0x7f800000, v35, vcc_lo
	s_delay_alu instid0(VALU_DEP_1) | instskip(NEXT) | instid1(VALU_DEP_1)
	v_add_f32_e32 v8, v37, v35
	v_mul_f32_e32 v8, 0.5, v8
	s_delay_alu instid0(VALU_DEP_1) | instskip(SKIP_1) | instid1(VALU_DEP_1)
	v_cmp_ngt_f32_e32 vcc_lo, 1.0, v8
	v_cndmask_b32_e32 v8, 1.0, v8, vcc_lo
	v_cmpx_ngt_f32_e32 0x41200000, v8
	s_xor_b32 s8, exec_lo, s7
	s_cbranch_execz .LBB44_714
; %bb.713:                              ;   in Loop: Header=BB44_401 Depth=1
	v_fma_f32 v34, v8, v8, -1.0
	s_delay_alu instid0(VALU_DEP_1) | instskip(SKIP_1) | instid1(VALU_DEP_2)
	v_mul_f32_e32 v36, 0x4f800000, v34
	v_cmp_gt_f32_e32 vcc_lo, 0xf800000, v34
	v_cndmask_b32_e32 v34, v34, v36, vcc_lo
	s_delay_alu instid0(VALU_DEP_1) | instskip(SKIP_3) | instid1(VALU_DEP_2)
	v_sqrt_f32_e32 v36, v34
	s_waitcnt_depctr 0xfff
	v_add_nc_u32_e32 v38, -1, v36
	v_add_nc_u32_e32 v39, 1, v36
	v_fma_f32 v40, -v38, v36, v34
	s_delay_alu instid0(VALU_DEP_2) | instskip(NEXT) | instid1(VALU_DEP_2)
	v_fma_f32 v41, -v39, v36, v34
	v_cmp_ge_f32_e64 s7, 0, v40
	s_delay_alu instid0(VALU_DEP_1) | instskip(NEXT) | instid1(VALU_DEP_3)
	v_cndmask_b32_e64 v36, v36, v38, s7
	v_cmp_lt_f32_e64 s7, 0, v41
	s_delay_alu instid0(VALU_DEP_1) | instskip(NEXT) | instid1(VALU_DEP_1)
	v_cndmask_b32_e64 v36, v36, v39, s7
	v_mul_f32_e32 v38, 0x37800000, v36
	s_delay_alu instid0(VALU_DEP_1) | instskip(SKIP_1) | instid1(VALU_DEP_2)
	v_cndmask_b32_e32 v36, v36, v38, vcc_lo
	v_cmp_class_f32_e64 vcc_lo, v34, 0x260
	v_cndmask_b32_e32 v34, v36, v34, vcc_lo
	s_delay_alu instid0(VALU_DEP_1) | instskip(NEXT) | instid1(VALU_DEP_1)
	v_add_f32_e32 v34, v8, v34
	v_cmp_gt_f32_e32 vcc_lo, 0x800000, v34
	s_delay_alu instid0(VALU_DEP_4) | instskip(NEXT) | instid1(VALU_DEP_1)
	v_cndmask_b32_e64 v36, 1.0, 0x4f800000, vcc_lo
	v_mul_f32_e32 v34, v34, v36
	s_delay_alu instid0(VALU_DEP_1) | instskip(SKIP_3) | instid1(VALU_DEP_2)
	v_log_f32_e32 v34, v34
	s_waitcnt_depctr 0xfff
	v_mul_f32_e32 v36, 0x3f317217, v34
	v_cmp_gt_f32_e64 s7, 0x7f800000, |v34|
	v_fma_f32 v38, 0x3f317217, v34, -v36
	s_delay_alu instid0(VALU_DEP_1) | instskip(NEXT) | instid1(VALU_DEP_1)
	v_fmac_f32_e32 v38, 0x3377d1cf, v34
	v_add_f32_e32 v36, v36, v38
	s_delay_alu instid0(VALU_DEP_1) | instskip(SKIP_1) | instid1(VALU_DEP_1)
	v_cndmask_b32_e64 v34, v34, v36, s7
	v_cndmask_b32_e64 v36, 0, 0x41b17218, vcc_lo
	v_sub_f32_e32 v34, v34, v36
.LBB44_714:                             ;   in Loop: Header=BB44_401 Depth=1
	s_or_saveexec_b32 s8, s8
	v_and_b32_e32 v36, 0x7fffffff, v5
	s_xor_b32 exec_lo, exec_lo, s8
	s_cbranch_execz .LBB44_736
; %bb.715:                              ;   in Loop: Header=BB44_401 Depth=1
	v_cmp_neq_f32_e64 s7, |v4|, 1.0
	v_cmp_ngt_f32_e64 s36, 0x25000000, |v5|
                                        ; implicit-def: $vgpr34
	s_delay_alu instid0(VALU_DEP_1) | instskip(NEXT) | instid1(SALU_CYCLE_1)
	s_or_b32 s7, s36, s7
	s_and_saveexec_b32 s36, s7
	s_delay_alu instid0(SALU_CYCLE_1)
	s_xor_b32 s36, exec_lo, s36
	s_cbranch_execz .LBB44_733
; %bb.716:                              ;   in Loop: Header=BB44_401 Depth=1
	v_mul_f32_e64 v34, 0x34000000, |v9|
	s_delay_alu instid0(VALU_DEP_1) | instskip(NEXT) | instid1(VALU_DEP_1)
	v_cmp_le_f32_e64 s7, v34, |v5|
                                        ; implicit-def: $vgpr34
	s_and_saveexec_b32 s37, s7
	s_delay_alu instid0(SALU_CYCLE_1)
	s_xor_b32 s37, exec_lo, s37
	s_cbranch_execz .LBB44_726
; %bb.717:                              ;   in Loop: Header=BB44_401 Depth=1
	v_mov_b32_e32 v34, v36
	s_mov_b32 s7, exec_lo
	v_cmpx_neq_f32_e32 0, v33
	s_cbranch_execz .LBB44_719
; %bb.718:                              ;   in Loop: Header=BB44_401 Depth=1
	v_mul_f32_e32 v34, v5, v5
	v_add_f32_e32 v38, v33, v37
	s_delay_alu instid0(VALU_DEP_1) | instskip(NEXT) | instid1(VALU_DEP_1)
	v_div_scale_f32 v39, null, v38, v38, v34
	v_rcp_f32_e32 v40, v39
	s_waitcnt_depctr 0xfff
	v_fma_f32 v41, -v39, v40, 1.0
	s_delay_alu instid0(VALU_DEP_1) | instskip(SKIP_1) | instid1(VALU_DEP_1)
	v_fmac_f32_e32 v40, v41, v40
	v_div_scale_f32 v41, vcc_lo, v34, v38, v34
	v_mul_f32_e32 v42, v41, v40
	s_delay_alu instid0(VALU_DEP_1) | instskip(NEXT) | instid1(VALU_DEP_1)
	v_fma_f32 v43, -v39, v42, v41
	v_fmac_f32_e32 v42, v43, v40
	s_delay_alu instid0(VALU_DEP_1) | instskip(NEXT) | instid1(VALU_DEP_1)
	v_fma_f32 v39, -v39, v42, v41
	v_div_fmas_f32 v39, v39, v40, v42
	s_delay_alu instid0(VALU_DEP_1)
	v_div_fixup_f32 v34, v39, v38, v34
.LBB44_719:                             ;   in Loop: Header=BB44_401 Depth=1
	s_or_b32 exec_lo, exec_lo, s7
	v_sub_f32_e64 v39, 1.0, |v4|
	s_mov_b32 s7, exec_lo
                                        ; implicit-def: $vgpr38
	s_delay_alu instid0(VALU_DEP_1)
	v_cmpx_ngt_f32_e32 0, v39
	s_xor_b32 s7, exec_lo, s7
	s_cbranch_execz .LBB44_723
; %bb.720:                              ;   in Loop: Header=BB44_401 Depth=1
	v_mov_b32_e32 v38, v36
	s_mov_b32 s38, exec_lo
	v_cmpx_neq_f32_e32 0, v39
	s_cbranch_execz .LBB44_722
; %bb.721:                              ;   in Loop: Header=BB44_401 Depth=1
	v_dual_mul_f32 v38, v5, v5 :: v_dual_add_f32 v39, v39, v35
	s_delay_alu instid0(VALU_DEP_1) | instskip(NEXT) | instid1(VALU_DEP_1)
	v_div_scale_f32 v40, null, v39, v39, v38
	v_rcp_f32_e32 v41, v40
	s_waitcnt_depctr 0xfff
	v_fma_f32 v42, -v40, v41, 1.0
	s_delay_alu instid0(VALU_DEP_1) | instskip(SKIP_1) | instid1(VALU_DEP_1)
	v_fmac_f32_e32 v41, v42, v41
	v_div_scale_f32 v42, vcc_lo, v38, v39, v38
	v_mul_f32_e32 v43, v42, v41
	s_delay_alu instid0(VALU_DEP_1) | instskip(NEXT) | instid1(VALU_DEP_1)
	v_fma_f32 v44, -v40, v43, v42
	v_fmac_f32_e32 v43, v44, v41
	s_delay_alu instid0(VALU_DEP_1) | instskip(NEXT) | instid1(VALU_DEP_1)
	v_fma_f32 v40, -v40, v43, v42
	v_div_fmas_f32 v40, v40, v41, v43
	s_delay_alu instid0(VALU_DEP_1)
	v_div_fixup_f32 v38, v40, v39, v38
.LBB44_722:                             ;   in Loop: Header=BB44_401 Depth=1
	s_or_b32 exec_lo, exec_lo, s38
                                        ; implicit-def: $vgpr39
.LBB44_723:                             ;   in Loop: Header=BB44_401 Depth=1
	s_and_not1_saveexec_b32 s7, s7
; %bb.724:                              ;   in Loop: Header=BB44_401 Depth=1
	v_sub_f32_e32 v38, v35, v39
; %bb.725:                              ;   in Loop: Header=BB44_401 Depth=1
	s_or_b32 exec_lo, exec_lo, s7
	s_delay_alu instid0(VALU_DEP_1) | instskip(NEXT) | instid1(VALU_DEP_1)
	v_dual_mul_f32 v38, 0.5, v38 :: v_dual_add_f32 v39, 1.0, v8
	v_fmac_f32_e32 v38, 0.5, v34
	s_delay_alu instid0(VALU_DEP_1) | instskip(NEXT) | instid1(VALU_DEP_1)
	v_mul_f32_e32 v34, v39, v38
	v_mul_f32_e32 v39, 0x4f800000, v34
	v_cmp_gt_f32_e32 vcc_lo, 0xf800000, v34
	s_delay_alu instid0(VALU_DEP_2) | instskip(NEXT) | instid1(VALU_DEP_1)
	v_cndmask_b32_e32 v34, v34, v39, vcc_lo
	v_sqrt_f32_e32 v39, v34
	s_waitcnt_depctr 0xfff
	v_add_nc_u32_e32 v40, -1, v39
	v_add_nc_u32_e32 v41, 1, v39
	s_delay_alu instid0(VALU_DEP_2) | instskip(NEXT) | instid1(VALU_DEP_2)
	v_fma_f32 v42, -v40, v39, v34
	v_fma_f32 v43, -v41, v39, v34
	s_delay_alu instid0(VALU_DEP_2) | instskip(NEXT) | instid1(VALU_DEP_1)
	v_cmp_ge_f32_e64 s7, 0, v42
	v_cndmask_b32_e64 v39, v39, v40, s7
	s_delay_alu instid0(VALU_DEP_3) | instskip(NEXT) | instid1(VALU_DEP_1)
	v_cmp_lt_f32_e64 s7, 0, v43
	v_cndmask_b32_e64 v39, v39, v41, s7
	s_delay_alu instid0(VALU_DEP_1) | instskip(NEXT) | instid1(VALU_DEP_1)
	v_mul_f32_e32 v40, 0x37800000, v39
	v_cndmask_b32_e32 v39, v39, v40, vcc_lo
	v_cmp_class_f32_e64 vcc_lo, v34, 0x260
	s_delay_alu instid0(VALU_DEP_2) | instskip(NEXT) | instid1(VALU_DEP_1)
	v_cndmask_b32_e32 v34, v39, v34, vcc_lo
	v_add_f32_e32 v34, v38, v34
	s_delay_alu instid0(VALU_DEP_1) | instskip(NEXT) | instid1(VALU_DEP_1)
	v_add_f32_e32 v40, 1.0, v34
	v_cvt_f64_f32_e32 v[38:39], v40
	s_delay_alu instid0(VALU_DEP_1) | instskip(SKIP_1) | instid1(VALU_DEP_1)
	v_frexp_exp_i32_f64_e32 v38, v[38:39]
	v_frexp_mant_f32_e32 v39, v40
	v_cmp_gt_f32_e32 vcc_lo, 0x3f2aaaab, v39
	v_add_f32_e32 v39, -1.0, v40
	s_delay_alu instid0(VALU_DEP_1) | instskip(NEXT) | instid1(VALU_DEP_1)
	v_dual_sub_f32 v42, v39, v40 :: v_dual_sub_f32 v39, v34, v39
	v_add_f32_e32 v42, 1.0, v42
	s_delay_alu instid0(VALU_DEP_1) | instskip(SKIP_1) | instid1(VALU_DEP_1)
	v_add_f32_e32 v39, v39, v42
	v_subrev_co_ci_u32_e32 v38, vcc_lo, 0, v38, vcc_lo
	v_sub_nc_u32_e32 v41, 0, v38
	v_cvt_f32_i32_e32 v38, v38
	s_delay_alu instid0(VALU_DEP_2) | instskip(SKIP_1) | instid1(VALU_DEP_2)
	v_ldexp_f32 v40, v40, v41
	v_ldexp_f32 v39, v39, v41
	v_add_f32_e32 v43, 1.0, v40
	v_add_f32_e32 v41, -1.0, v40
	v_cmp_eq_f32_e32 vcc_lo, 0x7f800000, v34
	s_delay_alu instid0(VALU_DEP_3) | instskip(NEXT) | instid1(VALU_DEP_3)
	v_add_f32_e32 v42, -1.0, v43
	v_add_f32_e32 v44, 1.0, v41
	s_delay_alu instid0(VALU_DEP_2) | instskip(NEXT) | instid1(VALU_DEP_2)
	v_sub_f32_e32 v42, v40, v42
	v_sub_f32_e32 v40, v40, v44
	s_delay_alu instid0(VALU_DEP_2) | instskip(NEXT) | instid1(VALU_DEP_2)
	v_add_f32_e32 v42, v39, v42
	v_add_f32_e32 v39, v39, v40
	s_delay_alu instid0(VALU_DEP_1) | instskip(NEXT) | instid1(VALU_DEP_1)
	v_dual_add_f32 v45, v41, v39 :: v_dual_add_f32 v44, v43, v42
	v_sub_f32_e32 v41, v45, v41
	s_delay_alu instid0(VALU_DEP_2) | instskip(SKIP_1) | instid1(VALU_DEP_1)
	v_rcp_f32_e32 v40, v44
	v_sub_f32_e32 v43, v44, v43
	v_dual_sub_f32 v39, v39, v41 :: v_dual_sub_f32 v42, v42, v43
	s_waitcnt_depctr 0xfff
	v_mul_f32_e32 v46, v45, v40
	s_delay_alu instid0(VALU_DEP_1) | instskip(NEXT) | instid1(VALU_DEP_1)
	v_mul_f32_e32 v47, v44, v46
	v_fma_f32 v43, v46, v44, -v47
	s_delay_alu instid0(VALU_DEP_1) | instskip(NEXT) | instid1(VALU_DEP_1)
	v_fmac_f32_e32 v43, v46, v42
	v_add_f32_e32 v48, v47, v43
	s_delay_alu instid0(VALU_DEP_1) | instskip(NEXT) | instid1(VALU_DEP_1)
	v_sub_f32_e32 v49, v45, v48
	v_sub_f32_e32 v45, v45, v49
	s_delay_alu instid0(VALU_DEP_1) | instskip(SKIP_1) | instid1(VALU_DEP_2)
	v_sub_f32_e32 v45, v45, v48
	v_sub_f32_e32 v41, v48, v47
	v_add_f32_e32 v39, v39, v45
	s_delay_alu instid0(VALU_DEP_2) | instskip(NEXT) | instid1(VALU_DEP_1)
	v_sub_f32_e32 v41, v41, v43
	v_add_f32_e32 v39, v41, v39
	s_delay_alu instid0(VALU_DEP_1) | instskip(NEXT) | instid1(VALU_DEP_1)
	v_add_f32_e32 v41, v49, v39
	v_mul_f32_e32 v43, v40, v41
	s_delay_alu instid0(VALU_DEP_1) | instskip(NEXT) | instid1(VALU_DEP_1)
	v_dual_sub_f32 v48, v49, v41 :: v_dual_mul_f32 v45, v44, v43
	v_add_f32_e32 v39, v39, v48
	s_delay_alu instid0(VALU_DEP_2) | instskip(NEXT) | instid1(VALU_DEP_1)
	v_fma_f32 v44, v43, v44, -v45
	v_fmac_f32_e32 v44, v43, v42
	s_delay_alu instid0(VALU_DEP_1) | instskip(NEXT) | instid1(VALU_DEP_1)
	v_add_f32_e32 v42, v45, v44
	v_sub_f32_e32 v47, v41, v42
	s_delay_alu instid0(VALU_DEP_1) | instskip(NEXT) | instid1(VALU_DEP_1)
	v_sub_f32_e32 v41, v41, v47
	v_sub_f32_e32 v41, v41, v42
	s_delay_alu instid0(VALU_DEP_1) | instskip(SKIP_2) | instid1(VALU_DEP_1)
	v_add_f32_e32 v39, v39, v41
	v_add_f32_e32 v41, v46, v43
	v_sub_f32_e32 v45, v42, v45
	v_sub_f32_e32 v42, v45, v44
	s_delay_alu instid0(VALU_DEP_1) | instskip(NEXT) | instid1(VALU_DEP_1)
	v_dual_add_f32 v39, v42, v39 :: v_dual_sub_f32 v42, v41, v46
	v_add_f32_e32 v39, v47, v39
	s_delay_alu instid0(VALU_DEP_1) | instskip(NEXT) | instid1(VALU_DEP_1)
	v_dual_sub_f32 v42, v43, v42 :: v_dual_mul_f32 v39, v40, v39
	v_add_f32_e32 v39, v42, v39
	s_delay_alu instid0(VALU_DEP_1) | instskip(NEXT) | instid1(VALU_DEP_1)
	v_add_f32_e32 v40, v41, v39
	v_mul_f32_e32 v42, v40, v40
	s_delay_alu instid0(VALU_DEP_1) | instskip(SKIP_1) | instid1(VALU_DEP_2)
	v_fmaak_f32 v43, s9, v42, 0x3ecc95a3
	v_mul_f32_e32 v44, v40, v42
	v_fmaak_f32 v42, v42, v43, 0x3f2aaada
	v_ldexp_f32 v43, v40, 1
	v_sub_f32_e32 v40, v40, v41
	s_delay_alu instid0(VALU_DEP_3) | instskip(SKIP_1) | instid1(VALU_DEP_2)
	v_mul_f32_e32 v42, v44, v42
	v_mul_f32_e32 v44, 0x3f317218, v38
	v_add_f32_e32 v41, v43, v42
	s_delay_alu instid0(VALU_DEP_1) | instskip(NEXT) | instid1(VALU_DEP_3)
	v_dual_sub_f32 v39, v39, v40 :: v_dual_sub_f32 v40, v41, v43
	v_fma_f32 v43, 0x3f317218, v38, -v44
	s_delay_alu instid0(VALU_DEP_2) | instskip(NEXT) | instid1(VALU_DEP_2)
	v_ldexp_f32 v39, v39, 1
	v_dual_sub_f32 v40, v42, v40 :: v_dual_fmac_f32 v43, 0xb102e308, v38
	s_delay_alu instid0(VALU_DEP_1) | instskip(NEXT) | instid1(VALU_DEP_1)
	v_dual_add_f32 v38, v39, v40 :: v_dual_add_f32 v39, v44, v43
	v_add_f32_e32 v40, v41, v38
	s_delay_alu instid0(VALU_DEP_1) | instskip(NEXT) | instid1(VALU_DEP_1)
	v_add_f32_e32 v42, v39, v40
	v_sub_f32_e32 v45, v42, v39
	s_delay_alu instid0(VALU_DEP_1) | instskip(SKIP_2) | instid1(VALU_DEP_2)
	v_sub_f32_e32 v46, v42, v45
	v_sub_f32_e32 v41, v40, v41
	;; [unrolled: 1-line block ×5, first 2 shown]
	s_delay_alu instid0(VALU_DEP_1) | instskip(NEXT) | instid1(VALU_DEP_1)
	v_sub_f32_e32 v43, v43, v44
	v_add_f32_e32 v41, v43, v38
	v_sub_f32_e32 v39, v39, v46
	s_delay_alu instid0(VALU_DEP_1) | instskip(NEXT) | instid1(VALU_DEP_3)
	v_add_f32_e32 v39, v40, v39
	v_sub_f32_e32 v40, v41, v43
	s_delay_alu instid0(VALU_DEP_1) | instskip(NEXT) | instid1(VALU_DEP_1)
	v_dual_sub_f32 v38, v38, v40 :: v_dual_add_f32 v39, v41, v39
	v_dual_sub_f32 v41, v41, v40 :: v_dual_add_f32 v44, v42, v39
	s_delay_alu instid0(VALU_DEP_1) | instskip(NEXT) | instid1(VALU_DEP_1)
	v_dual_sub_f32 v41, v43, v41 :: v_dual_sub_f32 v40, v44, v42
	v_dual_add_f32 v38, v38, v41 :: v_dual_sub_f32 v39, v39, v40
	s_delay_alu instid0(VALU_DEP_1) | instskip(NEXT) | instid1(VALU_DEP_1)
	v_add_f32_e32 v38, v38, v39
	v_add_f32_e32 v38, v44, v38
	s_delay_alu instid0(VALU_DEP_1) | instskip(SKIP_1) | instid1(VALU_DEP_2)
	v_cndmask_b32_e32 v38, v38, v34, vcc_lo
	v_cmp_ngt_f32_e32 vcc_lo, -1.0, v34
	v_cndmask_b32_e32 v38, 0x7fc00000, v38, vcc_lo
	v_cmp_neq_f32_e32 vcc_lo, -1.0, v34
	s_delay_alu instid0(VALU_DEP_2) | instskip(SKIP_1) | instid1(VALU_DEP_2)
	v_cndmask_b32_e32 v38, 0xff800000, v38, vcc_lo
	v_cmp_gt_f32_e64 vcc_lo, 0x33800000, |v34|
	v_cndmask_b32_e32 v34, v38, v34, vcc_lo
.LBB44_726:                             ;   in Loop: Header=BB44_401 Depth=1
	s_and_not1_saveexec_b32 s37, s37
	s_cbranch_execz .LBB44_732
; %bb.727:                              ;   in Loop: Header=BB44_401 Depth=1
	s_mov_b32 s38, exec_lo
                                        ; implicit-def: $vgpr34
	v_cmpx_nlt_f32_e64 |v4|, 1.0
	s_xor_b32 s38, exec_lo, s38
	s_cbranch_execz .LBB44_729
; %bb.728:                              ;   in Loop: Header=BB44_401 Depth=1
	v_mul_f32_e32 v34, v9, v33
	s_delay_alu instid0(VALU_DEP_1) | instskip(SKIP_1) | instid1(VALU_DEP_2)
	v_mul_f32_e32 v38, 0x4f800000, v34
	v_cmp_gt_f32_e32 vcc_lo, 0xf800000, v34
	v_cndmask_b32_e32 v34, v34, v38, vcc_lo
	s_delay_alu instid0(VALU_DEP_1) | instskip(SKIP_3) | instid1(VALU_DEP_2)
	v_sqrt_f32_e32 v38, v34
	s_waitcnt_depctr 0xfff
	v_add_nc_u32_e32 v39, -1, v38
	v_add_nc_u32_e32 v40, 1, v38
	v_fma_f32 v41, -v39, v38, v34
	s_delay_alu instid0(VALU_DEP_2) | instskip(NEXT) | instid1(VALU_DEP_2)
	v_fma_f32 v42, -v40, v38, v34
	v_cmp_ge_f32_e64 s7, 0, v41
	s_delay_alu instid0(VALU_DEP_1) | instskip(NEXT) | instid1(VALU_DEP_3)
	v_cndmask_b32_e64 v38, v38, v39, s7
	v_cmp_lt_f32_e64 s7, 0, v42
	s_delay_alu instid0(VALU_DEP_1) | instskip(NEXT) | instid1(VALU_DEP_1)
	v_cndmask_b32_e64 v38, v38, v40, s7
	v_mul_f32_e32 v39, 0x37800000, v38
	s_delay_alu instid0(VALU_DEP_1) | instskip(SKIP_1) | instid1(VALU_DEP_2)
	v_cndmask_b32_e32 v38, v38, v39, vcc_lo
	v_cmp_class_f32_e64 vcc_lo, v34, 0x260
	v_cndmask_b32_e32 v34, v38, v34, vcc_lo
	s_delay_alu instid0(VALU_DEP_1) | instskip(NEXT) | instid1(VALU_DEP_1)
	v_add_f32_e32 v34, v9, v34
	v_add_f32_e32 v40, 1.0, v34
	s_delay_alu instid0(VALU_DEP_1) | instskip(NEXT) | instid1(VALU_DEP_1)
	v_cvt_f64_f32_e32 v[38:39], v40
	v_frexp_exp_i32_f64_e32 v38, v[38:39]
	v_frexp_mant_f32_e32 v39, v40
	s_delay_alu instid0(VALU_DEP_1) | instskip(SKIP_1) | instid1(VALU_DEP_1)
	v_cmp_gt_f32_e32 vcc_lo, 0x3f2aaaab, v39
	v_add_f32_e32 v39, -1.0, v40
	v_dual_sub_f32 v42, v39, v40 :: v_dual_sub_f32 v39, v34, v39
	s_delay_alu instid0(VALU_DEP_1) | instskip(NEXT) | instid1(VALU_DEP_1)
	v_add_f32_e32 v42, 1.0, v42
	v_add_f32_e32 v39, v39, v42
	v_subrev_co_ci_u32_e32 v38, vcc_lo, 0, v38, vcc_lo
	s_delay_alu instid0(VALU_DEP_1) | instskip(SKIP_1) | instid1(VALU_DEP_2)
	v_sub_nc_u32_e32 v41, 0, v38
	v_cvt_f32_i32_e32 v38, v38
	v_ldexp_f32 v40, v40, v41
	v_ldexp_f32 v39, v39, v41
	s_delay_alu instid0(VALU_DEP_2) | instskip(NEXT) | instid1(VALU_DEP_1)
	v_add_f32_e32 v43, 1.0, v40
	v_dual_add_f32 v41, -1.0, v40 :: v_dual_add_f32 v42, -1.0, v43
	s_delay_alu instid0(VALU_DEP_1) | instskip(NEXT) | instid1(VALU_DEP_2)
	v_add_f32_e32 v44, 1.0, v41
	v_sub_f32_e32 v42, v40, v42
	s_delay_alu instid0(VALU_DEP_2) | instskip(NEXT) | instid1(VALU_DEP_2)
	v_sub_f32_e32 v40, v40, v44
	v_add_f32_e32 v42, v39, v42
	s_delay_alu instid0(VALU_DEP_2) | instskip(SKIP_1) | instid1(VALU_DEP_2)
	v_add_f32_e32 v39, v39, v40
	v_cmp_eq_f32_e32 vcc_lo, 0x7f800000, v34
	v_dual_add_f32 v44, v43, v42 :: v_dual_add_f32 v45, v41, v39
	s_delay_alu instid0(VALU_DEP_1) | instskip(NEXT) | instid1(VALU_DEP_1)
	v_rcp_f32_e32 v40, v44
	v_sub_f32_e32 v41, v45, v41
	v_sub_f32_e32 v43, v44, v43
	s_delay_alu instid0(VALU_DEP_1) | instskip(SKIP_2) | instid1(VALU_DEP_1)
	v_dual_sub_f32 v39, v39, v41 :: v_dual_sub_f32 v42, v42, v43
	s_waitcnt_depctr 0xfff
	v_mul_f32_e32 v46, v45, v40
	v_mul_f32_e32 v47, v44, v46
	s_delay_alu instid0(VALU_DEP_1) | instskip(NEXT) | instid1(VALU_DEP_1)
	v_fma_f32 v43, v46, v44, -v47
	v_fmac_f32_e32 v43, v46, v42
	s_delay_alu instid0(VALU_DEP_1) | instskip(NEXT) | instid1(VALU_DEP_1)
	v_add_f32_e32 v48, v47, v43
	v_sub_f32_e32 v49, v45, v48
	v_sub_f32_e32 v41, v48, v47
	s_delay_alu instid0(VALU_DEP_2) | instskip(NEXT) | instid1(VALU_DEP_2)
	v_sub_f32_e32 v45, v45, v49
	v_sub_f32_e32 v41, v41, v43
	s_delay_alu instid0(VALU_DEP_2) | instskip(NEXT) | instid1(VALU_DEP_1)
	v_sub_f32_e32 v45, v45, v48
	v_add_f32_e32 v39, v39, v45
	s_delay_alu instid0(VALU_DEP_1) | instskip(NEXT) | instid1(VALU_DEP_1)
	v_add_f32_e32 v39, v41, v39
	v_add_f32_e32 v41, v49, v39
	s_delay_alu instid0(VALU_DEP_1) | instskip(NEXT) | instid1(VALU_DEP_1)
	v_mul_f32_e32 v43, v40, v41
	v_dual_sub_f32 v48, v49, v41 :: v_dual_mul_f32 v45, v44, v43
	s_delay_alu instid0(VALU_DEP_1) | instskip(NEXT) | instid1(VALU_DEP_2)
	v_add_f32_e32 v39, v39, v48
	v_fma_f32 v44, v43, v44, -v45
	s_delay_alu instid0(VALU_DEP_1) | instskip(NEXT) | instid1(VALU_DEP_1)
	v_fmac_f32_e32 v44, v43, v42
	v_add_f32_e32 v42, v45, v44
	s_delay_alu instid0(VALU_DEP_1) | instskip(NEXT) | instid1(VALU_DEP_1)
	v_sub_f32_e32 v47, v41, v42
	v_sub_f32_e32 v41, v41, v47
	s_delay_alu instid0(VALU_DEP_1) | instskip(NEXT) | instid1(VALU_DEP_1)
	v_sub_f32_e32 v41, v41, v42
	v_add_f32_e32 v39, v39, v41
	v_add_f32_e32 v41, v46, v43
	v_sub_f32_e32 v45, v42, v45
	s_delay_alu instid0(VALU_DEP_1) | instskip(NEXT) | instid1(VALU_DEP_1)
	v_sub_f32_e32 v42, v45, v44
	v_dual_add_f32 v39, v42, v39 :: v_dual_sub_f32 v42, v41, v46
	s_delay_alu instid0(VALU_DEP_1) | instskip(NEXT) | instid1(VALU_DEP_1)
	v_add_f32_e32 v39, v47, v39
	v_dual_sub_f32 v42, v43, v42 :: v_dual_mul_f32 v39, v40, v39
	s_delay_alu instid0(VALU_DEP_1) | instskip(NEXT) | instid1(VALU_DEP_1)
	v_add_f32_e32 v39, v42, v39
	v_add_f32_e32 v40, v41, v39
	s_delay_alu instid0(VALU_DEP_1) | instskip(NEXT) | instid1(VALU_DEP_1)
	v_mul_f32_e32 v42, v40, v40
	v_fmaak_f32 v43, s9, v42, 0x3ecc95a3
	v_mul_f32_e32 v44, v40, v42
	s_delay_alu instid0(VALU_DEP_2) | instskip(SKIP_1) | instid1(VALU_DEP_2)
	v_fmaak_f32 v42, v42, v43, 0x3f2aaada
	v_ldexp_f32 v43, v40, 1
	v_mul_f32_e32 v42, v44, v42
	v_mul_f32_e32 v44, 0x3f317218, v38
	s_delay_alu instid0(VALU_DEP_2) | instskip(NEXT) | instid1(VALU_DEP_1)
	v_dual_sub_f32 v40, v40, v41 :: v_dual_add_f32 v41, v43, v42
	v_dual_sub_f32 v39, v39, v40 :: v_dual_sub_f32 v40, v41, v43
	s_delay_alu instid0(VALU_DEP_3) | instskip(NEXT) | instid1(VALU_DEP_2)
	v_fma_f32 v43, 0x3f317218, v38, -v44
	v_ldexp_f32 v39, v39, 1
	s_delay_alu instid0(VALU_DEP_2) | instskip(NEXT) | instid1(VALU_DEP_1)
	v_dual_sub_f32 v40, v42, v40 :: v_dual_fmac_f32 v43, 0xb102e308, v38
	v_dual_add_f32 v38, v39, v40 :: v_dual_add_f32 v39, v44, v43
	s_delay_alu instid0(VALU_DEP_1) | instskip(NEXT) | instid1(VALU_DEP_1)
	v_add_f32_e32 v40, v41, v38
	v_add_f32_e32 v42, v39, v40
	s_delay_alu instid0(VALU_DEP_1) | instskip(NEXT) | instid1(VALU_DEP_1)
	v_sub_f32_e32 v45, v42, v39
	v_sub_f32_e32 v46, v42, v45
	;; [unrolled: 1-line block ×3, first 2 shown]
	s_delay_alu instid0(VALU_DEP_1) | instskip(SKIP_1) | instid1(VALU_DEP_1)
	v_sub_f32_e32 v38, v38, v41
	v_sub_f32_e32 v44, v39, v44
	v_dual_sub_f32 v40, v40, v45 :: v_dual_sub_f32 v43, v43, v44
	s_delay_alu instid0(VALU_DEP_1) | instskip(SKIP_1) | instid1(VALU_DEP_1)
	v_add_f32_e32 v41, v43, v38
	v_sub_f32_e32 v39, v39, v46
	v_add_f32_e32 v39, v40, v39
	s_delay_alu instid0(VALU_DEP_3) | instskip(NEXT) | instid1(VALU_DEP_1)
	v_sub_f32_e32 v40, v41, v43
	v_dual_sub_f32 v38, v38, v40 :: v_dual_add_f32 v39, v41, v39
	s_delay_alu instid0(VALU_DEP_1) | instskip(NEXT) | instid1(VALU_DEP_1)
	v_dual_sub_f32 v41, v41, v40 :: v_dual_add_f32 v44, v42, v39
	v_dual_sub_f32 v40, v44, v42 :: v_dual_sub_f32 v41, v43, v41
	s_delay_alu instid0(VALU_DEP_1) | instskip(NEXT) | instid1(VALU_DEP_1)
	v_dual_sub_f32 v39, v39, v40 :: v_dual_add_f32 v38, v38, v41
	v_add_f32_e32 v38, v38, v39
	s_delay_alu instid0(VALU_DEP_1) | instskip(NEXT) | instid1(VALU_DEP_1)
	v_add_f32_e32 v38, v44, v38
	v_cndmask_b32_e32 v38, v38, v34, vcc_lo
	v_cmp_ngt_f32_e32 vcc_lo, -1.0, v34
	s_delay_alu instid0(VALU_DEP_2) | instskip(SKIP_1) | instid1(VALU_DEP_2)
	v_cndmask_b32_e32 v38, 0x7fc00000, v38, vcc_lo
	v_cmp_neq_f32_e32 vcc_lo, -1.0, v34
	v_cndmask_b32_e32 v38, 0xff800000, v38, vcc_lo
	v_cmp_gt_f32_e64 vcc_lo, 0x33800000, |v34|
	s_delay_alu instid0(VALU_DEP_2)
	v_cndmask_b32_e32 v34, v38, v34, vcc_lo
.LBB44_729:                             ;   in Loop: Header=BB44_401 Depth=1
	s_and_not1_saveexec_b32 s38, s38
	s_cbranch_execz .LBB44_731
; %bb.730:                              ;   in Loop: Header=BB44_401 Depth=1
	v_sub_f32_e64 v34, 1.0, |v4|
	s_delay_alu instid0(VALU_DEP_1) | instskip(NEXT) | instid1(VALU_DEP_1)
	v_mul_f32_e32 v34, v34, v33
	v_mul_f32_e32 v38, 0x4f800000, v34
	v_cmp_gt_f32_e32 vcc_lo, 0xf800000, v34
	s_delay_alu instid0(VALU_DEP_2) | instskip(NEXT) | instid1(VALU_DEP_1)
	v_cndmask_b32_e32 v34, v34, v38, vcc_lo
	v_sqrt_f32_e32 v38, v34
	s_waitcnt_depctr 0xfff
	v_add_nc_u32_e32 v39, -1, v38
	v_add_nc_u32_e32 v40, 1, v38
	s_delay_alu instid0(VALU_DEP_2) | instskip(NEXT) | instid1(VALU_DEP_2)
	v_fma_f32 v41, -v39, v38, v34
	v_fma_f32 v42, -v40, v38, v34
	s_delay_alu instid0(VALU_DEP_2) | instskip(NEXT) | instid1(VALU_DEP_1)
	v_cmp_ge_f32_e64 s7, 0, v41
	v_cndmask_b32_e64 v38, v38, v39, s7
	s_delay_alu instid0(VALU_DEP_3) | instskip(NEXT) | instid1(VALU_DEP_1)
	v_cmp_lt_f32_e64 s7, 0, v42
	v_cndmask_b32_e64 v38, v38, v40, s7
	s_delay_alu instid0(VALU_DEP_1) | instskip(NEXT) | instid1(VALU_DEP_1)
	v_mul_f32_e32 v39, 0x37800000, v38
	v_dual_cndmask_b32 v38, v38, v39 :: v_dual_and_b32 v39, 0x7fffffff, v5
	v_cmp_class_f32_e64 vcc_lo, v34, 0x260
	s_delay_alu instid0(VALU_DEP_2) | instskip(NEXT) | instid1(VALU_DEP_1)
	v_cndmask_b32_e32 v34, v38, v34, vcc_lo
	v_div_scale_f32 v38, null, v34, v34, v39
	v_div_scale_f32 v39, vcc_lo, v39, v34, v39
	s_delay_alu instid0(VALU_DEP_2) | instskip(SKIP_2) | instid1(VALU_DEP_1)
	v_rcp_f32_e32 v40, v38
	s_waitcnt_depctr 0xfff
	v_fma_f32 v41, -v38, v40, 1.0
	v_fmac_f32_e32 v40, v41, v40
	s_delay_alu instid0(VALU_DEP_1) | instskip(NEXT) | instid1(VALU_DEP_1)
	v_mul_f32_e32 v41, v39, v40
	v_fma_f32 v42, -v38, v41, v39
	s_delay_alu instid0(VALU_DEP_1) | instskip(NEXT) | instid1(VALU_DEP_1)
	v_fmac_f32_e32 v41, v42, v40
	v_fma_f32 v38, -v38, v41, v39
	s_delay_alu instid0(VALU_DEP_1) | instskip(NEXT) | instid1(VALU_DEP_1)
	v_div_fmas_f32 v38, v38, v40, v41
	v_div_fixup_f32 v34, v38, v34, |v5|
.LBB44_731:                             ;   in Loop: Header=BB44_401 Depth=1
	s_or_b32 exec_lo, exec_lo, s38
.LBB44_732:                             ;   in Loop: Header=BB44_401 Depth=1
	s_delay_alu instid0(SALU_CYCLE_1)
	s_or_b32 exec_lo, exec_lo, s37
.LBB44_733:                             ;   in Loop: Header=BB44_401 Depth=1
	s_and_not1_saveexec_b32 s36, s36
	s_cbranch_execz .LBB44_735
; %bb.734:                              ;   in Loop: Header=BB44_401 Depth=1
	v_mul_f32_e64 v34, 0x4f800000, |v5|
	v_cmp_gt_f32_e64 vcc_lo, 0xf800000, |v5|
	s_delay_alu instid0(VALU_DEP_1) | instskip(NEXT) | instid1(VALU_DEP_1)
	v_cndmask_b32_e64 v34, |v5|, v34, vcc_lo
	v_sqrt_f32_e32 v38, v34
	s_waitcnt_depctr 0xfff
	v_add_nc_u32_e32 v39, -1, v38
	v_add_nc_u32_e32 v40, 1, v38
	s_delay_alu instid0(VALU_DEP_2) | instskip(NEXT) | instid1(VALU_DEP_2)
	v_fma_f32 v41, -v39, v38, v34
	v_fma_f32 v42, -v40, v38, v34
	s_delay_alu instid0(VALU_DEP_2) | instskip(NEXT) | instid1(VALU_DEP_1)
	v_cmp_ge_f32_e64 s7, 0, v41
	v_cndmask_b32_e64 v38, v38, v39, s7
	s_delay_alu instid0(VALU_DEP_3) | instskip(NEXT) | instid1(VALU_DEP_1)
	v_cmp_lt_f32_e64 s7, 0, v42
	v_cndmask_b32_e64 v38, v38, v40, s7
	s_delay_alu instid0(VALU_DEP_1) | instskip(NEXT) | instid1(VALU_DEP_1)
	v_mul_f32_e32 v39, 0x37800000, v38
	v_cndmask_b32_e32 v38, v38, v39, vcc_lo
	v_cmp_class_f32_e64 vcc_lo, v34, 0x260
	s_delay_alu instid0(VALU_DEP_2)
	v_cndmask_b32_e32 v34, v38, v34, vcc_lo
.LBB44_735:                             ;   in Loop: Header=BB44_401 Depth=1
	s_or_b32 exec_lo, exec_lo, s36
.LBB44_736:                             ;   in Loop: Header=BB44_401 Depth=1
	s_delay_alu instid0(SALU_CYCLE_1) | instskip(NEXT) | instid1(SALU_CYCLE_1)
	s_or_b32 exec_lo, exec_lo, s8
	s_mov_b32 s36, exec_lo
                                        ; implicit-def: $sgpr7
                                        ; implicit-def: $vgpr38
                                        ; implicit-def: $vgpr40
                                        ; implicit-def: $vgpr39
	v_cmpx_ngt_f32_e64 0x21000000, |v4|
	s_xor_b32 s36, exec_lo, s36
	s_cbranch_execz .LBB44_760
; %bb.737:                              ;   in Loop: Header=BB44_401 Depth=1
	v_and_b32_e32 v39, 0x7fffffff, v4
	s_mov_b32 s7, 0
	s_mov_b32 s37, exec_lo
	s_delay_alu instid0(VALU_DEP_1) | instskip(NEXT) | instid1(VALU_DEP_1)
	v_div_scale_f32 v38, null, v8, v8, v39
	v_rcp_f32_e32 v40, v38
	s_waitcnt_depctr 0xfff
	v_fma_f32 v41, -v38, v40, 1.0
	s_delay_alu instid0(VALU_DEP_1) | instskip(SKIP_1) | instid1(VALU_DEP_1)
	v_fmac_f32_e32 v40, v41, v40
	v_div_scale_f32 v41, vcc_lo, v39, v8, v39
	v_mul_f32_e32 v42, v41, v40
	s_delay_alu instid0(VALU_DEP_1) | instskip(NEXT) | instid1(VALU_DEP_1)
	v_fma_f32 v43, -v38, v42, v41
	v_fmac_f32_e32 v42, v43, v40
	s_delay_alu instid0(VALU_DEP_1) | instskip(NEXT) | instid1(VALU_DEP_1)
	v_fma_f32 v38, -v38, v42, v41
	v_div_fmas_f32 v38, v38, v40, v42
                                        ; implicit-def: $vgpr40
	s_delay_alu instid0(VALU_DEP_1) | instskip(NEXT) | instid1(VALU_DEP_1)
	v_div_fixup_f32 v38, v38, v8, |v4|
	v_cmpx_lt_f32_e32 0x3f244674, v38
	s_cbranch_execz .LBB44_759
; %bb.738:                              ;   in Loop: Header=BB44_401 Depth=1
	v_cmp_neq_f32_e64 s7, |v4|, 1.0
	v_cmp_ngt_f32_e64 s8, 0x30800000, |v5|
                                        ; implicit-def: $sgpr38
                                        ; implicit-def: $vgpr40
	s_delay_alu instid0(VALU_DEP_1) | instskip(NEXT) | instid1(SALU_CYCLE_1)
	s_or_b32 s7, s8, s7
	s_and_saveexec_b32 s8, s7
	s_delay_alu instid0(SALU_CYCLE_1)
	s_xor_b32 s8, exec_lo, s8
	s_cbranch_execz .LBB44_756
; %bb.739:                              ;   in Loop: Header=BB44_401 Depth=1
	v_mul_f32_e64 v40, 0x34000000, |v9|
                                        ; implicit-def: $sgpr38
	s_delay_alu instid0(VALU_DEP_1) | instskip(NEXT) | instid1(VALU_DEP_1)
	v_cmp_le_f32_e64 s7, v40, |v5|
                                        ; implicit-def: $vgpr40
	s_and_saveexec_b32 s39, s7
	s_delay_alu instid0(SALU_CYCLE_1)
	s_xor_b32 s39, exec_lo, s39
	s_cbranch_execz .LBB44_749
; %bb.740:                              ;   in Loop: Header=BB44_401 Depth=1
	v_mov_b32_e32 v40, v36
	s_mov_b32 s7, exec_lo
	v_cmpx_neq_f32_e32 0, v33
	s_cbranch_execz .LBB44_742
; %bb.741:                              ;   in Loop: Header=BB44_401 Depth=1
	v_mul_f32_e32 v40, v5, v5
	v_add_f32_e32 v33, v33, v37
	s_delay_alu instid0(VALU_DEP_1) | instskip(NEXT) | instid1(VALU_DEP_1)
	v_div_scale_f32 v37, null, v33, v33, v40
	v_rcp_f32_e32 v41, v37
	s_waitcnt_depctr 0xfff
	v_fma_f32 v42, -v37, v41, 1.0
	s_delay_alu instid0(VALU_DEP_1) | instskip(SKIP_1) | instid1(VALU_DEP_1)
	v_fmac_f32_e32 v41, v42, v41
	v_div_scale_f32 v42, vcc_lo, v40, v33, v40
	v_mul_f32_e32 v43, v42, v41
	s_delay_alu instid0(VALU_DEP_1) | instskip(NEXT) | instid1(VALU_DEP_1)
	v_fma_f32 v44, -v37, v43, v42
	v_fmac_f32_e32 v43, v44, v41
	s_delay_alu instid0(VALU_DEP_1) | instskip(NEXT) | instid1(VALU_DEP_1)
	v_fma_f32 v37, -v37, v43, v42
	v_div_fmas_f32 v37, v37, v41, v43
	s_delay_alu instid0(VALU_DEP_1)
	v_div_fixup_f32 v40, v37, v33, v40
.LBB44_742:                             ;   in Loop: Header=BB44_401 Depth=1
	s_or_b32 exec_lo, exec_lo, s7
	s_delay_alu instid0(SALU_CYCLE_1)
	s_mov_b32 s7, exec_lo
	v_cmpx_ngt_f32_e32 0, v9
	s_xor_b32 s7, exec_lo, s7
	s_cbranch_execz .LBB44_746
; %bb.743:                              ;   in Loop: Header=BB44_401 Depth=1
	s_mov_b32 s38, exec_lo
	v_cmpx_neq_f32_e32 0, v9
	s_cbranch_execz .LBB44_745
; %bb.744:                              ;   in Loop: Header=BB44_401 Depth=1
	v_mul_f32_e32 v5, v5, v5
	v_add_f32_e32 v9, v9, v35
	s_delay_alu instid0(VALU_DEP_1) | instskip(NEXT) | instid1(VALU_DEP_1)
	v_div_scale_f32 v33, null, v9, v9, v5
	v_rcp_f32_e32 v35, v33
	s_waitcnt_depctr 0xfff
	v_fma_f32 v36, -v33, v35, 1.0
	s_delay_alu instid0(VALU_DEP_1) | instskip(SKIP_1) | instid1(VALU_DEP_1)
	v_fmac_f32_e32 v35, v36, v35
	v_div_scale_f32 v36, vcc_lo, v5, v9, v5
	v_mul_f32_e32 v37, v36, v35
	s_delay_alu instid0(VALU_DEP_1) | instskip(NEXT) | instid1(VALU_DEP_1)
	v_fma_f32 v41, -v33, v37, v36
	v_fmac_f32_e32 v37, v41, v35
	s_delay_alu instid0(VALU_DEP_1) | instskip(NEXT) | instid1(VALU_DEP_1)
	v_fma_f32 v33, -v33, v37, v36
	v_div_fmas_f32 v33, v33, v35, v37
	s_delay_alu instid0(VALU_DEP_1)
	v_div_fixup_f32 v36, v33, v9, v5
.LBB44_745:                             ;   in Loop: Header=BB44_401 Depth=1
	s_or_b32 exec_lo, exec_lo, s38
                                        ; implicit-def: $vgpr35
                                        ; implicit-def: $vgpr9
.LBB44_746:                             ;   in Loop: Header=BB44_401 Depth=1
	s_and_not1_saveexec_b32 s7, s7
; %bb.747:                              ;   in Loop: Header=BB44_401 Depth=1
	v_sub_f32_e32 v36, v35, v9
; %bb.748:                              ;   in Loop: Header=BB44_401 Depth=1
	s_or_b32 exec_lo, exec_lo, s7
	s_delay_alu instid0(VALU_DEP_1) | instskip(SKIP_2) | instid1(VALU_DEP_2)
	v_mul_f32_e32 v5, 0.5, v36
	v_add_f32_e64 v4, |v4|, v8
	s_mov_b32 s38, -1
	v_fmac_f32_e32 v5, 0.5, v40
	s_delay_alu instid0(VALU_DEP_1) | instskip(NEXT) | instid1(VALU_DEP_1)
	v_mul_f32_e32 v4, v4, v5
	v_mul_f32_e32 v5, 0x4f800000, v4
	v_cmp_gt_f32_e32 vcc_lo, 0xf800000, v4
	s_delay_alu instid0(VALU_DEP_2) | instskip(NEXT) | instid1(VALU_DEP_1)
	v_cndmask_b32_e32 v4, v4, v5, vcc_lo
	v_sqrt_f32_e32 v5, v4
	s_waitcnt_depctr 0xfff
	v_add_nc_u32_e32 v8, -1, v5
	v_add_nc_u32_e32 v9, 1, v5
	s_delay_alu instid0(VALU_DEP_2) | instskip(NEXT) | instid1(VALU_DEP_2)
	v_fma_f32 v33, -v8, v5, v4
	v_fma_f32 v35, -v9, v5, v4
	s_delay_alu instid0(VALU_DEP_2) | instskip(NEXT) | instid1(VALU_DEP_1)
	v_cmp_ge_f32_e64 s7, 0, v33
                                        ; implicit-def: $vgpr33
	v_cndmask_b32_e64 v5, v5, v8, s7
	s_delay_alu instid0(VALU_DEP_3) | instskip(NEXT) | instid1(VALU_DEP_1)
	v_cmp_lt_f32_e64 s7, 0, v35
	v_cndmask_b32_e64 v5, v5, v9, s7
                                        ; implicit-def: $vgpr9
	s_delay_alu instid0(VALU_DEP_1) | instskip(NEXT) | instid1(VALU_DEP_1)
	v_mul_f32_e32 v8, 0x37800000, v5
	v_cndmask_b32_e32 v5, v5, v8, vcc_lo
	v_cmp_class_f32_e64 vcc_lo, v4, 0x260
	s_delay_alu instid0(VALU_DEP_2)
	v_cndmask_b32_e32 v40, v5, v4, vcc_lo
                                        ; implicit-def: $vgpr5
.LBB44_749:                             ;   in Loop: Header=BB44_401 Depth=1
	s_and_not1_saveexec_b32 s39, s39
	s_cbranch_execz .LBB44_755
; %bb.750:                              ;   in Loop: Header=BB44_401 Depth=1
	s_mov_b32 s41, exec_lo
                                        ; implicit-def: $vgpr40
                                        ; implicit-def: $sgpr40
	v_cmpx_ngt_f32_e64 |v4|, 1.0
	s_xor_b32 s41, exec_lo, s41
	s_cbranch_execz .LBB44_752
; %bb.751:                              ;   in Loop: Header=BB44_401 Depth=1
	v_sub_f32_e64 v4, 1.0, |v4|
	s_mov_b32 s40, -1
	s_delay_alu instid0(VALU_DEP_1) | instskip(NEXT) | instid1(VALU_DEP_1)
	v_mul_f32_e32 v4, v4, v33
	v_mul_f32_e32 v5, 0x4f800000, v4
	v_cmp_gt_f32_e32 vcc_lo, 0xf800000, v4
	s_delay_alu instid0(VALU_DEP_2) | instskip(NEXT) | instid1(VALU_DEP_1)
	v_cndmask_b32_e32 v4, v4, v5, vcc_lo
	v_sqrt_f32_e32 v5, v4
	s_waitcnt_depctr 0xfff
	v_add_nc_u32_e32 v8, -1, v5
	v_add_nc_u32_e32 v9, 1, v5
	s_delay_alu instid0(VALU_DEP_2) | instskip(NEXT) | instid1(VALU_DEP_2)
	v_fma_f32 v33, -v8, v5, v4
	v_fma_f32 v35, -v9, v5, v4
	s_delay_alu instid0(VALU_DEP_2) | instskip(NEXT) | instid1(VALU_DEP_1)
	v_cmp_ge_f32_e64 s7, 0, v33
                                        ; implicit-def: $vgpr33
	v_cndmask_b32_e64 v5, v5, v8, s7
	s_delay_alu instid0(VALU_DEP_3) | instskip(NEXT) | instid1(VALU_DEP_1)
	v_cmp_lt_f32_e64 s7, 0, v35
	v_cndmask_b32_e64 v5, v5, v9, s7
                                        ; implicit-def: $vgpr9
	s_delay_alu instid0(VALU_DEP_1) | instskip(NEXT) | instid1(VALU_DEP_1)
	v_mul_f32_e32 v8, 0x37800000, v5
	v_cndmask_b32_e32 v5, v5, v8, vcc_lo
	v_cmp_class_f32_e64 vcc_lo, v4, 0x260
	s_delay_alu instid0(VALU_DEP_2)
	v_cndmask_b32_e32 v40, v5, v4, vcc_lo
                                        ; implicit-def: $vgpr5
.LBB44_752:                             ;   in Loop: Header=BB44_401 Depth=1
	s_and_not1_saveexec_b32 s41, s41
	s_cbranch_execz .LBB44_754
; %bb.753:                              ;   in Loop: Header=BB44_401 Depth=1
	v_mul_f32_e32 v8, v33, v9
	v_mul_f32_e64 v5, 0x57800000, |v5|
	v_mul_f32_e64 v39, 0x57800000, |v4|
	s_or_b32 s40, s40, exec_lo
	s_delay_alu instid0(VALU_DEP_3) | instskip(SKIP_2) | instid1(VALU_DEP_3)
	v_mul_f32_e32 v9, 0x4f800000, v8
	v_cmp_gt_f32_e32 vcc_lo, 0xf800000, v8
	v_mul_f32_e64 v5, |v4|, v5
	v_cndmask_b32_e32 v8, v8, v9, vcc_lo
	s_delay_alu instid0(VALU_DEP_1) | instskip(SKIP_3) | instid1(VALU_DEP_2)
	v_sqrt_f32_e32 v9, v8
	s_waitcnt_depctr 0xfff
	v_add_nc_u32_e32 v33, -1, v9
	v_add_nc_u32_e32 v35, 1, v9
	v_fma_f32 v36, -v33, v9, v8
	s_delay_alu instid0(VALU_DEP_2) | instskip(NEXT) | instid1(VALU_DEP_2)
	v_fma_f32 v37, -v35, v9, v8
	v_cmp_ge_f32_e64 s7, 0, v36
	s_delay_alu instid0(VALU_DEP_1) | instskip(NEXT) | instid1(VALU_DEP_3)
	v_cndmask_b32_e64 v9, v9, v33, s7
	v_cmp_lt_f32_e64 s7, 0, v37
	s_delay_alu instid0(VALU_DEP_1) | instskip(NEXT) | instid1(VALU_DEP_1)
	v_cndmask_b32_e64 v9, v9, v35, s7
	v_mul_f32_e32 v33, 0x37800000, v9
	s_delay_alu instid0(VALU_DEP_1) | instskip(SKIP_1) | instid1(VALU_DEP_2)
	v_cndmask_b32_e32 v9, v9, v33, vcc_lo
	v_cmp_class_f32_e64 vcc_lo, v8, 0x260
	v_cndmask_b32_e32 v8, v9, v8, vcc_lo
	s_delay_alu instid0(VALU_DEP_1) | instskip(SKIP_1) | instid1(VALU_DEP_2)
	v_div_scale_f32 v9, null, v8, v8, v5
	v_div_scale_f32 v36, vcc_lo, v5, v8, v5
	v_rcp_f32_e32 v33, v9
	s_waitcnt_depctr 0xfff
	v_fma_f32 v35, -v9, v33, 1.0
	s_delay_alu instid0(VALU_DEP_1) | instskip(NEXT) | instid1(VALU_DEP_1)
	v_fmac_f32_e32 v33, v35, v33
	v_mul_f32_e32 v35, v36, v33
	s_delay_alu instid0(VALU_DEP_1) | instskip(NEXT) | instid1(VALU_DEP_1)
	v_fma_f32 v37, -v9, v35, v36
	v_fmac_f32_e32 v35, v37, v33
	s_delay_alu instid0(VALU_DEP_1) | instskip(NEXT) | instid1(VALU_DEP_1)
	v_fma_f32 v9, -v9, v35, v36
	v_div_fmas_f32 v9, v9, v33, v35
	s_delay_alu instid0(VALU_DEP_1)
	v_div_fixup_f32 v40, v9, v8, v5
.LBB44_754:                             ;   in Loop: Header=BB44_401 Depth=1
	s_or_b32 exec_lo, exec_lo, s41
	s_delay_alu instid0(SALU_CYCLE_1) | instskip(SKIP_1) | instid1(SALU_CYCLE_1)
	s_and_not1_b32 s7, s38, exec_lo
	s_and_b32 s38, s40, exec_lo
	s_or_b32 s38, s7, s38
.LBB44_755:                             ;   in Loop: Header=BB44_401 Depth=1
	s_or_b32 exec_lo, exec_lo, s39
	s_delay_alu instid0(SALU_CYCLE_1)
	s_and_b32 s38, s38, exec_lo
                                        ; implicit-def: $vgpr5
                                        ; implicit-def: $vgpr8
.LBB44_756:                             ;   in Loop: Header=BB44_401 Depth=1
	s_and_not1_saveexec_b32 s39, s8
	s_cbranch_execz .LBB44_758
; %bb.757:                              ;   in Loop: Header=BB44_401 Depth=1
	v_add_f32_e32 v4, 1.0, v8
	v_mul_f32_e64 v8, 0x4f800000, |v5|
	v_cmp_gt_f32_e64 vcc_lo, 0xf800000, |v5|
	s_or_b32 s38, s38, exec_lo
	s_delay_alu instid0(VALU_DEP_3) | instskip(NEXT) | instid1(VALU_DEP_2)
	v_mul_f32_e32 v4, 0.5, v4
	v_cndmask_b32_e64 v5, |v5|, v8, vcc_lo
	s_delay_alu instid0(VALU_DEP_2) | instskip(SKIP_1) | instid1(VALU_DEP_3)
	v_mul_f32_e32 v9, 0x4f800000, v4
	v_cmp_gt_f32_e64 s7, 0xf800000, v4
	v_sqrt_f32_e32 v8, v5
	s_delay_alu instid0(VALU_DEP_1) | instskip(NEXT) | instid1(VALU_DEP_1)
	v_cndmask_b32_e64 v4, v4, v9, s7
	v_sqrt_f32_e32 v9, v4
	s_waitcnt_depctr 0xfff
	v_add_nc_u32_e32 v33, -1, v8
	v_add_nc_u32_e32 v36, 1, v8
	s_delay_alu instid0(VALU_DEP_2) | instskip(NEXT) | instid1(VALU_DEP_2)
	v_fma_f32 v37, -v33, v8, v5
	v_fma_f32 v41, -v36, v8, v5
	v_add_nc_u32_e32 v35, -1, v9
	s_delay_alu instid0(VALU_DEP_3) | instskip(SKIP_1) | instid1(VALU_DEP_3)
	v_cmp_ge_f32_e64 s8, 0, v37
	v_add_nc_u32_e32 v39, 1, v9
	v_fma_f32 v40, -v35, v9, v4
	s_delay_alu instid0(VALU_DEP_3) | instskip(NEXT) | instid1(VALU_DEP_3)
	v_cndmask_b32_e64 v8, v8, v33, s8
	v_fma_f32 v33, -v39, v9, v4
	s_delay_alu instid0(VALU_DEP_3) | instskip(NEXT) | instid1(VALU_DEP_1)
	v_cmp_ge_f32_e64 s8, 0, v40
	v_cndmask_b32_e64 v9, v9, v35, s8
	v_cmp_lt_f32_e64 s8, 0, v41
	s_delay_alu instid0(VALU_DEP_1) | instskip(SKIP_1) | instid1(VALU_DEP_2)
	v_cndmask_b32_e64 v8, v8, v36, s8
	v_cmp_lt_f32_e64 s8, 0, v33
	v_mul_f32_e32 v33, 0x37800000, v8
	s_delay_alu instid0(VALU_DEP_2) | instskip(NEXT) | instid1(VALU_DEP_2)
	v_cndmask_b32_e64 v9, v9, v39, s8
	v_dual_mov_b32 v39, 1.0 :: v_dual_cndmask_b32 v8, v8, v33
	s_delay_alu instid0(VALU_DEP_2) | instskip(SKIP_1) | instid1(VALU_DEP_2)
	v_mul_f32_e32 v35, 0x37800000, v9
	v_cmp_class_f32_e64 vcc_lo, v5, 0x260
	v_cndmask_b32_e64 v9, v9, v35, s7
	s_delay_alu instid0(VALU_DEP_4) | instskip(SKIP_1) | instid1(VALU_DEP_3)
	v_cndmask_b32_e32 v5, v8, v5, vcc_lo
	v_cmp_class_f32_e64 vcc_lo, v4, 0x260
	v_cndmask_b32_e32 v4, v9, v4, vcc_lo
	s_delay_alu instid0(VALU_DEP_1)
	v_mul_f32_e32 v40, v5, v4
.LBB44_758:                             ;   in Loop: Header=BB44_401 Depth=1
	s_or_b32 exec_lo, exec_lo, s39
	s_delay_alu instid0(SALU_CYCLE_1)
	s_and_b32 s7, s38, exec_lo
.LBB44_759:                             ;   in Loop: Header=BB44_401 Depth=1
	s_or_b32 exec_lo, exec_lo, s37
	s_delay_alu instid0(SALU_CYCLE_1)
	s_and_b32 s7, s7, exec_lo
                                        ; implicit-def: $vgpr8
                                        ; implicit-def: $vgpr4
.LBB44_760:                             ;   in Loop: Header=BB44_401 Depth=1
	s_and_not1_saveexec_b32 s8, s36
; %bb.761:                              ;   in Loop: Header=BB44_401 Depth=1
	v_mul_f32_e32 v40, 0x4b800000, v8
	v_mul_f32_e64 v39, 0x4b800000, |v4|
	s_or_b32 s7, s7, exec_lo
                                        ; implicit-def: $vgpr38
; %bb.762:                              ;   in Loop: Header=BB44_401 Depth=1
	s_or_b32 exec_lo, exec_lo, s8
	s_xor_b32 s7, s7, -1
                                        ; implicit-def: $vgpr8
	s_delay_alu instid0(SALU_CYCLE_1) | instskip(NEXT) | instid1(SALU_CYCLE_1)
	s_and_saveexec_b32 s8, s7
	s_xor_b32 s8, exec_lo, s8
	s_cbranch_execz .LBB44_768
; %bb.763:                              ;   in Loop: Header=BB44_401 Depth=1
                                        ; implicit-def: $vgpr8
	s_and_saveexec_b32 s7, s6
	s_delay_alu instid0(SALU_CYCLE_1)
	s_xor_b32 s7, exec_lo, s7
	s_cbranch_execz .LBB44_765
; %bb.764:                              ;   in Loop: Header=BB44_401 Depth=1
	v_fma_f32 v4, |v38|, -0.5, 0.5
	v_mul_f32_e32 v5, v38, v38
	v_cmp_gt_f32_e64 vcc_lo, |v38|, 0.5
	s_delay_alu instid0(VALU_DEP_2) | instskip(NEXT) | instid1(VALU_DEP_1)
	v_cndmask_b32_e32 v4, v5, v4, vcc_lo
	v_fmaak_f32 v5, s30, v4, 0x3c5fc5da
	v_sqrt_f32_e32 v8, v4
	s_delay_alu instid0(VALU_DEP_1) | instskip(NEXT) | instid1(VALU_DEP_1)
	v_fmaak_f32 v5, v4, v5, 0x3d034c3c
	v_fmaak_f32 v5, v4, v5, 0x3d3641b1
	s_delay_alu instid0(VALU_DEP_1) | instskip(NEXT) | instid1(VALU_DEP_1)
	v_fmaak_f32 v5, v4, v5, 0x3d999bc8
	v_fmaak_f32 v5, v4, v5, 0x3e2aaaac
	s_delay_alu instid0(VALU_DEP_1) | instskip(NEXT) | instid1(VALU_DEP_1)
	v_mul_f32_e32 v4, v4, v5
	v_fmac_f32_e32 v38, v38, v4
	s_delay_alu instid0(TRANS32_DEP_1) | instid1(VALU_DEP_1)
	v_dual_fmac_f32 v8, v8, v4 :: v_dual_sub_f32 v5, 0x3fc90fdb, v38
	s_delay_alu instid0(VALU_DEP_1) | instskip(NEXT) | instid1(VALU_DEP_1)
	v_add_f32_e32 v4, v8, v8
                                        ; implicit-def: $vgpr38
	v_cndmask_b32_e32 v8, v5, v4, vcc_lo
.LBB44_765:                             ;   in Loop: Header=BB44_401 Depth=1
	s_and_not1_saveexec_b32 s36, s7
	s_cbranch_execz .LBB44_767
; %bb.766:                              ;   in Loop: Header=BB44_401 Depth=1
	v_fma_f32 v4, |v38|, -0.5, 0.5
	v_mul_f32_e32 v5, v38, v38
	v_cmp_gt_f32_e64 vcc_lo, |v38|, 0.5
	v_cmp_lt_f32_e64 s7, 0, v38
	s_delay_alu instid0(VALU_DEP_3) | instskip(NEXT) | instid1(VALU_DEP_1)
	v_cndmask_b32_e32 v4, v5, v4, vcc_lo
	v_fmaak_f32 v5, s30, v4, 0x3c5fc5da
	v_sqrt_f32_e32 v8, v4
	s_delay_alu instid0(VALU_DEP_1) | instskip(NEXT) | instid1(VALU_DEP_1)
	v_fmaak_f32 v5, v4, v5, 0x3d034c3c
	v_fmaak_f32 v5, v4, v5, 0x3d3641b1
	s_delay_alu instid0(VALU_DEP_1) | instskip(NEXT) | instid1(VALU_DEP_1)
	v_fmaak_f32 v5, v4, v5, 0x3d999bc8
	v_fmaak_f32 v5, v4, v5, 0x3e2aaaac
	s_delay_alu instid0(VALU_DEP_1) | instskip(SKIP_3) | instid1(VALU_DEP_2)
	v_mul_f32_e32 v4, v4, v5
	s_waitcnt_depctr 0xfff
	v_fmac_f32_e32 v8, v8, v4
	v_fma_f32 v4, -v38, v4, -v38
	v_add_f32_e32 v5, v8, v8
	s_delay_alu instid0(VALU_DEP_2) | instskip(NEXT) | instid1(VALU_DEP_2)
	v_sub_f32_e32 v4, 0x3fc90fdb, v4
	v_sub_f32_e32 v8, 0x40490fdb, v5
	s_delay_alu instid0(VALU_DEP_1) | instskip(NEXT) | instid1(VALU_DEP_1)
	v_cndmask_b32_e64 v5, v5, v8, s7
	v_cndmask_b32_e32 v8, v4, v5, vcc_lo
.LBB44_767:                             ;   in Loop: Header=BB44_401 Depth=1
	s_or_b32 exec_lo, exec_lo, s36
                                        ; implicit-def: $vgpr40
                                        ; implicit-def: $vgpr39
.LBB44_768:                             ;   in Loop: Header=BB44_401 Depth=1
	s_and_not1_saveexec_b32 s8, s8
	s_cbranch_execz .LBB44_774
; %bb.769:                              ;   in Loop: Header=BB44_401 Depth=1
                                        ; implicit-def: $vgpr8
	s_and_saveexec_b32 s7, s6
	s_delay_alu instid0(SALU_CYCLE_1)
	s_xor_b32 s7, exec_lo, s7
	s_cbranch_execz .LBB44_771
; %bb.770:                              ;   in Loop: Header=BB44_401 Depth=1
	v_max_f32_e64 v4, |v40|, |v40|
	v_max_f32_e32 v5, v39, v39
	v_cmp_gt_f32_e64 vcc_lo, |v40|, v39
	v_cmp_neq_f32_e64 s6, 0, v40
	v_cmp_class_f32_e64 s36, v40, 0x204
	s_delay_alu instid0(VALU_DEP_4) | instskip(SKIP_1) | instid1(VALU_DEP_2)
	v_max_f32_e32 v8, v5, v4
	v_min_f32_e32 v4, v5, v4
	v_frexp_mant_f32_e32 v9, v8
	v_frexp_exp_i32_f32_e32 v8, v8
	s_delay_alu instid0(VALU_DEP_2) | instskip(NEXT) | instid1(VALU_DEP_3)
	v_rcp_f32_e32 v5, v9
	v_frexp_mant_f32_e32 v9, v4
	v_frexp_exp_i32_f32_e32 v4, v4
	s_delay_alu instid0(VALU_DEP_1) | instskip(SKIP_2) | instid1(VALU_DEP_1)
	v_sub_nc_u32_e32 v4, v4, v8
	s_waitcnt_depctr 0xfff
	v_mul_f32_e32 v5, v9, v5
	v_ldexp_f32 v4, v5, v4
	s_delay_alu instid0(VALU_DEP_1) | instskip(NEXT) | instid1(VALU_DEP_1)
	v_mul_f32_e32 v5, v4, v4
	v_fmaak_f32 v8, s31, v5, 0xbc7a590c
	s_delay_alu instid0(VALU_DEP_1) | instskip(NEXT) | instid1(VALU_DEP_1)
	v_fmaak_f32 v8, v5, v8, 0x3d29fb3f
	v_fmaak_f32 v8, v5, v8, 0xbd97d4d7
	s_delay_alu instid0(VALU_DEP_1) | instskip(NEXT) | instid1(VALU_DEP_1)
	v_fmaak_f32 v8, v5, v8, 0x3dd931b2
	;; [unrolled: 3-line block ×3, first 2 shown]
	v_fmaak_f32 v8, v5, v8, 0xbeaaaa62
	s_delay_alu instid0(VALU_DEP_1) | instskip(NEXT) | instid1(VALU_DEP_1)
	v_mul_f32_e32 v5, v5, v8
	v_fmac_f32_e32 v4, v4, v5
	s_delay_alu instid0(VALU_DEP_1) | instskip(NEXT) | instid1(VALU_DEP_1)
	v_sub_f32_e32 v5, 0x3fc90fdb, v4
	v_cndmask_b32_e32 v4, v4, v5, vcc_lo
	v_cmp_eq_f32_e32 vcc_lo, 0x7f800000, v39
	s_delay_alu instid0(VALU_DEP_2) | instskip(SKIP_2) | instid1(VALU_DEP_2)
	v_cndmask_b32_e64 v4, 0, v4, s6
	s_and_b32 s6, vcc_lo, s36
	v_cmp_o_f32_e32 vcc_lo, v39, v40
                                        ; implicit-def: $vgpr39
	v_cndmask_b32_e64 v4, v4, 0x3f490fdb, s6
	s_delay_alu instid0(VALU_DEP_1) | instskip(NEXT) | instid1(VALU_DEP_1)
	v_cndmask_b32_e32 v4, 0x7fc00000, v4, vcc_lo
	v_bfi_b32 v8, 0x7fffffff, v4, v40
                                        ; implicit-def: $vgpr40
.LBB44_771:                             ;   in Loop: Header=BB44_401 Depth=1
	s_and_not1_saveexec_b32 s36, s7
	s_cbranch_execz .LBB44_773
; %bb.772:                              ;   in Loop: Header=BB44_401 Depth=1
	v_max_f32_e64 v4, |v40|, |v40|
	v_max_f32_e32 v5, v39, v39
	v_cmp_gt_f32_e64 vcc_lo, |v40|, v39
	v_cmp_neq_f32_e64 s7, 0, v40
	v_cmp_eq_f32_e64 s6, 0x7f800000, v39
	v_cmp_class_f32_e64 s37, v40, 0x204
	v_max_f32_e32 v8, v5, v4
	v_min_f32_e32 v4, v5, v4
	s_delay_alu instid0(VALU_DEP_2) | instskip(SKIP_1) | instid1(VALU_DEP_2)
	v_frexp_mant_f32_e32 v9, v8
	v_frexp_exp_i32_f32_e32 v8, v8
	v_rcp_f32_e32 v5, v9
	s_delay_alu instid0(VALU_DEP_3) | instskip(SKIP_1) | instid1(VALU_DEP_2)
	v_frexp_exp_i32_f32_e32 v9, v4
	v_frexp_mant_f32_e32 v4, v4
	v_sub_nc_u32_e32 v8, v9, v8
	s_waitcnt_depctr 0xfff
	v_mul_f32_e32 v4, v4, v5
	s_delay_alu instid0(VALU_DEP_1) | instskip(NEXT) | instid1(VALU_DEP_1)
	v_ldexp_f32 v4, v4, v8
	v_mul_f32_e32 v5, v4, v4
	s_delay_alu instid0(VALU_DEP_1) | instskip(NEXT) | instid1(VALU_DEP_1)
	v_fmaak_f32 v8, s31, v5, 0xbc7a590c
	v_fmaak_f32 v8, v5, v8, 0x3d29fb3f
	s_delay_alu instid0(VALU_DEP_1) | instskip(NEXT) | instid1(VALU_DEP_1)
	v_fmaak_f32 v8, v5, v8, 0xbd97d4d7
	v_fmaak_f32 v8, v5, v8, 0x3dd931b2
	;; [unrolled: 3-line block ×3, first 2 shown]
	s_delay_alu instid0(VALU_DEP_1) | instskip(NEXT) | instid1(VALU_DEP_1)
	v_fmaak_f32 v8, v5, v8, 0xbeaaaa62
	v_mul_f32_e32 v5, v5, v8
	s_delay_alu instid0(VALU_DEP_1) | instskip(NEXT) | instid1(VALU_DEP_1)
	v_fmac_f32_e32 v4, v4, v5
	v_sub_f32_e32 v5, 0x3fc90fdb, v4
	s_delay_alu instid0(VALU_DEP_1) | instskip(SKIP_1) | instid1(VALU_DEP_2)
	v_cndmask_b32_e32 v4, v4, v5, vcc_lo
	v_cmp_lt_f32_e32 vcc_lo, 0, v39
	v_sub_f32_e32 v5, 0x40490fdb, v4
	s_delay_alu instid0(VALU_DEP_1) | instskip(SKIP_2) | instid1(VALU_DEP_2)
	v_cndmask_b32_e32 v4, v4, v5, vcc_lo
	v_cndmask_b32_e32 v5, 0x3f490fdb, v32, vcc_lo
	s_and_b32 vcc_lo, s6, s37
	v_cndmask_b32_e64 v4, 0x40490fdb, v4, s7
	s_delay_alu instid0(VALU_DEP_1) | instskip(SKIP_1) | instid1(VALU_DEP_2)
	v_cndmask_b32_e32 v4, v4, v5, vcc_lo
	v_cmp_o_f32_e64 vcc_lo, v40, -v39
	v_cndmask_b32_e32 v4, 0x7fc00000, v4, vcc_lo
	s_delay_alu instid0(VALU_DEP_1)
	v_bfi_b32 v8, 0x7fffffff, v4, v40
.LBB44_773:                             ;   in Loop: Header=BB44_401 Depth=1
	s_or_b32 exec_lo, exec_lo, s36
.LBB44_774:                             ;   in Loop: Header=BB44_401 Depth=1
	s_delay_alu instid0(SALU_CYCLE_1)
	s_or_b32 exec_lo, exec_lo, s8
	v_cndmask_b32_e64 v9, -v34, v34, s4
                                        ; implicit-def: $vgpr4
.LBB44_775:                             ;   in Loop: Header=BB44_401 Depth=1
	s_and_not1_saveexec_b32 s6, s35
	s_cbranch_execz .LBB44_777
; %bb.776:                              ;   in Loop: Header=BB44_401 Depth=1
	s_waitcnt vmcnt(0) lgkmcnt(0)
	v_dual_mov_b32 v8, s16 :: v_dual_mov_b32 v9, s17
	flat_load_b32 v8, v[8:9] glc dlc
	s_waitcnt vmcnt(0)
	v_xor_b32_e32 v9, 0x80000000, v5
	s_waitcnt lgkmcnt(0)
	v_sub_f32_e32 v4, v8, v4
	s_delay_alu instid0(VALU_DEP_1)
	v_add_f32_e32 v8, 0x3fc90fdb, v4
.LBB44_777:                             ;   in Loop: Header=BB44_401 Depth=1
	s_or_b32 exec_lo, exec_lo, s6
                                        ; implicit-def: $vgpr5
.LBB44_778:                             ;   in Loop: Header=BB44_401 Depth=1
	s_and_not1_saveexec_b32 s6, s34
	s_cbranch_execz .LBB44_780
; %bb.779:                              ;   in Loop: Header=BB44_401 Depth=1
	v_xor_b32_e32 v9, 0x80000000, v5
	s_waitcnt vmcnt(0) lgkmcnt(0)
	v_mov_b32_e32 v8, 0
.LBB44_780:                             ;   in Loop: Header=BB44_401 Depth=1
	s_or_b32 exec_lo, exec_lo, s6
                                        ; implicit-def: $vgpr4
                                        ; implicit-def: $vgpr35
                                        ; implicit-def: $vgpr34
                                        ; implicit-def: $vgpr33
.LBB44_781:                             ;   in Loop: Header=BB44_401 Depth=1
	s_and_not1_saveexec_b32 s8, s33
	s_cbranch_execz .LBB44_791
; %bb.782:                              ;   in Loop: Header=BB44_401 Depth=1
	v_cmp_lt_f32_e64 s6, |v4|, |v5|
                                        ; implicit-def: $vgpr9
                                        ; implicit-def: $vgpr8
	s_mov_b32 s7, exec_lo
	s_delay_alu instid0(VALU_DEP_1) | instskip(NEXT) | instid1(VALU_DEP_1)
	v_cndmask_b32_e64 v36, |v4|, |v5|, s6
	v_cmpx_nlt_f32_e32 0x7effffff, v36
	s_xor_b32 s33, exec_lo, s7
	s_cbranch_execz .LBB44_788
; %bb.783:                              ;   in Loop: Header=BB44_401 Depth=1
	v_cndmask_b32_e64 v37, |v5|, |v4|, s6
	v_cmp_nlt_f32_e32 vcc_lo, 0x5e000000, v36
                                        ; implicit-def: $vgpr9
                                        ; implicit-def: $vgpr8
	s_delay_alu instid0(VALU_DEP_2) | instskip(NEXT) | instid1(VALU_DEP_1)
	v_cmp_ngt_f32_e64 s7, 0x20000000, v37
	s_and_b32 s7, vcc_lo, s7
	s_delay_alu instid0(SALU_CYCLE_1) | instskip(NEXT) | instid1(SALU_CYCLE_1)
	s_and_saveexec_b32 s34, s7
	s_xor_b32 s34, exec_lo, s34
	s_cbranch_execz .LBB44_785
; %bb.784:                              ;   in Loop: Header=BB44_401 Depth=1
	s_waitcnt vmcnt(0) lgkmcnt(0)
	v_frexp_mant_f32_e32 v8, v33
	v_dual_min_f32 v9, v35, v34 :: v_dual_mul_f32 v34, v37, v37
	v_frexp_exp_i32_f32_e32 v33, v33
	s_delay_alu instid0(VALU_DEP_3) | instskip(NEXT) | instid1(VALU_DEP_2)
	v_rcp_f32_e32 v8, v8
	v_frexp_mant_f32_e32 v35, v9
	s_delay_alu instid0(VALU_DEP_3) | instskip(SKIP_1) | instid1(VALU_DEP_2)
	v_fmac_f32_e32 v34, v36, v36
	v_frexp_exp_i32_f32_e32 v9, v9
	v_cmp_gt_f32_e32 vcc_lo, 0x800000, v34
	s_delay_alu instid0(VALU_DEP_2) | instskip(SKIP_1) | instid1(TRANS32_DEP_1)
	v_sub_nc_u32_e32 v9, v9, v33
	v_cndmask_b32_e64 v33, 1.0, 0x4f800000, vcc_lo
	v_mul_f32_e32 v8, v35, v8
	s_delay_alu instid0(VALU_DEP_1) | instskip(NEXT) | instid1(VALU_DEP_3)
	v_ldexp_f32 v8, v8, v9
	v_mul_f32_e32 v9, v34, v33
	s_delay_alu instid0(VALU_DEP_1) | instskip(SKIP_3) | instid1(VALU_DEP_2)
	v_log_f32_e32 v9, v9
	s_waitcnt_depctr 0xfff
	v_mul_f32_e32 v35, 0x3f317217, v9
	v_cmp_gt_f32_e64 s7, 0x7f800000, |v9|
	v_fma_f32 v36, 0x3f317217, v9, -v35
	s_delay_alu instid0(VALU_DEP_1) | instskip(NEXT) | instid1(VALU_DEP_1)
	v_dual_mul_f32 v33, v8, v8 :: v_dual_fmac_f32 v36, 0x3377d1cf, v9
	v_dual_fmaak_f32 v34, s31, v33, 0xbc7a590c :: v_dual_add_f32 v35, v35, v36
	s_delay_alu instid0(VALU_DEP_1) | instskip(SKIP_1) | instid1(VALU_DEP_1)
	v_cndmask_b32_e64 v9, v9, v35, s7
	v_cndmask_b32_e64 v35, 0, 0x41b17218, vcc_lo
	v_sub_f32_e32 v9, v9, v35
	s_delay_alu instid0(VALU_DEP_4) | instskip(NEXT) | instid1(VALU_DEP_1)
	v_fmaak_f32 v34, v33, v34, 0x3d29fb3f
                                        ; implicit-def: $vgpr35
	v_dual_mul_f32 v9, 0.5, v9 :: v_dual_fmaak_f32 v34, v33, v34, 0xbd97d4d7
	s_delay_alu instid0(VALU_DEP_1) | instskip(NEXT) | instid1(VALU_DEP_1)
	v_fmaak_f32 v34, v33, v34, 0x3dd931b2
	v_fmaak_f32 v34, v33, v34, 0xbe1160e6
	s_delay_alu instid0(VALU_DEP_1) | instskip(NEXT) | instid1(VALU_DEP_1)
	v_fmaak_f32 v34, v33, v34, 0x3e4cb8bf
	v_fmaak_f32 v34, v33, v34, 0xbeaaaa62
	s_delay_alu instid0(VALU_DEP_1) | instskip(NEXT) | instid1(VALU_DEP_1)
	v_mul_f32_e32 v33, v33, v34
                                        ; implicit-def: $vgpr34
	v_fmac_f32_e32 v8, v8, v33
                                        ; implicit-def: $vgpr33
.LBB44_785:                             ;   in Loop: Header=BB44_401 Depth=1
	s_and_not1_saveexec_b32 s7, s34
	s_cbranch_execz .LBB44_787
; %bb.786:                              ;   in Loop: Header=BB44_401 Depth=1
	s_waitcnt vmcnt(0) lgkmcnt(0)
	v_cvt_f64_f32_e32 v[8:9], v33
	v_min_f32_e32 v34, v35, v34
	v_cmp_neq_f32_e32 vcc_lo, 0x7f800000, v33
	v_frexp_exp_i32_f32_e32 v35, v33
	s_delay_alu instid0(VALU_DEP_3) | instskip(SKIP_1) | instid1(VALU_DEP_2)
	v_frexp_exp_i32_f32_e32 v37, v34
	v_frexp_mant_f32_e32 v34, v34
	v_sub_nc_u32_e32 v35, v37, v35
	v_frexp_exp_i32_f64_e32 v8, v[8:9]
	s_delay_alu instid0(VALU_DEP_1) | instskip(NEXT) | instid1(VALU_DEP_1)
	v_sub_nc_u32_e32 v9, 0, v8
	v_ldexp_f32 v36, |v5|, v9
	v_ldexp_f32 v9, |v4|, v9
	s_delay_alu instid0(VALU_DEP_2) | instskip(NEXT) | instid1(VALU_DEP_1)
	v_mul_f32_e32 v36, v36, v36
	v_fmac_f32_e32 v36, v9, v9
	v_frexp_mant_f32_e32 v9, v33
	s_delay_alu instid0(VALU_DEP_2) | instskip(NEXT) | instid1(VALU_DEP_1)
	v_sqrt_f32_e32 v36, v36
	v_rcp_f32_e32 v9, v9
	s_waitcnt_depctr 0xfff
	v_ldexp_f32 v8, v36, v8
	v_mul_f32_e32 v9, v34, v9
	s_delay_alu instid0(VALU_DEP_2) | instskip(NEXT) | instid1(VALU_DEP_2)
	v_cndmask_b32_e32 v33, 0x7f800000, v8, vcc_lo
	v_ldexp_f32 v8, v9, v35
	s_delay_alu instid0(VALU_DEP_2) | instskip(SKIP_1) | instid1(VALU_DEP_1)
	v_cmp_gt_f32_e32 vcc_lo, 0x800000, v33
	v_cndmask_b32_e64 v9, 1.0, 0x4f800000, vcc_lo
	v_mul_f32_e32 v9, v33, v9
	s_delay_alu instid0(VALU_DEP_1) | instskip(SKIP_2) | instid1(VALU_DEP_1)
	v_log_f32_e32 v9, v9
	s_waitcnt_depctr 0xfff
	v_dual_mul_f32 v34, v8, v8 :: v_dual_mul_f32 v35, 0x3f317217, v9
	v_fmaak_f32 v33, s31, v34, 0xbc7a590c
	s_delay_alu instid0(VALU_DEP_2) | instskip(NEXT) | instid1(VALU_DEP_2)
	v_fma_f32 v36, 0x3f317217, v9, -v35
	v_fmaak_f32 v33, v34, v33, 0x3d29fb3f
	s_delay_alu instid0(VALU_DEP_2) | instskip(NEXT) | instid1(VALU_DEP_2)
	v_fmac_f32_e32 v36, 0x3377d1cf, v9
	v_fmaak_f32 v33, v34, v33, 0xbd97d4d7
	s_delay_alu instid0(VALU_DEP_1) | instskip(NEXT) | instid1(VALU_DEP_1)
	v_fmaak_f32 v33, v34, v33, 0x3dd931b2
	v_fmaak_f32 v33, v34, v33, 0xbe1160e6
	s_delay_alu instid0(VALU_DEP_1) | instskip(NEXT) | instid1(VALU_DEP_1)
	v_fmaak_f32 v33, v34, v33, 0x3e4cb8bf
	v_fmaak_f32 v33, v34, v33, 0xbeaaaa62
	s_delay_alu instid0(VALU_DEP_1) | instskip(SKIP_3) | instid1(VALU_DEP_3)
	v_mul_f32_e32 v33, v34, v33
	v_add_f32_e32 v35, v35, v36
	v_cndmask_b32_e64 v36, 0, 0x41b17218, vcc_lo
	v_cmp_gt_f32_e64 vcc_lo, 0x7f800000, |v9|
	v_dual_fmac_f32 v8, v8, v33 :: v_dual_cndmask_b32 v9, v9, v35
	s_delay_alu instid0(VALU_DEP_1)
	v_sub_f32_e32 v9, v9, v36
.LBB44_787:                             ;   in Loop: Header=BB44_401 Depth=1
	s_or_b32 exec_lo, exec_lo, s7
                                        ; implicit-def: $vgpr35
                                        ; implicit-def: $vgpr34
                                        ; implicit-def: $vgpr33
.LBB44_788:                             ;   in Loop: Header=BB44_401 Depth=1
	s_and_not1_saveexec_b32 s33, s33
	s_cbranch_execz .LBB44_790
; %bb.789:                              ;   in Loop: Header=BB44_401 Depth=1
	s_waitcnt vmcnt(0) lgkmcnt(0)
	v_div_scale_f32 v8, null, 0x402df854, 0x402df854, v4
	v_div_scale_f32 v9, null, 0x402df854, 0x402df854, v5
	v_div_scale_f32 v40, vcc_lo, v4, 0x402df854, v4
	s_delay_alu instid0(VALU_DEP_3) | instskip(NEXT) | instid1(VALU_DEP_2)
	v_rcp_f32_e32 v36, v8
	v_rcp_f32_e32 v37, v9
	v_min_f32_e32 v34, v35, v34
	s_waitcnt_depctr 0xfff
	v_fma_f32 v38, -v8, v36, 1.0
	v_fma_f32 v39, -v9, v37, 1.0
	s_delay_alu instid0(VALU_DEP_1) | instskip(SKIP_1) | instid1(VALU_DEP_2)
	v_dual_fmac_f32 v36, v38, v36 :: v_dual_fmac_f32 v37, v39, v37
	v_div_scale_f32 v38, s7, v5, 0x402df854, v5
	v_mul_f32_e32 v39, v40, v36
	s_delay_alu instid0(VALU_DEP_2) | instskip(NEXT) | instid1(VALU_DEP_2)
	v_mul_f32_e32 v41, v38, v37
	v_fma_f32 v42, -v8, v39, v40
	s_delay_alu instid0(VALU_DEP_2) | instskip(NEXT) | instid1(VALU_DEP_2)
	v_fma_f32 v43, -v9, v41, v38
	v_fmac_f32_e32 v39, v42, v36
	s_delay_alu instid0(VALU_DEP_2) | instskip(NEXT) | instid1(VALU_DEP_2)
	v_fmac_f32_e32 v41, v43, v37
	v_fma_f32 v8, -v8, v39, v40
	s_delay_alu instid0(VALU_DEP_2) | instskip(NEXT) | instid1(VALU_DEP_2)
	v_fma_f32 v9, -v9, v41, v38
	v_div_fmas_f32 v8, v8, v36, v39
	s_mov_b32 vcc_lo, s7
	s_delay_alu instid0(VALU_DEP_2) | instskip(NEXT) | instid1(VALU_DEP_2)
	v_div_fmas_f32 v9, v9, v37, v41
	v_div_fixup_f32 v36, v8, 0x402df854, v4
	s_delay_alu instid0(VALU_DEP_2) | instskip(NEXT) | instid1(VALU_DEP_1)
	v_div_fixup_f32 v37, v9, 0x402df854, v5
	v_max_f32_e64 v38, |v36|, |v37|
	s_delay_alu instid0(VALU_DEP_1) | instskip(SKIP_1) | instid1(VALU_DEP_2)
	v_cvt_f64_f32_e32 v[8:9], v38
	v_cmp_neq_f32_e32 vcc_lo, 0x7f800000, v38
	v_frexp_exp_i32_f64_e32 v8, v[8:9]
	s_delay_alu instid0(VALU_DEP_1) | instskip(NEXT) | instid1(VALU_DEP_1)
	v_sub_nc_u32_e32 v9, 0, v8
	v_ldexp_f32 v37, |v37|, v9
	v_ldexp_f32 v9, |v36|, v9
	s_delay_alu instid0(VALU_DEP_2) | instskip(NEXT) | instid1(VALU_DEP_1)
	v_mul_f32_e32 v36, v37, v37
	v_fmac_f32_e32 v36, v9, v9
	s_delay_alu instid0(VALU_DEP_1) | instskip(SKIP_2) | instid1(VALU_DEP_2)
	v_sqrt_f32_e32 v9, v36
	v_frexp_mant_f32_e32 v36, v33
	v_frexp_exp_i32_f32_e32 v33, v33
	v_rcp_f32_e32 v35, v36
	s_waitcnt_depctr 0xfff
	v_ldexp_f32 v8, v9, v8
	v_frexp_exp_i32_f32_e32 v9, v34
	v_frexp_mant_f32_e32 v34, v34
	s_delay_alu instid0(VALU_DEP_3) | instskip(NEXT) | instid1(VALU_DEP_3)
	v_cndmask_b32_e32 v36, 0x7f800000, v8, vcc_lo
	v_sub_nc_u32_e32 v8, v9, v33
	s_delay_alu instid0(VALU_DEP_3) | instskip(NEXT) | instid1(VALU_DEP_3)
	v_mul_f32_e32 v9, v34, v35
	v_cmp_gt_f32_e32 vcc_lo, 0x800000, v36
	s_delay_alu instid0(VALU_DEP_2) | instskip(SKIP_1) | instid1(VALU_DEP_1)
	v_ldexp_f32 v8, v9, v8
	v_cndmask_b32_e64 v33, 1.0, 0x4f800000, vcc_lo
	v_mul_f32_e32 v9, v36, v33
	s_delay_alu instid0(VALU_DEP_3) | instskip(NEXT) | instid1(VALU_DEP_1)
	v_mul_f32_e32 v33, v8, v8
	v_fmaak_f32 v34, s31, v33, 0xbc7a590c
	s_delay_alu instid0(VALU_DEP_1) | instskip(NEXT) | instid1(VALU_DEP_4)
	v_fmaak_f32 v34, v33, v34, 0x3d29fb3f
	v_log_f32_e32 v9, v9
	s_waitcnt_depctr 0xfff
	v_mul_f32_e32 v35, 0x3f317217, v9
	s_delay_alu instid0(VALU_DEP_1) | instskip(NEXT) | instid1(VALU_DEP_1)
	v_fma_f32 v36, 0x3f317217, v9, -v35
	v_fmac_f32_e32 v36, 0x3377d1cf, v9
	s_delay_alu instid0(VALU_DEP_1) | instskip(SKIP_2) | instid1(VALU_DEP_3)
	v_dual_fmaak_f32 v34, v33, v34, 0xbd97d4d7 :: v_dual_add_f32 v35, v35, v36
	v_cndmask_b32_e64 v36, 0, 0x41b17218, vcc_lo
	v_cmp_gt_f32_e64 vcc_lo, 0x7f800000, |v9|
	v_cndmask_b32_e32 v9, v9, v35, vcc_lo
	s_delay_alu instid0(VALU_DEP_1) | instskip(NEXT) | instid1(VALU_DEP_1)
	v_sub_f32_e32 v9, v9, v36
	v_dual_fmaak_f32 v34, v33, v34, 0x3dd931b2 :: v_dual_add_f32 v9, 1.0, v9
	s_delay_alu instid0(VALU_DEP_1) | instskip(NEXT) | instid1(VALU_DEP_1)
	v_fmaak_f32 v34, v33, v34, 0xbe1160e6
	v_fmaak_f32 v34, v33, v34, 0x3e4cb8bf
	s_delay_alu instid0(VALU_DEP_1) | instskip(NEXT) | instid1(VALU_DEP_1)
	v_fmaak_f32 v34, v33, v34, 0xbeaaaa62
	v_mul_f32_e32 v33, v33, v34
	s_delay_alu instid0(VALU_DEP_1)
	v_fmac_f32_e32 v8, v8, v33
.LBB44_790:                             ;   in Loop: Header=BB44_401 Depth=1
	s_or_b32 exec_lo, exec_lo, s33
	v_cndmask_b32_e64 v34, 0, 0x40490fdb, s5
	s_waitcnt vmcnt(0) lgkmcnt(0)
	s_delay_alu instid0(VALU_DEP_2) | instskip(SKIP_3) | instid1(VALU_DEP_4)
	v_sub_f32_e32 v33, 0x3fc90fdb, v8
	v_cmp_gt_f32_e32 vcc_lo, 0, v4
	v_cmp_class_f32_e64 s5, v4, 0x204
	v_add_f32_e32 v9, 0x3f317218, v9
	v_cndmask_b32_e64 v8, v8, v33, s6
	v_cmp_class_f32_e64 s6, v5, 0x204
	s_delay_alu instid0(VALU_DEP_3) | instskip(NEXT) | instid1(VALU_DEP_3)
	v_cndmask_b32_e64 v9, -v9, v9, s4
	v_sub_f32_e32 v33, 0x40490fdb, v8
	s_delay_alu instid0(VALU_DEP_1) | instskip(SKIP_2) | instid1(VALU_DEP_3)
	v_cndmask_b32_e32 v8, v8, v33, vcc_lo
	v_cndmask_b32_e32 v33, 0x3f490fdb, v32, vcc_lo
	v_cmp_eq_f32_e32 vcc_lo, 0, v5
	v_cndmask_b32_e32 v8, v8, v34, vcc_lo
	s_and_b32 vcc_lo, s6, s5
	s_delay_alu instid0(VALU_DEP_1) | instskip(SKIP_1) | instid1(VALU_DEP_2)
	v_cndmask_b32_e32 v8, v8, v33, vcc_lo
	v_cmp_o_f32_e32 vcc_lo, v4, v5
	v_cndmask_b32_e64 v8, 0x7fc00000, |v8|, vcc_lo
.LBB44_791:                             ;   in Loop: Header=BB44_401 Depth=1
	s_or_b32 exec_lo, exec_lo, s8
                                        ; implicit-def: $vgpr5
	s_and_not1_saveexec_b32 s4, s15
	s_cbranch_execz .LBB44_705
.LBB44_792:                             ;   in Loop: Header=BB44_401 Depth=1
	v_cmp_neq_f32_e64 s5, 0x7f800000, |v4|
                                        ; implicit-def: $vgpr9
	s_delay_alu instid0(VALU_DEP_1) | instskip(NEXT) | instid1(SALU_CYCLE_1)
	s_and_saveexec_b32 s6, s5
	s_xor_b32 s5, exec_lo, s6
	s_cbranch_execz .LBB44_802
; %bb.793:                              ;   in Loop: Header=BB44_401 Depth=1
	v_cmp_neq_f32_e64 s6, 0x7f800000, |v5|
                                        ; implicit-def: $vgpr9
	s_delay_alu instid0(VALU_DEP_1) | instskip(NEXT) | instid1(SALU_CYCLE_1)
	s_and_saveexec_b32 s7, s6
	s_xor_b32 s6, exec_lo, s7
	s_cbranch_execz .LBB44_799
; %bb.794:                              ;   in Loop: Header=BB44_401 Depth=1
	s_mov_b32 s7, exec_lo
                                        ; implicit-def: $vgpr9
	v_cmpx_neq_f32_e32 0, v4
	s_xor_b32 s7, exec_lo, s7
; %bb.795:                              ;   in Loop: Header=BB44_401 Depth=1
	v_add_f32_e32 v5, 0, v5
	s_delay_alu instid0(VALU_DEP_1)
	v_add_f32_e32 v9, v5, v4
                                        ; implicit-def: $vgpr5
; %bb.796:                              ;   in Loop: Header=BB44_401 Depth=1
	s_or_saveexec_b32 s7, s7
	s_waitcnt vmcnt(0) lgkmcnt(0)
	s_delay_alu instid0(VALU_DEP_1)
	v_mov_b32_e32 v8, v9
	s_xor_b32 exec_lo, exec_lo, s7
	s_cbranch_execz .LBB44_798
; %bb.797:                              ;   in Loop: Header=BB44_401 Depth=1
	v_dual_mov_b32 v8, s16 :: v_dual_mov_b32 v9, s17
	flat_load_b32 v4, v[8:9] glc dlc
	s_waitcnt vmcnt(0) lgkmcnt(0)
	v_dual_add_f32 v9, v5, v5 :: v_dual_add_f32 v8, 0x3fc90fdb, v4
.LBB44_798:                             ;   in Loop: Header=BB44_401 Depth=1
	s_or_b32 exec_lo, exec_lo, s7
                                        ; implicit-def: $vgpr4
.LBB44_799:                             ;   in Loop: Header=BB44_401 Depth=1
	s_and_not1_saveexec_b32 s6, s6
	s_cbranch_execz .LBB44_801
; %bb.800:                              ;   in Loop: Header=BB44_401 Depth=1
	s_waitcnt vmcnt(0) lgkmcnt(0)
	v_add_f32_e32 v8, v4, v4
	v_xor_b32_e32 v9, 0x80000000, v5
.LBB44_801:                             ;   in Loop: Header=BB44_401 Depth=1
	s_or_b32 exec_lo, exec_lo, s6
                                        ; implicit-def: $vgpr5
.LBB44_802:                             ;   in Loop: Header=BB44_401 Depth=1
	s_and_not1_saveexec_b32 s5, s5
	s_cbranch_execz .LBB44_804
; %bb.803:                              ;   in Loop: Header=BB44_401 Depth=1
	s_waitcnt vmcnt(0) lgkmcnt(0)
	v_dual_add_f32 v8, v5, v5 :: v_dual_mov_b32 v9, 0xff800000
.LBB44_804:                             ;   in Loop: Header=BB44_401 Depth=1
	s_or_b32 exec_lo, exec_lo, s5
	s_delay_alu instid0(SALU_CYCLE_1) | instskip(SKIP_1) | instid1(SALU_CYCLE_1)
	s_or_b32 exec_lo, exec_lo, s4
	s_and_saveexec_b32 s4, s0
	s_xor_b32 s0, exec_lo, s4
	s_cbranch_execz .LBB44_706
.LBB44_805:                             ;   in Loop: Header=BB44_401 Depth=1
	v_add_co_u32 v4, vcc_lo, v16, s10
	v_add_co_ci_u32_e32 v5, vcc_lo, s11, v17, vcc_lo
	s_waitcnt vmcnt(0) lgkmcnt(3)
	global_store_b64 v[4:5], v[6:7], off offset:-4
	s_or_b32 exec_lo, exec_lo, s0
	s_and_saveexec_b32 s0, s1
	s_cbranch_execz .LBB44_707
.LBB44_806:                             ;   in Loop: Header=BB44_401 Depth=1
	v_add_co_u32 v4, vcc_lo, v18, s10
	v_add_co_ci_u32_e32 v5, vcc_lo, s11, v19, vcc_lo
	s_waitcnt vmcnt(0) lgkmcnt(2)
	global_store_b64 v[4:5], v[10:11], off
	s_or_b32 exec_lo, exec_lo, s0
	s_and_saveexec_b32 s0, s2
	s_cbranch_execz .LBB44_708
.LBB44_807:                             ;   in Loop: Header=BB44_401 Depth=1
	v_add_co_u32 v4, vcc_lo, v28, s10
	v_add_co_ci_u32_e32 v5, vcc_lo, s11, v29, vcc_lo
	s_waitcnt vmcnt(0) lgkmcnt(1)
	global_store_b64 v[4:5], v[12:13], off offset:-4
	s_or_b32 exec_lo, exec_lo, s0
	s_and_saveexec_b32 s0, s3
	s_cbranch_execz .LBB44_400
.LBB44_808:                             ;   in Loop: Header=BB44_401 Depth=1
	v_add_co_u32 v4, vcc_lo, v24, s10
	v_add_co_ci_u32_e32 v5, vcc_lo, s11, v25, vcc_lo
	s_waitcnt vmcnt(0) lgkmcnt(0)
	global_store_b64 v[4:5], v[8:9], off offset:-4
	s_branch .LBB44_400
.LBB44_809:
	s_endpgm
	.section	.rodata,"a",@progbits
	.p2align	6, 0x0
	.amdhsa_kernel _ZN2at6native12_GLOBAL__N_125multi_tensor_apply_kernelINS1_18TensorListMetadataILi2EEENS1_14UnaryOpFunctorIN3c107complexIfEELi2ELi1ELi1EEEJNS0_4AcosIS8_EEEEEvT_T0_DpT1_
		.amdhsa_group_segment_fixed_size 0
		.amdhsa_private_segment_fixed_size 16
		.amdhsa_kernarg_size 3408
		.amdhsa_user_sgpr_count 15
		.amdhsa_user_sgpr_dispatch_ptr 0
		.amdhsa_user_sgpr_queue_ptr 0
		.amdhsa_user_sgpr_kernarg_segment_ptr 1
		.amdhsa_user_sgpr_dispatch_id 0
		.amdhsa_user_sgpr_private_segment_size 0
		.amdhsa_wavefront_size32 1
		.amdhsa_uses_dynamic_stack 0
		.amdhsa_enable_private_segment 1
		.amdhsa_system_sgpr_workgroup_id_x 1
		.amdhsa_system_sgpr_workgroup_id_y 0
		.amdhsa_system_sgpr_workgroup_id_z 0
		.amdhsa_system_sgpr_workgroup_info 0
		.amdhsa_system_vgpr_workitem_id 0
		.amdhsa_next_free_vgpr 50
		.amdhsa_next_free_sgpr 43
		.amdhsa_reserve_vcc 1
		.amdhsa_float_round_mode_32 0
		.amdhsa_float_round_mode_16_64 0
		.amdhsa_float_denorm_mode_32 3
		.amdhsa_float_denorm_mode_16_64 3
		.amdhsa_dx10_clamp 1
		.amdhsa_ieee_mode 1
		.amdhsa_fp16_overflow 0
		.amdhsa_workgroup_processor_mode 1
		.amdhsa_memory_ordered 1
		.amdhsa_forward_progress 0
		.amdhsa_shared_vgpr_count 0
		.amdhsa_exception_fp_ieee_invalid_op 0
		.amdhsa_exception_fp_denorm_src 0
		.amdhsa_exception_fp_ieee_div_zero 0
		.amdhsa_exception_fp_ieee_overflow 0
		.amdhsa_exception_fp_ieee_underflow 0
		.amdhsa_exception_fp_ieee_inexact 0
		.amdhsa_exception_int_div_zero 0
	.end_amdhsa_kernel
	.section	.text._ZN2at6native12_GLOBAL__N_125multi_tensor_apply_kernelINS1_18TensorListMetadataILi2EEENS1_14UnaryOpFunctorIN3c107complexIfEELi2ELi1ELi1EEEJNS0_4AcosIS8_EEEEEvT_T0_DpT1_,"axG",@progbits,_ZN2at6native12_GLOBAL__N_125multi_tensor_apply_kernelINS1_18TensorListMetadataILi2EEENS1_14UnaryOpFunctorIN3c107complexIfEELi2ELi1ELi1EEEJNS0_4AcosIS8_EEEEEvT_T0_DpT1_,comdat
.Lfunc_end44:
	.size	_ZN2at6native12_GLOBAL__N_125multi_tensor_apply_kernelINS1_18TensorListMetadataILi2EEENS1_14UnaryOpFunctorIN3c107complexIfEELi2ELi1ELi1EEEJNS0_4AcosIS8_EEEEEvT_T0_DpT1_, .Lfunc_end44-_ZN2at6native12_GLOBAL__N_125multi_tensor_apply_kernelINS1_18TensorListMetadataILi2EEENS1_14UnaryOpFunctorIN3c107complexIfEELi2ELi1ELi1EEEJNS0_4AcosIS8_EEEEEvT_T0_DpT1_
                                        ; -- End function
	.section	.AMDGPU.csdata,"",@progbits
; Kernel info:
; codeLenInByte = 61752
; NumSgprs: 45
; NumVgprs: 50
; ScratchSize: 16
; MemoryBound: 0
; FloatMode: 240
; IeeeMode: 1
; LDSByteSize: 0 bytes/workgroup (compile time only)
; SGPRBlocks: 5
; VGPRBlocks: 6
; NumSGPRsForWavesPerEU: 45
; NumVGPRsForWavesPerEU: 50
; Occupancy: 16
; WaveLimiterHint : 0
; COMPUTE_PGM_RSRC2:SCRATCH_EN: 1
; COMPUTE_PGM_RSRC2:USER_SGPR: 15
; COMPUTE_PGM_RSRC2:TRAP_HANDLER: 0
; COMPUTE_PGM_RSRC2:TGID_X_EN: 1
; COMPUTE_PGM_RSRC2:TGID_Y_EN: 0
; COMPUTE_PGM_RSRC2:TGID_Z_EN: 0
; COMPUTE_PGM_RSRC2:TIDIG_COMP_CNT: 0
	.section	.text._ZN2at6native12_GLOBAL__N_125multi_tensor_apply_kernelINS1_18TensorListMetadataILi2EEENS1_14UnaryOpFunctorIN3c104HalfELi2ELi1ELi1EEEJNS0_4AcosIfEEEEEvT_T0_DpT1_,"axG",@progbits,_ZN2at6native12_GLOBAL__N_125multi_tensor_apply_kernelINS1_18TensorListMetadataILi2EEENS1_14UnaryOpFunctorIN3c104HalfELi2ELi1ELi1EEEJNS0_4AcosIfEEEEEvT_T0_DpT1_,comdat
	.globl	_ZN2at6native12_GLOBAL__N_125multi_tensor_apply_kernelINS1_18TensorListMetadataILi2EEENS1_14UnaryOpFunctorIN3c104HalfELi2ELi1ELi1EEEJNS0_4AcosIfEEEEEvT_T0_DpT1_ ; -- Begin function _ZN2at6native12_GLOBAL__N_125multi_tensor_apply_kernelINS1_18TensorListMetadataILi2EEENS1_14UnaryOpFunctorIN3c104HalfELi2ELi1ELi1EEEJNS0_4AcosIfEEEEEvT_T0_DpT1_
	.p2align	8
	.type	_ZN2at6native12_GLOBAL__N_125multi_tensor_apply_kernelINS1_18TensorListMetadataILi2EEENS1_14UnaryOpFunctorIN3c104HalfELi2ELi1ELi1EEEJNS0_4AcosIfEEEEEvT_T0_DpT1_,@function
_ZN2at6native12_GLOBAL__N_125multi_tensor_apply_kernelINS1_18TensorListMetadataILi2EEENS1_14UnaryOpFunctorIN3c104HalfELi2ELi1ELi1EEEJNS0_4AcosIfEEEEEvT_T0_DpT1_: ; @_ZN2at6native12_GLOBAL__N_125multi_tensor_apply_kernelINS1_18TensorListMetadataILi2EEENS1_14UnaryOpFunctorIN3c104HalfELi2ELi1ELi1EEEJNS0_4AcosIfEEEEEvT_T0_DpT1_
; %bb.0:
	v_mov_b32_e32 v1, s15
	s_add_u32 s2, s0, s15
	s_mul_hi_u32 s3, s15, 3
	s_mul_i32 s15, s15, 3
	s_addc_u32 s4, s1, 0
	global_load_u8 v1, v1, s[0:1] offset:1536
	s_add_u32 s2, s2, s15
	s_addc_u32 s3, s4, s3
	s_mov_b32 s7, 0
	s_load_b32 s2, s[2:3], 0x740
	s_mov_b32 s13, s7
	s_mov_b32 s23, s7
	s_waitcnt vmcnt(0)
	v_readfirstlane_b32 s5, v1
	s_delay_alu instid0(VALU_DEP_1)
	s_lshl_b32 s3, s5, 3
	s_clause 0x2
	s_load_b64 s[14:15], s[0:1], s3 offset:0x0
	s_load_b64 s[16:17], s[0:1], s3 offset:0x200
	;; [unrolled: 1-line block ×3, first 2 shown]
	s_waitcnt lgkmcnt(0)
	s_ashr_i32 s3, s2, 31
	s_delay_alu instid0(SALU_CYCLE_1) | instskip(NEXT) | instid1(SALU_CYCLE_1)
	s_lshl_b64 s[10:11], s[2:3], 17
	s_add_u32 s9, s14, s10
	s_addc_u32 s18, s15, s11
	s_and_b32 s6, s9, 7
	s_add_u32 s19, s16, s10
	s_addc_u32 s20, s17, s11
	s_and_b32 s12, s4, 3
	s_and_b32 s22, s19, 7
	s_or_b64 s[6:7], s[6:7], s[12:13]
	s_lshl_b64 s[2:3], s[2:3], 16
	s_or_b64 s[6:7], s[22:23], s[6:7]
	s_sub_u32 s12, s4, s2
	s_subb_u32 s13, s5, s3
	s_cmp_eq_u64 s[6:7], 0
	s_mov_b32 s2, -1
	s_cbranch_scc0 .LBB45_5
; %bb.1:
	v_dual_mov_b32 v2, 0 :: v_dual_lshlrev_b32 v1, 2, v0
	s_mov_b32 s21, exec_lo
	s_delay_alu instid0(VALU_DEP_1)
	v_cmpx_gt_i64_e64 s[12:13], v[1:2]
	s_cbranch_execz .LBB45_4
; %bb.2:
	s_load_b32 s2, s[0:1], 0xc5c
	v_lshlrev_b32_e32 v3, 3, v0
	s_mov_b32 s22, 0
	s_mov_b32 s25, 0.5
	s_mov_b32 s26, -0.5
	s_mov_b32 s27, 0x3d1c21a7
	s_waitcnt lgkmcnt(0)
	s_and_b32 s2, s2, 0xffff
	s_delay_alu instid0(SALU_CYCLE_1)
	v_add_lshl_u32 v1, v0, s2, 2
	s_lshl_b32 s23, s2, 2
	s_lshl_b32 s24, s2, 3
.LBB45_3:                               ; =>This Inner Loop Header: Depth=1
	v_add_co_u32 v4, s2, s9, v3
	s_delay_alu instid0(VALU_DEP_1) | instskip(SKIP_1) | instid1(VALU_DEP_1)
	v_add_co_ci_u32_e64 v5, null, s18, 0, s2
	v_add_co_u32 v6, s2, s19, v3
	v_add_co_ci_u32_e64 v7, null, s20, 0, s2
	global_load_b64 v[4:5], v[4:5], off
	v_cmp_le_i64_e32 vcc_lo, s[12:13], v[1:2]
	v_cmp_lt_u64_e64 s2, 0xffff, v[1:2]
	v_add_co_u32 v1, s3, v1, s23
	s_delay_alu instid0(VALU_DEP_1) | instskip(NEXT) | instid1(VALU_DEP_3)
	v_add_co_ci_u32_e64 v2, s3, 0, v2, s3
	s_or_b32 s2, vcc_lo, s2
	s_add_u32 s9, s9, s24
	s_addc_u32 s18, s18, 0
	s_add_u32 s19, s19, s24
	s_addc_u32 s20, s20, 0
	s_and_b32 s2, exec_lo, s2
	s_delay_alu instid0(SALU_CYCLE_1)
	s_or_b32 s22, s2, s22
	s_waitcnt vmcnt(0)
	v_lshrrev_b32_e32 v8, 16, v4
	v_cvt_f32_f16_e32 v10, v4
	v_lshrrev_b32_e32 v9, 16, v5
	v_fma_mix_f32 v11, |v4|, s26, s25 op_sel_hi:[1,0,0]
	v_cvt_f32_f16_e32 v13, v5
	v_cvt_f32_f16_e32 v17, v8
	v_mul_f32_e32 v16, v10, v10
	v_cmp_gt_f32_e64 s4, |v10|, 0.5
	v_fma_mix_f32 v12, |v4|, s26, s25 op_sel:[1,0,0] op_sel_hi:[1,0,0]
	v_cmp_gt_f32_e64 s3, |v13|, 0.5
	v_cmp_gt_f32_e64 s6, |v17|, 0.5
	v_fma_mix_f32 v15, |v5|, s26, s25 op_sel:[1,0,0] op_sel_hi:[1,0,0]
	v_cndmask_b32_e64 v10, v16, v11, s4
	v_mul_f32_e32 v11, v17, v17
	v_mul_f32_e32 v18, v13, v13
	v_cvt_f32_f16_e32 v13, v9
	v_fma_mix_f32 v14, |v5|, s26, s25 op_sel_hi:[1,0,0]
	v_sqrt_f32_e32 v17, v10
	v_cndmask_b32_e64 v11, v11, v12, s6
	v_cmp_gt_f16_e64 s7, 0, v5
	v_mul_f32_e32 v16, v13, v13
	v_cmp_gt_f32_e64 s5, |v13|, 0.5
	v_fmaak_f32 v13, s27, v10, 0x3c5fc5da
	v_cndmask_b32_e64 v14, v18, v14, s3
	v_sqrt_f32_e32 v19, v11
	v_cmp_gt_f16_e64 s8, 0, v4
	v_cndmask_b32_e64 v15, v16, v15, s5
	v_fmaak_f32 v16, s27, v11, 0x3c5fc5da
	v_fmaak_f32 v13, v10, v13, 0x3d034c3c
	v_sqrt_f32_e32 v18, v14
	s_delay_alu instid0(VALU_DEP_3) | instskip(NEXT) | instid1(VALU_DEP_2)
	v_sqrt_f32_e32 v21, v15
	v_fmaak_f32 v16, v11, v16, 0x3d034c3c
	s_delay_alu instid0(VALU_DEP_1) | instskip(NEXT) | instid1(VALU_DEP_1)
	v_dual_fmaak_f32 v13, v10, v13, 0x3d3641b1 :: v_dual_fmaak_f32 v16, v11, v16, 0x3d3641b1
	v_dual_fmaak_f32 v13, v10, v13, 0x3d999bc8 :: v_dual_fmaak_f32 v16, v11, v16, 0x3d999bc8
	s_delay_alu instid0(VALU_DEP_1) | instskip(NEXT) | instid1(VALU_DEP_1)
	v_fmaak_f32 v13, v10, v13, 0x3e2aaaac
	v_dual_mul_f32 v10, v10, v13 :: v_dual_fmaak_f32 v13, v11, v16, 0x3e2aaaac
	v_fmaak_f32 v12, s27, v14, 0x3c5fc5da
	s_delay_alu instid0(VALU_DEP_2) | instskip(NEXT) | instid1(VALU_DEP_2)
	v_fmac_f32_e32 v17, v17, v10
	v_dual_mul_f32 v11, v11, v13 :: v_dual_fmaak_f32 v12, v14, v12, 0x3d034c3c
	v_fma_mix_f32 v10, v4, v10, v4 op_sel_hi:[1,0,1]
	s_delay_alu instid0(VALU_DEP_2) | instskip(SKIP_1) | instid1(VALU_DEP_3)
	v_dual_fmac_f32 v19, v19, v11 :: v_dual_fmaak_f32 v12, v14, v12, 0x3d3641b1
	v_fma_mix_f32 v11, v4, v11, v4 op_sel:[1,0,1] op_sel_hi:[1,0,1]
	v_sub_f32_e32 v10, 0x3fc90fdb, v10
	s_delay_alu instid0(VALU_DEP_3) | instskip(NEXT) | instid1(VALU_DEP_3)
	v_fmaak_f32 v12, v14, v12, 0x3d999bc8
	v_sub_f32_e32 v11, 0x3fc90fdb, v11
	s_delay_alu instid0(VALU_DEP_2) | instskip(NEXT) | instid1(VALU_DEP_1)
	v_fmaak_f32 v12, v14, v12, 0x3e2aaaac
	v_mul_f32_e32 v12, v14, v12
	s_delay_alu instid0(VALU_DEP_1) | instskip(SKIP_2) | instid1(VALU_DEP_2)
	v_fmac_f32_e32 v18, v18, v12
	v_fmaak_f32 v20, s27, v15, 0x3c5fc5da
	v_fma_mix_f32 v12, v5, v12, v5 op_sel_hi:[1,0,1]
	v_fmaak_f32 v20, v15, v20, 0x3d034c3c
	s_delay_alu instid0(VALU_DEP_2) | instskip(NEXT) | instid1(VALU_DEP_2)
	v_sub_f32_e32 v12, 0x3fc90fdb, v12
	v_fmaak_f32 v20, v15, v20, 0x3d3641b1
	s_delay_alu instid0(VALU_DEP_1) | instskip(NEXT) | instid1(VALU_DEP_1)
	v_fmaak_f32 v20, v15, v20, 0x3d999bc8
	v_fmaak_f32 v14, v15, v20, 0x3e2aaaac
	s_delay_alu instid0(VALU_DEP_1) | instskip(SKIP_1) | instid1(VALU_DEP_2)
	v_dual_mul_f32 v13, v15, v14 :: v_dual_add_f32 v14, v17, v17
	v_add_f32_e32 v17, v19, v19
	v_fmac_f32_e32 v21, v21, v13
	v_fma_mix_f32 v13, v5, v13, v5 op_sel:[1,0,1] op_sel_hi:[1,0,1]
	s_delay_alu instid0(VALU_DEP_2) | instskip(NEXT) | instid1(VALU_DEP_2)
	v_add_f32_e32 v19, v21, v21
	v_sub_f32_e32 v5, 0x3fc90fdb, v13
	v_add_f32_e32 v15, v18, v18
	s_delay_alu instid0(VALU_DEP_3) | instskip(NEXT) | instid1(VALU_DEP_2)
	v_dual_sub_f32 v13, 0x40490fdb, v19 :: v_dual_sub_f32 v16, 0x40490fdb, v14
	v_sub_f32_e32 v18, 0x40490fdb, v15
	s_delay_alu instid0(VALU_DEP_2) | instskip(SKIP_2) | instid1(VALU_DEP_4)
	v_cndmask_b32_e64 v4, v14, v16, s8
	v_sub_f32_e32 v14, 0x40490fdb, v17
	v_cmp_gt_f16_e64 s8, 0, v8
	v_cndmask_b32_e64 v8, v15, v18, s7
	v_cmp_gt_f16_e64 s7, 0, v9
	v_cndmask_b32_e64 v4, v10, v4, s4
	s_delay_alu instid0(VALU_DEP_3) | instskip(NEXT) | instid1(VALU_DEP_3)
	v_cndmask_b32_e64 v8, v12, v8, s3
	v_cndmask_b32_e64 v9, v19, v13, s7
	;; [unrolled: 1-line block ×3, first 2 shown]
	s_delay_alu instid0(VALU_DEP_4) | instskip(NEXT) | instid1(VALU_DEP_4)
	v_cvt_f16_f32_e32 v4, v4
	v_cvt_f16_f32_e32 v8, v8
	s_delay_alu instid0(VALU_DEP_4) | instskip(NEXT) | instid1(VALU_DEP_4)
	v_cndmask_b32_e64 v5, v5, v9, s5
	v_cndmask_b32_e64 v9, v11, v13, s6
	s_delay_alu instid0(VALU_DEP_2) | instskip(NEXT) | instid1(VALU_DEP_2)
	v_cvt_f16_f32_e32 v5, v5
	v_cvt_f16_f32_e32 v9, v9
	s_delay_alu instid0(VALU_DEP_2) | instskip(NEXT) | instid1(VALU_DEP_2)
	v_pack_b32_f16 v5, v8, v5
	v_pack_b32_f16 v4, v4, v9
	global_store_b64 v[6:7], v[4:5], off
	s_and_not1_b32 exec_lo, exec_lo, s22
	s_cbranch_execnz .LBB45_3
.LBB45_4:
	s_or_b32 exec_lo, exec_lo, s21
	s_mov_b32 s2, 0
.LBB45_5:
	s_delay_alu instid0(SALU_CYCLE_1)
	s_and_not1_b32 vcc_lo, exec_lo, s2
	s_cbranch_vccnz .LBB45_25
; %bb.6:
	v_cmp_lt_i64_e64 s2, s[12:13], 1
	s_delay_alu instid0(VALU_DEP_1)
	s_and_b32 vcc_lo, exec_lo, s2
	s_cbranch_vccnz .LBB45_25
; %bb.7:
	s_load_b32 s0, s[0:1], 0xc5c
	v_dual_mov_b32 v10, 0 :: v_dual_lshlrev_b32 v9, 1, v0
	v_cmp_gt_u64_e64 s1, 0x10000, s[12:13]
	s_mov_b64 s[6:7], 0
	s_delay_alu instid0(VALU_DEP_2) | instskip(NEXT) | instid1(VALU_DEP_1)
	v_add_co_u32 v1, s2, s14, v9
	v_add_co_ci_u32_e64 v2, null, s15, 0, s2
	v_add_co_u32 v3, s2, s16, v9
	s_delay_alu instid0(VALU_DEP_1)
	v_add_co_ci_u32_e64 v4, null, s17, 0, s2
	s_waitcnt lgkmcnt(0)
	s_and_b32 s0, s0, 0xffff
	s_and_b32 s1, s1, exec_lo
	v_mad_u64_u32 v[7:8], null, s0, 6, v[9:10]
	s_cselect_b32 s5, s13, 0
	s_cselect_b32 s4, s12, 0x10000
	s_lshl_b32 s1, s0, 1
	s_mul_i32 s2, s0, 3
	s_lshl_b32 s8, s0, 2
	s_lshl_b32 s9, s0, 3
	v_add_co_u32 v13, s0, v0, s0
	v_add_co_u32 v5, vcc_lo, s14, v7
	v_add_co_u32 v14, s3, s8, v9
	v_add_co_ci_u32_e32 v6, vcc_lo, s15, v8, vcc_lo
	s_delay_alu instid0(VALU_DEP_4)
	v_lshlrev_b32_e32 v21, 1, v13
	v_add_co_u32 v7, vcc_lo, s16, v7
	v_add_co_ci_u32_e64 v15, null, 0, 0, s3
	v_add_co_ci_u32_e32 v8, vcc_lo, s17, v8, vcc_lo
	v_add_co_ci_u32_e64 v16, null, 0, 0, s0
	v_add_co_u32 v17, s0, s1, v0
	v_add_co_u32 v11, vcc_lo, s14, v14
	v_add_co_ci_u32_e64 v18, null, 0, 0, s0
	v_add_co_u32 v19, s0, s14, v21
	v_add_co_ci_u32_e32 v12, vcc_lo, s15, v15, vcc_lo
	v_add_co_u32 v9, s2, s2, v0
	v_add_co_u32 v14, vcc_lo, s16, v14
	v_add_co_ci_u32_e64 v20, null, s15, 0, s0
	v_add_co_u32 v21, s0, s16, v21
	v_add_co_ci_u32_e64 v10, null, 0, 0, s2
	v_add_co_ci_u32_e32 v15, vcc_lo, s17, v15, vcc_lo
	v_add_co_ci_u32_e64 v22, null, s17, 0, s0
	s_mov_b32 s14, 0.5
	s_mov_b32 s15, -0.5
	s_mov_b32 s16, 0x3d1c21a7
	s_branch .LBB45_9
.LBB45_8:                               ;   in Loop: Header=BB45_9 Depth=1
	s_or_b32 exec_lo, exec_lo, s1
	v_add_co_u32 v1, vcc_lo, v1, s9
	v_add_co_ci_u32_e32 v2, vcc_lo, 0, v2, vcc_lo
	v_add_co_u32 v3, vcc_lo, v3, s9
	v_add_co_ci_u32_e32 v4, vcc_lo, 0, v4, vcc_lo
	;; [unrolled: 2-line block ×5, first 2 shown]
	s_add_u32 s6, s6, s8
	v_add_co_u32 v14, vcc_lo, v14, s9
	s_addc_u32 s7, s7, 0
	v_add_co_ci_u32_e32 v15, vcc_lo, 0, v15, vcc_lo
	v_cmp_ge_i64_e64 s0, s[6:7], s[12:13]
	v_cmp_lt_u64_e64 s1, 0xffff, s[6:7]
	v_add_co_u32 v19, vcc_lo, v19, s9
	v_add_co_ci_u32_e32 v20, vcc_lo, 0, v20, vcc_lo
	v_add_co_u32 v21, vcc_lo, v21, s9
	v_add_co_ci_u32_e32 v22, vcc_lo, 0, v22, vcc_lo
	s_or_b32 s0, s0, s1
	s_delay_alu instid0(SALU_CYCLE_1)
	s_and_b32 vcc_lo, exec_lo, s0
	s_cbranch_vccnz .LBB45_25
.LBB45_9:                               ; =>This Inner Loop Header: Depth=1
	s_waitcnt vmcnt(0)
	v_add_co_u32 v23, s0, v0, s6
	s_delay_alu instid0(VALU_DEP_1) | instskip(SKIP_1) | instid1(VALU_DEP_2)
	v_add_co_ci_u32_e64 v24, null, 0, s7, s0
	v_mov_b32_e32 v26, 0
	v_cmp_gt_u64_e64 s2, s[4:5], v[23:24]
	s_delay_alu instid0(VALU_DEP_1)
	s_and_saveexec_b32 s0, s2
	s_cbranch_execz .LBB45_11
; %bb.10:                               ;   in Loop: Header=BB45_9 Depth=1
	v_add_co_u32 v23, vcc_lo, v1, s10
	v_add_co_ci_u32_e32 v24, vcc_lo, s11, v2, vcc_lo
	global_load_u16 v26, v[23:24], off
.LBB45_11:                              ;   in Loop: Header=BB45_9 Depth=1
	s_or_b32 exec_lo, exec_lo, s0
	v_add_co_u32 v23, vcc_lo, v13, s6
	v_add_co_ci_u32_e32 v24, vcc_lo, s7, v16, vcc_lo
	v_mov_b32_e32 v25, 0
	s_delay_alu instid0(VALU_DEP_2) | instskip(NEXT) | instid1(VALU_DEP_1)
	v_cmp_gt_u64_e64 s1, s[4:5], v[23:24]
	s_and_saveexec_b32 s0, s1
	s_cbranch_execz .LBB45_13
; %bb.12:                               ;   in Loop: Header=BB45_9 Depth=1
	v_add_co_u32 v23, vcc_lo, v19, s10
	v_add_co_ci_u32_e32 v24, vcc_lo, s11, v20, vcc_lo
	global_load_u16 v25, v[23:24], off
.LBB45_13:                              ;   in Loop: Header=BB45_9 Depth=1
	s_or_b32 exec_lo, exec_lo, s0
	v_add_co_u32 v23, vcc_lo, v17, s6
	v_add_co_ci_u32_e32 v24, vcc_lo, s7, v18, vcc_lo
	s_delay_alu instid0(VALU_DEP_1) | instskip(SKIP_1) | instid1(VALU_DEP_2)
	v_cmp_gt_u64_e64 s0, s[4:5], v[23:24]
	v_dual_mov_b32 v23, 0 :: v_dual_mov_b32 v24, 0
	s_and_saveexec_b32 s3, s0
	s_cbranch_execz .LBB45_15
; %bb.14:                               ;   in Loop: Header=BB45_9 Depth=1
	v_add_co_u32 v27, vcc_lo, v11, s10
	v_add_co_ci_u32_e32 v28, vcc_lo, s11, v12, vcc_lo
	global_load_u16 v24, v[27:28], off
.LBB45_15:                              ;   in Loop: Header=BB45_9 Depth=1
	s_or_b32 exec_lo, exec_lo, s3
	v_add_co_u32 v27, vcc_lo, v9, s6
	v_add_co_ci_u32_e32 v28, vcc_lo, s7, v10, vcc_lo
	s_delay_alu instid0(VALU_DEP_1)
	v_cmp_gt_u64_e32 vcc_lo, s[4:5], v[27:28]
	s_and_saveexec_b32 s17, vcc_lo
	s_cbranch_execnz .LBB45_20
; %bb.16:                               ;   in Loop: Header=BB45_9 Depth=1
	s_or_b32 exec_lo, exec_lo, s17
	s_and_saveexec_b32 s17, s2
	s_cbranch_execnz .LBB45_21
.LBB45_17:                              ;   in Loop: Header=BB45_9 Depth=1
	s_or_b32 exec_lo, exec_lo, s17
	s_and_saveexec_b32 s3, s1
	s_cbranch_execnz .LBB45_22
.LBB45_18:                              ;   in Loop: Header=BB45_9 Depth=1
	s_or_b32 exec_lo, exec_lo, s3
	s_and_saveexec_b32 s2, s0
	s_cbranch_execnz .LBB45_23
.LBB45_19:                              ;   in Loop: Header=BB45_9 Depth=1
	s_or_b32 exec_lo, exec_lo, s2
	s_and_saveexec_b32 s1, vcc_lo
	s_cbranch_execz .LBB45_8
	s_branch .LBB45_24
.LBB45_20:                              ;   in Loop: Header=BB45_9 Depth=1
	v_add_co_u32 v27, s3, v5, s10
	s_delay_alu instid0(VALU_DEP_1)
	v_add_co_ci_u32_e64 v28, s3, s11, v6, s3
	global_load_u16 v23, v[27:28], off
	s_or_b32 exec_lo, exec_lo, s17
	s_and_saveexec_b32 s17, s2
	s_cbranch_execz .LBB45_17
.LBB45_21:                              ;   in Loop: Header=BB45_9 Depth=1
	s_waitcnt vmcnt(0)
	v_cvt_f32_f16_e32 v27, v26
	v_fma_mix_f32 v28, |v26|, s15, s14 op_sel_hi:[1,0,0]
	v_cmp_gt_f16_e64 s3, 0, v26
	s_delay_alu instid0(VALU_DEP_3) | instskip(SKIP_1) | instid1(VALU_DEP_1)
	v_mul_f32_e32 v29, v27, v27
	v_cmp_gt_f32_e64 s2, |v27|, 0.5
	v_cndmask_b32_e64 v27, v29, v28, s2
	s_delay_alu instid0(VALU_DEP_1) | instskip(SKIP_1) | instid1(VALU_DEP_1)
	v_fmaak_f32 v28, s16, v27, 0x3c5fc5da
	v_sqrt_f32_e32 v29, v27
	v_fmaak_f32 v28, v27, v28, 0x3d034c3c
	s_delay_alu instid0(VALU_DEP_1) | instskip(NEXT) | instid1(VALU_DEP_1)
	v_fmaak_f32 v28, v27, v28, 0x3d3641b1
	v_fmaak_f32 v28, v27, v28, 0x3d999bc8
	s_delay_alu instid0(VALU_DEP_1) | instskip(NEXT) | instid1(VALU_DEP_1)
	v_fmaak_f32 v28, v27, v28, 0x3e2aaaac
	v_mul_f32_e32 v27, v27, v28
	s_waitcnt_depctr 0xfff
	v_fmac_f32_e32 v29, v29, v27
	s_delay_alu instid0(VALU_DEP_1) | instskip(SKIP_1) | instid1(VALU_DEP_2)
	v_add_f32_e32 v28, v29, v29
	v_fma_mix_f32 v27, v26, v27, v26 op_sel_hi:[1,0,1]
	v_sub_f32_e32 v29, 0x40490fdb, v28
	s_delay_alu instid0(VALU_DEP_2) | instskip(NEXT) | instid1(VALU_DEP_2)
	v_sub_f32_e32 v27, 0x3fc90fdb, v27
	v_cndmask_b32_e64 v26, v28, v29, s3
	s_delay_alu instid0(VALU_DEP_1) | instskip(NEXT) | instid1(VALU_DEP_1)
	v_cndmask_b32_e64 v26, v27, v26, s2
	v_cvt_f16_f32_e32 v28, v26
	v_add_co_u32 v26, s2, v3, s10
	s_delay_alu instid0(VALU_DEP_1)
	v_add_co_ci_u32_e64 v27, s2, s11, v4, s2
	global_store_b16 v[26:27], v28, off
	s_or_b32 exec_lo, exec_lo, s17
	s_and_saveexec_b32 s3, s1
	s_cbranch_execz .LBB45_18
.LBB45_22:                              ;   in Loop: Header=BB45_9 Depth=1
	s_waitcnt vmcnt(0)
	v_cvt_f32_f16_e32 v26, v25
	v_fma_mix_f32 v27, |v25|, s15, s14 op_sel_hi:[1,0,0]
	v_cmp_gt_f16_e64 s2, 0, v25
	s_delay_alu instid0(VALU_DEP_3) | instskip(SKIP_1) | instid1(VALU_DEP_1)
	v_mul_f32_e32 v28, v26, v26
	v_cmp_gt_f32_e64 s1, |v26|, 0.5
	v_cndmask_b32_e64 v26, v28, v27, s1
	s_delay_alu instid0(VALU_DEP_1) | instskip(SKIP_1) | instid1(VALU_DEP_1)
	v_fmaak_f32 v27, s16, v26, 0x3c5fc5da
	v_sqrt_f32_e32 v28, v26
	v_fmaak_f32 v27, v26, v27, 0x3d034c3c
	s_delay_alu instid0(VALU_DEP_1) | instskip(NEXT) | instid1(VALU_DEP_1)
	v_fmaak_f32 v27, v26, v27, 0x3d3641b1
	v_fmaak_f32 v27, v26, v27, 0x3d999bc8
	s_delay_alu instid0(VALU_DEP_1) | instskip(NEXT) | instid1(VALU_DEP_1)
	v_fmaak_f32 v27, v26, v27, 0x3e2aaaac
	v_mul_f32_e32 v26, v26, v27
	s_waitcnt_depctr 0xfff
	v_fmac_f32_e32 v28, v28, v26
	s_delay_alu instid0(VALU_DEP_1) | instskip(SKIP_1) | instid1(VALU_DEP_2)
	v_add_f32_e32 v27, v28, v28
	v_fma_mix_f32 v26, v25, v26, v25 op_sel_hi:[1,0,1]
	v_sub_f32_e32 v28, 0x40490fdb, v27
	s_delay_alu instid0(VALU_DEP_2) | instskip(NEXT) | instid1(VALU_DEP_2)
	v_sub_f32_e32 v26, 0x3fc90fdb, v26
	v_cndmask_b32_e64 v25, v27, v28, s2
	s_delay_alu instid0(VALU_DEP_1) | instskip(NEXT) | instid1(VALU_DEP_1)
	v_cndmask_b32_e64 v25, v26, v25, s1
	v_cvt_f16_f32_e32 v27, v25
	v_add_co_u32 v25, s1, v21, s10
	s_delay_alu instid0(VALU_DEP_1)
	v_add_co_ci_u32_e64 v26, s1, s11, v22, s1
	global_store_b16 v[25:26], v27, off
	s_or_b32 exec_lo, exec_lo, s3
	s_and_saveexec_b32 s2, s0
	s_cbranch_execz .LBB45_19
.LBB45_23:                              ;   in Loop: Header=BB45_9 Depth=1
	s_waitcnt vmcnt(0)
	v_cvt_f32_f16_e32 v25, v24
	v_fma_mix_f32 v26, |v24|, s15, s14 op_sel_hi:[1,0,0]
	v_cmp_gt_f16_e64 s1, 0, v24
	s_delay_alu instid0(VALU_DEP_3) | instskip(SKIP_1) | instid1(VALU_DEP_1)
	v_mul_f32_e32 v27, v25, v25
	v_cmp_gt_f32_e64 s0, |v25|, 0.5
	v_cndmask_b32_e64 v25, v27, v26, s0
	s_delay_alu instid0(VALU_DEP_1) | instskip(SKIP_1) | instid1(VALU_DEP_1)
	v_fmaak_f32 v26, s16, v25, 0x3c5fc5da
	v_sqrt_f32_e32 v27, v25
	v_fmaak_f32 v26, v25, v26, 0x3d034c3c
	s_delay_alu instid0(VALU_DEP_1) | instskip(NEXT) | instid1(VALU_DEP_1)
	v_fmaak_f32 v26, v25, v26, 0x3d3641b1
	v_fmaak_f32 v26, v25, v26, 0x3d999bc8
	s_delay_alu instid0(VALU_DEP_1) | instskip(NEXT) | instid1(VALU_DEP_1)
	v_fmaak_f32 v26, v25, v26, 0x3e2aaaac
	v_mul_f32_e32 v25, v25, v26
	s_waitcnt_depctr 0xfff
	v_fmac_f32_e32 v27, v27, v25
	s_delay_alu instid0(VALU_DEP_1) | instskip(SKIP_1) | instid1(VALU_DEP_2)
	v_add_f32_e32 v26, v27, v27
	v_fma_mix_f32 v25, v24, v25, v24 op_sel_hi:[1,0,1]
	v_sub_f32_e32 v27, 0x40490fdb, v26
	s_delay_alu instid0(VALU_DEP_2) | instskip(NEXT) | instid1(VALU_DEP_2)
	v_sub_f32_e32 v25, 0x3fc90fdb, v25
	v_cndmask_b32_e64 v24, v26, v27, s1
	s_delay_alu instid0(VALU_DEP_1) | instskip(NEXT) | instid1(VALU_DEP_1)
	v_cndmask_b32_e64 v24, v25, v24, s0
	v_cvt_f16_f32_e32 v26, v24
	v_add_co_u32 v24, s0, v14, s10
	s_delay_alu instid0(VALU_DEP_1)
	v_add_co_ci_u32_e64 v25, s0, s11, v15, s0
	global_store_b16 v[24:25], v26, off
	s_or_b32 exec_lo, exec_lo, s2
	s_and_saveexec_b32 s1, vcc_lo
	s_cbranch_execz .LBB45_8
.LBB45_24:                              ;   in Loop: Header=BB45_9 Depth=1
	s_waitcnt vmcnt(0)
	v_cvt_f32_f16_e32 v24, v23
	v_fma_mix_f32 v25, |v23|, s15, s14 op_sel_hi:[1,0,0]
	v_cmp_gt_f16_e64 s0, 0, v23
	s_delay_alu instid0(VALU_DEP_3) | instskip(SKIP_1) | instid1(VALU_DEP_2)
	v_mul_f32_e32 v26, v24, v24
	v_cmp_gt_f32_e64 vcc_lo, |v24|, 0.5
	v_cndmask_b32_e32 v24, v26, v25, vcc_lo
	s_delay_alu instid0(VALU_DEP_1) | instskip(SKIP_1) | instid1(VALU_DEP_1)
	v_fmaak_f32 v25, s16, v24, 0x3c5fc5da
	v_sqrt_f32_e32 v26, v24
	v_fmaak_f32 v25, v24, v25, 0x3d034c3c
	s_delay_alu instid0(VALU_DEP_1) | instskip(NEXT) | instid1(VALU_DEP_1)
	v_fmaak_f32 v25, v24, v25, 0x3d3641b1
	v_fmaak_f32 v25, v24, v25, 0x3d999bc8
	s_delay_alu instid0(VALU_DEP_1) | instskip(NEXT) | instid1(VALU_DEP_1)
	v_fmaak_f32 v25, v24, v25, 0x3e2aaaac
	v_mul_f32_e32 v24, v24, v25
	s_waitcnt_depctr 0xfff
	v_fmac_f32_e32 v26, v26, v24
	s_delay_alu instid0(VALU_DEP_1) | instskip(SKIP_1) | instid1(VALU_DEP_1)
	v_add_f32_e32 v25, v26, v26
	v_fma_mix_f32 v24, v23, v24, v23 op_sel_hi:[1,0,1]
	v_sub_f32_e32 v24, 0x3fc90fdb, v24
	s_delay_alu instid0(VALU_DEP_3) | instskip(NEXT) | instid1(VALU_DEP_1)
	v_sub_f32_e32 v26, 0x40490fdb, v25
	v_cndmask_b32_e64 v23, v25, v26, s0
	s_delay_alu instid0(VALU_DEP_1) | instskip(NEXT) | instid1(VALU_DEP_1)
	v_cndmask_b32_e32 v23, v24, v23, vcc_lo
	v_cvt_f16_f32_e32 v25, v23
	v_add_co_u32 v23, vcc_lo, v7, s10
	v_add_co_ci_u32_e32 v24, vcc_lo, s11, v8, vcc_lo
	global_store_b16 v[23:24], v25, off
	s_branch .LBB45_8
.LBB45_25:
	s_nop 0
	s_sendmsg sendmsg(MSG_DEALLOC_VGPRS)
	s_endpgm
	.section	.rodata,"a",@progbits
	.p2align	6, 0x0
	.amdhsa_kernel _ZN2at6native12_GLOBAL__N_125multi_tensor_apply_kernelINS1_18TensorListMetadataILi2EEENS1_14UnaryOpFunctorIN3c104HalfELi2ELi1ELi1EEEJNS0_4AcosIfEEEEEvT_T0_DpT1_
		.amdhsa_group_segment_fixed_size 0
		.amdhsa_private_segment_fixed_size 0
		.amdhsa_kernarg_size 3408
		.amdhsa_user_sgpr_count 15
		.amdhsa_user_sgpr_dispatch_ptr 0
		.amdhsa_user_sgpr_queue_ptr 0
		.amdhsa_user_sgpr_kernarg_segment_ptr 1
		.amdhsa_user_sgpr_dispatch_id 0
		.amdhsa_user_sgpr_private_segment_size 0
		.amdhsa_wavefront_size32 1
		.amdhsa_uses_dynamic_stack 0
		.amdhsa_enable_private_segment 0
		.amdhsa_system_sgpr_workgroup_id_x 1
		.amdhsa_system_sgpr_workgroup_id_y 0
		.amdhsa_system_sgpr_workgroup_id_z 0
		.amdhsa_system_sgpr_workgroup_info 0
		.amdhsa_system_vgpr_workitem_id 0
		.amdhsa_next_free_vgpr 30
		.amdhsa_next_free_sgpr 28
		.amdhsa_reserve_vcc 1
		.amdhsa_float_round_mode_32 0
		.amdhsa_float_round_mode_16_64 0
		.amdhsa_float_denorm_mode_32 3
		.amdhsa_float_denorm_mode_16_64 3
		.amdhsa_dx10_clamp 1
		.amdhsa_ieee_mode 1
		.amdhsa_fp16_overflow 0
		.amdhsa_workgroup_processor_mode 1
		.amdhsa_memory_ordered 1
		.amdhsa_forward_progress 0
		.amdhsa_shared_vgpr_count 0
		.amdhsa_exception_fp_ieee_invalid_op 0
		.amdhsa_exception_fp_denorm_src 0
		.amdhsa_exception_fp_ieee_div_zero 0
		.amdhsa_exception_fp_ieee_overflow 0
		.amdhsa_exception_fp_ieee_underflow 0
		.amdhsa_exception_fp_ieee_inexact 0
		.amdhsa_exception_int_div_zero 0
	.end_amdhsa_kernel
	.section	.text._ZN2at6native12_GLOBAL__N_125multi_tensor_apply_kernelINS1_18TensorListMetadataILi2EEENS1_14UnaryOpFunctorIN3c104HalfELi2ELi1ELi1EEEJNS0_4AcosIfEEEEEvT_T0_DpT1_,"axG",@progbits,_ZN2at6native12_GLOBAL__N_125multi_tensor_apply_kernelINS1_18TensorListMetadataILi2EEENS1_14UnaryOpFunctorIN3c104HalfELi2ELi1ELi1EEEJNS0_4AcosIfEEEEEvT_T0_DpT1_,comdat
.Lfunc_end45:
	.size	_ZN2at6native12_GLOBAL__N_125multi_tensor_apply_kernelINS1_18TensorListMetadataILi2EEENS1_14UnaryOpFunctorIN3c104HalfELi2ELi1ELi1EEEJNS0_4AcosIfEEEEEvT_T0_DpT1_, .Lfunc_end45-_ZN2at6native12_GLOBAL__N_125multi_tensor_apply_kernelINS1_18TensorListMetadataILi2EEENS1_14UnaryOpFunctorIN3c104HalfELi2ELi1ELi1EEEJNS0_4AcosIfEEEEEvT_T0_DpT1_
                                        ; -- End function
	.section	.AMDGPU.csdata,"",@progbits
; Kernel info:
; codeLenInByte = 2696
; NumSgprs: 30
; NumVgprs: 30
; ScratchSize: 0
; MemoryBound: 0
; FloatMode: 240
; IeeeMode: 1
; LDSByteSize: 0 bytes/workgroup (compile time only)
; SGPRBlocks: 3
; VGPRBlocks: 3
; NumSGPRsForWavesPerEU: 30
; NumVGPRsForWavesPerEU: 30
; Occupancy: 16
; WaveLimiterHint : 0
; COMPUTE_PGM_RSRC2:SCRATCH_EN: 0
; COMPUTE_PGM_RSRC2:USER_SGPR: 15
; COMPUTE_PGM_RSRC2:TRAP_HANDLER: 0
; COMPUTE_PGM_RSRC2:TGID_X_EN: 1
; COMPUTE_PGM_RSRC2:TGID_Y_EN: 0
; COMPUTE_PGM_RSRC2:TGID_Z_EN: 0
; COMPUTE_PGM_RSRC2:TIDIG_COMP_CNT: 0
	.section	.text._ZN2at6native12_GLOBAL__N_125multi_tensor_apply_kernelINS1_18TensorListMetadataILi2EEENS1_14UnaryOpFunctorIN3c108BFloat16ELi2ELi1ELi1EEEJNS0_4AcosIfEEEEEvT_T0_DpT1_,"axG",@progbits,_ZN2at6native12_GLOBAL__N_125multi_tensor_apply_kernelINS1_18TensorListMetadataILi2EEENS1_14UnaryOpFunctorIN3c108BFloat16ELi2ELi1ELi1EEEJNS0_4AcosIfEEEEEvT_T0_DpT1_,comdat
	.globl	_ZN2at6native12_GLOBAL__N_125multi_tensor_apply_kernelINS1_18TensorListMetadataILi2EEENS1_14UnaryOpFunctorIN3c108BFloat16ELi2ELi1ELi1EEEJNS0_4AcosIfEEEEEvT_T0_DpT1_ ; -- Begin function _ZN2at6native12_GLOBAL__N_125multi_tensor_apply_kernelINS1_18TensorListMetadataILi2EEENS1_14UnaryOpFunctorIN3c108BFloat16ELi2ELi1ELi1EEEJNS0_4AcosIfEEEEEvT_T0_DpT1_
	.p2align	8
	.type	_ZN2at6native12_GLOBAL__N_125multi_tensor_apply_kernelINS1_18TensorListMetadataILi2EEENS1_14UnaryOpFunctorIN3c108BFloat16ELi2ELi1ELi1EEEJNS0_4AcosIfEEEEEvT_T0_DpT1_,@function
_ZN2at6native12_GLOBAL__N_125multi_tensor_apply_kernelINS1_18TensorListMetadataILi2EEENS1_14UnaryOpFunctorIN3c108BFloat16ELi2ELi1ELi1EEEJNS0_4AcosIfEEEEEvT_T0_DpT1_: ; @_ZN2at6native12_GLOBAL__N_125multi_tensor_apply_kernelINS1_18TensorListMetadataILi2EEENS1_14UnaryOpFunctorIN3c108BFloat16ELi2ELi1ELi1EEEJNS0_4AcosIfEEEEEvT_T0_DpT1_
; %bb.0:
	v_mov_b32_e32 v1, s15
	s_add_u32 s2, s0, s15
	s_mul_hi_u32 s3, s15, 3
	s_mul_i32 s15, s15, 3
	s_addc_u32 s4, s1, 0
	global_load_u8 v1, v1, s[0:1] offset:1536
	s_add_u32 s2, s2, s15
	s_addc_u32 s3, s4, s3
	s_mov_b32 s7, 0
	s_load_b32 s2, s[2:3], 0x740
	s_mov_b32 s11, s7
	s_mov_b32 s9, s7
	s_waitcnt vmcnt(0)
	v_readfirstlane_b32 s5, v1
	s_delay_alu instid0(VALU_DEP_1)
	s_lshl_b32 s3, s5, 3
	s_clause 0x2
	s_load_b64 s[16:17], s[0:1], s3 offset:0x0
	s_load_b64 s[18:19], s[0:1], s3 offset:0x200
	s_load_b64 s[4:5], s[0:1], s3 offset:0x400
	s_waitcnt lgkmcnt(0)
	s_ashr_i32 s3, s2, 31
	s_delay_alu instid0(SALU_CYCLE_1) | instskip(SKIP_4) | instid1(SALU_CYCLE_1)
	s_lshl_b64 s[12:13], s[2:3], 17
	s_lshl_b64 s[2:3], s[2:3], 16
	s_and_b32 s6, s16, 7
	s_and_b32 s8, s18, 7
	s_and_b32 s10, s4, 3
	s_or_b64 s[6:7], s[6:7], s[10:11]
	s_delay_alu instid0(SALU_CYCLE_1)
	s_or_b64 s[6:7], s[8:9], s[6:7]
	s_sub_u32 s14, s4, s2
	s_subb_u32 s15, s5, s3
	s_cmp_eq_u64 s[6:7], 0
	s_mov_b32 s2, -1
	s_cbranch_scc0 .LBB46_5
; %bb.1:
	v_dual_mov_b32 v2, 0 :: v_dual_lshlrev_b32 v1, 2, v0
	s_mov_b32 s11, exec_lo
	s_delay_alu instid0(VALU_DEP_1)
	v_cmpx_gt_i64_e64 s[14:15], v[1:2]
	s_cbranch_execz .LBB46_4
; %bb.2:
	s_load_b32 s2, s[0:1], 0xc5c
	v_lshlrev_b32_e32 v1, 3, v0
	s_mov_b32 s20, 0
	s_mov_b32 s23, 0x3d1c21a7
	s_delay_alu instid0(VALU_DEP_1) | instskip(NEXT) | instid1(VALU_DEP_1)
	v_add_co_u32 v3, s3, s12, v1
	v_add_co_ci_u32_e64 v4, null, s13, 0, s3
	s_waitcnt lgkmcnt(0)
	s_and_b32 s2, s2, 0xffff
	s_delay_alu instid0(SALU_CYCLE_1)
	v_add_lshl_u32 v1, v0, s2, 2
	s_lshl_b32 s21, s2, 3
	s_lshl_b32 s22, s2, 2
.LBB46_3:                               ; =>This Inner Loop Header: Depth=1
	v_add_co_u32 v5, vcc_lo, s16, v3
	v_add_co_ci_u32_e32 v6, vcc_lo, s17, v4, vcc_lo
	v_add_co_u32 v7, vcc_lo, s18, v3
	v_add_co_ci_u32_e32 v8, vcc_lo, s19, v4, vcc_lo
	global_load_b64 v[5:6], v[5:6], off
	v_cmp_le_i64_e32 vcc_lo, s[14:15], v[1:2]
	v_cmp_lt_u64_e64 s2, 0xffff, v[1:2]
	v_add_co_u32 v3, s3, v3, s21
	s_delay_alu instid0(VALU_DEP_1) | instskip(SKIP_1) | instid1(VALU_DEP_4)
	v_add_co_ci_u32_e64 v4, s3, 0, v4, s3
	v_add_co_u32 v1, s3, v1, s22
	s_or_b32 s2, vcc_lo, s2
	v_add_co_ci_u32_e64 v2, s3, 0, v2, s3
	s_and_b32 s2, exec_lo, s2
	s_delay_alu instid0(SALU_CYCLE_1) | instskip(SKIP_4) | instid1(VALU_DEP_3)
	s_or_b32 s20, s2, s20
	s_waitcnt vmcnt(0)
	v_and_b32_e32 v10, 0xffff0000, v5
	v_lshlrev_b32_e32 v9, 16, v5
	v_alignbit_b32 v5, v6, v5, 16
	v_mul_f32_e32 v14, v10, v10
	s_delay_alu instid0(VALU_DEP_3) | instskip(SKIP_3) | instid1(VALU_DEP_2)
	v_fma_f32 v11, |v9|, -0.5, 0.5
	v_mul_f32_e32 v12, v9, v9
	v_cmp_gt_f32_e64 s6, |v9|, 0.5
	v_cmp_gt_f32_e64 s8, 0, v9
	v_cndmask_b32_e64 v11, v12, v11, s6
	s_delay_alu instid0(VALU_DEP_1) | instskip(SKIP_1) | instid1(VALU_DEP_1)
	v_sqrt_f32_e32 v17, v11
	v_and_b32_e32 v6, 0xffff0000, v6
	v_dual_mul_f32 v16, v6, v6 :: v_dual_and_b32 v5, 0xffff0000, v5
	v_fma_f32 v15, |v6|, -0.5, 0.5
	v_cmp_gt_f32_e64 s5, |v6|, 0.5
	s_delay_alu instid0(VALU_DEP_3) | instskip(NEXT) | instid1(VALU_DEP_2)
	v_cmp_gt_f32_e64 s7, |v5|, 0.5
	v_cndmask_b32_e64 v15, v16, v15, s5
	v_fmaak_f32 v16, s23, v11, 0x3c5fc5da
	s_delay_alu instid0(VALU_DEP_2) | instskip(NEXT) | instid1(VALU_DEP_1)
	v_sqrt_f32_e32 v20, v15
	v_fmaak_f32 v16, v11, v16, 0x3d034c3c
	s_delay_alu instid0(VALU_DEP_1) | instskip(NEXT) | instid1(VALU_DEP_1)
	v_fmaak_f32 v16, v11, v16, 0x3d3641b1
	v_fmaak_f32 v16, v11, v16, 0x3d999bc8
	s_delay_alu instid0(VALU_DEP_1) | instskip(NEXT) | instid1(VALU_DEP_1)
	v_fmaak_f32 v16, v11, v16, 0x3e2aaaac
	v_mul_f32_e32 v11, v11, v16
	v_fma_f32 v13, |v10|, -0.5, 0.5
	v_cmp_gt_f32_e64 s4, |v10|, 0.5
	v_cmp_gt_f32_e64 s9, 0, v10
	s_delay_alu instid0(VALU_DEP_4) | instskip(SKIP_1) | instid1(VALU_DEP_4)
	v_fmac_f32_e32 v17, v17, v11
	v_cmp_gt_f32_e64 s10, 0, v6
	v_cndmask_b32_e64 v12, v14, v13, s4
	v_fmac_f32_e32 v9, v9, v11
	v_fma_f32 v13, |v5|, -0.5, 0.5
	s_delay_alu instid0(VALU_DEP_3) | instskip(SKIP_1) | instid1(VALU_DEP_3)
	v_fmaak_f32 v18, s23, v12, 0x3c5fc5da
	v_sqrt_f32_e32 v19, v12
	v_sub_f32_e32 v9, 0x3fc90fdb, v9
	s_delay_alu instid0(VALU_DEP_2) | instskip(NEXT) | instid1(VALU_DEP_1)
	v_fmaak_f32 v18, v12, v18, 0x3d034c3c
	v_fmaak_f32 v18, v12, v18, 0x3d3641b1
	s_delay_alu instid0(VALU_DEP_1) | instskip(NEXT) | instid1(VALU_DEP_1)
	v_fmaak_f32 v18, v12, v18, 0x3d999bc8
	v_fmaak_f32 v18, v12, v18, 0x3e2aaaac
	s_delay_alu instid0(VALU_DEP_1)
	v_mul_f32_e32 v12, v12, v18
	s_delay_alu instid0(TRANS32_DEP_1) | instid1(VALU_DEP_1)
	v_dual_mul_f32 v14, v5, v5 :: v_dual_fmac_f32 v19, v19, v12
	s_delay_alu instid0(VALU_DEP_1) | instskip(NEXT) | instid1(VALU_DEP_1)
	v_cndmask_b32_e64 v13, v14, v13, s7
	v_fmaak_f32 v21, s23, v13, 0x3c5fc5da
	v_sqrt_f32_e32 v22, v13
	s_delay_alu instid0(VALU_DEP_1) | instskip(NEXT) | instid1(VALU_DEP_1)
	v_fmaak_f32 v21, v13, v21, 0x3d034c3c
	v_fmaak_f32 v21, v13, v21, 0x3d3641b1
	s_delay_alu instid0(VALU_DEP_1) | instskip(NEXT) | instid1(VALU_DEP_1)
	v_fmaak_f32 v21, v13, v21, 0x3d999bc8
	v_fmaak_f32 v16, v13, v21, 0x3e2aaaac
	s_delay_alu instid0(VALU_DEP_1) | instskip(NEXT) | instid1(VALU_DEP_1)
	v_dual_fmaak_f32 v14, s23, v15, 0x3c5fc5da :: v_dual_mul_f32 v13, v13, v16
	v_fmaak_f32 v14, v15, v14, 0x3d034c3c
	v_add_f32_e32 v16, v19, v19
	s_delay_alu instid0(TRANS32_DEP_1) | instid1(VALU_DEP_3)
	v_fmac_f32_e32 v22, v22, v13
	s_delay_alu instid0(VALU_DEP_3) | instskip(NEXT) | instid1(VALU_DEP_3)
	v_fmaak_f32 v14, v15, v14, 0x3d3641b1
	v_sub_f32_e32 v11, 0x40490fdb, v16
	s_delay_alu instid0(VALU_DEP_2) | instskip(NEXT) | instid1(VALU_DEP_1)
	v_fmaak_f32 v14, v15, v14, 0x3d999bc8
	v_fmaak_f32 v14, v15, v14, 0x3e2aaaac
	s_delay_alu instid0(VALU_DEP_1) | instskip(NEXT) | instid1(VALU_DEP_1)
	v_dual_mul_f32 v14, v15, v14 :: v_dual_add_f32 v15, v17, v17
	v_fmac_f32_e32 v20, v20, v14
	s_delay_alu instid0(VALU_DEP_1) | instskip(NEXT) | instid1(VALU_DEP_1)
	v_dual_sub_f32 v18, 0x40490fdb, v15 :: v_dual_add_f32 v17, v20, v20
	v_dual_sub_f32 v19, 0x40490fdb, v17 :: v_dual_fmac_f32 v6, v6, v14
	s_delay_alu instid0(VALU_DEP_2) | instskip(SKIP_2) | instid1(VALU_DEP_4)
	v_cndmask_b32_e64 v14, v15, v18, s8
	v_cmp_gt_f32_e64 s8, 0, v5
	v_fmac_f32_e32 v5, v5, v13
	v_cndmask_b32_e64 v13, v17, v19, s10
	v_sub_f32_e32 v6, 0x3fc90fdb, v6
	v_fmac_f32_e32 v10, v10, v12
	v_cndmask_b32_e64 v9, v9, v14, s6
	v_sub_f32_e32 v5, 0x3fc90fdb, v5
	s_delay_alu instid0(VALU_DEP_4) | instskip(NEXT) | instid1(VALU_DEP_4)
	v_cndmask_b32_e64 v6, v6, v13, s5
	v_sub_f32_e32 v10, 0x3fc90fdb, v10
	s_delay_alu instid0(VALU_DEP_2) | instskip(NEXT) | instid1(VALU_DEP_1)
	v_bfe_u32 v13, v6, 16, 1
	v_add3_u32 v13, v6, v13, 0x7fff
	s_delay_alu instid0(VALU_DEP_1) | instskip(NEXT) | instid1(VALU_DEP_1)
	v_dual_add_f32 v12, v22, v22 :: v_dual_and_b32 v13, 0xffff0000, v13
	v_sub_f32_e32 v15, 0x40490fdb, v12
	v_cndmask_b32_e64 v11, v16, v11, s9
	s_delay_alu instid0(VALU_DEP_2) | instskip(NEXT) | instid1(VALU_DEP_2)
	v_cndmask_b32_e64 v12, v12, v15, s8
	v_cndmask_b32_e64 v10, v10, v11, s4
	v_bfe_u32 v11, v9, 16, 1
	v_cmp_o_f32_e64 s4, v9, v9
	s_delay_alu instid0(VALU_DEP_4) | instskip(NEXT) | instid1(VALU_DEP_4)
	v_cndmask_b32_e64 v5, v5, v12, s7
	v_bfe_u32 v12, v10, 16, 1
	s_delay_alu instid0(VALU_DEP_4) | instskip(SKIP_1) | instid1(VALU_DEP_4)
	v_add3_u32 v11, v9, v11, 0x7fff
	v_cmp_o_f32_e64 s5, v10, v10
	v_bfe_u32 v14, v5, 16, 1
	s_delay_alu instid0(VALU_DEP_4) | instskip(NEXT) | instid1(VALU_DEP_4)
	v_add3_u32 v12, v10, v12, 0x7fff
	v_lshrrev_b32_e32 v11, 16, v11
	s_delay_alu instid0(VALU_DEP_3) | instskip(NEXT) | instid1(VALU_DEP_3)
	v_add3_u32 v14, v5, v14, 0x7fff
	v_and_b32_e32 v12, 0xffff0000, v12
	s_delay_alu instid0(VALU_DEP_3) | instskip(SKIP_1) | instid1(VALU_DEP_4)
	v_cndmask_b32_e64 v11, 0x7fc0, v11, s4
	v_cmp_o_f32_e64 s4, v6, v6
	v_lshrrev_b32_e32 v9, 16, v14
	s_delay_alu instid0(VALU_DEP_4) | instskip(NEXT) | instid1(VALU_DEP_3)
	v_cndmask_b32_e64 v10, 0x7fc00000, v12, s5
	v_cndmask_b32_e64 v6, 0x7fc00000, v13, s4
	v_cmp_o_f32_e64 s4, v5, v5
	s_delay_alu instid0(VALU_DEP_1) | instskip(NEXT) | instid1(VALU_DEP_4)
	v_cndmask_b32_e64 v5, 0x7fc0, v9, s4
	v_or_b32_e32 v9, v11, v10
	s_delay_alu instid0(VALU_DEP_2) | instskip(NEXT) | instid1(VALU_DEP_2)
	v_or3_b32 v6, 0, v5, v6
	v_or3_b32 v5, v9, 0, 0
	global_store_b64 v[7:8], v[5:6], off
	s_and_not1_b32 exec_lo, exec_lo, s20
	s_cbranch_execnz .LBB46_3
.LBB46_4:
	s_or_b32 exec_lo, exec_lo, s11
	s_mov_b32 s2, 0
.LBB46_5:
	s_delay_alu instid0(SALU_CYCLE_1)
	s_and_not1_b32 vcc_lo, exec_lo, s2
	s_cbranch_vccnz .LBB46_25
; %bb.6:
	v_cmp_lt_i64_e64 s2, s[14:15], 1
	s_delay_alu instid0(VALU_DEP_1)
	s_and_b32 vcc_lo, exec_lo, s2
	s_cbranch_vccnz .LBB46_25
; %bb.7:
	s_load_b32 s0, s[0:1], 0xc5c
	v_dual_mov_b32 v10, 0 :: v_dual_lshlrev_b32 v9, 1, v0
	v_cmp_gt_u64_e64 s1, 0x10000, s[14:15]
	s_mov_b64 s[6:7], 0
	s_mov_b32 s10, 0x3d1c21a7
	s_delay_alu instid0(VALU_DEP_2) | instskip(NEXT) | instid1(VALU_DEP_1)
	v_add_co_u32 v1, s2, s16, v9
	v_add_co_ci_u32_e64 v2, null, s17, 0, s2
	v_add_co_u32 v3, s2, s18, v9
	s_delay_alu instid0(VALU_DEP_1)
	v_add_co_ci_u32_e64 v4, null, s19, 0, s2
	s_waitcnt lgkmcnt(0)
	s_and_b32 s0, s0, 0xffff
	s_and_b32 s1, s1, exec_lo
	v_mad_u64_u32 v[7:8], null, s0, 6, v[9:10]
	s_cselect_b32 s5, s15, 0
	s_cselect_b32 s4, s14, 0x10000
	s_mul_i32 s2, s0, 3
	s_lshl_b32 s8, s0, 2
	s_lshl_b32 s1, s0, 1
	v_add_co_u32 v14, s3, s8, v9
	v_add_co_u32 v9, s2, s2, v0
	s_delay_alu instid0(VALU_DEP_1) | instskip(SKIP_3) | instid1(VALU_DEP_3)
	v_add_co_ci_u32_e64 v10, null, 0, 0, s2
	v_add_co_u32 v13, s2, v0, s0
	v_add_co_u32 v5, vcc_lo, s16, v7
	v_add_co_ci_u32_e32 v6, vcc_lo, s17, v8, vcc_lo
	v_lshlrev_b32_e32 v21, 1, v13
	v_add_co_u32 v7, vcc_lo, s18, v7
	v_add_co_ci_u32_e64 v15, null, 0, 0, s3
	v_add_co_ci_u32_e32 v8, vcc_lo, s19, v8, vcc_lo
	v_add_co_u32 v17, s1, s1, v0
	v_add_co_u32 v11, vcc_lo, s16, v14
	v_add_co_ci_u32_e64 v18, null, 0, 0, s1
	v_add_co_u32 v19, s1, s16, v21
	v_add_co_ci_u32_e32 v12, vcc_lo, s17, v15, vcc_lo
	v_add_co_u32 v14, vcc_lo, s18, v14
	v_add_co_ci_u32_e64 v20, null, s17, 0, s1
	v_add_co_u32 v21, s1, s18, v21
	v_add_co_ci_u32_e32 v15, vcc_lo, s19, v15, vcc_lo
	v_add_co_ci_u32_e64 v16, null, 0, 0, s2
	v_add_co_ci_u32_e64 v22, null, s19, 0, s1
	s_lshl_b32 s9, s0, 3
	s_branch .LBB46_9
.LBB46_8:                               ;   in Loop: Header=BB46_9 Depth=1
	s_or_b32 exec_lo, exec_lo, s1
	v_add_co_u32 v1, vcc_lo, v1, s9
	v_add_co_ci_u32_e32 v2, vcc_lo, 0, v2, vcc_lo
	v_add_co_u32 v3, vcc_lo, v3, s9
	v_add_co_ci_u32_e32 v4, vcc_lo, 0, v4, vcc_lo
	;; [unrolled: 2-line block ×5, first 2 shown]
	s_add_u32 s6, s6, s8
	v_add_co_u32 v14, vcc_lo, v14, s9
	s_addc_u32 s7, s7, 0
	v_add_co_ci_u32_e32 v15, vcc_lo, 0, v15, vcc_lo
	v_cmp_ge_i64_e64 s0, s[6:7], s[14:15]
	v_cmp_lt_u64_e64 s1, 0xffff, s[6:7]
	v_add_co_u32 v19, vcc_lo, v19, s9
	v_add_co_ci_u32_e32 v20, vcc_lo, 0, v20, vcc_lo
	v_add_co_u32 v21, vcc_lo, v21, s9
	v_add_co_ci_u32_e32 v22, vcc_lo, 0, v22, vcc_lo
	s_or_b32 s0, s0, s1
	s_delay_alu instid0(SALU_CYCLE_1)
	s_and_b32 vcc_lo, exec_lo, s0
	s_cbranch_vccnz .LBB46_25
.LBB46_9:                               ; =>This Inner Loop Header: Depth=1
	s_waitcnt vmcnt(0)
	v_add_co_u32 v23, s0, v0, s6
	s_delay_alu instid0(VALU_DEP_1) | instskip(SKIP_1) | instid1(VALU_DEP_2)
	v_add_co_ci_u32_e64 v24, null, 0, s7, s0
	v_mov_b32_e32 v26, 0
	v_cmp_gt_u64_e64 s2, s[4:5], v[23:24]
	s_delay_alu instid0(VALU_DEP_1)
	s_and_saveexec_b32 s0, s2
	s_cbranch_execz .LBB46_11
; %bb.10:                               ;   in Loop: Header=BB46_9 Depth=1
	v_add_co_u32 v23, vcc_lo, v1, s12
	v_add_co_ci_u32_e32 v24, vcc_lo, s13, v2, vcc_lo
	global_load_u16 v26, v[23:24], off
.LBB46_11:                              ;   in Loop: Header=BB46_9 Depth=1
	s_or_b32 exec_lo, exec_lo, s0
	v_add_co_u32 v23, vcc_lo, v13, s6
	v_add_co_ci_u32_e32 v24, vcc_lo, s7, v16, vcc_lo
	v_mov_b32_e32 v25, 0
	s_delay_alu instid0(VALU_DEP_2) | instskip(NEXT) | instid1(VALU_DEP_1)
	v_cmp_gt_u64_e64 s1, s[4:5], v[23:24]
	s_and_saveexec_b32 s0, s1
	s_cbranch_execz .LBB46_13
; %bb.12:                               ;   in Loop: Header=BB46_9 Depth=1
	v_add_co_u32 v23, vcc_lo, v19, s12
	v_add_co_ci_u32_e32 v24, vcc_lo, s13, v20, vcc_lo
	global_load_u16 v25, v[23:24], off
.LBB46_13:                              ;   in Loop: Header=BB46_9 Depth=1
	s_or_b32 exec_lo, exec_lo, s0
	v_add_co_u32 v23, vcc_lo, v17, s6
	v_add_co_ci_u32_e32 v24, vcc_lo, s7, v18, vcc_lo
	s_delay_alu instid0(VALU_DEP_1) | instskip(SKIP_1) | instid1(VALU_DEP_2)
	v_cmp_gt_u64_e64 s0, s[4:5], v[23:24]
	v_dual_mov_b32 v23, 0 :: v_dual_mov_b32 v24, 0
	s_and_saveexec_b32 s3, s0
	s_cbranch_execz .LBB46_15
; %bb.14:                               ;   in Loop: Header=BB46_9 Depth=1
	v_add_co_u32 v27, vcc_lo, v11, s12
	v_add_co_ci_u32_e32 v28, vcc_lo, s13, v12, vcc_lo
	global_load_u16 v24, v[27:28], off
.LBB46_15:                              ;   in Loop: Header=BB46_9 Depth=1
	s_or_b32 exec_lo, exec_lo, s3
	v_add_co_u32 v27, vcc_lo, v9, s6
	v_add_co_ci_u32_e32 v28, vcc_lo, s7, v10, vcc_lo
	s_delay_alu instid0(VALU_DEP_1)
	v_cmp_gt_u64_e32 vcc_lo, s[4:5], v[27:28]
	s_and_saveexec_b32 s11, vcc_lo
	s_cbranch_execnz .LBB46_20
; %bb.16:                               ;   in Loop: Header=BB46_9 Depth=1
	s_or_b32 exec_lo, exec_lo, s11
	s_and_saveexec_b32 s11, s2
	s_cbranch_execnz .LBB46_21
.LBB46_17:                              ;   in Loop: Header=BB46_9 Depth=1
	s_or_b32 exec_lo, exec_lo, s11
	s_and_saveexec_b32 s3, s1
	s_cbranch_execnz .LBB46_22
.LBB46_18:                              ;   in Loop: Header=BB46_9 Depth=1
	s_or_b32 exec_lo, exec_lo, s3
	s_and_saveexec_b32 s2, s0
	s_cbranch_execnz .LBB46_23
.LBB46_19:                              ;   in Loop: Header=BB46_9 Depth=1
	s_or_b32 exec_lo, exec_lo, s2
	s_and_saveexec_b32 s1, vcc_lo
	s_cbranch_execz .LBB46_8
	s_branch .LBB46_24
.LBB46_20:                              ;   in Loop: Header=BB46_9 Depth=1
	v_add_co_u32 v27, s3, v5, s12
	s_delay_alu instid0(VALU_DEP_1)
	v_add_co_ci_u32_e64 v28, s3, s13, v6, s3
	global_load_u16 v23, v[27:28], off
	s_or_b32 exec_lo, exec_lo, s11
	s_and_saveexec_b32 s11, s2
	s_cbranch_execz .LBB46_17
.LBB46_21:                              ;   in Loop: Header=BB46_9 Depth=1
	s_waitcnt vmcnt(0)
	v_lshlrev_b32_e32 v26, 16, v26
	s_delay_alu instid0(VALU_DEP_1) | instskip(SKIP_2) | instid1(VALU_DEP_1)
	v_fma_f32 v27, |v26|, -0.5, 0.5
	v_mul_f32_e32 v28, v26, v26
	v_cmp_gt_f32_e64 s2, |v26|, 0.5
	v_cndmask_b32_e64 v27, v28, v27, s2
	s_delay_alu instid0(VALU_DEP_1) | instskip(SKIP_1) | instid1(VALU_DEP_1)
	v_fmaak_f32 v28, s10, v27, 0x3c5fc5da
	v_sqrt_f32_e32 v29, v27
	v_fmaak_f32 v28, v27, v28, 0x3d034c3c
	s_delay_alu instid0(VALU_DEP_1) | instskip(NEXT) | instid1(VALU_DEP_1)
	v_fmaak_f32 v28, v27, v28, 0x3d3641b1
	v_fmaak_f32 v28, v27, v28, 0x3d999bc8
	s_delay_alu instid0(VALU_DEP_1) | instskip(NEXT) | instid1(VALU_DEP_1)
	v_fmaak_f32 v28, v27, v28, 0x3e2aaaac
	v_mul_f32_e32 v27, v27, v28
	v_cmp_gt_f32_e64 s3, 0, v26
	s_delay_alu instid0(TRANS32_DEP_1) | instid1(VALU_DEP_2)
	v_fmac_f32_e32 v29, v29, v27
	v_fmac_f32_e32 v26, v26, v27
	s_delay_alu instid0(VALU_DEP_2) | instskip(NEXT) | instid1(VALU_DEP_2)
	v_add_f32_e32 v28, v29, v29
	v_sub_f32_e32 v26, 0x3fc90fdb, v26
	s_delay_alu instid0(VALU_DEP_2) | instskip(NEXT) | instid1(VALU_DEP_1)
	v_sub_f32_e32 v29, 0x40490fdb, v28
	v_cndmask_b32_e64 v27, v28, v29, s3
	s_delay_alu instid0(VALU_DEP_1) | instskip(NEXT) | instid1(VALU_DEP_1)
	v_cndmask_b32_e64 v26, v26, v27, s2
	v_bfe_u32 v27, v26, 16, 1
	v_cmp_o_f32_e64 s2, v26, v26
	s_delay_alu instid0(VALU_DEP_2) | instskip(NEXT) | instid1(VALU_DEP_1)
	v_add3_u32 v27, v26, v27, 0x7fff
	v_lshrrev_b32_e32 v27, 16, v27
	s_delay_alu instid0(VALU_DEP_1) | instskip(SKIP_1) | instid1(VALU_DEP_1)
	v_cndmask_b32_e64 v28, 0x7fc0, v27, s2
	v_add_co_u32 v26, s2, v3, s12
	v_add_co_ci_u32_e64 v27, s2, s13, v4, s2
	global_store_b16 v[26:27], v28, off
	s_or_b32 exec_lo, exec_lo, s11
	s_and_saveexec_b32 s3, s1
	s_cbranch_execz .LBB46_18
.LBB46_22:                              ;   in Loop: Header=BB46_9 Depth=1
	s_waitcnt vmcnt(0)
	v_lshlrev_b32_e32 v25, 16, v25
	s_delay_alu instid0(VALU_DEP_1) | instskip(SKIP_2) | instid1(VALU_DEP_1)
	v_fma_f32 v26, |v25|, -0.5, 0.5
	v_mul_f32_e32 v27, v25, v25
	v_cmp_gt_f32_e64 s1, |v25|, 0.5
	v_cndmask_b32_e64 v26, v27, v26, s1
	s_delay_alu instid0(VALU_DEP_1) | instskip(SKIP_1) | instid1(VALU_DEP_1)
	v_fmaak_f32 v27, s10, v26, 0x3c5fc5da
	v_sqrt_f32_e32 v28, v26
	v_fmaak_f32 v27, v26, v27, 0x3d034c3c
	s_delay_alu instid0(VALU_DEP_1) | instskip(NEXT) | instid1(VALU_DEP_1)
	v_fmaak_f32 v27, v26, v27, 0x3d3641b1
	v_fmaak_f32 v27, v26, v27, 0x3d999bc8
	s_delay_alu instid0(VALU_DEP_1) | instskip(NEXT) | instid1(VALU_DEP_1)
	v_fmaak_f32 v27, v26, v27, 0x3e2aaaac
	v_mul_f32_e32 v26, v26, v27
	v_cmp_gt_f32_e64 s2, 0, v25
	s_delay_alu instid0(TRANS32_DEP_1) | instid1(VALU_DEP_2)
	v_fmac_f32_e32 v28, v28, v26
	v_fmac_f32_e32 v25, v25, v26
	s_delay_alu instid0(VALU_DEP_2) | instskip(NEXT) | instid1(VALU_DEP_2)
	v_add_f32_e32 v27, v28, v28
	v_sub_f32_e32 v25, 0x3fc90fdb, v25
	s_delay_alu instid0(VALU_DEP_2) | instskip(NEXT) | instid1(VALU_DEP_1)
	v_sub_f32_e32 v28, 0x40490fdb, v27
	v_cndmask_b32_e64 v26, v27, v28, s2
	s_delay_alu instid0(VALU_DEP_1) | instskip(NEXT) | instid1(VALU_DEP_1)
	v_cndmask_b32_e64 v25, v25, v26, s1
	v_bfe_u32 v26, v25, 16, 1
	v_cmp_o_f32_e64 s1, v25, v25
	s_delay_alu instid0(VALU_DEP_2) | instskip(NEXT) | instid1(VALU_DEP_1)
	v_add3_u32 v26, v25, v26, 0x7fff
	v_lshrrev_b32_e32 v26, 16, v26
	s_delay_alu instid0(VALU_DEP_1) | instskip(SKIP_1) | instid1(VALU_DEP_1)
	v_cndmask_b32_e64 v27, 0x7fc0, v26, s1
	v_add_co_u32 v25, s1, v21, s12
	v_add_co_ci_u32_e64 v26, s1, s13, v22, s1
	global_store_b16 v[25:26], v27, off
	s_or_b32 exec_lo, exec_lo, s3
	s_and_saveexec_b32 s2, s0
	s_cbranch_execz .LBB46_19
.LBB46_23:                              ;   in Loop: Header=BB46_9 Depth=1
	s_waitcnt vmcnt(0)
	v_lshlrev_b32_e32 v24, 16, v24
	s_delay_alu instid0(VALU_DEP_1) | instskip(SKIP_2) | instid1(VALU_DEP_1)
	v_fma_f32 v25, |v24|, -0.5, 0.5
	v_mul_f32_e32 v26, v24, v24
	v_cmp_gt_f32_e64 s0, |v24|, 0.5
	v_cndmask_b32_e64 v25, v26, v25, s0
	s_delay_alu instid0(VALU_DEP_1) | instskip(SKIP_1) | instid1(VALU_DEP_1)
	v_fmaak_f32 v26, s10, v25, 0x3c5fc5da
	v_sqrt_f32_e32 v27, v25
	v_fmaak_f32 v26, v25, v26, 0x3d034c3c
	s_delay_alu instid0(VALU_DEP_1) | instskip(NEXT) | instid1(VALU_DEP_1)
	v_fmaak_f32 v26, v25, v26, 0x3d3641b1
	v_fmaak_f32 v26, v25, v26, 0x3d999bc8
	s_delay_alu instid0(VALU_DEP_1) | instskip(NEXT) | instid1(VALU_DEP_1)
	v_fmaak_f32 v26, v25, v26, 0x3e2aaaac
	v_mul_f32_e32 v25, v25, v26
	v_cmp_gt_f32_e64 s1, 0, v24
	s_delay_alu instid0(TRANS32_DEP_1) | instid1(VALU_DEP_2)
	v_fmac_f32_e32 v27, v27, v25
	v_fmac_f32_e32 v24, v24, v25
	s_delay_alu instid0(VALU_DEP_2) | instskip(NEXT) | instid1(VALU_DEP_2)
	v_add_f32_e32 v26, v27, v27
	v_sub_f32_e32 v24, 0x3fc90fdb, v24
	s_delay_alu instid0(VALU_DEP_2) | instskip(NEXT) | instid1(VALU_DEP_1)
	v_sub_f32_e32 v27, 0x40490fdb, v26
	v_cndmask_b32_e64 v25, v26, v27, s1
	s_delay_alu instid0(VALU_DEP_1) | instskip(NEXT) | instid1(VALU_DEP_1)
	v_cndmask_b32_e64 v24, v24, v25, s0
	v_bfe_u32 v25, v24, 16, 1
	v_cmp_o_f32_e64 s0, v24, v24
	s_delay_alu instid0(VALU_DEP_2) | instskip(NEXT) | instid1(VALU_DEP_1)
	v_add3_u32 v25, v24, v25, 0x7fff
	v_lshrrev_b32_e32 v25, 16, v25
	s_delay_alu instid0(VALU_DEP_1) | instskip(SKIP_1) | instid1(VALU_DEP_1)
	v_cndmask_b32_e64 v26, 0x7fc0, v25, s0
	v_add_co_u32 v24, s0, v14, s12
	v_add_co_ci_u32_e64 v25, s0, s13, v15, s0
	global_store_b16 v[24:25], v26, off
	s_or_b32 exec_lo, exec_lo, s2
	s_and_saveexec_b32 s1, vcc_lo
	s_cbranch_execz .LBB46_8
.LBB46_24:                              ;   in Loop: Header=BB46_9 Depth=1
	s_waitcnt vmcnt(0)
	v_lshlrev_b32_e32 v23, 16, v23
	s_delay_alu instid0(VALU_DEP_1) | instskip(SKIP_2) | instid1(VALU_DEP_2)
	v_fma_f32 v24, |v23|, -0.5, 0.5
	v_mul_f32_e32 v25, v23, v23
	v_cmp_gt_f32_e64 vcc_lo, |v23|, 0.5
	v_cndmask_b32_e32 v24, v25, v24, vcc_lo
	v_cmp_gt_f32_e64 s0, 0, v23
	s_delay_alu instid0(VALU_DEP_2) | instskip(SKIP_1) | instid1(VALU_DEP_1)
	v_fmaak_f32 v25, s10, v24, 0x3c5fc5da
	v_sqrt_f32_e32 v26, v24
	v_fmaak_f32 v25, v24, v25, 0x3d034c3c
	s_delay_alu instid0(VALU_DEP_1) | instskip(NEXT) | instid1(VALU_DEP_1)
	v_fmaak_f32 v25, v24, v25, 0x3d3641b1
	v_fmaak_f32 v25, v24, v25, 0x3d999bc8
	s_delay_alu instid0(VALU_DEP_1) | instskip(NEXT) | instid1(VALU_DEP_1)
	v_fmaak_f32 v25, v24, v25, 0x3e2aaaac
	v_mul_f32_e32 v24, v24, v25
	s_waitcnt_depctr 0xfff
	v_fmac_f32_e32 v26, v26, v24
	s_delay_alu instid0(VALU_DEP_1) | instskip(NEXT) | instid1(VALU_DEP_1)
	v_add_f32_e32 v25, v26, v26
	v_dual_fmac_f32 v23, v23, v24 :: v_dual_sub_f32 v26, 0x40490fdb, v25
	s_delay_alu instid0(VALU_DEP_1) | instskip(NEXT) | instid1(VALU_DEP_2)
	v_sub_f32_e32 v23, 0x3fc90fdb, v23
	v_cndmask_b32_e64 v24, v25, v26, s0
	s_delay_alu instid0(VALU_DEP_1) | instskip(NEXT) | instid1(VALU_DEP_1)
	v_cndmask_b32_e32 v23, v23, v24, vcc_lo
	v_bfe_u32 v24, v23, 16, 1
	v_cmp_o_f32_e32 vcc_lo, v23, v23
	s_delay_alu instid0(VALU_DEP_2) | instskip(NEXT) | instid1(VALU_DEP_1)
	v_add3_u32 v24, v23, v24, 0x7fff
	v_lshrrev_b32_e32 v24, 16, v24
	s_delay_alu instid0(VALU_DEP_1)
	v_cndmask_b32_e32 v25, 0x7fc0, v24, vcc_lo
	v_add_co_u32 v23, vcc_lo, v7, s12
	v_add_co_ci_u32_e32 v24, vcc_lo, s13, v8, vcc_lo
	global_store_b16 v[23:24], v25, off
	s_branch .LBB46_8
.LBB46_25:
	s_nop 0
	s_sendmsg sendmsg(MSG_DEALLOC_VGPRS)
	s_endpgm
	.section	.rodata,"a",@progbits
	.p2align	6, 0x0
	.amdhsa_kernel _ZN2at6native12_GLOBAL__N_125multi_tensor_apply_kernelINS1_18TensorListMetadataILi2EEENS1_14UnaryOpFunctorIN3c108BFloat16ELi2ELi1ELi1EEEJNS0_4AcosIfEEEEEvT_T0_DpT1_
		.amdhsa_group_segment_fixed_size 0
		.amdhsa_private_segment_fixed_size 0
		.amdhsa_kernarg_size 3408
		.amdhsa_user_sgpr_count 15
		.amdhsa_user_sgpr_dispatch_ptr 0
		.amdhsa_user_sgpr_queue_ptr 0
		.amdhsa_user_sgpr_kernarg_segment_ptr 1
		.amdhsa_user_sgpr_dispatch_id 0
		.amdhsa_user_sgpr_private_segment_size 0
		.amdhsa_wavefront_size32 1
		.amdhsa_uses_dynamic_stack 0
		.amdhsa_enable_private_segment 0
		.amdhsa_system_sgpr_workgroup_id_x 1
		.amdhsa_system_sgpr_workgroup_id_y 0
		.amdhsa_system_sgpr_workgroup_id_z 0
		.amdhsa_system_sgpr_workgroup_info 0
		.amdhsa_system_vgpr_workitem_id 0
		.amdhsa_next_free_vgpr 30
		.amdhsa_next_free_sgpr 24
		.amdhsa_reserve_vcc 1
		.amdhsa_float_round_mode_32 0
		.amdhsa_float_round_mode_16_64 0
		.amdhsa_float_denorm_mode_32 3
		.amdhsa_float_denorm_mode_16_64 3
		.amdhsa_dx10_clamp 1
		.amdhsa_ieee_mode 1
		.amdhsa_fp16_overflow 0
		.amdhsa_workgroup_processor_mode 1
		.amdhsa_memory_ordered 1
		.amdhsa_forward_progress 0
		.amdhsa_shared_vgpr_count 0
		.amdhsa_exception_fp_ieee_invalid_op 0
		.amdhsa_exception_fp_denorm_src 0
		.amdhsa_exception_fp_ieee_div_zero 0
		.amdhsa_exception_fp_ieee_overflow 0
		.amdhsa_exception_fp_ieee_underflow 0
		.amdhsa_exception_fp_ieee_inexact 0
		.amdhsa_exception_int_div_zero 0
	.end_amdhsa_kernel
	.section	.text._ZN2at6native12_GLOBAL__N_125multi_tensor_apply_kernelINS1_18TensorListMetadataILi2EEENS1_14UnaryOpFunctorIN3c108BFloat16ELi2ELi1ELi1EEEJNS0_4AcosIfEEEEEvT_T0_DpT1_,"axG",@progbits,_ZN2at6native12_GLOBAL__N_125multi_tensor_apply_kernelINS1_18TensorListMetadataILi2EEENS1_14UnaryOpFunctorIN3c108BFloat16ELi2ELi1ELi1EEEJNS0_4AcosIfEEEEEvT_T0_DpT1_,comdat
.Lfunc_end46:
	.size	_ZN2at6native12_GLOBAL__N_125multi_tensor_apply_kernelINS1_18TensorListMetadataILi2EEENS1_14UnaryOpFunctorIN3c108BFloat16ELi2ELi1ELi1EEEJNS0_4AcosIfEEEEEvT_T0_DpT1_, .Lfunc_end46-_ZN2at6native12_GLOBAL__N_125multi_tensor_apply_kernelINS1_18TensorListMetadataILi2EEENS1_14UnaryOpFunctorIN3c108BFloat16ELi2ELi1ELi1EEEJNS0_4AcosIfEEEEEvT_T0_DpT1_
                                        ; -- End function
	.section	.AMDGPU.csdata,"",@progbits
; Kernel info:
; codeLenInByte = 3072
; NumSgprs: 26
; NumVgprs: 30
; ScratchSize: 0
; MemoryBound: 0
; FloatMode: 240
; IeeeMode: 1
; LDSByteSize: 0 bytes/workgroup (compile time only)
; SGPRBlocks: 3
; VGPRBlocks: 3
; NumSGPRsForWavesPerEU: 26
; NumVGPRsForWavesPerEU: 30
; Occupancy: 16
; WaveLimiterHint : 0
; COMPUTE_PGM_RSRC2:SCRATCH_EN: 0
; COMPUTE_PGM_RSRC2:USER_SGPR: 15
; COMPUTE_PGM_RSRC2:TRAP_HANDLER: 0
; COMPUTE_PGM_RSRC2:TGID_X_EN: 1
; COMPUTE_PGM_RSRC2:TGID_Y_EN: 0
; COMPUTE_PGM_RSRC2:TGID_Z_EN: 0
; COMPUTE_PGM_RSRC2:TIDIG_COMP_CNT: 0
	.section	.text._ZN2at6native12_GLOBAL__N_125multi_tensor_apply_kernelINS1_18TensorListMetadataILi1EEENS1_14UnaryOpFunctorIdLi1ELi1ELi0EEEJNS0_4AcosIdEEEEEvT_T0_DpT1_,"axG",@progbits,_ZN2at6native12_GLOBAL__N_125multi_tensor_apply_kernelINS1_18TensorListMetadataILi1EEENS1_14UnaryOpFunctorIdLi1ELi1ELi0EEEJNS0_4AcosIdEEEEEvT_T0_DpT1_,comdat
	.globl	_ZN2at6native12_GLOBAL__N_125multi_tensor_apply_kernelINS1_18TensorListMetadataILi1EEENS1_14UnaryOpFunctorIdLi1ELi1ELi0EEEJNS0_4AcosIdEEEEEvT_T0_DpT1_ ; -- Begin function _ZN2at6native12_GLOBAL__N_125multi_tensor_apply_kernelINS1_18TensorListMetadataILi1EEENS1_14UnaryOpFunctorIdLi1ELi1ELi0EEEJNS0_4AcosIdEEEEEvT_T0_DpT1_
	.p2align	8
	.type	_ZN2at6native12_GLOBAL__N_125multi_tensor_apply_kernelINS1_18TensorListMetadataILi1EEENS1_14UnaryOpFunctorIdLi1ELi1ELi0EEEJNS0_4AcosIdEEEEEvT_T0_DpT1_,@function
_ZN2at6native12_GLOBAL__N_125multi_tensor_apply_kernelINS1_18TensorListMetadataILi1EEENS1_14UnaryOpFunctorIdLi1ELi1ELi0EEEJNS0_4AcosIdEEEEEvT_T0_DpT1_: ; @_ZN2at6native12_GLOBAL__N_125multi_tensor_apply_kernelINS1_18TensorListMetadataILi1EEENS1_14UnaryOpFunctorIdLi1ELi1ELi0EEEJNS0_4AcosIdEEEEEvT_T0_DpT1_
; %bb.0:
	v_mov_b32_e32 v1, s15
	s_add_u32 s2, s0, s15
	s_mul_hi_u32 s3, s15, 3
	s_mul_i32 s15, s15, 3
	s_addc_u32 s4, s1, 0
	global_load_u8 v1, v1, s[0:1] offset:1760
	s_add_u32 s2, s2, s15
	s_addc_u32 s3, s4, s3
	s_mov_b32 s13, 0
	s_load_b32 s2, s[2:3], 0x820
	s_waitcnt vmcnt(0)
	v_readfirstlane_b32 s5, v1
	s_delay_alu instid0(VALU_DEP_1)
	s_lshl_b32 s3, s5, 3
	s_clause 0x1
	s_load_b64 s[8:9], s[0:1], s3 offset:0x0
	s_load_b64 s[4:5], s[0:1], s3 offset:0x370
	s_waitcnt lgkmcnt(0)
	s_ashr_i32 s3, s2, 31
	s_delay_alu instid0(SALU_CYCLE_1)
	s_lshl_b64 s[10:11], s[2:3], 19
	s_lshl_b64 s[2:3], s[2:3], 16
	s_and_b32 s12, s8, 31
	s_sub_u32 s6, s4, s2
	s_subb_u32 s7, s5, s3
	s_and_b32 s2, s4, 3
	s_mov_b32 s3, s13
	s_delay_alu instid0(SALU_CYCLE_1) | instskip(NEXT) | instid1(SALU_CYCLE_1)
	s_or_b64 s[2:3], s[12:13], s[2:3]
	s_cmp_eq_u64 s[2:3], 0
	s_cbranch_scc1 .LBB47_29
; %bb.1:
	v_cmp_lt_i64_e64 s2, s[6:7], 1
	s_delay_alu instid0(VALU_DEP_1)
	s_and_b32 vcc_lo, exec_lo, s2
	s_cbranch_vccnz .LBB47_28
; %bb.2:
	s_load_b32 s2, s[0:1], 0xd3c
	v_cmp_gt_u64_e64 s3, 0x10000, s[6:7]
	v_lshlrev_b32_e32 v1, 3, v0
	s_mov_b32 s14, 0x78a05eaf
	s_mov_b32 s16, 0x9fea6a70
	;; [unrolled: 1-line block ×17, first 2 shown]
	s_waitcnt lgkmcnt(0)
	s_and_b32 s2, s2, 0xffff
	s_and_b32 s3, s3, exec_lo
	v_add_co_u32 v19, s5, v0, s2
	s_cselect_b32 s13, s7, 0
	s_cselect_b32 s12, s6, 0x10000
	s_lshl_b32 s3, s2, 1
	s_lshl_b32 s33, s2, 2
	v_lshlrev_b32_e32 v3, 3, v19
	s_add_u32 s46, s8, s10
	v_add_co_u32 v22, s3, s3, v0
	s_mul_i32 s4, s2, 3
	s_addc_u32 s47, s9, s11
	v_add_co_ci_u32_e64 v23, null, 0, 0, s3
	v_add_co_u32 v1, s3, s46, v1
	v_add_co_u32 v20, s4, s4, v0
	v_add_co_ci_u32_e64 v2, null, s47, 0, s3
	v_add_co_u32 v3, s3, s46, v3
	v_add_co_ci_u32_e64 v21, null, 0, 0, s4
	v_add_co_ci_u32_e64 v24, null, 0, 0, s5
	;; [unrolled: 1-line block ×3, first 2 shown]
	s_lshl_b32 s48, s2, 5
	s_mov_b32 s19, 0x3f940521
	s_mov_b32 s21, 0x3f7ab3a0
	;; [unrolled: 1-line block ×13, first 2 shown]
	s_mul_i32 s49, s2, 24
	s_lshl_b32 s50, s2, 4
	s_mov_b64 s[46:47], 0
	s_branch .LBB47_4
.LBB47_3:                               ;   in Loop: Header=BB47_4 Depth=1
	s_or_b32 exec_lo, exec_lo, s2
	s_add_u32 s46, s46, s33
	s_addc_u32 s47, s47, 0
	v_add_co_u32 v1, vcc_lo, v1, s48
	v_cmp_ge_i64_e64 s2, s[46:47], s[6:7]
	v_cmp_lt_u64_e64 s3, 0xffff, s[46:47]
	v_add_co_ci_u32_e32 v2, vcc_lo, 0, v2, vcc_lo
	v_add_co_u32 v3, vcc_lo, v3, s48
	v_add_co_ci_u32_e32 v4, vcc_lo, 0, v4, vcc_lo
	s_delay_alu instid0(VALU_DEP_4) | instskip(NEXT) | instid1(SALU_CYCLE_1)
	s_or_b32 s2, s2, s3
	s_and_b32 vcc_lo, exec_lo, s2
	s_cbranch_vccnz .LBB47_28
.LBB47_4:                               ; =>This Inner Loop Header: Depth=1
	v_add_co_u32 v5, s2, v0, s46
	s_delay_alu instid0(VALU_DEP_1) | instskip(SKIP_2) | instid1(VALU_DEP_3)
	v_add_co_ci_u32_e64 v6, null, 0, s47, s2
	v_mov_b32_e32 v11, 0
	v_mov_b32_e32 v12, 0
	v_cmp_gt_u64_e32 vcc_lo, s[12:13], v[5:6]
	s_delay_alu instid0(VALU_DEP_2)
	v_dual_mov_b32 v14, v12 :: v_dual_mov_b32 v13, v11
	s_and_saveexec_b32 s2, vcc_lo
	s_cbranch_execz .LBB47_6
; %bb.5:                                ;   in Loop: Header=BB47_4 Depth=1
	global_load_b64 v[13:14], v[1:2], off
.LBB47_6:                               ;   in Loop: Header=BB47_4 Depth=1
	s_or_b32 exec_lo, exec_lo, s2
	v_add_co_u32 v5, s2, v19, s46
	s_delay_alu instid0(VALU_DEP_1) | instskip(NEXT) | instid1(VALU_DEP_1)
	v_add_co_ci_u32_e64 v6, s2, s47, v24, s2
	v_cmp_gt_u64_e64 s2, s[12:13], v[5:6]
	s_delay_alu instid0(VALU_DEP_1)
	s_and_saveexec_b32 s3, s2
	s_cbranch_execz .LBB47_8
; %bb.7:                                ;   in Loop: Header=BB47_4 Depth=1
	global_load_b64 v[11:12], v[3:4], off
.LBB47_8:                               ;   in Loop: Header=BB47_4 Depth=1
	s_or_b32 exec_lo, exec_lo, s3
	v_add_co_u32 v7, s3, v22, s46
	s_delay_alu instid0(VALU_DEP_1) | instskip(SKIP_2) | instid1(VALU_DEP_3)
	v_add_co_ci_u32_e64 v8, s3, s47, v23, s3
	v_mov_b32_e32 v5, 0
	v_mov_b32_e32 v6, 0
	v_cmp_gt_u64_e64 s3, s[12:13], v[7:8]
	s_delay_alu instid0(VALU_DEP_2) | instskip(NEXT) | instid1(VALU_DEP_2)
	v_dual_mov_b32 v8, v6 :: v_dual_mov_b32 v7, v5
	s_and_saveexec_b32 s5, s3
	s_cbranch_execz .LBB47_10
; %bb.9:                                ;   in Loop: Header=BB47_4 Depth=1
	v_add_co_u32 v7, s4, v1, s50
	s_delay_alu instid0(VALU_DEP_1)
	v_add_co_ci_u32_e64 v8, s4, 0, v2, s4
	global_load_b64 v[7:8], v[7:8], off
.LBB47_10:                              ;   in Loop: Header=BB47_4 Depth=1
	s_or_b32 exec_lo, exec_lo, s5
	v_add_co_u32 v9, s4, v20, s46
	s_delay_alu instid0(VALU_DEP_1) | instskip(NEXT) | instid1(VALU_DEP_1)
	v_add_co_ci_u32_e64 v10, s4, s47, v21, s4
	v_cmp_gt_u64_e64 s4, s[12:13], v[9:10]
	s_delay_alu instid0(VALU_DEP_1)
	s_and_saveexec_b32 s51, s4
	s_cbranch_execz .LBB47_12
; %bb.11:                               ;   in Loop: Header=BB47_4 Depth=1
	v_add_co_u32 v5, s5, v1, s49
	s_delay_alu instid0(VALU_DEP_1)
	v_add_co_ci_u32_e64 v6, s5, 0, v2, s5
	global_load_b64 v[5:6], v[5:6], off
.LBB47_12:                              ;   in Loop: Header=BB47_4 Depth=1
	s_or_b32 exec_lo, exec_lo, s51
	s_waitcnt vmcnt(0)
	v_fma_f64 v[17:18], |v[13:14]|, -0.5, 0.5
	v_mul_f64 v[9:10], v[13:14], v[13:14]
	v_cmp_ge_f64_e64 s5, |v[13:14]|, 0.5
	s_delay_alu instid0(VALU_DEP_1) | instskip(NEXT) | instid1(VALU_DEP_3)
	v_cndmask_b32_e64 v10, v10, v18, s5
	v_cndmask_b32_e64 v9, v9, v17, s5
	s_delay_alu instid0(VALU_DEP_1) | instskip(NEXT) | instid1(VALU_DEP_1)
	v_fma_f64 v[15:16], v[9:10], s[16:17], s[14:15]
	v_fma_f64 v[15:16], v[9:10], v[15:16], s[18:19]
	s_delay_alu instid0(VALU_DEP_1) | instskip(NEXT) | instid1(VALU_DEP_1)
	v_fma_f64 v[15:16], v[9:10], v[15:16], s[20:21]
	v_fma_f64 v[15:16], v[9:10], v[15:16], s[22:23]
	;; [unrolled: 3-line block ×5, first 2 shown]
	s_delay_alu instid0(VALU_DEP_1) | instskip(NEXT) | instid1(VALU_DEP_1)
	v_fma_f64 v[15:16], v[9:10], v[15:16], s[38:39]
	v_mul_f64 v[15:16], v[9:10], v[15:16]
	s_delay_alu instid0(VALU_DEP_1) | instskip(NEXT) | instid1(VALU_DEP_1)
	v_fma_f64 v[9:10], v[13:14], v[15:16], v[13:14]
	v_fma_f64 v[9:10], s[42:43], s[40:41], -v[9:10]
	s_and_saveexec_b32 s51, s5
	s_cbranch_execz .LBB47_14
; %bb.13:                               ;   in Loop: Header=BB47_4 Depth=1
	v_rsq_f64_e32 v[9:10], v[17:18]
	v_cmp_eq_f64_e64 s5, 0, v[17:18]
	s_waitcnt_depctr 0xfff
	v_mul_f64 v[25:26], v[17:18], v[9:10]
	v_mul_f64 v[9:10], v[9:10], 0.5
	s_delay_alu instid0(VALU_DEP_1) | instskip(NEXT) | instid1(VALU_DEP_1)
	v_fma_f64 v[27:28], -v[9:10], v[25:26], 0.5
	v_fma_f64 v[25:26], v[25:26], v[27:28], v[25:26]
	v_fma_f64 v[9:10], v[9:10], v[27:28], v[9:10]
	s_delay_alu instid0(VALU_DEP_2) | instskip(NEXT) | instid1(VALU_DEP_1)
	v_fma_f64 v[27:28], -v[25:26], v[25:26], v[17:18]
	v_fma_f64 v[9:10], v[27:28], v[9:10], v[25:26]
	s_delay_alu instid0(VALU_DEP_1) | instskip(NEXT) | instid1(VALU_DEP_2)
	v_cndmask_b32_e64 v10, v10, v18, s5
	v_cndmask_b32_e64 v9, v9, v17, s5
	s_delay_alu instid0(VALU_DEP_1) | instskip(SKIP_1) | instid1(VALU_DEP_2)
	v_add_f64 v[25:26], v[9:10], v[9:10]
	v_mul_f64 v[27:28], v[9:10], v[9:10]
	v_rcp_f64_e32 v[29:30], v[25:26]
	s_delay_alu instid0(VALU_DEP_1) | instskip(SKIP_1) | instid1(VALU_DEP_2)
	v_add_f64 v[31:32], v[17:18], -v[27:28]
	v_fma_f64 v[35:36], v[9:10], v[9:10], -v[27:28]
	v_add_f64 v[17:18], v[17:18], -v[31:32]
	s_waitcnt_depctr 0xfff
	v_fma_f64 v[33:34], -v[25:26], v[29:30], 1.0
	v_add_f64 v[17:18], v[17:18], -v[27:28]
	s_delay_alu instid0(VALU_DEP_2) | instskip(NEXT) | instid1(VALU_DEP_2)
	v_fma_f64 v[27:28], v[33:34], v[29:30], v[29:30]
	v_add_f64 v[17:18], v[17:18], -v[35:36]
	s_delay_alu instid0(VALU_DEP_2) | instskip(NEXT) | instid1(VALU_DEP_2)
	v_fma_f64 v[29:30], -v[25:26], v[27:28], 1.0
	v_add_f64 v[17:18], v[31:32], v[17:18]
	s_delay_alu instid0(VALU_DEP_2) | instskip(NEXT) | instid1(VALU_DEP_1)
	v_fma_f64 v[27:28], v[29:30], v[27:28], v[27:28]
	v_mul_f64 v[29:30], v[17:18], v[27:28]
	s_delay_alu instid0(VALU_DEP_1) | instskip(NEXT) | instid1(VALU_DEP_1)
	v_fma_f64 v[17:18], -v[25:26], v[29:30], v[17:18]
	v_fma_f64 v[17:18], v[17:18], v[27:28], v[29:30]
	s_delay_alu instid0(VALU_DEP_1) | instskip(NEXT) | instid1(VALU_DEP_2)
	v_cndmask_b32_e64 v18, v18, 0, s5
	v_cndmask_b32_e64 v17, v17, 0, s5
	v_cmp_gt_f64_e64 s5, 0, v[13:14]
	s_delay_alu instid0(VALU_DEP_2) | instskip(NEXT) | instid1(VALU_DEP_1)
	v_add_f64 v[25:26], v[9:10], v[17:18]
	v_add_f64 v[9:10], v[25:26], -v[9:10]
	s_delay_alu instid0(VALU_DEP_1) | instskip(SKIP_1) | instid1(VALU_DEP_2)
	v_add_f64 v[9:10], v[17:18], -v[9:10]
	v_fma_f64 v[17:18], v[25:26], v[15:16], v[25:26]
	v_fma_f64 v[9:10], v[25:26], v[15:16], v[9:10]
	s_delay_alu instid0(VALU_DEP_2) | instskip(NEXT) | instid1(VALU_DEP_2)
	v_mul_f64 v[15:16], v[17:18], -2.0
	v_add_f64 v[9:10], v[25:26], v[9:10]
	s_delay_alu instid0(VALU_DEP_2) | instskip(NEXT) | instid1(VALU_DEP_2)
	v_fma_f64 v[15:16], s[44:45], s[40:41], v[15:16]
	v_add_f64 v[9:10], v[9:10], v[9:10]
	s_delay_alu instid0(VALU_DEP_1) | instskip(NEXT) | instid1(VALU_DEP_2)
	v_cndmask_b32_e64 v10, v10, v16, s5
	v_cndmask_b32_e64 v9, v9, v15, s5
	v_cmp_neq_f64_e64 s5, -1.0, v[13:14]
	s_delay_alu instid0(VALU_DEP_1) | instskip(NEXT) | instid1(VALU_DEP_4)
	v_cndmask_b32_e64 v9, 0x54442d18, v9, s5
	v_cndmask_b32_e64 v10, 0x400921fb, v10, s5
	v_cmp_neq_f64_e64 s5, 1.0, v[13:14]
	s_delay_alu instid0(VALU_DEP_1) | instskip(NEXT) | instid1(VALU_DEP_4)
	v_cndmask_b32_e64 v10, 0, v10, s5
	v_cndmask_b32_e64 v9, 0, v9, s5
.LBB47_14:                              ;   in Loop: Header=BB47_4 Depth=1
	s_or_b32 exec_lo, exec_lo, s51
	v_fma_f64 v[17:18], |v[11:12]|, -0.5, 0.5
	v_mul_f64 v[13:14], v[11:12], v[11:12]
	v_cmp_ge_f64_e64 s5, |v[11:12]|, 0.5
	s_delay_alu instid0(VALU_DEP_1) | instskip(NEXT) | instid1(VALU_DEP_3)
	v_cndmask_b32_e64 v14, v14, v18, s5
	v_cndmask_b32_e64 v13, v13, v17, s5
	s_delay_alu instid0(VALU_DEP_1) | instskip(NEXT) | instid1(VALU_DEP_1)
	v_fma_f64 v[15:16], v[13:14], s[16:17], s[14:15]
	v_fma_f64 v[15:16], v[13:14], v[15:16], s[18:19]
	s_delay_alu instid0(VALU_DEP_1) | instskip(NEXT) | instid1(VALU_DEP_1)
	v_fma_f64 v[15:16], v[13:14], v[15:16], s[20:21]
	v_fma_f64 v[15:16], v[13:14], v[15:16], s[22:23]
	;; [unrolled: 3-line block ×5, first 2 shown]
	s_delay_alu instid0(VALU_DEP_1) | instskip(NEXT) | instid1(VALU_DEP_1)
	v_fma_f64 v[15:16], v[13:14], v[15:16], s[38:39]
	v_mul_f64 v[15:16], v[13:14], v[15:16]
	s_delay_alu instid0(VALU_DEP_1) | instskip(NEXT) | instid1(VALU_DEP_1)
	v_fma_f64 v[13:14], v[11:12], v[15:16], v[11:12]
	v_fma_f64 v[13:14], s[42:43], s[40:41], -v[13:14]
	s_and_saveexec_b32 s51, s5
	s_cbranch_execz .LBB47_16
; %bb.15:                               ;   in Loop: Header=BB47_4 Depth=1
	v_rsq_f64_e32 v[13:14], v[17:18]
	v_cmp_eq_f64_e64 s5, 0, v[17:18]
	s_waitcnt_depctr 0xfff
	v_mul_f64 v[25:26], v[17:18], v[13:14]
	v_mul_f64 v[13:14], v[13:14], 0.5
	s_delay_alu instid0(VALU_DEP_1) | instskip(NEXT) | instid1(VALU_DEP_1)
	v_fma_f64 v[27:28], -v[13:14], v[25:26], 0.5
	v_fma_f64 v[25:26], v[25:26], v[27:28], v[25:26]
	v_fma_f64 v[13:14], v[13:14], v[27:28], v[13:14]
	s_delay_alu instid0(VALU_DEP_2) | instskip(NEXT) | instid1(VALU_DEP_1)
	v_fma_f64 v[27:28], -v[25:26], v[25:26], v[17:18]
	v_fma_f64 v[13:14], v[27:28], v[13:14], v[25:26]
	s_delay_alu instid0(VALU_DEP_1) | instskip(NEXT) | instid1(VALU_DEP_2)
	v_cndmask_b32_e64 v14, v14, v18, s5
	v_cndmask_b32_e64 v13, v13, v17, s5
	s_delay_alu instid0(VALU_DEP_1) | instskip(SKIP_1) | instid1(VALU_DEP_2)
	v_add_f64 v[25:26], v[13:14], v[13:14]
	v_mul_f64 v[27:28], v[13:14], v[13:14]
	v_rcp_f64_e32 v[29:30], v[25:26]
	s_delay_alu instid0(VALU_DEP_1) | instskip(SKIP_1) | instid1(VALU_DEP_2)
	v_add_f64 v[31:32], v[17:18], -v[27:28]
	v_fma_f64 v[35:36], v[13:14], v[13:14], -v[27:28]
	v_add_f64 v[17:18], v[17:18], -v[31:32]
	s_waitcnt_depctr 0xfff
	v_fma_f64 v[33:34], -v[25:26], v[29:30], 1.0
	v_add_f64 v[17:18], v[17:18], -v[27:28]
	s_delay_alu instid0(VALU_DEP_2) | instskip(NEXT) | instid1(VALU_DEP_2)
	v_fma_f64 v[27:28], v[33:34], v[29:30], v[29:30]
	v_add_f64 v[17:18], v[17:18], -v[35:36]
	s_delay_alu instid0(VALU_DEP_2) | instskip(NEXT) | instid1(VALU_DEP_2)
	v_fma_f64 v[29:30], -v[25:26], v[27:28], 1.0
	v_add_f64 v[17:18], v[31:32], v[17:18]
	s_delay_alu instid0(VALU_DEP_2) | instskip(NEXT) | instid1(VALU_DEP_1)
	v_fma_f64 v[27:28], v[29:30], v[27:28], v[27:28]
	v_mul_f64 v[29:30], v[17:18], v[27:28]
	s_delay_alu instid0(VALU_DEP_1) | instskip(NEXT) | instid1(VALU_DEP_1)
	v_fma_f64 v[17:18], -v[25:26], v[29:30], v[17:18]
	v_fma_f64 v[17:18], v[17:18], v[27:28], v[29:30]
	s_delay_alu instid0(VALU_DEP_1) | instskip(NEXT) | instid1(VALU_DEP_2)
	v_cndmask_b32_e64 v18, v18, 0, s5
	v_cndmask_b32_e64 v17, v17, 0, s5
	v_cmp_gt_f64_e64 s5, 0, v[11:12]
	s_delay_alu instid0(VALU_DEP_2) | instskip(NEXT) | instid1(VALU_DEP_1)
	v_add_f64 v[25:26], v[13:14], v[17:18]
	v_add_f64 v[13:14], v[25:26], -v[13:14]
	s_delay_alu instid0(VALU_DEP_1) | instskip(SKIP_1) | instid1(VALU_DEP_2)
	v_add_f64 v[13:14], v[17:18], -v[13:14]
	v_fma_f64 v[17:18], v[25:26], v[15:16], v[25:26]
	v_fma_f64 v[13:14], v[25:26], v[15:16], v[13:14]
	s_delay_alu instid0(VALU_DEP_2) | instskip(NEXT) | instid1(VALU_DEP_2)
	v_mul_f64 v[15:16], v[17:18], -2.0
	v_add_f64 v[13:14], v[25:26], v[13:14]
	s_delay_alu instid0(VALU_DEP_2) | instskip(NEXT) | instid1(VALU_DEP_2)
	v_fma_f64 v[15:16], s[44:45], s[40:41], v[15:16]
	v_add_f64 v[13:14], v[13:14], v[13:14]
	s_delay_alu instid0(VALU_DEP_1) | instskip(NEXT) | instid1(VALU_DEP_2)
	v_cndmask_b32_e64 v14, v14, v16, s5
	v_cndmask_b32_e64 v13, v13, v15, s5
	v_cmp_neq_f64_e64 s5, -1.0, v[11:12]
	s_delay_alu instid0(VALU_DEP_1) | instskip(NEXT) | instid1(VALU_DEP_4)
	v_cndmask_b32_e64 v13, 0x54442d18, v13, s5
	v_cndmask_b32_e64 v14, 0x400921fb, v14, s5
	v_cmp_neq_f64_e64 s5, 1.0, v[11:12]
	s_delay_alu instid0(VALU_DEP_1) | instskip(NEXT) | instid1(VALU_DEP_4)
	v_cndmask_b32_e64 v14, 0, v14, s5
	v_cndmask_b32_e64 v13, 0, v13, s5
.LBB47_16:                              ;   in Loop: Header=BB47_4 Depth=1
	s_or_b32 exec_lo, exec_lo, s51
	v_fma_f64 v[17:18], |v[7:8]|, -0.5, 0.5
	v_mul_f64 v[11:12], v[7:8], v[7:8]
	v_cmp_ge_f64_e64 s5, |v[7:8]|, 0.5
	s_delay_alu instid0(VALU_DEP_1) | instskip(NEXT) | instid1(VALU_DEP_3)
	v_cndmask_b32_e64 v12, v12, v18, s5
	v_cndmask_b32_e64 v11, v11, v17, s5
	s_delay_alu instid0(VALU_DEP_1) | instskip(NEXT) | instid1(VALU_DEP_1)
	v_fma_f64 v[15:16], v[11:12], s[16:17], s[14:15]
	v_fma_f64 v[15:16], v[11:12], v[15:16], s[18:19]
	s_delay_alu instid0(VALU_DEP_1) | instskip(NEXT) | instid1(VALU_DEP_1)
	v_fma_f64 v[15:16], v[11:12], v[15:16], s[20:21]
	v_fma_f64 v[15:16], v[11:12], v[15:16], s[22:23]
	;; [unrolled: 3-line block ×5, first 2 shown]
	s_delay_alu instid0(VALU_DEP_1) | instskip(NEXT) | instid1(VALU_DEP_1)
	v_fma_f64 v[15:16], v[11:12], v[15:16], s[38:39]
	v_mul_f64 v[15:16], v[11:12], v[15:16]
	s_delay_alu instid0(VALU_DEP_1) | instskip(NEXT) | instid1(VALU_DEP_1)
	v_fma_f64 v[11:12], v[7:8], v[15:16], v[7:8]
	v_fma_f64 v[11:12], s[42:43], s[40:41], -v[11:12]
	s_and_saveexec_b32 s51, s5
	s_cbranch_execz .LBB47_18
; %bb.17:                               ;   in Loop: Header=BB47_4 Depth=1
	v_rsq_f64_e32 v[11:12], v[17:18]
	v_cmp_eq_f64_e64 s5, 0, v[17:18]
	s_waitcnt_depctr 0xfff
	v_mul_f64 v[25:26], v[17:18], v[11:12]
	v_mul_f64 v[11:12], v[11:12], 0.5
	s_delay_alu instid0(VALU_DEP_1) | instskip(NEXT) | instid1(VALU_DEP_1)
	v_fma_f64 v[27:28], -v[11:12], v[25:26], 0.5
	v_fma_f64 v[25:26], v[25:26], v[27:28], v[25:26]
	v_fma_f64 v[11:12], v[11:12], v[27:28], v[11:12]
	s_delay_alu instid0(VALU_DEP_2) | instskip(NEXT) | instid1(VALU_DEP_1)
	v_fma_f64 v[27:28], -v[25:26], v[25:26], v[17:18]
	v_fma_f64 v[11:12], v[27:28], v[11:12], v[25:26]
	s_delay_alu instid0(VALU_DEP_1) | instskip(NEXT) | instid1(VALU_DEP_2)
	v_cndmask_b32_e64 v12, v12, v18, s5
	v_cndmask_b32_e64 v11, v11, v17, s5
	s_delay_alu instid0(VALU_DEP_1) | instskip(SKIP_1) | instid1(VALU_DEP_2)
	v_add_f64 v[25:26], v[11:12], v[11:12]
	v_mul_f64 v[27:28], v[11:12], v[11:12]
	v_rcp_f64_e32 v[29:30], v[25:26]
	s_delay_alu instid0(VALU_DEP_1) | instskip(SKIP_1) | instid1(VALU_DEP_2)
	v_add_f64 v[31:32], v[17:18], -v[27:28]
	v_fma_f64 v[35:36], v[11:12], v[11:12], -v[27:28]
	v_add_f64 v[17:18], v[17:18], -v[31:32]
	s_waitcnt_depctr 0xfff
	v_fma_f64 v[33:34], -v[25:26], v[29:30], 1.0
	v_add_f64 v[17:18], v[17:18], -v[27:28]
	s_delay_alu instid0(VALU_DEP_2) | instskip(NEXT) | instid1(VALU_DEP_2)
	v_fma_f64 v[27:28], v[33:34], v[29:30], v[29:30]
	v_add_f64 v[17:18], v[17:18], -v[35:36]
	s_delay_alu instid0(VALU_DEP_2) | instskip(NEXT) | instid1(VALU_DEP_2)
	v_fma_f64 v[29:30], -v[25:26], v[27:28], 1.0
	v_add_f64 v[17:18], v[31:32], v[17:18]
	s_delay_alu instid0(VALU_DEP_2) | instskip(NEXT) | instid1(VALU_DEP_1)
	v_fma_f64 v[27:28], v[29:30], v[27:28], v[27:28]
	v_mul_f64 v[29:30], v[17:18], v[27:28]
	s_delay_alu instid0(VALU_DEP_1) | instskip(NEXT) | instid1(VALU_DEP_1)
	v_fma_f64 v[17:18], -v[25:26], v[29:30], v[17:18]
	v_fma_f64 v[17:18], v[17:18], v[27:28], v[29:30]
	s_delay_alu instid0(VALU_DEP_1) | instskip(NEXT) | instid1(VALU_DEP_2)
	v_cndmask_b32_e64 v18, v18, 0, s5
	v_cndmask_b32_e64 v17, v17, 0, s5
	v_cmp_gt_f64_e64 s5, 0, v[7:8]
	s_delay_alu instid0(VALU_DEP_2) | instskip(NEXT) | instid1(VALU_DEP_1)
	v_add_f64 v[25:26], v[11:12], v[17:18]
	v_add_f64 v[11:12], v[25:26], -v[11:12]
	s_delay_alu instid0(VALU_DEP_1) | instskip(SKIP_1) | instid1(VALU_DEP_2)
	v_add_f64 v[11:12], v[17:18], -v[11:12]
	v_fma_f64 v[17:18], v[25:26], v[15:16], v[25:26]
	v_fma_f64 v[11:12], v[25:26], v[15:16], v[11:12]
	s_delay_alu instid0(VALU_DEP_2) | instskip(NEXT) | instid1(VALU_DEP_2)
	v_mul_f64 v[15:16], v[17:18], -2.0
	v_add_f64 v[11:12], v[25:26], v[11:12]
	s_delay_alu instid0(VALU_DEP_2) | instskip(NEXT) | instid1(VALU_DEP_2)
	v_fma_f64 v[15:16], s[44:45], s[40:41], v[15:16]
	v_add_f64 v[11:12], v[11:12], v[11:12]
	s_delay_alu instid0(VALU_DEP_1) | instskip(NEXT) | instid1(VALU_DEP_2)
	v_cndmask_b32_e64 v12, v12, v16, s5
	v_cndmask_b32_e64 v11, v11, v15, s5
	v_cmp_neq_f64_e64 s5, -1.0, v[7:8]
	s_delay_alu instid0(VALU_DEP_1) | instskip(NEXT) | instid1(VALU_DEP_4)
	v_cndmask_b32_e64 v11, 0x54442d18, v11, s5
	v_cndmask_b32_e64 v12, 0x400921fb, v12, s5
	v_cmp_neq_f64_e64 s5, 1.0, v[7:8]
	s_delay_alu instid0(VALU_DEP_1) | instskip(NEXT) | instid1(VALU_DEP_4)
	v_cndmask_b32_e64 v12, 0, v12, s5
	v_cndmask_b32_e64 v11, 0, v11, s5
.LBB47_18:                              ;   in Loop: Header=BB47_4 Depth=1
	s_or_b32 exec_lo, exec_lo, s51
	v_fma_f64 v[17:18], |v[5:6]|, -0.5, 0.5
	v_mul_f64 v[7:8], v[5:6], v[5:6]
	v_cmp_ge_f64_e64 s5, |v[5:6]|, 0.5
	s_delay_alu instid0(VALU_DEP_1) | instskip(NEXT) | instid1(VALU_DEP_3)
	v_cndmask_b32_e64 v8, v8, v18, s5
	v_cndmask_b32_e64 v7, v7, v17, s5
	s_delay_alu instid0(VALU_DEP_1) | instskip(NEXT) | instid1(VALU_DEP_1)
	v_fma_f64 v[15:16], v[7:8], s[16:17], s[14:15]
	v_fma_f64 v[15:16], v[7:8], v[15:16], s[18:19]
	s_delay_alu instid0(VALU_DEP_1) | instskip(NEXT) | instid1(VALU_DEP_1)
	v_fma_f64 v[15:16], v[7:8], v[15:16], s[20:21]
	v_fma_f64 v[15:16], v[7:8], v[15:16], s[22:23]
	s_delay_alu instid0(VALU_DEP_1) | instskip(NEXT) | instid1(VALU_DEP_1)
	v_fma_f64 v[15:16], v[7:8], v[15:16], s[24:25]
	v_fma_f64 v[15:16], v[7:8], v[15:16], s[26:27]
	s_delay_alu instid0(VALU_DEP_1) | instskip(NEXT) | instid1(VALU_DEP_1)
	v_fma_f64 v[15:16], v[7:8], v[15:16], s[28:29]
	v_fma_f64 v[15:16], v[7:8], v[15:16], s[30:31]
	s_delay_alu instid0(VALU_DEP_1) | instskip(NEXT) | instid1(VALU_DEP_1)
	v_fma_f64 v[15:16], v[7:8], v[15:16], s[34:35]
	v_fma_f64 v[15:16], v[7:8], v[15:16], s[36:37]
	s_delay_alu instid0(VALU_DEP_1) | instskip(NEXT) | instid1(VALU_DEP_1)
	v_fma_f64 v[15:16], v[7:8], v[15:16], s[38:39]
	v_mul_f64 v[7:8], v[7:8], v[15:16]
	s_delay_alu instid0(VALU_DEP_1) | instskip(NEXT) | instid1(VALU_DEP_1)
	v_fma_f64 v[15:16], v[5:6], v[7:8], v[5:6]
	v_fma_f64 v[15:16], s[42:43], s[40:41], -v[15:16]
	s_and_saveexec_b32 s51, s5
	s_cbranch_execnz .LBB47_23
; %bb.19:                               ;   in Loop: Header=BB47_4 Depth=1
	s_or_b32 exec_lo, exec_lo, s51
	s_and_saveexec_b32 s5, vcc_lo
	s_delay_alu instid0(SALU_CYCLE_1)
	s_xor_b32 s5, exec_lo, s5
	s_cbranch_execnz .LBB47_24
.LBB47_20:                              ;   in Loop: Header=BB47_4 Depth=1
	s_or_b32 exec_lo, exec_lo, s5
	s_and_saveexec_b32 s5, s2
	s_cbranch_execnz .LBB47_25
.LBB47_21:                              ;   in Loop: Header=BB47_4 Depth=1
	s_or_b32 exec_lo, exec_lo, s5
	s_and_saveexec_b32 s2, s3
	s_cbranch_execnz .LBB47_26
.LBB47_22:                              ;   in Loop: Header=BB47_4 Depth=1
	s_or_b32 exec_lo, exec_lo, s2
	s_and_saveexec_b32 s2, s4
	s_cbranch_execz .LBB47_3
	s_branch .LBB47_27
.LBB47_23:                              ;   in Loop: Header=BB47_4 Depth=1
	v_rsq_f64_e32 v[15:16], v[17:18]
	v_cmp_eq_f64_e64 s5, 0, v[17:18]
	s_waitcnt_depctr 0xfff
	v_mul_f64 v[25:26], v[17:18], v[15:16]
	v_mul_f64 v[15:16], v[15:16], 0.5
	s_delay_alu instid0(VALU_DEP_1) | instskip(NEXT) | instid1(VALU_DEP_1)
	v_fma_f64 v[27:28], -v[15:16], v[25:26], 0.5
	v_fma_f64 v[25:26], v[25:26], v[27:28], v[25:26]
	v_fma_f64 v[15:16], v[15:16], v[27:28], v[15:16]
	s_delay_alu instid0(VALU_DEP_2) | instskip(NEXT) | instid1(VALU_DEP_1)
	v_fma_f64 v[27:28], -v[25:26], v[25:26], v[17:18]
	v_fma_f64 v[15:16], v[27:28], v[15:16], v[25:26]
	s_delay_alu instid0(VALU_DEP_1) | instskip(NEXT) | instid1(VALU_DEP_2)
	v_cndmask_b32_e64 v16, v16, v18, s5
	v_cndmask_b32_e64 v15, v15, v17, s5
	s_delay_alu instid0(VALU_DEP_1) | instskip(SKIP_1) | instid1(VALU_DEP_2)
	v_add_f64 v[25:26], v[15:16], v[15:16]
	v_mul_f64 v[27:28], v[15:16], v[15:16]
	v_rcp_f64_e32 v[29:30], v[25:26]
	s_delay_alu instid0(VALU_DEP_1) | instskip(SKIP_1) | instid1(VALU_DEP_2)
	v_add_f64 v[31:32], v[17:18], -v[27:28]
	v_fma_f64 v[35:36], v[15:16], v[15:16], -v[27:28]
	v_add_f64 v[17:18], v[17:18], -v[31:32]
	s_waitcnt_depctr 0xfff
	v_fma_f64 v[33:34], -v[25:26], v[29:30], 1.0
	v_add_f64 v[17:18], v[17:18], -v[27:28]
	s_delay_alu instid0(VALU_DEP_2) | instskip(NEXT) | instid1(VALU_DEP_2)
	v_fma_f64 v[27:28], v[33:34], v[29:30], v[29:30]
	v_add_f64 v[17:18], v[17:18], -v[35:36]
	s_delay_alu instid0(VALU_DEP_2) | instskip(NEXT) | instid1(VALU_DEP_2)
	v_fma_f64 v[29:30], -v[25:26], v[27:28], 1.0
	v_add_f64 v[17:18], v[31:32], v[17:18]
	s_delay_alu instid0(VALU_DEP_2) | instskip(NEXT) | instid1(VALU_DEP_1)
	v_fma_f64 v[27:28], v[29:30], v[27:28], v[27:28]
	v_mul_f64 v[29:30], v[17:18], v[27:28]
	s_delay_alu instid0(VALU_DEP_1) | instskip(NEXT) | instid1(VALU_DEP_1)
	v_fma_f64 v[17:18], -v[25:26], v[29:30], v[17:18]
	v_fma_f64 v[17:18], v[17:18], v[27:28], v[29:30]
	s_delay_alu instid0(VALU_DEP_1) | instskip(NEXT) | instid1(VALU_DEP_2)
	v_cndmask_b32_e64 v18, v18, 0, s5
	v_cndmask_b32_e64 v17, v17, 0, s5
	v_cmp_gt_f64_e64 s5, 0, v[5:6]
	s_delay_alu instid0(VALU_DEP_2) | instskip(NEXT) | instid1(VALU_DEP_1)
	v_add_f64 v[25:26], v[15:16], v[17:18]
	v_add_f64 v[15:16], v[25:26], -v[15:16]
	s_delay_alu instid0(VALU_DEP_1) | instskip(SKIP_1) | instid1(VALU_DEP_2)
	v_add_f64 v[15:16], v[17:18], -v[15:16]
	v_fma_f64 v[17:18], v[25:26], v[7:8], v[25:26]
	v_fma_f64 v[7:8], v[25:26], v[7:8], v[15:16]
	s_delay_alu instid0(VALU_DEP_2) | instskip(NEXT) | instid1(VALU_DEP_2)
	v_mul_f64 v[15:16], v[17:18], -2.0
	v_add_f64 v[7:8], v[25:26], v[7:8]
	s_delay_alu instid0(VALU_DEP_2) | instskip(NEXT) | instid1(VALU_DEP_2)
	v_fma_f64 v[15:16], s[44:45], s[40:41], v[15:16]
	v_add_f64 v[7:8], v[7:8], v[7:8]
	s_delay_alu instid0(VALU_DEP_1) | instskip(NEXT) | instid1(VALU_DEP_2)
	v_cndmask_b32_e64 v8, v8, v16, s5
	v_cndmask_b32_e64 v7, v7, v15, s5
	v_cmp_neq_f64_e64 s5, -1.0, v[5:6]
	s_delay_alu instid0(VALU_DEP_1) | instskip(NEXT) | instid1(VALU_DEP_4)
	v_cndmask_b32_e64 v7, 0x54442d18, v7, s5
	v_cndmask_b32_e64 v8, 0x400921fb, v8, s5
	v_cmp_neq_f64_e64 s5, 1.0, v[5:6]
	s_delay_alu instid0(VALU_DEP_1) | instskip(NEXT) | instid1(VALU_DEP_4)
	v_cndmask_b32_e64 v16, 0, v8, s5
	v_cndmask_b32_e64 v15, 0, v7, s5
	s_or_b32 exec_lo, exec_lo, s51
	s_and_saveexec_b32 s5, vcc_lo
	s_delay_alu instid0(SALU_CYCLE_1)
	s_xor_b32 s5, exec_lo, s5
	s_cbranch_execz .LBB47_20
.LBB47_24:                              ;   in Loop: Header=BB47_4 Depth=1
	global_store_b64 v[1:2], v[9:10], off
	s_or_b32 exec_lo, exec_lo, s5
	s_and_saveexec_b32 s5, s2
	s_cbranch_execz .LBB47_21
.LBB47_25:                              ;   in Loop: Header=BB47_4 Depth=1
	global_store_b64 v[3:4], v[13:14], off
	s_or_b32 exec_lo, exec_lo, s5
	s_and_saveexec_b32 s2, s3
	s_cbranch_execz .LBB47_22
.LBB47_26:                              ;   in Loop: Header=BB47_4 Depth=1
	v_add_co_u32 v5, vcc_lo, v1, s50
	v_add_co_ci_u32_e32 v6, vcc_lo, 0, v2, vcc_lo
	global_store_b64 v[5:6], v[11:12], off
	s_or_b32 exec_lo, exec_lo, s2
	s_and_saveexec_b32 s2, s4
	s_cbranch_execz .LBB47_3
.LBB47_27:                              ;   in Loop: Header=BB47_4 Depth=1
	v_add_co_u32 v5, vcc_lo, v1, s49
	v_add_co_ci_u32_e32 v6, vcc_lo, 0, v2, vcc_lo
	global_store_b64 v[5:6], v[15:16], off
	s_branch .LBB47_3
.LBB47_28:
	s_cbranch_execz .LBB47_30
	s_branch .LBB47_41
.LBB47_29:
.LBB47_30:
	v_dual_mov_b32 v13, 0 :: v_dual_lshlrev_b32 v12, 2, v0
	s_mov_b32 s33, 0
	s_mov_b32 s2, exec_lo
	s_delay_alu instid0(VALU_DEP_1)
	v_cmpx_gt_i64_e64 s[6:7], v[12:13]
	s_cbranch_execz .LBB47_41
; %bb.31:
	s_load_b32 s0, s[0:1], 0xd3c
	v_lshlrev_b32_e32 v1, 5, v0
	s_mov_b32 s2, 0x78a05eaf
	s_mov_b32 s4, 0x9fea6a70
	;; [unrolled: 1-line block ×18, first 2 shown]
	s_waitcnt lgkmcnt(0)
	s_and_b32 s0, s0, 0xffff
	s_mov_b32 s19, 0x3f8c6fa8
	s_lshl_b32 s1, s0, 2
	s_add_u32 s8, s8, s10
	v_add_lshl_u32 v12, v0, s0, 2
	s_addc_u32 s9, s9, s11
	v_add_co_u32 v0, s8, s8, v1
	s_delay_alu instid0(VALU_DEP_1) | instskip(SKIP_1) | instid1(VALU_DEP_2)
	v_add_co_ci_u32_e64 v1, null, s9, 0, s8
	s_mov_b32 s8, 0xc668963f
	v_add_co_u32 v14, vcc_lo, v0, 16
	s_delay_alu instid0(VALU_DEP_2)
	v_add_co_ci_u32_e32 v15, vcc_lo, 0, v1, vcc_lo
	s_mov_b32 s10, 0xb41ce4bd
	s_mov_b32 s21, 0x3f91c6c1
	s_mov_b32 s23, 0x3f96e89f
	s_mov_b32 s9, 0x3f9f1c72
	s_mov_b32 s11, 0x3fa6db6d
	s_mov_b32 s25, 0x3fb33333
	s_mov_b32 s27, 0x3fc55555
	s_mov_b32 s29, 0x3ffaf154
	s_mov_b32 s31, 0x3fedd9ad
	s_mov_b32 s35, 0x3ffdd9ad
	s_lshl_b32 s36, s0, 5
	s_branch .LBB47_33
.LBB47_32:                              ;   in Loop: Header=BB47_33 Depth=1
	s_or_b32 exec_lo, exec_lo, s0
	v_cmp_le_i64_e32 vcc_lo, s[6:7], v[12:13]
	v_cmp_lt_u64_e64 s0, 0xffff, v[12:13]
	s_clause 0x1
	global_store_b128 v[14:15], v[4:7], off offset:-16
	global_store_b128 v[14:15], v[8:11], off
	s_or_b32 s0, vcc_lo, s0
	v_add_co_u32 v12, vcc_lo, v12, s1
	v_add_co_ci_u32_e32 v13, vcc_lo, 0, v13, vcc_lo
	v_add_co_u32 v14, vcc_lo, v14, s36
	v_add_co_ci_u32_e32 v15, vcc_lo, 0, v15, vcc_lo
	s_and_b32 s0, exec_lo, s0
	s_delay_alu instid0(SALU_CYCLE_1) | instskip(NEXT) | instid1(SALU_CYCLE_1)
	s_or_b32 s33, s0, s33
	s_and_not1_b32 exec_lo, exec_lo, s33
	s_cbranch_execz .LBB47_41
.LBB47_33:                              ; =>This Inner Loop Header: Depth=1
	global_load_b128 v[6:9], v[14:15], off offset:-16
	s_waitcnt vmcnt(0)
	v_fma_f64 v[16:17], |v[6:7]|, -0.5, 0.5
	v_mul_f64 v[0:1], v[6:7], v[6:7]
	v_cmp_ge_f64_e64 vcc_lo, |v[6:7]|, 0.5
	s_delay_alu instid0(VALU_DEP_2) | instskip(NEXT) | instid1(VALU_DEP_1)
	v_dual_cndmask_b32 v5, v1, v17 :: v_dual_cndmask_b32 v4, v0, v16
	v_fma_f64 v[0:1], v[4:5], s[4:5], s[2:3]
	s_delay_alu instid0(VALU_DEP_1) | instskip(NEXT) | instid1(VALU_DEP_1)
	v_fma_f64 v[0:1], v[4:5], v[0:1], s[12:13]
	v_fma_f64 v[0:1], v[4:5], v[0:1], s[14:15]
	s_delay_alu instid0(VALU_DEP_1) | instskip(NEXT) | instid1(VALU_DEP_1)
	v_fma_f64 v[0:1], v[4:5], v[0:1], s[16:17]
	v_fma_f64 v[0:1], v[4:5], v[0:1], s[18:19]
	s_delay_alu instid0(VALU_DEP_1) | instskip(SKIP_2) | instid1(VALU_DEP_1)
	v_fma_f64 v[10:11], v[4:5], v[0:1], s[20:21]
	global_load_b128 v[0:3], v[14:15], off
	v_fma_f64 v[10:11], v[4:5], v[10:11], s[22:23]
	v_fma_f64 v[10:11], v[4:5], v[10:11], s[8:9]
	s_delay_alu instid0(VALU_DEP_1) | instskip(NEXT) | instid1(VALU_DEP_1)
	v_fma_f64 v[10:11], v[4:5], v[10:11], s[10:11]
	v_fma_f64 v[10:11], v[4:5], v[10:11], s[24:25]
	s_delay_alu instid0(VALU_DEP_1) | instskip(NEXT) | instid1(VALU_DEP_1)
	v_fma_f64 v[10:11], v[4:5], v[10:11], s[26:27]
	v_mul_f64 v[10:11], v[4:5], v[10:11]
	s_delay_alu instid0(VALU_DEP_1) | instskip(NEXT) | instid1(VALU_DEP_1)
	v_fma_f64 v[4:5], v[6:7], v[10:11], v[6:7]
	v_fma_f64 v[4:5], s[30:31], s[28:29], -v[4:5]
	s_and_saveexec_b32 s0, vcc_lo
	s_cbranch_execz .LBB47_35
; %bb.34:                               ;   in Loop: Header=BB47_33 Depth=1
	v_rsq_f64_e32 v[4:5], v[16:17]
	v_cmp_eq_f64_e32 vcc_lo, 0, v[16:17]
	s_waitcnt_depctr 0xfff
	v_mul_f64 v[18:19], v[16:17], v[4:5]
	v_mul_f64 v[4:5], v[4:5], 0.5
	s_delay_alu instid0(VALU_DEP_1) | instskip(NEXT) | instid1(VALU_DEP_1)
	v_fma_f64 v[20:21], -v[4:5], v[18:19], 0.5
	v_fma_f64 v[18:19], v[18:19], v[20:21], v[18:19]
	v_fma_f64 v[4:5], v[4:5], v[20:21], v[4:5]
	s_delay_alu instid0(VALU_DEP_2) | instskip(NEXT) | instid1(VALU_DEP_1)
	v_fma_f64 v[20:21], -v[18:19], v[18:19], v[16:17]
	v_fma_f64 v[4:5], v[20:21], v[4:5], v[18:19]
	s_delay_alu instid0(VALU_DEP_1) | instskip(NEXT) | instid1(VALU_DEP_1)
	v_dual_cndmask_b32 v5, v5, v17 :: v_dual_cndmask_b32 v4, v4, v16
	v_add_f64 v[18:19], v[4:5], v[4:5]
	v_mul_f64 v[20:21], v[4:5], v[4:5]
	s_delay_alu instid0(VALU_DEP_2) | instskip(NEXT) | instid1(VALU_DEP_1)
	v_rcp_f64_e32 v[22:23], v[18:19]
	v_add_f64 v[24:25], v[16:17], -v[20:21]
	v_fma_f64 v[28:29], v[4:5], v[4:5], -v[20:21]
	s_delay_alu instid0(VALU_DEP_2) | instskip(SKIP_3) | instid1(VALU_DEP_2)
	v_add_f64 v[16:17], v[16:17], -v[24:25]
	s_waitcnt_depctr 0xfff
	v_fma_f64 v[26:27], -v[18:19], v[22:23], 1.0
	v_add_f64 v[16:17], v[16:17], -v[20:21]
	v_fma_f64 v[20:21], v[26:27], v[22:23], v[22:23]
	s_delay_alu instid0(VALU_DEP_2) | instskip(NEXT) | instid1(VALU_DEP_2)
	v_add_f64 v[16:17], v[16:17], -v[28:29]
	v_fma_f64 v[22:23], -v[18:19], v[20:21], 1.0
	s_delay_alu instid0(VALU_DEP_2) | instskip(NEXT) | instid1(VALU_DEP_2)
	v_add_f64 v[16:17], v[24:25], v[16:17]
	v_fma_f64 v[20:21], v[22:23], v[20:21], v[20:21]
	s_delay_alu instid0(VALU_DEP_1) | instskip(NEXT) | instid1(VALU_DEP_1)
	v_mul_f64 v[22:23], v[16:17], v[20:21]
	v_fma_f64 v[16:17], -v[18:19], v[22:23], v[16:17]
	s_delay_alu instid0(VALU_DEP_1) | instskip(NEXT) | instid1(VALU_DEP_1)
	v_fma_f64 v[16:17], v[16:17], v[20:21], v[22:23]
	v_cndmask_b32_e64 v17, v17, 0, vcc_lo
	s_delay_alu instid0(VALU_DEP_2) | instskip(SKIP_1) | instid1(VALU_DEP_2)
	v_cndmask_b32_e64 v16, v16, 0, vcc_lo
	v_cmp_gt_f64_e32 vcc_lo, 0, v[6:7]
	v_add_f64 v[18:19], v[4:5], v[16:17]
	s_delay_alu instid0(VALU_DEP_1) | instskip(NEXT) | instid1(VALU_DEP_1)
	v_add_f64 v[4:5], v[18:19], -v[4:5]
	v_add_f64 v[4:5], v[16:17], -v[4:5]
	v_fma_f64 v[16:17], v[18:19], v[10:11], v[18:19]
	s_delay_alu instid0(VALU_DEP_2) | instskip(NEXT) | instid1(VALU_DEP_2)
	v_fma_f64 v[4:5], v[18:19], v[10:11], v[4:5]
	v_mul_f64 v[10:11], v[16:17], -2.0
	s_delay_alu instid0(VALU_DEP_2) | instskip(NEXT) | instid1(VALU_DEP_2)
	v_add_f64 v[4:5], v[18:19], v[4:5]
	v_fma_f64 v[10:11], s[34:35], s[28:29], v[10:11]
	s_delay_alu instid0(VALU_DEP_2) | instskip(NEXT) | instid1(VALU_DEP_1)
	v_add_f64 v[4:5], v[4:5], v[4:5]
	v_dual_cndmask_b32 v5, v5, v11 :: v_dual_cndmask_b32 v4, v4, v10
	v_cmp_neq_f64_e32 vcc_lo, -1.0, v[6:7]
	s_delay_alu instid0(VALU_DEP_2) | instskip(NEXT) | instid1(VALU_DEP_3)
	v_cndmask_b32_e32 v4, 0x54442d18, v4, vcc_lo
	v_cndmask_b32_e32 v5, 0x400921fb, v5, vcc_lo
	v_cmp_neq_f64_e32 vcc_lo, 1.0, v[6:7]
	s_delay_alu instid0(VALU_DEP_2)
	v_dual_cndmask_b32 v5, 0, v5 :: v_dual_cndmask_b32 v4, 0, v4
.LBB47_35:                              ;   in Loop: Header=BB47_33 Depth=1
	s_or_b32 exec_lo, exec_lo, s0
	v_fma_f64 v[16:17], |v[8:9]|, -0.5, 0.5
	v_mul_f64 v[6:7], v[8:9], v[8:9]
	v_cmp_ge_f64_e64 vcc_lo, |v[8:9]|, 0.5
	s_delay_alu instid0(VALU_DEP_2) | instskip(NEXT) | instid1(VALU_DEP_1)
	v_dual_cndmask_b32 v7, v7, v17 :: v_dual_cndmask_b32 v6, v6, v16
	v_fma_f64 v[10:11], v[6:7], s[4:5], s[2:3]
	s_delay_alu instid0(VALU_DEP_1) | instskip(NEXT) | instid1(VALU_DEP_1)
	v_fma_f64 v[10:11], v[6:7], v[10:11], s[12:13]
	v_fma_f64 v[10:11], v[6:7], v[10:11], s[14:15]
	s_delay_alu instid0(VALU_DEP_1) | instskip(NEXT) | instid1(VALU_DEP_1)
	v_fma_f64 v[10:11], v[6:7], v[10:11], s[16:17]
	;; [unrolled: 3-line block ×5, first 2 shown]
	v_fma_f64 v[10:11], v[6:7], v[10:11], s[26:27]
	s_delay_alu instid0(VALU_DEP_1) | instskip(NEXT) | instid1(VALU_DEP_1)
	v_mul_f64 v[10:11], v[6:7], v[10:11]
	v_fma_f64 v[6:7], v[8:9], v[10:11], v[8:9]
	s_delay_alu instid0(VALU_DEP_1)
	v_fma_f64 v[6:7], s[30:31], s[28:29], -v[6:7]
	s_and_saveexec_b32 s0, vcc_lo
	s_cbranch_execz .LBB47_37
; %bb.36:                               ;   in Loop: Header=BB47_33 Depth=1
	v_rsq_f64_e32 v[6:7], v[16:17]
	v_cmp_eq_f64_e32 vcc_lo, 0, v[16:17]
	s_waitcnt_depctr 0xfff
	v_mul_f64 v[18:19], v[16:17], v[6:7]
	v_mul_f64 v[6:7], v[6:7], 0.5
	s_delay_alu instid0(VALU_DEP_1) | instskip(NEXT) | instid1(VALU_DEP_1)
	v_fma_f64 v[20:21], -v[6:7], v[18:19], 0.5
	v_fma_f64 v[18:19], v[18:19], v[20:21], v[18:19]
	v_fma_f64 v[6:7], v[6:7], v[20:21], v[6:7]
	s_delay_alu instid0(VALU_DEP_2) | instskip(NEXT) | instid1(VALU_DEP_1)
	v_fma_f64 v[20:21], -v[18:19], v[18:19], v[16:17]
	v_fma_f64 v[6:7], v[20:21], v[6:7], v[18:19]
	s_delay_alu instid0(VALU_DEP_1) | instskip(NEXT) | instid1(VALU_DEP_1)
	v_dual_cndmask_b32 v7, v7, v17 :: v_dual_cndmask_b32 v6, v6, v16
	v_add_f64 v[18:19], v[6:7], v[6:7]
	v_mul_f64 v[20:21], v[6:7], v[6:7]
	s_delay_alu instid0(VALU_DEP_2) | instskip(NEXT) | instid1(VALU_DEP_1)
	v_rcp_f64_e32 v[22:23], v[18:19]
	v_add_f64 v[24:25], v[16:17], -v[20:21]
	v_fma_f64 v[28:29], v[6:7], v[6:7], -v[20:21]
	s_delay_alu instid0(VALU_DEP_2) | instskip(SKIP_3) | instid1(VALU_DEP_2)
	v_add_f64 v[16:17], v[16:17], -v[24:25]
	s_waitcnt_depctr 0xfff
	v_fma_f64 v[26:27], -v[18:19], v[22:23], 1.0
	v_add_f64 v[16:17], v[16:17], -v[20:21]
	v_fma_f64 v[20:21], v[26:27], v[22:23], v[22:23]
	s_delay_alu instid0(VALU_DEP_2) | instskip(NEXT) | instid1(VALU_DEP_2)
	v_add_f64 v[16:17], v[16:17], -v[28:29]
	v_fma_f64 v[22:23], -v[18:19], v[20:21], 1.0
	s_delay_alu instid0(VALU_DEP_2) | instskip(NEXT) | instid1(VALU_DEP_2)
	v_add_f64 v[16:17], v[24:25], v[16:17]
	v_fma_f64 v[20:21], v[22:23], v[20:21], v[20:21]
	s_delay_alu instid0(VALU_DEP_1) | instskip(NEXT) | instid1(VALU_DEP_1)
	v_mul_f64 v[22:23], v[16:17], v[20:21]
	v_fma_f64 v[16:17], -v[18:19], v[22:23], v[16:17]
	s_delay_alu instid0(VALU_DEP_1) | instskip(NEXT) | instid1(VALU_DEP_1)
	v_fma_f64 v[16:17], v[16:17], v[20:21], v[22:23]
	v_cndmask_b32_e64 v17, v17, 0, vcc_lo
	s_delay_alu instid0(VALU_DEP_2) | instskip(SKIP_1) | instid1(VALU_DEP_2)
	v_cndmask_b32_e64 v16, v16, 0, vcc_lo
	v_cmp_gt_f64_e32 vcc_lo, 0, v[8:9]
	v_add_f64 v[18:19], v[6:7], v[16:17]
	s_delay_alu instid0(VALU_DEP_1) | instskip(NEXT) | instid1(VALU_DEP_1)
	v_add_f64 v[6:7], v[18:19], -v[6:7]
	v_add_f64 v[6:7], v[16:17], -v[6:7]
	v_fma_f64 v[16:17], v[18:19], v[10:11], v[18:19]
	s_delay_alu instid0(VALU_DEP_2) | instskip(NEXT) | instid1(VALU_DEP_2)
	v_fma_f64 v[6:7], v[18:19], v[10:11], v[6:7]
	v_mul_f64 v[10:11], v[16:17], -2.0
	s_delay_alu instid0(VALU_DEP_2) | instskip(NEXT) | instid1(VALU_DEP_2)
	v_add_f64 v[6:7], v[18:19], v[6:7]
	v_fma_f64 v[10:11], s[34:35], s[28:29], v[10:11]
	s_delay_alu instid0(VALU_DEP_2) | instskip(NEXT) | instid1(VALU_DEP_1)
	v_add_f64 v[6:7], v[6:7], v[6:7]
	v_dual_cndmask_b32 v7, v7, v11 :: v_dual_cndmask_b32 v6, v6, v10
	v_cmp_neq_f64_e32 vcc_lo, -1.0, v[8:9]
	s_delay_alu instid0(VALU_DEP_2) | instskip(NEXT) | instid1(VALU_DEP_3)
	v_cndmask_b32_e32 v6, 0x54442d18, v6, vcc_lo
	v_cndmask_b32_e32 v7, 0x400921fb, v7, vcc_lo
	v_cmp_neq_f64_e32 vcc_lo, 1.0, v[8:9]
	s_delay_alu instid0(VALU_DEP_2)
	v_dual_cndmask_b32 v7, 0, v7 :: v_dual_cndmask_b32 v6, 0, v6
.LBB47_37:                              ;   in Loop: Header=BB47_33 Depth=1
	s_or_b32 exec_lo, exec_lo, s0
	s_waitcnt vmcnt(0)
	v_fma_f64 v[16:17], |v[0:1]|, -0.5, 0.5
	v_mul_f64 v[8:9], v[0:1], v[0:1]
	v_cmp_ge_f64_e64 vcc_lo, |v[0:1]|, 0.5
	s_delay_alu instid0(VALU_DEP_2) | instskip(NEXT) | instid1(VALU_DEP_1)
	v_dual_cndmask_b32 v9, v9, v17 :: v_dual_cndmask_b32 v8, v8, v16
	v_fma_f64 v[10:11], v[8:9], s[4:5], s[2:3]
	s_delay_alu instid0(VALU_DEP_1) | instskip(NEXT) | instid1(VALU_DEP_1)
	v_fma_f64 v[10:11], v[8:9], v[10:11], s[12:13]
	v_fma_f64 v[10:11], v[8:9], v[10:11], s[14:15]
	s_delay_alu instid0(VALU_DEP_1) | instskip(NEXT) | instid1(VALU_DEP_1)
	v_fma_f64 v[10:11], v[8:9], v[10:11], s[16:17]
	;; [unrolled: 3-line block ×5, first 2 shown]
	v_fma_f64 v[10:11], v[8:9], v[10:11], s[26:27]
	s_delay_alu instid0(VALU_DEP_1) | instskip(NEXT) | instid1(VALU_DEP_1)
	v_mul_f64 v[10:11], v[8:9], v[10:11]
	v_fma_f64 v[8:9], v[0:1], v[10:11], v[0:1]
	s_delay_alu instid0(VALU_DEP_1)
	v_fma_f64 v[8:9], s[30:31], s[28:29], -v[8:9]
	s_and_saveexec_b32 s0, vcc_lo
	s_cbranch_execz .LBB47_39
; %bb.38:                               ;   in Loop: Header=BB47_33 Depth=1
	v_rsq_f64_e32 v[8:9], v[16:17]
	v_cmp_eq_f64_e32 vcc_lo, 0, v[16:17]
	s_waitcnt_depctr 0xfff
	v_mul_f64 v[18:19], v[16:17], v[8:9]
	v_mul_f64 v[8:9], v[8:9], 0.5
	s_delay_alu instid0(VALU_DEP_1) | instskip(NEXT) | instid1(VALU_DEP_1)
	v_fma_f64 v[20:21], -v[8:9], v[18:19], 0.5
	v_fma_f64 v[18:19], v[18:19], v[20:21], v[18:19]
	v_fma_f64 v[8:9], v[8:9], v[20:21], v[8:9]
	s_delay_alu instid0(VALU_DEP_2) | instskip(NEXT) | instid1(VALU_DEP_1)
	v_fma_f64 v[20:21], -v[18:19], v[18:19], v[16:17]
	v_fma_f64 v[8:9], v[20:21], v[8:9], v[18:19]
	s_delay_alu instid0(VALU_DEP_1) | instskip(NEXT) | instid1(VALU_DEP_1)
	v_dual_cndmask_b32 v9, v9, v17 :: v_dual_cndmask_b32 v8, v8, v16
	v_add_f64 v[18:19], v[8:9], v[8:9]
	v_mul_f64 v[20:21], v[8:9], v[8:9]
	s_delay_alu instid0(VALU_DEP_2) | instskip(NEXT) | instid1(VALU_DEP_1)
	v_rcp_f64_e32 v[22:23], v[18:19]
	v_add_f64 v[24:25], v[16:17], -v[20:21]
	v_fma_f64 v[28:29], v[8:9], v[8:9], -v[20:21]
	s_delay_alu instid0(VALU_DEP_2) | instskip(SKIP_3) | instid1(VALU_DEP_2)
	v_add_f64 v[16:17], v[16:17], -v[24:25]
	s_waitcnt_depctr 0xfff
	v_fma_f64 v[26:27], -v[18:19], v[22:23], 1.0
	v_add_f64 v[16:17], v[16:17], -v[20:21]
	v_fma_f64 v[20:21], v[26:27], v[22:23], v[22:23]
	s_delay_alu instid0(VALU_DEP_2) | instskip(NEXT) | instid1(VALU_DEP_2)
	v_add_f64 v[16:17], v[16:17], -v[28:29]
	v_fma_f64 v[22:23], -v[18:19], v[20:21], 1.0
	s_delay_alu instid0(VALU_DEP_2) | instskip(NEXT) | instid1(VALU_DEP_2)
	v_add_f64 v[16:17], v[24:25], v[16:17]
	v_fma_f64 v[20:21], v[22:23], v[20:21], v[20:21]
	s_delay_alu instid0(VALU_DEP_1) | instskip(NEXT) | instid1(VALU_DEP_1)
	v_mul_f64 v[22:23], v[16:17], v[20:21]
	v_fma_f64 v[16:17], -v[18:19], v[22:23], v[16:17]
	s_delay_alu instid0(VALU_DEP_1) | instskip(NEXT) | instid1(VALU_DEP_1)
	v_fma_f64 v[16:17], v[16:17], v[20:21], v[22:23]
	v_cndmask_b32_e64 v17, v17, 0, vcc_lo
	s_delay_alu instid0(VALU_DEP_2) | instskip(SKIP_1) | instid1(VALU_DEP_2)
	v_cndmask_b32_e64 v16, v16, 0, vcc_lo
	v_cmp_gt_f64_e32 vcc_lo, 0, v[0:1]
	v_add_f64 v[18:19], v[8:9], v[16:17]
	s_delay_alu instid0(VALU_DEP_1) | instskip(NEXT) | instid1(VALU_DEP_1)
	v_add_f64 v[8:9], v[18:19], -v[8:9]
	v_add_f64 v[8:9], v[16:17], -v[8:9]
	v_fma_f64 v[16:17], v[18:19], v[10:11], v[18:19]
	s_delay_alu instid0(VALU_DEP_2) | instskip(NEXT) | instid1(VALU_DEP_2)
	v_fma_f64 v[8:9], v[18:19], v[10:11], v[8:9]
	v_mul_f64 v[10:11], v[16:17], -2.0
	s_delay_alu instid0(VALU_DEP_2) | instskip(NEXT) | instid1(VALU_DEP_2)
	v_add_f64 v[8:9], v[18:19], v[8:9]
	v_fma_f64 v[10:11], s[34:35], s[28:29], v[10:11]
	s_delay_alu instid0(VALU_DEP_2) | instskip(NEXT) | instid1(VALU_DEP_1)
	v_add_f64 v[8:9], v[8:9], v[8:9]
	v_dual_cndmask_b32 v9, v9, v11 :: v_dual_cndmask_b32 v8, v8, v10
	v_cmp_neq_f64_e32 vcc_lo, -1.0, v[0:1]
	s_delay_alu instid0(VALU_DEP_2) | instskip(NEXT) | instid1(VALU_DEP_3)
	v_cndmask_b32_e32 v8, 0x54442d18, v8, vcc_lo
	v_cndmask_b32_e32 v9, 0x400921fb, v9, vcc_lo
	v_cmp_neq_f64_e32 vcc_lo, 1.0, v[0:1]
	s_delay_alu instid0(VALU_DEP_2)
	v_dual_cndmask_b32 v9, 0, v9 :: v_dual_cndmask_b32 v8, 0, v8
.LBB47_39:                              ;   in Loop: Header=BB47_33 Depth=1
	s_or_b32 exec_lo, exec_lo, s0
	v_fma_f64 v[16:17], |v[2:3]|, -0.5, 0.5
	v_mul_f64 v[0:1], v[2:3], v[2:3]
	v_cmp_ge_f64_e64 vcc_lo, |v[2:3]|, 0.5
	s_delay_alu instid0(VALU_DEP_2) | instskip(NEXT) | instid1(VALU_DEP_1)
	v_dual_cndmask_b32 v1, v1, v17 :: v_dual_cndmask_b32 v0, v0, v16
	v_fma_f64 v[10:11], v[0:1], s[4:5], s[2:3]
	s_delay_alu instid0(VALU_DEP_1) | instskip(NEXT) | instid1(VALU_DEP_1)
	v_fma_f64 v[10:11], v[0:1], v[10:11], s[12:13]
	v_fma_f64 v[10:11], v[0:1], v[10:11], s[14:15]
	s_delay_alu instid0(VALU_DEP_1) | instskip(NEXT) | instid1(VALU_DEP_1)
	v_fma_f64 v[10:11], v[0:1], v[10:11], s[16:17]
	;; [unrolled: 3-line block ×5, first 2 shown]
	v_fma_f64 v[10:11], v[0:1], v[10:11], s[26:27]
	s_delay_alu instid0(VALU_DEP_1) | instskip(NEXT) | instid1(VALU_DEP_1)
	v_mul_f64 v[0:1], v[0:1], v[10:11]
	v_fma_f64 v[10:11], v[2:3], v[0:1], v[2:3]
	s_delay_alu instid0(VALU_DEP_1)
	v_fma_f64 v[10:11], s[30:31], s[28:29], -v[10:11]
	s_and_saveexec_b32 s0, vcc_lo
	s_cbranch_execz .LBB47_32
; %bb.40:                               ;   in Loop: Header=BB47_33 Depth=1
	v_rsq_f64_e32 v[10:11], v[16:17]
	v_cmp_eq_f64_e32 vcc_lo, 0, v[16:17]
	s_waitcnt_depctr 0xfff
	v_mul_f64 v[18:19], v[16:17], v[10:11]
	v_mul_f64 v[10:11], v[10:11], 0.5
	s_delay_alu instid0(VALU_DEP_1) | instskip(NEXT) | instid1(VALU_DEP_1)
	v_fma_f64 v[20:21], -v[10:11], v[18:19], 0.5
	v_fma_f64 v[18:19], v[18:19], v[20:21], v[18:19]
	v_fma_f64 v[10:11], v[10:11], v[20:21], v[10:11]
	s_delay_alu instid0(VALU_DEP_2) | instskip(NEXT) | instid1(VALU_DEP_1)
	v_fma_f64 v[20:21], -v[18:19], v[18:19], v[16:17]
	v_fma_f64 v[10:11], v[20:21], v[10:11], v[18:19]
	s_delay_alu instid0(VALU_DEP_1) | instskip(NEXT) | instid1(VALU_DEP_1)
	v_dual_cndmask_b32 v11, v11, v17 :: v_dual_cndmask_b32 v10, v10, v16
	v_add_f64 v[18:19], v[10:11], v[10:11]
	v_mul_f64 v[20:21], v[10:11], v[10:11]
	s_delay_alu instid0(VALU_DEP_2) | instskip(NEXT) | instid1(VALU_DEP_1)
	v_rcp_f64_e32 v[22:23], v[18:19]
	v_add_f64 v[24:25], v[16:17], -v[20:21]
	v_fma_f64 v[28:29], v[10:11], v[10:11], -v[20:21]
	s_delay_alu instid0(VALU_DEP_2) | instskip(SKIP_3) | instid1(VALU_DEP_2)
	v_add_f64 v[16:17], v[16:17], -v[24:25]
	s_waitcnt_depctr 0xfff
	v_fma_f64 v[26:27], -v[18:19], v[22:23], 1.0
	v_add_f64 v[16:17], v[16:17], -v[20:21]
	v_fma_f64 v[20:21], v[26:27], v[22:23], v[22:23]
	s_delay_alu instid0(VALU_DEP_2) | instskip(NEXT) | instid1(VALU_DEP_2)
	v_add_f64 v[16:17], v[16:17], -v[28:29]
	v_fma_f64 v[22:23], -v[18:19], v[20:21], 1.0
	s_delay_alu instid0(VALU_DEP_2) | instskip(NEXT) | instid1(VALU_DEP_2)
	v_add_f64 v[16:17], v[24:25], v[16:17]
	v_fma_f64 v[20:21], v[22:23], v[20:21], v[20:21]
	s_delay_alu instid0(VALU_DEP_1) | instskip(NEXT) | instid1(VALU_DEP_1)
	v_mul_f64 v[22:23], v[16:17], v[20:21]
	v_fma_f64 v[16:17], -v[18:19], v[22:23], v[16:17]
	s_delay_alu instid0(VALU_DEP_1) | instskip(NEXT) | instid1(VALU_DEP_1)
	v_fma_f64 v[16:17], v[16:17], v[20:21], v[22:23]
	v_cndmask_b32_e64 v17, v17, 0, vcc_lo
	s_delay_alu instid0(VALU_DEP_2) | instskip(SKIP_1) | instid1(VALU_DEP_2)
	v_cndmask_b32_e64 v16, v16, 0, vcc_lo
	v_cmp_gt_f64_e32 vcc_lo, 0, v[2:3]
	v_add_f64 v[18:19], v[10:11], v[16:17]
	s_delay_alu instid0(VALU_DEP_1) | instskip(NEXT) | instid1(VALU_DEP_1)
	v_add_f64 v[10:11], v[18:19], -v[10:11]
	v_add_f64 v[10:11], v[16:17], -v[10:11]
	v_fma_f64 v[16:17], v[18:19], v[0:1], v[18:19]
	s_delay_alu instid0(VALU_DEP_2) | instskip(NEXT) | instid1(VALU_DEP_2)
	v_fma_f64 v[0:1], v[18:19], v[0:1], v[10:11]
	v_mul_f64 v[10:11], v[16:17], -2.0
	s_delay_alu instid0(VALU_DEP_2) | instskip(NEXT) | instid1(VALU_DEP_2)
	v_add_f64 v[0:1], v[18:19], v[0:1]
	v_fma_f64 v[10:11], s[34:35], s[28:29], v[10:11]
	s_delay_alu instid0(VALU_DEP_2) | instskip(NEXT) | instid1(VALU_DEP_1)
	v_add_f64 v[0:1], v[0:1], v[0:1]
	v_dual_cndmask_b32 v1, v1, v11 :: v_dual_cndmask_b32 v0, v0, v10
	v_cmp_neq_f64_e32 vcc_lo, -1.0, v[2:3]
	s_delay_alu instid0(VALU_DEP_2) | instskip(NEXT) | instid1(VALU_DEP_3)
	v_cndmask_b32_e32 v0, 0x54442d18, v0, vcc_lo
	v_cndmask_b32_e32 v1, 0x400921fb, v1, vcc_lo
	v_cmp_neq_f64_e32 vcc_lo, 1.0, v[2:3]
	s_delay_alu instid0(VALU_DEP_2)
	v_dual_cndmask_b32 v11, 0, v1 :: v_dual_cndmask_b32 v10, 0, v0
	s_branch .LBB47_32
.LBB47_41:
	s_nop 0
	s_sendmsg sendmsg(MSG_DEALLOC_VGPRS)
	s_endpgm
	.section	.rodata,"a",@progbits
	.p2align	6, 0x0
	.amdhsa_kernel _ZN2at6native12_GLOBAL__N_125multi_tensor_apply_kernelINS1_18TensorListMetadataILi1EEENS1_14UnaryOpFunctorIdLi1ELi1ELi0EEEJNS0_4AcosIdEEEEEvT_T0_DpT1_
		.amdhsa_group_segment_fixed_size 0
		.amdhsa_private_segment_fixed_size 0
		.amdhsa_kernarg_size 3632
		.amdhsa_user_sgpr_count 15
		.amdhsa_user_sgpr_dispatch_ptr 0
		.amdhsa_user_sgpr_queue_ptr 0
		.amdhsa_user_sgpr_kernarg_segment_ptr 1
		.amdhsa_user_sgpr_dispatch_id 0
		.amdhsa_user_sgpr_private_segment_size 0
		.amdhsa_wavefront_size32 1
		.amdhsa_uses_dynamic_stack 0
		.amdhsa_enable_private_segment 0
		.amdhsa_system_sgpr_workgroup_id_x 1
		.amdhsa_system_sgpr_workgroup_id_y 0
		.amdhsa_system_sgpr_workgroup_id_z 0
		.amdhsa_system_sgpr_workgroup_info 0
		.amdhsa_system_vgpr_workitem_id 0
		.amdhsa_next_free_vgpr 37
		.amdhsa_next_free_sgpr 52
		.amdhsa_reserve_vcc 1
		.amdhsa_float_round_mode_32 0
		.amdhsa_float_round_mode_16_64 0
		.amdhsa_float_denorm_mode_32 3
		.amdhsa_float_denorm_mode_16_64 3
		.amdhsa_dx10_clamp 1
		.amdhsa_ieee_mode 1
		.amdhsa_fp16_overflow 0
		.amdhsa_workgroup_processor_mode 1
		.amdhsa_memory_ordered 1
		.amdhsa_forward_progress 0
		.amdhsa_shared_vgpr_count 0
		.amdhsa_exception_fp_ieee_invalid_op 0
		.amdhsa_exception_fp_denorm_src 0
		.amdhsa_exception_fp_ieee_div_zero 0
		.amdhsa_exception_fp_ieee_overflow 0
		.amdhsa_exception_fp_ieee_underflow 0
		.amdhsa_exception_fp_ieee_inexact 0
		.amdhsa_exception_int_div_zero 0
	.end_amdhsa_kernel
	.section	.text._ZN2at6native12_GLOBAL__N_125multi_tensor_apply_kernelINS1_18TensorListMetadataILi1EEENS1_14UnaryOpFunctorIdLi1ELi1ELi0EEEJNS0_4AcosIdEEEEEvT_T0_DpT1_,"axG",@progbits,_ZN2at6native12_GLOBAL__N_125multi_tensor_apply_kernelINS1_18TensorListMetadataILi1EEENS1_14UnaryOpFunctorIdLi1ELi1ELi0EEEJNS0_4AcosIdEEEEEvT_T0_DpT1_,comdat
.Lfunc_end47:
	.size	_ZN2at6native12_GLOBAL__N_125multi_tensor_apply_kernelINS1_18TensorListMetadataILi1EEENS1_14UnaryOpFunctorIdLi1ELi1ELi0EEEJNS0_4AcosIdEEEEEvT_T0_DpT1_, .Lfunc_end47-_ZN2at6native12_GLOBAL__N_125multi_tensor_apply_kernelINS1_18TensorListMetadataILi1EEENS1_14UnaryOpFunctorIdLi1ELi1ELi0EEEJNS0_4AcosIdEEEEEvT_T0_DpT1_
                                        ; -- End function
	.section	.AMDGPU.csdata,"",@progbits
; Kernel info:
; codeLenInByte = 6532
; NumSgprs: 54
; NumVgprs: 37
; ScratchSize: 0
; MemoryBound: 0
; FloatMode: 240
; IeeeMode: 1
; LDSByteSize: 0 bytes/workgroup (compile time only)
; SGPRBlocks: 6
; VGPRBlocks: 4
; NumSGPRsForWavesPerEU: 54
; NumVGPRsForWavesPerEU: 37
; Occupancy: 16
; WaveLimiterHint : 0
; COMPUTE_PGM_RSRC2:SCRATCH_EN: 0
; COMPUTE_PGM_RSRC2:USER_SGPR: 15
; COMPUTE_PGM_RSRC2:TRAP_HANDLER: 0
; COMPUTE_PGM_RSRC2:TGID_X_EN: 1
; COMPUTE_PGM_RSRC2:TGID_Y_EN: 0
; COMPUTE_PGM_RSRC2:TGID_Z_EN: 0
; COMPUTE_PGM_RSRC2:TIDIG_COMP_CNT: 0
	.section	.text._ZN2at6native12_GLOBAL__N_125multi_tensor_apply_kernelINS1_18TensorListMetadataILi1EEENS1_14UnaryOpFunctorIfLi1ELi1ELi0EEEJNS0_4AcosIfEEEEEvT_T0_DpT1_,"axG",@progbits,_ZN2at6native12_GLOBAL__N_125multi_tensor_apply_kernelINS1_18TensorListMetadataILi1EEENS1_14UnaryOpFunctorIfLi1ELi1ELi0EEEJNS0_4AcosIfEEEEEvT_T0_DpT1_,comdat
	.globl	_ZN2at6native12_GLOBAL__N_125multi_tensor_apply_kernelINS1_18TensorListMetadataILi1EEENS1_14UnaryOpFunctorIfLi1ELi1ELi0EEEJNS0_4AcosIfEEEEEvT_T0_DpT1_ ; -- Begin function _ZN2at6native12_GLOBAL__N_125multi_tensor_apply_kernelINS1_18TensorListMetadataILi1EEENS1_14UnaryOpFunctorIfLi1ELi1ELi0EEEJNS0_4AcosIfEEEEEvT_T0_DpT1_
	.p2align	8
	.type	_ZN2at6native12_GLOBAL__N_125multi_tensor_apply_kernelINS1_18TensorListMetadataILi1EEENS1_14UnaryOpFunctorIfLi1ELi1ELi0EEEJNS0_4AcosIfEEEEEvT_T0_DpT1_,@function
_ZN2at6native12_GLOBAL__N_125multi_tensor_apply_kernelINS1_18TensorListMetadataILi1EEENS1_14UnaryOpFunctorIfLi1ELi1ELi0EEEJNS0_4AcosIfEEEEEvT_T0_DpT1_: ; @_ZN2at6native12_GLOBAL__N_125multi_tensor_apply_kernelINS1_18TensorListMetadataILi1EEENS1_14UnaryOpFunctorIfLi1ELi1ELi0EEEJNS0_4AcosIfEEEEEvT_T0_DpT1_
; %bb.0:
	v_mov_b32_e32 v1, s15
	s_add_u32 s2, s0, s15
	s_mul_hi_u32 s3, s15, 3
	s_mul_i32 s15, s15, 3
	s_addc_u32 s4, s1, 0
	global_load_u8 v1, v1, s[0:1] offset:1760
	s_add_u32 s2, s2, s15
	s_addc_u32 s3, s4, s3
	s_mov_b32 s13, 0
	s_load_b32 s2, s[2:3], 0x820
	s_waitcnt vmcnt(0)
	v_readfirstlane_b32 s5, v1
	s_delay_alu instid0(VALU_DEP_1)
	s_lshl_b32 s3, s5, 3
	s_clause 0x1
	s_load_b64 s[8:9], s[0:1], s3 offset:0x0
	s_load_b64 s[4:5], s[0:1], s3 offset:0x370
	s_waitcnt lgkmcnt(0)
	s_ashr_i32 s3, s2, 31
	s_delay_alu instid0(SALU_CYCLE_1)
	s_lshl_b64 s[10:11], s[2:3], 18
	s_lshl_b64 s[2:3], s[2:3], 16
	s_and_b32 s12, s8, 15
	s_sub_u32 s6, s4, s2
	s_subb_u32 s7, s5, s3
	s_and_b32 s2, s4, 3
	s_mov_b32 s3, s13
	s_delay_alu instid0(SALU_CYCLE_1) | instskip(NEXT) | instid1(SALU_CYCLE_1)
	s_or_b64 s[2:3], s[12:13], s[2:3]
	s_cmp_eq_u64 s[2:3], 0
	s_cbranch_scc1 .LBB48_21
; %bb.1:
	v_cmp_lt_i64_e64 s2, s[6:7], 1
	s_delay_alu instid0(VALU_DEP_1)
	s_and_b32 vcc_lo, exec_lo, s2
	s_cbranch_vccnz .LBB48_20
; %bb.2:
	s_load_b32 s2, s[0:1], 0xd3c
	v_cmp_gt_u64_e64 s3, 0x10000, s[6:7]
	v_lshlrev_b32_e32 v1, 2, v0
	s_mov_b32 s20, 0x3d1c21a7
	s_waitcnt lgkmcnt(0)
	s_and_b32 s2, s2, 0xffff
	s_delay_alu instid0(VALU_DEP_2)
	s_and_b32 s3, s3, exec_lo
	v_add_co_u32 v5, s5, v0, s2
	s_cselect_b32 s13, s7, 0
	s_cselect_b32 s12, s6, 0x10000
	s_lshl_b32 s3, s2, 1
	s_lshl_b32 s16, s2, 2
	v_lshlrev_b32_e32 v3, 2, v5
	v_add_co_ci_u32_e64 v6, null, 0, 0, s5
	s_add_u32 s5, s8, s10
	v_add_co_u32 v9, s3, s3, v0
	s_mul_i32 s4, s2, 3
	s_addc_u32 s14, s9, s11
	v_add_co_ci_u32_e64 v10, null, 0, 0, s3
	v_add_co_u32 v1, s3, s5, v1
	v_add_co_u32 v7, s4, s4, v0
	v_add_co_ci_u32_e64 v2, null, s14, 0, s3
	v_add_co_u32 v3, s3, s5, v3
	v_add_co_ci_u32_e64 v8, null, 0, 0, s4
	v_add_co_ci_u32_e64 v4, null, s14, 0, s3
	s_mul_i32 s17, s2, 12
	s_lshl_b32 s18, s2, 4
	s_lshl_b32 s19, s2, 3
	s_mov_b64 s[14:15], 0
	s_branch .LBB48_4
.LBB48_3:                               ;   in Loop: Header=BB48_4 Depth=1
	s_or_b32 exec_lo, exec_lo, s3
	s_add_u32 s14, s14, s16
	s_addc_u32 s15, s15, 0
	v_add_co_u32 v1, vcc_lo, v1, s18
	v_cmp_lt_i64_e64 s2, s[14:15], s[6:7]
	v_cmp_gt_u64_e64 s3, 0x10000, s[14:15]
	v_add_co_ci_u32_e32 v2, vcc_lo, 0, v2, vcc_lo
	v_add_co_u32 v3, vcc_lo, v3, s18
	v_add_co_ci_u32_e32 v4, vcc_lo, 0, v4, vcc_lo
	s_delay_alu instid0(VALU_DEP_4) | instskip(NEXT) | instid1(SALU_CYCLE_1)
	s_and_b32 s2, s2, s3
	s_and_b32 vcc_lo, exec_lo, s2
	s_cbranch_vccz .LBB48_20
.LBB48_4:                               ; =>This Inner Loop Header: Depth=1
	s_waitcnt vmcnt(0)
	v_add_co_u32 v11, s2, v0, s14
	s_delay_alu instid0(VALU_DEP_1) | instskip(SKIP_1) | instid1(VALU_DEP_2)
	v_add_co_ci_u32_e64 v12, null, 0, s15, s2
	v_mov_b32_e32 v14, 0
	v_cmp_gt_u64_e64 s4, s[12:13], v[11:12]
	s_delay_alu instid0(VALU_DEP_1)
	s_and_saveexec_b32 s2, s4
	s_cbranch_execz .LBB48_6
; %bb.5:                                ;   in Loop: Header=BB48_4 Depth=1
	global_load_b32 v14, v[1:2], off
.LBB48_6:                               ;   in Loop: Header=BB48_4 Depth=1
	s_or_b32 exec_lo, exec_lo, s2
	v_add_co_u32 v11, vcc_lo, v5, s14
	v_add_co_ci_u32_e32 v12, vcc_lo, s15, v6, vcc_lo
	v_mov_b32_e32 v13, 0
	s_delay_alu instid0(VALU_DEP_2) | instskip(NEXT) | instid1(VALU_DEP_1)
	v_cmp_gt_u64_e64 s3, s[12:13], v[11:12]
	s_and_saveexec_b32 s2, s3
	s_cbranch_execz .LBB48_8
; %bb.7:                                ;   in Loop: Header=BB48_4 Depth=1
	global_load_b32 v13, v[3:4], off
.LBB48_8:                               ;   in Loop: Header=BB48_4 Depth=1
	s_or_b32 exec_lo, exec_lo, s2
	v_add_co_u32 v11, vcc_lo, v9, s14
	v_add_co_ci_u32_e32 v12, vcc_lo, s15, v10, vcc_lo
	s_delay_alu instid0(VALU_DEP_1) | instskip(SKIP_1) | instid1(VALU_DEP_2)
	v_cmp_gt_u64_e64 s2, s[12:13], v[11:12]
	v_dual_mov_b32 v11, 0 :: v_dual_mov_b32 v12, 0
	s_and_saveexec_b32 s5, s2
	s_cbranch_execz .LBB48_10
; %bb.9:                                ;   in Loop: Header=BB48_4 Depth=1
	v_add_co_u32 v15, vcc_lo, v1, s19
	v_add_co_ci_u32_e32 v16, vcc_lo, 0, v2, vcc_lo
	global_load_b32 v12, v[15:16], off
.LBB48_10:                              ;   in Loop: Header=BB48_4 Depth=1
	s_or_b32 exec_lo, exec_lo, s5
	v_add_co_u32 v15, vcc_lo, v7, s14
	v_add_co_ci_u32_e32 v16, vcc_lo, s15, v8, vcc_lo
	s_delay_alu instid0(VALU_DEP_1)
	v_cmp_gt_u64_e32 vcc_lo, s[12:13], v[15:16]
	s_and_saveexec_b32 s21, vcc_lo
	s_cbranch_execnz .LBB48_15
; %bb.11:                               ;   in Loop: Header=BB48_4 Depth=1
	s_or_b32 exec_lo, exec_lo, s21
	s_and_saveexec_b32 s21, s4
	s_cbranch_execnz .LBB48_16
.LBB48_12:                              ;   in Loop: Header=BB48_4 Depth=1
	s_or_b32 exec_lo, exec_lo, s21
	s_and_saveexec_b32 s5, s3
	s_cbranch_execnz .LBB48_17
.LBB48_13:                              ;   in Loop: Header=BB48_4 Depth=1
	s_or_b32 exec_lo, exec_lo, s5
	s_and_saveexec_b32 s4, s2
	s_cbranch_execnz .LBB48_18
.LBB48_14:                              ;   in Loop: Header=BB48_4 Depth=1
	s_or_b32 exec_lo, exec_lo, s4
	s_and_saveexec_b32 s3, vcc_lo
	s_cbranch_execz .LBB48_3
	s_branch .LBB48_19
.LBB48_15:                              ;   in Loop: Header=BB48_4 Depth=1
	v_add_co_u32 v15, s5, v1, s17
	s_delay_alu instid0(VALU_DEP_1)
	v_add_co_ci_u32_e64 v16, s5, 0, v2, s5
	global_load_b32 v11, v[15:16], off
	s_or_b32 exec_lo, exec_lo, s21
	s_and_saveexec_b32 s21, s4
	s_cbranch_execz .LBB48_12
.LBB48_16:                              ;   in Loop: Header=BB48_4 Depth=1
	s_waitcnt vmcnt(0)
	v_fma_f32 v15, |v14|, -0.5, 0.5
	v_mul_f32_e32 v16, v14, v14
	v_cmp_gt_f32_e64 s4, |v14|, 0.5
	v_cmp_gt_f32_e64 s5, 0, v14
	s_delay_alu instid0(VALU_DEP_2) | instskip(NEXT) | instid1(VALU_DEP_1)
	v_cndmask_b32_e64 v15, v16, v15, s4
	v_fmaak_f32 v16, s20, v15, 0x3c5fc5da
	v_sqrt_f32_e32 v17, v15
	s_delay_alu instid0(VALU_DEP_1) | instskip(NEXT) | instid1(VALU_DEP_1)
	v_fmaak_f32 v16, v15, v16, 0x3d034c3c
	v_fmaak_f32 v16, v15, v16, 0x3d3641b1
	s_delay_alu instid0(VALU_DEP_1) | instskip(NEXT) | instid1(VALU_DEP_1)
	v_fmaak_f32 v16, v15, v16, 0x3d999bc8
	v_fmaak_f32 v16, v15, v16, 0x3e2aaaac
	s_delay_alu instid0(VALU_DEP_1) | instskip(SKIP_2) | instid1(VALU_DEP_1)
	v_mul_f32_e32 v15, v15, v16
	s_waitcnt_depctr 0xfff
	v_fmac_f32_e32 v17, v17, v15
	v_add_f32_e32 v16, v17, v17
	s_delay_alu instid0(VALU_DEP_1) | instskip(NEXT) | instid1(VALU_DEP_1)
	v_dual_fmac_f32 v14, v14, v15 :: v_dual_sub_f32 v17, 0x40490fdb, v16
	v_sub_f32_e32 v14, 0x3fc90fdb, v14
	s_delay_alu instid0(VALU_DEP_2) | instskip(NEXT) | instid1(VALU_DEP_1)
	v_cndmask_b32_e64 v15, v16, v17, s5
	v_cndmask_b32_e64 v14, v14, v15, s4
	global_store_b32 v[1:2], v14, off
	s_or_b32 exec_lo, exec_lo, s21
	s_and_saveexec_b32 s5, s3
	s_cbranch_execz .LBB48_13
.LBB48_17:                              ;   in Loop: Header=BB48_4 Depth=1
	s_waitcnt vmcnt(0)
	v_fma_f32 v14, |v13|, -0.5, 0.5
	v_mul_f32_e32 v15, v13, v13
	v_cmp_gt_f32_e64 s3, |v13|, 0.5
	v_cmp_gt_f32_e64 s4, 0, v13
	s_delay_alu instid0(VALU_DEP_2) | instskip(NEXT) | instid1(VALU_DEP_1)
	v_cndmask_b32_e64 v14, v15, v14, s3
	v_fmaak_f32 v15, s20, v14, 0x3c5fc5da
	v_sqrt_f32_e32 v16, v14
	s_delay_alu instid0(VALU_DEP_1) | instskip(NEXT) | instid1(VALU_DEP_1)
	v_fmaak_f32 v15, v14, v15, 0x3d034c3c
	v_fmaak_f32 v15, v14, v15, 0x3d3641b1
	s_delay_alu instid0(VALU_DEP_1) | instskip(NEXT) | instid1(VALU_DEP_1)
	v_fmaak_f32 v15, v14, v15, 0x3d999bc8
	v_fmaak_f32 v15, v14, v15, 0x3e2aaaac
	s_delay_alu instid0(VALU_DEP_1) | instskip(SKIP_2) | instid1(VALU_DEP_1)
	v_mul_f32_e32 v14, v14, v15
	s_waitcnt_depctr 0xfff
	v_fmac_f32_e32 v16, v16, v14
	v_add_f32_e32 v15, v16, v16
	s_delay_alu instid0(VALU_DEP_1) | instskip(NEXT) | instid1(VALU_DEP_1)
	v_dual_fmac_f32 v13, v13, v14 :: v_dual_sub_f32 v16, 0x40490fdb, v15
	v_sub_f32_e32 v13, 0x3fc90fdb, v13
	s_delay_alu instid0(VALU_DEP_2) | instskip(NEXT) | instid1(VALU_DEP_1)
	v_cndmask_b32_e64 v14, v15, v16, s4
	v_cndmask_b32_e64 v13, v13, v14, s3
	global_store_b32 v[3:4], v13, off
	s_or_b32 exec_lo, exec_lo, s5
	s_and_saveexec_b32 s4, s2
	s_cbranch_execz .LBB48_14
.LBB48_18:                              ;   in Loop: Header=BB48_4 Depth=1
	s_waitcnt vmcnt(0)
	v_fma_f32 v13, |v12|, -0.5, 0.5
	v_mul_f32_e32 v14, v12, v12
	v_cmp_gt_f32_e64 s2, |v12|, 0.5
	v_cmp_gt_f32_e64 s3, 0, v12
	s_delay_alu instid0(VALU_DEP_2) | instskip(NEXT) | instid1(VALU_DEP_1)
	v_cndmask_b32_e64 v13, v14, v13, s2
	v_fmaak_f32 v14, s20, v13, 0x3c5fc5da
	v_sqrt_f32_e32 v15, v13
	s_delay_alu instid0(VALU_DEP_1) | instskip(NEXT) | instid1(VALU_DEP_1)
	v_fmaak_f32 v14, v13, v14, 0x3d034c3c
	v_fmaak_f32 v14, v13, v14, 0x3d3641b1
	s_delay_alu instid0(VALU_DEP_1) | instskip(NEXT) | instid1(VALU_DEP_1)
	v_fmaak_f32 v14, v13, v14, 0x3d999bc8
	v_fmaak_f32 v14, v13, v14, 0x3e2aaaac
	s_delay_alu instid0(VALU_DEP_1) | instskip(SKIP_2) | instid1(VALU_DEP_1)
	v_mul_f32_e32 v13, v13, v14
	s_waitcnt_depctr 0xfff
	v_fmac_f32_e32 v15, v15, v13
	v_add_f32_e32 v14, v15, v15
	s_delay_alu instid0(VALU_DEP_1) | instskip(NEXT) | instid1(VALU_DEP_1)
	v_dual_fmac_f32 v12, v12, v13 :: v_dual_sub_f32 v15, 0x40490fdb, v14
	v_sub_f32_e32 v12, 0x3fc90fdb, v12
	s_delay_alu instid0(VALU_DEP_2) | instskip(NEXT) | instid1(VALU_DEP_1)
	v_cndmask_b32_e64 v13, v14, v15, s3
	v_cndmask_b32_e64 v14, v12, v13, s2
	v_add_co_u32 v12, s2, v1, s19
	s_delay_alu instid0(VALU_DEP_1)
	v_add_co_ci_u32_e64 v13, s2, 0, v2, s2
	global_store_b32 v[12:13], v14, off
	s_or_b32 exec_lo, exec_lo, s4
	s_and_saveexec_b32 s3, vcc_lo
	s_cbranch_execz .LBB48_3
.LBB48_19:                              ;   in Loop: Header=BB48_4 Depth=1
	s_waitcnt vmcnt(0)
	v_fma_f32 v12, |v11|, -0.5, 0.5
	v_mul_f32_e32 v13, v11, v11
	v_cmp_gt_f32_e64 vcc_lo, |v11|, 0.5
	v_cmp_gt_f32_e64 s2, 0, v11
	s_delay_alu instid0(VALU_DEP_3) | instskip(NEXT) | instid1(VALU_DEP_1)
	v_cndmask_b32_e32 v12, v13, v12, vcc_lo
	v_fmaak_f32 v13, s20, v12, 0x3c5fc5da
	v_sqrt_f32_e32 v14, v12
	s_delay_alu instid0(VALU_DEP_1) | instskip(NEXT) | instid1(VALU_DEP_1)
	v_fmaak_f32 v13, v12, v13, 0x3d034c3c
	v_fmaak_f32 v13, v12, v13, 0x3d3641b1
	s_delay_alu instid0(VALU_DEP_1) | instskip(NEXT) | instid1(VALU_DEP_1)
	v_fmaak_f32 v13, v12, v13, 0x3d999bc8
	v_fmaak_f32 v13, v12, v13, 0x3e2aaaac
	s_delay_alu instid0(VALU_DEP_1) | instskip(NEXT) | instid1(VALU_DEP_1)
	v_mul_f32_e32 v12, v12, v13
	v_fmac_f32_e32 v11, v11, v12
	s_delay_alu instid0(TRANS32_DEP_1) | instid1(VALU_DEP_1)
	v_dual_sub_f32 v11, 0x3fc90fdb, v11 :: v_dual_fmac_f32 v14, v14, v12
	s_delay_alu instid0(VALU_DEP_1) | instskip(NEXT) | instid1(VALU_DEP_1)
	v_add_f32_e32 v13, v14, v14
	v_sub_f32_e32 v14, 0x40490fdb, v13
	s_delay_alu instid0(VALU_DEP_1) | instskip(NEXT) | instid1(VALU_DEP_1)
	v_cndmask_b32_e64 v12, v13, v14, s2
	v_cndmask_b32_e32 v13, v11, v12, vcc_lo
	v_add_co_u32 v11, vcc_lo, v1, s17
	v_add_co_ci_u32_e32 v12, vcc_lo, 0, v2, vcc_lo
	global_store_b32 v[11:12], v13, off
	s_branch .LBB48_3
.LBB48_20:
	s_cbranch_execz .LBB48_22
	s_branch .LBB48_25
.LBB48_21:
.LBB48_22:
	v_dual_mov_b32 v2, 0 :: v_dual_lshlrev_b32 v1, 2, v0
	s_mov_b32 s12, 0
	s_mov_b32 s2, exec_lo
	s_delay_alu instid0(VALU_DEP_1)
	v_cmpx_gt_i64_e64 s[6:7], v[1:2]
	s_cbranch_execz .LBB48_25
; %bb.23:
	s_load_b32 s0, s[0:1], 0xd3c
	v_lshlrev_b32_e32 v1, 4, v0
	s_waitcnt lgkmcnt(0)
	s_and_b32 s0, s0, 0xffff
	s_delay_alu instid0(SALU_CYCLE_1) | instskip(SKIP_3) | instid1(VALU_DEP_1)
	s_lshl_b32 s13, s0, 2
	s_add_u32 s1, s8, s10
	s_addc_u32 s2, s9, s11
	v_add_co_u32 v3, s1, s1, v1
	v_add_co_ci_u32_e64 v4, null, s2, 0, s1
	v_add_lshl_u32 v1, v0, s0, 2
	s_delay_alu instid0(VALU_DEP_3) | instskip(NEXT) | instid1(VALU_DEP_3)
	v_add_co_u32 v3, vcc_lo, v3, 8
	v_add_co_ci_u32_e32 v4, vcc_lo, 0, v4, vcc_lo
	s_lshl_b32 s8, s0, 4
	s_mov_b32 s9, 0x3d1c21a7
.LBB48_24:                              ; =>This Inner Loop Header: Depth=1
	global_load_b128 v[5:8], v[3:4], off offset:-8
	v_cmp_le_i64_e64 s3, s[6:7], v[1:2]
	s_waitcnt vmcnt(0)
	v_fma_f32 v0, |v5|, -0.5, 0.5
	v_mul_f32_e32 v9, v5, v5
	v_fma_f32 v10, |v6|, -0.5, 0.5
	v_fma_f32 v12, |v7|, -0.5, 0.5
	v_mul_f32_e32 v13, v7, v7
	v_cmp_gt_f32_e64 vcc_lo, |v5|, 0.5
	v_mul_f32_e32 v11, v6, v6
	v_cmp_gt_f32_e64 s0, |v6|, 0.5
	v_cmp_gt_f32_e64 s1, |v7|, 0.5
	v_fma_f32 v14, |v8|, -0.5, 0.5
	v_cndmask_b32_e32 v0, v9, v0, vcc_lo
	v_cmp_gt_f32_e64 s2, |v8|, 0.5
	v_cndmask_b32_e64 v9, v11, v10, s0
	v_cndmask_b32_e64 v10, v13, v12, s1
	v_mul_f32_e32 v15, v8, v8
	v_fmaak_f32 v12, s9, v0, 0x3c5fc5da
	v_sqrt_f32_e32 v16, v0
	v_sqrt_f32_e32 v17, v9
	v_sqrt_f32_e32 v18, v10
	v_cndmask_b32_e64 v11, v15, v14, s2
	v_fmaak_f32 v14, s9, v10, 0x3c5fc5da
	v_fmaak_f32 v12, v0, v12, 0x3d034c3c
	v_cmp_gt_f32_e64 s5, 0, v5
	v_cmp_gt_f32_e64 s4, 0, v8
	s_delay_alu instid0(VALU_DEP_4) | instskip(NEXT) | instid1(VALU_DEP_4)
	v_fmaak_f32 v14, v10, v14, 0x3d034c3c
	v_fmaak_f32 v12, v0, v12, 0x3d3641b1
	s_delay_alu instid0(VALU_DEP_2) | instskip(NEXT) | instid1(VALU_DEP_2)
	v_fmaak_f32 v14, v10, v14, 0x3d3641b1
	v_fmaak_f32 v12, v0, v12, 0x3d999bc8
	s_delay_alu instid0(VALU_DEP_2) | instskip(NEXT) | instid1(VALU_DEP_2)
	v_fmaak_f32 v14, v10, v14, 0x3d999bc8
	v_fmaak_f32 v12, v0, v12, 0x3e2aaaac
	;; [unrolled: 1-line block ×3, first 2 shown]
	s_delay_alu instid0(VALU_DEP_3) | instskip(NEXT) | instid1(VALU_DEP_3)
	v_fmaak_f32 v14, v10, v14, 0x3e2aaaac
	v_dual_fmaak_f32 v15, s9, v11, 0x3c5fc5da :: v_dual_mul_f32 v0, v0, v12
	s_delay_alu instid0(VALU_DEP_3) | instskip(SKIP_1) | instid1(VALU_DEP_2)
	v_fmaak_f32 v13, v9, v13, 0x3d034c3c
	v_sqrt_f32_e32 v12, v11
	v_dual_mul_f32 v10, v10, v14 :: v_dual_fmaak_f32 v15, v11, v15, 0x3d034c3c
	s_delay_alu instid0(VALU_DEP_2) | instskip(SKIP_1) | instid1(VALU_DEP_3)
	v_dual_fmac_f32 v16, v16, v0 :: v_dual_fmaak_f32 v13, v9, v13, 0x3d3641b1
	v_fma_f32 v0, v5, v0, v5
	v_dual_fmac_f32 v18, v18, v10 :: v_dual_fmaak_f32 v15, v11, v15, 0x3d3641b1
	v_fma_f32 v10, v7, v10, v7
	s_delay_alu instid0(VALU_DEP_4) | instskip(NEXT) | instid1(VALU_DEP_4)
	v_fmaak_f32 v13, v9, v13, 0x3d999bc8
	v_sub_f32_e32 v0, 0x3fc90fdb, v0
	s_delay_alu instid0(VALU_DEP_4) | instskip(NEXT) | instid1(VALU_DEP_3)
	v_fmaak_f32 v15, v11, v15, 0x3d999bc8
	v_fmaak_f32 v13, v9, v13, 0x3e2aaaac
	s_delay_alu instid0(VALU_DEP_2) | instskip(NEXT) | instid1(VALU_DEP_2)
	v_fmaak_f32 v15, v11, v15, 0x3e2aaaac
	v_mul_f32_e32 v9, v9, v13
	s_delay_alu instid0(VALU_DEP_2) | instskip(NEXT) | instid1(VALU_DEP_2)
	v_mul_f32_e32 v11, v11, v15
	v_fmac_f32_e32 v17, v17, v9
	v_fma_f32 v9, v6, v9, v6
	s_delay_alu instid0(VALU_DEP_3) | instskip(NEXT) | instid1(VALU_DEP_3)
	v_fmac_f32_e32 v12, v12, v11
	v_dual_add_f32 v13, v16, v16 :: v_dual_add_f32 v14, v17, v17
	v_add_f32_e32 v15, v18, v18
	s_delay_alu instid0(VALU_DEP_3) | instskip(NEXT) | instid1(VALU_DEP_3)
	v_dual_sub_f32 v9, 0x3fc90fdb, v9 :: v_dual_add_f32 v12, v12, v12
	v_dual_sub_f32 v16, 0x40490fdb, v13 :: v_dual_sub_f32 v17, 0x40490fdb, v14
	s_delay_alu instid0(VALU_DEP_3) | instskip(NEXT) | instid1(VALU_DEP_3)
	v_sub_f32_e32 v18, 0x40490fdb, v15
	v_dual_fmac_f32 v8, v8, v11 :: v_dual_sub_f32 v19, 0x40490fdb, v12
	s_delay_alu instid0(VALU_DEP_3) | instskip(SKIP_2) | instid1(VALU_DEP_4)
	v_cndmask_b32_e64 v5, v13, v16, s5
	v_cmp_gt_f32_e64 s5, 0, v6
	v_sub_f32_e32 v10, 0x3fc90fdb, v10
	v_sub_f32_e32 v8, 0x3fc90fdb, v8
	v_cndmask_b32_e64 v11, v12, v19, s4
	v_cndmask_b32_e32 v5, v0, v5, vcc_lo
	v_cndmask_b32_e64 v6, v14, v17, s5
	v_cmp_gt_f32_e64 s5, 0, v7
	v_cmp_lt_u64_e64 s4, 0xffff, v[1:2]
	v_cndmask_b32_e64 v8, v8, v11, s2
	v_add_co_u32 v1, vcc_lo, v1, s13
	s_delay_alu instid0(VALU_DEP_4) | instskip(SKIP_3) | instid1(VALU_DEP_3)
	v_cndmask_b32_e64 v7, v15, v18, s5
	v_cndmask_b32_e64 v6, v9, v6, s0
	v_add_co_ci_u32_e32 v2, vcc_lo, 0, v2, vcc_lo
	s_or_b32 s0, s3, s4
	v_cndmask_b32_e64 v7, v10, v7, s1
	s_and_b32 s0, exec_lo, s0
	s_delay_alu instid0(SALU_CYCLE_1)
	s_or_b32 s12, s0, s12
	global_store_b128 v[3:4], v[5:8], off offset:-8
	v_add_co_u32 v3, vcc_lo, v3, s8
	v_add_co_ci_u32_e32 v4, vcc_lo, 0, v4, vcc_lo
	s_and_not1_b32 exec_lo, exec_lo, s12
	s_cbranch_execnz .LBB48_24
.LBB48_25:
	s_nop 0
	s_sendmsg sendmsg(MSG_DEALLOC_VGPRS)
	s_endpgm
	.section	.rodata,"a",@progbits
	.p2align	6, 0x0
	.amdhsa_kernel _ZN2at6native12_GLOBAL__N_125multi_tensor_apply_kernelINS1_18TensorListMetadataILi1EEENS1_14UnaryOpFunctorIfLi1ELi1ELi0EEEJNS0_4AcosIfEEEEEvT_T0_DpT1_
		.amdhsa_group_segment_fixed_size 0
		.amdhsa_private_segment_fixed_size 0
		.amdhsa_kernarg_size 3632
		.amdhsa_user_sgpr_count 15
		.amdhsa_user_sgpr_dispatch_ptr 0
		.amdhsa_user_sgpr_queue_ptr 0
		.amdhsa_user_sgpr_kernarg_segment_ptr 1
		.amdhsa_user_sgpr_dispatch_id 0
		.amdhsa_user_sgpr_private_segment_size 0
		.amdhsa_wavefront_size32 1
		.amdhsa_uses_dynamic_stack 0
		.amdhsa_enable_private_segment 0
		.amdhsa_system_sgpr_workgroup_id_x 1
		.amdhsa_system_sgpr_workgroup_id_y 0
		.amdhsa_system_sgpr_workgroup_id_z 0
		.amdhsa_system_sgpr_workgroup_info 0
		.amdhsa_system_vgpr_workitem_id 0
		.amdhsa_next_free_vgpr 20
		.amdhsa_next_free_sgpr 22
		.amdhsa_reserve_vcc 1
		.amdhsa_float_round_mode_32 0
		.amdhsa_float_round_mode_16_64 0
		.amdhsa_float_denorm_mode_32 3
		.amdhsa_float_denorm_mode_16_64 3
		.amdhsa_dx10_clamp 1
		.amdhsa_ieee_mode 1
		.amdhsa_fp16_overflow 0
		.amdhsa_workgroup_processor_mode 1
		.amdhsa_memory_ordered 1
		.amdhsa_forward_progress 0
		.amdhsa_shared_vgpr_count 0
		.amdhsa_exception_fp_ieee_invalid_op 0
		.amdhsa_exception_fp_denorm_src 0
		.amdhsa_exception_fp_ieee_div_zero 0
		.amdhsa_exception_fp_ieee_overflow 0
		.amdhsa_exception_fp_ieee_underflow 0
		.amdhsa_exception_fp_ieee_inexact 0
		.amdhsa_exception_int_div_zero 0
	.end_amdhsa_kernel
	.section	.text._ZN2at6native12_GLOBAL__N_125multi_tensor_apply_kernelINS1_18TensorListMetadataILi1EEENS1_14UnaryOpFunctorIfLi1ELi1ELi0EEEJNS0_4AcosIfEEEEEvT_T0_DpT1_,"axG",@progbits,_ZN2at6native12_GLOBAL__N_125multi_tensor_apply_kernelINS1_18TensorListMetadataILi1EEENS1_14UnaryOpFunctorIfLi1ELi1ELi0EEEJNS0_4AcosIfEEEEEvT_T0_DpT1_,comdat
.Lfunc_end48:
	.size	_ZN2at6native12_GLOBAL__N_125multi_tensor_apply_kernelINS1_18TensorListMetadataILi1EEENS1_14UnaryOpFunctorIfLi1ELi1ELi0EEEJNS0_4AcosIfEEEEEvT_T0_DpT1_, .Lfunc_end48-_ZN2at6native12_GLOBAL__N_125multi_tensor_apply_kernelINS1_18TensorListMetadataILi1EEENS1_14UnaryOpFunctorIfLi1ELi1ELi0EEEJNS0_4AcosIfEEEEEvT_T0_DpT1_
                                        ; -- End function
	.section	.AMDGPU.csdata,"",@progbits
; Kernel info:
; codeLenInByte = 2252
; NumSgprs: 24
; NumVgprs: 20
; ScratchSize: 0
; MemoryBound: 0
; FloatMode: 240
; IeeeMode: 1
; LDSByteSize: 0 bytes/workgroup (compile time only)
; SGPRBlocks: 2
; VGPRBlocks: 2
; NumSGPRsForWavesPerEU: 24
; NumVGPRsForWavesPerEU: 20
; Occupancy: 16
; WaveLimiterHint : 0
; COMPUTE_PGM_RSRC2:SCRATCH_EN: 0
; COMPUTE_PGM_RSRC2:USER_SGPR: 15
; COMPUTE_PGM_RSRC2:TRAP_HANDLER: 0
; COMPUTE_PGM_RSRC2:TGID_X_EN: 1
; COMPUTE_PGM_RSRC2:TGID_Y_EN: 0
; COMPUTE_PGM_RSRC2:TGID_Z_EN: 0
; COMPUTE_PGM_RSRC2:TIDIG_COMP_CNT: 0
	.section	.text._ZN2at6native12_GLOBAL__N_125multi_tensor_apply_kernelINS1_18TensorListMetadataILi1EEENS1_14UnaryOpFunctorIN3c107complexIdEELi1ELi1ELi0EEEJNS0_4AcosIS8_EEEEEvT_T0_DpT1_,"axG",@progbits,_ZN2at6native12_GLOBAL__N_125multi_tensor_apply_kernelINS1_18TensorListMetadataILi1EEENS1_14UnaryOpFunctorIN3c107complexIdEELi1ELi1ELi0EEEJNS0_4AcosIS8_EEEEEvT_T0_DpT1_,comdat
	.globl	_ZN2at6native12_GLOBAL__N_125multi_tensor_apply_kernelINS1_18TensorListMetadataILi1EEENS1_14UnaryOpFunctorIN3c107complexIdEELi1ELi1ELi0EEEJNS0_4AcosIS8_EEEEEvT_T0_DpT1_ ; -- Begin function _ZN2at6native12_GLOBAL__N_125multi_tensor_apply_kernelINS1_18TensorListMetadataILi1EEENS1_14UnaryOpFunctorIN3c107complexIdEELi1ELi1ELi0EEEJNS0_4AcosIS8_EEEEEvT_T0_DpT1_
	.p2align	8
	.type	_ZN2at6native12_GLOBAL__N_125multi_tensor_apply_kernelINS1_18TensorListMetadataILi1EEENS1_14UnaryOpFunctorIN3c107complexIdEELi1ELi1ELi0EEEJNS0_4AcosIS8_EEEEEvT_T0_DpT1_,@function
_ZN2at6native12_GLOBAL__N_125multi_tensor_apply_kernelINS1_18TensorListMetadataILi1EEENS1_14UnaryOpFunctorIN3c107complexIdEELi1ELi1ELi0EEEJNS0_4AcosIS8_EEEEEvT_T0_DpT1_: ; @_ZN2at6native12_GLOBAL__N_125multi_tensor_apply_kernelINS1_18TensorListMetadataILi1EEENS1_14UnaryOpFunctorIN3c107complexIdEELi1ELi1ELi0EEEJNS0_4AcosIS8_EEEEEvT_T0_DpT1_
; %bb.0:
	v_dual_mov_b32 v57, v0 :: v_dual_mov_b32 v0, s15
	s_mov_b64 s[20:21], s[0:1]
	s_mov_b32 s9, 0
	s_mov_b32 s32, 0
	global_load_u8 v0, v0, s[0:1] offset:1760
	s_add_u32 s0, s20, s15
	s_mul_hi_u32 s1, s15, 3
	s_mul_i32 s15, s15, 3
	s_addc_u32 s2, s21, 0
	s_add_u32 s0, s0, s15
	s_addc_u32 s1, s2, s1
	s_load_b32 s0, s[0:1], 0x820
	s_waitcnt vmcnt(0)
	v_readfirstlane_b32 s3, v0
	s_delay_alu instid0(VALU_DEP_1)
	s_lshl_b32 s1, s3, 3
	s_clause 0x1
	s_load_b64 s[2:3], s[20:21], s1 offset:0x0
	s_load_b64 s[4:5], s[20:21], s1 offset:0x370
	s_waitcnt lgkmcnt(0)
	s_ashr_i32 s1, s0, 31
	s_delay_alu instid0(SALU_CYCLE_1) | instskip(NEXT) | instid1(SALU_CYCLE_1)
	s_lshl_b64 s[6:7], s[0:1], 20
	s_add_u32 s26, s2, s6
	s_addc_u32 s27, s3, s7
	s_lshl_b64 s[0:1], s[0:1], 16
	s_and_b32 s8, s26, 63
	s_sub_u32 s28, s4, s0
	s_subb_u32 s29, s5, s1
	s_and_b32 s0, s4, 3
	s_mov_b32 s1, s9
	s_delay_alu instid0(SALU_CYCLE_1) | instskip(NEXT) | instid1(SALU_CYCLE_1)
	s_or_b64 s[0:1], s[8:9], s[0:1]
	s_cmp_eq_u64 s[0:1], 0
	s_cbranch_scc1 .LBB49_21
; %bb.1:
	v_cmp_lt_i64_e64 s0, s[28:29], 1
	s_delay_alu instid0(VALU_DEP_1)
	s_and_b32 vcc_lo, exec_lo, s0
	s_cbranch_vccnz .LBB49_20
; %bb.2:
	s_load_b32 s0, s[20:21], 0xd3c
	v_cmp_gt_u64_e64 s1, 0x10000, s[28:29]
	v_dual_mov_b32 v59, 0 :: v_dual_lshlrev_b32 v58, 4, v57
	s_mov_b64 s[36:37], 0
	s_mov_b64 s[38:39], s[26:27]
	s_waitcnt lgkmcnt(0)
	s_and_b32 s0, s0, 0xffff
	s_and_b32 s1, s1, exec_lo
	v_add_co_u32 v62, s3, v57, s0
	v_mad_u64_u32 v[60:61], null, s0, 48, v[58:59]
	s_cselect_b32 s35, s29, 0
	s_cselect_b32 s34, s28, 0x10000
	v_add_co_ci_u32_e64 v63, null, 0, 0, s3
	s_lshl_b32 s3, s0, 5
	s_lshl_b32 s1, s0, 1
	v_add_co_u32 v0, s3, s3, v58
	s_mul_i32 s2, s0, 3
	v_add_co_u32 v68, s1, s1, v57
	v_add_co_u32 v59, s2, s2, v57
	s_delay_alu instid0(VALU_DEP_1)
	v_add_co_ci_u32_e64 v64, null, 0, 0, s2
	v_add_co_ci_u32_e64 v65, null, 0, 0, s3
	v_lshlrev_b32_e32 v66, 4, v62
	v_or_b32_e32 v67, 8, v0
	v_or_b32_e32 v60, 8, v60
	v_add_co_ci_u32_e64 v69, null, 0, 0, s1
	s_lshl_b32 s33, s0, 2
	s_lshl_b32 s40, s0, 6
	s_branch .LBB49_4
.LBB49_3:                               ;   in Loop: Header=BB49_4 Depth=1
	s_or_b32 exec_lo, exec_lo, s0
	s_add_u32 s36, s36, s33
	s_addc_u32 s37, s37, 0
	s_delay_alu instid0(SALU_CYCLE_1) | instskip(SKIP_1) | instid1(VALU_DEP_1)
	v_cmp_lt_i64_e64 s0, s[36:37], s[28:29]
	v_cmp_gt_u64_e64 s1, 0x10000, s[36:37]
	s_and_b32 s0, s0, s1
	s_add_u32 s38, s38, s40
	s_addc_u32 s39, s39, 0
	s_and_b32 vcc_lo, exec_lo, s0
	s_cbranch_vccz .LBB49_20
.LBB49_4:                               ; =>This Inner Loop Header: Depth=1
	v_add_co_u32 v0, s0, v57, s36
	s_delay_alu instid0(VALU_DEP_1) | instskip(SKIP_2) | instid1(VALU_DEP_2)
	v_add_co_ci_u32_e64 v1, null, 0, s37, s0
	v_mov_b32_e32 v42, 0
	v_mov_b32_e32 v43, 0
	;; [unrolled: 1-line block ×3, first 2 shown]
	s_delay_alu instid0(VALU_DEP_4) | instskip(NEXT) | instid1(VALU_DEP_3)
	v_cmp_gt_u64_e64 s22, s[34:35], v[0:1]
	v_dual_mov_b32 v0, v42 :: v_dual_mov_b32 v1, v43
	v_mov_b32_e32 v3, v43
	s_delay_alu instid0(VALU_DEP_3)
	s_and_saveexec_b32 s0, s22
	s_cbranch_execz .LBB49_6
; %bb.5:                                ;   in Loop: Header=BB49_4 Depth=1
	v_add_co_u32 v0, s1, s38, v58
	s_delay_alu instid0(VALU_DEP_1)
	v_add_co_ci_u32_e64 v1, null, s39, 0, s1
	global_load_b128 v[0:3], v[0:1], off
.LBB49_6:                               ;   in Loop: Header=BB49_4 Depth=1
	s_or_b32 exec_lo, exec_lo, s0
	v_add_co_u32 v4, vcc_lo, v62, s36
	v_add_co_ci_u32_e32 v5, vcc_lo, s37, v63, vcc_lo
	v_dual_mov_b32 v40, v42 :: v_dual_mov_b32 v41, v43
	s_delay_alu instid0(VALU_DEP_2) | instskip(NEXT) | instid1(VALU_DEP_1)
	v_cmp_gt_u64_e64 s23, s[34:35], v[4:5]
	s_and_saveexec_b32 s0, s23
	s_cbranch_execz .LBB49_8
; %bb.7:                                ;   in Loop: Header=BB49_4 Depth=1
	v_add_co_u32 v4, s1, s38, v66
	s_delay_alu instid0(VALU_DEP_1)
	v_add_co_ci_u32_e64 v5, null, s39, 0, s1
	global_load_b128 v[40:43], v[4:5], off
.LBB49_8:                               ;   in Loop: Header=BB49_4 Depth=1
	s_or_b32 exec_lo, exec_lo, s0
	v_add_co_u32 v4, vcc_lo, v68, s36
	v_add_co_ci_u32_e32 v5, vcc_lo, s37, v69, vcc_lo
	v_mov_b32_e32 v46, 0
	v_mov_b32_e32 v47, 0
	s_delay_alu instid0(VALU_DEP_3) | instskip(NEXT) | instid1(VALU_DEP_2)
	v_cmp_gt_u64_e64 s24, s[34:35], v[4:5]
	v_dual_mov_b32 v52, v47 :: v_dual_mov_b32 v51, v46
	v_dual_mov_b32 v50, v47 :: v_dual_mov_b32 v49, v46
	s_delay_alu instid0(VALU_DEP_3)
	s_and_saveexec_b32 s0, s24
	s_cbranch_execz .LBB49_10
; %bb.9:                                ;   in Loop: Header=BB49_4 Depth=1
	v_add_co_u32 v4, vcc_lo, s38, v67
	v_add_co_ci_u32_e32 v5, vcc_lo, s39, v65, vcc_lo
	global_load_b128 v[49:52], v[4:5], off offset:-8
.LBB49_10:                              ;   in Loop: Header=BB49_4 Depth=1
	s_or_b32 exec_lo, exec_lo, s0
	v_add_co_u32 v4, vcc_lo, v59, s36
	v_add_co_ci_u32_e32 v5, vcc_lo, s37, v64, vcc_lo
	v_dual_mov_b32 v44, v46 :: v_dual_mov_b32 v45, v47
	s_delay_alu instid0(VALU_DEP_2) | instskip(NEXT) | instid1(VALU_DEP_1)
	v_cmp_gt_u64_e64 s25, s[34:35], v[4:5]
	s_and_saveexec_b32 s0, s25
	s_cbranch_execz .LBB49_12
; %bb.11:                               ;   in Loop: Header=BB49_4 Depth=1
	v_add_co_u32 v4, vcc_lo, s38, v60
	v_add_co_ci_u32_e32 v5, vcc_lo, s39, v61, vcc_lo
	global_load_b128 v[44:47], v[4:5], off offset:-8
.LBB49_12:                              ;   in Loop: Header=BB49_4 Depth=1
	s_or_b32 exec_lo, exec_lo, s0
	s_getpc_b64 s[42:43]
	s_add_u32 s42, s42, _ZNK2at6native4AcosIN3c107complexIdEEEclES4_@rel32@lo+4
	s_addc_u32 s43, s43, _ZNK2at6native4AcosIN3c107complexIdEEEclES4_@rel32@hi+12
	s_delay_alu instid0(SALU_CYCLE_1)
	s_swappc_b64 s[30:31], s[42:43]
	v_dual_mov_b32 v53, v0 :: v_dual_mov_b32 v54, v1
	v_dual_mov_b32 v55, v2 :: v_dual_mov_b32 v56, v3
	;; [unrolled: 1-line block ×4, first 2 shown]
	s_swappc_b64 s[30:31], s[42:43]
	s_delay_alu instid0(VALU_DEP_2) | instskip(NEXT) | instid1(VALU_DEP_2)
	v_dual_mov_b32 v40, v0 :: v_dual_mov_b32 v41, v1
	v_dual_mov_b32 v42, v2 :: v_dual_mov_b32 v43, v3
	;; [unrolled: 1-line block ×4, first 2 shown]
	s_swappc_b64 s[30:31], s[42:43]
	s_delay_alu instid0(VALU_DEP_2) | instskip(NEXT) | instid1(VALU_DEP_2)
	v_dual_mov_b32 v49, v0 :: v_dual_mov_b32 v50, v1
	v_dual_mov_b32 v51, v2 :: v_dual_mov_b32 v52, v3
	;; [unrolled: 1-line block ×4, first 2 shown]
	s_swappc_b64 s[30:31], s[42:43]
	s_and_saveexec_b32 s0, s22
	s_cbranch_execnz .LBB49_16
; %bb.13:                               ;   in Loop: Header=BB49_4 Depth=1
	s_or_b32 exec_lo, exec_lo, s0
	s_and_saveexec_b32 s0, s23
	s_cbranch_execnz .LBB49_17
.LBB49_14:                              ;   in Loop: Header=BB49_4 Depth=1
	s_or_b32 exec_lo, exec_lo, s0
	s_and_saveexec_b32 s0, s24
	s_cbranch_execnz .LBB49_18
.LBB49_15:                              ;   in Loop: Header=BB49_4 Depth=1
	s_or_b32 exec_lo, exec_lo, s0
	s_and_saveexec_b32 s0, s25
	s_cbranch_execz .LBB49_3
	s_branch .LBB49_19
.LBB49_16:                              ;   in Loop: Header=BB49_4 Depth=1
	v_add_co_u32 v4, s1, s38, v58
	s_delay_alu instid0(VALU_DEP_1)
	v_add_co_ci_u32_e64 v5, null, s39, 0, s1
	global_store_b128 v[4:5], v[53:56], off
	s_or_b32 exec_lo, exec_lo, s0
	s_and_saveexec_b32 s0, s23
	s_cbranch_execz .LBB49_14
.LBB49_17:                              ;   in Loop: Header=BB49_4 Depth=1
	v_add_co_u32 v4, s1, s38, v66
	s_delay_alu instid0(VALU_DEP_1)
	v_add_co_ci_u32_e64 v5, null, s39, 0, s1
	global_store_b128 v[4:5], v[40:43], off
	s_or_b32 exec_lo, exec_lo, s0
	s_and_saveexec_b32 s0, s24
	s_cbranch_execz .LBB49_15
.LBB49_18:                              ;   in Loop: Header=BB49_4 Depth=1
	v_add_co_u32 v4, vcc_lo, s38, v67
	v_add_co_ci_u32_e32 v5, vcc_lo, s39, v65, vcc_lo
	global_store_b128 v[4:5], v[49:52], off offset:-8
	s_or_b32 exec_lo, exec_lo, s0
	s_and_saveexec_b32 s0, s25
	s_cbranch_execz .LBB49_3
.LBB49_19:                              ;   in Loop: Header=BB49_4 Depth=1
	v_add_co_u32 v4, vcc_lo, s38, v60
	v_add_co_ci_u32_e32 v5, vcc_lo, s39, v61, vcc_lo
	global_store_b128 v[4:5], v[0:3], off offset:-8
	s_branch .LBB49_3
.LBB49_20:
	s_cbranch_execz .LBB49_22
	s_branch .LBB49_25
.LBB49_21:
.LBB49_22:
	v_dual_mov_b32 v1, 0 :: v_dual_lshlrev_b32 v0, 2, v57
	s_mov_b32 s22, 0
	s_mov_b32 s0, exec_lo
	s_delay_alu instid0(VALU_DEP_1)
	v_cmpx_gt_i64_e64 s[28:29], v[0:1]
	s_cbranch_execz .LBB49_25
; %bb.23:
	v_mov_b32_e32 v58, v1
	s_add_u32 s20, s20, 0xd30
	s_addc_u32 s21, s21, 0
.LBB49_24:                              ; =>This Inner Loop Header: Depth=1
	s_delay_alu instid0(VALU_DEP_1) | instskip(SKIP_3) | instid1(VALU_DEP_1)
	v_lshlrev_b64 v[0:1], 6, v[57:58]
	s_getpc_b64 s[24:25]
	s_add_u32 s24, s24, _ZNK2at6native4AcosIN3c107complexIdEEEclES4_@rel32@lo+4
	s_addc_u32 s25, s25, _ZNK2at6native4AcosIN3c107complexIdEEEclES4_@rel32@hi+12
	v_add_co_u32 v59, vcc_lo, s26, v0
	s_delay_alu instid0(VALU_DEP_2)
	v_add_co_ci_u32_e32 v60, vcc_lo, s27, v1, vcc_lo
	s_clause 0x3
	global_load_b128 v[0:3], v[59:60], off
	global_load_b128 v[40:43], v[59:60], off offset:16
	global_load_b128 v[44:47], v[59:60], off offset:48
	;; [unrolled: 1-line block ×3, first 2 shown]
	s_swappc_b64 s[30:31], s[24:25]
	v_dual_mov_b32 v53, v0 :: v_dual_mov_b32 v54, v1
	v_dual_mov_b32 v55, v2 :: v_dual_mov_b32 v56, v3
	;; [unrolled: 1-line block ×4, first 2 shown]
	s_swappc_b64 s[30:31], s[24:25]
	s_delay_alu instid0(VALU_DEP_2) | instskip(NEXT) | instid1(VALU_DEP_2)
	v_dual_mov_b32 v40, v0 :: v_dual_mov_b32 v41, v1
	v_dual_mov_b32 v42, v2 :: v_dual_mov_b32 v43, v3
	;; [unrolled: 1-line block ×4, first 2 shown]
	s_swappc_b64 s[30:31], s[24:25]
	s_delay_alu instid0(VALU_DEP_2) | instskip(NEXT) | instid1(VALU_DEP_2)
	v_dual_mov_b32 v49, v0 :: v_dual_mov_b32 v50, v1
	v_dual_mov_b32 v51, v2 :: v_dual_mov_b32 v52, v3
	;; [unrolled: 1-line block ×4, first 2 shown]
	s_swappc_b64 s[30:31], s[24:25]
	s_clause 0x3
	global_store_b128 v[59:60], v[53:56], off
	global_store_b128 v[59:60], v[40:43], off offset:16
	global_store_b128 v[59:60], v[49:52], off offset:32
	;; [unrolled: 1-line block ×3, first 2 shown]
	s_load_b32 s0, s[20:21], 0xc
	s_waitcnt lgkmcnt(0)
	s_and_b32 s0, s0, 0xffff
	s_delay_alu instid0(SALU_CYCLE_1) | instskip(SKIP_1) | instid1(VALU_DEP_1)
	v_add_co_u32 v57, vcc_lo, v57, s0
	v_add_co_ci_u32_e32 v58, vcc_lo, 0, v58, vcc_lo
	v_lshlrev_b64 v[0:1], 2, v[57:58]
	s_delay_alu instid0(VALU_DEP_1) | instskip(SKIP_1) | instid1(VALU_DEP_1)
	v_cmp_le_i64_e32 vcc_lo, s[28:29], v[0:1]
	v_cmp_lt_u64_e64 s0, 0xffff, v[0:1]
	s_or_b32 s0, vcc_lo, s0
	s_delay_alu instid0(SALU_CYCLE_1) | instskip(NEXT) | instid1(SALU_CYCLE_1)
	s_and_b32 s0, exec_lo, s0
	s_or_b32 s22, s0, s22
	s_delay_alu instid0(SALU_CYCLE_1)
	s_and_not1_b32 exec_lo, exec_lo, s22
	s_cbranch_execnz .LBB49_24
.LBB49_25:
	s_endpgm
	.section	.rodata,"a",@progbits
	.p2align	6, 0x0
	.amdhsa_kernel _ZN2at6native12_GLOBAL__N_125multi_tensor_apply_kernelINS1_18TensorListMetadataILi1EEENS1_14UnaryOpFunctorIN3c107complexIdEELi1ELi1ELi0EEEJNS0_4AcosIS8_EEEEEvT_T0_DpT1_
		.amdhsa_group_segment_fixed_size 0
		.amdhsa_private_segment_fixed_size 24
		.amdhsa_kernarg_size 3632
		.amdhsa_user_sgpr_count 15
		.amdhsa_user_sgpr_dispatch_ptr 0
		.amdhsa_user_sgpr_queue_ptr 0
		.amdhsa_user_sgpr_kernarg_segment_ptr 1
		.amdhsa_user_sgpr_dispatch_id 0
		.amdhsa_user_sgpr_private_segment_size 0
		.amdhsa_wavefront_size32 1
		.amdhsa_uses_dynamic_stack 0
		.amdhsa_enable_private_segment 1
		.amdhsa_system_sgpr_workgroup_id_x 1
		.amdhsa_system_sgpr_workgroup_id_y 0
		.amdhsa_system_sgpr_workgroup_id_z 0
		.amdhsa_system_sgpr_workgroup_info 0
		.amdhsa_system_vgpr_workitem_id 0
		.amdhsa_next_free_vgpr 70
		.amdhsa_next_free_sgpr 44
		.amdhsa_reserve_vcc 1
		.amdhsa_float_round_mode_32 0
		.amdhsa_float_round_mode_16_64 0
		.amdhsa_float_denorm_mode_32 3
		.amdhsa_float_denorm_mode_16_64 3
		.amdhsa_dx10_clamp 1
		.amdhsa_ieee_mode 1
		.amdhsa_fp16_overflow 0
		.amdhsa_workgroup_processor_mode 1
		.amdhsa_memory_ordered 1
		.amdhsa_forward_progress 0
		.amdhsa_shared_vgpr_count 0
		.amdhsa_exception_fp_ieee_invalid_op 0
		.amdhsa_exception_fp_denorm_src 0
		.amdhsa_exception_fp_ieee_div_zero 0
		.amdhsa_exception_fp_ieee_overflow 0
		.amdhsa_exception_fp_ieee_underflow 0
		.amdhsa_exception_fp_ieee_inexact 0
		.amdhsa_exception_int_div_zero 0
	.end_amdhsa_kernel
	.section	.text._ZN2at6native12_GLOBAL__N_125multi_tensor_apply_kernelINS1_18TensorListMetadataILi1EEENS1_14UnaryOpFunctorIN3c107complexIdEELi1ELi1ELi0EEEJNS0_4AcosIS8_EEEEEvT_T0_DpT1_,"axG",@progbits,_ZN2at6native12_GLOBAL__N_125multi_tensor_apply_kernelINS1_18TensorListMetadataILi1EEENS1_14UnaryOpFunctorIN3c107complexIdEELi1ELi1ELi0EEEJNS0_4AcosIS8_EEEEEvT_T0_DpT1_,comdat
.Lfunc_end49:
	.size	_ZN2at6native12_GLOBAL__N_125multi_tensor_apply_kernelINS1_18TensorListMetadataILi1EEENS1_14UnaryOpFunctorIN3c107complexIdEELi1ELi1ELi0EEEJNS0_4AcosIS8_EEEEEvT_T0_DpT1_, .Lfunc_end49-_ZN2at6native12_GLOBAL__N_125multi_tensor_apply_kernelINS1_18TensorListMetadataILi1EEENS1_14UnaryOpFunctorIN3c107complexIdEELi1ELi1ELi0EEEJNS0_4AcosIS8_EEEEEvT_T0_DpT1_
                                        ; -- End function
	.section	.AMDGPU.csdata,"",@progbits
; Kernel info:
; codeLenInByte = 1452
; NumSgprs: 46
; NumVgprs: 70
; ScratchSize: 24
; MemoryBound: 1
; FloatMode: 240
; IeeeMode: 1
; LDSByteSize: 0 bytes/workgroup (compile time only)
; SGPRBlocks: 5
; VGPRBlocks: 8
; NumSGPRsForWavesPerEU: 46
; NumVGPRsForWavesPerEU: 70
; Occupancy: 16
; WaveLimiterHint : 0
; COMPUTE_PGM_RSRC2:SCRATCH_EN: 1
; COMPUTE_PGM_RSRC2:USER_SGPR: 15
; COMPUTE_PGM_RSRC2:TRAP_HANDLER: 0
; COMPUTE_PGM_RSRC2:TGID_X_EN: 1
; COMPUTE_PGM_RSRC2:TGID_Y_EN: 0
; COMPUTE_PGM_RSRC2:TGID_Z_EN: 0
; COMPUTE_PGM_RSRC2:TIDIG_COMP_CNT: 0
	.section	.text._ZN2at6native12_GLOBAL__N_125multi_tensor_apply_kernelINS1_18TensorListMetadataILi1EEENS1_14UnaryOpFunctorIN3c107complexIfEELi1ELi1ELi0EEEJNS0_4AcosIS8_EEEEEvT_T0_DpT1_,"axG",@progbits,_ZN2at6native12_GLOBAL__N_125multi_tensor_apply_kernelINS1_18TensorListMetadataILi1EEENS1_14UnaryOpFunctorIN3c107complexIfEELi1ELi1ELi0EEEJNS0_4AcosIS8_EEEEEvT_T0_DpT1_,comdat
	.globl	_ZN2at6native12_GLOBAL__N_125multi_tensor_apply_kernelINS1_18TensorListMetadataILi1EEENS1_14UnaryOpFunctorIN3c107complexIfEELi1ELi1ELi0EEEJNS0_4AcosIS8_EEEEEvT_T0_DpT1_ ; -- Begin function _ZN2at6native12_GLOBAL__N_125multi_tensor_apply_kernelINS1_18TensorListMetadataILi1EEENS1_14UnaryOpFunctorIN3c107complexIfEELi1ELi1ELi0EEEJNS0_4AcosIS8_EEEEEvT_T0_DpT1_
	.p2align	8
	.type	_ZN2at6native12_GLOBAL__N_125multi_tensor_apply_kernelINS1_18TensorListMetadataILi1EEENS1_14UnaryOpFunctorIN3c107complexIfEELi1ELi1ELi0EEEJNS0_4AcosIS8_EEEEEvT_T0_DpT1_,@function
_ZN2at6native12_GLOBAL__N_125multi_tensor_apply_kernelINS1_18TensorListMetadataILi1EEENS1_14UnaryOpFunctorIN3c107complexIfEELi1ELi1ELi0EEEJNS0_4AcosIS8_EEEEEvT_T0_DpT1_: ; @_ZN2at6native12_GLOBAL__N_125multi_tensor_apply_kernelINS1_18TensorListMetadataILi1EEENS1_14UnaryOpFunctorIN3c107complexIfEELi1ELi1ELi0EEEJNS0_4AcosIS8_EEEEEvT_T0_DpT1_
; %bb.0:
	v_mov_b32_e32 v1, s15
	s_add_u32 s2, s0, s15
	s_mul_hi_u32 s3, s15, 3
	s_mul_i32 s15, s15, 3
	s_addc_u32 s4, s1, 0
	global_load_u8 v1, v1, s[0:1] offset:1760
	s_add_u32 s2, s2, s15
	s_addc_u32 s3, s4, s3
	s_mov_b32 s11, 0
	s_load_b32 s2, s[2:3], 0x820
	s_waitcnt vmcnt(0)
	v_readfirstlane_b32 s5, v1
	s_delay_alu instid0(VALU_DEP_1)
	s_lshl_b32 s3, s5, 3
	s_clause 0x1
	s_load_b64 s[4:5], s[0:1], s3 offset:0x0
	s_load_b64 s[6:7], s[0:1], s3 offset:0x370
	s_waitcnt lgkmcnt(0)
	s_ashr_i32 s3, s2, 31
	s_delay_alu instid0(SALU_CYCLE_1) | instskip(NEXT) | instid1(SALU_CYCLE_1)
	s_lshl_b64 s[8:9], s[2:3], 19
	s_add_u32 s12, s4, s8
	s_addc_u32 s13, s5, s9
	s_lshl_b64 s[2:3], s[2:3], 16
	s_and_b32 s10, s12, 31
	s_sub_u32 s14, s6, s2
	s_subb_u32 s15, s7, s3
	s_and_b32 s2, s6, 3
	s_mov_b32 s3, s11
	s_delay_alu instid0(SALU_CYCLE_1) | instskip(NEXT) | instid1(SALU_CYCLE_1)
	s_or_b64 s[2:3], s[10:11], s[2:3]
	s_cmp_eq_u64 s[2:3], 0
	s_cbranch_scc1 .LBB50_413
; %bb.1:
	v_cmp_lt_i64_e64 s2, s[14:15], 1
	s_delay_alu instid0(VALU_DEP_1)
	s_and_b32 vcc_lo, exec_lo, s2
	s_cbranch_vccnz .LBB50_412
; %bb.2:
	s_load_b32 s2, s[0:1], 0xd3c
	v_cmp_gt_u64_e64 s3, 0x10000, s[14:15]
	v_dual_mov_b32 v2, 0 :: v_dual_lshlrev_b32 v1, 3, v0
	s_mov_b64 s[16:17], src_private_base
	s_mov_b32 s16, 8
	v_mov_b32_e32 v26, 0xd800000
	v_mov_b32_e32 v27, 0x4016cbe4
	s_mov_b32 s18, 0
	s_mov_b32 s20, 4
	;; [unrolled: 1-line block ×4, first 2 shown]
	s_mov_b64 s[24:25], 0
	s_mov_b32 s29, 0x3e9b6dac
	s_mov_b32 s30, 0x3d1c21a7
	;; [unrolled: 1-line block ×3, first 2 shown]
	s_mov_b64 s[26:27], s[12:13]
	v_mov_b32_e32 v25, 0x248d3132
	s_waitcnt lgkmcnt(0)
	s_and_b32 s2, s2, 0xffff
	s_and_b32 s3, s3, exec_lo
	v_mad_u64_u32 v[3:4], null, s2, 24, v[1:2]
	s_cselect_b32 s23, s15, 0
	s_cselect_b32 s22, s14, 0x10000
	s_lshl_b32 s3, s2, 1
	s_mul_i32 s4, s2, 3
	s_lshl_b32 s11, s2, 2
	s_lshl_b32 s28, s2, 5
	v_add_co_u32 v2, s5, v0, s2
	s_lshl_b32 s2, s2, 4
	v_add_co_u32 v18, s4, s4, v0
	v_add_co_u32 v5, s2, s2, v1
	s_delay_alu instid0(VALU_DEP_1)
	v_add_co_ci_u32_e64 v21, null, 0, 0, s2
	v_add_co_u32 v23, s2, s3, v0
	v_add_co_ci_u32_e64 v17, null, 0, 0, s5
	v_or_b32_e32 v3, 4, v3
	v_add_co_ci_u32_e64 v19, null, 0, 0, s4
	v_lshlrev_b32_e32 v20, 3, v2
	v_or_b32_e32 v22, 4, v5
	v_add_co_ci_u32_e64 v24, null, 0, 0, s2
	v_dual_mov_b32 v5, s16 :: v_dual_mov_b32 v6, s17
	s_branch .LBB50_4
.LBB50_3:                               ;   in Loop: Header=BB50_4 Depth=1
	s_or_b32 exec_lo, exec_lo, s2
	s_add_u32 s24, s24, s11
	s_addc_u32 s25, s25, 0
	s_delay_alu instid0(SALU_CYCLE_1) | instskip(SKIP_1) | instid1(VALU_DEP_1)
	v_cmp_ge_i64_e64 s2, s[24:25], s[14:15]
	v_cmp_lt_u64_e64 s3, 0xffff, s[24:25]
	s_or_b32 s2, s2, s3
	s_add_u32 s26, s26, s28
	s_addc_u32 s27, s27, 0
	s_and_b32 vcc_lo, exec_lo, s2
	s_cbranch_vccnz .LBB50_412
.LBB50_4:                               ; =>This Inner Loop Header: Depth=1
	v_add_co_u32 v7, s2, v0, s24
	s_delay_alu instid0(VALU_DEP_1) | instskip(SKIP_2) | instid1(VALU_DEP_2)
	v_add_co_ci_u32_e64 v8, null, 0, s25, s2
	s_waitcnt vmcnt(0) lgkmcnt(2)
	v_dual_mov_b32 v14, 0 :: v_dual_mov_b32 v13, 0
	v_cmp_gt_u64_e64 s2, s[22:23], v[7:8]
	s_delay_alu instid0(VALU_DEP_1)
	s_and_saveexec_b32 s3, s2
	s_cbranch_execz .LBB50_6
; %bb.5:                                ;   in Loop: Header=BB50_4 Depth=1
	v_add_co_u32 v7, s4, s26, v1
	s_delay_alu instid0(VALU_DEP_1)
	v_add_co_ci_u32_e64 v8, null, s27, 0, s4
	global_load_b64 v[13:14], v[7:8], off
.LBB50_6:                               ;   in Loop: Header=BB50_4 Depth=1
	s_or_b32 exec_lo, exec_lo, s3
	v_add_co_u32 v7, vcc_lo, v2, s24
	v_add_co_ci_u32_e32 v8, vcc_lo, s25, v17, vcc_lo
	s_waitcnt lgkmcnt(1)
	v_dual_mov_b32 v12, 0 :: v_dual_mov_b32 v15, 0
	v_mov_b32_e32 v16, 0
	s_delay_alu instid0(VALU_DEP_3) | instskip(NEXT) | instid1(VALU_DEP_1)
	v_cmp_gt_u64_e64 s3, s[22:23], v[7:8]
	s_and_saveexec_b32 s4, s3
	s_cbranch_execz .LBB50_8
; %bb.7:                                ;   in Loop: Header=BB50_4 Depth=1
	v_add_co_u32 v7, s5, s26, v20
	s_delay_alu instid0(VALU_DEP_1)
	v_add_co_ci_u32_e64 v8, null, s27, 0, s5
	global_load_b64 v[15:16], v[7:8], off
.LBB50_8:                               ;   in Loop: Header=BB50_4 Depth=1
	s_or_b32 exec_lo, exec_lo, s4
	v_add_co_u32 v7, vcc_lo, v23, s24
	v_add_co_ci_u32_e32 v8, vcc_lo, s25, v24, vcc_lo
	s_waitcnt lgkmcnt(0)
	v_mov_b32_e32 v11, 0
	s_delay_alu instid0(VALU_DEP_2) | instskip(NEXT) | instid1(VALU_DEP_1)
	v_cmp_gt_u64_e64 s4, s[22:23], v[7:8]
	s_and_saveexec_b32 s5, s4
	s_cbranch_execz .LBB50_10
; %bb.9:                                ;   in Loop: Header=BB50_4 Depth=1
	v_add_co_u32 v7, vcc_lo, s26, v22
	v_add_co_ci_u32_e32 v8, vcc_lo, s27, v21, vcc_lo
	global_load_b64 v[11:12], v[7:8], off offset:-4
.LBB50_10:                              ;   in Loop: Header=BB50_4 Depth=1
	s_or_b32 exec_lo, exec_lo, s5
	v_add_co_u32 v7, vcc_lo, v18, s24
	v_add_co_ci_u32_e32 v8, vcc_lo, s25, v19, vcc_lo
	s_delay_alu instid0(VALU_DEP_1) | instskip(SKIP_1) | instid1(VALU_DEP_2)
	v_cmp_gt_u64_e64 s5, s[22:23], v[7:8]
	v_dual_mov_b32 v8, 0 :: v_dual_mov_b32 v7, 0
	s_and_saveexec_b32 s6, s5
	s_cbranch_execz .LBB50_12
; %bb.11:                               ;   in Loop: Header=BB50_4 Depth=1
	v_add_co_u32 v7, vcc_lo, s26, v3
	v_add_co_ci_u32_e32 v8, vcc_lo, s27, v4, vcc_lo
	global_load_b64 v[7:8], v[7:8], off offset:-4
.LBB50_12:                              ;   in Loop: Header=BB50_4 Depth=1
	s_or_b32 exec_lo, exec_lo, s6
	s_waitcnt vmcnt(0)
	v_cmp_o_f32_e32 vcc_lo, v13, v13
	v_cmp_o_f32_e64 s6, v14, v14
	flat_store_b32 v[5:6], v25 dlc
	s_waitcnt_vscnt null, 0x0
                                        ; implicit-def: $vgpr10
	s_and_b32 s6, vcc_lo, s6
	s_delay_alu instid0(SALU_CYCLE_1) | instskip(NEXT) | instid1(SALU_CYCLE_1)
	s_and_saveexec_b32 s7, s6
	s_xor_b32 s33, exec_lo, s7
	s_cbranch_execz .LBB50_96
; %bb.13:                               ;   in Loop: Header=BB50_4 Depth=1
	v_max_f32_e64 v30, |v13|, |v13|
	v_max_f32_e64 v29, |v14|, |v14|
	v_cmp_gt_i32_e64 s7, 0, v13
	v_cmp_lt_i32_e64 s8, -1, v13
	v_cmp_gt_i32_e64 s6, 0, v14
                                        ; implicit-def: $vgpr10
	s_mov_b32 s9, exec_lo
	v_max_f32_e32 v28, v29, v30
	s_delay_alu instid0(VALU_DEP_1)
	v_cmpx_nlt_f32_e32 0x4b000000, v28
	s_xor_b32 s34, exec_lo, s9
	s_cbranch_execz .LBB50_85
; %bb.14:                               ;   in Loop: Header=BB50_4 Depth=1
	v_cmp_neq_f32_e32 vcc_lo, 1.0, v13
	v_cmp_neq_f32_e64 s9, 0, v14
                                        ; implicit-def: $vgpr10
	s_delay_alu instid0(VALU_DEP_1) | instskip(NEXT) | instid1(SALU_CYCLE_1)
	s_or_b32 s9, s9, vcc_lo
	s_and_saveexec_b32 s10, s9
	s_delay_alu instid0(SALU_CYCLE_1)
	s_xor_b32 s35, exec_lo, s10
	s_cbranch_execz .LBB50_82
; %bb.15:                               ;   in Loop: Header=BB50_4 Depth=1
	v_dual_mov_b32 v9, s18 :: v_dual_mov_b32 v10, s19
	v_cmp_ngt_f32_e64 s9, 0x395db3d7, |v13|
	v_cmp_ngt_f32_e64 s10, 0x395db3d7, |v14|
	flat_store_b32 v[9:10], v26 dlc
	s_waitcnt_vscnt null, 0x0
	flat_load_b32 v9, v[9:10] glc dlc
	s_waitcnt vmcnt(0)
	s_or_b32 s9, s10, s9
	s_waitcnt lgkmcnt(0)
	v_dual_add_f32 v28, 1.0, v9 :: v_dual_mov_b32 v9, s20
	v_mov_b32_e32 v10, s21
	flat_store_b32 v[9:10], v28 dlc
	s_waitcnt_vscnt null, 0x0
	flat_load_b32 v9, v[9:10] glc dlc
	s_waitcnt vmcnt(0)
                                        ; implicit-def: $vgpr10
	s_and_saveexec_b32 s10, s9
	s_delay_alu instid0(SALU_CYCLE_1)
	s_xor_b32 s36, exec_lo, s10
	s_cbranch_execz .LBB50_79
; %bb.16:                               ;   in Loop: Header=BB50_4 Depth=1
	v_add_f32_e64 v28, |v13|, 1.0
	s_waitcnt vmcnt(0) lgkmcnt(0)
	v_add_f32_e64 v9, |v13|, -1.0
	s_mov_b32 s9, exec_lo
	s_delay_alu instid0(VALU_DEP_2) | instskip(NEXT) | instid1(VALU_DEP_2)
	v_max_f32_e64 v10, v29, |v28|
	v_max_f32_e64 v33, v29, |v9|
	s_delay_alu instid0(VALU_DEP_2) | instskip(NEXT) | instid1(VALU_DEP_2)
	v_cvt_f64_f32_e32 v[29:30], v10
	v_cvt_f64_f32_e32 v[31:32], v33
	v_cmp_neq_f32_e32 vcc_lo, 0x7f800000, v10
	s_delay_alu instid0(VALU_DEP_3) | instskip(NEXT) | instid1(VALU_DEP_3)
	v_frexp_exp_i32_f64_e32 v29, v[29:30]
	v_frexp_exp_i32_f64_e32 v30, v[31:32]
	s_delay_alu instid0(VALU_DEP_2) | instskip(NEXT) | instid1(VALU_DEP_2)
	v_sub_nc_u32_e32 v31, 0, v29
	v_sub_nc_u32_e32 v32, 0, v30
	s_delay_alu instid0(VALU_DEP_2) | instskip(NEXT) | instid1(VALU_DEP_2)
	v_ldexp_f32 v34, |v28|, v31
	v_ldexp_f32 v35, |v9|, v32
	;; [unrolled: 1-line block ×4, first 2 shown]
	s_delay_alu instid0(VALU_DEP_3) | instskip(NEXT) | instid1(VALU_DEP_1)
	v_dual_mul_f32 v34, v34, v34 :: v_dual_mul_f32 v35, v35, v35
	v_dual_fmac_f32 v34, v31, v31 :: v_dual_fmac_f32 v35, v32, v32
	s_delay_alu instid0(VALU_DEP_1) | instskip(NEXT) | instid1(VALU_DEP_1)
	v_sqrt_f32_e32 v31, v34
	v_sqrt_f32_e32 v32, v35
	s_waitcnt_depctr 0xfff
	v_ldexp_f32 v29, v31, v29
	v_ldexp_f32 v30, v32, v30
	s_delay_alu instid0(VALU_DEP_2) | instskip(SKIP_1) | instid1(VALU_DEP_3)
	v_cndmask_b32_e32 v32, 0x7f800000, v29, vcc_lo
	v_cmp_neq_f32_e32 vcc_lo, 0x7f800000, v33
                                        ; implicit-def: $vgpr29
	v_cndmask_b32_e32 v30, 0x7f800000, v30, vcc_lo
	s_delay_alu instid0(VALU_DEP_1) | instskip(NEXT) | instid1(VALU_DEP_1)
	v_add_f32_e32 v10, v32, v30
	v_mul_f32_e32 v10, 0.5, v10
	s_delay_alu instid0(VALU_DEP_1) | instskip(SKIP_1) | instid1(VALU_DEP_1)
	v_cmp_ngt_f32_e32 vcc_lo, 1.0, v10
	v_cndmask_b32_e32 v10, 1.0, v10, vcc_lo
	v_cmpx_ngt_f32_e32 0x41200000, v10
	s_xor_b32 s10, exec_lo, s9
	s_cbranch_execz .LBB50_18
; %bb.17:                               ;   in Loop: Header=BB50_4 Depth=1
	v_fma_f32 v29, v10, v10, -1.0
	s_delay_alu instid0(VALU_DEP_1) | instskip(SKIP_1) | instid1(VALU_DEP_2)
	v_mul_f32_e32 v31, 0x4f800000, v29
	v_cmp_gt_f32_e32 vcc_lo, 0xf800000, v29
	v_cndmask_b32_e32 v29, v29, v31, vcc_lo
	s_delay_alu instid0(VALU_DEP_1) | instskip(SKIP_3) | instid1(VALU_DEP_2)
	v_sqrt_f32_e32 v31, v29
	s_waitcnt_depctr 0xfff
	v_add_nc_u32_e32 v33, -1, v31
	v_add_nc_u32_e32 v34, 1, v31
	v_fma_f32 v35, -v33, v31, v29
	s_delay_alu instid0(VALU_DEP_2) | instskip(NEXT) | instid1(VALU_DEP_2)
	v_fma_f32 v36, -v34, v31, v29
	v_cmp_ge_f32_e64 s9, 0, v35
	s_delay_alu instid0(VALU_DEP_1) | instskip(NEXT) | instid1(VALU_DEP_3)
	v_cndmask_b32_e64 v31, v31, v33, s9
	v_cmp_lt_f32_e64 s9, 0, v36
	s_delay_alu instid0(VALU_DEP_1) | instskip(NEXT) | instid1(VALU_DEP_1)
	v_cndmask_b32_e64 v31, v31, v34, s9
	v_mul_f32_e32 v33, 0x37800000, v31
	s_delay_alu instid0(VALU_DEP_1) | instskip(SKIP_1) | instid1(VALU_DEP_2)
	v_cndmask_b32_e32 v31, v31, v33, vcc_lo
	v_cmp_class_f32_e64 vcc_lo, v29, 0x260
	v_cndmask_b32_e32 v29, v31, v29, vcc_lo
	s_delay_alu instid0(VALU_DEP_1) | instskip(NEXT) | instid1(VALU_DEP_1)
	v_add_f32_e32 v29, v10, v29
	v_cmp_gt_f32_e32 vcc_lo, 0x800000, v29
	s_delay_alu instid0(VALU_DEP_4) | instskip(NEXT) | instid1(VALU_DEP_1)
	v_cndmask_b32_e64 v31, 1.0, 0x4f800000, vcc_lo
	v_mul_f32_e32 v29, v29, v31
	s_delay_alu instid0(VALU_DEP_1) | instskip(SKIP_3) | instid1(VALU_DEP_2)
	v_log_f32_e32 v29, v29
	s_waitcnt_depctr 0xfff
	v_mul_f32_e32 v31, 0x3f317217, v29
	v_cmp_gt_f32_e64 s9, 0x7f800000, |v29|
	v_fma_f32 v33, 0x3f317217, v29, -v31
	s_delay_alu instid0(VALU_DEP_1) | instskip(NEXT) | instid1(VALU_DEP_1)
	v_fmac_f32_e32 v33, 0x3377d1cf, v29
	v_add_f32_e32 v31, v31, v33
	s_delay_alu instid0(VALU_DEP_1) | instskip(SKIP_1) | instid1(VALU_DEP_1)
	v_cndmask_b32_e64 v29, v29, v31, s9
	v_cndmask_b32_e64 v31, 0, 0x41b17218, vcc_lo
	v_sub_f32_e32 v29, v29, v31
.LBB50_18:                              ;   in Loop: Header=BB50_4 Depth=1
	s_or_saveexec_b32 s10, s10
	v_and_b32_e32 v31, 0x7fffffff, v14
	s_xor_b32 exec_lo, exec_lo, s10
	s_cbranch_execz .LBB50_40
; %bb.19:                               ;   in Loop: Header=BB50_4 Depth=1
	v_cmp_neq_f32_e64 s9, |v13|, 1.0
	v_cmp_ngt_f32_e64 s37, 0x25000000, |v14|
                                        ; implicit-def: $vgpr29
	s_delay_alu instid0(VALU_DEP_1) | instskip(NEXT) | instid1(SALU_CYCLE_1)
	s_or_b32 s9, s37, s9
	s_and_saveexec_b32 s37, s9
	s_delay_alu instid0(SALU_CYCLE_1)
	s_xor_b32 s37, exec_lo, s37
	s_cbranch_execz .LBB50_37
; %bb.20:                               ;   in Loop: Header=BB50_4 Depth=1
	v_mul_f32_e64 v29, 0x34000000, |v9|
	s_delay_alu instid0(VALU_DEP_1) | instskip(NEXT) | instid1(VALU_DEP_1)
	v_cmp_le_f32_e64 s9, v29, |v14|
                                        ; implicit-def: $vgpr29
	s_and_saveexec_b32 s38, s9
	s_delay_alu instid0(SALU_CYCLE_1)
	s_xor_b32 s38, exec_lo, s38
	s_cbranch_execz .LBB50_30
; %bb.21:                               ;   in Loop: Header=BB50_4 Depth=1
	v_mov_b32_e32 v29, v31
	s_mov_b32 s9, exec_lo
	v_cmpx_neq_f32_e32 0, v28
	s_cbranch_execz .LBB50_23
; %bb.22:                               ;   in Loop: Header=BB50_4 Depth=1
	v_mul_f32_e32 v29, v14, v14
	v_add_f32_e32 v33, v28, v32
	s_delay_alu instid0(VALU_DEP_1) | instskip(NEXT) | instid1(VALU_DEP_1)
	v_div_scale_f32 v34, null, v33, v33, v29
	v_rcp_f32_e32 v35, v34
	s_waitcnt_depctr 0xfff
	v_fma_f32 v36, -v34, v35, 1.0
	s_delay_alu instid0(VALU_DEP_1) | instskip(SKIP_1) | instid1(VALU_DEP_1)
	v_fmac_f32_e32 v35, v36, v35
	v_div_scale_f32 v36, vcc_lo, v29, v33, v29
	v_mul_f32_e32 v37, v36, v35
	s_delay_alu instid0(VALU_DEP_1) | instskip(NEXT) | instid1(VALU_DEP_1)
	v_fma_f32 v38, -v34, v37, v36
	v_fmac_f32_e32 v37, v38, v35
	s_delay_alu instid0(VALU_DEP_1) | instskip(NEXT) | instid1(VALU_DEP_1)
	v_fma_f32 v34, -v34, v37, v36
	v_div_fmas_f32 v34, v34, v35, v37
	s_delay_alu instid0(VALU_DEP_1)
	v_div_fixup_f32 v29, v34, v33, v29
.LBB50_23:                              ;   in Loop: Header=BB50_4 Depth=1
	s_or_b32 exec_lo, exec_lo, s9
	v_sub_f32_e64 v34, 1.0, |v13|
	s_mov_b32 s9, exec_lo
                                        ; implicit-def: $vgpr33
	s_delay_alu instid0(VALU_DEP_1)
	v_cmpx_ngt_f32_e32 0, v34
	s_xor_b32 s9, exec_lo, s9
	s_cbranch_execz .LBB50_27
; %bb.24:                               ;   in Loop: Header=BB50_4 Depth=1
	v_mov_b32_e32 v33, v31
	s_mov_b32 s39, exec_lo
	v_cmpx_neq_f32_e32 0, v34
	s_cbranch_execz .LBB50_26
; %bb.25:                               ;   in Loop: Header=BB50_4 Depth=1
	v_mul_f32_e32 v33, v14, v14
	v_add_f32_e32 v34, v34, v30
	s_delay_alu instid0(VALU_DEP_1) | instskip(NEXT) | instid1(VALU_DEP_1)
	v_div_scale_f32 v35, null, v34, v34, v33
	v_rcp_f32_e32 v36, v35
	s_waitcnt_depctr 0xfff
	v_fma_f32 v37, -v35, v36, 1.0
	s_delay_alu instid0(VALU_DEP_1) | instskip(SKIP_1) | instid1(VALU_DEP_1)
	v_fmac_f32_e32 v36, v37, v36
	v_div_scale_f32 v37, vcc_lo, v33, v34, v33
	v_mul_f32_e32 v38, v37, v36
	s_delay_alu instid0(VALU_DEP_1) | instskip(NEXT) | instid1(VALU_DEP_1)
	v_fma_f32 v39, -v35, v38, v37
	v_fmac_f32_e32 v38, v39, v36
	s_delay_alu instid0(VALU_DEP_1) | instskip(NEXT) | instid1(VALU_DEP_1)
	v_fma_f32 v35, -v35, v38, v37
	v_div_fmas_f32 v35, v35, v36, v38
	s_delay_alu instid0(VALU_DEP_1)
	v_div_fixup_f32 v33, v35, v34, v33
.LBB50_26:                              ;   in Loop: Header=BB50_4 Depth=1
	s_or_b32 exec_lo, exec_lo, s39
                                        ; implicit-def: $vgpr34
.LBB50_27:                              ;   in Loop: Header=BB50_4 Depth=1
	s_and_not1_saveexec_b32 s9, s9
; %bb.28:                               ;   in Loop: Header=BB50_4 Depth=1
	v_sub_f32_e32 v33, v30, v34
; %bb.29:                               ;   in Loop: Header=BB50_4 Depth=1
	s_or_b32 exec_lo, exec_lo, s9
	s_delay_alu instid0(VALU_DEP_1) | instskip(NEXT) | instid1(VALU_DEP_1)
	v_dual_mul_f32 v33, 0.5, v33 :: v_dual_add_f32 v34, 1.0, v10
	v_fmac_f32_e32 v33, 0.5, v29
	s_delay_alu instid0(VALU_DEP_1) | instskip(NEXT) | instid1(VALU_DEP_1)
	v_mul_f32_e32 v29, v34, v33
	v_mul_f32_e32 v34, 0x4f800000, v29
	v_cmp_gt_f32_e32 vcc_lo, 0xf800000, v29
	s_delay_alu instid0(VALU_DEP_2) | instskip(NEXT) | instid1(VALU_DEP_1)
	v_cndmask_b32_e32 v29, v29, v34, vcc_lo
	v_sqrt_f32_e32 v34, v29
	s_waitcnt_depctr 0xfff
	v_add_nc_u32_e32 v35, -1, v34
	v_add_nc_u32_e32 v36, 1, v34
	s_delay_alu instid0(VALU_DEP_2) | instskip(NEXT) | instid1(VALU_DEP_2)
	v_fma_f32 v37, -v35, v34, v29
	v_fma_f32 v38, -v36, v34, v29
	s_delay_alu instid0(VALU_DEP_2) | instskip(NEXT) | instid1(VALU_DEP_1)
	v_cmp_ge_f32_e64 s9, 0, v37
	v_cndmask_b32_e64 v34, v34, v35, s9
	s_delay_alu instid0(VALU_DEP_3) | instskip(NEXT) | instid1(VALU_DEP_1)
	v_cmp_lt_f32_e64 s9, 0, v38
	v_cndmask_b32_e64 v34, v34, v36, s9
	s_delay_alu instid0(VALU_DEP_1) | instskip(NEXT) | instid1(VALU_DEP_1)
	v_mul_f32_e32 v35, 0x37800000, v34
	v_cndmask_b32_e32 v34, v34, v35, vcc_lo
	v_cmp_class_f32_e64 vcc_lo, v29, 0x260
	s_delay_alu instid0(VALU_DEP_2) | instskip(NEXT) | instid1(VALU_DEP_1)
	v_cndmask_b32_e32 v29, v34, v29, vcc_lo
	v_add_f32_e32 v29, v33, v29
	s_delay_alu instid0(VALU_DEP_1) | instskip(NEXT) | instid1(VALU_DEP_1)
	v_add_f32_e32 v35, 1.0, v29
	v_cvt_f64_f32_e32 v[33:34], v35
	s_delay_alu instid0(VALU_DEP_1) | instskip(SKIP_1) | instid1(VALU_DEP_1)
	v_frexp_exp_i32_f64_e32 v33, v[33:34]
	v_frexp_mant_f32_e32 v34, v35
	v_cmp_gt_f32_e32 vcc_lo, 0x3f2aaaab, v34
	v_add_f32_e32 v34, -1.0, v35
	s_delay_alu instid0(VALU_DEP_1) | instskip(NEXT) | instid1(VALU_DEP_1)
	v_dual_sub_f32 v37, v34, v35 :: v_dual_sub_f32 v34, v29, v34
	v_add_f32_e32 v37, 1.0, v37
	s_delay_alu instid0(VALU_DEP_1) | instskip(SKIP_1) | instid1(VALU_DEP_1)
	v_add_f32_e32 v34, v34, v37
	v_subrev_co_ci_u32_e32 v33, vcc_lo, 0, v33, vcc_lo
	v_sub_nc_u32_e32 v36, 0, v33
	v_cvt_f32_i32_e32 v33, v33
	s_delay_alu instid0(VALU_DEP_2) | instskip(SKIP_1) | instid1(VALU_DEP_2)
	v_ldexp_f32 v35, v35, v36
	v_ldexp_f32 v34, v34, v36
	v_add_f32_e32 v38, 1.0, v35
	v_add_f32_e32 v36, -1.0, v35
	v_cmp_eq_f32_e32 vcc_lo, 0x7f800000, v29
	s_delay_alu instid0(VALU_DEP_3) | instskip(NEXT) | instid1(VALU_DEP_3)
	v_add_f32_e32 v37, -1.0, v38
	v_add_f32_e32 v39, 1.0, v36
	s_delay_alu instid0(VALU_DEP_2) | instskip(NEXT) | instid1(VALU_DEP_2)
	v_sub_f32_e32 v37, v35, v37
	v_sub_f32_e32 v35, v35, v39
	s_delay_alu instid0(VALU_DEP_2) | instskip(NEXT) | instid1(VALU_DEP_2)
	v_add_f32_e32 v37, v34, v37
	v_add_f32_e32 v34, v34, v35
	s_delay_alu instid0(VALU_DEP_1) | instskip(NEXT) | instid1(VALU_DEP_1)
	v_dual_add_f32 v40, v36, v34 :: v_dual_add_f32 v39, v38, v37
	v_sub_f32_e32 v36, v40, v36
	s_delay_alu instid0(VALU_DEP_2) | instskip(SKIP_1) | instid1(VALU_DEP_1)
	v_rcp_f32_e32 v35, v39
	v_sub_f32_e32 v38, v39, v38
	v_dual_sub_f32 v34, v34, v36 :: v_dual_sub_f32 v37, v37, v38
	s_waitcnt_depctr 0xfff
	v_mul_f32_e32 v41, v40, v35
	s_delay_alu instid0(VALU_DEP_1) | instskip(NEXT) | instid1(VALU_DEP_1)
	v_mul_f32_e32 v42, v39, v41
	v_fma_f32 v38, v41, v39, -v42
	s_delay_alu instid0(VALU_DEP_1) | instskip(NEXT) | instid1(VALU_DEP_1)
	v_fmac_f32_e32 v38, v41, v37
	v_add_f32_e32 v43, v42, v38
	s_delay_alu instid0(VALU_DEP_1) | instskip(NEXT) | instid1(VALU_DEP_1)
	v_sub_f32_e32 v44, v40, v43
	v_sub_f32_e32 v40, v40, v44
	s_delay_alu instid0(VALU_DEP_1) | instskip(SKIP_1) | instid1(VALU_DEP_2)
	v_sub_f32_e32 v40, v40, v43
	v_sub_f32_e32 v36, v43, v42
	v_add_f32_e32 v34, v34, v40
	s_delay_alu instid0(VALU_DEP_2) | instskip(NEXT) | instid1(VALU_DEP_1)
	v_sub_f32_e32 v36, v36, v38
	v_add_f32_e32 v34, v36, v34
	s_delay_alu instid0(VALU_DEP_1) | instskip(NEXT) | instid1(VALU_DEP_1)
	v_add_f32_e32 v36, v44, v34
	v_mul_f32_e32 v38, v35, v36
	s_delay_alu instid0(VALU_DEP_1) | instskip(NEXT) | instid1(VALU_DEP_1)
	v_dual_sub_f32 v43, v44, v36 :: v_dual_mul_f32 v40, v39, v38
	v_add_f32_e32 v34, v34, v43
	s_delay_alu instid0(VALU_DEP_2) | instskip(NEXT) | instid1(VALU_DEP_1)
	v_fma_f32 v39, v38, v39, -v40
	v_fmac_f32_e32 v39, v38, v37
	s_delay_alu instid0(VALU_DEP_1) | instskip(NEXT) | instid1(VALU_DEP_1)
	v_add_f32_e32 v37, v40, v39
	v_sub_f32_e32 v42, v36, v37
	s_delay_alu instid0(VALU_DEP_1) | instskip(NEXT) | instid1(VALU_DEP_1)
	v_sub_f32_e32 v36, v36, v42
	v_sub_f32_e32 v36, v36, v37
	s_delay_alu instid0(VALU_DEP_1) | instskip(SKIP_2) | instid1(VALU_DEP_1)
	v_add_f32_e32 v34, v34, v36
	v_add_f32_e32 v36, v41, v38
	v_sub_f32_e32 v40, v37, v40
	v_sub_f32_e32 v37, v40, v39
	s_delay_alu instid0(VALU_DEP_1) | instskip(NEXT) | instid1(VALU_DEP_1)
	v_dual_add_f32 v34, v37, v34 :: v_dual_sub_f32 v37, v36, v41
	v_add_f32_e32 v34, v42, v34
	s_delay_alu instid0(VALU_DEP_1) | instskip(NEXT) | instid1(VALU_DEP_1)
	v_dual_sub_f32 v37, v38, v37 :: v_dual_mul_f32 v34, v35, v34
	v_add_f32_e32 v34, v37, v34
	s_delay_alu instid0(VALU_DEP_1) | instskip(NEXT) | instid1(VALU_DEP_1)
	v_add_f32_e32 v35, v36, v34
	v_mul_f32_e32 v37, v35, v35
	s_delay_alu instid0(VALU_DEP_1) | instskip(SKIP_1) | instid1(VALU_DEP_2)
	v_fmaak_f32 v38, s29, v37, 0x3ecc95a3
	v_mul_f32_e32 v39, v35, v37
	v_fmaak_f32 v37, v37, v38, 0x3f2aaada
	v_ldexp_f32 v38, v35, 1
	v_sub_f32_e32 v35, v35, v36
	s_delay_alu instid0(VALU_DEP_3) | instskip(SKIP_1) | instid1(VALU_DEP_2)
	v_mul_f32_e32 v37, v39, v37
	v_mul_f32_e32 v39, 0x3f317218, v33
	v_add_f32_e32 v36, v38, v37
	s_delay_alu instid0(VALU_DEP_1) | instskip(NEXT) | instid1(VALU_DEP_3)
	v_dual_sub_f32 v34, v34, v35 :: v_dual_sub_f32 v35, v36, v38
	v_fma_f32 v38, 0x3f317218, v33, -v39
	s_delay_alu instid0(VALU_DEP_2) | instskip(NEXT) | instid1(VALU_DEP_2)
	v_ldexp_f32 v34, v34, 1
	v_dual_sub_f32 v35, v37, v35 :: v_dual_fmac_f32 v38, 0xb102e308, v33
	s_delay_alu instid0(VALU_DEP_1) | instskip(NEXT) | instid1(VALU_DEP_1)
	v_dual_add_f32 v33, v34, v35 :: v_dual_add_f32 v34, v39, v38
	v_add_f32_e32 v35, v36, v33
	s_delay_alu instid0(VALU_DEP_1) | instskip(NEXT) | instid1(VALU_DEP_1)
	v_add_f32_e32 v37, v34, v35
	v_sub_f32_e32 v40, v37, v34
	s_delay_alu instid0(VALU_DEP_1) | instskip(SKIP_2) | instid1(VALU_DEP_2)
	v_sub_f32_e32 v41, v37, v40
	v_sub_f32_e32 v36, v35, v36
	v_sub_f32_e32 v35, v35, v40
	v_sub_f32_e32 v33, v33, v36
	v_sub_f32_e32 v39, v34, v39
	s_delay_alu instid0(VALU_DEP_1) | instskip(NEXT) | instid1(VALU_DEP_1)
	v_sub_f32_e32 v38, v38, v39
	v_add_f32_e32 v36, v38, v33
	v_sub_f32_e32 v34, v34, v41
	s_delay_alu instid0(VALU_DEP_1) | instskip(NEXT) | instid1(VALU_DEP_3)
	v_add_f32_e32 v34, v35, v34
	v_sub_f32_e32 v35, v36, v38
	s_delay_alu instid0(VALU_DEP_1) | instskip(NEXT) | instid1(VALU_DEP_1)
	v_dual_sub_f32 v33, v33, v35 :: v_dual_add_f32 v34, v36, v34
	v_dual_sub_f32 v36, v36, v35 :: v_dual_add_f32 v39, v37, v34
	s_delay_alu instid0(VALU_DEP_1) | instskip(NEXT) | instid1(VALU_DEP_1)
	v_dual_sub_f32 v36, v38, v36 :: v_dual_sub_f32 v35, v39, v37
	v_dual_add_f32 v33, v33, v36 :: v_dual_sub_f32 v34, v34, v35
	s_delay_alu instid0(VALU_DEP_1) | instskip(NEXT) | instid1(VALU_DEP_1)
	v_add_f32_e32 v33, v33, v34
	v_add_f32_e32 v33, v39, v33
	s_delay_alu instid0(VALU_DEP_1) | instskip(SKIP_1) | instid1(VALU_DEP_2)
	v_cndmask_b32_e32 v33, v33, v29, vcc_lo
	v_cmp_ngt_f32_e32 vcc_lo, -1.0, v29
	v_cndmask_b32_e32 v33, 0x7fc00000, v33, vcc_lo
	v_cmp_neq_f32_e32 vcc_lo, -1.0, v29
	s_delay_alu instid0(VALU_DEP_2) | instskip(SKIP_1) | instid1(VALU_DEP_2)
	v_cndmask_b32_e32 v33, 0xff800000, v33, vcc_lo
	v_cmp_gt_f32_e64 vcc_lo, 0x33800000, |v29|
	v_cndmask_b32_e32 v29, v33, v29, vcc_lo
.LBB50_30:                              ;   in Loop: Header=BB50_4 Depth=1
	s_and_not1_saveexec_b32 s38, s38
	s_cbranch_execz .LBB50_36
; %bb.31:                               ;   in Loop: Header=BB50_4 Depth=1
	s_mov_b32 s39, exec_lo
                                        ; implicit-def: $vgpr29
	v_cmpx_nlt_f32_e64 |v13|, 1.0
	s_xor_b32 s39, exec_lo, s39
	s_cbranch_execz .LBB50_33
; %bb.32:                               ;   in Loop: Header=BB50_4 Depth=1
	v_mul_f32_e32 v29, v9, v28
	s_delay_alu instid0(VALU_DEP_1) | instskip(SKIP_1) | instid1(VALU_DEP_2)
	v_mul_f32_e32 v33, 0x4f800000, v29
	v_cmp_gt_f32_e32 vcc_lo, 0xf800000, v29
	v_cndmask_b32_e32 v29, v29, v33, vcc_lo
	s_delay_alu instid0(VALU_DEP_1) | instskip(SKIP_3) | instid1(VALU_DEP_2)
	v_sqrt_f32_e32 v33, v29
	s_waitcnt_depctr 0xfff
	v_add_nc_u32_e32 v34, -1, v33
	v_add_nc_u32_e32 v35, 1, v33
	v_fma_f32 v36, -v34, v33, v29
	s_delay_alu instid0(VALU_DEP_2) | instskip(NEXT) | instid1(VALU_DEP_2)
	v_fma_f32 v37, -v35, v33, v29
	v_cmp_ge_f32_e64 s9, 0, v36
	s_delay_alu instid0(VALU_DEP_1) | instskip(NEXT) | instid1(VALU_DEP_3)
	v_cndmask_b32_e64 v33, v33, v34, s9
	v_cmp_lt_f32_e64 s9, 0, v37
	s_delay_alu instid0(VALU_DEP_1) | instskip(NEXT) | instid1(VALU_DEP_1)
	v_cndmask_b32_e64 v33, v33, v35, s9
	v_mul_f32_e32 v34, 0x37800000, v33
	s_delay_alu instid0(VALU_DEP_1) | instskip(SKIP_1) | instid1(VALU_DEP_2)
	v_cndmask_b32_e32 v33, v33, v34, vcc_lo
	v_cmp_class_f32_e64 vcc_lo, v29, 0x260
	v_cndmask_b32_e32 v29, v33, v29, vcc_lo
	s_delay_alu instid0(VALU_DEP_1) | instskip(NEXT) | instid1(VALU_DEP_1)
	v_add_f32_e32 v29, v9, v29
	v_add_f32_e32 v35, 1.0, v29
	s_delay_alu instid0(VALU_DEP_1) | instskip(NEXT) | instid1(VALU_DEP_1)
	v_cvt_f64_f32_e32 v[33:34], v35
	v_frexp_exp_i32_f64_e32 v33, v[33:34]
	v_frexp_mant_f32_e32 v34, v35
	s_delay_alu instid0(VALU_DEP_1) | instskip(SKIP_1) | instid1(VALU_DEP_1)
	v_cmp_gt_f32_e32 vcc_lo, 0x3f2aaaab, v34
	v_add_f32_e32 v34, -1.0, v35
	v_dual_sub_f32 v37, v34, v35 :: v_dual_sub_f32 v34, v29, v34
	s_delay_alu instid0(VALU_DEP_1) | instskip(NEXT) | instid1(VALU_DEP_1)
	v_add_f32_e32 v37, 1.0, v37
	v_add_f32_e32 v34, v34, v37
	v_subrev_co_ci_u32_e32 v33, vcc_lo, 0, v33, vcc_lo
	s_delay_alu instid0(VALU_DEP_1) | instskip(SKIP_1) | instid1(VALU_DEP_2)
	v_sub_nc_u32_e32 v36, 0, v33
	v_cvt_f32_i32_e32 v33, v33
	v_ldexp_f32 v35, v35, v36
	v_ldexp_f32 v34, v34, v36
	s_delay_alu instid0(VALU_DEP_2) | instskip(NEXT) | instid1(VALU_DEP_1)
	v_add_f32_e32 v38, 1.0, v35
	v_dual_add_f32 v36, -1.0, v35 :: v_dual_add_f32 v37, -1.0, v38
	s_delay_alu instid0(VALU_DEP_1) | instskip(NEXT) | instid1(VALU_DEP_2)
	v_add_f32_e32 v39, 1.0, v36
	v_sub_f32_e32 v37, v35, v37
	s_delay_alu instid0(VALU_DEP_2) | instskip(NEXT) | instid1(VALU_DEP_2)
	v_sub_f32_e32 v35, v35, v39
	v_add_f32_e32 v37, v34, v37
	s_delay_alu instid0(VALU_DEP_2) | instskip(SKIP_1) | instid1(VALU_DEP_2)
	v_add_f32_e32 v34, v34, v35
	v_cmp_eq_f32_e32 vcc_lo, 0x7f800000, v29
	v_dual_add_f32 v39, v38, v37 :: v_dual_add_f32 v40, v36, v34
	s_delay_alu instid0(VALU_DEP_1) | instskip(NEXT) | instid1(VALU_DEP_1)
	v_rcp_f32_e32 v35, v39
	v_sub_f32_e32 v36, v40, v36
	v_sub_f32_e32 v38, v39, v38
	s_delay_alu instid0(VALU_DEP_1) | instskip(SKIP_2) | instid1(VALU_DEP_1)
	v_dual_sub_f32 v34, v34, v36 :: v_dual_sub_f32 v37, v37, v38
	s_waitcnt_depctr 0xfff
	v_mul_f32_e32 v41, v40, v35
	v_mul_f32_e32 v42, v39, v41
	s_delay_alu instid0(VALU_DEP_1) | instskip(NEXT) | instid1(VALU_DEP_1)
	v_fma_f32 v38, v41, v39, -v42
	v_fmac_f32_e32 v38, v41, v37
	s_delay_alu instid0(VALU_DEP_1) | instskip(NEXT) | instid1(VALU_DEP_1)
	v_add_f32_e32 v43, v42, v38
	v_sub_f32_e32 v44, v40, v43
	v_sub_f32_e32 v36, v43, v42
	s_delay_alu instid0(VALU_DEP_2) | instskip(NEXT) | instid1(VALU_DEP_2)
	v_sub_f32_e32 v40, v40, v44
	v_sub_f32_e32 v36, v36, v38
	s_delay_alu instid0(VALU_DEP_2) | instskip(NEXT) | instid1(VALU_DEP_1)
	v_sub_f32_e32 v40, v40, v43
	v_add_f32_e32 v34, v34, v40
	s_delay_alu instid0(VALU_DEP_1) | instskip(NEXT) | instid1(VALU_DEP_1)
	v_add_f32_e32 v34, v36, v34
	v_add_f32_e32 v36, v44, v34
	s_delay_alu instid0(VALU_DEP_1) | instskip(NEXT) | instid1(VALU_DEP_1)
	v_mul_f32_e32 v38, v35, v36
	v_dual_sub_f32 v43, v44, v36 :: v_dual_mul_f32 v40, v39, v38
	s_delay_alu instid0(VALU_DEP_1) | instskip(NEXT) | instid1(VALU_DEP_2)
	v_add_f32_e32 v34, v34, v43
	v_fma_f32 v39, v38, v39, -v40
	s_delay_alu instid0(VALU_DEP_1) | instskip(NEXT) | instid1(VALU_DEP_1)
	v_fmac_f32_e32 v39, v38, v37
	v_add_f32_e32 v37, v40, v39
	s_delay_alu instid0(VALU_DEP_1) | instskip(NEXT) | instid1(VALU_DEP_1)
	v_sub_f32_e32 v42, v36, v37
	v_sub_f32_e32 v36, v36, v42
	s_delay_alu instid0(VALU_DEP_1) | instskip(NEXT) | instid1(VALU_DEP_1)
	v_sub_f32_e32 v36, v36, v37
	v_add_f32_e32 v34, v34, v36
	v_add_f32_e32 v36, v41, v38
	v_sub_f32_e32 v40, v37, v40
	s_delay_alu instid0(VALU_DEP_1) | instskip(NEXT) | instid1(VALU_DEP_1)
	v_sub_f32_e32 v37, v40, v39
	v_dual_add_f32 v34, v37, v34 :: v_dual_sub_f32 v37, v36, v41
	s_delay_alu instid0(VALU_DEP_1) | instskip(NEXT) | instid1(VALU_DEP_1)
	v_add_f32_e32 v34, v42, v34
	v_dual_sub_f32 v37, v38, v37 :: v_dual_mul_f32 v34, v35, v34
	s_delay_alu instid0(VALU_DEP_1) | instskip(NEXT) | instid1(VALU_DEP_1)
	v_add_f32_e32 v34, v37, v34
	v_add_f32_e32 v35, v36, v34
	s_delay_alu instid0(VALU_DEP_1) | instskip(NEXT) | instid1(VALU_DEP_1)
	v_mul_f32_e32 v37, v35, v35
	v_fmaak_f32 v38, s29, v37, 0x3ecc95a3
	v_mul_f32_e32 v39, v35, v37
	s_delay_alu instid0(VALU_DEP_2) | instskip(SKIP_1) | instid1(VALU_DEP_2)
	v_fmaak_f32 v37, v37, v38, 0x3f2aaada
	v_ldexp_f32 v38, v35, 1
	v_mul_f32_e32 v37, v39, v37
	v_mul_f32_e32 v39, 0x3f317218, v33
	s_delay_alu instid0(VALU_DEP_2) | instskip(NEXT) | instid1(VALU_DEP_1)
	v_dual_sub_f32 v35, v35, v36 :: v_dual_add_f32 v36, v38, v37
	v_dual_sub_f32 v34, v34, v35 :: v_dual_sub_f32 v35, v36, v38
	s_delay_alu instid0(VALU_DEP_3) | instskip(NEXT) | instid1(VALU_DEP_2)
	v_fma_f32 v38, 0x3f317218, v33, -v39
	v_ldexp_f32 v34, v34, 1
	s_delay_alu instid0(VALU_DEP_2) | instskip(NEXT) | instid1(VALU_DEP_1)
	v_dual_sub_f32 v35, v37, v35 :: v_dual_fmac_f32 v38, 0xb102e308, v33
	v_dual_add_f32 v33, v34, v35 :: v_dual_add_f32 v34, v39, v38
	s_delay_alu instid0(VALU_DEP_1) | instskip(NEXT) | instid1(VALU_DEP_1)
	v_add_f32_e32 v35, v36, v33
	v_add_f32_e32 v37, v34, v35
	s_delay_alu instid0(VALU_DEP_1) | instskip(NEXT) | instid1(VALU_DEP_1)
	v_sub_f32_e32 v40, v37, v34
	v_sub_f32_e32 v41, v37, v40
	;; [unrolled: 1-line block ×3, first 2 shown]
	s_delay_alu instid0(VALU_DEP_1) | instskip(SKIP_1) | instid1(VALU_DEP_1)
	v_sub_f32_e32 v33, v33, v36
	v_sub_f32_e32 v39, v34, v39
	v_dual_sub_f32 v35, v35, v40 :: v_dual_sub_f32 v38, v38, v39
	s_delay_alu instid0(VALU_DEP_1) | instskip(SKIP_1) | instid1(VALU_DEP_1)
	v_add_f32_e32 v36, v38, v33
	v_sub_f32_e32 v34, v34, v41
	v_add_f32_e32 v34, v35, v34
	s_delay_alu instid0(VALU_DEP_3) | instskip(NEXT) | instid1(VALU_DEP_1)
	v_sub_f32_e32 v35, v36, v38
	v_dual_sub_f32 v33, v33, v35 :: v_dual_add_f32 v34, v36, v34
	s_delay_alu instid0(VALU_DEP_1) | instskip(NEXT) | instid1(VALU_DEP_1)
	v_dual_sub_f32 v36, v36, v35 :: v_dual_add_f32 v39, v37, v34
	v_dual_sub_f32 v35, v39, v37 :: v_dual_sub_f32 v36, v38, v36
	s_delay_alu instid0(VALU_DEP_1) | instskip(NEXT) | instid1(VALU_DEP_1)
	v_dual_sub_f32 v34, v34, v35 :: v_dual_add_f32 v33, v33, v36
	v_add_f32_e32 v33, v33, v34
	s_delay_alu instid0(VALU_DEP_1) | instskip(NEXT) | instid1(VALU_DEP_1)
	v_add_f32_e32 v33, v39, v33
	v_cndmask_b32_e32 v33, v33, v29, vcc_lo
	v_cmp_ngt_f32_e32 vcc_lo, -1.0, v29
	s_delay_alu instid0(VALU_DEP_2) | instskip(SKIP_1) | instid1(VALU_DEP_2)
	v_cndmask_b32_e32 v33, 0x7fc00000, v33, vcc_lo
	v_cmp_neq_f32_e32 vcc_lo, -1.0, v29
	v_cndmask_b32_e32 v33, 0xff800000, v33, vcc_lo
	v_cmp_gt_f32_e64 vcc_lo, 0x33800000, |v29|
	s_delay_alu instid0(VALU_DEP_2)
	v_cndmask_b32_e32 v29, v33, v29, vcc_lo
.LBB50_33:                              ;   in Loop: Header=BB50_4 Depth=1
	s_and_not1_saveexec_b32 s39, s39
	s_cbranch_execz .LBB50_35
; %bb.34:                               ;   in Loop: Header=BB50_4 Depth=1
	v_sub_f32_e64 v29, 1.0, |v13|
	s_delay_alu instid0(VALU_DEP_1) | instskip(NEXT) | instid1(VALU_DEP_1)
	v_mul_f32_e32 v29, v29, v28
	v_mul_f32_e32 v33, 0x4f800000, v29
	v_cmp_gt_f32_e32 vcc_lo, 0xf800000, v29
	s_delay_alu instid0(VALU_DEP_2) | instskip(NEXT) | instid1(VALU_DEP_1)
	v_cndmask_b32_e32 v29, v29, v33, vcc_lo
	v_sqrt_f32_e32 v33, v29
	s_waitcnt_depctr 0xfff
	v_add_nc_u32_e32 v34, -1, v33
	v_add_nc_u32_e32 v35, 1, v33
	s_delay_alu instid0(VALU_DEP_2) | instskip(NEXT) | instid1(VALU_DEP_2)
	v_fma_f32 v36, -v34, v33, v29
	v_fma_f32 v37, -v35, v33, v29
	s_delay_alu instid0(VALU_DEP_2) | instskip(NEXT) | instid1(VALU_DEP_1)
	v_cmp_ge_f32_e64 s9, 0, v36
	v_cndmask_b32_e64 v33, v33, v34, s9
	s_delay_alu instid0(VALU_DEP_3) | instskip(NEXT) | instid1(VALU_DEP_1)
	v_cmp_lt_f32_e64 s9, 0, v37
	v_cndmask_b32_e64 v33, v33, v35, s9
	s_delay_alu instid0(VALU_DEP_1) | instskip(NEXT) | instid1(VALU_DEP_1)
	v_mul_f32_e32 v34, 0x37800000, v33
	v_cndmask_b32_e32 v33, v33, v34, vcc_lo
	v_and_b32_e32 v34, 0x7fffffff, v14
	v_cmp_class_f32_e64 vcc_lo, v29, 0x260
	s_delay_alu instid0(VALU_DEP_3) | instskip(NEXT) | instid1(VALU_DEP_1)
	v_cndmask_b32_e32 v29, v33, v29, vcc_lo
	v_div_scale_f32 v33, null, v29, v29, v34
	v_div_scale_f32 v34, vcc_lo, v34, v29, v34
	s_delay_alu instid0(VALU_DEP_2) | instskip(SKIP_2) | instid1(VALU_DEP_1)
	v_rcp_f32_e32 v35, v33
	s_waitcnt_depctr 0xfff
	v_fma_f32 v36, -v33, v35, 1.0
	v_fmac_f32_e32 v35, v36, v35
	s_delay_alu instid0(VALU_DEP_1) | instskip(NEXT) | instid1(VALU_DEP_1)
	v_mul_f32_e32 v36, v34, v35
	v_fma_f32 v37, -v33, v36, v34
	s_delay_alu instid0(VALU_DEP_1) | instskip(NEXT) | instid1(VALU_DEP_1)
	v_fmac_f32_e32 v36, v37, v35
	v_fma_f32 v33, -v33, v36, v34
	s_delay_alu instid0(VALU_DEP_1) | instskip(NEXT) | instid1(VALU_DEP_1)
	v_div_fmas_f32 v33, v33, v35, v36
	v_div_fixup_f32 v29, v33, v29, |v14|
.LBB50_35:                              ;   in Loop: Header=BB50_4 Depth=1
	s_or_b32 exec_lo, exec_lo, s39
.LBB50_36:                              ;   in Loop: Header=BB50_4 Depth=1
	s_delay_alu instid0(SALU_CYCLE_1)
	s_or_b32 exec_lo, exec_lo, s38
.LBB50_37:                              ;   in Loop: Header=BB50_4 Depth=1
	s_and_not1_saveexec_b32 s37, s37
	s_cbranch_execz .LBB50_39
; %bb.38:                               ;   in Loop: Header=BB50_4 Depth=1
	v_mul_f32_e64 v29, 0x4f800000, |v14|
	v_cmp_gt_f32_e64 vcc_lo, 0xf800000, |v14|
	s_delay_alu instid0(VALU_DEP_1) | instskip(NEXT) | instid1(VALU_DEP_1)
	v_cndmask_b32_e64 v29, |v14|, v29, vcc_lo
	v_sqrt_f32_e32 v33, v29
	s_waitcnt_depctr 0xfff
	v_add_nc_u32_e32 v34, -1, v33
	v_add_nc_u32_e32 v35, 1, v33
	s_delay_alu instid0(VALU_DEP_2) | instskip(NEXT) | instid1(VALU_DEP_2)
	v_fma_f32 v36, -v34, v33, v29
	v_fma_f32 v37, -v35, v33, v29
	s_delay_alu instid0(VALU_DEP_2) | instskip(NEXT) | instid1(VALU_DEP_1)
	v_cmp_ge_f32_e64 s9, 0, v36
	v_cndmask_b32_e64 v33, v33, v34, s9
	s_delay_alu instid0(VALU_DEP_3) | instskip(NEXT) | instid1(VALU_DEP_1)
	v_cmp_lt_f32_e64 s9, 0, v37
	v_cndmask_b32_e64 v33, v33, v35, s9
	s_delay_alu instid0(VALU_DEP_1) | instskip(NEXT) | instid1(VALU_DEP_1)
	v_mul_f32_e32 v34, 0x37800000, v33
	v_cndmask_b32_e32 v33, v33, v34, vcc_lo
	v_cmp_class_f32_e64 vcc_lo, v29, 0x260
	s_delay_alu instid0(VALU_DEP_2)
	v_cndmask_b32_e32 v29, v33, v29, vcc_lo
.LBB50_39:                              ;   in Loop: Header=BB50_4 Depth=1
	s_or_b32 exec_lo, exec_lo, s37
.LBB50_40:                              ;   in Loop: Header=BB50_4 Depth=1
	s_delay_alu instid0(SALU_CYCLE_1) | instskip(NEXT) | instid1(SALU_CYCLE_1)
	s_or_b32 exec_lo, exec_lo, s10
	s_mov_b32 s37, exec_lo
                                        ; implicit-def: $sgpr9
                                        ; implicit-def: $vgpr33
                                        ; implicit-def: $vgpr35
                                        ; implicit-def: $vgpr34
	v_cmpx_ngt_f32_e64 0x21000000, |v13|
	s_xor_b32 s37, exec_lo, s37
	s_cbranch_execz .LBB50_64
; %bb.41:                               ;   in Loop: Header=BB50_4 Depth=1
	v_and_b32_e32 v34, 0x7fffffff, v13
	s_mov_b32 s9, 0
	s_mov_b32 s38, exec_lo
	s_delay_alu instid0(VALU_DEP_1) | instskip(NEXT) | instid1(VALU_DEP_1)
	v_div_scale_f32 v33, null, v10, v10, v34
	v_rcp_f32_e32 v35, v33
	s_waitcnt_depctr 0xfff
	v_fma_f32 v36, -v33, v35, 1.0
	s_delay_alu instid0(VALU_DEP_1) | instskip(SKIP_1) | instid1(VALU_DEP_1)
	v_fmac_f32_e32 v35, v36, v35
	v_div_scale_f32 v36, vcc_lo, v34, v10, v34
	v_mul_f32_e32 v37, v36, v35
	s_delay_alu instid0(VALU_DEP_1) | instskip(NEXT) | instid1(VALU_DEP_1)
	v_fma_f32 v38, -v33, v37, v36
	v_fmac_f32_e32 v37, v38, v35
	s_delay_alu instid0(VALU_DEP_1) | instskip(NEXT) | instid1(VALU_DEP_1)
	v_fma_f32 v33, -v33, v37, v36
	v_div_fmas_f32 v33, v33, v35, v37
                                        ; implicit-def: $vgpr35
	s_delay_alu instid0(VALU_DEP_1) | instskip(NEXT) | instid1(VALU_DEP_1)
	v_div_fixup_f32 v33, v33, v10, |v13|
	v_cmpx_lt_f32_e32 0x3f244674, v33
	s_cbranch_execz .LBB50_63
; %bb.42:                               ;   in Loop: Header=BB50_4 Depth=1
	v_cmp_neq_f32_e64 s9, |v13|, 1.0
	v_cmp_ngt_f32_e64 s10, 0x30800000, |v14|
                                        ; implicit-def: $sgpr39
                                        ; implicit-def: $vgpr35
	s_delay_alu instid0(VALU_DEP_1) | instskip(NEXT) | instid1(SALU_CYCLE_1)
	s_or_b32 s9, s10, s9
	s_and_saveexec_b32 s10, s9
	s_delay_alu instid0(SALU_CYCLE_1)
	s_xor_b32 s10, exec_lo, s10
	s_cbranch_execz .LBB50_60
; %bb.43:                               ;   in Loop: Header=BB50_4 Depth=1
	v_mul_f32_e64 v35, 0x34000000, |v9|
                                        ; implicit-def: $sgpr39
	s_delay_alu instid0(VALU_DEP_1) | instskip(NEXT) | instid1(VALU_DEP_1)
	v_cmp_le_f32_e64 s9, v35, |v14|
                                        ; implicit-def: $vgpr35
	s_and_saveexec_b32 s40, s9
	s_delay_alu instid0(SALU_CYCLE_1)
	s_xor_b32 s40, exec_lo, s40
	s_cbranch_execz .LBB50_53
; %bb.44:                               ;   in Loop: Header=BB50_4 Depth=1
	v_mov_b32_e32 v35, v31
	s_mov_b32 s9, exec_lo
	v_cmpx_neq_f32_e32 0, v28
	s_cbranch_execz .LBB50_46
; %bb.45:                               ;   in Loop: Header=BB50_4 Depth=1
	v_dual_mul_f32 v35, v14, v14 :: v_dual_add_f32 v28, v28, v32
	s_delay_alu instid0(VALU_DEP_1) | instskip(NEXT) | instid1(VALU_DEP_1)
	v_div_scale_f32 v32, null, v28, v28, v35
	v_rcp_f32_e32 v36, v32
	s_waitcnt_depctr 0xfff
	v_fma_f32 v37, -v32, v36, 1.0
	s_delay_alu instid0(VALU_DEP_1) | instskip(SKIP_1) | instid1(VALU_DEP_1)
	v_fmac_f32_e32 v36, v37, v36
	v_div_scale_f32 v37, vcc_lo, v35, v28, v35
	v_mul_f32_e32 v38, v37, v36
	s_delay_alu instid0(VALU_DEP_1) | instskip(NEXT) | instid1(VALU_DEP_1)
	v_fma_f32 v39, -v32, v38, v37
	v_fmac_f32_e32 v38, v39, v36
	s_delay_alu instid0(VALU_DEP_1) | instskip(NEXT) | instid1(VALU_DEP_1)
	v_fma_f32 v32, -v32, v38, v37
	v_div_fmas_f32 v32, v32, v36, v38
	s_delay_alu instid0(VALU_DEP_1)
	v_div_fixup_f32 v35, v32, v28, v35
.LBB50_46:                              ;   in Loop: Header=BB50_4 Depth=1
	s_or_b32 exec_lo, exec_lo, s9
	s_delay_alu instid0(SALU_CYCLE_1)
	s_mov_b32 s9, exec_lo
	v_cmpx_ngt_f32_e32 0, v9
	s_xor_b32 s9, exec_lo, s9
	s_cbranch_execz .LBB50_50
; %bb.47:                               ;   in Loop: Header=BB50_4 Depth=1
	s_mov_b32 s39, exec_lo
	v_cmpx_neq_f32_e32 0, v9
	s_cbranch_execz .LBB50_49
; %bb.48:                               ;   in Loop: Header=BB50_4 Depth=1
	v_mul_f32_e32 v14, v14, v14
	v_add_f32_e32 v9, v9, v30
	s_delay_alu instid0(VALU_DEP_1) | instskip(NEXT) | instid1(VALU_DEP_1)
	v_div_scale_f32 v28, null, v9, v9, v14
	v_rcp_f32_e32 v30, v28
	s_waitcnt_depctr 0xfff
	v_fma_f32 v31, -v28, v30, 1.0
	s_delay_alu instid0(VALU_DEP_1) | instskip(SKIP_1) | instid1(VALU_DEP_1)
	v_fmac_f32_e32 v30, v31, v30
	v_div_scale_f32 v31, vcc_lo, v14, v9, v14
	v_mul_f32_e32 v32, v31, v30
	s_delay_alu instid0(VALU_DEP_1) | instskip(NEXT) | instid1(VALU_DEP_1)
	v_fma_f32 v36, -v28, v32, v31
	v_fmac_f32_e32 v32, v36, v30
	s_delay_alu instid0(VALU_DEP_1) | instskip(NEXT) | instid1(VALU_DEP_1)
	v_fma_f32 v28, -v28, v32, v31
	v_div_fmas_f32 v28, v28, v30, v32
	s_delay_alu instid0(VALU_DEP_1)
	v_div_fixup_f32 v31, v28, v9, v14
.LBB50_49:                              ;   in Loop: Header=BB50_4 Depth=1
	s_or_b32 exec_lo, exec_lo, s39
                                        ; implicit-def: $vgpr30
                                        ; implicit-def: $vgpr9
.LBB50_50:                              ;   in Loop: Header=BB50_4 Depth=1
	s_and_not1_saveexec_b32 s9, s9
; %bb.51:                               ;   in Loop: Header=BB50_4 Depth=1
	v_sub_f32_e32 v31, v30, v9
; %bb.52:                               ;   in Loop: Header=BB50_4 Depth=1
	s_or_b32 exec_lo, exec_lo, s9
	s_delay_alu instid0(VALU_DEP_1) | instskip(SKIP_2) | instid1(VALU_DEP_2)
	v_mul_f32_e32 v9, 0.5, v31
	v_add_f32_e64 v10, |v13|, v10
	s_mov_b32 s39, -1
	v_fmac_f32_e32 v9, 0.5, v35
	s_delay_alu instid0(VALU_DEP_1) | instskip(NEXT) | instid1(VALU_DEP_1)
	v_mul_f32_e32 v9, v10, v9
	v_mul_f32_e32 v10, 0x4f800000, v9
	v_cmp_gt_f32_e32 vcc_lo, 0xf800000, v9
	s_delay_alu instid0(VALU_DEP_2) | instskip(NEXT) | instid1(VALU_DEP_1)
	v_cndmask_b32_e32 v9, v9, v10, vcc_lo
	v_sqrt_f32_e32 v10, v9
	s_waitcnt_depctr 0xfff
	v_add_nc_u32_e32 v13, -1, v10
	v_add_nc_u32_e32 v14, 1, v10
	s_delay_alu instid0(VALU_DEP_2) | instskip(NEXT) | instid1(VALU_DEP_2)
	v_fma_f32 v28, -v13, v10, v9
	v_fma_f32 v30, -v14, v10, v9
	s_delay_alu instid0(VALU_DEP_2) | instskip(NEXT) | instid1(VALU_DEP_1)
	v_cmp_ge_f32_e64 s9, 0, v28
                                        ; implicit-def: $vgpr28
	v_cndmask_b32_e64 v10, v10, v13, s9
	s_delay_alu instid0(VALU_DEP_3) | instskip(NEXT) | instid1(VALU_DEP_1)
	v_cmp_lt_f32_e64 s9, 0, v30
	v_cndmask_b32_e64 v10, v10, v14, s9
                                        ; implicit-def: $vgpr14
	s_delay_alu instid0(VALU_DEP_1) | instskip(NEXT) | instid1(VALU_DEP_1)
	v_mul_f32_e32 v13, 0x37800000, v10
	v_cndmask_b32_e32 v10, v10, v13, vcc_lo
	v_cmp_class_f32_e64 vcc_lo, v9, 0x260
	s_delay_alu instid0(VALU_DEP_2)
	v_cndmask_b32_e32 v35, v10, v9, vcc_lo
                                        ; implicit-def: $vgpr9
.LBB50_53:                              ;   in Loop: Header=BB50_4 Depth=1
	s_and_not1_saveexec_b32 s40, s40
	s_cbranch_execz .LBB50_59
; %bb.54:                               ;   in Loop: Header=BB50_4 Depth=1
	s_mov_b32 s42, exec_lo
                                        ; implicit-def: $vgpr35
                                        ; implicit-def: $sgpr41
	v_cmpx_ngt_f32_e64 |v13|, 1.0
	s_xor_b32 s42, exec_lo, s42
	s_cbranch_execz .LBB50_56
; %bb.55:                               ;   in Loop: Header=BB50_4 Depth=1
	v_sub_f32_e64 v9, 1.0, |v13|
	s_mov_b32 s41, -1
	s_delay_alu instid0(VALU_DEP_1) | instskip(NEXT) | instid1(VALU_DEP_1)
	v_mul_f32_e32 v9, v9, v28
	v_mul_f32_e32 v10, 0x4f800000, v9
	v_cmp_gt_f32_e32 vcc_lo, 0xf800000, v9
	s_delay_alu instid0(VALU_DEP_2) | instskip(NEXT) | instid1(VALU_DEP_1)
	v_cndmask_b32_e32 v9, v9, v10, vcc_lo
	v_sqrt_f32_e32 v10, v9
	s_waitcnt_depctr 0xfff
	v_add_nc_u32_e32 v13, -1, v10
	v_add_nc_u32_e32 v14, 1, v10
	s_delay_alu instid0(VALU_DEP_2) | instskip(NEXT) | instid1(VALU_DEP_2)
	v_fma_f32 v28, -v13, v10, v9
	v_fma_f32 v30, -v14, v10, v9
	s_delay_alu instid0(VALU_DEP_2) | instskip(NEXT) | instid1(VALU_DEP_1)
	v_cmp_ge_f32_e64 s9, 0, v28
                                        ; implicit-def: $vgpr28
	v_cndmask_b32_e64 v10, v10, v13, s9
	s_delay_alu instid0(VALU_DEP_3) | instskip(NEXT) | instid1(VALU_DEP_1)
	v_cmp_lt_f32_e64 s9, 0, v30
	v_cndmask_b32_e64 v10, v10, v14, s9
                                        ; implicit-def: $vgpr14
	s_delay_alu instid0(VALU_DEP_1) | instskip(NEXT) | instid1(VALU_DEP_1)
	v_mul_f32_e32 v13, 0x37800000, v10
	v_cndmask_b32_e32 v10, v10, v13, vcc_lo
	v_cmp_class_f32_e64 vcc_lo, v9, 0x260
	s_delay_alu instid0(VALU_DEP_2)
	v_cndmask_b32_e32 v35, v10, v9, vcc_lo
                                        ; implicit-def: $vgpr9
.LBB50_56:                              ;   in Loop: Header=BB50_4 Depth=1
	s_and_not1_saveexec_b32 s42, s42
	s_cbranch_execz .LBB50_58
; %bb.57:                               ;   in Loop: Header=BB50_4 Depth=1
	v_mul_f32_e32 v9, v28, v9
	v_mul_f32_e64 v14, 0x57800000, |v14|
	v_mul_f32_e64 v34, 0x57800000, |v13|
	s_or_b32 s41, s41, exec_lo
	s_delay_alu instid0(VALU_DEP_3) | instskip(SKIP_2) | instid1(VALU_DEP_3)
	v_mul_f32_e32 v10, 0x4f800000, v9
	v_cmp_gt_f32_e32 vcc_lo, 0xf800000, v9
	v_mul_f32_e64 v14, |v13|, v14
	v_cndmask_b32_e32 v9, v9, v10, vcc_lo
	s_delay_alu instid0(VALU_DEP_1) | instskip(SKIP_3) | instid1(VALU_DEP_2)
	v_sqrt_f32_e32 v10, v9
	s_waitcnt_depctr 0xfff
	v_add_nc_u32_e32 v28, -1, v10
	v_add_nc_u32_e32 v30, 1, v10
	v_fma_f32 v31, -v28, v10, v9
	s_delay_alu instid0(VALU_DEP_2) | instskip(NEXT) | instid1(VALU_DEP_2)
	v_fma_f32 v32, -v30, v10, v9
	v_cmp_ge_f32_e64 s9, 0, v31
	s_delay_alu instid0(VALU_DEP_1) | instskip(NEXT) | instid1(VALU_DEP_3)
	v_cndmask_b32_e64 v10, v10, v28, s9
	v_cmp_lt_f32_e64 s9, 0, v32
	s_delay_alu instid0(VALU_DEP_1) | instskip(NEXT) | instid1(VALU_DEP_1)
	v_cndmask_b32_e64 v10, v10, v30, s9
	v_mul_f32_e32 v28, 0x37800000, v10
	s_delay_alu instid0(VALU_DEP_1) | instskip(SKIP_1) | instid1(VALU_DEP_2)
	v_cndmask_b32_e32 v10, v10, v28, vcc_lo
	v_cmp_class_f32_e64 vcc_lo, v9, 0x260
	v_cndmask_b32_e32 v9, v10, v9, vcc_lo
	s_delay_alu instid0(VALU_DEP_1) | instskip(SKIP_1) | instid1(VALU_DEP_2)
	v_div_scale_f32 v10, null, v9, v9, v14
	v_div_scale_f32 v31, vcc_lo, v14, v9, v14
	v_rcp_f32_e32 v28, v10
	s_waitcnt_depctr 0xfff
	v_fma_f32 v30, -v10, v28, 1.0
	s_delay_alu instid0(VALU_DEP_1) | instskip(NEXT) | instid1(VALU_DEP_1)
	v_fmac_f32_e32 v28, v30, v28
	v_mul_f32_e32 v30, v31, v28
	s_delay_alu instid0(VALU_DEP_1) | instskip(NEXT) | instid1(VALU_DEP_1)
	v_fma_f32 v32, -v10, v30, v31
	v_fmac_f32_e32 v30, v32, v28
	s_delay_alu instid0(VALU_DEP_1) | instskip(NEXT) | instid1(VALU_DEP_1)
	v_fma_f32 v10, -v10, v30, v31
	v_div_fmas_f32 v10, v10, v28, v30
	s_delay_alu instid0(VALU_DEP_1)
	v_div_fixup_f32 v35, v10, v9, v14
.LBB50_58:                              ;   in Loop: Header=BB50_4 Depth=1
	s_or_b32 exec_lo, exec_lo, s42
	s_delay_alu instid0(SALU_CYCLE_1) | instskip(SKIP_1) | instid1(SALU_CYCLE_1)
	s_and_not1_b32 s9, s39, exec_lo
	s_and_b32 s39, s41, exec_lo
	s_or_b32 s39, s9, s39
.LBB50_59:                              ;   in Loop: Header=BB50_4 Depth=1
	s_or_b32 exec_lo, exec_lo, s40
	s_delay_alu instid0(SALU_CYCLE_1)
	s_and_b32 s39, s39, exec_lo
                                        ; implicit-def: $vgpr14
                                        ; implicit-def: $vgpr10
.LBB50_60:                              ;   in Loop: Header=BB50_4 Depth=1
	s_and_not1_saveexec_b32 s40, s10
	s_cbranch_execz .LBB50_62
; %bb.61:                               ;   in Loop: Header=BB50_4 Depth=1
	v_add_f32_e32 v9, 1.0, v10
	v_mul_f32_e64 v10, 0x4f800000, |v14|
	v_cmp_gt_f32_e64 vcc_lo, 0xf800000, |v14|
	s_or_b32 s39, s39, exec_lo
	s_delay_alu instid0(VALU_DEP_3) | instskip(NEXT) | instid1(VALU_DEP_2)
	v_mul_f32_e32 v9, 0.5, v9
	v_cndmask_b32_e64 v10, |v14|, v10, vcc_lo
	s_delay_alu instid0(VALU_DEP_2) | instskip(SKIP_1) | instid1(VALU_DEP_1)
	v_mul_f32_e32 v13, 0x4f800000, v9
	v_cmp_gt_f32_e64 s9, 0xf800000, v9
	v_cndmask_b32_e64 v9, v9, v13, s9
	s_delay_alu instid0(VALU_DEP_4) | instskip(NEXT) | instid1(VALU_DEP_1)
	v_sqrt_f32_e32 v13, v10
	v_sqrt_f32_e32 v14, v9
	s_waitcnt_depctr 0xfff
	v_add_nc_u32_e32 v28, -1, v13
	v_add_nc_u32_e32 v31, 1, v13
	v_add_nc_u32_e32 v30, -1, v14
	s_delay_alu instid0(VALU_DEP_3) | instskip(SKIP_1) | instid1(VALU_DEP_4)
	v_fma_f32 v32, -v28, v13, v10
	v_add_nc_u32_e32 v34, 1, v14
	v_fma_f32 v36, -v31, v13, v10
	s_delay_alu instid0(VALU_DEP_4) | instskip(NEXT) | instid1(VALU_DEP_4)
	v_fma_f32 v35, -v30, v14, v9
	v_cmp_ge_f32_e64 s10, 0, v32
	s_delay_alu instid0(VALU_DEP_1) | instskip(NEXT) | instid1(VALU_DEP_3)
	v_cndmask_b32_e64 v13, v13, v28, s10
	v_cmp_ge_f32_e64 s10, 0, v35
	v_fma_f32 v28, -v34, v14, v9
	s_delay_alu instid0(VALU_DEP_2) | instskip(SKIP_1) | instid1(VALU_DEP_1)
	v_cndmask_b32_e64 v14, v14, v30, s10
	v_cmp_lt_f32_e64 s10, 0, v36
	v_cndmask_b32_e64 v13, v13, v31, s10
	s_delay_alu instid0(VALU_DEP_4) | instskip(NEXT) | instid1(VALU_DEP_2)
	v_cmp_lt_f32_e64 s10, 0, v28
	v_mul_f32_e32 v28, 0x37800000, v13
	s_delay_alu instid0(VALU_DEP_2) | instskip(NEXT) | instid1(VALU_DEP_2)
	v_cndmask_b32_e64 v14, v14, v34, s10
	v_dual_mov_b32 v34, 1.0 :: v_dual_cndmask_b32 v13, v13, v28
	s_delay_alu instid0(VALU_DEP_2) | instskip(SKIP_1) | instid1(VALU_DEP_2)
	v_mul_f32_e32 v30, 0x37800000, v14
	v_cmp_class_f32_e64 vcc_lo, v10, 0x260
	v_cndmask_b32_e64 v14, v14, v30, s9
	s_delay_alu instid0(VALU_DEP_4) | instskip(SKIP_1) | instid1(VALU_DEP_3)
	v_cndmask_b32_e32 v10, v13, v10, vcc_lo
	v_cmp_class_f32_e64 vcc_lo, v9, 0x260
	v_cndmask_b32_e32 v9, v14, v9, vcc_lo
	s_delay_alu instid0(VALU_DEP_1)
	v_mul_f32_e32 v35, v10, v9
.LBB50_62:                              ;   in Loop: Header=BB50_4 Depth=1
	s_or_b32 exec_lo, exec_lo, s40
	s_delay_alu instid0(SALU_CYCLE_1)
	s_and_b32 s9, s39, exec_lo
.LBB50_63:                              ;   in Loop: Header=BB50_4 Depth=1
	s_or_b32 exec_lo, exec_lo, s38
	s_delay_alu instid0(SALU_CYCLE_1)
	s_and_b32 s9, s9, exec_lo
                                        ; implicit-def: $vgpr10
                                        ; implicit-def: $vgpr13
.LBB50_64:                              ;   in Loop: Header=BB50_4 Depth=1
	s_and_not1_saveexec_b32 s10, s37
; %bb.65:                               ;   in Loop: Header=BB50_4 Depth=1
	v_mul_f32_e32 v35, 0x4b800000, v10
	v_mul_f32_e64 v34, 0x4b800000, |v13|
	s_or_b32 s9, s9, exec_lo
                                        ; implicit-def: $vgpr33
; %bb.66:                               ;   in Loop: Header=BB50_4 Depth=1
	s_or_b32 exec_lo, exec_lo, s10
	s_xor_b32 s9, s9, -1
                                        ; implicit-def: $vgpr9
	s_delay_alu instid0(SALU_CYCLE_1) | instskip(NEXT) | instid1(SALU_CYCLE_1)
	s_and_saveexec_b32 s10, s9
	s_xor_b32 s10, exec_lo, s10
	s_cbranch_execz .LBB50_72
; %bb.67:                               ;   in Loop: Header=BB50_4 Depth=1
	v_fma_f32 v13, |v33|, -0.5, 0.5
	v_mul_f32_e32 v10, v33, v33
                                        ; implicit-def: $vgpr9
	s_and_saveexec_b32 s9, s8
	s_delay_alu instid0(SALU_CYCLE_1)
	s_xor_b32 s9, exec_lo, s9
	s_cbranch_execz .LBB50_69
; %bb.68:                               ;   in Loop: Header=BB50_4 Depth=1
	v_cmp_gt_f32_e64 vcc_lo, |v33|, 0.5
	v_cndmask_b32_e32 v9, v10, v13, vcc_lo
	s_delay_alu instid0(VALU_DEP_1) | instskip(SKIP_1) | instid1(VALU_DEP_1)
	v_fmaak_f32 v10, s30, v9, 0x3c5fc5da
	v_sqrt_f32_e32 v13, v9
	v_fmaak_f32 v10, v9, v10, 0x3d034c3c
	s_delay_alu instid0(VALU_DEP_1) | instskip(NEXT) | instid1(VALU_DEP_1)
	v_fmaak_f32 v10, v9, v10, 0x3d3641b1
	v_fmaak_f32 v10, v9, v10, 0x3d999bc8
	s_delay_alu instid0(VALU_DEP_1) | instskip(NEXT) | instid1(VALU_DEP_1)
	v_fmaak_f32 v10, v9, v10, 0x3e2aaaac
	v_mul_f32_e32 v9, v9, v10
	s_delay_alu instid0(VALU_DEP_1) | instskip(NEXT) | instid1(VALU_DEP_1)
	v_fmac_f32_e32 v33, v33, v9
	v_sub_f32_e32 v10, 0x3fc90fdb, v33
	s_delay_alu instid0(TRANS32_DEP_1) | instskip(NEXT) | instid1(VALU_DEP_1)
	v_fmac_f32_e32 v13, v13, v9
                                        ; implicit-def: $vgpr33
	v_add_f32_e32 v9, v13, v13
                                        ; implicit-def: $vgpr13
	s_delay_alu instid0(VALU_DEP_1)
	v_cndmask_b32_e32 v9, v10, v9, vcc_lo
                                        ; implicit-def: $vgpr10
.LBB50_69:                              ;   in Loop: Header=BB50_4 Depth=1
	s_and_not1_saveexec_b32 s37, s9
	s_cbranch_execz .LBB50_71
; %bb.70:                               ;   in Loop: Header=BB50_4 Depth=1
	v_cmp_gt_f32_e64 vcc_lo, |v33|, 0.5
	v_cmp_lt_f32_e64 s9, 0, v33
	v_cndmask_b32_e32 v9, v10, v13, vcc_lo
	s_delay_alu instid0(VALU_DEP_1) | instskip(SKIP_1) | instid1(VALU_DEP_1)
	v_fmaak_f32 v10, s30, v9, 0x3c5fc5da
	v_sqrt_f32_e32 v13, v9
	v_fmaak_f32 v10, v9, v10, 0x3d034c3c
	s_delay_alu instid0(VALU_DEP_1) | instskip(NEXT) | instid1(VALU_DEP_1)
	v_fmaak_f32 v10, v9, v10, 0x3d3641b1
	v_fmaak_f32 v10, v9, v10, 0x3d999bc8
	s_delay_alu instid0(VALU_DEP_1) | instskip(NEXT) | instid1(VALU_DEP_1)
	v_fmaak_f32 v10, v9, v10, 0x3e2aaaac
	v_mul_f32_e32 v9, v9, v10
	s_waitcnt_depctr 0xfff
	v_fmac_f32_e32 v13, v13, v9
	v_fma_f32 v9, -v33, v9, -v33
	s_delay_alu instid0(VALU_DEP_2) | instskip(NEXT) | instid1(VALU_DEP_2)
	v_add_f32_e32 v10, v13, v13
	v_sub_f32_e32 v9, 0x3fc90fdb, v9
	s_delay_alu instid0(VALU_DEP_2) | instskip(NEXT) | instid1(VALU_DEP_1)
	v_sub_f32_e32 v13, 0x40490fdb, v10
	v_cndmask_b32_e64 v10, v10, v13, s9
	s_delay_alu instid0(VALU_DEP_1)
	v_cndmask_b32_e32 v9, v9, v10, vcc_lo
.LBB50_71:                              ;   in Loop: Header=BB50_4 Depth=1
	s_or_b32 exec_lo, exec_lo, s37
                                        ; implicit-def: $vgpr34
                                        ; implicit-def: $vgpr35
.LBB50_72:                              ;   in Loop: Header=BB50_4 Depth=1
	s_and_not1_saveexec_b32 s10, s10
	s_cbranch_execz .LBB50_78
; %bb.73:                               ;   in Loop: Header=BB50_4 Depth=1
	v_max_f32_e64 v9, |v35|, |v35|
	v_max_f32_e32 v13, v34, v34
	v_cmp_class_f32_e64 s37, v35, 0x204
	s_delay_alu instid0(VALU_DEP_2) | instskip(SKIP_2) | instid1(SALU_CYCLE_1)
	v_min_f32_e32 v10, v13, v9
	v_max_f32_e32 v13, v13, v9
                                        ; implicit-def: $vgpr9
	s_and_saveexec_b32 s9, s8
	s_xor_b32 s9, exec_lo, s9
	s_cbranch_execz .LBB50_75
; %bb.74:                               ;   in Loop: Header=BB50_4 Depth=1
	s_delay_alu instid0(VALU_DEP_1)
	v_frexp_mant_f32_e32 v9, v13
	v_frexp_exp_i32_f32_e32 v13, v13
	v_frexp_mant_f32_e32 v14, v10
	v_frexp_exp_i32_f32_e32 v10, v10
	v_cmp_gt_f32_e64 vcc_lo, |v35|, v34
	v_rcp_f32_e32 v9, v9
	v_cmp_neq_f32_e64 s8, 0, v35
	s_delay_alu instid0(VALU_DEP_3) | instskip(SKIP_2) | instid1(VALU_DEP_1)
	v_sub_nc_u32_e32 v10, v10, v13
	s_waitcnt_depctr 0xfff
	v_mul_f32_e32 v9, v14, v9
	v_ldexp_f32 v9, v9, v10
	s_delay_alu instid0(VALU_DEP_1) | instskip(NEXT) | instid1(VALU_DEP_1)
	v_mul_f32_e32 v10, v9, v9
	v_fmaak_f32 v13, s31, v10, 0xbc7a590c
	s_delay_alu instid0(VALU_DEP_1) | instskip(NEXT) | instid1(VALU_DEP_1)
	v_fmaak_f32 v13, v10, v13, 0x3d29fb3f
	v_fmaak_f32 v13, v10, v13, 0xbd97d4d7
	s_delay_alu instid0(VALU_DEP_1) | instskip(NEXT) | instid1(VALU_DEP_1)
	v_fmaak_f32 v13, v10, v13, 0x3dd931b2
	;; [unrolled: 3-line block ×3, first 2 shown]
	v_fmaak_f32 v13, v10, v13, 0xbeaaaa62
	s_delay_alu instid0(VALU_DEP_1) | instskip(NEXT) | instid1(VALU_DEP_1)
	v_mul_f32_e32 v10, v10, v13
                                        ; implicit-def: $vgpr13
	v_fmac_f32_e32 v9, v9, v10
	s_delay_alu instid0(VALU_DEP_1) | instskip(NEXT) | instid1(VALU_DEP_1)
	v_sub_f32_e32 v10, 0x3fc90fdb, v9
	v_cndmask_b32_e32 v9, v9, v10, vcc_lo
	v_cmp_eq_f32_e32 vcc_lo, 0x7f800000, v34
                                        ; implicit-def: $vgpr10
	s_delay_alu instid0(VALU_DEP_2) | instskip(SKIP_2) | instid1(VALU_DEP_2)
	v_cndmask_b32_e64 v9, 0, v9, s8
	s_and_b32 s8, vcc_lo, s37
	v_cmp_o_f32_e32 vcc_lo, v34, v35
                                        ; implicit-def: $vgpr34
	v_cndmask_b32_e64 v9, v9, 0x3f490fdb, s8
	s_delay_alu instid0(VALU_DEP_1) | instskip(NEXT) | instid1(VALU_DEP_1)
	v_cndmask_b32_e32 v9, 0x7fc00000, v9, vcc_lo
	v_bfi_b32 v9, 0x7fffffff, v9, v35
                                        ; implicit-def: $vgpr35
.LBB50_75:                              ;   in Loop: Header=BB50_4 Depth=1
	s_and_not1_saveexec_b32 s38, s9
	s_cbranch_execz .LBB50_77
; %bb.76:                               ;   in Loop: Header=BB50_4 Depth=1
	v_frexp_mant_f32_e32 v9, v13
	v_frexp_exp_i32_f32_e32 v13, v13
	v_frexp_exp_i32_f32_e32 v14, v10
	v_frexp_mant_f32_e32 v10, v10
	v_cmp_gt_f32_e64 vcc_lo, |v35|, v34
	v_rcp_f32_e32 v9, v9
	v_cmp_neq_f32_e64 s9, 0, v35
	v_sub_nc_u32_e32 v13, v14, v13
	v_cmp_eq_f32_e64 s8, 0x7f800000, v34
	s_waitcnt_depctr 0xfff
	v_mul_f32_e32 v9, v10, v9
	s_delay_alu instid0(VALU_DEP_1) | instskip(NEXT) | instid1(VALU_DEP_1)
	v_ldexp_f32 v9, v9, v13
	v_mul_f32_e32 v10, v9, v9
	s_delay_alu instid0(VALU_DEP_1) | instskip(NEXT) | instid1(VALU_DEP_1)
	v_fmaak_f32 v13, s31, v10, 0xbc7a590c
	v_fmaak_f32 v13, v10, v13, 0x3d29fb3f
	s_delay_alu instid0(VALU_DEP_1) | instskip(NEXT) | instid1(VALU_DEP_1)
	v_fmaak_f32 v13, v10, v13, 0xbd97d4d7
	v_fmaak_f32 v13, v10, v13, 0x3dd931b2
	;; [unrolled: 3-line block ×3, first 2 shown]
	s_delay_alu instid0(VALU_DEP_1) | instskip(NEXT) | instid1(VALU_DEP_1)
	v_fmaak_f32 v13, v10, v13, 0xbeaaaa62
	v_mul_f32_e32 v10, v10, v13
	s_delay_alu instid0(VALU_DEP_1) | instskip(NEXT) | instid1(VALU_DEP_1)
	v_fmac_f32_e32 v9, v9, v10
	v_sub_f32_e32 v10, 0x3fc90fdb, v9
	s_delay_alu instid0(VALU_DEP_1) | instskip(SKIP_1) | instid1(VALU_DEP_2)
	v_cndmask_b32_e32 v9, v9, v10, vcc_lo
	v_cmp_lt_f32_e32 vcc_lo, 0, v34
	v_sub_f32_e32 v10, 0x40490fdb, v9
	s_delay_alu instid0(VALU_DEP_1) | instskip(SKIP_2) | instid1(VALU_DEP_2)
	v_cndmask_b32_e32 v9, v9, v10, vcc_lo
	v_cndmask_b32_e32 v10, 0x3f490fdb, v27, vcc_lo
	s_and_b32 vcc_lo, s8, s37
	v_cndmask_b32_e64 v9, 0x40490fdb, v9, s9
	s_delay_alu instid0(VALU_DEP_1) | instskip(SKIP_1) | instid1(VALU_DEP_2)
	v_cndmask_b32_e32 v9, v9, v10, vcc_lo
	v_cmp_o_f32_e64 vcc_lo, v35, -v34
	v_cndmask_b32_e32 v9, 0x7fc00000, v9, vcc_lo
	s_delay_alu instid0(VALU_DEP_1)
	v_bfi_b32 v9, 0x7fffffff, v9, v35
.LBB50_77:                              ;   in Loop: Header=BB50_4 Depth=1
	s_or_b32 exec_lo, exec_lo, s38
.LBB50_78:                              ;   in Loop: Header=BB50_4 Depth=1
	s_delay_alu instid0(SALU_CYCLE_1)
	s_or_b32 exec_lo, exec_lo, s10
	v_cndmask_b32_e64 v10, -v29, v29, s6
                                        ; implicit-def: $vgpr13
.LBB50_79:                              ;   in Loop: Header=BB50_4 Depth=1
	s_and_not1_saveexec_b32 s8, s36
	s_cbranch_execz .LBB50_81
; %bb.80:                               ;   in Loop: Header=BB50_4 Depth=1
	s_waitcnt vmcnt(0) lgkmcnt(0)
	v_dual_mov_b32 v9, s16 :: v_dual_mov_b32 v10, s17
	flat_load_b32 v9, v[9:10] glc dlc
	s_waitcnt vmcnt(0)
	v_xor_b32_e32 v10, 0x80000000, v14
	s_waitcnt lgkmcnt(0)
	v_sub_f32_e32 v9, v9, v13
	s_delay_alu instid0(VALU_DEP_1)
	v_add_f32_e32 v9, 0x3fc90fdb, v9
.LBB50_81:                              ;   in Loop: Header=BB50_4 Depth=1
	s_or_b32 exec_lo, exec_lo, s8
                                        ; implicit-def: $vgpr14
.LBB50_82:                              ;   in Loop: Header=BB50_4 Depth=1
	s_and_not1_saveexec_b32 s8, s35
	s_cbranch_execz .LBB50_84
; %bb.83:                               ;   in Loop: Header=BB50_4 Depth=1
	v_xor_b32_e32 v10, 0x80000000, v14
	s_waitcnt vmcnt(0) lgkmcnt(0)
	v_mov_b32_e32 v9, 0
.LBB50_84:                              ;   in Loop: Header=BB50_4 Depth=1
	s_or_b32 exec_lo, exec_lo, s8
                                        ; implicit-def: $vgpr13
                                        ; implicit-def: $vgpr30
                                        ; implicit-def: $vgpr29
                                        ; implicit-def: $vgpr28
.LBB50_85:                              ;   in Loop: Header=BB50_4 Depth=1
	s_and_not1_saveexec_b32 s10, s34
	s_cbranch_execz .LBB50_95
; %bb.86:                               ;   in Loop: Header=BB50_4 Depth=1
	v_cmp_lt_f32_e64 s8, |v13|, |v14|
                                        ; implicit-def: $vgpr10
                                        ; implicit-def: $vgpr9
	s_mov_b32 s9, exec_lo
	s_delay_alu instid0(VALU_DEP_1) | instskip(NEXT) | instid1(VALU_DEP_1)
	v_cndmask_b32_e64 v31, |v13|, |v14|, s8
	v_cmpx_nlt_f32_e32 0x7effffff, v31
	s_xor_b32 s34, exec_lo, s9
	s_cbranch_execz .LBB50_92
; %bb.87:                               ;   in Loop: Header=BB50_4 Depth=1
	v_cndmask_b32_e64 v32, |v14|, |v13|, s8
	v_cmp_nlt_f32_e32 vcc_lo, 0x5e000000, v31
                                        ; implicit-def: $vgpr10
                                        ; implicit-def: $vgpr9
	s_delay_alu instid0(VALU_DEP_2) | instskip(NEXT) | instid1(VALU_DEP_1)
	v_cmp_ngt_f32_e64 s9, 0x20000000, v32
	s_and_b32 s9, vcc_lo, s9
	s_delay_alu instid0(SALU_CYCLE_1) | instskip(NEXT) | instid1(SALU_CYCLE_1)
	s_and_saveexec_b32 s35, s9
	s_xor_b32 s35, exec_lo, s35
	s_cbranch_execz .LBB50_89
; %bb.88:                               ;   in Loop: Header=BB50_4 Depth=1
	s_waitcnt vmcnt(0) lgkmcnt(0)
	v_frexp_mant_f32_e32 v9, v28
	v_dual_min_f32 v10, v30, v29 :: v_dual_mul_f32 v29, v32, v32
	v_frexp_exp_i32_f32_e32 v28, v28
	s_delay_alu instid0(VALU_DEP_3) | instskip(NEXT) | instid1(VALU_DEP_2)
	v_rcp_f32_e32 v9, v9
	v_frexp_mant_f32_e32 v30, v10
	v_frexp_exp_i32_f32_e32 v10, v10
	s_delay_alu instid0(VALU_DEP_1) | instskip(SKIP_2) | instid1(VALU_DEP_1)
	v_sub_nc_u32_e32 v10, v10, v28
	s_waitcnt_depctr 0xfff
	v_mul_f32_e32 v9, v30, v9
	v_ldexp_f32 v9, v9, v10
	v_fmac_f32_e32 v29, v31, v31
	s_delay_alu instid0(VALU_DEP_1) | instskip(SKIP_1) | instid1(VALU_DEP_1)
	v_cmp_gt_f32_e32 vcc_lo, 0x800000, v29
	v_cndmask_b32_e64 v28, 1.0, 0x4f800000, vcc_lo
	v_mul_f32_e32 v10, v29, v28
	v_mul_f32_e32 v28, v9, v9
	s_delay_alu instid0(VALU_DEP_2) | instskip(SKIP_3) | instid1(VALU_DEP_2)
	v_log_f32_e32 v10, v10
	s_waitcnt_depctr 0xfff
	v_mul_f32_e32 v30, 0x3f317217, v10
	v_cmp_gt_f32_e64 s9, 0x7f800000, |v10|
	v_fma_f32 v31, 0x3f317217, v10, -v30
	s_delay_alu instid0(VALU_DEP_1) | instskip(NEXT) | instid1(VALU_DEP_1)
	v_fmac_f32_e32 v31, 0x3377d1cf, v10
	v_dual_fmaak_f32 v29, s31, v28, 0xbc7a590c :: v_dual_add_f32 v30, v30, v31
	s_delay_alu instid0(VALU_DEP_1) | instskip(SKIP_1) | instid1(VALU_DEP_1)
	v_cndmask_b32_e64 v10, v10, v30, s9
	v_cndmask_b32_e64 v30, 0, 0x41b17218, vcc_lo
	v_dual_fmaak_f32 v29, v28, v29, 0x3d29fb3f :: v_dual_sub_f32 v10, v10, v30
	s_delay_alu instid0(VALU_DEP_1) | instskip(NEXT) | instid1(VALU_DEP_1)
	v_fmaak_f32 v29, v28, v29, 0xbd97d4d7
                                        ; implicit-def: $vgpr30
	v_dual_mul_f32 v10, 0.5, v10 :: v_dual_fmaak_f32 v29, v28, v29, 0x3dd931b2
	s_delay_alu instid0(VALU_DEP_1) | instskip(NEXT) | instid1(VALU_DEP_1)
	v_fmaak_f32 v29, v28, v29, 0xbe1160e6
	v_fmaak_f32 v29, v28, v29, 0x3e4cb8bf
	s_delay_alu instid0(VALU_DEP_1) | instskip(NEXT) | instid1(VALU_DEP_1)
	v_fmaak_f32 v29, v28, v29, 0xbeaaaa62
	v_mul_f32_e32 v28, v28, v29
                                        ; implicit-def: $vgpr29
	s_delay_alu instid0(VALU_DEP_1)
	v_fmac_f32_e32 v9, v9, v28
                                        ; implicit-def: $vgpr28
.LBB50_89:                              ;   in Loop: Header=BB50_4 Depth=1
	s_and_not1_saveexec_b32 s9, s35
	s_cbranch_execz .LBB50_91
; %bb.90:                               ;   in Loop: Header=BB50_4 Depth=1
	s_waitcnt vmcnt(0) lgkmcnt(0)
	v_cvt_f64_f32_e32 v[9:10], v28
	v_min_f32_e32 v29, v30, v29
	v_cmp_neq_f32_e32 vcc_lo, 0x7f800000, v28
	v_frexp_exp_i32_f32_e32 v30, v28
	s_delay_alu instid0(VALU_DEP_3) | instskip(SKIP_1) | instid1(VALU_DEP_2)
	v_frexp_exp_i32_f32_e32 v32, v29
	v_frexp_mant_f32_e32 v29, v29
	v_sub_nc_u32_e32 v30, v32, v30
	v_frexp_exp_i32_f64_e32 v9, v[9:10]
	s_delay_alu instid0(VALU_DEP_1) | instskip(NEXT) | instid1(VALU_DEP_1)
	v_sub_nc_u32_e32 v10, 0, v9
	v_ldexp_f32 v31, |v14|, v10
	v_ldexp_f32 v10, |v13|, v10
	s_delay_alu instid0(VALU_DEP_2) | instskip(NEXT) | instid1(VALU_DEP_1)
	v_mul_f32_e32 v31, v31, v31
	v_fmac_f32_e32 v31, v10, v10
	v_frexp_mant_f32_e32 v10, v28
	s_delay_alu instid0(VALU_DEP_2) | instskip(NEXT) | instid1(VALU_DEP_1)
	v_sqrt_f32_e32 v31, v31
	v_rcp_f32_e32 v10, v10
	s_waitcnt_depctr 0xfff
	v_ldexp_f32 v9, v31, v9
	v_mul_f32_e32 v10, v29, v10
	s_delay_alu instid0(VALU_DEP_2) | instskip(NEXT) | instid1(VALU_DEP_2)
	v_cndmask_b32_e32 v28, 0x7f800000, v9, vcc_lo
	v_ldexp_f32 v9, v10, v30
	s_delay_alu instid0(VALU_DEP_2) | instskip(SKIP_1) | instid1(VALU_DEP_1)
	v_cmp_gt_f32_e32 vcc_lo, 0x800000, v28
	v_cndmask_b32_e64 v10, 1.0, 0x4f800000, vcc_lo
	v_mul_f32_e32 v10, v28, v10
	s_delay_alu instid0(VALU_DEP_1) | instskip(SKIP_2) | instid1(VALU_DEP_1)
	v_log_f32_e32 v10, v10
	s_waitcnt_depctr 0xfff
	v_dual_mul_f32 v29, v9, v9 :: v_dual_mul_f32 v30, 0x3f317217, v10
	v_fmaak_f32 v28, s31, v29, 0xbc7a590c
	s_delay_alu instid0(VALU_DEP_2) | instskip(NEXT) | instid1(VALU_DEP_2)
	v_fma_f32 v31, 0x3f317217, v10, -v30
	v_fmaak_f32 v28, v29, v28, 0x3d29fb3f
	s_delay_alu instid0(VALU_DEP_1) | instskip(NEXT) | instid1(VALU_DEP_1)
	v_fmaak_f32 v28, v29, v28, 0xbd97d4d7
	v_fmaak_f32 v28, v29, v28, 0x3dd931b2
	s_delay_alu instid0(VALU_DEP_1) | instskip(NEXT) | instid1(VALU_DEP_1)
	v_fmaak_f32 v28, v29, v28, 0xbe1160e6
	;; [unrolled: 3-line block ×3, first 2 shown]
	v_dual_fmac_f32 v31, 0x3377d1cf, v10 :: v_dual_mul_f32 v28, v29, v28
	s_delay_alu instid0(VALU_DEP_1) | instskip(SKIP_2) | instid1(VALU_DEP_3)
	v_add_f32_e32 v30, v30, v31
	v_cndmask_b32_e64 v31, 0, 0x41b17218, vcc_lo
	v_cmp_gt_f32_e64 vcc_lo, 0x7f800000, |v10|
	v_dual_fmac_f32 v9, v9, v28 :: v_dual_cndmask_b32 v10, v10, v30
	s_delay_alu instid0(VALU_DEP_1)
	v_sub_f32_e32 v10, v10, v31
.LBB50_91:                              ;   in Loop: Header=BB50_4 Depth=1
	s_or_b32 exec_lo, exec_lo, s9
                                        ; implicit-def: $vgpr30
                                        ; implicit-def: $vgpr29
                                        ; implicit-def: $vgpr28
.LBB50_92:                              ;   in Loop: Header=BB50_4 Depth=1
	s_and_not1_saveexec_b32 s34, s34
	s_cbranch_execz .LBB50_94
; %bb.93:                               ;   in Loop: Header=BB50_4 Depth=1
	s_waitcnt vmcnt(0) lgkmcnt(0)
	v_div_scale_f32 v9, null, 0x402df854, 0x402df854, v13
	v_div_scale_f32 v10, null, 0x402df854, 0x402df854, v14
	v_div_scale_f32 v35, vcc_lo, v13, 0x402df854, v13
	s_delay_alu instid0(VALU_DEP_3) | instskip(NEXT) | instid1(VALU_DEP_2)
	v_rcp_f32_e32 v31, v9
	v_rcp_f32_e32 v32, v10
	v_min_f32_e32 v29, v30, v29
	s_waitcnt_depctr 0xfff
	v_fma_f32 v33, -v9, v31, 1.0
	v_fma_f32 v34, -v10, v32, 1.0
	s_delay_alu instid0(VALU_DEP_1) | instskip(SKIP_1) | instid1(VALU_DEP_2)
	v_dual_fmac_f32 v31, v33, v31 :: v_dual_fmac_f32 v32, v34, v32
	v_div_scale_f32 v33, s9, v14, 0x402df854, v14
	v_mul_f32_e32 v34, v35, v31
	s_delay_alu instid0(VALU_DEP_2) | instskip(NEXT) | instid1(VALU_DEP_2)
	v_mul_f32_e32 v36, v33, v32
	v_fma_f32 v37, -v9, v34, v35
	s_delay_alu instid0(VALU_DEP_2) | instskip(NEXT) | instid1(VALU_DEP_2)
	v_fma_f32 v38, -v10, v36, v33
	v_fmac_f32_e32 v34, v37, v31
	s_delay_alu instid0(VALU_DEP_2) | instskip(NEXT) | instid1(VALU_DEP_2)
	v_fmac_f32_e32 v36, v38, v32
	v_fma_f32 v9, -v9, v34, v35
	s_delay_alu instid0(VALU_DEP_2) | instskip(NEXT) | instid1(VALU_DEP_2)
	v_fma_f32 v10, -v10, v36, v33
	v_div_fmas_f32 v9, v9, v31, v34
	s_mov_b32 vcc_lo, s9
	s_delay_alu instid0(VALU_DEP_2) | instskip(NEXT) | instid1(VALU_DEP_2)
	v_div_fmas_f32 v10, v10, v32, v36
	v_div_fixup_f32 v31, v9, 0x402df854, v13
	s_delay_alu instid0(VALU_DEP_2) | instskip(NEXT) | instid1(VALU_DEP_1)
	v_div_fixup_f32 v32, v10, 0x402df854, v14
	v_max_f32_e64 v33, |v31|, |v32|
	s_delay_alu instid0(VALU_DEP_1) | instskip(SKIP_1) | instid1(VALU_DEP_2)
	v_cvt_f64_f32_e32 v[9:10], v33
	v_cmp_neq_f32_e32 vcc_lo, 0x7f800000, v33
	v_frexp_exp_i32_f64_e32 v9, v[9:10]
	s_delay_alu instid0(VALU_DEP_1) | instskip(NEXT) | instid1(VALU_DEP_1)
	v_sub_nc_u32_e32 v10, 0, v9
	v_ldexp_f32 v32, |v32|, v10
	v_ldexp_f32 v10, |v31|, v10
	s_delay_alu instid0(VALU_DEP_2) | instskip(NEXT) | instid1(VALU_DEP_1)
	v_mul_f32_e32 v31, v32, v32
	v_fmac_f32_e32 v31, v10, v10
	s_delay_alu instid0(VALU_DEP_1) | instskip(SKIP_2) | instid1(VALU_DEP_2)
	v_sqrt_f32_e32 v10, v31
	v_frexp_mant_f32_e32 v31, v28
	v_frexp_exp_i32_f32_e32 v28, v28
	v_rcp_f32_e32 v30, v31
	s_waitcnt_depctr 0xfff
	v_ldexp_f32 v9, v10, v9
	v_frexp_exp_i32_f32_e32 v10, v29
	v_frexp_mant_f32_e32 v29, v29
	s_delay_alu instid0(VALU_DEP_3) | instskip(NEXT) | instid1(VALU_DEP_3)
	v_cndmask_b32_e32 v31, 0x7f800000, v9, vcc_lo
	v_sub_nc_u32_e32 v9, v10, v28
	s_delay_alu instid0(VALU_DEP_3) | instskip(NEXT) | instid1(VALU_DEP_3)
	v_mul_f32_e32 v10, v29, v30
	v_cmp_gt_f32_e32 vcc_lo, 0x800000, v31
	s_delay_alu instid0(VALU_DEP_2) | instskip(SKIP_1) | instid1(VALU_DEP_1)
	v_ldexp_f32 v9, v10, v9
	v_cndmask_b32_e64 v28, 1.0, 0x4f800000, vcc_lo
	v_mul_f32_e32 v10, v31, v28
	s_delay_alu instid0(VALU_DEP_3) | instskip(NEXT) | instid1(VALU_DEP_1)
	v_mul_f32_e32 v28, v9, v9
	v_fmaak_f32 v29, s31, v28, 0xbc7a590c
	s_delay_alu instid0(VALU_DEP_1) | instskip(NEXT) | instid1(VALU_DEP_4)
	v_fmaak_f32 v29, v28, v29, 0x3d29fb3f
	v_log_f32_e32 v10, v10
	s_waitcnt_depctr 0xfff
	v_mul_f32_e32 v30, 0x3f317217, v10
	s_delay_alu instid0(VALU_DEP_1) | instskip(NEXT) | instid1(VALU_DEP_1)
	v_fma_f32 v31, 0x3f317217, v10, -v30
	v_fmac_f32_e32 v31, 0x3377d1cf, v10
	v_fmaak_f32 v29, v28, v29, 0xbd97d4d7
	s_delay_alu instid0(VALU_DEP_1) | instskip(NEXT) | instid1(VALU_DEP_1)
	v_fmaak_f32 v29, v28, v29, 0x3dd931b2
	v_fmaak_f32 v29, v28, v29, 0xbe1160e6
	s_delay_alu instid0(VALU_DEP_1) | instskip(NEXT) | instid1(VALU_DEP_1)
	v_fmaak_f32 v29, v28, v29, 0x3e4cb8bf
	v_fmaak_f32 v29, v28, v29, 0xbeaaaa62
	s_delay_alu instid0(VALU_DEP_1) | instskip(NEXT) | instid1(VALU_DEP_1)
	v_mul_f32_e32 v28, v28, v29
	v_dual_fmac_f32 v9, v9, v28 :: v_dual_add_f32 v30, v30, v31
	v_cndmask_b32_e64 v31, 0, 0x41b17218, vcc_lo
	v_cmp_gt_f32_e64 vcc_lo, 0x7f800000, |v10|
	s_delay_alu instid0(VALU_DEP_3) | instskip(NEXT) | instid1(VALU_DEP_1)
	v_cndmask_b32_e32 v10, v10, v30, vcc_lo
	v_sub_f32_e32 v10, v10, v31
	s_delay_alu instid0(VALU_DEP_1)
	v_add_f32_e32 v10, 1.0, v10
.LBB50_94:                              ;   in Loop: Header=BB50_4 Depth=1
	s_or_b32 exec_lo, exec_lo, s34
	s_waitcnt vmcnt(0) lgkmcnt(0)
	v_sub_f32_e32 v28, 0x3fc90fdb, v9
	v_cmp_gt_f32_e32 vcc_lo, 0, v13
	v_cndmask_b32_e64 v29, 0, 0x40490fdb, s7
	v_cmp_class_f32_e64 s7, v13, 0x204
	v_add_f32_e32 v10, 0x3f317218, v10
	v_cndmask_b32_e64 v9, v9, v28, s8
	v_cmp_class_f32_e64 s8, v14, 0x204
	s_delay_alu instid0(VALU_DEP_3) | instskip(NEXT) | instid1(VALU_DEP_3)
	v_cndmask_b32_e64 v10, -v10, v10, s6
	v_sub_f32_e32 v28, 0x40490fdb, v9
	s_delay_alu instid0(VALU_DEP_1) | instskip(SKIP_2) | instid1(VALU_DEP_3)
	v_cndmask_b32_e32 v9, v9, v28, vcc_lo
	v_cndmask_b32_e32 v28, 0x3f490fdb, v27, vcc_lo
	v_cmp_eq_f32_e32 vcc_lo, 0, v14
	v_cndmask_b32_e32 v9, v9, v29, vcc_lo
	s_and_b32 vcc_lo, s8, s7
	s_delay_alu instid0(VALU_DEP_1) | instskip(SKIP_1) | instid1(VALU_DEP_2)
	v_cndmask_b32_e32 v9, v9, v28, vcc_lo
	v_cmp_o_f32_e32 vcc_lo, v13, v14
	v_cndmask_b32_e64 v9, 0x7fc00000, |v9|, vcc_lo
.LBB50_95:                              ;   in Loop: Header=BB50_4 Depth=1
	s_or_b32 exec_lo, exec_lo, s10
                                        ; implicit-def: $vgpr14
.LBB50_96:                              ;   in Loop: Header=BB50_4 Depth=1
	s_and_not1_saveexec_b32 s6, s33
	s_cbranch_execz .LBB50_110
; %bb.97:                               ;   in Loop: Header=BB50_4 Depth=1
	v_cmp_neq_f32_e64 s7, 0x7f800000, |v13|
                                        ; implicit-def: $vgpr10
	s_delay_alu instid0(VALU_DEP_1) | instskip(NEXT) | instid1(SALU_CYCLE_1)
	s_and_saveexec_b32 s8, s7
	s_xor_b32 s7, exec_lo, s8
	s_cbranch_execz .LBB50_107
; %bb.98:                               ;   in Loop: Header=BB50_4 Depth=1
	v_cmp_neq_f32_e64 s8, 0x7f800000, |v14|
                                        ; implicit-def: $vgpr10
	s_delay_alu instid0(VALU_DEP_1) | instskip(NEXT) | instid1(SALU_CYCLE_1)
	s_and_saveexec_b32 s9, s8
	s_xor_b32 s8, exec_lo, s9
	s_cbranch_execz .LBB50_104
; %bb.99:                               ;   in Loop: Header=BB50_4 Depth=1
	s_mov_b32 s9, exec_lo
                                        ; implicit-def: $vgpr10
	v_cmpx_neq_f32_e32 0, v13
	s_xor_b32 s9, exec_lo, s9
	s_cbranch_execz .LBB50_101
; %bb.100:                              ;   in Loop: Header=BB50_4 Depth=1
	s_waitcnt vmcnt(0) lgkmcnt(0)
	v_add_f32_e32 v9, 0, v14
                                        ; implicit-def: $vgpr14
	s_delay_alu instid0(VALU_DEP_1)
	v_add_f32_e32 v10, v9, v13
.LBB50_101:                             ;   in Loop: Header=BB50_4 Depth=1
	s_or_saveexec_b32 s9, s9
	s_waitcnt vmcnt(0) lgkmcnt(0)
	s_delay_alu instid0(VALU_DEP_1)
	v_mov_b32_e32 v9, v10
	s_xor_b32 exec_lo, exec_lo, s9
	s_cbranch_execz .LBB50_103
; %bb.102:                              ;   in Loop: Header=BB50_4 Depth=1
	v_dual_mov_b32 v9, s16 :: v_dual_mov_b32 v10, s17
	flat_load_b32 v9, v[9:10] glc dlc
	s_waitcnt vmcnt(0) lgkmcnt(0)
	v_dual_add_f32 v10, v14, v14 :: v_dual_add_f32 v9, 0x3fc90fdb, v9
.LBB50_103:                             ;   in Loop: Header=BB50_4 Depth=1
	s_or_b32 exec_lo, exec_lo, s9
                                        ; implicit-def: $vgpr13
.LBB50_104:                             ;   in Loop: Header=BB50_4 Depth=1
	s_and_not1_saveexec_b32 s8, s8
	s_cbranch_execz .LBB50_106
; %bb.105:                              ;   in Loop: Header=BB50_4 Depth=1
	s_waitcnt vmcnt(0) lgkmcnt(0)
	v_add_f32_e32 v9, v13, v13
	v_xor_b32_e32 v10, 0x80000000, v14
.LBB50_106:                             ;   in Loop: Header=BB50_4 Depth=1
	s_or_b32 exec_lo, exec_lo, s8
                                        ; implicit-def: $vgpr14
.LBB50_107:                             ;   in Loop: Header=BB50_4 Depth=1
	s_and_not1_saveexec_b32 s7, s7
	s_cbranch_execz .LBB50_109
; %bb.108:                              ;   in Loop: Header=BB50_4 Depth=1
	s_waitcnt vmcnt(0) lgkmcnt(0)
	v_dual_add_f32 v9, v14, v14 :: v_dual_mov_b32 v10, 0xff800000
.LBB50_109:                             ;   in Loop: Header=BB50_4 Depth=1
	s_or_b32 exec_lo, exec_lo, s7
.LBB50_110:                             ;   in Loop: Header=BB50_4 Depth=1
	s_delay_alu instid0(SALU_CYCLE_1) | instskip(SKIP_3) | instid1(VALU_DEP_2)
	s_or_b32 exec_lo, exec_lo, s6
	v_cmp_o_f32_e32 vcc_lo, v15, v15
	v_cmp_o_f32_e64 s6, v16, v16
	v_dual_mov_b32 v13, s16 :: v_dual_mov_b32 v14, s17
	s_and_b32 s6, vcc_lo, s6
	flat_store_b32 v[13:14], v25 dlc
	s_waitcnt_vscnt null, 0x0
                                        ; implicit-def: $vgpr14
	s_and_saveexec_b32 s7, s6
	s_delay_alu instid0(SALU_CYCLE_1)
	s_xor_b32 s33, exec_lo, s7
	s_cbranch_execz .LBB50_194
; %bb.111:                              ;   in Loop: Header=BB50_4 Depth=1
	v_max_f32_e64 v30, |v15|, |v15|
	v_max_f32_e64 v29, |v16|, |v16|
	v_cmp_gt_i32_e64 s7, 0, v15
	v_cmp_lt_i32_e64 s8, -1, v15
	v_cmp_gt_i32_e64 s6, 0, v16
                                        ; implicit-def: $vgpr14
	s_mov_b32 s9, exec_lo
	v_max_f32_e32 v28, v29, v30
	s_delay_alu instid0(VALU_DEP_1)
	v_cmpx_nlt_f32_e32 0x4b000000, v28
	s_xor_b32 s34, exec_lo, s9
	s_cbranch_execz .LBB50_183
; %bb.112:                              ;   in Loop: Header=BB50_4 Depth=1
	v_cmp_neq_f32_e32 vcc_lo, 1.0, v15
	v_cmp_neq_f32_e64 s9, 0, v16
                                        ; implicit-def: $vgpr14
	s_delay_alu instid0(VALU_DEP_1) | instskip(NEXT) | instid1(SALU_CYCLE_1)
	s_or_b32 s9, s9, vcc_lo
	s_and_saveexec_b32 s10, s9
	s_delay_alu instid0(SALU_CYCLE_1)
	s_xor_b32 s35, exec_lo, s10
	s_cbranch_execz .LBB50_180
; %bb.113:                              ;   in Loop: Header=BB50_4 Depth=1
	v_dual_mov_b32 v13, s18 :: v_dual_mov_b32 v14, s19
	v_cmp_ngt_f32_e64 s9, 0x395db3d7, |v15|
	v_cmp_ngt_f32_e64 s10, 0x395db3d7, |v16|
	flat_store_b32 v[13:14], v26 dlc
	s_waitcnt_vscnt null, 0x0
	flat_load_b32 v13, v[13:14] glc dlc
	s_waitcnt vmcnt(0)
	s_or_b32 s9, s10, s9
	s_waitcnt lgkmcnt(0)
	v_dual_add_f32 v28, 1.0, v13 :: v_dual_mov_b32 v13, s20
	v_mov_b32_e32 v14, s21
	flat_store_b32 v[13:14], v28 dlc
	s_waitcnt_vscnt null, 0x0
	flat_load_b32 v13, v[13:14] glc dlc
	s_waitcnt vmcnt(0)
                                        ; implicit-def: $vgpr14
	s_and_saveexec_b32 s10, s9
	s_delay_alu instid0(SALU_CYCLE_1)
	s_xor_b32 s36, exec_lo, s10
	s_cbranch_execz .LBB50_177
; %bb.114:                              ;   in Loop: Header=BB50_4 Depth=1
	v_add_f32_e64 v28, |v15|, 1.0
	v_add_f32_e64 v14, |v15|, -1.0
	s_mov_b32 s9, exec_lo
	s_waitcnt vmcnt(0) lgkmcnt(0)
	s_delay_alu instid0(VALU_DEP_2) | instskip(NEXT) | instid1(VALU_DEP_2)
	v_max_f32_e64 v13, v29, |v28|
	v_max_f32_e64 v33, v29, |v14|
	s_delay_alu instid0(VALU_DEP_2) | instskip(NEXT) | instid1(VALU_DEP_2)
	v_cvt_f64_f32_e32 v[29:30], v13
	v_cvt_f64_f32_e32 v[31:32], v33
	v_cmp_neq_f32_e32 vcc_lo, 0x7f800000, v13
	s_delay_alu instid0(VALU_DEP_3) | instskip(NEXT) | instid1(VALU_DEP_3)
	v_frexp_exp_i32_f64_e32 v29, v[29:30]
	v_frexp_exp_i32_f64_e32 v30, v[31:32]
	s_delay_alu instid0(VALU_DEP_2) | instskip(NEXT) | instid1(VALU_DEP_2)
	v_sub_nc_u32_e32 v31, 0, v29
	v_sub_nc_u32_e32 v32, 0, v30
	s_delay_alu instid0(VALU_DEP_2) | instskip(NEXT) | instid1(VALU_DEP_2)
	v_ldexp_f32 v34, |v28|, v31
	v_ldexp_f32 v35, |v14|, v32
	;; [unrolled: 1-line block ×4, first 2 shown]
	s_delay_alu instid0(VALU_DEP_3) | instskip(NEXT) | instid1(VALU_DEP_1)
	v_dual_mul_f32 v34, v34, v34 :: v_dual_mul_f32 v35, v35, v35
	v_dual_fmac_f32 v34, v31, v31 :: v_dual_fmac_f32 v35, v32, v32
	s_delay_alu instid0(VALU_DEP_1) | instskip(NEXT) | instid1(VALU_DEP_1)
	v_sqrt_f32_e32 v31, v34
	v_sqrt_f32_e32 v32, v35
	s_waitcnt_depctr 0xfff
	v_ldexp_f32 v29, v31, v29
	v_ldexp_f32 v30, v32, v30
	s_delay_alu instid0(VALU_DEP_2) | instskip(SKIP_1) | instid1(VALU_DEP_3)
	v_cndmask_b32_e32 v32, 0x7f800000, v29, vcc_lo
	v_cmp_neq_f32_e32 vcc_lo, 0x7f800000, v33
                                        ; implicit-def: $vgpr29
	v_cndmask_b32_e32 v30, 0x7f800000, v30, vcc_lo
	s_delay_alu instid0(VALU_DEP_1) | instskip(NEXT) | instid1(VALU_DEP_1)
	v_add_f32_e32 v13, v32, v30
	v_mul_f32_e32 v13, 0.5, v13
	s_delay_alu instid0(VALU_DEP_1) | instskip(SKIP_1) | instid1(VALU_DEP_1)
	v_cmp_ngt_f32_e32 vcc_lo, 1.0, v13
	v_cndmask_b32_e32 v13, 1.0, v13, vcc_lo
	v_cmpx_ngt_f32_e32 0x41200000, v13
	s_xor_b32 s10, exec_lo, s9
	s_cbranch_execz .LBB50_116
; %bb.115:                              ;   in Loop: Header=BB50_4 Depth=1
	v_fma_f32 v29, v13, v13, -1.0
	s_delay_alu instid0(VALU_DEP_1) | instskip(SKIP_1) | instid1(VALU_DEP_2)
	v_mul_f32_e32 v31, 0x4f800000, v29
	v_cmp_gt_f32_e32 vcc_lo, 0xf800000, v29
	v_cndmask_b32_e32 v29, v29, v31, vcc_lo
	s_delay_alu instid0(VALU_DEP_1) | instskip(SKIP_3) | instid1(VALU_DEP_2)
	v_sqrt_f32_e32 v31, v29
	s_waitcnt_depctr 0xfff
	v_add_nc_u32_e32 v33, -1, v31
	v_add_nc_u32_e32 v34, 1, v31
	v_fma_f32 v35, -v33, v31, v29
	s_delay_alu instid0(VALU_DEP_2) | instskip(NEXT) | instid1(VALU_DEP_2)
	v_fma_f32 v36, -v34, v31, v29
	v_cmp_ge_f32_e64 s9, 0, v35
	s_delay_alu instid0(VALU_DEP_1) | instskip(NEXT) | instid1(VALU_DEP_3)
	v_cndmask_b32_e64 v31, v31, v33, s9
	v_cmp_lt_f32_e64 s9, 0, v36
	s_delay_alu instid0(VALU_DEP_1) | instskip(NEXT) | instid1(VALU_DEP_1)
	v_cndmask_b32_e64 v31, v31, v34, s9
	v_mul_f32_e32 v33, 0x37800000, v31
	s_delay_alu instid0(VALU_DEP_1) | instskip(SKIP_1) | instid1(VALU_DEP_2)
	v_cndmask_b32_e32 v31, v31, v33, vcc_lo
	v_cmp_class_f32_e64 vcc_lo, v29, 0x260
	v_cndmask_b32_e32 v29, v31, v29, vcc_lo
	s_delay_alu instid0(VALU_DEP_1) | instskip(NEXT) | instid1(VALU_DEP_1)
	v_add_f32_e32 v29, v13, v29
	v_cmp_gt_f32_e32 vcc_lo, 0x800000, v29
	s_delay_alu instid0(VALU_DEP_4) | instskip(NEXT) | instid1(VALU_DEP_1)
	v_cndmask_b32_e64 v31, 1.0, 0x4f800000, vcc_lo
	v_mul_f32_e32 v29, v29, v31
	s_delay_alu instid0(VALU_DEP_1) | instskip(SKIP_3) | instid1(VALU_DEP_2)
	v_log_f32_e32 v29, v29
	s_waitcnt_depctr 0xfff
	v_mul_f32_e32 v31, 0x3f317217, v29
	v_cmp_gt_f32_e64 s9, 0x7f800000, |v29|
	v_fma_f32 v33, 0x3f317217, v29, -v31
	s_delay_alu instid0(VALU_DEP_1) | instskip(NEXT) | instid1(VALU_DEP_1)
	v_fmac_f32_e32 v33, 0x3377d1cf, v29
	v_add_f32_e32 v31, v31, v33
	s_delay_alu instid0(VALU_DEP_1) | instskip(SKIP_1) | instid1(VALU_DEP_1)
	v_cndmask_b32_e64 v29, v29, v31, s9
	v_cndmask_b32_e64 v31, 0, 0x41b17218, vcc_lo
	v_sub_f32_e32 v29, v29, v31
.LBB50_116:                             ;   in Loop: Header=BB50_4 Depth=1
	s_or_saveexec_b32 s10, s10
	v_and_b32_e32 v31, 0x7fffffff, v16
	s_xor_b32 exec_lo, exec_lo, s10
	s_cbranch_execz .LBB50_138
; %bb.117:                              ;   in Loop: Header=BB50_4 Depth=1
	v_cmp_neq_f32_e64 s9, |v15|, 1.0
	v_cmp_ngt_f32_e64 s37, 0x25000000, |v16|
                                        ; implicit-def: $vgpr29
	s_delay_alu instid0(VALU_DEP_1) | instskip(NEXT) | instid1(SALU_CYCLE_1)
	s_or_b32 s9, s37, s9
	s_and_saveexec_b32 s37, s9
	s_delay_alu instid0(SALU_CYCLE_1)
	s_xor_b32 s37, exec_lo, s37
	s_cbranch_execz .LBB50_135
; %bb.118:                              ;   in Loop: Header=BB50_4 Depth=1
	v_mul_f32_e64 v29, 0x34000000, |v14|
	s_delay_alu instid0(VALU_DEP_1) | instskip(NEXT) | instid1(VALU_DEP_1)
	v_cmp_le_f32_e64 s9, v29, |v16|
                                        ; implicit-def: $vgpr29
	s_and_saveexec_b32 s38, s9
	s_delay_alu instid0(SALU_CYCLE_1)
	s_xor_b32 s38, exec_lo, s38
	s_cbranch_execz .LBB50_128
; %bb.119:                              ;   in Loop: Header=BB50_4 Depth=1
	v_mov_b32_e32 v29, v31
	s_mov_b32 s9, exec_lo
	v_cmpx_neq_f32_e32 0, v28
	s_cbranch_execz .LBB50_121
; %bb.120:                              ;   in Loop: Header=BB50_4 Depth=1
	v_mul_f32_e32 v29, v16, v16
	v_add_f32_e32 v33, v28, v32
	s_delay_alu instid0(VALU_DEP_1) | instskip(NEXT) | instid1(VALU_DEP_1)
	v_div_scale_f32 v34, null, v33, v33, v29
	v_rcp_f32_e32 v35, v34
	s_waitcnt_depctr 0xfff
	v_fma_f32 v36, -v34, v35, 1.0
	s_delay_alu instid0(VALU_DEP_1) | instskip(SKIP_1) | instid1(VALU_DEP_1)
	v_fmac_f32_e32 v35, v36, v35
	v_div_scale_f32 v36, vcc_lo, v29, v33, v29
	v_mul_f32_e32 v37, v36, v35
	s_delay_alu instid0(VALU_DEP_1) | instskip(NEXT) | instid1(VALU_DEP_1)
	v_fma_f32 v38, -v34, v37, v36
	v_fmac_f32_e32 v37, v38, v35
	s_delay_alu instid0(VALU_DEP_1) | instskip(NEXT) | instid1(VALU_DEP_1)
	v_fma_f32 v34, -v34, v37, v36
	v_div_fmas_f32 v34, v34, v35, v37
	s_delay_alu instid0(VALU_DEP_1)
	v_div_fixup_f32 v29, v34, v33, v29
.LBB50_121:                             ;   in Loop: Header=BB50_4 Depth=1
	s_or_b32 exec_lo, exec_lo, s9
	v_sub_f32_e64 v34, 1.0, |v15|
	s_mov_b32 s9, exec_lo
                                        ; implicit-def: $vgpr33
	s_delay_alu instid0(VALU_DEP_1)
	v_cmpx_ngt_f32_e32 0, v34
	s_xor_b32 s9, exec_lo, s9
	s_cbranch_execz .LBB50_125
; %bb.122:                              ;   in Loop: Header=BB50_4 Depth=1
	v_mov_b32_e32 v33, v31
	s_mov_b32 s39, exec_lo
	v_cmpx_neq_f32_e32 0, v34
	s_cbranch_execz .LBB50_124
; %bb.123:                              ;   in Loop: Header=BB50_4 Depth=1
	v_dual_mul_f32 v33, v16, v16 :: v_dual_add_f32 v34, v34, v30
	s_delay_alu instid0(VALU_DEP_1) | instskip(NEXT) | instid1(VALU_DEP_1)
	v_div_scale_f32 v35, null, v34, v34, v33
	v_rcp_f32_e32 v36, v35
	s_waitcnt_depctr 0xfff
	v_fma_f32 v37, -v35, v36, 1.0
	s_delay_alu instid0(VALU_DEP_1) | instskip(SKIP_1) | instid1(VALU_DEP_1)
	v_fmac_f32_e32 v36, v37, v36
	v_div_scale_f32 v37, vcc_lo, v33, v34, v33
	v_mul_f32_e32 v38, v37, v36
	s_delay_alu instid0(VALU_DEP_1) | instskip(NEXT) | instid1(VALU_DEP_1)
	v_fma_f32 v39, -v35, v38, v37
	v_fmac_f32_e32 v38, v39, v36
	s_delay_alu instid0(VALU_DEP_1) | instskip(NEXT) | instid1(VALU_DEP_1)
	v_fma_f32 v35, -v35, v38, v37
	v_div_fmas_f32 v35, v35, v36, v38
	s_delay_alu instid0(VALU_DEP_1)
	v_div_fixup_f32 v33, v35, v34, v33
.LBB50_124:                             ;   in Loop: Header=BB50_4 Depth=1
	s_or_b32 exec_lo, exec_lo, s39
                                        ; implicit-def: $vgpr34
.LBB50_125:                             ;   in Loop: Header=BB50_4 Depth=1
	s_and_not1_saveexec_b32 s9, s9
; %bb.126:                              ;   in Loop: Header=BB50_4 Depth=1
	v_sub_f32_e32 v33, v30, v34
; %bb.127:                              ;   in Loop: Header=BB50_4 Depth=1
	s_or_b32 exec_lo, exec_lo, s9
	s_delay_alu instid0(VALU_DEP_1) | instskip(SKIP_1) | instid1(VALU_DEP_2)
	v_mul_f32_e32 v33, 0.5, v33
	v_add_f32_e32 v34, 1.0, v13
	v_fmac_f32_e32 v33, 0.5, v29
	s_delay_alu instid0(VALU_DEP_1) | instskip(NEXT) | instid1(VALU_DEP_1)
	v_mul_f32_e32 v29, v34, v33
	v_mul_f32_e32 v34, 0x4f800000, v29
	v_cmp_gt_f32_e32 vcc_lo, 0xf800000, v29
	s_delay_alu instid0(VALU_DEP_2) | instskip(NEXT) | instid1(VALU_DEP_1)
	v_cndmask_b32_e32 v29, v29, v34, vcc_lo
	v_sqrt_f32_e32 v34, v29
	s_waitcnt_depctr 0xfff
	v_add_nc_u32_e32 v35, -1, v34
	v_add_nc_u32_e32 v36, 1, v34
	s_delay_alu instid0(VALU_DEP_2) | instskip(NEXT) | instid1(VALU_DEP_2)
	v_fma_f32 v37, -v35, v34, v29
	v_fma_f32 v38, -v36, v34, v29
	s_delay_alu instid0(VALU_DEP_2) | instskip(NEXT) | instid1(VALU_DEP_1)
	v_cmp_ge_f32_e64 s9, 0, v37
	v_cndmask_b32_e64 v34, v34, v35, s9
	s_delay_alu instid0(VALU_DEP_3) | instskip(NEXT) | instid1(VALU_DEP_1)
	v_cmp_lt_f32_e64 s9, 0, v38
	v_cndmask_b32_e64 v34, v34, v36, s9
	s_delay_alu instid0(VALU_DEP_1) | instskip(NEXT) | instid1(VALU_DEP_1)
	v_mul_f32_e32 v35, 0x37800000, v34
	v_cndmask_b32_e32 v34, v34, v35, vcc_lo
	v_cmp_class_f32_e64 vcc_lo, v29, 0x260
	s_delay_alu instid0(VALU_DEP_2) | instskip(NEXT) | instid1(VALU_DEP_1)
	v_cndmask_b32_e32 v29, v34, v29, vcc_lo
	v_add_f32_e32 v29, v33, v29
	s_delay_alu instid0(VALU_DEP_1) | instskip(NEXT) | instid1(VALU_DEP_1)
	v_add_f32_e32 v35, 1.0, v29
	v_cvt_f64_f32_e32 v[33:34], v35
	s_delay_alu instid0(VALU_DEP_1) | instskip(SKIP_1) | instid1(VALU_DEP_1)
	v_frexp_exp_i32_f64_e32 v33, v[33:34]
	v_frexp_mant_f32_e32 v34, v35
	v_cmp_gt_f32_e32 vcc_lo, 0x3f2aaaab, v34
	v_add_f32_e32 v34, -1.0, v35
	s_delay_alu instid0(VALU_DEP_1) | instskip(SKIP_1) | instid1(VALU_DEP_1)
	v_dual_sub_f32 v37, v34, v35 :: v_dual_sub_f32 v34, v29, v34
	v_subrev_co_ci_u32_e32 v33, vcc_lo, 0, v33, vcc_lo
	v_sub_nc_u32_e32 v36, 0, v33
	v_cvt_f32_i32_e32 v33, v33
	s_delay_alu instid0(VALU_DEP_2) | instskip(NEXT) | instid1(VALU_DEP_1)
	v_ldexp_f32 v35, v35, v36
	v_dual_add_f32 v38, 1.0, v35 :: v_dual_add_f32 v37, 1.0, v37
	s_delay_alu instid0(VALU_DEP_1) | instskip(NEXT) | instid1(VALU_DEP_1)
	v_dual_add_f32 v34, v34, v37 :: v_dual_add_f32 v37, -1.0, v38
	v_ldexp_f32 v34, v34, v36
	s_delay_alu instid0(VALU_DEP_2) | instskip(NEXT) | instid1(VALU_DEP_1)
	v_dual_add_f32 v36, -1.0, v35 :: v_dual_sub_f32 v37, v35, v37
	v_add_f32_e32 v39, 1.0, v36
	s_delay_alu instid0(VALU_DEP_2) | instskip(NEXT) | instid1(VALU_DEP_2)
	v_add_f32_e32 v37, v34, v37
	v_sub_f32_e32 v35, v35, v39
	s_delay_alu instid0(VALU_DEP_1) | instskip(SKIP_1) | instid1(VALU_DEP_2)
	v_add_f32_e32 v34, v34, v35
	v_cmp_eq_f32_e32 vcc_lo, 0x7f800000, v29
	v_add_f32_e32 v40, v36, v34
	s_delay_alu instid0(VALU_DEP_1) | instskip(NEXT) | instid1(VALU_DEP_1)
	v_dual_sub_f32 v36, v40, v36 :: v_dual_add_f32 v39, v38, v37
	v_sub_f32_e32 v34, v34, v36
	s_delay_alu instid0(VALU_DEP_2) | instskip(SKIP_1) | instid1(VALU_DEP_1)
	v_rcp_f32_e32 v35, v39
	v_sub_f32_e32 v38, v39, v38
	v_sub_f32_e32 v37, v37, v38
	s_waitcnt_depctr 0xfff
	v_mul_f32_e32 v41, v40, v35
	s_delay_alu instid0(VALU_DEP_1) | instskip(NEXT) | instid1(VALU_DEP_1)
	v_mul_f32_e32 v42, v39, v41
	v_fma_f32 v38, v41, v39, -v42
	s_delay_alu instid0(VALU_DEP_1) | instskip(NEXT) | instid1(VALU_DEP_1)
	v_fmac_f32_e32 v38, v41, v37
	v_add_f32_e32 v43, v42, v38
	s_delay_alu instid0(VALU_DEP_1) | instskip(NEXT) | instid1(VALU_DEP_1)
	v_sub_f32_e32 v44, v40, v43
	v_sub_f32_e32 v40, v40, v44
	s_delay_alu instid0(VALU_DEP_1) | instskip(SKIP_1) | instid1(VALU_DEP_2)
	v_sub_f32_e32 v40, v40, v43
	v_sub_f32_e32 v36, v43, v42
	v_add_f32_e32 v34, v34, v40
	s_delay_alu instid0(VALU_DEP_2) | instskip(NEXT) | instid1(VALU_DEP_1)
	v_sub_f32_e32 v36, v36, v38
	v_add_f32_e32 v34, v36, v34
	s_delay_alu instid0(VALU_DEP_1) | instskip(NEXT) | instid1(VALU_DEP_1)
	v_add_f32_e32 v36, v44, v34
	v_mul_f32_e32 v38, v35, v36
	s_delay_alu instid0(VALU_DEP_1) | instskip(NEXT) | instid1(VALU_DEP_1)
	v_dual_sub_f32 v43, v44, v36 :: v_dual_mul_f32 v40, v39, v38
	v_add_f32_e32 v34, v34, v43
	s_delay_alu instid0(VALU_DEP_2) | instskip(NEXT) | instid1(VALU_DEP_1)
	v_fma_f32 v39, v38, v39, -v40
	v_fmac_f32_e32 v39, v38, v37
	s_delay_alu instid0(VALU_DEP_1) | instskip(NEXT) | instid1(VALU_DEP_1)
	v_add_f32_e32 v37, v40, v39
	v_sub_f32_e32 v42, v36, v37
	s_delay_alu instid0(VALU_DEP_1) | instskip(NEXT) | instid1(VALU_DEP_1)
	v_sub_f32_e32 v36, v36, v42
	v_sub_f32_e32 v36, v36, v37
	s_delay_alu instid0(VALU_DEP_1) | instskip(SKIP_2) | instid1(VALU_DEP_1)
	v_add_f32_e32 v34, v34, v36
	v_add_f32_e32 v36, v41, v38
	v_sub_f32_e32 v40, v37, v40
	v_sub_f32_e32 v37, v40, v39
	s_delay_alu instid0(VALU_DEP_1) | instskip(NEXT) | instid1(VALU_DEP_1)
	v_dual_add_f32 v34, v37, v34 :: v_dual_sub_f32 v37, v36, v41
	v_add_f32_e32 v34, v42, v34
	s_delay_alu instid0(VALU_DEP_1) | instskip(NEXT) | instid1(VALU_DEP_1)
	v_dual_sub_f32 v37, v38, v37 :: v_dual_mul_f32 v34, v35, v34
	v_add_f32_e32 v34, v37, v34
	s_delay_alu instid0(VALU_DEP_1) | instskip(NEXT) | instid1(VALU_DEP_1)
	v_add_f32_e32 v35, v36, v34
	v_mul_f32_e32 v37, v35, v35
	s_delay_alu instid0(VALU_DEP_1) | instskip(SKIP_1) | instid1(VALU_DEP_2)
	v_fmaak_f32 v38, s29, v37, 0x3ecc95a3
	v_mul_f32_e32 v39, v35, v37
	v_fmaak_f32 v37, v37, v38, 0x3f2aaada
	v_ldexp_f32 v38, v35, 1
	v_sub_f32_e32 v35, v35, v36
	s_delay_alu instid0(VALU_DEP_3) | instskip(SKIP_1) | instid1(VALU_DEP_2)
	v_mul_f32_e32 v37, v39, v37
	v_mul_f32_e32 v39, 0x3f317218, v33
	v_add_f32_e32 v36, v38, v37
	s_delay_alu instid0(VALU_DEP_1) | instskip(NEXT) | instid1(VALU_DEP_3)
	v_dual_sub_f32 v34, v34, v35 :: v_dual_sub_f32 v35, v36, v38
	v_fma_f32 v38, 0x3f317218, v33, -v39
	s_delay_alu instid0(VALU_DEP_2) | instskip(NEXT) | instid1(VALU_DEP_2)
	v_ldexp_f32 v34, v34, 1
	v_dual_sub_f32 v35, v37, v35 :: v_dual_fmac_f32 v38, 0xb102e308, v33
	s_delay_alu instid0(VALU_DEP_1) | instskip(NEXT) | instid1(VALU_DEP_1)
	v_dual_add_f32 v33, v34, v35 :: v_dual_add_f32 v34, v39, v38
	v_add_f32_e32 v35, v36, v33
	s_delay_alu instid0(VALU_DEP_1) | instskip(NEXT) | instid1(VALU_DEP_1)
	v_add_f32_e32 v37, v34, v35
	v_sub_f32_e32 v40, v37, v34
	s_delay_alu instid0(VALU_DEP_1) | instskip(SKIP_2) | instid1(VALU_DEP_2)
	v_sub_f32_e32 v41, v37, v40
	v_sub_f32_e32 v36, v35, v36
	;; [unrolled: 1-line block ×5, first 2 shown]
	s_delay_alu instid0(VALU_DEP_1) | instskip(NEXT) | instid1(VALU_DEP_1)
	v_sub_f32_e32 v38, v38, v39
	v_add_f32_e32 v36, v38, v33
	v_sub_f32_e32 v34, v34, v41
	s_delay_alu instid0(VALU_DEP_1) | instskip(NEXT) | instid1(VALU_DEP_3)
	v_add_f32_e32 v34, v35, v34
	v_sub_f32_e32 v35, v36, v38
	s_delay_alu instid0(VALU_DEP_1) | instskip(NEXT) | instid1(VALU_DEP_1)
	v_dual_sub_f32 v33, v33, v35 :: v_dual_add_f32 v34, v36, v34
	v_dual_sub_f32 v36, v36, v35 :: v_dual_add_f32 v39, v37, v34
	s_delay_alu instid0(VALU_DEP_1) | instskip(NEXT) | instid1(VALU_DEP_1)
	v_dual_sub_f32 v36, v38, v36 :: v_dual_sub_f32 v35, v39, v37
	v_dual_add_f32 v33, v33, v36 :: v_dual_sub_f32 v34, v34, v35
	s_delay_alu instid0(VALU_DEP_1) | instskip(NEXT) | instid1(VALU_DEP_1)
	v_add_f32_e32 v33, v33, v34
	v_add_f32_e32 v33, v39, v33
	s_delay_alu instid0(VALU_DEP_1) | instskip(SKIP_1) | instid1(VALU_DEP_2)
	v_cndmask_b32_e32 v33, v33, v29, vcc_lo
	v_cmp_ngt_f32_e32 vcc_lo, -1.0, v29
	v_cndmask_b32_e32 v33, 0x7fc00000, v33, vcc_lo
	v_cmp_neq_f32_e32 vcc_lo, -1.0, v29
	s_delay_alu instid0(VALU_DEP_2) | instskip(SKIP_1) | instid1(VALU_DEP_2)
	v_cndmask_b32_e32 v33, 0xff800000, v33, vcc_lo
	v_cmp_gt_f32_e64 vcc_lo, 0x33800000, |v29|
	v_cndmask_b32_e32 v29, v33, v29, vcc_lo
.LBB50_128:                             ;   in Loop: Header=BB50_4 Depth=1
	s_and_not1_saveexec_b32 s38, s38
	s_cbranch_execz .LBB50_134
; %bb.129:                              ;   in Loop: Header=BB50_4 Depth=1
	s_mov_b32 s39, exec_lo
                                        ; implicit-def: $vgpr29
	v_cmpx_nlt_f32_e64 |v15|, 1.0
	s_xor_b32 s39, exec_lo, s39
	s_cbranch_execz .LBB50_131
; %bb.130:                              ;   in Loop: Header=BB50_4 Depth=1
	v_mul_f32_e32 v29, v14, v28
	s_delay_alu instid0(VALU_DEP_1) | instskip(SKIP_1) | instid1(VALU_DEP_2)
	v_mul_f32_e32 v33, 0x4f800000, v29
	v_cmp_gt_f32_e32 vcc_lo, 0xf800000, v29
	v_cndmask_b32_e32 v29, v29, v33, vcc_lo
	s_delay_alu instid0(VALU_DEP_1) | instskip(SKIP_3) | instid1(VALU_DEP_2)
	v_sqrt_f32_e32 v33, v29
	s_waitcnt_depctr 0xfff
	v_add_nc_u32_e32 v34, -1, v33
	v_add_nc_u32_e32 v35, 1, v33
	v_fma_f32 v36, -v34, v33, v29
	s_delay_alu instid0(VALU_DEP_2) | instskip(NEXT) | instid1(VALU_DEP_2)
	v_fma_f32 v37, -v35, v33, v29
	v_cmp_ge_f32_e64 s9, 0, v36
	s_delay_alu instid0(VALU_DEP_1) | instskip(NEXT) | instid1(VALU_DEP_3)
	v_cndmask_b32_e64 v33, v33, v34, s9
	v_cmp_lt_f32_e64 s9, 0, v37
	s_delay_alu instid0(VALU_DEP_1) | instskip(NEXT) | instid1(VALU_DEP_1)
	v_cndmask_b32_e64 v33, v33, v35, s9
	v_mul_f32_e32 v34, 0x37800000, v33
	s_delay_alu instid0(VALU_DEP_1) | instskip(SKIP_1) | instid1(VALU_DEP_2)
	v_cndmask_b32_e32 v33, v33, v34, vcc_lo
	v_cmp_class_f32_e64 vcc_lo, v29, 0x260
	v_cndmask_b32_e32 v29, v33, v29, vcc_lo
	s_delay_alu instid0(VALU_DEP_1) | instskip(NEXT) | instid1(VALU_DEP_1)
	v_add_f32_e32 v29, v14, v29
	v_add_f32_e32 v35, 1.0, v29
	s_delay_alu instid0(VALU_DEP_1) | instskip(NEXT) | instid1(VALU_DEP_1)
	v_cvt_f64_f32_e32 v[33:34], v35
	v_frexp_exp_i32_f64_e32 v33, v[33:34]
	v_frexp_mant_f32_e32 v34, v35
	s_delay_alu instid0(VALU_DEP_1) | instskip(SKIP_1) | instid1(VALU_DEP_1)
	v_cmp_gt_f32_e32 vcc_lo, 0x3f2aaaab, v34
	v_add_f32_e32 v34, -1.0, v35
	v_dual_sub_f32 v37, v34, v35 :: v_dual_sub_f32 v34, v29, v34
	s_delay_alu instid0(VALU_DEP_1) | instskip(NEXT) | instid1(VALU_DEP_1)
	v_add_f32_e32 v37, 1.0, v37
	v_add_f32_e32 v34, v34, v37
	v_subrev_co_ci_u32_e32 v33, vcc_lo, 0, v33, vcc_lo
	s_delay_alu instid0(VALU_DEP_1) | instskip(SKIP_1) | instid1(VALU_DEP_2)
	v_sub_nc_u32_e32 v36, 0, v33
	v_cvt_f32_i32_e32 v33, v33
	v_ldexp_f32 v35, v35, v36
	v_ldexp_f32 v34, v34, v36
	s_delay_alu instid0(VALU_DEP_2) | instskip(NEXT) | instid1(VALU_DEP_1)
	v_add_f32_e32 v38, 1.0, v35
	v_dual_add_f32 v36, -1.0, v35 :: v_dual_add_f32 v37, -1.0, v38
	s_delay_alu instid0(VALU_DEP_1) | instskip(NEXT) | instid1(VALU_DEP_2)
	v_add_f32_e32 v39, 1.0, v36
	v_sub_f32_e32 v37, v35, v37
	s_delay_alu instid0(VALU_DEP_2) | instskip(NEXT) | instid1(VALU_DEP_2)
	v_sub_f32_e32 v35, v35, v39
	v_add_f32_e32 v37, v34, v37
	s_delay_alu instid0(VALU_DEP_2) | instskip(NEXT) | instid1(VALU_DEP_1)
	v_add_f32_e32 v34, v34, v35
	v_add_f32_e32 v40, v36, v34
	v_cmp_eq_f32_e32 vcc_lo, 0x7f800000, v29
	s_delay_alu instid0(VALU_DEP_2) | instskip(NEXT) | instid1(VALU_DEP_1)
	v_dual_sub_f32 v36, v40, v36 :: v_dual_add_f32 v39, v38, v37
	v_sub_f32_e32 v34, v34, v36
	s_delay_alu instid0(VALU_DEP_2) | instskip(SKIP_1) | instid1(VALU_DEP_1)
	v_rcp_f32_e32 v35, v39
	v_sub_f32_e32 v38, v39, v38
	v_sub_f32_e32 v37, v37, v38
	s_waitcnt_depctr 0xfff
	v_mul_f32_e32 v41, v40, v35
	s_delay_alu instid0(VALU_DEP_1) | instskip(NEXT) | instid1(VALU_DEP_1)
	v_mul_f32_e32 v42, v39, v41
	v_fma_f32 v38, v41, v39, -v42
	s_delay_alu instid0(VALU_DEP_1) | instskip(NEXT) | instid1(VALU_DEP_1)
	v_fmac_f32_e32 v38, v41, v37
	v_add_f32_e32 v43, v42, v38
	s_delay_alu instid0(VALU_DEP_1) | instskip(SKIP_1) | instid1(VALU_DEP_2)
	v_sub_f32_e32 v44, v40, v43
	v_sub_f32_e32 v36, v43, v42
	;; [unrolled: 1-line block ×3, first 2 shown]
	s_delay_alu instid0(VALU_DEP_1) | instskip(NEXT) | instid1(VALU_DEP_3)
	v_sub_f32_e32 v40, v40, v43
	v_sub_f32_e32 v36, v36, v38
	s_delay_alu instid0(VALU_DEP_2) | instskip(NEXT) | instid1(VALU_DEP_1)
	v_add_f32_e32 v34, v34, v40
	v_add_f32_e32 v34, v36, v34
	s_delay_alu instid0(VALU_DEP_1) | instskip(NEXT) | instid1(VALU_DEP_1)
	v_add_f32_e32 v36, v44, v34
	v_mul_f32_e32 v38, v35, v36
	s_delay_alu instid0(VALU_DEP_1) | instskip(NEXT) | instid1(VALU_DEP_1)
	v_dual_sub_f32 v43, v44, v36 :: v_dual_mul_f32 v40, v39, v38
	v_add_f32_e32 v34, v34, v43
	s_delay_alu instid0(VALU_DEP_2) | instskip(NEXT) | instid1(VALU_DEP_1)
	v_fma_f32 v39, v38, v39, -v40
	v_fmac_f32_e32 v39, v38, v37
	s_delay_alu instid0(VALU_DEP_1) | instskip(NEXT) | instid1(VALU_DEP_1)
	v_add_f32_e32 v37, v40, v39
	v_sub_f32_e32 v42, v36, v37
	s_delay_alu instid0(VALU_DEP_1) | instskip(NEXT) | instid1(VALU_DEP_1)
	v_sub_f32_e32 v36, v36, v42
	v_sub_f32_e32 v36, v36, v37
	s_delay_alu instid0(VALU_DEP_1) | instskip(SKIP_2) | instid1(VALU_DEP_1)
	v_add_f32_e32 v34, v34, v36
	v_add_f32_e32 v36, v41, v38
	v_sub_f32_e32 v40, v37, v40
	v_sub_f32_e32 v37, v40, v39
	s_delay_alu instid0(VALU_DEP_1) | instskip(NEXT) | instid1(VALU_DEP_1)
	v_dual_add_f32 v34, v37, v34 :: v_dual_sub_f32 v37, v36, v41
	v_add_f32_e32 v34, v42, v34
	s_delay_alu instid0(VALU_DEP_1) | instskip(NEXT) | instid1(VALU_DEP_1)
	v_dual_sub_f32 v37, v38, v37 :: v_dual_mul_f32 v34, v35, v34
	v_add_f32_e32 v34, v37, v34
	s_delay_alu instid0(VALU_DEP_1) | instskip(NEXT) | instid1(VALU_DEP_1)
	v_add_f32_e32 v35, v36, v34
	v_mul_f32_e32 v37, v35, v35
	s_delay_alu instid0(VALU_DEP_1) | instskip(SKIP_1) | instid1(VALU_DEP_2)
	v_fmaak_f32 v38, s29, v37, 0x3ecc95a3
	v_mul_f32_e32 v39, v35, v37
	v_fmaak_f32 v37, v37, v38, 0x3f2aaada
	v_ldexp_f32 v38, v35, 1
	s_delay_alu instid0(VALU_DEP_2) | instskip(SKIP_1) | instid1(VALU_DEP_2)
	v_mul_f32_e32 v37, v39, v37
	v_mul_f32_e32 v39, 0x3f317218, v33
	v_dual_sub_f32 v35, v35, v36 :: v_dual_add_f32 v36, v38, v37
	s_delay_alu instid0(VALU_DEP_1) | instskip(NEXT) | instid1(VALU_DEP_3)
	v_dual_sub_f32 v34, v34, v35 :: v_dual_sub_f32 v35, v36, v38
	v_fma_f32 v38, 0x3f317218, v33, -v39
	s_delay_alu instid0(VALU_DEP_2) | instskip(NEXT) | instid1(VALU_DEP_2)
	v_ldexp_f32 v34, v34, 1
	v_dual_sub_f32 v35, v37, v35 :: v_dual_fmac_f32 v38, 0xb102e308, v33
	s_delay_alu instid0(VALU_DEP_1) | instskip(NEXT) | instid1(VALU_DEP_1)
	v_dual_add_f32 v33, v34, v35 :: v_dual_add_f32 v34, v39, v38
	v_add_f32_e32 v35, v36, v33
	s_delay_alu instid0(VALU_DEP_1) | instskip(NEXT) | instid1(VALU_DEP_1)
	v_add_f32_e32 v37, v34, v35
	v_sub_f32_e32 v40, v37, v34
	s_delay_alu instid0(VALU_DEP_1) | instskip(SKIP_1) | instid1(VALU_DEP_1)
	v_sub_f32_e32 v41, v37, v40
	v_sub_f32_e32 v36, v35, v36
	;; [unrolled: 1-line block ×4, first 2 shown]
	s_delay_alu instid0(VALU_DEP_1) | instskip(NEXT) | instid1(VALU_DEP_1)
	v_dual_sub_f32 v35, v35, v40 :: v_dual_sub_f32 v38, v38, v39
	v_add_f32_e32 v36, v38, v33
	v_sub_f32_e32 v34, v34, v41
	s_delay_alu instid0(VALU_DEP_1) | instskip(NEXT) | instid1(VALU_DEP_3)
	v_add_f32_e32 v34, v35, v34
	v_sub_f32_e32 v35, v36, v38
	s_delay_alu instid0(VALU_DEP_1) | instskip(NEXT) | instid1(VALU_DEP_1)
	v_dual_sub_f32 v33, v33, v35 :: v_dual_add_f32 v34, v36, v34
	v_dual_sub_f32 v36, v36, v35 :: v_dual_add_f32 v39, v37, v34
	s_delay_alu instid0(VALU_DEP_1) | instskip(NEXT) | instid1(VALU_DEP_1)
	v_dual_sub_f32 v35, v39, v37 :: v_dual_sub_f32 v36, v38, v36
	v_dual_sub_f32 v34, v34, v35 :: v_dual_add_f32 v33, v33, v36
	s_delay_alu instid0(VALU_DEP_1) | instskip(NEXT) | instid1(VALU_DEP_1)
	v_add_f32_e32 v33, v33, v34
	v_add_f32_e32 v33, v39, v33
	s_delay_alu instid0(VALU_DEP_1) | instskip(SKIP_1) | instid1(VALU_DEP_2)
	v_cndmask_b32_e32 v33, v33, v29, vcc_lo
	v_cmp_ngt_f32_e32 vcc_lo, -1.0, v29
	v_cndmask_b32_e32 v33, 0x7fc00000, v33, vcc_lo
	v_cmp_neq_f32_e32 vcc_lo, -1.0, v29
	s_delay_alu instid0(VALU_DEP_2) | instskip(SKIP_1) | instid1(VALU_DEP_2)
	v_cndmask_b32_e32 v33, 0xff800000, v33, vcc_lo
	v_cmp_gt_f32_e64 vcc_lo, 0x33800000, |v29|
	v_cndmask_b32_e32 v29, v33, v29, vcc_lo
.LBB50_131:                             ;   in Loop: Header=BB50_4 Depth=1
	s_and_not1_saveexec_b32 s39, s39
	s_cbranch_execz .LBB50_133
; %bb.132:                              ;   in Loop: Header=BB50_4 Depth=1
	v_sub_f32_e64 v29, 1.0, |v15|
	s_delay_alu instid0(VALU_DEP_1) | instskip(NEXT) | instid1(VALU_DEP_1)
	v_mul_f32_e32 v29, v29, v28
	v_mul_f32_e32 v33, 0x4f800000, v29
	v_cmp_gt_f32_e32 vcc_lo, 0xf800000, v29
	s_delay_alu instid0(VALU_DEP_2) | instskip(NEXT) | instid1(VALU_DEP_1)
	v_cndmask_b32_e32 v29, v29, v33, vcc_lo
	v_sqrt_f32_e32 v33, v29
	s_waitcnt_depctr 0xfff
	v_add_nc_u32_e32 v34, -1, v33
	v_add_nc_u32_e32 v35, 1, v33
	s_delay_alu instid0(VALU_DEP_2) | instskip(NEXT) | instid1(VALU_DEP_2)
	v_fma_f32 v36, -v34, v33, v29
	v_fma_f32 v37, -v35, v33, v29
	s_delay_alu instid0(VALU_DEP_2) | instskip(NEXT) | instid1(VALU_DEP_1)
	v_cmp_ge_f32_e64 s9, 0, v36
	v_cndmask_b32_e64 v33, v33, v34, s9
	s_delay_alu instid0(VALU_DEP_3) | instskip(NEXT) | instid1(VALU_DEP_1)
	v_cmp_lt_f32_e64 s9, 0, v37
	v_cndmask_b32_e64 v33, v33, v35, s9
	s_delay_alu instid0(VALU_DEP_1) | instskip(NEXT) | instid1(VALU_DEP_1)
	v_mul_f32_e32 v34, 0x37800000, v33
	v_dual_cndmask_b32 v33, v33, v34 :: v_dual_and_b32 v34, 0x7fffffff, v16
	v_cmp_class_f32_e64 vcc_lo, v29, 0x260
	s_delay_alu instid0(VALU_DEP_2) | instskip(NEXT) | instid1(VALU_DEP_1)
	v_cndmask_b32_e32 v29, v33, v29, vcc_lo
	v_div_scale_f32 v33, null, v29, v29, v34
	v_div_scale_f32 v34, vcc_lo, v34, v29, v34
	s_delay_alu instid0(VALU_DEP_2) | instskip(SKIP_2) | instid1(VALU_DEP_1)
	v_rcp_f32_e32 v35, v33
	s_waitcnt_depctr 0xfff
	v_fma_f32 v36, -v33, v35, 1.0
	v_fmac_f32_e32 v35, v36, v35
	s_delay_alu instid0(VALU_DEP_1) | instskip(NEXT) | instid1(VALU_DEP_1)
	v_mul_f32_e32 v36, v34, v35
	v_fma_f32 v37, -v33, v36, v34
	s_delay_alu instid0(VALU_DEP_1) | instskip(NEXT) | instid1(VALU_DEP_1)
	v_fmac_f32_e32 v36, v37, v35
	v_fma_f32 v33, -v33, v36, v34
	s_delay_alu instid0(VALU_DEP_1) | instskip(NEXT) | instid1(VALU_DEP_1)
	v_div_fmas_f32 v33, v33, v35, v36
	v_div_fixup_f32 v29, v33, v29, |v16|
.LBB50_133:                             ;   in Loop: Header=BB50_4 Depth=1
	s_or_b32 exec_lo, exec_lo, s39
.LBB50_134:                             ;   in Loop: Header=BB50_4 Depth=1
	s_delay_alu instid0(SALU_CYCLE_1)
	s_or_b32 exec_lo, exec_lo, s38
.LBB50_135:                             ;   in Loop: Header=BB50_4 Depth=1
	s_and_not1_saveexec_b32 s37, s37
	s_cbranch_execz .LBB50_137
; %bb.136:                              ;   in Loop: Header=BB50_4 Depth=1
	v_mul_f32_e64 v29, 0x4f800000, |v16|
	v_cmp_gt_f32_e64 vcc_lo, 0xf800000, |v16|
	s_delay_alu instid0(VALU_DEP_1) | instskip(NEXT) | instid1(VALU_DEP_1)
	v_cndmask_b32_e64 v29, |v16|, v29, vcc_lo
	v_sqrt_f32_e32 v33, v29
	s_waitcnt_depctr 0xfff
	v_add_nc_u32_e32 v34, -1, v33
	v_add_nc_u32_e32 v35, 1, v33
	s_delay_alu instid0(VALU_DEP_2) | instskip(NEXT) | instid1(VALU_DEP_2)
	v_fma_f32 v36, -v34, v33, v29
	v_fma_f32 v37, -v35, v33, v29
	s_delay_alu instid0(VALU_DEP_2) | instskip(NEXT) | instid1(VALU_DEP_1)
	v_cmp_ge_f32_e64 s9, 0, v36
	v_cndmask_b32_e64 v33, v33, v34, s9
	s_delay_alu instid0(VALU_DEP_3) | instskip(NEXT) | instid1(VALU_DEP_1)
	v_cmp_lt_f32_e64 s9, 0, v37
	v_cndmask_b32_e64 v33, v33, v35, s9
	s_delay_alu instid0(VALU_DEP_1) | instskip(NEXT) | instid1(VALU_DEP_1)
	v_mul_f32_e32 v34, 0x37800000, v33
	v_cndmask_b32_e32 v33, v33, v34, vcc_lo
	v_cmp_class_f32_e64 vcc_lo, v29, 0x260
	s_delay_alu instid0(VALU_DEP_2)
	v_cndmask_b32_e32 v29, v33, v29, vcc_lo
.LBB50_137:                             ;   in Loop: Header=BB50_4 Depth=1
	s_or_b32 exec_lo, exec_lo, s37
.LBB50_138:                             ;   in Loop: Header=BB50_4 Depth=1
	s_delay_alu instid0(SALU_CYCLE_1) | instskip(NEXT) | instid1(SALU_CYCLE_1)
	s_or_b32 exec_lo, exec_lo, s10
	s_mov_b32 s37, exec_lo
                                        ; implicit-def: $sgpr9
                                        ; implicit-def: $vgpr33
                                        ; implicit-def: $vgpr35
                                        ; implicit-def: $vgpr34
	v_cmpx_ngt_f32_e64 0x21000000, |v15|
	s_xor_b32 s37, exec_lo, s37
	s_cbranch_execz .LBB50_162
; %bb.139:                              ;   in Loop: Header=BB50_4 Depth=1
	v_and_b32_e32 v34, 0x7fffffff, v15
	s_mov_b32 s9, 0
	s_mov_b32 s38, exec_lo
	s_delay_alu instid0(VALU_DEP_1) | instskip(NEXT) | instid1(VALU_DEP_1)
	v_div_scale_f32 v33, null, v13, v13, v34
	v_rcp_f32_e32 v35, v33
	s_waitcnt_depctr 0xfff
	v_fma_f32 v36, -v33, v35, 1.0
	s_delay_alu instid0(VALU_DEP_1) | instskip(SKIP_1) | instid1(VALU_DEP_1)
	v_fmac_f32_e32 v35, v36, v35
	v_div_scale_f32 v36, vcc_lo, v34, v13, v34
	v_mul_f32_e32 v37, v36, v35
	s_delay_alu instid0(VALU_DEP_1) | instskip(NEXT) | instid1(VALU_DEP_1)
	v_fma_f32 v38, -v33, v37, v36
	v_fmac_f32_e32 v37, v38, v35
	s_delay_alu instid0(VALU_DEP_1) | instskip(NEXT) | instid1(VALU_DEP_1)
	v_fma_f32 v33, -v33, v37, v36
	v_div_fmas_f32 v33, v33, v35, v37
                                        ; implicit-def: $vgpr35
	s_delay_alu instid0(VALU_DEP_1) | instskip(NEXT) | instid1(VALU_DEP_1)
	v_div_fixup_f32 v33, v33, v13, |v15|
	v_cmpx_lt_f32_e32 0x3f244674, v33
	s_cbranch_execz .LBB50_161
; %bb.140:                              ;   in Loop: Header=BB50_4 Depth=1
	v_cmp_neq_f32_e64 s9, |v15|, 1.0
	v_cmp_ngt_f32_e64 s10, 0x30800000, |v16|
                                        ; implicit-def: $sgpr39
                                        ; implicit-def: $vgpr35
	s_delay_alu instid0(VALU_DEP_1) | instskip(NEXT) | instid1(SALU_CYCLE_1)
	s_or_b32 s9, s10, s9
	s_and_saveexec_b32 s10, s9
	s_delay_alu instid0(SALU_CYCLE_1)
	s_xor_b32 s10, exec_lo, s10
	s_cbranch_execz .LBB50_158
; %bb.141:                              ;   in Loop: Header=BB50_4 Depth=1
	v_mul_f32_e64 v35, 0x34000000, |v14|
                                        ; implicit-def: $sgpr39
	s_delay_alu instid0(VALU_DEP_1) | instskip(NEXT) | instid1(VALU_DEP_1)
	v_cmp_le_f32_e64 s9, v35, |v16|
                                        ; implicit-def: $vgpr35
	s_and_saveexec_b32 s40, s9
	s_delay_alu instid0(SALU_CYCLE_1)
	s_xor_b32 s40, exec_lo, s40
	s_cbranch_execz .LBB50_151
; %bb.142:                              ;   in Loop: Header=BB50_4 Depth=1
	v_mov_b32_e32 v35, v31
	s_mov_b32 s9, exec_lo
	v_cmpx_neq_f32_e32 0, v28
	s_cbranch_execz .LBB50_144
; %bb.143:                              ;   in Loop: Header=BB50_4 Depth=1
	v_mul_f32_e32 v35, v16, v16
	v_add_f32_e32 v28, v28, v32
	s_delay_alu instid0(VALU_DEP_1) | instskip(NEXT) | instid1(VALU_DEP_1)
	v_div_scale_f32 v32, null, v28, v28, v35
	v_rcp_f32_e32 v36, v32
	s_waitcnt_depctr 0xfff
	v_fma_f32 v37, -v32, v36, 1.0
	s_delay_alu instid0(VALU_DEP_1) | instskip(SKIP_1) | instid1(VALU_DEP_1)
	v_fmac_f32_e32 v36, v37, v36
	v_div_scale_f32 v37, vcc_lo, v35, v28, v35
	v_mul_f32_e32 v38, v37, v36
	s_delay_alu instid0(VALU_DEP_1) | instskip(NEXT) | instid1(VALU_DEP_1)
	v_fma_f32 v39, -v32, v38, v37
	v_fmac_f32_e32 v38, v39, v36
	s_delay_alu instid0(VALU_DEP_1) | instskip(NEXT) | instid1(VALU_DEP_1)
	v_fma_f32 v32, -v32, v38, v37
	v_div_fmas_f32 v32, v32, v36, v38
	s_delay_alu instid0(VALU_DEP_1)
	v_div_fixup_f32 v35, v32, v28, v35
.LBB50_144:                             ;   in Loop: Header=BB50_4 Depth=1
	s_or_b32 exec_lo, exec_lo, s9
	s_delay_alu instid0(SALU_CYCLE_1)
	s_mov_b32 s9, exec_lo
	v_cmpx_ngt_f32_e32 0, v14
	s_xor_b32 s9, exec_lo, s9
	s_cbranch_execz .LBB50_148
; %bb.145:                              ;   in Loop: Header=BB50_4 Depth=1
	s_mov_b32 s39, exec_lo
	v_cmpx_neq_f32_e32 0, v14
	s_cbranch_execz .LBB50_147
; %bb.146:                              ;   in Loop: Header=BB50_4 Depth=1
	v_mul_f32_e32 v16, v16, v16
	v_add_f32_e32 v14, v14, v30
	s_delay_alu instid0(VALU_DEP_1) | instskip(NEXT) | instid1(VALU_DEP_1)
	v_div_scale_f32 v28, null, v14, v14, v16
	v_rcp_f32_e32 v30, v28
	s_waitcnt_depctr 0xfff
	v_fma_f32 v31, -v28, v30, 1.0
	s_delay_alu instid0(VALU_DEP_1) | instskip(SKIP_1) | instid1(VALU_DEP_1)
	v_fmac_f32_e32 v30, v31, v30
	v_div_scale_f32 v31, vcc_lo, v16, v14, v16
	v_mul_f32_e32 v32, v31, v30
	s_delay_alu instid0(VALU_DEP_1) | instskip(NEXT) | instid1(VALU_DEP_1)
	v_fma_f32 v36, -v28, v32, v31
	v_fmac_f32_e32 v32, v36, v30
	s_delay_alu instid0(VALU_DEP_1) | instskip(NEXT) | instid1(VALU_DEP_1)
	v_fma_f32 v28, -v28, v32, v31
	v_div_fmas_f32 v28, v28, v30, v32
	s_delay_alu instid0(VALU_DEP_1)
	v_div_fixup_f32 v31, v28, v14, v16
.LBB50_147:                             ;   in Loop: Header=BB50_4 Depth=1
	s_or_b32 exec_lo, exec_lo, s39
                                        ; implicit-def: $vgpr30
                                        ; implicit-def: $vgpr14
.LBB50_148:                             ;   in Loop: Header=BB50_4 Depth=1
	s_and_not1_saveexec_b32 s9, s9
; %bb.149:                              ;   in Loop: Header=BB50_4 Depth=1
	v_sub_f32_e32 v31, v30, v14
; %bb.150:                              ;   in Loop: Header=BB50_4 Depth=1
	s_or_b32 exec_lo, exec_lo, s9
	s_delay_alu instid0(VALU_DEP_1) | instskip(SKIP_2) | instid1(VALU_DEP_2)
	v_mul_f32_e32 v14, 0.5, v31
	v_add_f32_e64 v13, |v15|, v13
	s_mov_b32 s39, -1
	v_fmac_f32_e32 v14, 0.5, v35
	s_delay_alu instid0(VALU_DEP_1) | instskip(NEXT) | instid1(VALU_DEP_1)
	v_mul_f32_e32 v13, v13, v14
	v_mul_f32_e32 v14, 0x4f800000, v13
	v_cmp_gt_f32_e32 vcc_lo, 0xf800000, v13
	s_delay_alu instid0(VALU_DEP_2) | instskip(NEXT) | instid1(VALU_DEP_1)
	v_cndmask_b32_e32 v13, v13, v14, vcc_lo
	v_sqrt_f32_e32 v14, v13
	s_waitcnt_depctr 0xfff
	v_add_nc_u32_e32 v15, -1, v14
	v_add_nc_u32_e32 v16, 1, v14
	s_delay_alu instid0(VALU_DEP_2) | instskip(NEXT) | instid1(VALU_DEP_2)
	v_fma_f32 v28, -v15, v14, v13
	v_fma_f32 v30, -v16, v14, v13
	s_delay_alu instid0(VALU_DEP_2) | instskip(NEXT) | instid1(VALU_DEP_1)
	v_cmp_ge_f32_e64 s9, 0, v28
                                        ; implicit-def: $vgpr28
	v_cndmask_b32_e64 v14, v14, v15, s9
	s_delay_alu instid0(VALU_DEP_3) | instskip(NEXT) | instid1(VALU_DEP_1)
	v_cmp_lt_f32_e64 s9, 0, v30
	v_cndmask_b32_e64 v14, v14, v16, s9
                                        ; implicit-def: $vgpr16
	s_delay_alu instid0(VALU_DEP_1) | instskip(NEXT) | instid1(VALU_DEP_1)
	v_mul_f32_e32 v15, 0x37800000, v14
	v_cndmask_b32_e32 v14, v14, v15, vcc_lo
	v_cmp_class_f32_e64 vcc_lo, v13, 0x260
	s_delay_alu instid0(VALU_DEP_2)
	v_cndmask_b32_e32 v35, v14, v13, vcc_lo
                                        ; implicit-def: $vgpr14
.LBB50_151:                             ;   in Loop: Header=BB50_4 Depth=1
	s_and_not1_saveexec_b32 s40, s40
	s_cbranch_execz .LBB50_157
; %bb.152:                              ;   in Loop: Header=BB50_4 Depth=1
	s_mov_b32 s42, exec_lo
                                        ; implicit-def: $vgpr35
                                        ; implicit-def: $sgpr41
	v_cmpx_ngt_f32_e64 |v15|, 1.0
	s_xor_b32 s42, exec_lo, s42
	s_cbranch_execz .LBB50_154
; %bb.153:                              ;   in Loop: Header=BB50_4 Depth=1
	v_sub_f32_e64 v13, 1.0, |v15|
	s_mov_b32 s41, -1
	s_delay_alu instid0(VALU_DEP_1) | instskip(NEXT) | instid1(VALU_DEP_1)
	v_mul_f32_e32 v13, v13, v28
	v_mul_f32_e32 v14, 0x4f800000, v13
	v_cmp_gt_f32_e32 vcc_lo, 0xf800000, v13
	s_delay_alu instid0(VALU_DEP_2) | instskip(NEXT) | instid1(VALU_DEP_1)
	v_cndmask_b32_e32 v13, v13, v14, vcc_lo
	v_sqrt_f32_e32 v14, v13
	s_waitcnt_depctr 0xfff
	v_add_nc_u32_e32 v15, -1, v14
	v_add_nc_u32_e32 v16, 1, v14
	s_delay_alu instid0(VALU_DEP_2) | instskip(NEXT) | instid1(VALU_DEP_2)
	v_fma_f32 v28, -v15, v14, v13
	v_fma_f32 v30, -v16, v14, v13
	s_delay_alu instid0(VALU_DEP_2) | instskip(NEXT) | instid1(VALU_DEP_1)
	v_cmp_ge_f32_e64 s9, 0, v28
                                        ; implicit-def: $vgpr28
	v_cndmask_b32_e64 v14, v14, v15, s9
	s_delay_alu instid0(VALU_DEP_3) | instskip(NEXT) | instid1(VALU_DEP_1)
	v_cmp_lt_f32_e64 s9, 0, v30
	v_cndmask_b32_e64 v14, v14, v16, s9
                                        ; implicit-def: $vgpr16
	s_delay_alu instid0(VALU_DEP_1) | instskip(NEXT) | instid1(VALU_DEP_1)
	v_mul_f32_e32 v15, 0x37800000, v14
	v_cndmask_b32_e32 v14, v14, v15, vcc_lo
	v_cmp_class_f32_e64 vcc_lo, v13, 0x260
	s_delay_alu instid0(VALU_DEP_2)
	v_cndmask_b32_e32 v35, v14, v13, vcc_lo
                                        ; implicit-def: $vgpr14
.LBB50_154:                             ;   in Loop: Header=BB50_4 Depth=1
	s_and_not1_saveexec_b32 s42, s42
	s_cbranch_execz .LBB50_156
; %bb.155:                              ;   in Loop: Header=BB50_4 Depth=1
	v_mul_f32_e32 v13, v28, v14
	v_mul_f32_e64 v16, 0x57800000, |v16|
	v_mul_f32_e64 v34, 0x57800000, |v15|
	s_or_b32 s41, s41, exec_lo
	s_delay_alu instid0(VALU_DEP_3) | instskip(SKIP_2) | instid1(VALU_DEP_3)
	v_mul_f32_e32 v14, 0x4f800000, v13
	v_cmp_gt_f32_e32 vcc_lo, 0xf800000, v13
	v_mul_f32_e64 v16, |v15|, v16
	v_cndmask_b32_e32 v13, v13, v14, vcc_lo
	s_delay_alu instid0(VALU_DEP_1) | instskip(SKIP_3) | instid1(VALU_DEP_2)
	v_sqrt_f32_e32 v14, v13
	s_waitcnt_depctr 0xfff
	v_add_nc_u32_e32 v28, -1, v14
	v_add_nc_u32_e32 v30, 1, v14
	v_fma_f32 v31, -v28, v14, v13
	s_delay_alu instid0(VALU_DEP_2) | instskip(NEXT) | instid1(VALU_DEP_2)
	v_fma_f32 v32, -v30, v14, v13
	v_cmp_ge_f32_e64 s9, 0, v31
	s_delay_alu instid0(VALU_DEP_1) | instskip(NEXT) | instid1(VALU_DEP_3)
	v_cndmask_b32_e64 v14, v14, v28, s9
	v_cmp_lt_f32_e64 s9, 0, v32
	s_delay_alu instid0(VALU_DEP_1) | instskip(NEXT) | instid1(VALU_DEP_1)
	v_cndmask_b32_e64 v14, v14, v30, s9
	v_mul_f32_e32 v28, 0x37800000, v14
	s_delay_alu instid0(VALU_DEP_1) | instskip(SKIP_1) | instid1(VALU_DEP_2)
	v_cndmask_b32_e32 v14, v14, v28, vcc_lo
	v_cmp_class_f32_e64 vcc_lo, v13, 0x260
	v_cndmask_b32_e32 v13, v14, v13, vcc_lo
	s_delay_alu instid0(VALU_DEP_1) | instskip(SKIP_1) | instid1(VALU_DEP_2)
	v_div_scale_f32 v14, null, v13, v13, v16
	v_div_scale_f32 v31, vcc_lo, v16, v13, v16
	v_rcp_f32_e32 v28, v14
	s_waitcnt_depctr 0xfff
	v_fma_f32 v30, -v14, v28, 1.0
	s_delay_alu instid0(VALU_DEP_1) | instskip(NEXT) | instid1(VALU_DEP_1)
	v_fmac_f32_e32 v28, v30, v28
	v_mul_f32_e32 v30, v31, v28
	s_delay_alu instid0(VALU_DEP_1) | instskip(NEXT) | instid1(VALU_DEP_1)
	v_fma_f32 v32, -v14, v30, v31
	v_fmac_f32_e32 v30, v32, v28
	s_delay_alu instid0(VALU_DEP_1) | instskip(NEXT) | instid1(VALU_DEP_1)
	v_fma_f32 v14, -v14, v30, v31
	v_div_fmas_f32 v14, v14, v28, v30
	s_delay_alu instid0(VALU_DEP_1)
	v_div_fixup_f32 v35, v14, v13, v16
.LBB50_156:                             ;   in Loop: Header=BB50_4 Depth=1
	s_or_b32 exec_lo, exec_lo, s42
	s_delay_alu instid0(SALU_CYCLE_1) | instskip(SKIP_1) | instid1(SALU_CYCLE_1)
	s_and_not1_b32 s9, s39, exec_lo
	s_and_b32 s39, s41, exec_lo
	s_or_b32 s39, s9, s39
.LBB50_157:                             ;   in Loop: Header=BB50_4 Depth=1
	s_or_b32 exec_lo, exec_lo, s40
	s_delay_alu instid0(SALU_CYCLE_1)
	s_and_b32 s39, s39, exec_lo
                                        ; implicit-def: $vgpr16
                                        ; implicit-def: $vgpr13
.LBB50_158:                             ;   in Loop: Header=BB50_4 Depth=1
	s_and_not1_saveexec_b32 s40, s10
	s_cbranch_execz .LBB50_160
; %bb.159:                              ;   in Loop: Header=BB50_4 Depth=1
	v_add_f32_e32 v13, 1.0, v13
	v_mul_f32_e64 v14, 0x4f800000, |v16|
	v_cmp_gt_f32_e64 vcc_lo, 0xf800000, |v16|
	s_or_b32 s39, s39, exec_lo
	s_delay_alu instid0(VALU_DEP_3) | instskip(NEXT) | instid1(VALU_DEP_2)
	v_mul_f32_e32 v13, 0.5, v13
	v_cndmask_b32_e64 v14, |v16|, v14, vcc_lo
	s_delay_alu instid0(VALU_DEP_2) | instskip(SKIP_1) | instid1(VALU_DEP_1)
	v_mul_f32_e32 v15, 0x4f800000, v13
	v_cmp_gt_f32_e64 s9, 0xf800000, v13
	v_cndmask_b32_e64 v13, v13, v15, s9
	s_delay_alu instid0(VALU_DEP_4) | instskip(NEXT) | instid1(VALU_DEP_1)
	v_sqrt_f32_e32 v15, v14
	v_sqrt_f32_e32 v16, v13
	s_waitcnt_depctr 0xfff
	v_add_nc_u32_e32 v28, -1, v15
	v_add_nc_u32_e32 v31, 1, v15
	v_add_nc_u32_e32 v30, -1, v16
	s_delay_alu instid0(VALU_DEP_3) | instskip(SKIP_1) | instid1(VALU_DEP_4)
	v_fma_f32 v32, -v28, v15, v14
	v_add_nc_u32_e32 v34, 1, v16
	v_fma_f32 v36, -v31, v15, v14
	s_delay_alu instid0(VALU_DEP_4) | instskip(NEXT) | instid1(VALU_DEP_4)
	v_fma_f32 v35, -v30, v16, v13
	v_cmp_ge_f32_e64 s10, 0, v32
	s_delay_alu instid0(VALU_DEP_1) | instskip(NEXT) | instid1(VALU_DEP_3)
	v_cndmask_b32_e64 v15, v15, v28, s10
	v_cmp_ge_f32_e64 s10, 0, v35
	v_fma_f32 v28, -v34, v16, v13
	s_delay_alu instid0(VALU_DEP_2) | instskip(SKIP_1) | instid1(VALU_DEP_1)
	v_cndmask_b32_e64 v16, v16, v30, s10
	v_cmp_lt_f32_e64 s10, 0, v36
	v_cndmask_b32_e64 v15, v15, v31, s10
	s_delay_alu instid0(VALU_DEP_4) | instskip(NEXT) | instid1(VALU_DEP_1)
	v_cmp_lt_f32_e64 s10, 0, v28
	v_cndmask_b32_e64 v16, v16, v34, s10
	v_mov_b32_e32 v34, 1.0
	s_delay_alu instid0(VALU_DEP_2) | instskip(NEXT) | instid1(VALU_DEP_1)
	v_mul_f32_e32 v30, 0x37800000, v16
	v_cndmask_b32_e64 v16, v16, v30, s9
	v_mul_f32_e32 v28, 0x37800000, v15
	s_delay_alu instid0(VALU_DEP_1) | instskip(SKIP_1) | instid1(VALU_DEP_2)
	v_cndmask_b32_e32 v15, v15, v28, vcc_lo
	v_cmp_class_f32_e64 vcc_lo, v14, 0x260
	v_cndmask_b32_e32 v14, v15, v14, vcc_lo
	v_cmp_class_f32_e64 vcc_lo, v13, 0x260
	v_cndmask_b32_e32 v13, v16, v13, vcc_lo
	s_delay_alu instid0(VALU_DEP_1)
	v_mul_f32_e32 v35, v14, v13
.LBB50_160:                             ;   in Loop: Header=BB50_4 Depth=1
	s_or_b32 exec_lo, exec_lo, s40
	s_delay_alu instid0(SALU_CYCLE_1)
	s_and_b32 s9, s39, exec_lo
.LBB50_161:                             ;   in Loop: Header=BB50_4 Depth=1
	s_or_b32 exec_lo, exec_lo, s38
	s_delay_alu instid0(SALU_CYCLE_1)
	s_and_b32 s9, s9, exec_lo
                                        ; implicit-def: $vgpr13
                                        ; implicit-def: $vgpr15
.LBB50_162:                             ;   in Loop: Header=BB50_4 Depth=1
	s_and_not1_saveexec_b32 s10, s37
; %bb.163:                              ;   in Loop: Header=BB50_4 Depth=1
	v_mul_f32_e32 v35, 0x4b800000, v13
	v_mul_f32_e64 v34, 0x4b800000, |v15|
	s_or_b32 s9, s9, exec_lo
                                        ; implicit-def: $vgpr33
; %bb.164:                              ;   in Loop: Header=BB50_4 Depth=1
	s_or_b32 exec_lo, exec_lo, s10
	s_xor_b32 s9, s9, -1
                                        ; implicit-def: $vgpr13
	s_delay_alu instid0(SALU_CYCLE_1) | instskip(NEXT) | instid1(SALU_CYCLE_1)
	s_and_saveexec_b32 s10, s9
	s_xor_b32 s10, exec_lo, s10
	s_cbranch_execz .LBB50_170
; %bb.165:                              ;   in Loop: Header=BB50_4 Depth=1
	v_fma_f32 v15, |v33|, -0.5, 0.5
	v_mul_f32_e32 v14, v33, v33
                                        ; implicit-def: $vgpr13
	s_and_saveexec_b32 s9, s8
	s_delay_alu instid0(SALU_CYCLE_1)
	s_xor_b32 s9, exec_lo, s9
	s_cbranch_execz .LBB50_167
; %bb.166:                              ;   in Loop: Header=BB50_4 Depth=1
	v_cmp_gt_f32_e64 vcc_lo, |v33|, 0.5
	v_cndmask_b32_e32 v13, v14, v15, vcc_lo
	s_delay_alu instid0(VALU_DEP_1) | instskip(SKIP_1) | instid1(VALU_DEP_1)
	v_fmaak_f32 v14, s30, v13, 0x3c5fc5da
	v_sqrt_f32_e32 v15, v13
	v_fmaak_f32 v14, v13, v14, 0x3d034c3c
	s_delay_alu instid0(VALU_DEP_1) | instskip(NEXT) | instid1(VALU_DEP_1)
	v_fmaak_f32 v14, v13, v14, 0x3d3641b1
	v_fmaak_f32 v14, v13, v14, 0x3d999bc8
	s_delay_alu instid0(VALU_DEP_1) | instskip(NEXT) | instid1(VALU_DEP_1)
	v_fmaak_f32 v14, v13, v14, 0x3e2aaaac
	v_mul_f32_e32 v13, v13, v14
	s_waitcnt_depctr 0xfff
	v_fmac_f32_e32 v15, v15, v13
	v_fmac_f32_e32 v33, v33, v13
	s_delay_alu instid0(VALU_DEP_1) | instskip(NEXT) | instid1(VALU_DEP_1)
	v_dual_add_f32 v13, v15, v15 :: v_dual_sub_f32 v14, 0x3fc90fdb, v33
                                        ; implicit-def: $vgpr33
                                        ; implicit-def: $vgpr15
	v_cndmask_b32_e32 v13, v14, v13, vcc_lo
                                        ; implicit-def: $vgpr14
.LBB50_167:                             ;   in Loop: Header=BB50_4 Depth=1
	s_and_not1_saveexec_b32 s37, s9
	s_cbranch_execz .LBB50_169
; %bb.168:                              ;   in Loop: Header=BB50_4 Depth=1
	v_cmp_gt_f32_e64 vcc_lo, |v33|, 0.5
	v_cmp_lt_f32_e64 s9, 0, v33
	v_cndmask_b32_e32 v13, v14, v15, vcc_lo
	s_delay_alu instid0(VALU_DEP_1) | instskip(SKIP_1) | instid1(VALU_DEP_1)
	v_fmaak_f32 v14, s30, v13, 0x3c5fc5da
	v_sqrt_f32_e32 v15, v13
	v_fmaak_f32 v14, v13, v14, 0x3d034c3c
	s_delay_alu instid0(VALU_DEP_1) | instskip(NEXT) | instid1(VALU_DEP_1)
	v_fmaak_f32 v14, v13, v14, 0x3d3641b1
	v_fmaak_f32 v14, v13, v14, 0x3d999bc8
	s_delay_alu instid0(VALU_DEP_1) | instskip(NEXT) | instid1(VALU_DEP_1)
	v_fmaak_f32 v14, v13, v14, 0x3e2aaaac
	v_mul_f32_e32 v13, v13, v14
	s_waitcnt_depctr 0xfff
	v_fmac_f32_e32 v15, v15, v13
	s_delay_alu instid0(VALU_DEP_1) | instskip(SKIP_1) | instid1(VALU_DEP_2)
	v_add_f32_e32 v14, v15, v15
	v_fma_f32 v13, -v33, v13, -v33
	v_sub_f32_e32 v15, 0x40490fdb, v14
	s_delay_alu instid0(VALU_DEP_2) | instskip(NEXT) | instid1(VALU_DEP_2)
	v_sub_f32_e32 v13, 0x3fc90fdb, v13
	v_cndmask_b32_e64 v14, v14, v15, s9
	s_delay_alu instid0(VALU_DEP_1)
	v_cndmask_b32_e32 v13, v13, v14, vcc_lo
.LBB50_169:                             ;   in Loop: Header=BB50_4 Depth=1
	s_or_b32 exec_lo, exec_lo, s37
                                        ; implicit-def: $vgpr34
                                        ; implicit-def: $vgpr35
.LBB50_170:                             ;   in Loop: Header=BB50_4 Depth=1
	s_and_not1_saveexec_b32 s10, s10
	s_cbranch_execz .LBB50_176
; %bb.171:                              ;   in Loop: Header=BB50_4 Depth=1
	v_max_f32_e64 v13, |v35|, |v35|
	v_max_f32_e32 v15, v34, v34
	v_cmp_class_f32_e64 s37, v35, 0x204
	s_delay_alu instid0(VALU_DEP_2) | instskip(SKIP_2) | instid1(SALU_CYCLE_1)
	v_min_f32_e32 v14, v15, v13
	v_max_f32_e32 v15, v15, v13
                                        ; implicit-def: $vgpr13
	s_and_saveexec_b32 s9, s8
	s_xor_b32 s9, exec_lo, s9
	s_cbranch_execz .LBB50_173
; %bb.172:                              ;   in Loop: Header=BB50_4 Depth=1
	s_delay_alu instid0(VALU_DEP_1)
	v_frexp_mant_f32_e32 v13, v15
	v_frexp_exp_i32_f32_e32 v15, v15
	v_frexp_mant_f32_e32 v16, v14
	v_frexp_exp_i32_f32_e32 v14, v14
	v_cmp_gt_f32_e64 vcc_lo, |v35|, v34
	v_rcp_f32_e32 v13, v13
	v_cmp_neq_f32_e64 s8, 0, v35
	s_delay_alu instid0(VALU_DEP_3) | instskip(SKIP_2) | instid1(VALU_DEP_1)
	v_sub_nc_u32_e32 v14, v14, v15
	s_waitcnt_depctr 0xfff
	v_mul_f32_e32 v13, v16, v13
	v_ldexp_f32 v13, v13, v14
	s_delay_alu instid0(VALU_DEP_1) | instskip(NEXT) | instid1(VALU_DEP_1)
	v_mul_f32_e32 v14, v13, v13
	v_fmaak_f32 v15, s31, v14, 0xbc7a590c
	s_delay_alu instid0(VALU_DEP_1) | instskip(NEXT) | instid1(VALU_DEP_1)
	v_fmaak_f32 v15, v14, v15, 0x3d29fb3f
	v_fmaak_f32 v15, v14, v15, 0xbd97d4d7
	s_delay_alu instid0(VALU_DEP_1) | instskip(NEXT) | instid1(VALU_DEP_1)
	v_fmaak_f32 v15, v14, v15, 0x3dd931b2
	;; [unrolled: 3-line block ×3, first 2 shown]
	v_fmaak_f32 v15, v14, v15, 0xbeaaaa62
	s_delay_alu instid0(VALU_DEP_1) | instskip(NEXT) | instid1(VALU_DEP_1)
	v_mul_f32_e32 v14, v14, v15
                                        ; implicit-def: $vgpr15
	v_fmac_f32_e32 v13, v13, v14
	s_delay_alu instid0(VALU_DEP_1) | instskip(NEXT) | instid1(VALU_DEP_1)
	v_sub_f32_e32 v14, 0x3fc90fdb, v13
	v_cndmask_b32_e32 v13, v13, v14, vcc_lo
	v_cmp_eq_f32_e32 vcc_lo, 0x7f800000, v34
                                        ; implicit-def: $vgpr14
	s_delay_alu instid0(VALU_DEP_2) | instskip(SKIP_2) | instid1(VALU_DEP_2)
	v_cndmask_b32_e64 v13, 0, v13, s8
	s_and_b32 s8, vcc_lo, s37
	v_cmp_o_f32_e32 vcc_lo, v34, v35
                                        ; implicit-def: $vgpr34
	v_cndmask_b32_e64 v13, v13, 0x3f490fdb, s8
	s_delay_alu instid0(VALU_DEP_1) | instskip(NEXT) | instid1(VALU_DEP_1)
	v_cndmask_b32_e32 v13, 0x7fc00000, v13, vcc_lo
	v_bfi_b32 v13, 0x7fffffff, v13, v35
                                        ; implicit-def: $vgpr35
.LBB50_173:                             ;   in Loop: Header=BB50_4 Depth=1
	s_and_not1_saveexec_b32 s38, s9
	s_cbranch_execz .LBB50_175
; %bb.174:                              ;   in Loop: Header=BB50_4 Depth=1
	v_frexp_mant_f32_e32 v13, v15
	v_frexp_exp_i32_f32_e32 v15, v15
	v_frexp_exp_i32_f32_e32 v16, v14
	v_frexp_mant_f32_e32 v14, v14
	v_cmp_gt_f32_e64 vcc_lo, |v35|, v34
	v_rcp_f32_e32 v13, v13
	v_cmp_neq_f32_e64 s9, 0, v35
	v_sub_nc_u32_e32 v15, v16, v15
	v_cmp_eq_f32_e64 s8, 0x7f800000, v34
	s_waitcnt_depctr 0xfff
	v_mul_f32_e32 v13, v14, v13
	s_delay_alu instid0(VALU_DEP_1) | instskip(NEXT) | instid1(VALU_DEP_1)
	v_ldexp_f32 v13, v13, v15
	v_mul_f32_e32 v14, v13, v13
	s_delay_alu instid0(VALU_DEP_1) | instskip(NEXT) | instid1(VALU_DEP_1)
	v_fmaak_f32 v15, s31, v14, 0xbc7a590c
	v_fmaak_f32 v15, v14, v15, 0x3d29fb3f
	s_delay_alu instid0(VALU_DEP_1) | instskip(NEXT) | instid1(VALU_DEP_1)
	v_fmaak_f32 v15, v14, v15, 0xbd97d4d7
	v_fmaak_f32 v15, v14, v15, 0x3dd931b2
	;; [unrolled: 3-line block ×3, first 2 shown]
	s_delay_alu instid0(VALU_DEP_1) | instskip(NEXT) | instid1(VALU_DEP_1)
	v_fmaak_f32 v15, v14, v15, 0xbeaaaa62
	v_mul_f32_e32 v14, v14, v15
	s_delay_alu instid0(VALU_DEP_1) | instskip(NEXT) | instid1(VALU_DEP_1)
	v_fmac_f32_e32 v13, v13, v14
	v_sub_f32_e32 v14, 0x3fc90fdb, v13
	s_delay_alu instid0(VALU_DEP_1) | instskip(SKIP_1) | instid1(VALU_DEP_2)
	v_cndmask_b32_e32 v13, v13, v14, vcc_lo
	v_cmp_lt_f32_e32 vcc_lo, 0, v34
	v_sub_f32_e32 v14, 0x40490fdb, v13
	s_delay_alu instid0(VALU_DEP_1) | instskip(SKIP_2) | instid1(VALU_DEP_2)
	v_cndmask_b32_e32 v13, v13, v14, vcc_lo
	v_cndmask_b32_e32 v14, 0x3f490fdb, v27, vcc_lo
	s_and_b32 vcc_lo, s8, s37
	v_cndmask_b32_e64 v13, 0x40490fdb, v13, s9
	s_delay_alu instid0(VALU_DEP_1) | instskip(SKIP_1) | instid1(VALU_DEP_2)
	v_cndmask_b32_e32 v13, v13, v14, vcc_lo
	v_cmp_o_f32_e64 vcc_lo, v35, -v34
	v_cndmask_b32_e32 v13, 0x7fc00000, v13, vcc_lo
	s_delay_alu instid0(VALU_DEP_1)
	v_bfi_b32 v13, 0x7fffffff, v13, v35
.LBB50_175:                             ;   in Loop: Header=BB50_4 Depth=1
	s_or_b32 exec_lo, exec_lo, s38
.LBB50_176:                             ;   in Loop: Header=BB50_4 Depth=1
	s_delay_alu instid0(SALU_CYCLE_1)
	s_or_b32 exec_lo, exec_lo, s10
	v_cndmask_b32_e64 v14, -v29, v29, s6
                                        ; implicit-def: $vgpr15
.LBB50_177:                             ;   in Loop: Header=BB50_4 Depth=1
	s_and_not1_saveexec_b32 s8, s36
	s_cbranch_execz .LBB50_179
; %bb.178:                              ;   in Loop: Header=BB50_4 Depth=1
	s_waitcnt vmcnt(0) lgkmcnt(0)
	v_dual_mov_b32 v13, s16 :: v_dual_mov_b32 v14, s17
	flat_load_b32 v13, v[13:14] glc dlc
	s_waitcnt vmcnt(0)
	v_xor_b32_e32 v14, 0x80000000, v16
	s_waitcnt lgkmcnt(0)
	v_sub_f32_e32 v13, v13, v15
	s_delay_alu instid0(VALU_DEP_1)
	v_add_f32_e32 v13, 0x3fc90fdb, v13
.LBB50_179:                             ;   in Loop: Header=BB50_4 Depth=1
	s_or_b32 exec_lo, exec_lo, s8
                                        ; implicit-def: $vgpr16
.LBB50_180:                             ;   in Loop: Header=BB50_4 Depth=1
	s_and_not1_saveexec_b32 s8, s35
	s_cbranch_execz .LBB50_182
; %bb.181:                              ;   in Loop: Header=BB50_4 Depth=1
	v_xor_b32_e32 v14, 0x80000000, v16
	s_waitcnt vmcnt(0) lgkmcnt(0)
	v_mov_b32_e32 v13, 0
.LBB50_182:                             ;   in Loop: Header=BB50_4 Depth=1
	s_or_b32 exec_lo, exec_lo, s8
                                        ; implicit-def: $vgpr15
                                        ; implicit-def: $vgpr30
                                        ; implicit-def: $vgpr29
                                        ; implicit-def: $vgpr28
.LBB50_183:                             ;   in Loop: Header=BB50_4 Depth=1
	s_and_not1_saveexec_b32 s10, s34
	s_cbranch_execz .LBB50_193
; %bb.184:                              ;   in Loop: Header=BB50_4 Depth=1
	v_cmp_lt_f32_e64 s8, |v15|, |v16|
                                        ; implicit-def: $vgpr14
                                        ; implicit-def: $vgpr13
	s_mov_b32 s9, exec_lo
	s_delay_alu instid0(VALU_DEP_1) | instskip(NEXT) | instid1(VALU_DEP_1)
	v_cndmask_b32_e64 v31, |v15|, |v16|, s8
	v_cmpx_nlt_f32_e32 0x7effffff, v31
	s_xor_b32 s34, exec_lo, s9
	s_cbranch_execz .LBB50_190
; %bb.185:                              ;   in Loop: Header=BB50_4 Depth=1
	v_cndmask_b32_e64 v32, |v16|, |v15|, s8
	v_cmp_nlt_f32_e32 vcc_lo, 0x5e000000, v31
                                        ; implicit-def: $vgpr14
                                        ; implicit-def: $vgpr13
	s_delay_alu instid0(VALU_DEP_2) | instskip(NEXT) | instid1(VALU_DEP_1)
	v_cmp_ngt_f32_e64 s9, 0x20000000, v32
	s_and_b32 s9, vcc_lo, s9
	s_delay_alu instid0(SALU_CYCLE_1) | instskip(NEXT) | instid1(SALU_CYCLE_1)
	s_and_saveexec_b32 s35, s9
	s_xor_b32 s35, exec_lo, s35
	s_cbranch_execz .LBB50_187
; %bb.186:                              ;   in Loop: Header=BB50_4 Depth=1
	s_waitcnt vmcnt(0) lgkmcnt(0)
	v_frexp_mant_f32_e32 v13, v28
	v_dual_min_f32 v14, v30, v29 :: v_dual_mul_f32 v29, v32, v32
	v_frexp_exp_i32_f32_e32 v28, v28
	s_delay_alu instid0(VALU_DEP_3) | instskip(NEXT) | instid1(VALU_DEP_2)
	v_rcp_f32_e32 v13, v13
	v_frexp_mant_f32_e32 v30, v14
	v_frexp_exp_i32_f32_e32 v14, v14
	s_delay_alu instid0(VALU_DEP_1) | instskip(SKIP_2) | instid1(VALU_DEP_1)
	v_sub_nc_u32_e32 v14, v14, v28
	s_waitcnt_depctr 0xfff
	v_mul_f32_e32 v13, v30, v13
	v_ldexp_f32 v13, v13, v14
	v_fmac_f32_e32 v29, v31, v31
	s_delay_alu instid0(VALU_DEP_1) | instskip(SKIP_1) | instid1(VALU_DEP_1)
	v_cmp_gt_f32_e32 vcc_lo, 0x800000, v29
	v_cndmask_b32_e64 v28, 1.0, 0x4f800000, vcc_lo
	v_mul_f32_e32 v14, v29, v28
	v_mul_f32_e32 v28, v13, v13
	s_delay_alu instid0(VALU_DEP_2) | instskip(SKIP_3) | instid1(VALU_DEP_2)
	v_log_f32_e32 v14, v14
	s_waitcnt_depctr 0xfff
	v_mul_f32_e32 v30, 0x3f317217, v14
	v_cmp_gt_f32_e64 s9, 0x7f800000, |v14|
	v_fma_f32 v31, 0x3f317217, v14, -v30
	s_delay_alu instid0(VALU_DEP_1) | instskip(NEXT) | instid1(VALU_DEP_1)
	v_fmac_f32_e32 v31, 0x3377d1cf, v14
	v_dual_fmaak_f32 v29, s31, v28, 0xbc7a590c :: v_dual_add_f32 v30, v30, v31
	s_delay_alu instid0(VALU_DEP_1) | instskip(SKIP_1) | instid1(VALU_DEP_1)
	v_cndmask_b32_e64 v14, v14, v30, s9
	v_cndmask_b32_e64 v30, 0, 0x41b17218, vcc_lo
	v_dual_fmaak_f32 v29, v28, v29, 0x3d29fb3f :: v_dual_sub_f32 v14, v14, v30
	s_delay_alu instid0(VALU_DEP_1) | instskip(NEXT) | instid1(VALU_DEP_1)
	v_fmaak_f32 v29, v28, v29, 0xbd97d4d7
                                        ; implicit-def: $vgpr30
	v_dual_mul_f32 v14, 0.5, v14 :: v_dual_fmaak_f32 v29, v28, v29, 0x3dd931b2
	s_delay_alu instid0(VALU_DEP_1) | instskip(NEXT) | instid1(VALU_DEP_1)
	v_fmaak_f32 v29, v28, v29, 0xbe1160e6
	v_fmaak_f32 v29, v28, v29, 0x3e4cb8bf
	s_delay_alu instid0(VALU_DEP_1) | instskip(NEXT) | instid1(VALU_DEP_1)
	v_fmaak_f32 v29, v28, v29, 0xbeaaaa62
	v_mul_f32_e32 v28, v28, v29
                                        ; implicit-def: $vgpr29
	s_delay_alu instid0(VALU_DEP_1)
	v_fmac_f32_e32 v13, v13, v28
                                        ; implicit-def: $vgpr28
.LBB50_187:                             ;   in Loop: Header=BB50_4 Depth=1
	s_and_not1_saveexec_b32 s9, s35
	s_cbranch_execz .LBB50_189
; %bb.188:                              ;   in Loop: Header=BB50_4 Depth=1
	s_waitcnt vmcnt(0) lgkmcnt(0)
	v_cvt_f64_f32_e32 v[13:14], v28
	v_min_f32_e32 v29, v30, v29
	v_cmp_neq_f32_e32 vcc_lo, 0x7f800000, v28
	v_frexp_exp_i32_f32_e32 v30, v28
	s_delay_alu instid0(VALU_DEP_3) | instskip(SKIP_1) | instid1(VALU_DEP_2)
	v_frexp_exp_i32_f32_e32 v32, v29
	v_frexp_mant_f32_e32 v29, v29
	v_sub_nc_u32_e32 v30, v32, v30
	v_frexp_exp_i32_f64_e32 v13, v[13:14]
	s_delay_alu instid0(VALU_DEP_1) | instskip(NEXT) | instid1(VALU_DEP_1)
	v_sub_nc_u32_e32 v14, 0, v13
	v_ldexp_f32 v31, |v16|, v14
	v_ldexp_f32 v14, |v15|, v14
	s_delay_alu instid0(VALU_DEP_2) | instskip(NEXT) | instid1(VALU_DEP_1)
	v_mul_f32_e32 v31, v31, v31
	v_fmac_f32_e32 v31, v14, v14
	v_frexp_mant_f32_e32 v14, v28
	s_delay_alu instid0(VALU_DEP_2) | instskip(NEXT) | instid1(VALU_DEP_1)
	v_sqrt_f32_e32 v31, v31
	v_rcp_f32_e32 v14, v14
	s_waitcnt_depctr 0xfff
	v_ldexp_f32 v13, v31, v13
	v_mul_f32_e32 v14, v29, v14
	s_delay_alu instid0(VALU_DEP_2) | instskip(NEXT) | instid1(VALU_DEP_2)
	v_cndmask_b32_e32 v28, 0x7f800000, v13, vcc_lo
	v_ldexp_f32 v13, v14, v30
	s_delay_alu instid0(VALU_DEP_2) | instskip(SKIP_1) | instid1(VALU_DEP_1)
	v_cmp_gt_f32_e32 vcc_lo, 0x800000, v28
	v_cndmask_b32_e64 v14, 1.0, 0x4f800000, vcc_lo
	v_mul_f32_e32 v14, v28, v14
	s_delay_alu instid0(VALU_DEP_1) | instskip(SKIP_2) | instid1(VALU_DEP_1)
	v_log_f32_e32 v14, v14
	s_waitcnt_depctr 0xfff
	v_dual_mul_f32 v29, v13, v13 :: v_dual_mul_f32 v30, 0x3f317217, v14
	v_fmaak_f32 v28, s31, v29, 0xbc7a590c
	s_delay_alu instid0(VALU_DEP_2) | instskip(NEXT) | instid1(VALU_DEP_2)
	v_fma_f32 v31, 0x3f317217, v14, -v30
	v_fmaak_f32 v28, v29, v28, 0x3d29fb3f
	s_delay_alu instid0(VALU_DEP_1) | instskip(NEXT) | instid1(VALU_DEP_1)
	v_fmaak_f32 v28, v29, v28, 0xbd97d4d7
	v_fmaak_f32 v28, v29, v28, 0x3dd931b2
	s_delay_alu instid0(VALU_DEP_1) | instskip(NEXT) | instid1(VALU_DEP_1)
	v_fmaak_f32 v28, v29, v28, 0xbe1160e6
	;; [unrolled: 3-line block ×3, first 2 shown]
	v_dual_fmac_f32 v31, 0x3377d1cf, v14 :: v_dual_mul_f32 v28, v29, v28
	s_delay_alu instid0(VALU_DEP_1) | instskip(SKIP_2) | instid1(VALU_DEP_3)
	v_add_f32_e32 v30, v30, v31
	v_cndmask_b32_e64 v31, 0, 0x41b17218, vcc_lo
	v_cmp_gt_f32_e64 vcc_lo, 0x7f800000, |v14|
	v_dual_fmac_f32 v13, v13, v28 :: v_dual_cndmask_b32 v14, v14, v30
	s_delay_alu instid0(VALU_DEP_1)
	v_sub_f32_e32 v14, v14, v31
.LBB50_189:                             ;   in Loop: Header=BB50_4 Depth=1
	s_or_b32 exec_lo, exec_lo, s9
                                        ; implicit-def: $vgpr30
                                        ; implicit-def: $vgpr29
                                        ; implicit-def: $vgpr28
.LBB50_190:                             ;   in Loop: Header=BB50_4 Depth=1
	s_and_not1_saveexec_b32 s34, s34
	s_cbranch_execz .LBB50_192
; %bb.191:                              ;   in Loop: Header=BB50_4 Depth=1
	s_waitcnt vmcnt(0) lgkmcnt(0)
	v_div_scale_f32 v13, null, 0x402df854, 0x402df854, v15
	v_div_scale_f32 v14, null, 0x402df854, 0x402df854, v16
	v_div_scale_f32 v35, vcc_lo, v15, 0x402df854, v15
	s_delay_alu instid0(VALU_DEP_3) | instskip(NEXT) | instid1(VALU_DEP_2)
	v_rcp_f32_e32 v31, v13
	v_rcp_f32_e32 v32, v14
	v_min_f32_e32 v29, v30, v29
	s_waitcnt_depctr 0xfff
	v_fma_f32 v33, -v13, v31, 1.0
	v_fma_f32 v34, -v14, v32, 1.0
	s_delay_alu instid0(VALU_DEP_1) | instskip(SKIP_1) | instid1(VALU_DEP_2)
	v_dual_fmac_f32 v31, v33, v31 :: v_dual_fmac_f32 v32, v34, v32
	v_div_scale_f32 v33, s9, v16, 0x402df854, v16
	v_mul_f32_e32 v34, v35, v31
	s_delay_alu instid0(VALU_DEP_2) | instskip(NEXT) | instid1(VALU_DEP_2)
	v_mul_f32_e32 v36, v33, v32
	v_fma_f32 v37, -v13, v34, v35
	s_delay_alu instid0(VALU_DEP_2) | instskip(NEXT) | instid1(VALU_DEP_2)
	v_fma_f32 v38, -v14, v36, v33
	v_fmac_f32_e32 v34, v37, v31
	s_delay_alu instid0(VALU_DEP_2) | instskip(NEXT) | instid1(VALU_DEP_2)
	v_fmac_f32_e32 v36, v38, v32
	v_fma_f32 v13, -v13, v34, v35
	s_delay_alu instid0(VALU_DEP_2) | instskip(NEXT) | instid1(VALU_DEP_2)
	v_fma_f32 v14, -v14, v36, v33
	v_div_fmas_f32 v13, v13, v31, v34
	s_mov_b32 vcc_lo, s9
	s_delay_alu instid0(VALU_DEP_2) | instskip(NEXT) | instid1(VALU_DEP_2)
	v_div_fmas_f32 v14, v14, v32, v36
	v_div_fixup_f32 v31, v13, 0x402df854, v15
	s_delay_alu instid0(VALU_DEP_2) | instskip(NEXT) | instid1(VALU_DEP_1)
	v_div_fixup_f32 v32, v14, 0x402df854, v16
	v_max_f32_e64 v33, |v31|, |v32|
	s_delay_alu instid0(VALU_DEP_1) | instskip(SKIP_1) | instid1(VALU_DEP_2)
	v_cvt_f64_f32_e32 v[13:14], v33
	v_cmp_neq_f32_e32 vcc_lo, 0x7f800000, v33
	v_frexp_exp_i32_f64_e32 v13, v[13:14]
	s_delay_alu instid0(VALU_DEP_1) | instskip(NEXT) | instid1(VALU_DEP_1)
	v_sub_nc_u32_e32 v14, 0, v13
	v_ldexp_f32 v32, |v32|, v14
	v_ldexp_f32 v14, |v31|, v14
	s_delay_alu instid0(VALU_DEP_2) | instskip(NEXT) | instid1(VALU_DEP_1)
	v_mul_f32_e32 v31, v32, v32
	v_fmac_f32_e32 v31, v14, v14
	s_delay_alu instid0(VALU_DEP_1) | instskip(SKIP_2) | instid1(VALU_DEP_2)
	v_sqrt_f32_e32 v14, v31
	v_frexp_mant_f32_e32 v31, v28
	v_frexp_exp_i32_f32_e32 v28, v28
	v_rcp_f32_e32 v30, v31
	s_waitcnt_depctr 0xfff
	v_ldexp_f32 v13, v14, v13
	v_frexp_exp_i32_f32_e32 v14, v29
	v_frexp_mant_f32_e32 v29, v29
	s_delay_alu instid0(VALU_DEP_3) | instskip(NEXT) | instid1(VALU_DEP_3)
	v_cndmask_b32_e32 v31, 0x7f800000, v13, vcc_lo
	v_sub_nc_u32_e32 v13, v14, v28
	s_delay_alu instid0(VALU_DEP_3) | instskip(NEXT) | instid1(VALU_DEP_3)
	v_mul_f32_e32 v14, v29, v30
	v_cmp_gt_f32_e32 vcc_lo, 0x800000, v31
	s_delay_alu instid0(VALU_DEP_2) | instskip(SKIP_1) | instid1(VALU_DEP_1)
	v_ldexp_f32 v13, v14, v13
	v_cndmask_b32_e64 v28, 1.0, 0x4f800000, vcc_lo
	v_mul_f32_e32 v14, v31, v28
	s_delay_alu instid0(VALU_DEP_3) | instskip(NEXT) | instid1(VALU_DEP_1)
	v_mul_f32_e32 v28, v13, v13
	v_fmaak_f32 v29, s31, v28, 0xbc7a590c
	s_delay_alu instid0(VALU_DEP_1) | instskip(NEXT) | instid1(VALU_DEP_4)
	v_fmaak_f32 v29, v28, v29, 0x3d29fb3f
	v_log_f32_e32 v14, v14
	s_waitcnt_depctr 0xfff
	v_mul_f32_e32 v30, 0x3f317217, v14
	s_delay_alu instid0(VALU_DEP_1) | instskip(NEXT) | instid1(VALU_DEP_1)
	v_fma_f32 v31, 0x3f317217, v14, -v30
	v_fmac_f32_e32 v31, 0x3377d1cf, v14
	v_fmaak_f32 v29, v28, v29, 0xbd97d4d7
	s_delay_alu instid0(VALU_DEP_1) | instskip(NEXT) | instid1(VALU_DEP_1)
	v_fmaak_f32 v29, v28, v29, 0x3dd931b2
	v_fmaak_f32 v29, v28, v29, 0xbe1160e6
	s_delay_alu instid0(VALU_DEP_1) | instskip(NEXT) | instid1(VALU_DEP_1)
	v_fmaak_f32 v29, v28, v29, 0x3e4cb8bf
	v_fmaak_f32 v29, v28, v29, 0xbeaaaa62
	s_delay_alu instid0(VALU_DEP_1) | instskip(NEXT) | instid1(VALU_DEP_1)
	v_mul_f32_e32 v28, v28, v29
	v_dual_fmac_f32 v13, v13, v28 :: v_dual_add_f32 v30, v30, v31
	v_cndmask_b32_e64 v31, 0, 0x41b17218, vcc_lo
	v_cmp_gt_f32_e64 vcc_lo, 0x7f800000, |v14|
	s_delay_alu instid0(VALU_DEP_3) | instskip(NEXT) | instid1(VALU_DEP_1)
	v_cndmask_b32_e32 v14, v14, v30, vcc_lo
	v_sub_f32_e32 v14, v14, v31
	s_delay_alu instid0(VALU_DEP_1)
	v_add_f32_e32 v14, 1.0, v14
.LBB50_192:                             ;   in Loop: Header=BB50_4 Depth=1
	s_or_b32 exec_lo, exec_lo, s34
	s_waitcnt vmcnt(0) lgkmcnt(0)
	v_sub_f32_e32 v28, 0x3fc90fdb, v13
	v_cmp_gt_f32_e32 vcc_lo, 0, v15
	v_cndmask_b32_e64 v29, 0, 0x40490fdb, s7
	v_cmp_class_f32_e64 s7, v15, 0x204
	v_add_f32_e32 v14, 0x3f317218, v14
	v_cndmask_b32_e64 v13, v13, v28, s8
	v_cmp_class_f32_e64 s8, v16, 0x204
	s_delay_alu instid0(VALU_DEP_3) | instskip(NEXT) | instid1(VALU_DEP_3)
	v_cndmask_b32_e64 v14, -v14, v14, s6
	v_sub_f32_e32 v28, 0x40490fdb, v13
	s_delay_alu instid0(VALU_DEP_1) | instskip(SKIP_2) | instid1(VALU_DEP_3)
	v_cndmask_b32_e32 v13, v13, v28, vcc_lo
	v_cndmask_b32_e32 v28, 0x3f490fdb, v27, vcc_lo
	v_cmp_eq_f32_e32 vcc_lo, 0, v16
	v_cndmask_b32_e32 v13, v13, v29, vcc_lo
	s_and_b32 vcc_lo, s8, s7
	s_delay_alu instid0(VALU_DEP_1) | instskip(SKIP_1) | instid1(VALU_DEP_2)
	v_cndmask_b32_e32 v13, v13, v28, vcc_lo
	v_cmp_o_f32_e32 vcc_lo, v15, v16
	v_cndmask_b32_e64 v13, 0x7fc00000, |v13|, vcc_lo
.LBB50_193:                             ;   in Loop: Header=BB50_4 Depth=1
	s_or_b32 exec_lo, exec_lo, s10
                                        ; implicit-def: $vgpr16
.LBB50_194:                             ;   in Loop: Header=BB50_4 Depth=1
	s_and_not1_saveexec_b32 s6, s33
	s_cbranch_execz .LBB50_208
; %bb.195:                              ;   in Loop: Header=BB50_4 Depth=1
	v_cmp_neq_f32_e64 s7, 0x7f800000, |v15|
                                        ; implicit-def: $vgpr14
	s_delay_alu instid0(VALU_DEP_1) | instskip(NEXT) | instid1(SALU_CYCLE_1)
	s_and_saveexec_b32 s8, s7
	s_xor_b32 s7, exec_lo, s8
	s_cbranch_execz .LBB50_205
; %bb.196:                              ;   in Loop: Header=BB50_4 Depth=1
	v_cmp_neq_f32_e64 s8, 0x7f800000, |v16|
                                        ; implicit-def: $vgpr14
	s_delay_alu instid0(VALU_DEP_1) | instskip(NEXT) | instid1(SALU_CYCLE_1)
	s_and_saveexec_b32 s9, s8
	s_xor_b32 s8, exec_lo, s9
	s_cbranch_execz .LBB50_202
; %bb.197:                              ;   in Loop: Header=BB50_4 Depth=1
	s_mov_b32 s9, exec_lo
                                        ; implicit-def: $vgpr14
	v_cmpx_neq_f32_e32 0, v15
	s_xor_b32 s9, exec_lo, s9
	s_cbranch_execz .LBB50_199
; %bb.198:                              ;   in Loop: Header=BB50_4 Depth=1
	s_waitcnt vmcnt(0) lgkmcnt(0)
	v_add_f32_e32 v13, 0, v16
                                        ; implicit-def: $vgpr16
	s_delay_alu instid0(VALU_DEP_1)
	v_add_f32_e32 v14, v13, v15
.LBB50_199:                             ;   in Loop: Header=BB50_4 Depth=1
	s_or_saveexec_b32 s9, s9
	s_waitcnt vmcnt(0) lgkmcnt(0)
	s_delay_alu instid0(VALU_DEP_1)
	v_mov_b32_e32 v13, v14
	s_xor_b32 exec_lo, exec_lo, s9
	s_cbranch_execz .LBB50_201
; %bb.200:                              ;   in Loop: Header=BB50_4 Depth=1
	v_dual_mov_b32 v13, s16 :: v_dual_mov_b32 v14, s17
	flat_load_b32 v13, v[13:14] glc dlc
	s_waitcnt vmcnt(0) lgkmcnt(0)
	v_dual_add_f32 v14, v16, v16 :: v_dual_add_f32 v13, 0x3fc90fdb, v13
.LBB50_201:                             ;   in Loop: Header=BB50_4 Depth=1
	s_or_b32 exec_lo, exec_lo, s9
                                        ; implicit-def: $vgpr15
.LBB50_202:                             ;   in Loop: Header=BB50_4 Depth=1
	s_and_not1_saveexec_b32 s8, s8
	s_cbranch_execz .LBB50_204
; %bb.203:                              ;   in Loop: Header=BB50_4 Depth=1
	s_waitcnt vmcnt(0) lgkmcnt(0)
	v_add_f32_e32 v13, v15, v15
	v_xor_b32_e32 v14, 0x80000000, v16
.LBB50_204:                             ;   in Loop: Header=BB50_4 Depth=1
	s_or_b32 exec_lo, exec_lo, s8
                                        ; implicit-def: $vgpr16
.LBB50_205:                             ;   in Loop: Header=BB50_4 Depth=1
	s_and_not1_saveexec_b32 s7, s7
	s_cbranch_execz .LBB50_207
; %bb.206:                              ;   in Loop: Header=BB50_4 Depth=1
	s_waitcnt vmcnt(0) lgkmcnt(0)
	v_dual_add_f32 v13, v16, v16 :: v_dual_mov_b32 v14, 0xff800000
.LBB50_207:                             ;   in Loop: Header=BB50_4 Depth=1
	s_or_b32 exec_lo, exec_lo, s7
.LBB50_208:                             ;   in Loop: Header=BB50_4 Depth=1
	s_delay_alu instid0(SALU_CYCLE_1) | instskip(SKIP_3) | instid1(VALU_DEP_2)
	s_or_b32 exec_lo, exec_lo, s6
	v_cmp_o_f32_e32 vcc_lo, v11, v11
	v_cmp_o_f32_e64 s6, v12, v12
	v_dual_mov_b32 v15, s16 :: v_dual_mov_b32 v16, s17
	s_and_b32 s6, vcc_lo, s6
	flat_store_b32 v[15:16], v25 dlc
	s_waitcnt_vscnt null, 0x0
                                        ; implicit-def: $vgpr16
	s_and_saveexec_b32 s7, s6
	s_delay_alu instid0(SALU_CYCLE_1)
	s_xor_b32 s33, exec_lo, s7
	s_cbranch_execz .LBB50_292
; %bb.209:                              ;   in Loop: Header=BB50_4 Depth=1
	v_max_f32_e64 v30, |v11|, |v11|
	v_max_f32_e64 v29, |v12|, |v12|
	v_cmp_gt_i32_e64 s7, 0, v11
	v_cmp_lt_i32_e64 s8, -1, v11
	v_cmp_gt_i32_e64 s6, 0, v12
                                        ; implicit-def: $vgpr16
	s_mov_b32 s9, exec_lo
	v_max_f32_e32 v28, v29, v30
	s_delay_alu instid0(VALU_DEP_1)
	v_cmpx_nlt_f32_e32 0x4b000000, v28
	s_xor_b32 s34, exec_lo, s9
	s_cbranch_execz .LBB50_281
; %bb.210:                              ;   in Loop: Header=BB50_4 Depth=1
	v_cmp_neq_f32_e32 vcc_lo, 1.0, v11
	v_cmp_neq_f32_e64 s9, 0, v12
                                        ; implicit-def: $vgpr16
	s_delay_alu instid0(VALU_DEP_1) | instskip(NEXT) | instid1(SALU_CYCLE_1)
	s_or_b32 s9, s9, vcc_lo
	s_and_saveexec_b32 s10, s9
	s_delay_alu instid0(SALU_CYCLE_1)
	s_xor_b32 s35, exec_lo, s10
	s_cbranch_execz .LBB50_278
; %bb.211:                              ;   in Loop: Header=BB50_4 Depth=1
	v_dual_mov_b32 v15, s18 :: v_dual_mov_b32 v16, s19
	v_cmp_ngt_f32_e64 s9, 0x395db3d7, |v11|
	v_cmp_ngt_f32_e64 s10, 0x395db3d7, |v12|
	flat_store_b32 v[15:16], v26 dlc
	s_waitcnt_vscnt null, 0x0
	flat_load_b32 v15, v[15:16] glc dlc
	s_waitcnt vmcnt(0)
	s_or_b32 s9, s10, s9
	s_waitcnt lgkmcnt(0)
	v_dual_add_f32 v28, 1.0, v15 :: v_dual_mov_b32 v15, s20
	v_mov_b32_e32 v16, s21
	flat_store_b32 v[15:16], v28 dlc
	s_waitcnt_vscnt null, 0x0
	flat_load_b32 v15, v[15:16] glc dlc
	s_waitcnt vmcnt(0)
                                        ; implicit-def: $vgpr16
	s_and_saveexec_b32 s10, s9
	s_delay_alu instid0(SALU_CYCLE_1)
	s_xor_b32 s36, exec_lo, s10
	s_cbranch_execz .LBB50_275
; %bb.212:                              ;   in Loop: Header=BB50_4 Depth=1
	v_add_f32_e64 v28, |v11|, 1.0
	v_add_f32_e64 v16, |v11|, -1.0
	s_mov_b32 s9, exec_lo
	s_waitcnt vmcnt(0) lgkmcnt(0)
	s_delay_alu instid0(VALU_DEP_2) | instskip(NEXT) | instid1(VALU_DEP_2)
	v_max_f32_e64 v15, v29, |v28|
	v_max_f32_e64 v33, v29, |v16|
	s_delay_alu instid0(VALU_DEP_2) | instskip(NEXT) | instid1(VALU_DEP_2)
	v_cvt_f64_f32_e32 v[29:30], v15
	v_cvt_f64_f32_e32 v[31:32], v33
	v_cmp_neq_f32_e32 vcc_lo, 0x7f800000, v15
	s_delay_alu instid0(VALU_DEP_3) | instskip(NEXT) | instid1(VALU_DEP_3)
	v_frexp_exp_i32_f64_e32 v29, v[29:30]
	v_frexp_exp_i32_f64_e32 v30, v[31:32]
	s_delay_alu instid0(VALU_DEP_2) | instskip(NEXT) | instid1(VALU_DEP_2)
	v_sub_nc_u32_e32 v31, 0, v29
	v_sub_nc_u32_e32 v32, 0, v30
	s_delay_alu instid0(VALU_DEP_2) | instskip(NEXT) | instid1(VALU_DEP_2)
	v_ldexp_f32 v34, |v28|, v31
	v_ldexp_f32 v35, |v16|, v32
	;; [unrolled: 1-line block ×4, first 2 shown]
	s_delay_alu instid0(VALU_DEP_3) | instskip(NEXT) | instid1(VALU_DEP_1)
	v_dual_mul_f32 v34, v34, v34 :: v_dual_mul_f32 v35, v35, v35
	v_dual_fmac_f32 v34, v31, v31 :: v_dual_fmac_f32 v35, v32, v32
	s_delay_alu instid0(VALU_DEP_1) | instskip(NEXT) | instid1(VALU_DEP_1)
	v_sqrt_f32_e32 v31, v34
	v_sqrt_f32_e32 v32, v35
	s_waitcnt_depctr 0xfff
	v_ldexp_f32 v29, v31, v29
	v_ldexp_f32 v30, v32, v30
	s_delay_alu instid0(VALU_DEP_2) | instskip(SKIP_1) | instid1(VALU_DEP_3)
	v_cndmask_b32_e32 v32, 0x7f800000, v29, vcc_lo
	v_cmp_neq_f32_e32 vcc_lo, 0x7f800000, v33
                                        ; implicit-def: $vgpr29
	v_cndmask_b32_e32 v30, 0x7f800000, v30, vcc_lo
	s_delay_alu instid0(VALU_DEP_1) | instskip(NEXT) | instid1(VALU_DEP_1)
	v_add_f32_e32 v15, v32, v30
	v_mul_f32_e32 v15, 0.5, v15
	s_delay_alu instid0(VALU_DEP_1) | instskip(SKIP_1) | instid1(VALU_DEP_1)
	v_cmp_ngt_f32_e32 vcc_lo, 1.0, v15
	v_cndmask_b32_e32 v15, 1.0, v15, vcc_lo
	v_cmpx_ngt_f32_e32 0x41200000, v15
	s_xor_b32 s10, exec_lo, s9
	s_cbranch_execz .LBB50_214
; %bb.213:                              ;   in Loop: Header=BB50_4 Depth=1
	v_fma_f32 v29, v15, v15, -1.0
	s_delay_alu instid0(VALU_DEP_1) | instskip(SKIP_1) | instid1(VALU_DEP_2)
	v_mul_f32_e32 v31, 0x4f800000, v29
	v_cmp_gt_f32_e32 vcc_lo, 0xf800000, v29
	v_cndmask_b32_e32 v29, v29, v31, vcc_lo
	s_delay_alu instid0(VALU_DEP_1) | instskip(SKIP_3) | instid1(VALU_DEP_2)
	v_sqrt_f32_e32 v31, v29
	s_waitcnt_depctr 0xfff
	v_add_nc_u32_e32 v33, -1, v31
	v_add_nc_u32_e32 v34, 1, v31
	v_fma_f32 v35, -v33, v31, v29
	s_delay_alu instid0(VALU_DEP_2) | instskip(NEXT) | instid1(VALU_DEP_2)
	v_fma_f32 v36, -v34, v31, v29
	v_cmp_ge_f32_e64 s9, 0, v35
	s_delay_alu instid0(VALU_DEP_1) | instskip(NEXT) | instid1(VALU_DEP_3)
	v_cndmask_b32_e64 v31, v31, v33, s9
	v_cmp_lt_f32_e64 s9, 0, v36
	s_delay_alu instid0(VALU_DEP_1) | instskip(NEXT) | instid1(VALU_DEP_1)
	v_cndmask_b32_e64 v31, v31, v34, s9
	v_mul_f32_e32 v33, 0x37800000, v31
	s_delay_alu instid0(VALU_DEP_1) | instskip(SKIP_1) | instid1(VALU_DEP_2)
	v_cndmask_b32_e32 v31, v31, v33, vcc_lo
	v_cmp_class_f32_e64 vcc_lo, v29, 0x260
	v_cndmask_b32_e32 v29, v31, v29, vcc_lo
	s_delay_alu instid0(VALU_DEP_1) | instskip(NEXT) | instid1(VALU_DEP_1)
	v_add_f32_e32 v29, v15, v29
	v_cmp_gt_f32_e32 vcc_lo, 0x800000, v29
	s_delay_alu instid0(VALU_DEP_4) | instskip(NEXT) | instid1(VALU_DEP_1)
	v_cndmask_b32_e64 v31, 1.0, 0x4f800000, vcc_lo
	v_mul_f32_e32 v29, v29, v31
	s_delay_alu instid0(VALU_DEP_1) | instskip(SKIP_3) | instid1(VALU_DEP_2)
	v_log_f32_e32 v29, v29
	s_waitcnt_depctr 0xfff
	v_mul_f32_e32 v31, 0x3f317217, v29
	v_cmp_gt_f32_e64 s9, 0x7f800000, |v29|
	v_fma_f32 v33, 0x3f317217, v29, -v31
	s_delay_alu instid0(VALU_DEP_1) | instskip(NEXT) | instid1(VALU_DEP_1)
	v_fmac_f32_e32 v33, 0x3377d1cf, v29
	v_add_f32_e32 v31, v31, v33
	s_delay_alu instid0(VALU_DEP_1) | instskip(SKIP_1) | instid1(VALU_DEP_1)
	v_cndmask_b32_e64 v29, v29, v31, s9
	v_cndmask_b32_e64 v31, 0, 0x41b17218, vcc_lo
	v_sub_f32_e32 v29, v29, v31
.LBB50_214:                             ;   in Loop: Header=BB50_4 Depth=1
	s_or_saveexec_b32 s10, s10
	v_and_b32_e32 v31, 0x7fffffff, v12
	s_xor_b32 exec_lo, exec_lo, s10
	s_cbranch_execz .LBB50_236
; %bb.215:                              ;   in Loop: Header=BB50_4 Depth=1
	v_cmp_neq_f32_e64 s9, |v11|, 1.0
	v_cmp_ngt_f32_e64 s37, 0x25000000, |v12|
                                        ; implicit-def: $vgpr29
	s_delay_alu instid0(VALU_DEP_1) | instskip(NEXT) | instid1(SALU_CYCLE_1)
	s_or_b32 s9, s37, s9
	s_and_saveexec_b32 s37, s9
	s_delay_alu instid0(SALU_CYCLE_1)
	s_xor_b32 s37, exec_lo, s37
	s_cbranch_execz .LBB50_233
; %bb.216:                              ;   in Loop: Header=BB50_4 Depth=1
	v_mul_f32_e64 v29, 0x34000000, |v16|
	s_delay_alu instid0(VALU_DEP_1) | instskip(NEXT) | instid1(VALU_DEP_1)
	v_cmp_le_f32_e64 s9, v29, |v12|
                                        ; implicit-def: $vgpr29
	s_and_saveexec_b32 s38, s9
	s_delay_alu instid0(SALU_CYCLE_1)
	s_xor_b32 s38, exec_lo, s38
	s_cbranch_execz .LBB50_226
; %bb.217:                              ;   in Loop: Header=BB50_4 Depth=1
	v_mov_b32_e32 v29, v31
	s_mov_b32 s9, exec_lo
	v_cmpx_neq_f32_e32 0, v28
	s_cbranch_execz .LBB50_219
; %bb.218:                              ;   in Loop: Header=BB50_4 Depth=1
	v_mul_f32_e32 v29, v12, v12
	v_add_f32_e32 v33, v28, v32
	s_delay_alu instid0(VALU_DEP_1) | instskip(NEXT) | instid1(VALU_DEP_1)
	v_div_scale_f32 v34, null, v33, v33, v29
	v_rcp_f32_e32 v35, v34
	s_waitcnt_depctr 0xfff
	v_fma_f32 v36, -v34, v35, 1.0
	s_delay_alu instid0(VALU_DEP_1) | instskip(SKIP_1) | instid1(VALU_DEP_1)
	v_fmac_f32_e32 v35, v36, v35
	v_div_scale_f32 v36, vcc_lo, v29, v33, v29
	v_mul_f32_e32 v37, v36, v35
	s_delay_alu instid0(VALU_DEP_1) | instskip(NEXT) | instid1(VALU_DEP_1)
	v_fma_f32 v38, -v34, v37, v36
	v_fmac_f32_e32 v37, v38, v35
	s_delay_alu instid0(VALU_DEP_1) | instskip(NEXT) | instid1(VALU_DEP_1)
	v_fma_f32 v34, -v34, v37, v36
	v_div_fmas_f32 v34, v34, v35, v37
	s_delay_alu instid0(VALU_DEP_1)
	v_div_fixup_f32 v29, v34, v33, v29
.LBB50_219:                             ;   in Loop: Header=BB50_4 Depth=1
	s_or_b32 exec_lo, exec_lo, s9
	v_sub_f32_e64 v34, 1.0, |v11|
	s_mov_b32 s9, exec_lo
                                        ; implicit-def: $vgpr33
	s_delay_alu instid0(VALU_DEP_1)
	v_cmpx_ngt_f32_e32 0, v34
	s_xor_b32 s9, exec_lo, s9
	s_cbranch_execz .LBB50_223
; %bb.220:                              ;   in Loop: Header=BB50_4 Depth=1
	v_mov_b32_e32 v33, v31
	s_mov_b32 s39, exec_lo
	v_cmpx_neq_f32_e32 0, v34
	s_cbranch_execz .LBB50_222
; %bb.221:                              ;   in Loop: Header=BB50_4 Depth=1
	v_dual_mul_f32 v33, v12, v12 :: v_dual_add_f32 v34, v34, v30
	s_delay_alu instid0(VALU_DEP_1) | instskip(NEXT) | instid1(VALU_DEP_1)
	v_div_scale_f32 v35, null, v34, v34, v33
	v_rcp_f32_e32 v36, v35
	s_waitcnt_depctr 0xfff
	v_fma_f32 v37, -v35, v36, 1.0
	s_delay_alu instid0(VALU_DEP_1) | instskip(SKIP_1) | instid1(VALU_DEP_1)
	v_fmac_f32_e32 v36, v37, v36
	v_div_scale_f32 v37, vcc_lo, v33, v34, v33
	v_mul_f32_e32 v38, v37, v36
	s_delay_alu instid0(VALU_DEP_1) | instskip(NEXT) | instid1(VALU_DEP_1)
	v_fma_f32 v39, -v35, v38, v37
	v_fmac_f32_e32 v38, v39, v36
	s_delay_alu instid0(VALU_DEP_1) | instskip(NEXT) | instid1(VALU_DEP_1)
	v_fma_f32 v35, -v35, v38, v37
	v_div_fmas_f32 v35, v35, v36, v38
	s_delay_alu instid0(VALU_DEP_1)
	v_div_fixup_f32 v33, v35, v34, v33
.LBB50_222:                             ;   in Loop: Header=BB50_4 Depth=1
	s_or_b32 exec_lo, exec_lo, s39
                                        ; implicit-def: $vgpr34
.LBB50_223:                             ;   in Loop: Header=BB50_4 Depth=1
	s_and_not1_saveexec_b32 s9, s9
; %bb.224:                              ;   in Loop: Header=BB50_4 Depth=1
	v_sub_f32_e32 v33, v30, v34
; %bb.225:                              ;   in Loop: Header=BB50_4 Depth=1
	s_or_b32 exec_lo, exec_lo, s9
	s_delay_alu instid0(VALU_DEP_1) | instskip(NEXT) | instid1(VALU_DEP_1)
	v_dual_mul_f32 v33, 0.5, v33 :: v_dual_add_f32 v34, 1.0, v15
	v_fmac_f32_e32 v33, 0.5, v29
	s_delay_alu instid0(VALU_DEP_1) | instskip(NEXT) | instid1(VALU_DEP_1)
	v_mul_f32_e32 v29, v34, v33
	v_mul_f32_e32 v34, 0x4f800000, v29
	v_cmp_gt_f32_e32 vcc_lo, 0xf800000, v29
	s_delay_alu instid0(VALU_DEP_2) | instskip(NEXT) | instid1(VALU_DEP_1)
	v_cndmask_b32_e32 v29, v29, v34, vcc_lo
	v_sqrt_f32_e32 v34, v29
	s_waitcnt_depctr 0xfff
	v_add_nc_u32_e32 v35, -1, v34
	v_add_nc_u32_e32 v36, 1, v34
	s_delay_alu instid0(VALU_DEP_2) | instskip(NEXT) | instid1(VALU_DEP_2)
	v_fma_f32 v37, -v35, v34, v29
	v_fma_f32 v38, -v36, v34, v29
	s_delay_alu instid0(VALU_DEP_2) | instskip(NEXT) | instid1(VALU_DEP_1)
	v_cmp_ge_f32_e64 s9, 0, v37
	v_cndmask_b32_e64 v34, v34, v35, s9
	s_delay_alu instid0(VALU_DEP_3) | instskip(NEXT) | instid1(VALU_DEP_1)
	v_cmp_lt_f32_e64 s9, 0, v38
	v_cndmask_b32_e64 v34, v34, v36, s9
	s_delay_alu instid0(VALU_DEP_1) | instskip(NEXT) | instid1(VALU_DEP_1)
	v_mul_f32_e32 v35, 0x37800000, v34
	v_cndmask_b32_e32 v34, v34, v35, vcc_lo
	v_cmp_class_f32_e64 vcc_lo, v29, 0x260
	s_delay_alu instid0(VALU_DEP_2) | instskip(NEXT) | instid1(VALU_DEP_1)
	v_cndmask_b32_e32 v29, v34, v29, vcc_lo
	v_add_f32_e32 v29, v33, v29
	s_delay_alu instid0(VALU_DEP_1) | instskip(NEXT) | instid1(VALU_DEP_1)
	v_add_f32_e32 v35, 1.0, v29
	v_cvt_f64_f32_e32 v[33:34], v35
	s_delay_alu instid0(VALU_DEP_1) | instskip(SKIP_1) | instid1(VALU_DEP_1)
	v_frexp_exp_i32_f64_e32 v33, v[33:34]
	v_frexp_mant_f32_e32 v34, v35
	v_cmp_gt_f32_e32 vcc_lo, 0x3f2aaaab, v34
	v_add_f32_e32 v34, -1.0, v35
	s_delay_alu instid0(VALU_DEP_1) | instskip(NEXT) | instid1(VALU_DEP_1)
	v_dual_sub_f32 v37, v34, v35 :: v_dual_sub_f32 v34, v29, v34
	v_add_f32_e32 v37, 1.0, v37
	s_delay_alu instid0(VALU_DEP_1) | instskip(SKIP_1) | instid1(VALU_DEP_1)
	v_add_f32_e32 v34, v34, v37
	v_subrev_co_ci_u32_e32 v33, vcc_lo, 0, v33, vcc_lo
	v_sub_nc_u32_e32 v36, 0, v33
	v_cvt_f32_i32_e32 v33, v33
	s_delay_alu instid0(VALU_DEP_2) | instskip(SKIP_1) | instid1(VALU_DEP_2)
	v_ldexp_f32 v35, v35, v36
	v_ldexp_f32 v34, v34, v36
	v_add_f32_e32 v38, 1.0, v35
	v_add_f32_e32 v36, -1.0, v35
	v_cmp_eq_f32_e32 vcc_lo, 0x7f800000, v29
	s_delay_alu instid0(VALU_DEP_3) | instskip(NEXT) | instid1(VALU_DEP_3)
	v_add_f32_e32 v37, -1.0, v38
	v_add_f32_e32 v39, 1.0, v36
	s_delay_alu instid0(VALU_DEP_2) | instskip(NEXT) | instid1(VALU_DEP_2)
	v_sub_f32_e32 v37, v35, v37
	v_sub_f32_e32 v35, v35, v39
	s_delay_alu instid0(VALU_DEP_2) | instskip(NEXT) | instid1(VALU_DEP_2)
	v_add_f32_e32 v37, v34, v37
	v_add_f32_e32 v34, v34, v35
	s_delay_alu instid0(VALU_DEP_1) | instskip(NEXT) | instid1(VALU_DEP_1)
	v_dual_add_f32 v40, v36, v34 :: v_dual_add_f32 v39, v38, v37
	v_sub_f32_e32 v36, v40, v36
	s_delay_alu instid0(VALU_DEP_2) | instskip(SKIP_1) | instid1(VALU_DEP_1)
	v_rcp_f32_e32 v35, v39
	v_sub_f32_e32 v38, v39, v38
	v_dual_sub_f32 v34, v34, v36 :: v_dual_sub_f32 v37, v37, v38
	s_waitcnt_depctr 0xfff
	v_mul_f32_e32 v41, v40, v35
	s_delay_alu instid0(VALU_DEP_1) | instskip(NEXT) | instid1(VALU_DEP_1)
	v_mul_f32_e32 v42, v39, v41
	v_fma_f32 v38, v41, v39, -v42
	s_delay_alu instid0(VALU_DEP_1) | instskip(NEXT) | instid1(VALU_DEP_1)
	v_fmac_f32_e32 v38, v41, v37
	v_add_f32_e32 v43, v42, v38
	s_delay_alu instid0(VALU_DEP_1) | instskip(NEXT) | instid1(VALU_DEP_1)
	v_sub_f32_e32 v44, v40, v43
	v_sub_f32_e32 v40, v40, v44
	s_delay_alu instid0(VALU_DEP_1) | instskip(SKIP_1) | instid1(VALU_DEP_2)
	v_sub_f32_e32 v40, v40, v43
	v_sub_f32_e32 v36, v43, v42
	v_add_f32_e32 v34, v34, v40
	s_delay_alu instid0(VALU_DEP_2) | instskip(NEXT) | instid1(VALU_DEP_1)
	v_sub_f32_e32 v36, v36, v38
	v_add_f32_e32 v34, v36, v34
	s_delay_alu instid0(VALU_DEP_1) | instskip(NEXT) | instid1(VALU_DEP_1)
	v_add_f32_e32 v36, v44, v34
	v_mul_f32_e32 v38, v35, v36
	s_delay_alu instid0(VALU_DEP_1) | instskip(NEXT) | instid1(VALU_DEP_1)
	v_dual_sub_f32 v43, v44, v36 :: v_dual_mul_f32 v40, v39, v38
	v_add_f32_e32 v34, v34, v43
	s_delay_alu instid0(VALU_DEP_2) | instskip(NEXT) | instid1(VALU_DEP_1)
	v_fma_f32 v39, v38, v39, -v40
	v_fmac_f32_e32 v39, v38, v37
	s_delay_alu instid0(VALU_DEP_1) | instskip(NEXT) | instid1(VALU_DEP_1)
	v_add_f32_e32 v37, v40, v39
	v_sub_f32_e32 v42, v36, v37
	s_delay_alu instid0(VALU_DEP_1) | instskip(NEXT) | instid1(VALU_DEP_1)
	v_sub_f32_e32 v36, v36, v42
	v_sub_f32_e32 v36, v36, v37
	s_delay_alu instid0(VALU_DEP_1) | instskip(SKIP_2) | instid1(VALU_DEP_1)
	v_add_f32_e32 v34, v34, v36
	v_add_f32_e32 v36, v41, v38
	v_sub_f32_e32 v40, v37, v40
	v_sub_f32_e32 v37, v40, v39
	s_delay_alu instid0(VALU_DEP_1) | instskip(NEXT) | instid1(VALU_DEP_1)
	v_dual_add_f32 v34, v37, v34 :: v_dual_sub_f32 v37, v36, v41
	v_add_f32_e32 v34, v42, v34
	s_delay_alu instid0(VALU_DEP_1) | instskip(NEXT) | instid1(VALU_DEP_1)
	v_dual_sub_f32 v37, v38, v37 :: v_dual_mul_f32 v34, v35, v34
	v_add_f32_e32 v34, v37, v34
	s_delay_alu instid0(VALU_DEP_1) | instskip(NEXT) | instid1(VALU_DEP_1)
	v_add_f32_e32 v35, v36, v34
	v_mul_f32_e32 v37, v35, v35
	s_delay_alu instid0(VALU_DEP_1) | instskip(SKIP_1) | instid1(VALU_DEP_2)
	v_fmaak_f32 v38, s29, v37, 0x3ecc95a3
	v_mul_f32_e32 v39, v35, v37
	v_fmaak_f32 v37, v37, v38, 0x3f2aaada
	v_ldexp_f32 v38, v35, 1
	v_sub_f32_e32 v35, v35, v36
	s_delay_alu instid0(VALU_DEP_3) | instskip(SKIP_1) | instid1(VALU_DEP_2)
	v_mul_f32_e32 v37, v39, v37
	v_mul_f32_e32 v39, 0x3f317218, v33
	v_add_f32_e32 v36, v38, v37
	s_delay_alu instid0(VALU_DEP_1) | instskip(NEXT) | instid1(VALU_DEP_3)
	v_dual_sub_f32 v34, v34, v35 :: v_dual_sub_f32 v35, v36, v38
	v_fma_f32 v38, 0x3f317218, v33, -v39
	s_delay_alu instid0(VALU_DEP_2) | instskip(NEXT) | instid1(VALU_DEP_2)
	v_ldexp_f32 v34, v34, 1
	v_dual_sub_f32 v35, v37, v35 :: v_dual_fmac_f32 v38, 0xb102e308, v33
	s_delay_alu instid0(VALU_DEP_1) | instskip(NEXT) | instid1(VALU_DEP_1)
	v_dual_add_f32 v33, v34, v35 :: v_dual_add_f32 v34, v39, v38
	v_add_f32_e32 v35, v36, v33
	s_delay_alu instid0(VALU_DEP_1) | instskip(NEXT) | instid1(VALU_DEP_1)
	v_add_f32_e32 v37, v34, v35
	v_sub_f32_e32 v40, v37, v34
	s_delay_alu instid0(VALU_DEP_1) | instskip(SKIP_2) | instid1(VALU_DEP_2)
	v_sub_f32_e32 v41, v37, v40
	v_sub_f32_e32 v36, v35, v36
	;; [unrolled: 1-line block ×5, first 2 shown]
	s_delay_alu instid0(VALU_DEP_1) | instskip(NEXT) | instid1(VALU_DEP_1)
	v_sub_f32_e32 v38, v38, v39
	v_add_f32_e32 v36, v38, v33
	v_sub_f32_e32 v34, v34, v41
	s_delay_alu instid0(VALU_DEP_1) | instskip(NEXT) | instid1(VALU_DEP_3)
	v_add_f32_e32 v34, v35, v34
	v_sub_f32_e32 v35, v36, v38
	s_delay_alu instid0(VALU_DEP_1) | instskip(NEXT) | instid1(VALU_DEP_1)
	v_dual_sub_f32 v33, v33, v35 :: v_dual_add_f32 v34, v36, v34
	v_dual_sub_f32 v36, v36, v35 :: v_dual_add_f32 v39, v37, v34
	s_delay_alu instid0(VALU_DEP_1) | instskip(NEXT) | instid1(VALU_DEP_1)
	v_dual_sub_f32 v36, v38, v36 :: v_dual_sub_f32 v35, v39, v37
	v_dual_add_f32 v33, v33, v36 :: v_dual_sub_f32 v34, v34, v35
	s_delay_alu instid0(VALU_DEP_1) | instskip(NEXT) | instid1(VALU_DEP_1)
	v_add_f32_e32 v33, v33, v34
	v_add_f32_e32 v33, v39, v33
	s_delay_alu instid0(VALU_DEP_1) | instskip(SKIP_1) | instid1(VALU_DEP_2)
	v_cndmask_b32_e32 v33, v33, v29, vcc_lo
	v_cmp_ngt_f32_e32 vcc_lo, -1.0, v29
	v_cndmask_b32_e32 v33, 0x7fc00000, v33, vcc_lo
	v_cmp_neq_f32_e32 vcc_lo, -1.0, v29
	s_delay_alu instid0(VALU_DEP_2) | instskip(SKIP_1) | instid1(VALU_DEP_2)
	v_cndmask_b32_e32 v33, 0xff800000, v33, vcc_lo
	v_cmp_gt_f32_e64 vcc_lo, 0x33800000, |v29|
	v_cndmask_b32_e32 v29, v33, v29, vcc_lo
.LBB50_226:                             ;   in Loop: Header=BB50_4 Depth=1
	s_and_not1_saveexec_b32 s38, s38
	s_cbranch_execz .LBB50_232
; %bb.227:                              ;   in Loop: Header=BB50_4 Depth=1
	s_mov_b32 s39, exec_lo
                                        ; implicit-def: $vgpr29
	v_cmpx_nlt_f32_e64 |v11|, 1.0
	s_xor_b32 s39, exec_lo, s39
	s_cbranch_execz .LBB50_229
; %bb.228:                              ;   in Loop: Header=BB50_4 Depth=1
	v_mul_f32_e32 v29, v16, v28
	s_delay_alu instid0(VALU_DEP_1) | instskip(SKIP_1) | instid1(VALU_DEP_2)
	v_mul_f32_e32 v33, 0x4f800000, v29
	v_cmp_gt_f32_e32 vcc_lo, 0xf800000, v29
	v_cndmask_b32_e32 v29, v29, v33, vcc_lo
	s_delay_alu instid0(VALU_DEP_1) | instskip(SKIP_3) | instid1(VALU_DEP_2)
	v_sqrt_f32_e32 v33, v29
	s_waitcnt_depctr 0xfff
	v_add_nc_u32_e32 v34, -1, v33
	v_add_nc_u32_e32 v35, 1, v33
	v_fma_f32 v36, -v34, v33, v29
	s_delay_alu instid0(VALU_DEP_2) | instskip(NEXT) | instid1(VALU_DEP_2)
	v_fma_f32 v37, -v35, v33, v29
	v_cmp_ge_f32_e64 s9, 0, v36
	s_delay_alu instid0(VALU_DEP_1) | instskip(NEXT) | instid1(VALU_DEP_3)
	v_cndmask_b32_e64 v33, v33, v34, s9
	v_cmp_lt_f32_e64 s9, 0, v37
	s_delay_alu instid0(VALU_DEP_1) | instskip(NEXT) | instid1(VALU_DEP_1)
	v_cndmask_b32_e64 v33, v33, v35, s9
	v_mul_f32_e32 v34, 0x37800000, v33
	s_delay_alu instid0(VALU_DEP_1) | instskip(SKIP_1) | instid1(VALU_DEP_2)
	v_cndmask_b32_e32 v33, v33, v34, vcc_lo
	v_cmp_class_f32_e64 vcc_lo, v29, 0x260
	v_cndmask_b32_e32 v29, v33, v29, vcc_lo
	s_delay_alu instid0(VALU_DEP_1) | instskip(NEXT) | instid1(VALU_DEP_1)
	v_add_f32_e32 v29, v16, v29
	v_add_f32_e32 v35, 1.0, v29
	s_delay_alu instid0(VALU_DEP_1) | instskip(NEXT) | instid1(VALU_DEP_1)
	v_cvt_f64_f32_e32 v[33:34], v35
	v_frexp_exp_i32_f64_e32 v33, v[33:34]
	v_frexp_mant_f32_e32 v34, v35
	s_delay_alu instid0(VALU_DEP_1) | instskip(SKIP_1) | instid1(VALU_DEP_1)
	v_cmp_gt_f32_e32 vcc_lo, 0x3f2aaaab, v34
	v_add_f32_e32 v34, -1.0, v35
	v_dual_sub_f32 v37, v34, v35 :: v_dual_sub_f32 v34, v29, v34
	s_delay_alu instid0(VALU_DEP_1) | instskip(NEXT) | instid1(VALU_DEP_1)
	v_add_f32_e32 v37, 1.0, v37
	v_add_f32_e32 v34, v34, v37
	v_subrev_co_ci_u32_e32 v33, vcc_lo, 0, v33, vcc_lo
	s_delay_alu instid0(VALU_DEP_1) | instskip(SKIP_1) | instid1(VALU_DEP_2)
	v_sub_nc_u32_e32 v36, 0, v33
	v_cvt_f32_i32_e32 v33, v33
	v_ldexp_f32 v35, v35, v36
	v_ldexp_f32 v34, v34, v36
	s_delay_alu instid0(VALU_DEP_2) | instskip(NEXT) | instid1(VALU_DEP_1)
	v_add_f32_e32 v38, 1.0, v35
	v_dual_add_f32 v36, -1.0, v35 :: v_dual_add_f32 v37, -1.0, v38
	s_delay_alu instid0(VALU_DEP_1) | instskip(NEXT) | instid1(VALU_DEP_2)
	v_add_f32_e32 v39, 1.0, v36
	v_sub_f32_e32 v37, v35, v37
	s_delay_alu instid0(VALU_DEP_2) | instskip(NEXT) | instid1(VALU_DEP_2)
	v_sub_f32_e32 v35, v35, v39
	v_add_f32_e32 v37, v34, v37
	s_delay_alu instid0(VALU_DEP_2) | instskip(SKIP_1) | instid1(VALU_DEP_2)
	v_add_f32_e32 v34, v34, v35
	v_cmp_eq_f32_e32 vcc_lo, 0x7f800000, v29
	v_dual_add_f32 v39, v38, v37 :: v_dual_add_f32 v40, v36, v34
	s_delay_alu instid0(VALU_DEP_1) | instskip(NEXT) | instid1(VALU_DEP_1)
	v_rcp_f32_e32 v35, v39
	v_sub_f32_e32 v36, v40, v36
	v_sub_f32_e32 v38, v39, v38
	s_delay_alu instid0(VALU_DEP_1) | instskip(SKIP_2) | instid1(VALU_DEP_1)
	v_dual_sub_f32 v34, v34, v36 :: v_dual_sub_f32 v37, v37, v38
	s_waitcnt_depctr 0xfff
	v_mul_f32_e32 v41, v40, v35
	v_mul_f32_e32 v42, v39, v41
	s_delay_alu instid0(VALU_DEP_1) | instskip(NEXT) | instid1(VALU_DEP_1)
	v_fma_f32 v38, v41, v39, -v42
	v_fmac_f32_e32 v38, v41, v37
	s_delay_alu instid0(VALU_DEP_1) | instskip(NEXT) | instid1(VALU_DEP_1)
	v_add_f32_e32 v43, v42, v38
	v_sub_f32_e32 v44, v40, v43
	v_sub_f32_e32 v36, v43, v42
	s_delay_alu instid0(VALU_DEP_2) | instskip(NEXT) | instid1(VALU_DEP_2)
	v_sub_f32_e32 v40, v40, v44
	v_sub_f32_e32 v36, v36, v38
	s_delay_alu instid0(VALU_DEP_2) | instskip(NEXT) | instid1(VALU_DEP_1)
	v_sub_f32_e32 v40, v40, v43
	v_add_f32_e32 v34, v34, v40
	s_delay_alu instid0(VALU_DEP_1) | instskip(NEXT) | instid1(VALU_DEP_1)
	v_add_f32_e32 v34, v36, v34
	v_add_f32_e32 v36, v44, v34
	s_delay_alu instid0(VALU_DEP_1) | instskip(NEXT) | instid1(VALU_DEP_1)
	v_mul_f32_e32 v38, v35, v36
	v_dual_sub_f32 v43, v44, v36 :: v_dual_mul_f32 v40, v39, v38
	s_delay_alu instid0(VALU_DEP_1) | instskip(NEXT) | instid1(VALU_DEP_2)
	v_add_f32_e32 v34, v34, v43
	v_fma_f32 v39, v38, v39, -v40
	s_delay_alu instid0(VALU_DEP_1) | instskip(NEXT) | instid1(VALU_DEP_1)
	v_fmac_f32_e32 v39, v38, v37
	v_add_f32_e32 v37, v40, v39
	s_delay_alu instid0(VALU_DEP_1) | instskip(NEXT) | instid1(VALU_DEP_1)
	v_sub_f32_e32 v42, v36, v37
	v_sub_f32_e32 v36, v36, v42
	s_delay_alu instid0(VALU_DEP_1) | instskip(NEXT) | instid1(VALU_DEP_1)
	v_sub_f32_e32 v36, v36, v37
	v_add_f32_e32 v34, v34, v36
	v_add_f32_e32 v36, v41, v38
	v_sub_f32_e32 v40, v37, v40
	s_delay_alu instid0(VALU_DEP_1) | instskip(NEXT) | instid1(VALU_DEP_1)
	v_sub_f32_e32 v37, v40, v39
	v_dual_add_f32 v34, v37, v34 :: v_dual_sub_f32 v37, v36, v41
	s_delay_alu instid0(VALU_DEP_1) | instskip(NEXT) | instid1(VALU_DEP_1)
	v_add_f32_e32 v34, v42, v34
	v_dual_sub_f32 v37, v38, v37 :: v_dual_mul_f32 v34, v35, v34
	s_delay_alu instid0(VALU_DEP_1) | instskip(NEXT) | instid1(VALU_DEP_1)
	v_add_f32_e32 v34, v37, v34
	v_add_f32_e32 v35, v36, v34
	s_delay_alu instid0(VALU_DEP_1) | instskip(NEXT) | instid1(VALU_DEP_1)
	v_mul_f32_e32 v37, v35, v35
	v_fmaak_f32 v38, s29, v37, 0x3ecc95a3
	v_mul_f32_e32 v39, v35, v37
	s_delay_alu instid0(VALU_DEP_2) | instskip(SKIP_1) | instid1(VALU_DEP_2)
	v_fmaak_f32 v37, v37, v38, 0x3f2aaada
	v_ldexp_f32 v38, v35, 1
	v_mul_f32_e32 v37, v39, v37
	v_mul_f32_e32 v39, 0x3f317218, v33
	s_delay_alu instid0(VALU_DEP_2) | instskip(NEXT) | instid1(VALU_DEP_1)
	v_dual_sub_f32 v35, v35, v36 :: v_dual_add_f32 v36, v38, v37
	v_dual_sub_f32 v34, v34, v35 :: v_dual_sub_f32 v35, v36, v38
	s_delay_alu instid0(VALU_DEP_3) | instskip(NEXT) | instid1(VALU_DEP_2)
	v_fma_f32 v38, 0x3f317218, v33, -v39
	v_ldexp_f32 v34, v34, 1
	s_delay_alu instid0(VALU_DEP_2) | instskip(NEXT) | instid1(VALU_DEP_1)
	v_dual_sub_f32 v35, v37, v35 :: v_dual_fmac_f32 v38, 0xb102e308, v33
	v_dual_add_f32 v33, v34, v35 :: v_dual_add_f32 v34, v39, v38
	s_delay_alu instid0(VALU_DEP_1) | instskip(NEXT) | instid1(VALU_DEP_1)
	v_add_f32_e32 v35, v36, v33
	v_add_f32_e32 v37, v34, v35
	s_delay_alu instid0(VALU_DEP_1) | instskip(NEXT) | instid1(VALU_DEP_1)
	v_sub_f32_e32 v40, v37, v34
	v_sub_f32_e32 v41, v37, v40
	;; [unrolled: 1-line block ×3, first 2 shown]
	s_delay_alu instid0(VALU_DEP_1) | instskip(SKIP_1) | instid1(VALU_DEP_1)
	v_sub_f32_e32 v33, v33, v36
	v_sub_f32_e32 v39, v34, v39
	v_dual_sub_f32 v35, v35, v40 :: v_dual_sub_f32 v38, v38, v39
	s_delay_alu instid0(VALU_DEP_1) | instskip(SKIP_1) | instid1(VALU_DEP_1)
	v_add_f32_e32 v36, v38, v33
	v_sub_f32_e32 v34, v34, v41
	v_add_f32_e32 v34, v35, v34
	s_delay_alu instid0(VALU_DEP_3) | instskip(NEXT) | instid1(VALU_DEP_1)
	v_sub_f32_e32 v35, v36, v38
	v_dual_sub_f32 v33, v33, v35 :: v_dual_add_f32 v34, v36, v34
	s_delay_alu instid0(VALU_DEP_1) | instskip(NEXT) | instid1(VALU_DEP_1)
	v_dual_sub_f32 v36, v36, v35 :: v_dual_add_f32 v39, v37, v34
	v_dual_sub_f32 v35, v39, v37 :: v_dual_sub_f32 v36, v38, v36
	s_delay_alu instid0(VALU_DEP_1) | instskip(NEXT) | instid1(VALU_DEP_1)
	v_dual_sub_f32 v34, v34, v35 :: v_dual_add_f32 v33, v33, v36
	v_add_f32_e32 v33, v33, v34
	s_delay_alu instid0(VALU_DEP_1) | instskip(NEXT) | instid1(VALU_DEP_1)
	v_add_f32_e32 v33, v39, v33
	v_cndmask_b32_e32 v33, v33, v29, vcc_lo
	v_cmp_ngt_f32_e32 vcc_lo, -1.0, v29
	s_delay_alu instid0(VALU_DEP_2) | instskip(SKIP_1) | instid1(VALU_DEP_2)
	v_cndmask_b32_e32 v33, 0x7fc00000, v33, vcc_lo
	v_cmp_neq_f32_e32 vcc_lo, -1.0, v29
	v_cndmask_b32_e32 v33, 0xff800000, v33, vcc_lo
	v_cmp_gt_f32_e64 vcc_lo, 0x33800000, |v29|
	s_delay_alu instid0(VALU_DEP_2)
	v_cndmask_b32_e32 v29, v33, v29, vcc_lo
.LBB50_229:                             ;   in Loop: Header=BB50_4 Depth=1
	s_and_not1_saveexec_b32 s39, s39
	s_cbranch_execz .LBB50_231
; %bb.230:                              ;   in Loop: Header=BB50_4 Depth=1
	v_sub_f32_e64 v29, 1.0, |v11|
	s_delay_alu instid0(VALU_DEP_1) | instskip(NEXT) | instid1(VALU_DEP_1)
	v_mul_f32_e32 v29, v29, v28
	v_mul_f32_e32 v33, 0x4f800000, v29
	v_cmp_gt_f32_e32 vcc_lo, 0xf800000, v29
	s_delay_alu instid0(VALU_DEP_2) | instskip(NEXT) | instid1(VALU_DEP_1)
	v_cndmask_b32_e32 v29, v29, v33, vcc_lo
	v_sqrt_f32_e32 v33, v29
	s_waitcnt_depctr 0xfff
	v_add_nc_u32_e32 v34, -1, v33
	v_add_nc_u32_e32 v35, 1, v33
	s_delay_alu instid0(VALU_DEP_2) | instskip(NEXT) | instid1(VALU_DEP_2)
	v_fma_f32 v36, -v34, v33, v29
	v_fma_f32 v37, -v35, v33, v29
	s_delay_alu instid0(VALU_DEP_2) | instskip(NEXT) | instid1(VALU_DEP_1)
	v_cmp_ge_f32_e64 s9, 0, v36
	v_cndmask_b32_e64 v33, v33, v34, s9
	s_delay_alu instid0(VALU_DEP_3) | instskip(NEXT) | instid1(VALU_DEP_1)
	v_cmp_lt_f32_e64 s9, 0, v37
	v_cndmask_b32_e64 v33, v33, v35, s9
	s_delay_alu instid0(VALU_DEP_1) | instskip(NEXT) | instid1(VALU_DEP_1)
	v_mul_f32_e32 v34, 0x37800000, v33
	v_dual_cndmask_b32 v33, v33, v34 :: v_dual_and_b32 v34, 0x7fffffff, v12
	v_cmp_class_f32_e64 vcc_lo, v29, 0x260
	s_delay_alu instid0(VALU_DEP_2) | instskip(NEXT) | instid1(VALU_DEP_1)
	v_cndmask_b32_e32 v29, v33, v29, vcc_lo
	v_div_scale_f32 v33, null, v29, v29, v34
	v_div_scale_f32 v34, vcc_lo, v34, v29, v34
	s_delay_alu instid0(VALU_DEP_2) | instskip(SKIP_2) | instid1(VALU_DEP_1)
	v_rcp_f32_e32 v35, v33
	s_waitcnt_depctr 0xfff
	v_fma_f32 v36, -v33, v35, 1.0
	v_fmac_f32_e32 v35, v36, v35
	s_delay_alu instid0(VALU_DEP_1) | instskip(NEXT) | instid1(VALU_DEP_1)
	v_mul_f32_e32 v36, v34, v35
	v_fma_f32 v37, -v33, v36, v34
	s_delay_alu instid0(VALU_DEP_1) | instskip(NEXT) | instid1(VALU_DEP_1)
	v_fmac_f32_e32 v36, v37, v35
	v_fma_f32 v33, -v33, v36, v34
	s_delay_alu instid0(VALU_DEP_1) | instskip(NEXT) | instid1(VALU_DEP_1)
	v_div_fmas_f32 v33, v33, v35, v36
	v_div_fixup_f32 v29, v33, v29, |v12|
.LBB50_231:                             ;   in Loop: Header=BB50_4 Depth=1
	s_or_b32 exec_lo, exec_lo, s39
.LBB50_232:                             ;   in Loop: Header=BB50_4 Depth=1
	s_delay_alu instid0(SALU_CYCLE_1)
	s_or_b32 exec_lo, exec_lo, s38
.LBB50_233:                             ;   in Loop: Header=BB50_4 Depth=1
	s_and_not1_saveexec_b32 s37, s37
	s_cbranch_execz .LBB50_235
; %bb.234:                              ;   in Loop: Header=BB50_4 Depth=1
	v_mul_f32_e64 v29, 0x4f800000, |v12|
	v_cmp_gt_f32_e64 vcc_lo, 0xf800000, |v12|
	s_delay_alu instid0(VALU_DEP_1) | instskip(NEXT) | instid1(VALU_DEP_1)
	v_cndmask_b32_e64 v29, |v12|, v29, vcc_lo
	v_sqrt_f32_e32 v33, v29
	s_waitcnt_depctr 0xfff
	v_add_nc_u32_e32 v34, -1, v33
	v_add_nc_u32_e32 v35, 1, v33
	s_delay_alu instid0(VALU_DEP_2) | instskip(NEXT) | instid1(VALU_DEP_2)
	v_fma_f32 v36, -v34, v33, v29
	v_fma_f32 v37, -v35, v33, v29
	s_delay_alu instid0(VALU_DEP_2) | instskip(NEXT) | instid1(VALU_DEP_1)
	v_cmp_ge_f32_e64 s9, 0, v36
	v_cndmask_b32_e64 v33, v33, v34, s9
	s_delay_alu instid0(VALU_DEP_3) | instskip(NEXT) | instid1(VALU_DEP_1)
	v_cmp_lt_f32_e64 s9, 0, v37
	v_cndmask_b32_e64 v33, v33, v35, s9
	s_delay_alu instid0(VALU_DEP_1) | instskip(NEXT) | instid1(VALU_DEP_1)
	v_mul_f32_e32 v34, 0x37800000, v33
	v_cndmask_b32_e32 v33, v33, v34, vcc_lo
	v_cmp_class_f32_e64 vcc_lo, v29, 0x260
	s_delay_alu instid0(VALU_DEP_2)
	v_cndmask_b32_e32 v29, v33, v29, vcc_lo
.LBB50_235:                             ;   in Loop: Header=BB50_4 Depth=1
	s_or_b32 exec_lo, exec_lo, s37
.LBB50_236:                             ;   in Loop: Header=BB50_4 Depth=1
	s_delay_alu instid0(SALU_CYCLE_1) | instskip(NEXT) | instid1(SALU_CYCLE_1)
	s_or_b32 exec_lo, exec_lo, s10
	s_mov_b32 s37, exec_lo
                                        ; implicit-def: $sgpr9
                                        ; implicit-def: $vgpr33
                                        ; implicit-def: $vgpr35
                                        ; implicit-def: $vgpr34
	v_cmpx_ngt_f32_e64 0x21000000, |v11|
	s_xor_b32 s37, exec_lo, s37
	s_cbranch_execz .LBB50_260
; %bb.237:                              ;   in Loop: Header=BB50_4 Depth=1
	v_and_b32_e32 v34, 0x7fffffff, v11
	s_mov_b32 s9, 0
	s_mov_b32 s38, exec_lo
	s_delay_alu instid0(VALU_DEP_1) | instskip(NEXT) | instid1(VALU_DEP_1)
	v_div_scale_f32 v33, null, v15, v15, v34
	v_rcp_f32_e32 v35, v33
	s_waitcnt_depctr 0xfff
	v_fma_f32 v36, -v33, v35, 1.0
	s_delay_alu instid0(VALU_DEP_1) | instskip(SKIP_1) | instid1(VALU_DEP_1)
	v_fmac_f32_e32 v35, v36, v35
	v_div_scale_f32 v36, vcc_lo, v34, v15, v34
	v_mul_f32_e32 v37, v36, v35
	s_delay_alu instid0(VALU_DEP_1) | instskip(NEXT) | instid1(VALU_DEP_1)
	v_fma_f32 v38, -v33, v37, v36
	v_fmac_f32_e32 v37, v38, v35
	s_delay_alu instid0(VALU_DEP_1) | instskip(NEXT) | instid1(VALU_DEP_1)
	v_fma_f32 v33, -v33, v37, v36
	v_div_fmas_f32 v33, v33, v35, v37
                                        ; implicit-def: $vgpr35
	s_delay_alu instid0(VALU_DEP_1) | instskip(NEXT) | instid1(VALU_DEP_1)
	v_div_fixup_f32 v33, v33, v15, |v11|
	v_cmpx_lt_f32_e32 0x3f244674, v33
	s_cbranch_execz .LBB50_259
; %bb.238:                              ;   in Loop: Header=BB50_4 Depth=1
	v_cmp_neq_f32_e64 s9, |v11|, 1.0
	v_cmp_ngt_f32_e64 s10, 0x30800000, |v12|
                                        ; implicit-def: $sgpr39
                                        ; implicit-def: $vgpr35
	s_delay_alu instid0(VALU_DEP_1) | instskip(NEXT) | instid1(SALU_CYCLE_1)
	s_or_b32 s9, s10, s9
	s_and_saveexec_b32 s10, s9
	s_delay_alu instid0(SALU_CYCLE_1)
	s_xor_b32 s10, exec_lo, s10
	s_cbranch_execz .LBB50_256
; %bb.239:                              ;   in Loop: Header=BB50_4 Depth=1
	v_mul_f32_e64 v35, 0x34000000, |v16|
                                        ; implicit-def: $sgpr39
	s_delay_alu instid0(VALU_DEP_1) | instskip(NEXT) | instid1(VALU_DEP_1)
	v_cmp_le_f32_e64 s9, v35, |v12|
                                        ; implicit-def: $vgpr35
	s_and_saveexec_b32 s40, s9
	s_delay_alu instid0(SALU_CYCLE_1)
	s_xor_b32 s40, exec_lo, s40
	s_cbranch_execz .LBB50_249
; %bb.240:                              ;   in Loop: Header=BB50_4 Depth=1
	v_mov_b32_e32 v35, v31
	s_mov_b32 s9, exec_lo
	v_cmpx_neq_f32_e32 0, v28
	s_cbranch_execz .LBB50_242
; %bb.241:                              ;   in Loop: Header=BB50_4 Depth=1
	v_mul_f32_e32 v35, v12, v12
	v_add_f32_e32 v28, v28, v32
	s_delay_alu instid0(VALU_DEP_1) | instskip(NEXT) | instid1(VALU_DEP_1)
	v_div_scale_f32 v32, null, v28, v28, v35
	v_rcp_f32_e32 v36, v32
	s_waitcnt_depctr 0xfff
	v_fma_f32 v37, -v32, v36, 1.0
	s_delay_alu instid0(VALU_DEP_1) | instskip(SKIP_1) | instid1(VALU_DEP_1)
	v_fmac_f32_e32 v36, v37, v36
	v_div_scale_f32 v37, vcc_lo, v35, v28, v35
	v_mul_f32_e32 v38, v37, v36
	s_delay_alu instid0(VALU_DEP_1) | instskip(NEXT) | instid1(VALU_DEP_1)
	v_fma_f32 v39, -v32, v38, v37
	v_fmac_f32_e32 v38, v39, v36
	s_delay_alu instid0(VALU_DEP_1) | instskip(NEXT) | instid1(VALU_DEP_1)
	v_fma_f32 v32, -v32, v38, v37
	v_div_fmas_f32 v32, v32, v36, v38
	s_delay_alu instid0(VALU_DEP_1)
	v_div_fixup_f32 v35, v32, v28, v35
.LBB50_242:                             ;   in Loop: Header=BB50_4 Depth=1
	s_or_b32 exec_lo, exec_lo, s9
	s_delay_alu instid0(SALU_CYCLE_1)
	s_mov_b32 s9, exec_lo
	v_cmpx_ngt_f32_e32 0, v16
	s_xor_b32 s9, exec_lo, s9
	s_cbranch_execz .LBB50_246
; %bb.243:                              ;   in Loop: Header=BB50_4 Depth=1
	s_mov_b32 s39, exec_lo
	v_cmpx_neq_f32_e32 0, v16
	s_cbranch_execz .LBB50_245
; %bb.244:                              ;   in Loop: Header=BB50_4 Depth=1
	v_mul_f32_e32 v12, v12, v12
	v_add_f32_e32 v16, v16, v30
	s_delay_alu instid0(VALU_DEP_1) | instskip(NEXT) | instid1(VALU_DEP_1)
	v_div_scale_f32 v28, null, v16, v16, v12
	v_rcp_f32_e32 v30, v28
	s_waitcnt_depctr 0xfff
	v_fma_f32 v31, -v28, v30, 1.0
	s_delay_alu instid0(VALU_DEP_1) | instskip(SKIP_1) | instid1(VALU_DEP_1)
	v_fmac_f32_e32 v30, v31, v30
	v_div_scale_f32 v31, vcc_lo, v12, v16, v12
	v_mul_f32_e32 v32, v31, v30
	s_delay_alu instid0(VALU_DEP_1) | instskip(NEXT) | instid1(VALU_DEP_1)
	v_fma_f32 v36, -v28, v32, v31
	v_fmac_f32_e32 v32, v36, v30
	s_delay_alu instid0(VALU_DEP_1) | instskip(NEXT) | instid1(VALU_DEP_1)
	v_fma_f32 v28, -v28, v32, v31
	v_div_fmas_f32 v28, v28, v30, v32
	s_delay_alu instid0(VALU_DEP_1)
	v_div_fixup_f32 v31, v28, v16, v12
.LBB50_245:                             ;   in Loop: Header=BB50_4 Depth=1
	s_or_b32 exec_lo, exec_lo, s39
                                        ; implicit-def: $vgpr30
                                        ; implicit-def: $vgpr16
.LBB50_246:                             ;   in Loop: Header=BB50_4 Depth=1
	s_and_not1_saveexec_b32 s9, s9
; %bb.247:                              ;   in Loop: Header=BB50_4 Depth=1
	v_sub_f32_e32 v31, v30, v16
; %bb.248:                              ;   in Loop: Header=BB50_4 Depth=1
	s_or_b32 exec_lo, exec_lo, s9
	s_delay_alu instid0(VALU_DEP_1) | instskip(SKIP_2) | instid1(VALU_DEP_2)
	v_mul_f32_e32 v12, 0.5, v31
	v_add_f32_e64 v11, |v11|, v15
	s_mov_b32 s39, -1
	v_fmac_f32_e32 v12, 0.5, v35
	s_delay_alu instid0(VALU_DEP_1) | instskip(NEXT) | instid1(VALU_DEP_1)
	v_mul_f32_e32 v11, v11, v12
	v_mul_f32_e32 v12, 0x4f800000, v11
	v_cmp_gt_f32_e32 vcc_lo, 0xf800000, v11
	s_delay_alu instid0(VALU_DEP_2) | instskip(NEXT) | instid1(VALU_DEP_1)
	v_cndmask_b32_e32 v11, v11, v12, vcc_lo
	v_sqrt_f32_e32 v12, v11
	s_waitcnt_depctr 0xfff
	v_add_nc_u32_e32 v15, -1, v12
	v_add_nc_u32_e32 v16, 1, v12
	s_delay_alu instid0(VALU_DEP_2) | instskip(NEXT) | instid1(VALU_DEP_2)
	v_fma_f32 v28, -v15, v12, v11
	v_fma_f32 v30, -v16, v12, v11
	s_delay_alu instid0(VALU_DEP_2) | instskip(NEXT) | instid1(VALU_DEP_1)
	v_cmp_ge_f32_e64 s9, 0, v28
                                        ; implicit-def: $vgpr28
	v_cndmask_b32_e64 v12, v12, v15, s9
	s_delay_alu instid0(VALU_DEP_3) | instskip(NEXT) | instid1(VALU_DEP_1)
	v_cmp_lt_f32_e64 s9, 0, v30
	v_cndmask_b32_e64 v12, v12, v16, s9
                                        ; implicit-def: $vgpr16
	s_delay_alu instid0(VALU_DEP_1) | instskip(NEXT) | instid1(VALU_DEP_1)
	v_mul_f32_e32 v15, 0x37800000, v12
	v_cndmask_b32_e32 v12, v12, v15, vcc_lo
	v_cmp_class_f32_e64 vcc_lo, v11, 0x260
	s_delay_alu instid0(VALU_DEP_2)
	v_cndmask_b32_e32 v35, v12, v11, vcc_lo
                                        ; implicit-def: $vgpr12
.LBB50_249:                             ;   in Loop: Header=BB50_4 Depth=1
	s_and_not1_saveexec_b32 s40, s40
	s_cbranch_execz .LBB50_255
; %bb.250:                              ;   in Loop: Header=BB50_4 Depth=1
	s_mov_b32 s42, exec_lo
                                        ; implicit-def: $vgpr35
                                        ; implicit-def: $sgpr41
	v_cmpx_ngt_f32_e64 |v11|, 1.0
	s_xor_b32 s42, exec_lo, s42
	s_cbranch_execz .LBB50_252
; %bb.251:                              ;   in Loop: Header=BB50_4 Depth=1
	v_sub_f32_e64 v11, 1.0, |v11|
	s_mov_b32 s41, -1
	s_delay_alu instid0(VALU_DEP_1) | instskip(NEXT) | instid1(VALU_DEP_1)
	v_mul_f32_e32 v11, v11, v28
	v_mul_f32_e32 v12, 0x4f800000, v11
	v_cmp_gt_f32_e32 vcc_lo, 0xf800000, v11
	s_delay_alu instid0(VALU_DEP_2) | instskip(NEXT) | instid1(VALU_DEP_1)
	v_cndmask_b32_e32 v11, v11, v12, vcc_lo
	v_sqrt_f32_e32 v12, v11
	s_waitcnt_depctr 0xfff
	v_add_nc_u32_e32 v15, -1, v12
	v_add_nc_u32_e32 v16, 1, v12
	s_delay_alu instid0(VALU_DEP_2) | instskip(NEXT) | instid1(VALU_DEP_2)
	v_fma_f32 v28, -v15, v12, v11
	v_fma_f32 v30, -v16, v12, v11
	s_delay_alu instid0(VALU_DEP_2) | instskip(NEXT) | instid1(VALU_DEP_1)
	v_cmp_ge_f32_e64 s9, 0, v28
                                        ; implicit-def: $vgpr28
	v_cndmask_b32_e64 v12, v12, v15, s9
	s_delay_alu instid0(VALU_DEP_3) | instskip(NEXT) | instid1(VALU_DEP_1)
	v_cmp_lt_f32_e64 s9, 0, v30
	v_cndmask_b32_e64 v12, v12, v16, s9
                                        ; implicit-def: $vgpr16
	s_delay_alu instid0(VALU_DEP_1) | instskip(NEXT) | instid1(VALU_DEP_1)
	v_mul_f32_e32 v15, 0x37800000, v12
	v_cndmask_b32_e32 v12, v12, v15, vcc_lo
	v_cmp_class_f32_e64 vcc_lo, v11, 0x260
	s_delay_alu instid0(VALU_DEP_2)
	v_cndmask_b32_e32 v35, v12, v11, vcc_lo
                                        ; implicit-def: $vgpr12
.LBB50_252:                             ;   in Loop: Header=BB50_4 Depth=1
	s_and_not1_saveexec_b32 s42, s42
	s_cbranch_execz .LBB50_254
; %bb.253:                              ;   in Loop: Header=BB50_4 Depth=1
	v_mul_f32_e32 v15, v28, v16
	v_mul_f32_e64 v12, 0x57800000, |v12|
	v_mul_f32_e64 v34, 0x57800000, |v11|
	s_or_b32 s41, s41, exec_lo
	s_delay_alu instid0(VALU_DEP_3) | instskip(SKIP_2) | instid1(VALU_DEP_3)
	v_mul_f32_e32 v16, 0x4f800000, v15
	v_cmp_gt_f32_e32 vcc_lo, 0xf800000, v15
	v_mul_f32_e64 v12, |v11|, v12
	v_cndmask_b32_e32 v15, v15, v16, vcc_lo
	s_delay_alu instid0(VALU_DEP_1) | instskip(SKIP_3) | instid1(VALU_DEP_2)
	v_sqrt_f32_e32 v16, v15
	s_waitcnt_depctr 0xfff
	v_add_nc_u32_e32 v28, -1, v16
	v_add_nc_u32_e32 v30, 1, v16
	v_fma_f32 v31, -v28, v16, v15
	s_delay_alu instid0(VALU_DEP_2) | instskip(NEXT) | instid1(VALU_DEP_2)
	v_fma_f32 v32, -v30, v16, v15
	v_cmp_ge_f32_e64 s9, 0, v31
	s_delay_alu instid0(VALU_DEP_1) | instskip(NEXT) | instid1(VALU_DEP_3)
	v_cndmask_b32_e64 v16, v16, v28, s9
	v_cmp_lt_f32_e64 s9, 0, v32
	s_delay_alu instid0(VALU_DEP_1) | instskip(NEXT) | instid1(VALU_DEP_1)
	v_cndmask_b32_e64 v16, v16, v30, s9
	v_mul_f32_e32 v28, 0x37800000, v16
	s_delay_alu instid0(VALU_DEP_1) | instskip(SKIP_1) | instid1(VALU_DEP_2)
	v_cndmask_b32_e32 v16, v16, v28, vcc_lo
	v_cmp_class_f32_e64 vcc_lo, v15, 0x260
	v_cndmask_b32_e32 v15, v16, v15, vcc_lo
	s_delay_alu instid0(VALU_DEP_1) | instskip(SKIP_1) | instid1(VALU_DEP_2)
	v_div_scale_f32 v16, null, v15, v15, v12
	v_div_scale_f32 v31, vcc_lo, v12, v15, v12
	v_rcp_f32_e32 v28, v16
	s_waitcnt_depctr 0xfff
	v_fma_f32 v30, -v16, v28, 1.0
	s_delay_alu instid0(VALU_DEP_1) | instskip(NEXT) | instid1(VALU_DEP_1)
	v_fmac_f32_e32 v28, v30, v28
	v_mul_f32_e32 v30, v31, v28
	s_delay_alu instid0(VALU_DEP_1) | instskip(NEXT) | instid1(VALU_DEP_1)
	v_fma_f32 v32, -v16, v30, v31
	v_fmac_f32_e32 v30, v32, v28
	s_delay_alu instid0(VALU_DEP_1) | instskip(NEXT) | instid1(VALU_DEP_1)
	v_fma_f32 v16, -v16, v30, v31
	v_div_fmas_f32 v16, v16, v28, v30
	s_delay_alu instid0(VALU_DEP_1)
	v_div_fixup_f32 v35, v16, v15, v12
.LBB50_254:                             ;   in Loop: Header=BB50_4 Depth=1
	s_or_b32 exec_lo, exec_lo, s42
	s_delay_alu instid0(SALU_CYCLE_1) | instskip(SKIP_1) | instid1(SALU_CYCLE_1)
	s_and_not1_b32 s9, s39, exec_lo
	s_and_b32 s39, s41, exec_lo
	s_or_b32 s39, s9, s39
.LBB50_255:                             ;   in Loop: Header=BB50_4 Depth=1
	s_or_b32 exec_lo, exec_lo, s40
	s_delay_alu instid0(SALU_CYCLE_1)
	s_and_b32 s39, s39, exec_lo
                                        ; implicit-def: $vgpr12
                                        ; implicit-def: $vgpr15
.LBB50_256:                             ;   in Loop: Header=BB50_4 Depth=1
	s_and_not1_saveexec_b32 s40, s10
	s_cbranch_execz .LBB50_258
; %bb.257:                              ;   in Loop: Header=BB50_4 Depth=1
	v_add_f32_e32 v11, 1.0, v15
	v_mul_f32_e64 v15, 0x4f800000, |v12|
	v_cmp_gt_f32_e64 vcc_lo, 0xf800000, |v12|
	s_or_b32 s39, s39, exec_lo
	s_delay_alu instid0(VALU_DEP_3) | instskip(NEXT) | instid1(VALU_DEP_2)
	v_mul_f32_e32 v11, 0.5, v11
	v_cndmask_b32_e64 v12, |v12|, v15, vcc_lo
	s_delay_alu instid0(VALU_DEP_2) | instskip(SKIP_1) | instid1(VALU_DEP_3)
	v_mul_f32_e32 v16, 0x4f800000, v11
	v_cmp_gt_f32_e64 s9, 0xf800000, v11
	v_sqrt_f32_e32 v15, v12
	s_delay_alu instid0(VALU_DEP_1) | instskip(NEXT) | instid1(VALU_DEP_1)
	v_cndmask_b32_e64 v11, v11, v16, s9
	v_sqrt_f32_e32 v16, v11
	s_waitcnt_depctr 0xfff
	v_add_nc_u32_e32 v28, -1, v15
	v_add_nc_u32_e32 v31, 1, v15
	s_delay_alu instid0(VALU_DEP_2) | instskip(NEXT) | instid1(VALU_DEP_2)
	v_fma_f32 v32, -v28, v15, v12
	v_fma_f32 v36, -v31, v15, v12
	v_add_nc_u32_e32 v30, -1, v16
	s_delay_alu instid0(VALU_DEP_3) | instskip(SKIP_1) | instid1(VALU_DEP_3)
	v_cmp_ge_f32_e64 s10, 0, v32
	v_add_nc_u32_e32 v34, 1, v16
	v_fma_f32 v35, -v30, v16, v11
	s_delay_alu instid0(VALU_DEP_3) | instskip(NEXT) | instid1(VALU_DEP_3)
	v_cndmask_b32_e64 v15, v15, v28, s10
	v_fma_f32 v28, -v34, v16, v11
	s_delay_alu instid0(VALU_DEP_3) | instskip(NEXT) | instid1(VALU_DEP_1)
	v_cmp_ge_f32_e64 s10, 0, v35
	v_cndmask_b32_e64 v16, v16, v30, s10
	v_cmp_lt_f32_e64 s10, 0, v36
	s_delay_alu instid0(VALU_DEP_1) | instskip(SKIP_1) | instid1(VALU_DEP_2)
	v_cndmask_b32_e64 v15, v15, v31, s10
	v_cmp_lt_f32_e64 s10, 0, v28
	v_mul_f32_e32 v28, 0x37800000, v15
	s_delay_alu instid0(VALU_DEP_2) | instskip(NEXT) | instid1(VALU_DEP_2)
	v_cndmask_b32_e64 v16, v16, v34, s10
	v_dual_mov_b32 v34, 1.0 :: v_dual_cndmask_b32 v15, v15, v28
	s_delay_alu instid0(VALU_DEP_2) | instskip(SKIP_1) | instid1(VALU_DEP_2)
	v_mul_f32_e32 v30, 0x37800000, v16
	v_cmp_class_f32_e64 vcc_lo, v12, 0x260
	v_cndmask_b32_e64 v16, v16, v30, s9
	s_delay_alu instid0(VALU_DEP_4) | instskip(SKIP_1) | instid1(VALU_DEP_3)
	v_cndmask_b32_e32 v12, v15, v12, vcc_lo
	v_cmp_class_f32_e64 vcc_lo, v11, 0x260
	v_cndmask_b32_e32 v11, v16, v11, vcc_lo
	s_delay_alu instid0(VALU_DEP_1)
	v_mul_f32_e32 v35, v12, v11
.LBB50_258:                             ;   in Loop: Header=BB50_4 Depth=1
	s_or_b32 exec_lo, exec_lo, s40
	s_delay_alu instid0(SALU_CYCLE_1)
	s_and_b32 s9, s39, exec_lo
.LBB50_259:                             ;   in Loop: Header=BB50_4 Depth=1
	s_or_b32 exec_lo, exec_lo, s38
	s_delay_alu instid0(SALU_CYCLE_1)
	s_and_b32 s9, s9, exec_lo
                                        ; implicit-def: $vgpr15
                                        ; implicit-def: $vgpr11
.LBB50_260:                             ;   in Loop: Header=BB50_4 Depth=1
	s_and_not1_saveexec_b32 s10, s37
; %bb.261:                              ;   in Loop: Header=BB50_4 Depth=1
	v_mul_f32_e32 v35, 0x4b800000, v15
	v_mul_f32_e64 v34, 0x4b800000, |v11|
	s_or_b32 s9, s9, exec_lo
                                        ; implicit-def: $vgpr33
; %bb.262:                              ;   in Loop: Header=BB50_4 Depth=1
	s_or_b32 exec_lo, exec_lo, s10
	s_xor_b32 s9, s9, -1
                                        ; implicit-def: $vgpr15
	s_delay_alu instid0(SALU_CYCLE_1) | instskip(NEXT) | instid1(SALU_CYCLE_1)
	s_and_saveexec_b32 s10, s9
	s_xor_b32 s10, exec_lo, s10
	s_cbranch_execz .LBB50_268
; %bb.263:                              ;   in Loop: Header=BB50_4 Depth=1
	v_fma_f32 v12, |v33|, -0.5, 0.5
	v_mul_f32_e32 v11, v33, v33
                                        ; implicit-def: $vgpr15
	s_and_saveexec_b32 s9, s8
	s_delay_alu instid0(SALU_CYCLE_1)
	s_xor_b32 s9, exec_lo, s9
	s_cbranch_execz .LBB50_265
; %bb.264:                              ;   in Loop: Header=BB50_4 Depth=1
	v_cmp_gt_f32_e64 vcc_lo, |v33|, 0.5
	v_cndmask_b32_e32 v11, v11, v12, vcc_lo
	s_delay_alu instid0(VALU_DEP_1) | instskip(SKIP_1) | instid1(VALU_DEP_1)
	v_fmaak_f32 v12, s30, v11, 0x3c5fc5da
	v_sqrt_f32_e32 v15, v11
	v_fmaak_f32 v12, v11, v12, 0x3d034c3c
	s_delay_alu instid0(VALU_DEP_1) | instskip(NEXT) | instid1(VALU_DEP_1)
	v_fmaak_f32 v12, v11, v12, 0x3d3641b1
	v_fmaak_f32 v12, v11, v12, 0x3d999bc8
	s_delay_alu instid0(VALU_DEP_1) | instskip(NEXT) | instid1(VALU_DEP_1)
	v_fmaak_f32 v12, v11, v12, 0x3e2aaaac
	v_mul_f32_e32 v11, v11, v12
	s_delay_alu instid0(VALU_DEP_1)
	v_fmac_f32_e32 v33, v33, v11
	s_delay_alu instid0(TRANS32_DEP_1) | instid1(VALU_DEP_1)
	v_dual_fmac_f32 v15, v15, v11 :: v_dual_sub_f32 v12, 0x3fc90fdb, v33
	s_delay_alu instid0(VALU_DEP_1) | instskip(NEXT) | instid1(VALU_DEP_1)
	v_add_f32_e32 v11, v15, v15
                                        ; implicit-def: $vgpr33
	v_cndmask_b32_e32 v15, v12, v11, vcc_lo
                                        ; implicit-def: $vgpr11
                                        ; implicit-def: $vgpr12
.LBB50_265:                             ;   in Loop: Header=BB50_4 Depth=1
	s_and_not1_saveexec_b32 s37, s9
	s_cbranch_execz .LBB50_267
; %bb.266:                              ;   in Loop: Header=BB50_4 Depth=1
	v_cmp_gt_f32_e64 vcc_lo, |v33|, 0.5
	v_cmp_lt_f32_e64 s9, 0, v33
	v_cndmask_b32_e32 v11, v11, v12, vcc_lo
	s_delay_alu instid0(VALU_DEP_1) | instskip(SKIP_1) | instid1(VALU_DEP_1)
	v_fmaak_f32 v12, s30, v11, 0x3c5fc5da
	v_sqrt_f32_e32 v15, v11
	v_fmaak_f32 v12, v11, v12, 0x3d034c3c
	s_delay_alu instid0(VALU_DEP_1) | instskip(NEXT) | instid1(VALU_DEP_1)
	v_fmaak_f32 v12, v11, v12, 0x3d3641b1
	v_fmaak_f32 v12, v11, v12, 0x3d999bc8
	s_delay_alu instid0(VALU_DEP_1) | instskip(NEXT) | instid1(VALU_DEP_1)
	v_fmaak_f32 v12, v11, v12, 0x3e2aaaac
	v_mul_f32_e32 v11, v11, v12
	s_waitcnt_depctr 0xfff
	v_fmac_f32_e32 v15, v15, v11
	v_fma_f32 v11, -v33, v11, -v33
	s_delay_alu instid0(VALU_DEP_2) | instskip(NEXT) | instid1(VALU_DEP_2)
	v_add_f32_e32 v12, v15, v15
	v_sub_f32_e32 v11, 0x3fc90fdb, v11
	s_delay_alu instid0(VALU_DEP_2) | instskip(NEXT) | instid1(VALU_DEP_1)
	v_sub_f32_e32 v15, 0x40490fdb, v12
	v_cndmask_b32_e64 v12, v12, v15, s9
	s_delay_alu instid0(VALU_DEP_1)
	v_cndmask_b32_e32 v15, v11, v12, vcc_lo
.LBB50_267:                             ;   in Loop: Header=BB50_4 Depth=1
	s_or_b32 exec_lo, exec_lo, s37
                                        ; implicit-def: $vgpr34
                                        ; implicit-def: $vgpr35
.LBB50_268:                             ;   in Loop: Header=BB50_4 Depth=1
	s_and_not1_saveexec_b32 s10, s10
	s_cbranch_execz .LBB50_274
; %bb.269:                              ;   in Loop: Header=BB50_4 Depth=1
	v_max_f32_e64 v12, |v35|, |v35|
	v_max_f32_e32 v15, v34, v34
	v_cmp_class_f32_e64 s37, v35, 0x204
	s_delay_alu instid0(VALU_DEP_2) | instskip(SKIP_2) | instid1(SALU_CYCLE_1)
	v_min_f32_e32 v11, v15, v12
	v_max_f32_e32 v12, v15, v12
                                        ; implicit-def: $vgpr15
	s_and_saveexec_b32 s9, s8
	s_xor_b32 s9, exec_lo, s9
	s_cbranch_execz .LBB50_271
; %bb.270:                              ;   in Loop: Header=BB50_4 Depth=1
	s_delay_alu instid0(VALU_DEP_1)
	v_frexp_mant_f32_e32 v15, v12
	v_frexp_exp_i32_f32_e32 v12, v12
	v_frexp_mant_f32_e32 v16, v11
	v_frexp_exp_i32_f32_e32 v11, v11
	v_cmp_gt_f32_e64 vcc_lo, |v35|, v34
	v_rcp_f32_e32 v15, v15
	v_cmp_neq_f32_e64 s8, 0, v35
	s_delay_alu instid0(VALU_DEP_3) | instskip(SKIP_2) | instid1(VALU_DEP_1)
	v_sub_nc_u32_e32 v11, v11, v12
	s_waitcnt_depctr 0xfff
	v_mul_f32_e32 v15, v16, v15
	v_ldexp_f32 v11, v15, v11
	s_delay_alu instid0(VALU_DEP_1) | instskip(NEXT) | instid1(VALU_DEP_1)
	v_mul_f32_e32 v12, v11, v11
	v_fmaak_f32 v15, s31, v12, 0xbc7a590c
	s_delay_alu instid0(VALU_DEP_1) | instskip(NEXT) | instid1(VALU_DEP_1)
	v_fmaak_f32 v15, v12, v15, 0x3d29fb3f
	v_fmaak_f32 v15, v12, v15, 0xbd97d4d7
	s_delay_alu instid0(VALU_DEP_1) | instskip(NEXT) | instid1(VALU_DEP_1)
	v_fmaak_f32 v15, v12, v15, 0x3dd931b2
	;; [unrolled: 3-line block ×3, first 2 shown]
	v_fmaak_f32 v15, v12, v15, 0xbeaaaa62
	s_delay_alu instid0(VALU_DEP_1) | instskip(NEXT) | instid1(VALU_DEP_1)
	v_mul_f32_e32 v12, v12, v15
	v_fmac_f32_e32 v11, v11, v12
	s_delay_alu instid0(VALU_DEP_1) | instskip(NEXT) | instid1(VALU_DEP_1)
	v_sub_f32_e32 v12, 0x3fc90fdb, v11
	v_cndmask_b32_e32 v11, v11, v12, vcc_lo
	v_cmp_eq_f32_e32 vcc_lo, 0x7f800000, v34
                                        ; implicit-def: $vgpr12
	s_delay_alu instid0(VALU_DEP_2) | instskip(SKIP_2) | instid1(VALU_DEP_2)
	v_cndmask_b32_e64 v11, 0, v11, s8
	s_and_b32 s8, vcc_lo, s37
	v_cmp_o_f32_e32 vcc_lo, v34, v35
                                        ; implicit-def: $vgpr34
	v_cndmask_b32_e64 v11, v11, 0x3f490fdb, s8
	s_delay_alu instid0(VALU_DEP_1) | instskip(NEXT) | instid1(VALU_DEP_1)
	v_cndmask_b32_e32 v11, 0x7fc00000, v11, vcc_lo
	v_bfi_b32 v15, 0x7fffffff, v11, v35
                                        ; implicit-def: $vgpr11
                                        ; implicit-def: $vgpr35
.LBB50_271:                             ;   in Loop: Header=BB50_4 Depth=1
	s_and_not1_saveexec_b32 s38, s9
	s_cbranch_execz .LBB50_273
; %bb.272:                              ;   in Loop: Header=BB50_4 Depth=1
	v_frexp_mant_f32_e32 v15, v12
	v_frexp_exp_i32_f32_e32 v12, v12
	v_frexp_exp_i32_f32_e32 v16, v11
	v_frexp_mant_f32_e32 v11, v11
	v_cmp_gt_f32_e64 vcc_lo, |v35|, v34
	v_rcp_f32_e32 v15, v15
	v_cmp_neq_f32_e64 s9, 0, v35
	v_sub_nc_u32_e32 v12, v16, v12
	v_cmp_eq_f32_e64 s8, 0x7f800000, v34
	s_waitcnt_depctr 0xfff
	v_mul_f32_e32 v11, v11, v15
	s_delay_alu instid0(VALU_DEP_1) | instskip(NEXT) | instid1(VALU_DEP_1)
	v_ldexp_f32 v11, v11, v12
	v_mul_f32_e32 v12, v11, v11
	s_delay_alu instid0(VALU_DEP_1) | instskip(NEXT) | instid1(VALU_DEP_1)
	v_fmaak_f32 v15, s31, v12, 0xbc7a590c
	v_fmaak_f32 v15, v12, v15, 0x3d29fb3f
	s_delay_alu instid0(VALU_DEP_1) | instskip(NEXT) | instid1(VALU_DEP_1)
	v_fmaak_f32 v15, v12, v15, 0xbd97d4d7
	v_fmaak_f32 v15, v12, v15, 0x3dd931b2
	;; [unrolled: 3-line block ×3, first 2 shown]
	s_delay_alu instid0(VALU_DEP_1) | instskip(NEXT) | instid1(VALU_DEP_1)
	v_fmaak_f32 v15, v12, v15, 0xbeaaaa62
	v_mul_f32_e32 v12, v12, v15
	s_delay_alu instid0(VALU_DEP_1) | instskip(NEXT) | instid1(VALU_DEP_1)
	v_fmac_f32_e32 v11, v11, v12
	v_sub_f32_e32 v12, 0x3fc90fdb, v11
	s_delay_alu instid0(VALU_DEP_1) | instskip(SKIP_1) | instid1(VALU_DEP_2)
	v_cndmask_b32_e32 v11, v11, v12, vcc_lo
	v_cmp_lt_f32_e32 vcc_lo, 0, v34
	v_sub_f32_e32 v12, 0x40490fdb, v11
	s_delay_alu instid0(VALU_DEP_1) | instskip(SKIP_2) | instid1(VALU_DEP_2)
	v_cndmask_b32_e32 v11, v11, v12, vcc_lo
	v_cndmask_b32_e32 v12, 0x3f490fdb, v27, vcc_lo
	s_and_b32 vcc_lo, s8, s37
	v_cndmask_b32_e64 v11, 0x40490fdb, v11, s9
	s_delay_alu instid0(VALU_DEP_1) | instskip(SKIP_1) | instid1(VALU_DEP_2)
	v_cndmask_b32_e32 v11, v11, v12, vcc_lo
	v_cmp_o_f32_e64 vcc_lo, v35, -v34
	v_cndmask_b32_e32 v11, 0x7fc00000, v11, vcc_lo
	s_delay_alu instid0(VALU_DEP_1)
	v_bfi_b32 v15, 0x7fffffff, v11, v35
.LBB50_273:                             ;   in Loop: Header=BB50_4 Depth=1
	s_or_b32 exec_lo, exec_lo, s38
.LBB50_274:                             ;   in Loop: Header=BB50_4 Depth=1
	s_delay_alu instid0(SALU_CYCLE_1)
	s_or_b32 exec_lo, exec_lo, s10
	v_cndmask_b32_e64 v16, -v29, v29, s6
                                        ; implicit-def: $vgpr11
.LBB50_275:                             ;   in Loop: Header=BB50_4 Depth=1
	s_and_not1_saveexec_b32 s8, s36
	s_cbranch_execz .LBB50_277
; %bb.276:                              ;   in Loop: Header=BB50_4 Depth=1
	s_waitcnt vmcnt(0) lgkmcnt(0)
	v_dual_mov_b32 v15, s16 :: v_dual_mov_b32 v16, s17
	flat_load_b32 v15, v[15:16] glc dlc
	s_waitcnt vmcnt(0)
	v_xor_b32_e32 v16, 0x80000000, v12
	s_waitcnt lgkmcnt(0)
	v_sub_f32_e32 v11, v15, v11
	s_delay_alu instid0(VALU_DEP_1)
	v_add_f32_e32 v15, 0x3fc90fdb, v11
.LBB50_277:                             ;   in Loop: Header=BB50_4 Depth=1
	s_or_b32 exec_lo, exec_lo, s8
                                        ; implicit-def: $vgpr12
.LBB50_278:                             ;   in Loop: Header=BB50_4 Depth=1
	s_and_not1_saveexec_b32 s8, s35
	s_cbranch_execz .LBB50_280
; %bb.279:                              ;   in Loop: Header=BB50_4 Depth=1
	v_xor_b32_e32 v16, 0x80000000, v12
	s_waitcnt vmcnt(0) lgkmcnt(0)
	v_mov_b32_e32 v15, 0
.LBB50_280:                             ;   in Loop: Header=BB50_4 Depth=1
	s_or_b32 exec_lo, exec_lo, s8
                                        ; implicit-def: $vgpr11
                                        ; implicit-def: $vgpr30
                                        ; implicit-def: $vgpr29
                                        ; implicit-def: $vgpr28
.LBB50_281:                             ;   in Loop: Header=BB50_4 Depth=1
	s_and_not1_saveexec_b32 s10, s34
	s_cbranch_execz .LBB50_291
; %bb.282:                              ;   in Loop: Header=BB50_4 Depth=1
	v_cmp_lt_f32_e64 s8, |v11|, |v12|
                                        ; implicit-def: $vgpr16
                                        ; implicit-def: $vgpr15
	s_mov_b32 s9, exec_lo
	s_delay_alu instid0(VALU_DEP_1) | instskip(NEXT) | instid1(VALU_DEP_1)
	v_cndmask_b32_e64 v31, |v11|, |v12|, s8
	v_cmpx_nlt_f32_e32 0x7effffff, v31
	s_xor_b32 s34, exec_lo, s9
	s_cbranch_execz .LBB50_288
; %bb.283:                              ;   in Loop: Header=BB50_4 Depth=1
	v_cndmask_b32_e64 v32, |v12|, |v11|, s8
	v_cmp_nlt_f32_e32 vcc_lo, 0x5e000000, v31
                                        ; implicit-def: $vgpr16
                                        ; implicit-def: $vgpr15
	s_delay_alu instid0(VALU_DEP_2) | instskip(NEXT) | instid1(VALU_DEP_1)
	v_cmp_ngt_f32_e64 s9, 0x20000000, v32
	s_and_b32 s9, vcc_lo, s9
	s_delay_alu instid0(SALU_CYCLE_1) | instskip(NEXT) | instid1(SALU_CYCLE_1)
	s_and_saveexec_b32 s35, s9
	s_xor_b32 s35, exec_lo, s35
	s_cbranch_execz .LBB50_285
; %bb.284:                              ;   in Loop: Header=BB50_4 Depth=1
	s_waitcnt vmcnt(0) lgkmcnt(0)
	v_frexp_mant_f32_e32 v15, v28
	v_dual_min_f32 v16, v30, v29 :: v_dual_mul_f32 v29, v32, v32
	v_frexp_exp_i32_f32_e32 v28, v28
	s_delay_alu instid0(VALU_DEP_3) | instskip(NEXT) | instid1(VALU_DEP_2)
	v_rcp_f32_e32 v15, v15
	v_frexp_mant_f32_e32 v30, v16
	s_delay_alu instid0(VALU_DEP_3) | instskip(SKIP_1) | instid1(VALU_DEP_2)
	v_fmac_f32_e32 v29, v31, v31
	v_frexp_exp_i32_f32_e32 v16, v16
	v_cmp_gt_f32_e32 vcc_lo, 0x800000, v29
	s_delay_alu instid0(VALU_DEP_2) | instskip(SKIP_1) | instid1(TRANS32_DEP_1)
	v_sub_nc_u32_e32 v16, v16, v28
	v_cndmask_b32_e64 v28, 1.0, 0x4f800000, vcc_lo
	v_mul_f32_e32 v15, v30, v15
	s_delay_alu instid0(VALU_DEP_1) | instskip(NEXT) | instid1(VALU_DEP_3)
	v_ldexp_f32 v15, v15, v16
	v_mul_f32_e32 v16, v29, v28
	s_delay_alu instid0(VALU_DEP_1) | instskip(SKIP_3) | instid1(VALU_DEP_2)
	v_log_f32_e32 v16, v16
	s_waitcnt_depctr 0xfff
	v_mul_f32_e32 v30, 0x3f317217, v16
	v_cmp_gt_f32_e64 s9, 0x7f800000, |v16|
	v_fma_f32 v31, 0x3f317217, v16, -v30
	s_delay_alu instid0(VALU_DEP_1) | instskip(NEXT) | instid1(VALU_DEP_1)
	v_dual_mul_f32 v28, v15, v15 :: v_dual_fmac_f32 v31, 0x3377d1cf, v16
	v_dual_fmaak_f32 v29, s31, v28, 0xbc7a590c :: v_dual_add_f32 v30, v30, v31
	s_delay_alu instid0(VALU_DEP_1) | instskip(SKIP_1) | instid1(VALU_DEP_1)
	v_cndmask_b32_e64 v16, v16, v30, s9
	v_cndmask_b32_e64 v30, 0, 0x41b17218, vcc_lo
	v_sub_f32_e32 v16, v16, v30
	s_delay_alu instid0(VALU_DEP_4) | instskip(NEXT) | instid1(VALU_DEP_1)
	v_fmaak_f32 v29, v28, v29, 0x3d29fb3f
                                        ; implicit-def: $vgpr30
	v_dual_mul_f32 v16, 0.5, v16 :: v_dual_fmaak_f32 v29, v28, v29, 0xbd97d4d7
	s_delay_alu instid0(VALU_DEP_1) | instskip(NEXT) | instid1(VALU_DEP_1)
	v_fmaak_f32 v29, v28, v29, 0x3dd931b2
	v_fmaak_f32 v29, v28, v29, 0xbe1160e6
	s_delay_alu instid0(VALU_DEP_1) | instskip(NEXT) | instid1(VALU_DEP_1)
	v_fmaak_f32 v29, v28, v29, 0x3e4cb8bf
	v_fmaak_f32 v29, v28, v29, 0xbeaaaa62
	s_delay_alu instid0(VALU_DEP_1) | instskip(NEXT) | instid1(VALU_DEP_1)
	v_mul_f32_e32 v28, v28, v29
                                        ; implicit-def: $vgpr29
	v_fmac_f32_e32 v15, v15, v28
                                        ; implicit-def: $vgpr28
.LBB50_285:                             ;   in Loop: Header=BB50_4 Depth=1
	s_and_not1_saveexec_b32 s9, s35
	s_cbranch_execz .LBB50_287
; %bb.286:                              ;   in Loop: Header=BB50_4 Depth=1
	s_waitcnt vmcnt(0) lgkmcnt(0)
	v_cvt_f64_f32_e32 v[15:16], v28
	v_min_f32_e32 v29, v30, v29
	v_cmp_neq_f32_e32 vcc_lo, 0x7f800000, v28
	v_frexp_exp_i32_f32_e32 v30, v28
	s_delay_alu instid0(VALU_DEP_3) | instskip(SKIP_1) | instid1(VALU_DEP_2)
	v_frexp_exp_i32_f32_e32 v32, v29
	v_frexp_mant_f32_e32 v29, v29
	v_sub_nc_u32_e32 v30, v32, v30
	v_frexp_exp_i32_f64_e32 v15, v[15:16]
	s_delay_alu instid0(VALU_DEP_1) | instskip(NEXT) | instid1(VALU_DEP_1)
	v_sub_nc_u32_e32 v16, 0, v15
	v_ldexp_f32 v31, |v12|, v16
	v_ldexp_f32 v16, |v11|, v16
	s_delay_alu instid0(VALU_DEP_2) | instskip(NEXT) | instid1(VALU_DEP_1)
	v_mul_f32_e32 v31, v31, v31
	v_fmac_f32_e32 v31, v16, v16
	v_frexp_mant_f32_e32 v16, v28
	s_delay_alu instid0(VALU_DEP_2) | instskip(NEXT) | instid1(VALU_DEP_1)
	v_sqrt_f32_e32 v31, v31
	v_rcp_f32_e32 v16, v16
	s_waitcnt_depctr 0xfff
	v_ldexp_f32 v15, v31, v15
	v_mul_f32_e32 v16, v29, v16
	s_delay_alu instid0(VALU_DEP_2) | instskip(NEXT) | instid1(VALU_DEP_2)
	v_cndmask_b32_e32 v28, 0x7f800000, v15, vcc_lo
	v_ldexp_f32 v15, v16, v30
	s_delay_alu instid0(VALU_DEP_2) | instskip(SKIP_1) | instid1(VALU_DEP_1)
	v_cmp_gt_f32_e32 vcc_lo, 0x800000, v28
	v_cndmask_b32_e64 v16, 1.0, 0x4f800000, vcc_lo
	v_mul_f32_e32 v16, v28, v16
	s_delay_alu instid0(VALU_DEP_1) | instskip(SKIP_2) | instid1(VALU_DEP_1)
	v_log_f32_e32 v16, v16
	s_waitcnt_depctr 0xfff
	v_dual_mul_f32 v29, v15, v15 :: v_dual_mul_f32 v30, 0x3f317217, v16
	v_fmaak_f32 v28, s31, v29, 0xbc7a590c
	s_delay_alu instid0(VALU_DEP_2) | instskip(NEXT) | instid1(VALU_DEP_2)
	v_fma_f32 v31, 0x3f317217, v16, -v30
	v_fmaak_f32 v28, v29, v28, 0x3d29fb3f
	s_delay_alu instid0(VALU_DEP_2) | instskip(NEXT) | instid1(VALU_DEP_2)
	v_fmac_f32_e32 v31, 0x3377d1cf, v16
	v_fmaak_f32 v28, v29, v28, 0xbd97d4d7
	s_delay_alu instid0(VALU_DEP_1) | instskip(NEXT) | instid1(VALU_DEP_1)
	v_fmaak_f32 v28, v29, v28, 0x3dd931b2
	v_fmaak_f32 v28, v29, v28, 0xbe1160e6
	s_delay_alu instid0(VALU_DEP_1) | instskip(NEXT) | instid1(VALU_DEP_1)
	v_fmaak_f32 v28, v29, v28, 0x3e4cb8bf
	v_fmaak_f32 v28, v29, v28, 0xbeaaaa62
	s_delay_alu instid0(VALU_DEP_1) | instskip(SKIP_3) | instid1(VALU_DEP_3)
	v_mul_f32_e32 v28, v29, v28
	v_add_f32_e32 v30, v30, v31
	v_cndmask_b32_e64 v31, 0, 0x41b17218, vcc_lo
	v_cmp_gt_f32_e64 vcc_lo, 0x7f800000, |v16|
	v_dual_fmac_f32 v15, v15, v28 :: v_dual_cndmask_b32 v16, v16, v30
	s_delay_alu instid0(VALU_DEP_1)
	v_sub_f32_e32 v16, v16, v31
.LBB50_287:                             ;   in Loop: Header=BB50_4 Depth=1
	s_or_b32 exec_lo, exec_lo, s9
                                        ; implicit-def: $vgpr30
                                        ; implicit-def: $vgpr29
                                        ; implicit-def: $vgpr28
.LBB50_288:                             ;   in Loop: Header=BB50_4 Depth=1
	s_and_not1_saveexec_b32 s34, s34
	s_cbranch_execz .LBB50_290
; %bb.289:                              ;   in Loop: Header=BB50_4 Depth=1
	s_waitcnt vmcnt(0) lgkmcnt(0)
	v_div_scale_f32 v15, null, 0x402df854, 0x402df854, v11
	v_div_scale_f32 v16, null, 0x402df854, 0x402df854, v12
	v_div_scale_f32 v35, vcc_lo, v11, 0x402df854, v11
	s_delay_alu instid0(VALU_DEP_3) | instskip(NEXT) | instid1(VALU_DEP_2)
	v_rcp_f32_e32 v31, v15
	v_rcp_f32_e32 v32, v16
	v_min_f32_e32 v29, v30, v29
	s_waitcnt_depctr 0xfff
	v_fma_f32 v33, -v15, v31, 1.0
	v_fma_f32 v34, -v16, v32, 1.0
	s_delay_alu instid0(VALU_DEP_1) | instskip(SKIP_1) | instid1(VALU_DEP_2)
	v_dual_fmac_f32 v31, v33, v31 :: v_dual_fmac_f32 v32, v34, v32
	v_div_scale_f32 v33, s9, v12, 0x402df854, v12
	v_mul_f32_e32 v34, v35, v31
	s_delay_alu instid0(VALU_DEP_2) | instskip(NEXT) | instid1(VALU_DEP_2)
	v_mul_f32_e32 v36, v33, v32
	v_fma_f32 v37, -v15, v34, v35
	s_delay_alu instid0(VALU_DEP_2) | instskip(NEXT) | instid1(VALU_DEP_2)
	v_fma_f32 v38, -v16, v36, v33
	v_fmac_f32_e32 v34, v37, v31
	s_delay_alu instid0(VALU_DEP_2) | instskip(NEXT) | instid1(VALU_DEP_2)
	v_fmac_f32_e32 v36, v38, v32
	v_fma_f32 v15, -v15, v34, v35
	s_delay_alu instid0(VALU_DEP_2) | instskip(NEXT) | instid1(VALU_DEP_2)
	v_fma_f32 v16, -v16, v36, v33
	v_div_fmas_f32 v15, v15, v31, v34
	s_mov_b32 vcc_lo, s9
	s_delay_alu instid0(VALU_DEP_2) | instskip(NEXT) | instid1(VALU_DEP_2)
	v_div_fmas_f32 v16, v16, v32, v36
	v_div_fixup_f32 v31, v15, 0x402df854, v11
	s_delay_alu instid0(VALU_DEP_2) | instskip(NEXT) | instid1(VALU_DEP_1)
	v_div_fixup_f32 v32, v16, 0x402df854, v12
	v_max_f32_e64 v33, |v31|, |v32|
	s_delay_alu instid0(VALU_DEP_1) | instskip(SKIP_1) | instid1(VALU_DEP_2)
	v_cvt_f64_f32_e32 v[15:16], v33
	v_cmp_neq_f32_e32 vcc_lo, 0x7f800000, v33
	v_frexp_exp_i32_f64_e32 v15, v[15:16]
	s_delay_alu instid0(VALU_DEP_1) | instskip(NEXT) | instid1(VALU_DEP_1)
	v_sub_nc_u32_e32 v16, 0, v15
	v_ldexp_f32 v32, |v32|, v16
	v_ldexp_f32 v16, |v31|, v16
	s_delay_alu instid0(VALU_DEP_2) | instskip(NEXT) | instid1(VALU_DEP_1)
	v_mul_f32_e32 v31, v32, v32
	v_fmac_f32_e32 v31, v16, v16
	s_delay_alu instid0(VALU_DEP_1) | instskip(SKIP_2) | instid1(VALU_DEP_2)
	v_sqrt_f32_e32 v16, v31
	v_frexp_mant_f32_e32 v31, v28
	v_frexp_exp_i32_f32_e32 v28, v28
	v_rcp_f32_e32 v30, v31
	s_waitcnt_depctr 0xfff
	v_ldexp_f32 v15, v16, v15
	v_frexp_exp_i32_f32_e32 v16, v29
	v_frexp_mant_f32_e32 v29, v29
	s_delay_alu instid0(VALU_DEP_3) | instskip(NEXT) | instid1(VALU_DEP_3)
	v_cndmask_b32_e32 v31, 0x7f800000, v15, vcc_lo
	v_sub_nc_u32_e32 v15, v16, v28
	s_delay_alu instid0(VALU_DEP_3) | instskip(NEXT) | instid1(VALU_DEP_3)
	v_mul_f32_e32 v16, v29, v30
	v_cmp_gt_f32_e32 vcc_lo, 0x800000, v31
	s_delay_alu instid0(VALU_DEP_2) | instskip(SKIP_1) | instid1(VALU_DEP_1)
	v_ldexp_f32 v15, v16, v15
	v_cndmask_b32_e64 v28, 1.0, 0x4f800000, vcc_lo
	v_mul_f32_e32 v16, v31, v28
	s_delay_alu instid0(VALU_DEP_3) | instskip(NEXT) | instid1(VALU_DEP_1)
	v_mul_f32_e32 v28, v15, v15
	v_fmaak_f32 v29, s31, v28, 0xbc7a590c
	s_delay_alu instid0(VALU_DEP_1) | instskip(NEXT) | instid1(VALU_DEP_4)
	v_fmaak_f32 v29, v28, v29, 0x3d29fb3f
	v_log_f32_e32 v16, v16
	s_waitcnt_depctr 0xfff
	v_mul_f32_e32 v30, 0x3f317217, v16
	s_delay_alu instid0(VALU_DEP_1) | instskip(NEXT) | instid1(VALU_DEP_1)
	v_fma_f32 v31, 0x3f317217, v16, -v30
	v_fmac_f32_e32 v31, 0x3377d1cf, v16
	s_delay_alu instid0(VALU_DEP_1) | instskip(SKIP_2) | instid1(VALU_DEP_3)
	v_dual_fmaak_f32 v29, v28, v29, 0xbd97d4d7 :: v_dual_add_f32 v30, v30, v31
	v_cndmask_b32_e64 v31, 0, 0x41b17218, vcc_lo
	v_cmp_gt_f32_e64 vcc_lo, 0x7f800000, |v16|
	v_cndmask_b32_e32 v16, v16, v30, vcc_lo
	s_delay_alu instid0(VALU_DEP_1) | instskip(NEXT) | instid1(VALU_DEP_1)
	v_sub_f32_e32 v16, v16, v31
	v_dual_fmaak_f32 v29, v28, v29, 0x3dd931b2 :: v_dual_add_f32 v16, 1.0, v16
	s_delay_alu instid0(VALU_DEP_1) | instskip(NEXT) | instid1(VALU_DEP_1)
	v_fmaak_f32 v29, v28, v29, 0xbe1160e6
	v_fmaak_f32 v29, v28, v29, 0x3e4cb8bf
	s_delay_alu instid0(VALU_DEP_1) | instskip(NEXT) | instid1(VALU_DEP_1)
	v_fmaak_f32 v29, v28, v29, 0xbeaaaa62
	v_mul_f32_e32 v28, v28, v29
	s_delay_alu instid0(VALU_DEP_1)
	v_fmac_f32_e32 v15, v15, v28
.LBB50_290:                             ;   in Loop: Header=BB50_4 Depth=1
	s_or_b32 exec_lo, exec_lo, s34
	v_cndmask_b32_e64 v29, 0, 0x40490fdb, s7
	s_waitcnt vmcnt(0) lgkmcnt(0)
	s_delay_alu instid0(VALU_DEP_2) | instskip(SKIP_3) | instid1(VALU_DEP_4)
	v_sub_f32_e32 v28, 0x3fc90fdb, v15
	v_cmp_gt_f32_e32 vcc_lo, 0, v11
	v_cmp_class_f32_e64 s7, v11, 0x204
	v_add_f32_e32 v16, 0x3f317218, v16
	v_cndmask_b32_e64 v15, v15, v28, s8
	v_cmp_class_f32_e64 s8, v12, 0x204
	s_delay_alu instid0(VALU_DEP_3) | instskip(NEXT) | instid1(VALU_DEP_3)
	v_cndmask_b32_e64 v16, -v16, v16, s6
	v_sub_f32_e32 v28, 0x40490fdb, v15
	s_delay_alu instid0(VALU_DEP_1) | instskip(SKIP_2) | instid1(VALU_DEP_3)
	v_cndmask_b32_e32 v15, v15, v28, vcc_lo
	v_cndmask_b32_e32 v28, 0x3f490fdb, v27, vcc_lo
	v_cmp_eq_f32_e32 vcc_lo, 0, v12
	v_cndmask_b32_e32 v15, v15, v29, vcc_lo
	s_and_b32 vcc_lo, s8, s7
	s_delay_alu instid0(VALU_DEP_1) | instskip(SKIP_1) | instid1(VALU_DEP_2)
	v_cndmask_b32_e32 v15, v15, v28, vcc_lo
	v_cmp_o_f32_e32 vcc_lo, v11, v12
	v_cndmask_b32_e64 v15, 0x7fc00000, |v15|, vcc_lo
.LBB50_291:                             ;   in Loop: Header=BB50_4 Depth=1
	s_or_b32 exec_lo, exec_lo, s10
                                        ; implicit-def: $vgpr12
.LBB50_292:                             ;   in Loop: Header=BB50_4 Depth=1
	s_and_not1_saveexec_b32 s6, s33
	s_cbranch_execz .LBB50_306
; %bb.293:                              ;   in Loop: Header=BB50_4 Depth=1
	v_cmp_neq_f32_e64 s7, 0x7f800000, |v11|
                                        ; implicit-def: $vgpr16
	s_delay_alu instid0(VALU_DEP_1) | instskip(NEXT) | instid1(SALU_CYCLE_1)
	s_and_saveexec_b32 s8, s7
	s_xor_b32 s7, exec_lo, s8
	s_cbranch_execz .LBB50_303
; %bb.294:                              ;   in Loop: Header=BB50_4 Depth=1
	v_cmp_neq_f32_e64 s8, 0x7f800000, |v12|
                                        ; implicit-def: $vgpr16
	s_delay_alu instid0(VALU_DEP_1) | instskip(NEXT) | instid1(SALU_CYCLE_1)
	s_and_saveexec_b32 s9, s8
	s_xor_b32 s8, exec_lo, s9
	s_cbranch_execz .LBB50_300
; %bb.295:                              ;   in Loop: Header=BB50_4 Depth=1
	s_mov_b32 s9, exec_lo
                                        ; implicit-def: $vgpr16
	v_cmpx_neq_f32_e32 0, v11
	s_xor_b32 s9, exec_lo, s9
; %bb.296:                              ;   in Loop: Header=BB50_4 Depth=1
	v_add_f32_e32 v12, 0, v12
	s_delay_alu instid0(VALU_DEP_1)
	v_add_f32_e32 v16, v12, v11
                                        ; implicit-def: $vgpr12
; %bb.297:                              ;   in Loop: Header=BB50_4 Depth=1
	s_or_saveexec_b32 s9, s9
	s_waitcnt vmcnt(0) lgkmcnt(0)
	s_delay_alu instid0(VALU_DEP_1)
	v_mov_b32_e32 v15, v16
	s_xor_b32 exec_lo, exec_lo, s9
	s_cbranch_execz .LBB50_299
; %bb.298:                              ;   in Loop: Header=BB50_4 Depth=1
	v_dual_mov_b32 v15, s16 :: v_dual_mov_b32 v16, s17
	flat_load_b32 v11, v[15:16] glc dlc
	s_waitcnt vmcnt(0) lgkmcnt(0)
	v_dual_add_f32 v16, v12, v12 :: v_dual_add_f32 v15, 0x3fc90fdb, v11
.LBB50_299:                             ;   in Loop: Header=BB50_4 Depth=1
	s_or_b32 exec_lo, exec_lo, s9
                                        ; implicit-def: $vgpr11
.LBB50_300:                             ;   in Loop: Header=BB50_4 Depth=1
	s_and_not1_saveexec_b32 s8, s8
	s_cbranch_execz .LBB50_302
; %bb.301:                              ;   in Loop: Header=BB50_4 Depth=1
	s_waitcnt vmcnt(0) lgkmcnt(0)
	v_add_f32_e32 v15, v11, v11
	v_xor_b32_e32 v16, 0x80000000, v12
.LBB50_302:                             ;   in Loop: Header=BB50_4 Depth=1
	s_or_b32 exec_lo, exec_lo, s8
                                        ; implicit-def: $vgpr12
.LBB50_303:                             ;   in Loop: Header=BB50_4 Depth=1
	s_and_not1_saveexec_b32 s7, s7
	s_cbranch_execz .LBB50_305
; %bb.304:                              ;   in Loop: Header=BB50_4 Depth=1
	s_waitcnt vmcnt(0) lgkmcnt(0)
	v_dual_add_f32 v15, v12, v12 :: v_dual_mov_b32 v16, 0xff800000
.LBB50_305:                             ;   in Loop: Header=BB50_4 Depth=1
	s_or_b32 exec_lo, exec_lo, s7
.LBB50_306:                             ;   in Loop: Header=BB50_4 Depth=1
	s_delay_alu instid0(SALU_CYCLE_1) | instskip(SKIP_3) | instid1(VALU_DEP_2)
	s_or_b32 exec_lo, exec_lo, s6
	v_cmp_o_f32_e32 vcc_lo, v7, v7
	v_cmp_o_f32_e64 s6, v8, v8
	v_dual_mov_b32 v11, s16 :: v_dual_mov_b32 v12, s17
	s_and_b32 s6, vcc_lo, s6
	flat_store_b32 v[11:12], v25 dlc
	s_waitcnt_vscnt null, 0x0
                                        ; implicit-def: $vgpr12
	s_and_saveexec_b32 s7, s6
	s_delay_alu instid0(SALU_CYCLE_1)
	s_xor_b32 s33, exec_lo, s7
	s_cbranch_execnz .LBB50_312
; %bb.307:                              ;   in Loop: Header=BB50_4 Depth=1
	s_and_not1_saveexec_b32 s6, s33
	s_cbranch_execnz .LBB50_395
.LBB50_308:                             ;   in Loop: Header=BB50_4 Depth=1
	s_or_b32 exec_lo, exec_lo, s6
	s_and_saveexec_b32 s6, s2
	s_delay_alu instid0(SALU_CYCLE_1)
	s_xor_b32 s2, exec_lo, s6
	s_cbranch_execnz .LBB50_408
.LBB50_309:                             ;   in Loop: Header=BB50_4 Depth=1
	s_or_b32 exec_lo, exec_lo, s2
	s_and_saveexec_b32 s2, s3
	s_cbranch_execnz .LBB50_409
.LBB50_310:                             ;   in Loop: Header=BB50_4 Depth=1
	s_or_b32 exec_lo, exec_lo, s2
	s_and_saveexec_b32 s2, s4
	s_cbranch_execnz .LBB50_410
.LBB50_311:                             ;   in Loop: Header=BB50_4 Depth=1
	s_or_b32 exec_lo, exec_lo, s2
	s_and_saveexec_b32 s2, s5
	s_cbranch_execz .LBB50_3
	s_branch .LBB50_411
.LBB50_312:                             ;   in Loop: Header=BB50_4 Depth=1
	v_max_f32_e64 v30, |v7|, |v7|
	v_max_f32_e64 v29, |v8|, |v8|
	v_cmp_gt_i32_e64 s7, 0, v7
	v_cmp_lt_i32_e64 s8, -1, v7
	v_cmp_gt_i32_e64 s6, 0, v8
                                        ; implicit-def: $vgpr12
	s_mov_b32 s9, exec_lo
	v_max_f32_e32 v28, v29, v30
	s_delay_alu instid0(VALU_DEP_1)
	v_cmpx_nlt_f32_e32 0x4b000000, v28
	s_xor_b32 s34, exec_lo, s9
	s_cbranch_execz .LBB50_384
; %bb.313:                              ;   in Loop: Header=BB50_4 Depth=1
	v_cmp_neq_f32_e32 vcc_lo, 1.0, v7
	v_cmp_neq_f32_e64 s9, 0, v8
                                        ; implicit-def: $vgpr12
	s_delay_alu instid0(VALU_DEP_1) | instskip(NEXT) | instid1(SALU_CYCLE_1)
	s_or_b32 s9, s9, vcc_lo
	s_and_saveexec_b32 s10, s9
	s_delay_alu instid0(SALU_CYCLE_1)
	s_xor_b32 s35, exec_lo, s10
	s_cbranch_execz .LBB50_381
; %bb.314:                              ;   in Loop: Header=BB50_4 Depth=1
	v_dual_mov_b32 v11, s18 :: v_dual_mov_b32 v12, s19
	v_cmp_ngt_f32_e64 s9, 0x395db3d7, |v7|
	v_cmp_ngt_f32_e64 s10, 0x395db3d7, |v8|
	flat_store_b32 v[11:12], v26 dlc
	s_waitcnt_vscnt null, 0x0
	flat_load_b32 v11, v[11:12] glc dlc
	s_waitcnt vmcnt(0)
	s_or_b32 s9, s10, s9
	s_waitcnt lgkmcnt(0)
	v_dual_add_f32 v28, 1.0, v11 :: v_dual_mov_b32 v11, s20
	v_mov_b32_e32 v12, s21
	flat_store_b32 v[11:12], v28 dlc
	s_waitcnt_vscnt null, 0x0
	flat_load_b32 v11, v[11:12] glc dlc
	s_waitcnt vmcnt(0)
                                        ; implicit-def: $vgpr12
	s_and_saveexec_b32 s10, s9
	s_delay_alu instid0(SALU_CYCLE_1)
	s_xor_b32 s36, exec_lo, s10
	s_cbranch_execz .LBB50_378
; %bb.315:                              ;   in Loop: Header=BB50_4 Depth=1
	v_add_f32_e64 v28, |v7|, 1.0
	v_add_f32_e64 v12, |v7|, -1.0
	s_mov_b32 s9, exec_lo
	s_waitcnt vmcnt(0) lgkmcnt(0)
	s_delay_alu instid0(VALU_DEP_2) | instskip(NEXT) | instid1(VALU_DEP_2)
	v_max_f32_e64 v11, v29, |v28|
	v_max_f32_e64 v33, v29, |v12|
	s_delay_alu instid0(VALU_DEP_2) | instskip(NEXT) | instid1(VALU_DEP_2)
	v_cvt_f64_f32_e32 v[29:30], v11
	v_cvt_f64_f32_e32 v[31:32], v33
	v_cmp_neq_f32_e32 vcc_lo, 0x7f800000, v11
	s_delay_alu instid0(VALU_DEP_3) | instskip(NEXT) | instid1(VALU_DEP_3)
	v_frexp_exp_i32_f64_e32 v29, v[29:30]
	v_frexp_exp_i32_f64_e32 v30, v[31:32]
	s_delay_alu instid0(VALU_DEP_2) | instskip(NEXT) | instid1(VALU_DEP_2)
	v_sub_nc_u32_e32 v31, 0, v29
	v_sub_nc_u32_e32 v32, 0, v30
	s_delay_alu instid0(VALU_DEP_2) | instskip(NEXT) | instid1(VALU_DEP_2)
	v_ldexp_f32 v34, |v28|, v31
	v_ldexp_f32 v35, |v12|, v32
	v_ldexp_f32 v31, |v8|, v31
	v_ldexp_f32 v32, |v8|, v32
	s_delay_alu instid0(VALU_DEP_3) | instskip(NEXT) | instid1(VALU_DEP_1)
	v_dual_mul_f32 v34, v34, v34 :: v_dual_mul_f32 v35, v35, v35
	v_dual_fmac_f32 v34, v31, v31 :: v_dual_fmac_f32 v35, v32, v32
	s_delay_alu instid0(VALU_DEP_1) | instskip(NEXT) | instid1(VALU_DEP_1)
	v_sqrt_f32_e32 v31, v34
	v_sqrt_f32_e32 v32, v35
	s_waitcnt_depctr 0xfff
	v_ldexp_f32 v29, v31, v29
	v_ldexp_f32 v30, v32, v30
	s_delay_alu instid0(VALU_DEP_2) | instskip(SKIP_1) | instid1(VALU_DEP_3)
	v_cndmask_b32_e32 v32, 0x7f800000, v29, vcc_lo
	v_cmp_neq_f32_e32 vcc_lo, 0x7f800000, v33
                                        ; implicit-def: $vgpr29
	v_cndmask_b32_e32 v30, 0x7f800000, v30, vcc_lo
	s_delay_alu instid0(VALU_DEP_1) | instskip(NEXT) | instid1(VALU_DEP_1)
	v_add_f32_e32 v11, v32, v30
	v_mul_f32_e32 v11, 0.5, v11
	s_delay_alu instid0(VALU_DEP_1) | instskip(SKIP_1) | instid1(VALU_DEP_1)
	v_cmp_ngt_f32_e32 vcc_lo, 1.0, v11
	v_cndmask_b32_e32 v11, 1.0, v11, vcc_lo
	v_cmpx_ngt_f32_e32 0x41200000, v11
	s_xor_b32 s10, exec_lo, s9
	s_cbranch_execz .LBB50_317
; %bb.316:                              ;   in Loop: Header=BB50_4 Depth=1
	v_fma_f32 v29, v11, v11, -1.0
	s_delay_alu instid0(VALU_DEP_1) | instskip(SKIP_1) | instid1(VALU_DEP_2)
	v_mul_f32_e32 v31, 0x4f800000, v29
	v_cmp_gt_f32_e32 vcc_lo, 0xf800000, v29
	v_cndmask_b32_e32 v29, v29, v31, vcc_lo
	s_delay_alu instid0(VALU_DEP_1) | instskip(SKIP_3) | instid1(VALU_DEP_2)
	v_sqrt_f32_e32 v31, v29
	s_waitcnt_depctr 0xfff
	v_add_nc_u32_e32 v33, -1, v31
	v_add_nc_u32_e32 v34, 1, v31
	v_fma_f32 v35, -v33, v31, v29
	s_delay_alu instid0(VALU_DEP_2) | instskip(NEXT) | instid1(VALU_DEP_2)
	v_fma_f32 v36, -v34, v31, v29
	v_cmp_ge_f32_e64 s9, 0, v35
	s_delay_alu instid0(VALU_DEP_1) | instskip(NEXT) | instid1(VALU_DEP_3)
	v_cndmask_b32_e64 v31, v31, v33, s9
	v_cmp_lt_f32_e64 s9, 0, v36
	s_delay_alu instid0(VALU_DEP_1) | instskip(NEXT) | instid1(VALU_DEP_1)
	v_cndmask_b32_e64 v31, v31, v34, s9
	v_mul_f32_e32 v33, 0x37800000, v31
	s_delay_alu instid0(VALU_DEP_1) | instskip(SKIP_1) | instid1(VALU_DEP_2)
	v_cndmask_b32_e32 v31, v31, v33, vcc_lo
	v_cmp_class_f32_e64 vcc_lo, v29, 0x260
	v_cndmask_b32_e32 v29, v31, v29, vcc_lo
	s_delay_alu instid0(VALU_DEP_1) | instskip(NEXT) | instid1(VALU_DEP_1)
	v_add_f32_e32 v29, v11, v29
	v_cmp_gt_f32_e32 vcc_lo, 0x800000, v29
	s_delay_alu instid0(VALU_DEP_4) | instskip(NEXT) | instid1(VALU_DEP_1)
	v_cndmask_b32_e64 v31, 1.0, 0x4f800000, vcc_lo
	v_mul_f32_e32 v29, v29, v31
	s_delay_alu instid0(VALU_DEP_1) | instskip(SKIP_3) | instid1(VALU_DEP_2)
	v_log_f32_e32 v29, v29
	s_waitcnt_depctr 0xfff
	v_mul_f32_e32 v31, 0x3f317217, v29
	v_cmp_gt_f32_e64 s9, 0x7f800000, |v29|
	v_fma_f32 v33, 0x3f317217, v29, -v31
	s_delay_alu instid0(VALU_DEP_1) | instskip(NEXT) | instid1(VALU_DEP_1)
	v_fmac_f32_e32 v33, 0x3377d1cf, v29
	v_add_f32_e32 v31, v31, v33
	s_delay_alu instid0(VALU_DEP_1) | instskip(SKIP_1) | instid1(VALU_DEP_1)
	v_cndmask_b32_e64 v29, v29, v31, s9
	v_cndmask_b32_e64 v31, 0, 0x41b17218, vcc_lo
	v_sub_f32_e32 v29, v29, v31
.LBB50_317:                             ;   in Loop: Header=BB50_4 Depth=1
	s_or_saveexec_b32 s10, s10
	v_and_b32_e32 v31, 0x7fffffff, v8
	s_xor_b32 exec_lo, exec_lo, s10
	s_cbranch_execz .LBB50_339
; %bb.318:                              ;   in Loop: Header=BB50_4 Depth=1
	v_cmp_neq_f32_e64 s9, |v7|, 1.0
	v_cmp_ngt_f32_e64 s37, 0x25000000, |v8|
                                        ; implicit-def: $vgpr29
	s_delay_alu instid0(VALU_DEP_1) | instskip(NEXT) | instid1(SALU_CYCLE_1)
	s_or_b32 s9, s37, s9
	s_and_saveexec_b32 s37, s9
	s_delay_alu instid0(SALU_CYCLE_1)
	s_xor_b32 s37, exec_lo, s37
	s_cbranch_execz .LBB50_336
; %bb.319:                              ;   in Loop: Header=BB50_4 Depth=1
	v_mul_f32_e64 v29, 0x34000000, |v12|
	s_delay_alu instid0(VALU_DEP_1) | instskip(NEXT) | instid1(VALU_DEP_1)
	v_cmp_le_f32_e64 s9, v29, |v8|
                                        ; implicit-def: $vgpr29
	s_and_saveexec_b32 s38, s9
	s_delay_alu instid0(SALU_CYCLE_1)
	s_xor_b32 s38, exec_lo, s38
	s_cbranch_execz .LBB50_329
; %bb.320:                              ;   in Loop: Header=BB50_4 Depth=1
	v_mov_b32_e32 v29, v31
	s_mov_b32 s9, exec_lo
	v_cmpx_neq_f32_e32 0, v28
	s_cbranch_execz .LBB50_322
; %bb.321:                              ;   in Loop: Header=BB50_4 Depth=1
	v_mul_f32_e32 v29, v8, v8
	v_add_f32_e32 v33, v28, v32
	s_delay_alu instid0(VALU_DEP_1) | instskip(NEXT) | instid1(VALU_DEP_1)
	v_div_scale_f32 v34, null, v33, v33, v29
	v_rcp_f32_e32 v35, v34
	s_waitcnt_depctr 0xfff
	v_fma_f32 v36, -v34, v35, 1.0
	s_delay_alu instid0(VALU_DEP_1) | instskip(SKIP_1) | instid1(VALU_DEP_1)
	v_fmac_f32_e32 v35, v36, v35
	v_div_scale_f32 v36, vcc_lo, v29, v33, v29
	v_mul_f32_e32 v37, v36, v35
	s_delay_alu instid0(VALU_DEP_1) | instskip(NEXT) | instid1(VALU_DEP_1)
	v_fma_f32 v38, -v34, v37, v36
	v_fmac_f32_e32 v37, v38, v35
	s_delay_alu instid0(VALU_DEP_1) | instskip(NEXT) | instid1(VALU_DEP_1)
	v_fma_f32 v34, -v34, v37, v36
	v_div_fmas_f32 v34, v34, v35, v37
	s_delay_alu instid0(VALU_DEP_1)
	v_div_fixup_f32 v29, v34, v33, v29
.LBB50_322:                             ;   in Loop: Header=BB50_4 Depth=1
	s_or_b32 exec_lo, exec_lo, s9
	v_sub_f32_e64 v34, 1.0, |v7|
	s_mov_b32 s9, exec_lo
                                        ; implicit-def: $vgpr33
	s_delay_alu instid0(VALU_DEP_1)
	v_cmpx_ngt_f32_e32 0, v34
	s_xor_b32 s9, exec_lo, s9
	s_cbranch_execz .LBB50_326
; %bb.323:                              ;   in Loop: Header=BB50_4 Depth=1
	v_mov_b32_e32 v33, v31
	s_mov_b32 s39, exec_lo
	v_cmpx_neq_f32_e32 0, v34
	s_cbranch_execz .LBB50_325
; %bb.324:                              ;   in Loop: Header=BB50_4 Depth=1
	v_dual_mul_f32 v33, v8, v8 :: v_dual_add_f32 v34, v34, v30
	s_delay_alu instid0(VALU_DEP_1) | instskip(NEXT) | instid1(VALU_DEP_1)
	v_div_scale_f32 v35, null, v34, v34, v33
	v_rcp_f32_e32 v36, v35
	s_waitcnt_depctr 0xfff
	v_fma_f32 v37, -v35, v36, 1.0
	s_delay_alu instid0(VALU_DEP_1) | instskip(SKIP_1) | instid1(VALU_DEP_1)
	v_fmac_f32_e32 v36, v37, v36
	v_div_scale_f32 v37, vcc_lo, v33, v34, v33
	v_mul_f32_e32 v38, v37, v36
	s_delay_alu instid0(VALU_DEP_1) | instskip(NEXT) | instid1(VALU_DEP_1)
	v_fma_f32 v39, -v35, v38, v37
	v_fmac_f32_e32 v38, v39, v36
	s_delay_alu instid0(VALU_DEP_1) | instskip(NEXT) | instid1(VALU_DEP_1)
	v_fma_f32 v35, -v35, v38, v37
	v_div_fmas_f32 v35, v35, v36, v38
	s_delay_alu instid0(VALU_DEP_1)
	v_div_fixup_f32 v33, v35, v34, v33
.LBB50_325:                             ;   in Loop: Header=BB50_4 Depth=1
	s_or_b32 exec_lo, exec_lo, s39
                                        ; implicit-def: $vgpr34
.LBB50_326:                             ;   in Loop: Header=BB50_4 Depth=1
	s_and_not1_saveexec_b32 s9, s9
; %bb.327:                              ;   in Loop: Header=BB50_4 Depth=1
	v_sub_f32_e32 v33, v30, v34
; %bb.328:                              ;   in Loop: Header=BB50_4 Depth=1
	s_or_b32 exec_lo, exec_lo, s9
	s_delay_alu instid0(VALU_DEP_1) | instskip(NEXT) | instid1(VALU_DEP_1)
	v_dual_mul_f32 v33, 0.5, v33 :: v_dual_add_f32 v34, 1.0, v11
	v_fmac_f32_e32 v33, 0.5, v29
	s_delay_alu instid0(VALU_DEP_1) | instskip(NEXT) | instid1(VALU_DEP_1)
	v_mul_f32_e32 v29, v34, v33
	v_mul_f32_e32 v34, 0x4f800000, v29
	v_cmp_gt_f32_e32 vcc_lo, 0xf800000, v29
	s_delay_alu instid0(VALU_DEP_2) | instskip(NEXT) | instid1(VALU_DEP_1)
	v_cndmask_b32_e32 v29, v29, v34, vcc_lo
	v_sqrt_f32_e32 v34, v29
	s_waitcnt_depctr 0xfff
	v_add_nc_u32_e32 v35, -1, v34
	v_add_nc_u32_e32 v36, 1, v34
	s_delay_alu instid0(VALU_DEP_2) | instskip(NEXT) | instid1(VALU_DEP_2)
	v_fma_f32 v37, -v35, v34, v29
	v_fma_f32 v38, -v36, v34, v29
	s_delay_alu instid0(VALU_DEP_2) | instskip(NEXT) | instid1(VALU_DEP_1)
	v_cmp_ge_f32_e64 s9, 0, v37
	v_cndmask_b32_e64 v34, v34, v35, s9
	s_delay_alu instid0(VALU_DEP_3) | instskip(NEXT) | instid1(VALU_DEP_1)
	v_cmp_lt_f32_e64 s9, 0, v38
	v_cndmask_b32_e64 v34, v34, v36, s9
	s_delay_alu instid0(VALU_DEP_1) | instskip(NEXT) | instid1(VALU_DEP_1)
	v_mul_f32_e32 v35, 0x37800000, v34
	v_cndmask_b32_e32 v34, v34, v35, vcc_lo
	v_cmp_class_f32_e64 vcc_lo, v29, 0x260
	s_delay_alu instid0(VALU_DEP_2) | instskip(NEXT) | instid1(VALU_DEP_1)
	v_cndmask_b32_e32 v29, v34, v29, vcc_lo
	v_add_f32_e32 v29, v33, v29
	s_delay_alu instid0(VALU_DEP_1) | instskip(NEXT) | instid1(VALU_DEP_1)
	v_add_f32_e32 v35, 1.0, v29
	v_cvt_f64_f32_e32 v[33:34], v35
	s_delay_alu instid0(VALU_DEP_1) | instskip(SKIP_1) | instid1(VALU_DEP_1)
	v_frexp_exp_i32_f64_e32 v33, v[33:34]
	v_frexp_mant_f32_e32 v34, v35
	v_cmp_gt_f32_e32 vcc_lo, 0x3f2aaaab, v34
	v_add_f32_e32 v34, -1.0, v35
	s_delay_alu instid0(VALU_DEP_1) | instskip(NEXT) | instid1(VALU_DEP_1)
	v_dual_sub_f32 v37, v34, v35 :: v_dual_sub_f32 v34, v29, v34
	v_add_f32_e32 v37, 1.0, v37
	s_delay_alu instid0(VALU_DEP_1) | instskip(SKIP_1) | instid1(VALU_DEP_1)
	v_add_f32_e32 v34, v34, v37
	v_subrev_co_ci_u32_e32 v33, vcc_lo, 0, v33, vcc_lo
	v_sub_nc_u32_e32 v36, 0, v33
	v_cvt_f32_i32_e32 v33, v33
	s_delay_alu instid0(VALU_DEP_2) | instskip(SKIP_1) | instid1(VALU_DEP_2)
	v_ldexp_f32 v35, v35, v36
	v_ldexp_f32 v34, v34, v36
	v_add_f32_e32 v38, 1.0, v35
	v_add_f32_e32 v36, -1.0, v35
	v_cmp_eq_f32_e32 vcc_lo, 0x7f800000, v29
	s_delay_alu instid0(VALU_DEP_3) | instskip(NEXT) | instid1(VALU_DEP_3)
	v_add_f32_e32 v37, -1.0, v38
	v_add_f32_e32 v39, 1.0, v36
	s_delay_alu instid0(VALU_DEP_2) | instskip(NEXT) | instid1(VALU_DEP_2)
	v_sub_f32_e32 v37, v35, v37
	v_sub_f32_e32 v35, v35, v39
	s_delay_alu instid0(VALU_DEP_2) | instskip(NEXT) | instid1(VALU_DEP_2)
	v_add_f32_e32 v37, v34, v37
	v_add_f32_e32 v34, v34, v35
	s_delay_alu instid0(VALU_DEP_1) | instskip(NEXT) | instid1(VALU_DEP_1)
	v_dual_add_f32 v40, v36, v34 :: v_dual_add_f32 v39, v38, v37
	v_sub_f32_e32 v36, v40, v36
	s_delay_alu instid0(VALU_DEP_2) | instskip(SKIP_1) | instid1(VALU_DEP_1)
	v_rcp_f32_e32 v35, v39
	v_sub_f32_e32 v38, v39, v38
	v_dual_sub_f32 v34, v34, v36 :: v_dual_sub_f32 v37, v37, v38
	s_waitcnt_depctr 0xfff
	v_mul_f32_e32 v41, v40, v35
	s_delay_alu instid0(VALU_DEP_1) | instskip(NEXT) | instid1(VALU_DEP_1)
	v_mul_f32_e32 v42, v39, v41
	v_fma_f32 v38, v41, v39, -v42
	s_delay_alu instid0(VALU_DEP_1) | instskip(NEXT) | instid1(VALU_DEP_1)
	v_fmac_f32_e32 v38, v41, v37
	v_add_f32_e32 v43, v42, v38
	s_delay_alu instid0(VALU_DEP_1) | instskip(NEXT) | instid1(VALU_DEP_1)
	v_sub_f32_e32 v44, v40, v43
	v_sub_f32_e32 v40, v40, v44
	s_delay_alu instid0(VALU_DEP_1) | instskip(SKIP_1) | instid1(VALU_DEP_2)
	v_sub_f32_e32 v40, v40, v43
	v_sub_f32_e32 v36, v43, v42
	v_add_f32_e32 v34, v34, v40
	s_delay_alu instid0(VALU_DEP_2) | instskip(NEXT) | instid1(VALU_DEP_1)
	v_sub_f32_e32 v36, v36, v38
	v_add_f32_e32 v34, v36, v34
	s_delay_alu instid0(VALU_DEP_1) | instskip(NEXT) | instid1(VALU_DEP_1)
	v_add_f32_e32 v36, v44, v34
	v_mul_f32_e32 v38, v35, v36
	s_delay_alu instid0(VALU_DEP_1) | instskip(NEXT) | instid1(VALU_DEP_1)
	v_dual_sub_f32 v43, v44, v36 :: v_dual_mul_f32 v40, v39, v38
	v_add_f32_e32 v34, v34, v43
	s_delay_alu instid0(VALU_DEP_2) | instskip(NEXT) | instid1(VALU_DEP_1)
	v_fma_f32 v39, v38, v39, -v40
	v_fmac_f32_e32 v39, v38, v37
	s_delay_alu instid0(VALU_DEP_1) | instskip(NEXT) | instid1(VALU_DEP_1)
	v_add_f32_e32 v37, v40, v39
	v_sub_f32_e32 v42, v36, v37
	s_delay_alu instid0(VALU_DEP_1) | instskip(NEXT) | instid1(VALU_DEP_1)
	v_sub_f32_e32 v36, v36, v42
	v_sub_f32_e32 v36, v36, v37
	s_delay_alu instid0(VALU_DEP_1) | instskip(SKIP_2) | instid1(VALU_DEP_1)
	v_add_f32_e32 v34, v34, v36
	v_add_f32_e32 v36, v41, v38
	v_sub_f32_e32 v40, v37, v40
	v_sub_f32_e32 v37, v40, v39
	s_delay_alu instid0(VALU_DEP_1) | instskip(NEXT) | instid1(VALU_DEP_1)
	v_dual_add_f32 v34, v37, v34 :: v_dual_sub_f32 v37, v36, v41
	v_add_f32_e32 v34, v42, v34
	s_delay_alu instid0(VALU_DEP_1) | instskip(NEXT) | instid1(VALU_DEP_1)
	v_dual_sub_f32 v37, v38, v37 :: v_dual_mul_f32 v34, v35, v34
	v_add_f32_e32 v34, v37, v34
	s_delay_alu instid0(VALU_DEP_1) | instskip(NEXT) | instid1(VALU_DEP_1)
	v_add_f32_e32 v35, v36, v34
	v_mul_f32_e32 v37, v35, v35
	s_delay_alu instid0(VALU_DEP_1) | instskip(SKIP_1) | instid1(VALU_DEP_2)
	v_fmaak_f32 v38, s29, v37, 0x3ecc95a3
	v_mul_f32_e32 v39, v35, v37
	v_fmaak_f32 v37, v37, v38, 0x3f2aaada
	v_ldexp_f32 v38, v35, 1
	v_sub_f32_e32 v35, v35, v36
	s_delay_alu instid0(VALU_DEP_3) | instskip(SKIP_1) | instid1(VALU_DEP_2)
	v_mul_f32_e32 v37, v39, v37
	v_mul_f32_e32 v39, 0x3f317218, v33
	v_add_f32_e32 v36, v38, v37
	s_delay_alu instid0(VALU_DEP_1) | instskip(NEXT) | instid1(VALU_DEP_3)
	v_dual_sub_f32 v34, v34, v35 :: v_dual_sub_f32 v35, v36, v38
	v_fma_f32 v38, 0x3f317218, v33, -v39
	s_delay_alu instid0(VALU_DEP_2) | instskip(NEXT) | instid1(VALU_DEP_2)
	v_ldexp_f32 v34, v34, 1
	v_dual_sub_f32 v35, v37, v35 :: v_dual_fmac_f32 v38, 0xb102e308, v33
	s_delay_alu instid0(VALU_DEP_1) | instskip(NEXT) | instid1(VALU_DEP_1)
	v_dual_add_f32 v33, v34, v35 :: v_dual_add_f32 v34, v39, v38
	v_add_f32_e32 v35, v36, v33
	s_delay_alu instid0(VALU_DEP_1) | instskip(NEXT) | instid1(VALU_DEP_1)
	v_add_f32_e32 v37, v34, v35
	v_sub_f32_e32 v40, v37, v34
	s_delay_alu instid0(VALU_DEP_1) | instskip(SKIP_2) | instid1(VALU_DEP_2)
	v_sub_f32_e32 v41, v37, v40
	v_sub_f32_e32 v36, v35, v36
	;; [unrolled: 1-line block ×5, first 2 shown]
	s_delay_alu instid0(VALU_DEP_1) | instskip(NEXT) | instid1(VALU_DEP_1)
	v_sub_f32_e32 v38, v38, v39
	v_add_f32_e32 v36, v38, v33
	v_sub_f32_e32 v34, v34, v41
	s_delay_alu instid0(VALU_DEP_1) | instskip(NEXT) | instid1(VALU_DEP_3)
	v_add_f32_e32 v34, v35, v34
	v_sub_f32_e32 v35, v36, v38
	s_delay_alu instid0(VALU_DEP_1) | instskip(NEXT) | instid1(VALU_DEP_1)
	v_dual_sub_f32 v33, v33, v35 :: v_dual_add_f32 v34, v36, v34
	v_dual_sub_f32 v36, v36, v35 :: v_dual_add_f32 v39, v37, v34
	s_delay_alu instid0(VALU_DEP_1) | instskip(NEXT) | instid1(VALU_DEP_1)
	v_dual_sub_f32 v36, v38, v36 :: v_dual_sub_f32 v35, v39, v37
	v_dual_add_f32 v33, v33, v36 :: v_dual_sub_f32 v34, v34, v35
	s_delay_alu instid0(VALU_DEP_1) | instskip(NEXT) | instid1(VALU_DEP_1)
	v_add_f32_e32 v33, v33, v34
	v_add_f32_e32 v33, v39, v33
	s_delay_alu instid0(VALU_DEP_1) | instskip(SKIP_1) | instid1(VALU_DEP_2)
	v_cndmask_b32_e32 v33, v33, v29, vcc_lo
	v_cmp_ngt_f32_e32 vcc_lo, -1.0, v29
	v_cndmask_b32_e32 v33, 0x7fc00000, v33, vcc_lo
	v_cmp_neq_f32_e32 vcc_lo, -1.0, v29
	s_delay_alu instid0(VALU_DEP_2) | instskip(SKIP_1) | instid1(VALU_DEP_2)
	v_cndmask_b32_e32 v33, 0xff800000, v33, vcc_lo
	v_cmp_gt_f32_e64 vcc_lo, 0x33800000, |v29|
	v_cndmask_b32_e32 v29, v33, v29, vcc_lo
.LBB50_329:                             ;   in Loop: Header=BB50_4 Depth=1
	s_and_not1_saveexec_b32 s38, s38
	s_cbranch_execz .LBB50_335
; %bb.330:                              ;   in Loop: Header=BB50_4 Depth=1
	s_mov_b32 s39, exec_lo
                                        ; implicit-def: $vgpr29
	v_cmpx_nlt_f32_e64 |v7|, 1.0
	s_xor_b32 s39, exec_lo, s39
	s_cbranch_execz .LBB50_332
; %bb.331:                              ;   in Loop: Header=BB50_4 Depth=1
	v_mul_f32_e32 v29, v12, v28
	s_delay_alu instid0(VALU_DEP_1) | instskip(SKIP_1) | instid1(VALU_DEP_2)
	v_mul_f32_e32 v33, 0x4f800000, v29
	v_cmp_gt_f32_e32 vcc_lo, 0xf800000, v29
	v_cndmask_b32_e32 v29, v29, v33, vcc_lo
	s_delay_alu instid0(VALU_DEP_1) | instskip(SKIP_3) | instid1(VALU_DEP_2)
	v_sqrt_f32_e32 v33, v29
	s_waitcnt_depctr 0xfff
	v_add_nc_u32_e32 v34, -1, v33
	v_add_nc_u32_e32 v35, 1, v33
	v_fma_f32 v36, -v34, v33, v29
	s_delay_alu instid0(VALU_DEP_2) | instskip(NEXT) | instid1(VALU_DEP_2)
	v_fma_f32 v37, -v35, v33, v29
	v_cmp_ge_f32_e64 s9, 0, v36
	s_delay_alu instid0(VALU_DEP_1) | instskip(NEXT) | instid1(VALU_DEP_3)
	v_cndmask_b32_e64 v33, v33, v34, s9
	v_cmp_lt_f32_e64 s9, 0, v37
	s_delay_alu instid0(VALU_DEP_1) | instskip(NEXT) | instid1(VALU_DEP_1)
	v_cndmask_b32_e64 v33, v33, v35, s9
	v_mul_f32_e32 v34, 0x37800000, v33
	s_delay_alu instid0(VALU_DEP_1) | instskip(SKIP_1) | instid1(VALU_DEP_2)
	v_cndmask_b32_e32 v33, v33, v34, vcc_lo
	v_cmp_class_f32_e64 vcc_lo, v29, 0x260
	v_cndmask_b32_e32 v29, v33, v29, vcc_lo
	s_delay_alu instid0(VALU_DEP_1) | instskip(NEXT) | instid1(VALU_DEP_1)
	v_add_f32_e32 v29, v12, v29
	v_add_f32_e32 v35, 1.0, v29
	s_delay_alu instid0(VALU_DEP_1) | instskip(NEXT) | instid1(VALU_DEP_1)
	v_cvt_f64_f32_e32 v[33:34], v35
	v_frexp_exp_i32_f64_e32 v33, v[33:34]
	v_frexp_mant_f32_e32 v34, v35
	s_delay_alu instid0(VALU_DEP_1) | instskip(SKIP_1) | instid1(VALU_DEP_1)
	v_cmp_gt_f32_e32 vcc_lo, 0x3f2aaaab, v34
	v_add_f32_e32 v34, -1.0, v35
	v_dual_sub_f32 v37, v34, v35 :: v_dual_sub_f32 v34, v29, v34
	s_delay_alu instid0(VALU_DEP_1) | instskip(NEXT) | instid1(VALU_DEP_1)
	v_add_f32_e32 v37, 1.0, v37
	v_add_f32_e32 v34, v34, v37
	v_subrev_co_ci_u32_e32 v33, vcc_lo, 0, v33, vcc_lo
	s_delay_alu instid0(VALU_DEP_1) | instskip(SKIP_1) | instid1(VALU_DEP_2)
	v_sub_nc_u32_e32 v36, 0, v33
	v_cvt_f32_i32_e32 v33, v33
	v_ldexp_f32 v35, v35, v36
	v_ldexp_f32 v34, v34, v36
	s_delay_alu instid0(VALU_DEP_2) | instskip(NEXT) | instid1(VALU_DEP_1)
	v_add_f32_e32 v38, 1.0, v35
	v_dual_add_f32 v36, -1.0, v35 :: v_dual_add_f32 v37, -1.0, v38
	s_delay_alu instid0(VALU_DEP_1) | instskip(NEXT) | instid1(VALU_DEP_2)
	v_add_f32_e32 v39, 1.0, v36
	v_sub_f32_e32 v37, v35, v37
	s_delay_alu instid0(VALU_DEP_2) | instskip(NEXT) | instid1(VALU_DEP_2)
	v_sub_f32_e32 v35, v35, v39
	v_add_f32_e32 v37, v34, v37
	s_delay_alu instid0(VALU_DEP_2) | instskip(SKIP_1) | instid1(VALU_DEP_2)
	v_add_f32_e32 v34, v34, v35
	v_cmp_eq_f32_e32 vcc_lo, 0x7f800000, v29
	v_dual_add_f32 v39, v38, v37 :: v_dual_add_f32 v40, v36, v34
	s_delay_alu instid0(VALU_DEP_1) | instskip(NEXT) | instid1(VALU_DEP_1)
	v_rcp_f32_e32 v35, v39
	v_sub_f32_e32 v36, v40, v36
	v_sub_f32_e32 v38, v39, v38
	s_delay_alu instid0(VALU_DEP_1) | instskip(SKIP_2) | instid1(VALU_DEP_1)
	v_dual_sub_f32 v34, v34, v36 :: v_dual_sub_f32 v37, v37, v38
	s_waitcnt_depctr 0xfff
	v_mul_f32_e32 v41, v40, v35
	v_mul_f32_e32 v42, v39, v41
	s_delay_alu instid0(VALU_DEP_1) | instskip(NEXT) | instid1(VALU_DEP_1)
	v_fma_f32 v38, v41, v39, -v42
	v_fmac_f32_e32 v38, v41, v37
	s_delay_alu instid0(VALU_DEP_1) | instskip(NEXT) | instid1(VALU_DEP_1)
	v_add_f32_e32 v43, v42, v38
	v_sub_f32_e32 v44, v40, v43
	v_sub_f32_e32 v36, v43, v42
	s_delay_alu instid0(VALU_DEP_2) | instskip(NEXT) | instid1(VALU_DEP_2)
	v_sub_f32_e32 v40, v40, v44
	v_sub_f32_e32 v36, v36, v38
	s_delay_alu instid0(VALU_DEP_2) | instskip(NEXT) | instid1(VALU_DEP_1)
	v_sub_f32_e32 v40, v40, v43
	v_add_f32_e32 v34, v34, v40
	s_delay_alu instid0(VALU_DEP_1) | instskip(NEXT) | instid1(VALU_DEP_1)
	v_add_f32_e32 v34, v36, v34
	v_add_f32_e32 v36, v44, v34
	s_delay_alu instid0(VALU_DEP_1) | instskip(NEXT) | instid1(VALU_DEP_1)
	v_mul_f32_e32 v38, v35, v36
	v_dual_sub_f32 v43, v44, v36 :: v_dual_mul_f32 v40, v39, v38
	s_delay_alu instid0(VALU_DEP_1) | instskip(NEXT) | instid1(VALU_DEP_2)
	v_add_f32_e32 v34, v34, v43
	v_fma_f32 v39, v38, v39, -v40
	s_delay_alu instid0(VALU_DEP_1) | instskip(NEXT) | instid1(VALU_DEP_1)
	v_fmac_f32_e32 v39, v38, v37
	v_add_f32_e32 v37, v40, v39
	s_delay_alu instid0(VALU_DEP_1) | instskip(NEXT) | instid1(VALU_DEP_1)
	v_sub_f32_e32 v42, v36, v37
	v_sub_f32_e32 v36, v36, v42
	s_delay_alu instid0(VALU_DEP_1) | instskip(NEXT) | instid1(VALU_DEP_1)
	v_sub_f32_e32 v36, v36, v37
	v_add_f32_e32 v34, v34, v36
	v_add_f32_e32 v36, v41, v38
	v_sub_f32_e32 v40, v37, v40
	s_delay_alu instid0(VALU_DEP_1) | instskip(NEXT) | instid1(VALU_DEP_1)
	v_sub_f32_e32 v37, v40, v39
	v_dual_add_f32 v34, v37, v34 :: v_dual_sub_f32 v37, v36, v41
	s_delay_alu instid0(VALU_DEP_1) | instskip(NEXT) | instid1(VALU_DEP_1)
	v_add_f32_e32 v34, v42, v34
	v_dual_sub_f32 v37, v38, v37 :: v_dual_mul_f32 v34, v35, v34
	s_delay_alu instid0(VALU_DEP_1) | instskip(NEXT) | instid1(VALU_DEP_1)
	v_add_f32_e32 v34, v37, v34
	v_add_f32_e32 v35, v36, v34
	s_delay_alu instid0(VALU_DEP_1) | instskip(NEXT) | instid1(VALU_DEP_1)
	v_mul_f32_e32 v37, v35, v35
	v_fmaak_f32 v38, s29, v37, 0x3ecc95a3
	v_mul_f32_e32 v39, v35, v37
	s_delay_alu instid0(VALU_DEP_2) | instskip(SKIP_1) | instid1(VALU_DEP_2)
	v_fmaak_f32 v37, v37, v38, 0x3f2aaada
	v_ldexp_f32 v38, v35, 1
	v_mul_f32_e32 v37, v39, v37
	v_mul_f32_e32 v39, 0x3f317218, v33
	s_delay_alu instid0(VALU_DEP_2) | instskip(NEXT) | instid1(VALU_DEP_1)
	v_dual_sub_f32 v35, v35, v36 :: v_dual_add_f32 v36, v38, v37
	v_dual_sub_f32 v34, v34, v35 :: v_dual_sub_f32 v35, v36, v38
	s_delay_alu instid0(VALU_DEP_3) | instskip(NEXT) | instid1(VALU_DEP_2)
	v_fma_f32 v38, 0x3f317218, v33, -v39
	v_ldexp_f32 v34, v34, 1
	s_delay_alu instid0(VALU_DEP_2) | instskip(NEXT) | instid1(VALU_DEP_1)
	v_dual_sub_f32 v35, v37, v35 :: v_dual_fmac_f32 v38, 0xb102e308, v33
	v_dual_add_f32 v33, v34, v35 :: v_dual_add_f32 v34, v39, v38
	s_delay_alu instid0(VALU_DEP_1) | instskip(NEXT) | instid1(VALU_DEP_1)
	v_add_f32_e32 v35, v36, v33
	v_add_f32_e32 v37, v34, v35
	s_delay_alu instid0(VALU_DEP_1) | instskip(NEXT) | instid1(VALU_DEP_1)
	v_sub_f32_e32 v40, v37, v34
	v_sub_f32_e32 v41, v37, v40
	;; [unrolled: 1-line block ×3, first 2 shown]
	s_delay_alu instid0(VALU_DEP_1) | instskip(SKIP_1) | instid1(VALU_DEP_1)
	v_sub_f32_e32 v33, v33, v36
	v_sub_f32_e32 v39, v34, v39
	v_dual_sub_f32 v35, v35, v40 :: v_dual_sub_f32 v38, v38, v39
	s_delay_alu instid0(VALU_DEP_1) | instskip(SKIP_1) | instid1(VALU_DEP_1)
	v_add_f32_e32 v36, v38, v33
	v_sub_f32_e32 v34, v34, v41
	v_add_f32_e32 v34, v35, v34
	s_delay_alu instid0(VALU_DEP_3) | instskip(NEXT) | instid1(VALU_DEP_1)
	v_sub_f32_e32 v35, v36, v38
	v_dual_sub_f32 v33, v33, v35 :: v_dual_add_f32 v34, v36, v34
	s_delay_alu instid0(VALU_DEP_1) | instskip(NEXT) | instid1(VALU_DEP_1)
	v_dual_sub_f32 v36, v36, v35 :: v_dual_add_f32 v39, v37, v34
	v_dual_sub_f32 v35, v39, v37 :: v_dual_sub_f32 v36, v38, v36
	s_delay_alu instid0(VALU_DEP_1) | instskip(NEXT) | instid1(VALU_DEP_1)
	v_dual_sub_f32 v34, v34, v35 :: v_dual_add_f32 v33, v33, v36
	v_add_f32_e32 v33, v33, v34
	s_delay_alu instid0(VALU_DEP_1) | instskip(NEXT) | instid1(VALU_DEP_1)
	v_add_f32_e32 v33, v39, v33
	v_cndmask_b32_e32 v33, v33, v29, vcc_lo
	v_cmp_ngt_f32_e32 vcc_lo, -1.0, v29
	s_delay_alu instid0(VALU_DEP_2) | instskip(SKIP_1) | instid1(VALU_DEP_2)
	v_cndmask_b32_e32 v33, 0x7fc00000, v33, vcc_lo
	v_cmp_neq_f32_e32 vcc_lo, -1.0, v29
	v_cndmask_b32_e32 v33, 0xff800000, v33, vcc_lo
	v_cmp_gt_f32_e64 vcc_lo, 0x33800000, |v29|
	s_delay_alu instid0(VALU_DEP_2)
	v_cndmask_b32_e32 v29, v33, v29, vcc_lo
.LBB50_332:                             ;   in Loop: Header=BB50_4 Depth=1
	s_and_not1_saveexec_b32 s39, s39
	s_cbranch_execz .LBB50_334
; %bb.333:                              ;   in Loop: Header=BB50_4 Depth=1
	v_sub_f32_e64 v29, 1.0, |v7|
	s_delay_alu instid0(VALU_DEP_1) | instskip(NEXT) | instid1(VALU_DEP_1)
	v_mul_f32_e32 v29, v29, v28
	v_mul_f32_e32 v33, 0x4f800000, v29
	v_cmp_gt_f32_e32 vcc_lo, 0xf800000, v29
	s_delay_alu instid0(VALU_DEP_2) | instskip(NEXT) | instid1(VALU_DEP_1)
	v_cndmask_b32_e32 v29, v29, v33, vcc_lo
	v_sqrt_f32_e32 v33, v29
	s_waitcnt_depctr 0xfff
	v_add_nc_u32_e32 v34, -1, v33
	v_add_nc_u32_e32 v35, 1, v33
	s_delay_alu instid0(VALU_DEP_2) | instskip(NEXT) | instid1(VALU_DEP_2)
	v_fma_f32 v36, -v34, v33, v29
	v_fma_f32 v37, -v35, v33, v29
	s_delay_alu instid0(VALU_DEP_2) | instskip(NEXT) | instid1(VALU_DEP_1)
	v_cmp_ge_f32_e64 s9, 0, v36
	v_cndmask_b32_e64 v33, v33, v34, s9
	s_delay_alu instid0(VALU_DEP_3) | instskip(NEXT) | instid1(VALU_DEP_1)
	v_cmp_lt_f32_e64 s9, 0, v37
	v_cndmask_b32_e64 v33, v33, v35, s9
	s_delay_alu instid0(VALU_DEP_1) | instskip(NEXT) | instid1(VALU_DEP_1)
	v_mul_f32_e32 v34, 0x37800000, v33
	v_dual_cndmask_b32 v33, v33, v34 :: v_dual_and_b32 v34, 0x7fffffff, v8
	v_cmp_class_f32_e64 vcc_lo, v29, 0x260
	s_delay_alu instid0(VALU_DEP_2) | instskip(NEXT) | instid1(VALU_DEP_1)
	v_cndmask_b32_e32 v29, v33, v29, vcc_lo
	v_div_scale_f32 v33, null, v29, v29, v34
	v_div_scale_f32 v34, vcc_lo, v34, v29, v34
	s_delay_alu instid0(VALU_DEP_2) | instskip(SKIP_2) | instid1(VALU_DEP_1)
	v_rcp_f32_e32 v35, v33
	s_waitcnt_depctr 0xfff
	v_fma_f32 v36, -v33, v35, 1.0
	v_fmac_f32_e32 v35, v36, v35
	s_delay_alu instid0(VALU_DEP_1) | instskip(NEXT) | instid1(VALU_DEP_1)
	v_mul_f32_e32 v36, v34, v35
	v_fma_f32 v37, -v33, v36, v34
	s_delay_alu instid0(VALU_DEP_1) | instskip(NEXT) | instid1(VALU_DEP_1)
	v_fmac_f32_e32 v36, v37, v35
	v_fma_f32 v33, -v33, v36, v34
	s_delay_alu instid0(VALU_DEP_1) | instskip(NEXT) | instid1(VALU_DEP_1)
	v_div_fmas_f32 v33, v33, v35, v36
	v_div_fixup_f32 v29, v33, v29, |v8|
.LBB50_334:                             ;   in Loop: Header=BB50_4 Depth=1
	s_or_b32 exec_lo, exec_lo, s39
.LBB50_335:                             ;   in Loop: Header=BB50_4 Depth=1
	s_delay_alu instid0(SALU_CYCLE_1)
	s_or_b32 exec_lo, exec_lo, s38
.LBB50_336:                             ;   in Loop: Header=BB50_4 Depth=1
	s_and_not1_saveexec_b32 s37, s37
	s_cbranch_execz .LBB50_338
; %bb.337:                              ;   in Loop: Header=BB50_4 Depth=1
	v_mul_f32_e64 v29, 0x4f800000, |v8|
	v_cmp_gt_f32_e64 vcc_lo, 0xf800000, |v8|
	s_delay_alu instid0(VALU_DEP_1) | instskip(NEXT) | instid1(VALU_DEP_1)
	v_cndmask_b32_e64 v29, |v8|, v29, vcc_lo
	v_sqrt_f32_e32 v33, v29
	s_waitcnt_depctr 0xfff
	v_add_nc_u32_e32 v34, -1, v33
	v_add_nc_u32_e32 v35, 1, v33
	s_delay_alu instid0(VALU_DEP_2) | instskip(NEXT) | instid1(VALU_DEP_2)
	v_fma_f32 v36, -v34, v33, v29
	v_fma_f32 v37, -v35, v33, v29
	s_delay_alu instid0(VALU_DEP_2) | instskip(NEXT) | instid1(VALU_DEP_1)
	v_cmp_ge_f32_e64 s9, 0, v36
	v_cndmask_b32_e64 v33, v33, v34, s9
	s_delay_alu instid0(VALU_DEP_3) | instskip(NEXT) | instid1(VALU_DEP_1)
	v_cmp_lt_f32_e64 s9, 0, v37
	v_cndmask_b32_e64 v33, v33, v35, s9
	s_delay_alu instid0(VALU_DEP_1) | instskip(NEXT) | instid1(VALU_DEP_1)
	v_mul_f32_e32 v34, 0x37800000, v33
	v_cndmask_b32_e32 v33, v33, v34, vcc_lo
	v_cmp_class_f32_e64 vcc_lo, v29, 0x260
	s_delay_alu instid0(VALU_DEP_2)
	v_cndmask_b32_e32 v29, v33, v29, vcc_lo
.LBB50_338:                             ;   in Loop: Header=BB50_4 Depth=1
	s_or_b32 exec_lo, exec_lo, s37
.LBB50_339:                             ;   in Loop: Header=BB50_4 Depth=1
	s_delay_alu instid0(SALU_CYCLE_1) | instskip(NEXT) | instid1(SALU_CYCLE_1)
	s_or_b32 exec_lo, exec_lo, s10
	s_mov_b32 s37, exec_lo
                                        ; implicit-def: $sgpr9
                                        ; implicit-def: $vgpr33
                                        ; implicit-def: $vgpr35
                                        ; implicit-def: $vgpr34
	v_cmpx_ngt_f32_e64 0x21000000, |v7|
	s_xor_b32 s37, exec_lo, s37
	s_cbranch_execz .LBB50_363
; %bb.340:                              ;   in Loop: Header=BB50_4 Depth=1
	v_and_b32_e32 v34, 0x7fffffff, v7
	s_mov_b32 s9, 0
	s_mov_b32 s38, exec_lo
	s_delay_alu instid0(VALU_DEP_1) | instskip(NEXT) | instid1(VALU_DEP_1)
	v_div_scale_f32 v33, null, v11, v11, v34
	v_rcp_f32_e32 v35, v33
	s_waitcnt_depctr 0xfff
	v_fma_f32 v36, -v33, v35, 1.0
	s_delay_alu instid0(VALU_DEP_1) | instskip(SKIP_1) | instid1(VALU_DEP_1)
	v_fmac_f32_e32 v35, v36, v35
	v_div_scale_f32 v36, vcc_lo, v34, v11, v34
	v_mul_f32_e32 v37, v36, v35
	s_delay_alu instid0(VALU_DEP_1) | instskip(NEXT) | instid1(VALU_DEP_1)
	v_fma_f32 v38, -v33, v37, v36
	v_fmac_f32_e32 v37, v38, v35
	s_delay_alu instid0(VALU_DEP_1) | instskip(NEXT) | instid1(VALU_DEP_1)
	v_fma_f32 v33, -v33, v37, v36
	v_div_fmas_f32 v33, v33, v35, v37
                                        ; implicit-def: $vgpr35
	s_delay_alu instid0(VALU_DEP_1) | instskip(NEXT) | instid1(VALU_DEP_1)
	v_div_fixup_f32 v33, v33, v11, |v7|
	v_cmpx_lt_f32_e32 0x3f244674, v33
	s_cbranch_execz .LBB50_362
; %bb.341:                              ;   in Loop: Header=BB50_4 Depth=1
	v_cmp_neq_f32_e64 s9, |v7|, 1.0
	v_cmp_ngt_f32_e64 s10, 0x30800000, |v8|
                                        ; implicit-def: $sgpr39
                                        ; implicit-def: $vgpr35
	s_delay_alu instid0(VALU_DEP_1) | instskip(NEXT) | instid1(SALU_CYCLE_1)
	s_or_b32 s9, s10, s9
	s_and_saveexec_b32 s10, s9
	s_delay_alu instid0(SALU_CYCLE_1)
	s_xor_b32 s10, exec_lo, s10
	s_cbranch_execz .LBB50_359
; %bb.342:                              ;   in Loop: Header=BB50_4 Depth=1
	v_mul_f32_e64 v35, 0x34000000, |v12|
                                        ; implicit-def: $sgpr39
	s_delay_alu instid0(VALU_DEP_1) | instskip(NEXT) | instid1(VALU_DEP_1)
	v_cmp_le_f32_e64 s9, v35, |v8|
                                        ; implicit-def: $vgpr35
	s_and_saveexec_b32 s40, s9
	s_delay_alu instid0(SALU_CYCLE_1)
	s_xor_b32 s40, exec_lo, s40
	s_cbranch_execz .LBB50_352
; %bb.343:                              ;   in Loop: Header=BB50_4 Depth=1
	v_mov_b32_e32 v35, v31
	s_mov_b32 s9, exec_lo
	v_cmpx_neq_f32_e32 0, v28
	s_cbranch_execz .LBB50_345
; %bb.344:                              ;   in Loop: Header=BB50_4 Depth=1
	v_mul_f32_e32 v35, v8, v8
	v_add_f32_e32 v28, v28, v32
	s_delay_alu instid0(VALU_DEP_1) | instskip(NEXT) | instid1(VALU_DEP_1)
	v_div_scale_f32 v32, null, v28, v28, v35
	v_rcp_f32_e32 v36, v32
	s_waitcnt_depctr 0xfff
	v_fma_f32 v37, -v32, v36, 1.0
	s_delay_alu instid0(VALU_DEP_1) | instskip(SKIP_1) | instid1(VALU_DEP_1)
	v_fmac_f32_e32 v36, v37, v36
	v_div_scale_f32 v37, vcc_lo, v35, v28, v35
	v_mul_f32_e32 v38, v37, v36
	s_delay_alu instid0(VALU_DEP_1) | instskip(NEXT) | instid1(VALU_DEP_1)
	v_fma_f32 v39, -v32, v38, v37
	v_fmac_f32_e32 v38, v39, v36
	s_delay_alu instid0(VALU_DEP_1) | instskip(NEXT) | instid1(VALU_DEP_1)
	v_fma_f32 v32, -v32, v38, v37
	v_div_fmas_f32 v32, v32, v36, v38
	s_delay_alu instid0(VALU_DEP_1)
	v_div_fixup_f32 v35, v32, v28, v35
.LBB50_345:                             ;   in Loop: Header=BB50_4 Depth=1
	s_or_b32 exec_lo, exec_lo, s9
	s_delay_alu instid0(SALU_CYCLE_1)
	s_mov_b32 s9, exec_lo
	v_cmpx_ngt_f32_e32 0, v12
	s_xor_b32 s9, exec_lo, s9
	s_cbranch_execz .LBB50_349
; %bb.346:                              ;   in Loop: Header=BB50_4 Depth=1
	s_mov_b32 s39, exec_lo
	v_cmpx_neq_f32_e32 0, v12
	s_cbranch_execz .LBB50_348
; %bb.347:                              ;   in Loop: Header=BB50_4 Depth=1
	v_mul_f32_e32 v8, v8, v8
	v_add_f32_e32 v12, v12, v30
	s_delay_alu instid0(VALU_DEP_1) | instskip(NEXT) | instid1(VALU_DEP_1)
	v_div_scale_f32 v28, null, v12, v12, v8
	v_rcp_f32_e32 v30, v28
	s_waitcnt_depctr 0xfff
	v_fma_f32 v31, -v28, v30, 1.0
	s_delay_alu instid0(VALU_DEP_1) | instskip(SKIP_1) | instid1(VALU_DEP_1)
	v_fmac_f32_e32 v30, v31, v30
	v_div_scale_f32 v31, vcc_lo, v8, v12, v8
	v_mul_f32_e32 v32, v31, v30
	s_delay_alu instid0(VALU_DEP_1) | instskip(NEXT) | instid1(VALU_DEP_1)
	v_fma_f32 v36, -v28, v32, v31
	v_fmac_f32_e32 v32, v36, v30
	s_delay_alu instid0(VALU_DEP_1) | instskip(NEXT) | instid1(VALU_DEP_1)
	v_fma_f32 v28, -v28, v32, v31
	v_div_fmas_f32 v28, v28, v30, v32
	s_delay_alu instid0(VALU_DEP_1)
	v_div_fixup_f32 v31, v28, v12, v8
.LBB50_348:                             ;   in Loop: Header=BB50_4 Depth=1
	s_or_b32 exec_lo, exec_lo, s39
                                        ; implicit-def: $vgpr30
                                        ; implicit-def: $vgpr12
.LBB50_349:                             ;   in Loop: Header=BB50_4 Depth=1
	s_and_not1_saveexec_b32 s9, s9
; %bb.350:                              ;   in Loop: Header=BB50_4 Depth=1
	v_sub_f32_e32 v31, v30, v12
; %bb.351:                              ;   in Loop: Header=BB50_4 Depth=1
	s_or_b32 exec_lo, exec_lo, s9
	s_delay_alu instid0(VALU_DEP_1) | instskip(SKIP_2) | instid1(VALU_DEP_2)
	v_mul_f32_e32 v8, 0.5, v31
	v_add_f32_e64 v7, |v7|, v11
	s_mov_b32 s39, -1
	v_fmac_f32_e32 v8, 0.5, v35
	s_delay_alu instid0(VALU_DEP_1) | instskip(NEXT) | instid1(VALU_DEP_1)
	v_mul_f32_e32 v7, v7, v8
	v_mul_f32_e32 v8, 0x4f800000, v7
	v_cmp_gt_f32_e32 vcc_lo, 0xf800000, v7
	s_delay_alu instid0(VALU_DEP_2) | instskip(NEXT) | instid1(VALU_DEP_1)
	v_cndmask_b32_e32 v7, v7, v8, vcc_lo
	v_sqrt_f32_e32 v8, v7
	s_waitcnt_depctr 0xfff
	v_add_nc_u32_e32 v11, -1, v8
	v_add_nc_u32_e32 v12, 1, v8
	s_delay_alu instid0(VALU_DEP_2) | instskip(NEXT) | instid1(VALU_DEP_2)
	v_fma_f32 v28, -v11, v8, v7
	v_fma_f32 v30, -v12, v8, v7
	s_delay_alu instid0(VALU_DEP_2) | instskip(NEXT) | instid1(VALU_DEP_1)
	v_cmp_ge_f32_e64 s9, 0, v28
                                        ; implicit-def: $vgpr28
	v_cndmask_b32_e64 v8, v8, v11, s9
	s_delay_alu instid0(VALU_DEP_3) | instskip(NEXT) | instid1(VALU_DEP_1)
	v_cmp_lt_f32_e64 s9, 0, v30
	v_cndmask_b32_e64 v8, v8, v12, s9
                                        ; implicit-def: $vgpr12
	s_delay_alu instid0(VALU_DEP_1) | instskip(NEXT) | instid1(VALU_DEP_1)
	v_mul_f32_e32 v11, 0x37800000, v8
	v_cndmask_b32_e32 v8, v8, v11, vcc_lo
	v_cmp_class_f32_e64 vcc_lo, v7, 0x260
	s_delay_alu instid0(VALU_DEP_2)
	v_cndmask_b32_e32 v35, v8, v7, vcc_lo
                                        ; implicit-def: $vgpr8
.LBB50_352:                             ;   in Loop: Header=BB50_4 Depth=1
	s_and_not1_saveexec_b32 s40, s40
	s_cbranch_execz .LBB50_358
; %bb.353:                              ;   in Loop: Header=BB50_4 Depth=1
	s_mov_b32 s42, exec_lo
                                        ; implicit-def: $vgpr35
                                        ; implicit-def: $sgpr41
	v_cmpx_ngt_f32_e64 |v7|, 1.0
	s_xor_b32 s42, exec_lo, s42
	s_cbranch_execz .LBB50_355
; %bb.354:                              ;   in Loop: Header=BB50_4 Depth=1
	v_sub_f32_e64 v7, 1.0, |v7|
	s_mov_b32 s41, -1
	s_delay_alu instid0(VALU_DEP_1) | instskip(NEXT) | instid1(VALU_DEP_1)
	v_mul_f32_e32 v7, v7, v28
	v_mul_f32_e32 v8, 0x4f800000, v7
	v_cmp_gt_f32_e32 vcc_lo, 0xf800000, v7
	s_delay_alu instid0(VALU_DEP_2) | instskip(NEXT) | instid1(VALU_DEP_1)
	v_cndmask_b32_e32 v7, v7, v8, vcc_lo
	v_sqrt_f32_e32 v8, v7
	s_waitcnt_depctr 0xfff
	v_add_nc_u32_e32 v11, -1, v8
	v_add_nc_u32_e32 v12, 1, v8
	s_delay_alu instid0(VALU_DEP_2) | instskip(NEXT) | instid1(VALU_DEP_2)
	v_fma_f32 v28, -v11, v8, v7
	v_fma_f32 v30, -v12, v8, v7
	s_delay_alu instid0(VALU_DEP_2) | instskip(NEXT) | instid1(VALU_DEP_1)
	v_cmp_ge_f32_e64 s9, 0, v28
                                        ; implicit-def: $vgpr28
	v_cndmask_b32_e64 v8, v8, v11, s9
	s_delay_alu instid0(VALU_DEP_3) | instskip(NEXT) | instid1(VALU_DEP_1)
	v_cmp_lt_f32_e64 s9, 0, v30
	v_cndmask_b32_e64 v8, v8, v12, s9
                                        ; implicit-def: $vgpr12
	s_delay_alu instid0(VALU_DEP_1) | instskip(NEXT) | instid1(VALU_DEP_1)
	v_mul_f32_e32 v11, 0x37800000, v8
	v_cndmask_b32_e32 v8, v8, v11, vcc_lo
	v_cmp_class_f32_e64 vcc_lo, v7, 0x260
	s_delay_alu instid0(VALU_DEP_2)
	v_cndmask_b32_e32 v35, v8, v7, vcc_lo
                                        ; implicit-def: $vgpr8
.LBB50_355:                             ;   in Loop: Header=BB50_4 Depth=1
	s_and_not1_saveexec_b32 s42, s42
	s_cbranch_execz .LBB50_357
; %bb.356:                              ;   in Loop: Header=BB50_4 Depth=1
	v_mul_f32_e32 v11, v28, v12
	v_mul_f32_e64 v8, 0x57800000, |v8|
	v_mul_f32_e64 v34, 0x57800000, |v7|
	s_or_b32 s41, s41, exec_lo
	s_delay_alu instid0(VALU_DEP_3) | instskip(SKIP_2) | instid1(VALU_DEP_3)
	v_mul_f32_e32 v12, 0x4f800000, v11
	v_cmp_gt_f32_e32 vcc_lo, 0xf800000, v11
	v_mul_f32_e64 v8, |v7|, v8
	v_cndmask_b32_e32 v11, v11, v12, vcc_lo
	s_delay_alu instid0(VALU_DEP_1) | instskip(SKIP_3) | instid1(VALU_DEP_2)
	v_sqrt_f32_e32 v12, v11
	s_waitcnt_depctr 0xfff
	v_add_nc_u32_e32 v28, -1, v12
	v_add_nc_u32_e32 v30, 1, v12
	v_fma_f32 v31, -v28, v12, v11
	s_delay_alu instid0(VALU_DEP_2) | instskip(NEXT) | instid1(VALU_DEP_2)
	v_fma_f32 v32, -v30, v12, v11
	v_cmp_ge_f32_e64 s9, 0, v31
	s_delay_alu instid0(VALU_DEP_1) | instskip(NEXT) | instid1(VALU_DEP_3)
	v_cndmask_b32_e64 v12, v12, v28, s9
	v_cmp_lt_f32_e64 s9, 0, v32
	s_delay_alu instid0(VALU_DEP_1) | instskip(NEXT) | instid1(VALU_DEP_1)
	v_cndmask_b32_e64 v12, v12, v30, s9
	v_mul_f32_e32 v28, 0x37800000, v12
	s_delay_alu instid0(VALU_DEP_1) | instskip(SKIP_1) | instid1(VALU_DEP_2)
	v_cndmask_b32_e32 v12, v12, v28, vcc_lo
	v_cmp_class_f32_e64 vcc_lo, v11, 0x260
	v_cndmask_b32_e32 v11, v12, v11, vcc_lo
	s_delay_alu instid0(VALU_DEP_1) | instskip(SKIP_1) | instid1(VALU_DEP_2)
	v_div_scale_f32 v12, null, v11, v11, v8
	v_div_scale_f32 v31, vcc_lo, v8, v11, v8
	v_rcp_f32_e32 v28, v12
	s_waitcnt_depctr 0xfff
	v_fma_f32 v30, -v12, v28, 1.0
	s_delay_alu instid0(VALU_DEP_1) | instskip(NEXT) | instid1(VALU_DEP_1)
	v_fmac_f32_e32 v28, v30, v28
	v_mul_f32_e32 v30, v31, v28
	s_delay_alu instid0(VALU_DEP_1) | instskip(NEXT) | instid1(VALU_DEP_1)
	v_fma_f32 v32, -v12, v30, v31
	v_fmac_f32_e32 v30, v32, v28
	s_delay_alu instid0(VALU_DEP_1) | instskip(NEXT) | instid1(VALU_DEP_1)
	v_fma_f32 v12, -v12, v30, v31
	v_div_fmas_f32 v12, v12, v28, v30
	s_delay_alu instid0(VALU_DEP_1)
	v_div_fixup_f32 v35, v12, v11, v8
.LBB50_357:                             ;   in Loop: Header=BB50_4 Depth=1
	s_or_b32 exec_lo, exec_lo, s42
	s_delay_alu instid0(SALU_CYCLE_1) | instskip(SKIP_1) | instid1(SALU_CYCLE_1)
	s_and_not1_b32 s9, s39, exec_lo
	s_and_b32 s39, s41, exec_lo
	s_or_b32 s39, s9, s39
.LBB50_358:                             ;   in Loop: Header=BB50_4 Depth=1
	s_or_b32 exec_lo, exec_lo, s40
	s_delay_alu instid0(SALU_CYCLE_1)
	s_and_b32 s39, s39, exec_lo
                                        ; implicit-def: $vgpr8
                                        ; implicit-def: $vgpr11
.LBB50_359:                             ;   in Loop: Header=BB50_4 Depth=1
	s_and_not1_saveexec_b32 s40, s10
	s_cbranch_execz .LBB50_361
; %bb.360:                              ;   in Loop: Header=BB50_4 Depth=1
	v_add_f32_e32 v7, 1.0, v11
	v_mul_f32_e64 v11, 0x4f800000, |v8|
	v_cmp_gt_f32_e64 vcc_lo, 0xf800000, |v8|
	s_or_b32 s39, s39, exec_lo
	s_delay_alu instid0(VALU_DEP_3) | instskip(NEXT) | instid1(VALU_DEP_2)
	v_mul_f32_e32 v7, 0.5, v7
	v_cndmask_b32_e64 v8, |v8|, v11, vcc_lo
	s_delay_alu instid0(VALU_DEP_2) | instskip(SKIP_1) | instid1(VALU_DEP_3)
	v_mul_f32_e32 v12, 0x4f800000, v7
	v_cmp_gt_f32_e64 s9, 0xf800000, v7
	v_sqrt_f32_e32 v11, v8
	s_delay_alu instid0(VALU_DEP_1) | instskip(NEXT) | instid1(VALU_DEP_1)
	v_cndmask_b32_e64 v7, v7, v12, s9
	v_sqrt_f32_e32 v12, v7
	s_waitcnt_depctr 0xfff
	v_add_nc_u32_e32 v28, -1, v11
	v_add_nc_u32_e32 v31, 1, v11
	s_delay_alu instid0(VALU_DEP_2) | instskip(NEXT) | instid1(VALU_DEP_2)
	v_fma_f32 v32, -v28, v11, v8
	v_fma_f32 v36, -v31, v11, v8
	v_add_nc_u32_e32 v30, -1, v12
	s_delay_alu instid0(VALU_DEP_3) | instskip(SKIP_1) | instid1(VALU_DEP_3)
	v_cmp_ge_f32_e64 s10, 0, v32
	v_add_nc_u32_e32 v34, 1, v12
	v_fma_f32 v35, -v30, v12, v7
	s_delay_alu instid0(VALU_DEP_3) | instskip(NEXT) | instid1(VALU_DEP_3)
	v_cndmask_b32_e64 v11, v11, v28, s10
	v_fma_f32 v28, -v34, v12, v7
	s_delay_alu instid0(VALU_DEP_3) | instskip(NEXT) | instid1(VALU_DEP_1)
	v_cmp_ge_f32_e64 s10, 0, v35
	v_cndmask_b32_e64 v12, v12, v30, s10
	v_cmp_lt_f32_e64 s10, 0, v36
	s_delay_alu instid0(VALU_DEP_1) | instskip(SKIP_1) | instid1(VALU_DEP_2)
	v_cndmask_b32_e64 v11, v11, v31, s10
	v_cmp_lt_f32_e64 s10, 0, v28
	v_mul_f32_e32 v28, 0x37800000, v11
	s_delay_alu instid0(VALU_DEP_2) | instskip(NEXT) | instid1(VALU_DEP_2)
	v_cndmask_b32_e64 v12, v12, v34, s10
	v_dual_mov_b32 v34, 1.0 :: v_dual_cndmask_b32 v11, v11, v28
	s_delay_alu instid0(VALU_DEP_2) | instskip(SKIP_1) | instid1(VALU_DEP_2)
	v_mul_f32_e32 v30, 0x37800000, v12
	v_cmp_class_f32_e64 vcc_lo, v8, 0x260
	v_cndmask_b32_e64 v12, v12, v30, s9
	s_delay_alu instid0(VALU_DEP_4) | instskip(SKIP_1) | instid1(VALU_DEP_3)
	v_cndmask_b32_e32 v8, v11, v8, vcc_lo
	v_cmp_class_f32_e64 vcc_lo, v7, 0x260
	v_cndmask_b32_e32 v7, v12, v7, vcc_lo
	s_delay_alu instid0(VALU_DEP_1)
	v_mul_f32_e32 v35, v8, v7
.LBB50_361:                             ;   in Loop: Header=BB50_4 Depth=1
	s_or_b32 exec_lo, exec_lo, s40
	s_delay_alu instid0(SALU_CYCLE_1)
	s_and_b32 s9, s39, exec_lo
.LBB50_362:                             ;   in Loop: Header=BB50_4 Depth=1
	s_or_b32 exec_lo, exec_lo, s38
	s_delay_alu instid0(SALU_CYCLE_1)
	s_and_b32 s9, s9, exec_lo
                                        ; implicit-def: $vgpr11
                                        ; implicit-def: $vgpr7
.LBB50_363:                             ;   in Loop: Header=BB50_4 Depth=1
	s_and_not1_saveexec_b32 s10, s37
; %bb.364:                              ;   in Loop: Header=BB50_4 Depth=1
	v_mul_f32_e32 v35, 0x4b800000, v11
	v_mul_f32_e64 v34, 0x4b800000, |v7|
	s_or_b32 s9, s9, exec_lo
                                        ; implicit-def: $vgpr33
; %bb.365:                              ;   in Loop: Header=BB50_4 Depth=1
	s_or_b32 exec_lo, exec_lo, s10
	s_xor_b32 s9, s9, -1
                                        ; implicit-def: $vgpr11
	s_delay_alu instid0(SALU_CYCLE_1) | instskip(NEXT) | instid1(SALU_CYCLE_1)
	s_and_saveexec_b32 s10, s9
	s_xor_b32 s10, exec_lo, s10
	s_cbranch_execz .LBB50_371
; %bb.366:                              ;   in Loop: Header=BB50_4 Depth=1
	v_fma_f32 v8, |v33|, -0.5, 0.5
	v_mul_f32_e32 v7, v33, v33
                                        ; implicit-def: $vgpr11
	s_and_saveexec_b32 s9, s8
	s_delay_alu instid0(SALU_CYCLE_1)
	s_xor_b32 s9, exec_lo, s9
	s_cbranch_execz .LBB50_368
; %bb.367:                              ;   in Loop: Header=BB50_4 Depth=1
	v_cmp_gt_f32_e64 vcc_lo, |v33|, 0.5
	v_cndmask_b32_e32 v7, v7, v8, vcc_lo
	s_delay_alu instid0(VALU_DEP_1) | instskip(SKIP_1) | instid1(VALU_DEP_1)
	v_fmaak_f32 v8, s30, v7, 0x3c5fc5da
	v_sqrt_f32_e32 v11, v7
	v_fmaak_f32 v8, v7, v8, 0x3d034c3c
	s_delay_alu instid0(VALU_DEP_1) | instskip(NEXT) | instid1(VALU_DEP_1)
	v_fmaak_f32 v8, v7, v8, 0x3d3641b1
	v_fmaak_f32 v8, v7, v8, 0x3d999bc8
	s_delay_alu instid0(VALU_DEP_1) | instskip(NEXT) | instid1(VALU_DEP_1)
	v_fmaak_f32 v8, v7, v8, 0x3e2aaaac
	v_mul_f32_e32 v7, v7, v8
	s_delay_alu instid0(VALU_DEP_1)
	v_fmac_f32_e32 v33, v33, v7
	s_delay_alu instid0(TRANS32_DEP_1) | instid1(VALU_DEP_1)
	v_dual_fmac_f32 v11, v11, v7 :: v_dual_sub_f32 v8, 0x3fc90fdb, v33
	s_delay_alu instid0(VALU_DEP_1) | instskip(NEXT) | instid1(VALU_DEP_1)
	v_add_f32_e32 v7, v11, v11
                                        ; implicit-def: $vgpr33
	v_cndmask_b32_e32 v11, v8, v7, vcc_lo
                                        ; implicit-def: $vgpr7
                                        ; implicit-def: $vgpr8
.LBB50_368:                             ;   in Loop: Header=BB50_4 Depth=1
	s_and_not1_saveexec_b32 s37, s9
	s_cbranch_execz .LBB50_370
; %bb.369:                              ;   in Loop: Header=BB50_4 Depth=1
	v_cmp_gt_f32_e64 vcc_lo, |v33|, 0.5
	v_cmp_lt_f32_e64 s9, 0, v33
	v_cndmask_b32_e32 v7, v7, v8, vcc_lo
	s_delay_alu instid0(VALU_DEP_1) | instskip(SKIP_1) | instid1(VALU_DEP_1)
	v_fmaak_f32 v8, s30, v7, 0x3c5fc5da
	v_sqrt_f32_e32 v11, v7
	v_fmaak_f32 v8, v7, v8, 0x3d034c3c
	s_delay_alu instid0(VALU_DEP_1) | instskip(NEXT) | instid1(VALU_DEP_1)
	v_fmaak_f32 v8, v7, v8, 0x3d3641b1
	v_fmaak_f32 v8, v7, v8, 0x3d999bc8
	s_delay_alu instid0(VALU_DEP_1) | instskip(NEXT) | instid1(VALU_DEP_1)
	v_fmaak_f32 v8, v7, v8, 0x3e2aaaac
	v_mul_f32_e32 v7, v7, v8
	s_waitcnt_depctr 0xfff
	v_fmac_f32_e32 v11, v11, v7
	v_fma_f32 v7, -v33, v7, -v33
	s_delay_alu instid0(VALU_DEP_2) | instskip(NEXT) | instid1(VALU_DEP_2)
	v_add_f32_e32 v8, v11, v11
	v_sub_f32_e32 v7, 0x3fc90fdb, v7
	s_delay_alu instid0(VALU_DEP_2) | instskip(NEXT) | instid1(VALU_DEP_1)
	v_sub_f32_e32 v11, 0x40490fdb, v8
	v_cndmask_b32_e64 v8, v8, v11, s9
	s_delay_alu instid0(VALU_DEP_1)
	v_cndmask_b32_e32 v11, v7, v8, vcc_lo
.LBB50_370:                             ;   in Loop: Header=BB50_4 Depth=1
	s_or_b32 exec_lo, exec_lo, s37
                                        ; implicit-def: $vgpr34
                                        ; implicit-def: $vgpr35
.LBB50_371:                             ;   in Loop: Header=BB50_4 Depth=1
	s_and_not1_saveexec_b32 s10, s10
	s_cbranch_execz .LBB50_377
; %bb.372:                              ;   in Loop: Header=BB50_4 Depth=1
	v_max_f32_e64 v8, |v35|, |v35|
	v_max_f32_e32 v11, v34, v34
	v_cmp_class_f32_e64 s37, v35, 0x204
	s_delay_alu instid0(VALU_DEP_2) | instskip(SKIP_2) | instid1(SALU_CYCLE_1)
	v_min_f32_e32 v7, v11, v8
	v_max_f32_e32 v8, v11, v8
                                        ; implicit-def: $vgpr11
	s_and_saveexec_b32 s9, s8
	s_xor_b32 s9, exec_lo, s9
	s_cbranch_execz .LBB50_374
; %bb.373:                              ;   in Loop: Header=BB50_4 Depth=1
	s_delay_alu instid0(VALU_DEP_1)
	v_frexp_mant_f32_e32 v11, v8
	v_frexp_exp_i32_f32_e32 v8, v8
	v_frexp_mant_f32_e32 v12, v7
	v_frexp_exp_i32_f32_e32 v7, v7
	v_cmp_gt_f32_e64 vcc_lo, |v35|, v34
	v_rcp_f32_e32 v11, v11
	v_cmp_neq_f32_e64 s8, 0, v35
	s_delay_alu instid0(VALU_DEP_3) | instskip(SKIP_2) | instid1(VALU_DEP_1)
	v_sub_nc_u32_e32 v7, v7, v8
	s_waitcnt_depctr 0xfff
	v_mul_f32_e32 v11, v12, v11
	v_ldexp_f32 v7, v11, v7
	s_delay_alu instid0(VALU_DEP_1) | instskip(NEXT) | instid1(VALU_DEP_1)
	v_mul_f32_e32 v8, v7, v7
	v_fmaak_f32 v11, s31, v8, 0xbc7a590c
	s_delay_alu instid0(VALU_DEP_1) | instskip(NEXT) | instid1(VALU_DEP_1)
	v_fmaak_f32 v11, v8, v11, 0x3d29fb3f
	v_fmaak_f32 v11, v8, v11, 0xbd97d4d7
	s_delay_alu instid0(VALU_DEP_1) | instskip(NEXT) | instid1(VALU_DEP_1)
	v_fmaak_f32 v11, v8, v11, 0x3dd931b2
	;; [unrolled: 3-line block ×3, first 2 shown]
	v_fmaak_f32 v11, v8, v11, 0xbeaaaa62
	s_delay_alu instid0(VALU_DEP_1) | instskip(NEXT) | instid1(VALU_DEP_1)
	v_mul_f32_e32 v8, v8, v11
	v_fmac_f32_e32 v7, v7, v8
	s_delay_alu instid0(VALU_DEP_1) | instskip(NEXT) | instid1(VALU_DEP_1)
	v_sub_f32_e32 v8, 0x3fc90fdb, v7
	v_cndmask_b32_e32 v7, v7, v8, vcc_lo
	v_cmp_eq_f32_e32 vcc_lo, 0x7f800000, v34
                                        ; implicit-def: $vgpr8
	s_delay_alu instid0(VALU_DEP_2) | instskip(SKIP_2) | instid1(VALU_DEP_2)
	v_cndmask_b32_e64 v7, 0, v7, s8
	s_and_b32 s8, vcc_lo, s37
	v_cmp_o_f32_e32 vcc_lo, v34, v35
                                        ; implicit-def: $vgpr34
	v_cndmask_b32_e64 v7, v7, 0x3f490fdb, s8
	s_delay_alu instid0(VALU_DEP_1) | instskip(NEXT) | instid1(VALU_DEP_1)
	v_cndmask_b32_e32 v7, 0x7fc00000, v7, vcc_lo
	v_bfi_b32 v11, 0x7fffffff, v7, v35
                                        ; implicit-def: $vgpr7
                                        ; implicit-def: $vgpr35
.LBB50_374:                             ;   in Loop: Header=BB50_4 Depth=1
	s_and_not1_saveexec_b32 s38, s9
	s_cbranch_execz .LBB50_376
; %bb.375:                              ;   in Loop: Header=BB50_4 Depth=1
	v_frexp_mant_f32_e32 v11, v8
	v_frexp_exp_i32_f32_e32 v8, v8
	v_frexp_exp_i32_f32_e32 v12, v7
	v_frexp_mant_f32_e32 v7, v7
	v_cmp_gt_f32_e64 vcc_lo, |v35|, v34
	v_rcp_f32_e32 v11, v11
	v_cmp_neq_f32_e64 s9, 0, v35
	v_sub_nc_u32_e32 v8, v12, v8
	v_cmp_eq_f32_e64 s8, 0x7f800000, v34
	s_waitcnt_depctr 0xfff
	v_mul_f32_e32 v7, v7, v11
	s_delay_alu instid0(VALU_DEP_1) | instskip(NEXT) | instid1(VALU_DEP_1)
	v_ldexp_f32 v7, v7, v8
	v_mul_f32_e32 v8, v7, v7
	s_delay_alu instid0(VALU_DEP_1) | instskip(NEXT) | instid1(VALU_DEP_1)
	v_fmaak_f32 v11, s31, v8, 0xbc7a590c
	v_fmaak_f32 v11, v8, v11, 0x3d29fb3f
	s_delay_alu instid0(VALU_DEP_1) | instskip(NEXT) | instid1(VALU_DEP_1)
	v_fmaak_f32 v11, v8, v11, 0xbd97d4d7
	v_fmaak_f32 v11, v8, v11, 0x3dd931b2
	;; [unrolled: 3-line block ×3, first 2 shown]
	s_delay_alu instid0(VALU_DEP_1) | instskip(NEXT) | instid1(VALU_DEP_1)
	v_fmaak_f32 v11, v8, v11, 0xbeaaaa62
	v_mul_f32_e32 v8, v8, v11
	s_delay_alu instid0(VALU_DEP_1) | instskip(NEXT) | instid1(VALU_DEP_1)
	v_fmac_f32_e32 v7, v7, v8
	v_sub_f32_e32 v8, 0x3fc90fdb, v7
	s_delay_alu instid0(VALU_DEP_1) | instskip(SKIP_1) | instid1(VALU_DEP_2)
	v_cndmask_b32_e32 v7, v7, v8, vcc_lo
	v_cmp_lt_f32_e32 vcc_lo, 0, v34
	v_sub_f32_e32 v8, 0x40490fdb, v7
	s_delay_alu instid0(VALU_DEP_1) | instskip(SKIP_2) | instid1(VALU_DEP_2)
	v_cndmask_b32_e32 v7, v7, v8, vcc_lo
	v_cndmask_b32_e32 v8, 0x3f490fdb, v27, vcc_lo
	s_and_b32 vcc_lo, s8, s37
	v_cndmask_b32_e64 v7, 0x40490fdb, v7, s9
	s_delay_alu instid0(VALU_DEP_1) | instskip(SKIP_1) | instid1(VALU_DEP_2)
	v_cndmask_b32_e32 v7, v7, v8, vcc_lo
	v_cmp_o_f32_e64 vcc_lo, v35, -v34
	v_cndmask_b32_e32 v7, 0x7fc00000, v7, vcc_lo
	s_delay_alu instid0(VALU_DEP_1)
	v_bfi_b32 v11, 0x7fffffff, v7, v35
.LBB50_376:                             ;   in Loop: Header=BB50_4 Depth=1
	s_or_b32 exec_lo, exec_lo, s38
.LBB50_377:                             ;   in Loop: Header=BB50_4 Depth=1
	s_delay_alu instid0(SALU_CYCLE_1)
	s_or_b32 exec_lo, exec_lo, s10
	v_cndmask_b32_e64 v12, -v29, v29, s6
                                        ; implicit-def: $vgpr7
.LBB50_378:                             ;   in Loop: Header=BB50_4 Depth=1
	s_and_not1_saveexec_b32 s8, s36
	s_cbranch_execz .LBB50_380
; %bb.379:                              ;   in Loop: Header=BB50_4 Depth=1
	s_waitcnt vmcnt(0) lgkmcnt(0)
	v_dual_mov_b32 v11, s16 :: v_dual_mov_b32 v12, s17
	flat_load_b32 v11, v[11:12] glc dlc
	s_waitcnt vmcnt(0)
	v_xor_b32_e32 v12, 0x80000000, v8
	s_waitcnt lgkmcnt(0)
	v_sub_f32_e32 v7, v11, v7
	s_delay_alu instid0(VALU_DEP_1)
	v_add_f32_e32 v11, 0x3fc90fdb, v7
.LBB50_380:                             ;   in Loop: Header=BB50_4 Depth=1
	s_or_b32 exec_lo, exec_lo, s8
                                        ; implicit-def: $vgpr8
.LBB50_381:                             ;   in Loop: Header=BB50_4 Depth=1
	s_and_not1_saveexec_b32 s8, s35
	s_cbranch_execz .LBB50_383
; %bb.382:                              ;   in Loop: Header=BB50_4 Depth=1
	v_xor_b32_e32 v12, 0x80000000, v8
	s_waitcnt vmcnt(0) lgkmcnt(0)
	v_mov_b32_e32 v11, 0
.LBB50_383:                             ;   in Loop: Header=BB50_4 Depth=1
	s_or_b32 exec_lo, exec_lo, s8
                                        ; implicit-def: $vgpr7
                                        ; implicit-def: $vgpr30
                                        ; implicit-def: $vgpr29
                                        ; implicit-def: $vgpr28
.LBB50_384:                             ;   in Loop: Header=BB50_4 Depth=1
	s_and_not1_saveexec_b32 s10, s34
	s_cbranch_execz .LBB50_394
; %bb.385:                              ;   in Loop: Header=BB50_4 Depth=1
	v_cmp_lt_f32_e64 s8, |v7|, |v8|
                                        ; implicit-def: $vgpr12
                                        ; implicit-def: $vgpr11
	s_mov_b32 s9, exec_lo
	s_delay_alu instid0(VALU_DEP_1) | instskip(NEXT) | instid1(VALU_DEP_1)
	v_cndmask_b32_e64 v31, |v7|, |v8|, s8
	v_cmpx_nlt_f32_e32 0x7effffff, v31
	s_xor_b32 s34, exec_lo, s9
	s_cbranch_execz .LBB50_391
; %bb.386:                              ;   in Loop: Header=BB50_4 Depth=1
	v_cndmask_b32_e64 v32, |v8|, |v7|, s8
	v_cmp_nlt_f32_e32 vcc_lo, 0x5e000000, v31
                                        ; implicit-def: $vgpr12
                                        ; implicit-def: $vgpr11
	s_delay_alu instid0(VALU_DEP_2) | instskip(NEXT) | instid1(VALU_DEP_1)
	v_cmp_ngt_f32_e64 s9, 0x20000000, v32
	s_and_b32 s9, vcc_lo, s9
	s_delay_alu instid0(SALU_CYCLE_1) | instskip(NEXT) | instid1(SALU_CYCLE_1)
	s_and_saveexec_b32 s35, s9
	s_xor_b32 s35, exec_lo, s35
	s_cbranch_execz .LBB50_388
; %bb.387:                              ;   in Loop: Header=BB50_4 Depth=1
	s_waitcnt vmcnt(0) lgkmcnt(0)
	v_frexp_mant_f32_e32 v11, v28
	v_dual_min_f32 v12, v30, v29 :: v_dual_mul_f32 v29, v32, v32
	v_frexp_exp_i32_f32_e32 v28, v28
	s_delay_alu instid0(VALU_DEP_3) | instskip(NEXT) | instid1(VALU_DEP_2)
	v_rcp_f32_e32 v11, v11
	v_frexp_mant_f32_e32 v30, v12
	s_delay_alu instid0(VALU_DEP_3) | instskip(SKIP_1) | instid1(VALU_DEP_2)
	v_fmac_f32_e32 v29, v31, v31
	v_frexp_exp_i32_f32_e32 v12, v12
	v_cmp_gt_f32_e32 vcc_lo, 0x800000, v29
	s_delay_alu instid0(VALU_DEP_2) | instskip(SKIP_1) | instid1(TRANS32_DEP_1)
	v_sub_nc_u32_e32 v12, v12, v28
	v_cndmask_b32_e64 v28, 1.0, 0x4f800000, vcc_lo
	v_mul_f32_e32 v11, v30, v11
	s_delay_alu instid0(VALU_DEP_1) | instskip(NEXT) | instid1(VALU_DEP_3)
	v_ldexp_f32 v11, v11, v12
	v_mul_f32_e32 v12, v29, v28
	s_delay_alu instid0(VALU_DEP_1) | instskip(SKIP_3) | instid1(VALU_DEP_2)
	v_log_f32_e32 v12, v12
	s_waitcnt_depctr 0xfff
	v_mul_f32_e32 v30, 0x3f317217, v12
	v_cmp_gt_f32_e64 s9, 0x7f800000, |v12|
	v_fma_f32 v31, 0x3f317217, v12, -v30
	s_delay_alu instid0(VALU_DEP_1) | instskip(NEXT) | instid1(VALU_DEP_1)
	v_dual_mul_f32 v28, v11, v11 :: v_dual_fmac_f32 v31, 0x3377d1cf, v12
	v_dual_fmaak_f32 v29, s31, v28, 0xbc7a590c :: v_dual_add_f32 v30, v30, v31
	s_delay_alu instid0(VALU_DEP_1) | instskip(SKIP_1) | instid1(VALU_DEP_1)
	v_cndmask_b32_e64 v12, v12, v30, s9
	v_cndmask_b32_e64 v30, 0, 0x41b17218, vcc_lo
	v_sub_f32_e32 v12, v12, v30
	s_delay_alu instid0(VALU_DEP_4) | instskip(NEXT) | instid1(VALU_DEP_1)
	v_fmaak_f32 v29, v28, v29, 0x3d29fb3f
                                        ; implicit-def: $vgpr30
	v_dual_mul_f32 v12, 0.5, v12 :: v_dual_fmaak_f32 v29, v28, v29, 0xbd97d4d7
	s_delay_alu instid0(VALU_DEP_1) | instskip(NEXT) | instid1(VALU_DEP_1)
	v_fmaak_f32 v29, v28, v29, 0x3dd931b2
	v_fmaak_f32 v29, v28, v29, 0xbe1160e6
	s_delay_alu instid0(VALU_DEP_1) | instskip(NEXT) | instid1(VALU_DEP_1)
	v_fmaak_f32 v29, v28, v29, 0x3e4cb8bf
	v_fmaak_f32 v29, v28, v29, 0xbeaaaa62
	s_delay_alu instid0(VALU_DEP_1) | instskip(NEXT) | instid1(VALU_DEP_1)
	v_mul_f32_e32 v28, v28, v29
                                        ; implicit-def: $vgpr29
	v_fmac_f32_e32 v11, v11, v28
                                        ; implicit-def: $vgpr28
.LBB50_388:                             ;   in Loop: Header=BB50_4 Depth=1
	s_and_not1_saveexec_b32 s9, s35
	s_cbranch_execz .LBB50_390
; %bb.389:                              ;   in Loop: Header=BB50_4 Depth=1
	s_waitcnt vmcnt(0) lgkmcnt(0)
	v_cvt_f64_f32_e32 v[11:12], v28
	v_min_f32_e32 v29, v30, v29
	v_cmp_neq_f32_e32 vcc_lo, 0x7f800000, v28
	v_frexp_exp_i32_f32_e32 v30, v28
	s_delay_alu instid0(VALU_DEP_3) | instskip(SKIP_1) | instid1(VALU_DEP_2)
	v_frexp_exp_i32_f32_e32 v32, v29
	v_frexp_mant_f32_e32 v29, v29
	v_sub_nc_u32_e32 v30, v32, v30
	v_frexp_exp_i32_f64_e32 v11, v[11:12]
	s_delay_alu instid0(VALU_DEP_1) | instskip(NEXT) | instid1(VALU_DEP_1)
	v_sub_nc_u32_e32 v12, 0, v11
	v_ldexp_f32 v31, |v8|, v12
	v_ldexp_f32 v12, |v7|, v12
	s_delay_alu instid0(VALU_DEP_2) | instskip(NEXT) | instid1(VALU_DEP_1)
	v_mul_f32_e32 v31, v31, v31
	v_fmac_f32_e32 v31, v12, v12
	v_frexp_mant_f32_e32 v12, v28
	s_delay_alu instid0(VALU_DEP_2) | instskip(NEXT) | instid1(VALU_DEP_1)
	v_sqrt_f32_e32 v31, v31
	v_rcp_f32_e32 v12, v12
	s_waitcnt_depctr 0xfff
	v_ldexp_f32 v11, v31, v11
	v_mul_f32_e32 v12, v29, v12
	s_delay_alu instid0(VALU_DEP_2) | instskip(NEXT) | instid1(VALU_DEP_2)
	v_cndmask_b32_e32 v28, 0x7f800000, v11, vcc_lo
	v_ldexp_f32 v11, v12, v30
	s_delay_alu instid0(VALU_DEP_2) | instskip(SKIP_1) | instid1(VALU_DEP_1)
	v_cmp_gt_f32_e32 vcc_lo, 0x800000, v28
	v_cndmask_b32_e64 v12, 1.0, 0x4f800000, vcc_lo
	v_mul_f32_e32 v12, v28, v12
	s_delay_alu instid0(VALU_DEP_1) | instskip(SKIP_2) | instid1(VALU_DEP_1)
	v_log_f32_e32 v12, v12
	s_waitcnt_depctr 0xfff
	v_dual_mul_f32 v29, v11, v11 :: v_dual_mul_f32 v30, 0x3f317217, v12
	v_fmaak_f32 v28, s31, v29, 0xbc7a590c
	s_delay_alu instid0(VALU_DEP_2) | instskip(NEXT) | instid1(VALU_DEP_2)
	v_fma_f32 v31, 0x3f317217, v12, -v30
	v_fmaak_f32 v28, v29, v28, 0x3d29fb3f
	s_delay_alu instid0(VALU_DEP_2) | instskip(NEXT) | instid1(VALU_DEP_2)
	v_fmac_f32_e32 v31, 0x3377d1cf, v12
	v_fmaak_f32 v28, v29, v28, 0xbd97d4d7
	s_delay_alu instid0(VALU_DEP_1) | instskip(NEXT) | instid1(VALU_DEP_1)
	v_fmaak_f32 v28, v29, v28, 0x3dd931b2
	v_fmaak_f32 v28, v29, v28, 0xbe1160e6
	s_delay_alu instid0(VALU_DEP_1) | instskip(NEXT) | instid1(VALU_DEP_1)
	v_fmaak_f32 v28, v29, v28, 0x3e4cb8bf
	v_fmaak_f32 v28, v29, v28, 0xbeaaaa62
	s_delay_alu instid0(VALU_DEP_1) | instskip(SKIP_3) | instid1(VALU_DEP_3)
	v_mul_f32_e32 v28, v29, v28
	v_add_f32_e32 v30, v30, v31
	v_cndmask_b32_e64 v31, 0, 0x41b17218, vcc_lo
	v_cmp_gt_f32_e64 vcc_lo, 0x7f800000, |v12|
	v_dual_fmac_f32 v11, v11, v28 :: v_dual_cndmask_b32 v12, v12, v30
	s_delay_alu instid0(VALU_DEP_1)
	v_sub_f32_e32 v12, v12, v31
.LBB50_390:                             ;   in Loop: Header=BB50_4 Depth=1
	s_or_b32 exec_lo, exec_lo, s9
                                        ; implicit-def: $vgpr30
                                        ; implicit-def: $vgpr29
                                        ; implicit-def: $vgpr28
.LBB50_391:                             ;   in Loop: Header=BB50_4 Depth=1
	s_and_not1_saveexec_b32 s34, s34
	s_cbranch_execz .LBB50_393
; %bb.392:                              ;   in Loop: Header=BB50_4 Depth=1
	s_waitcnt vmcnt(0) lgkmcnt(0)
	v_div_scale_f32 v11, null, 0x402df854, 0x402df854, v7
	v_div_scale_f32 v12, null, 0x402df854, 0x402df854, v8
	v_div_scale_f32 v35, vcc_lo, v7, 0x402df854, v7
	s_delay_alu instid0(VALU_DEP_3) | instskip(NEXT) | instid1(VALU_DEP_2)
	v_rcp_f32_e32 v31, v11
	v_rcp_f32_e32 v32, v12
	v_min_f32_e32 v29, v30, v29
	s_waitcnt_depctr 0xfff
	v_fma_f32 v33, -v11, v31, 1.0
	v_fma_f32 v34, -v12, v32, 1.0
	s_delay_alu instid0(VALU_DEP_1) | instskip(SKIP_1) | instid1(VALU_DEP_2)
	v_dual_fmac_f32 v31, v33, v31 :: v_dual_fmac_f32 v32, v34, v32
	v_div_scale_f32 v33, s9, v8, 0x402df854, v8
	v_mul_f32_e32 v34, v35, v31
	s_delay_alu instid0(VALU_DEP_2) | instskip(NEXT) | instid1(VALU_DEP_2)
	v_mul_f32_e32 v36, v33, v32
	v_fma_f32 v37, -v11, v34, v35
	s_delay_alu instid0(VALU_DEP_2) | instskip(NEXT) | instid1(VALU_DEP_2)
	v_fma_f32 v38, -v12, v36, v33
	v_fmac_f32_e32 v34, v37, v31
	s_delay_alu instid0(VALU_DEP_2) | instskip(NEXT) | instid1(VALU_DEP_2)
	v_fmac_f32_e32 v36, v38, v32
	v_fma_f32 v11, -v11, v34, v35
	s_delay_alu instid0(VALU_DEP_2) | instskip(NEXT) | instid1(VALU_DEP_2)
	v_fma_f32 v12, -v12, v36, v33
	v_div_fmas_f32 v11, v11, v31, v34
	s_mov_b32 vcc_lo, s9
	s_delay_alu instid0(VALU_DEP_2) | instskip(NEXT) | instid1(VALU_DEP_2)
	v_div_fmas_f32 v12, v12, v32, v36
	v_div_fixup_f32 v31, v11, 0x402df854, v7
	s_delay_alu instid0(VALU_DEP_2) | instskip(NEXT) | instid1(VALU_DEP_1)
	v_div_fixup_f32 v32, v12, 0x402df854, v8
	v_max_f32_e64 v33, |v31|, |v32|
	s_delay_alu instid0(VALU_DEP_1) | instskip(SKIP_1) | instid1(VALU_DEP_2)
	v_cvt_f64_f32_e32 v[11:12], v33
	v_cmp_neq_f32_e32 vcc_lo, 0x7f800000, v33
	v_frexp_exp_i32_f64_e32 v11, v[11:12]
	s_delay_alu instid0(VALU_DEP_1) | instskip(NEXT) | instid1(VALU_DEP_1)
	v_sub_nc_u32_e32 v12, 0, v11
	v_ldexp_f32 v32, |v32|, v12
	v_ldexp_f32 v12, |v31|, v12
	s_delay_alu instid0(VALU_DEP_2) | instskip(NEXT) | instid1(VALU_DEP_1)
	v_mul_f32_e32 v31, v32, v32
	v_fmac_f32_e32 v31, v12, v12
	s_delay_alu instid0(VALU_DEP_1) | instskip(SKIP_2) | instid1(VALU_DEP_2)
	v_sqrt_f32_e32 v12, v31
	v_frexp_mant_f32_e32 v31, v28
	v_frexp_exp_i32_f32_e32 v28, v28
	v_rcp_f32_e32 v30, v31
	s_waitcnt_depctr 0xfff
	v_ldexp_f32 v11, v12, v11
	v_frexp_exp_i32_f32_e32 v12, v29
	v_frexp_mant_f32_e32 v29, v29
	s_delay_alu instid0(VALU_DEP_3) | instskip(NEXT) | instid1(VALU_DEP_3)
	v_cndmask_b32_e32 v31, 0x7f800000, v11, vcc_lo
	v_sub_nc_u32_e32 v11, v12, v28
	s_delay_alu instid0(VALU_DEP_3) | instskip(NEXT) | instid1(VALU_DEP_3)
	v_mul_f32_e32 v12, v29, v30
	v_cmp_gt_f32_e32 vcc_lo, 0x800000, v31
	s_delay_alu instid0(VALU_DEP_2) | instskip(SKIP_1) | instid1(VALU_DEP_1)
	v_ldexp_f32 v11, v12, v11
	v_cndmask_b32_e64 v28, 1.0, 0x4f800000, vcc_lo
	v_mul_f32_e32 v12, v31, v28
	s_delay_alu instid0(VALU_DEP_3) | instskip(NEXT) | instid1(VALU_DEP_1)
	v_mul_f32_e32 v28, v11, v11
	v_fmaak_f32 v29, s31, v28, 0xbc7a590c
	s_delay_alu instid0(VALU_DEP_1) | instskip(NEXT) | instid1(VALU_DEP_4)
	v_fmaak_f32 v29, v28, v29, 0x3d29fb3f
	v_log_f32_e32 v12, v12
	s_waitcnt_depctr 0xfff
	v_mul_f32_e32 v30, 0x3f317217, v12
	s_delay_alu instid0(VALU_DEP_1) | instskip(NEXT) | instid1(VALU_DEP_1)
	v_fma_f32 v31, 0x3f317217, v12, -v30
	v_fmac_f32_e32 v31, 0x3377d1cf, v12
	s_delay_alu instid0(VALU_DEP_1) | instskip(SKIP_2) | instid1(VALU_DEP_3)
	v_dual_fmaak_f32 v29, v28, v29, 0xbd97d4d7 :: v_dual_add_f32 v30, v30, v31
	v_cndmask_b32_e64 v31, 0, 0x41b17218, vcc_lo
	v_cmp_gt_f32_e64 vcc_lo, 0x7f800000, |v12|
	v_cndmask_b32_e32 v12, v12, v30, vcc_lo
	s_delay_alu instid0(VALU_DEP_1) | instskip(NEXT) | instid1(VALU_DEP_1)
	v_sub_f32_e32 v12, v12, v31
	v_dual_fmaak_f32 v29, v28, v29, 0x3dd931b2 :: v_dual_add_f32 v12, 1.0, v12
	s_delay_alu instid0(VALU_DEP_1) | instskip(NEXT) | instid1(VALU_DEP_1)
	v_fmaak_f32 v29, v28, v29, 0xbe1160e6
	v_fmaak_f32 v29, v28, v29, 0x3e4cb8bf
	s_delay_alu instid0(VALU_DEP_1) | instskip(NEXT) | instid1(VALU_DEP_1)
	v_fmaak_f32 v29, v28, v29, 0xbeaaaa62
	v_mul_f32_e32 v28, v28, v29
	s_delay_alu instid0(VALU_DEP_1)
	v_fmac_f32_e32 v11, v11, v28
.LBB50_393:                             ;   in Loop: Header=BB50_4 Depth=1
	s_or_b32 exec_lo, exec_lo, s34
	v_cndmask_b32_e64 v29, 0, 0x40490fdb, s7
	s_waitcnt vmcnt(0) lgkmcnt(0)
	s_delay_alu instid0(VALU_DEP_2) | instskip(SKIP_3) | instid1(VALU_DEP_4)
	v_sub_f32_e32 v28, 0x3fc90fdb, v11
	v_cmp_gt_f32_e32 vcc_lo, 0, v7
	v_cmp_class_f32_e64 s7, v7, 0x204
	v_add_f32_e32 v12, 0x3f317218, v12
	v_cndmask_b32_e64 v11, v11, v28, s8
	v_cmp_class_f32_e64 s8, v8, 0x204
	s_delay_alu instid0(VALU_DEP_3) | instskip(NEXT) | instid1(VALU_DEP_3)
	v_cndmask_b32_e64 v12, -v12, v12, s6
	v_sub_f32_e32 v28, 0x40490fdb, v11
	s_delay_alu instid0(VALU_DEP_1) | instskip(SKIP_2) | instid1(VALU_DEP_3)
	v_cndmask_b32_e32 v11, v11, v28, vcc_lo
	v_cndmask_b32_e32 v28, 0x3f490fdb, v27, vcc_lo
	v_cmp_eq_f32_e32 vcc_lo, 0, v8
	v_cndmask_b32_e32 v11, v11, v29, vcc_lo
	s_and_b32 vcc_lo, s8, s7
	s_delay_alu instid0(VALU_DEP_1) | instskip(SKIP_1) | instid1(VALU_DEP_2)
	v_cndmask_b32_e32 v11, v11, v28, vcc_lo
	v_cmp_o_f32_e32 vcc_lo, v7, v8
	v_cndmask_b32_e64 v11, 0x7fc00000, |v11|, vcc_lo
.LBB50_394:                             ;   in Loop: Header=BB50_4 Depth=1
	s_or_b32 exec_lo, exec_lo, s10
                                        ; implicit-def: $vgpr8
	s_and_not1_saveexec_b32 s6, s33
	s_cbranch_execz .LBB50_308
.LBB50_395:                             ;   in Loop: Header=BB50_4 Depth=1
	v_cmp_neq_f32_e64 s7, 0x7f800000, |v7|
                                        ; implicit-def: $vgpr12
	s_delay_alu instid0(VALU_DEP_1) | instskip(NEXT) | instid1(SALU_CYCLE_1)
	s_and_saveexec_b32 s8, s7
	s_xor_b32 s7, exec_lo, s8
	s_cbranch_execz .LBB50_405
; %bb.396:                              ;   in Loop: Header=BB50_4 Depth=1
	v_cmp_neq_f32_e64 s8, 0x7f800000, |v8|
                                        ; implicit-def: $vgpr12
	s_delay_alu instid0(VALU_DEP_1) | instskip(NEXT) | instid1(SALU_CYCLE_1)
	s_and_saveexec_b32 s9, s8
	s_xor_b32 s8, exec_lo, s9
	s_cbranch_execz .LBB50_402
; %bb.397:                              ;   in Loop: Header=BB50_4 Depth=1
	s_mov_b32 s9, exec_lo
                                        ; implicit-def: $vgpr12
	v_cmpx_neq_f32_e32 0, v7
	s_xor_b32 s9, exec_lo, s9
; %bb.398:                              ;   in Loop: Header=BB50_4 Depth=1
	v_add_f32_e32 v8, 0, v8
	s_delay_alu instid0(VALU_DEP_1)
	v_add_f32_e32 v12, v8, v7
                                        ; implicit-def: $vgpr8
; %bb.399:                              ;   in Loop: Header=BB50_4 Depth=1
	s_or_saveexec_b32 s9, s9
	s_waitcnt vmcnt(0) lgkmcnt(0)
	s_delay_alu instid0(VALU_DEP_1)
	v_mov_b32_e32 v11, v12
	s_xor_b32 exec_lo, exec_lo, s9
	s_cbranch_execz .LBB50_401
; %bb.400:                              ;   in Loop: Header=BB50_4 Depth=1
	v_dual_mov_b32 v11, s16 :: v_dual_mov_b32 v12, s17
	flat_load_b32 v7, v[11:12] glc dlc
	s_waitcnt vmcnt(0) lgkmcnt(0)
	v_dual_add_f32 v12, v8, v8 :: v_dual_add_f32 v11, 0x3fc90fdb, v7
.LBB50_401:                             ;   in Loop: Header=BB50_4 Depth=1
	s_or_b32 exec_lo, exec_lo, s9
                                        ; implicit-def: $vgpr7
.LBB50_402:                             ;   in Loop: Header=BB50_4 Depth=1
	s_and_not1_saveexec_b32 s8, s8
	s_cbranch_execz .LBB50_404
; %bb.403:                              ;   in Loop: Header=BB50_4 Depth=1
	s_waitcnt vmcnt(0) lgkmcnt(0)
	v_add_f32_e32 v11, v7, v7
	v_xor_b32_e32 v12, 0x80000000, v8
.LBB50_404:                             ;   in Loop: Header=BB50_4 Depth=1
	s_or_b32 exec_lo, exec_lo, s8
                                        ; implicit-def: $vgpr8
.LBB50_405:                             ;   in Loop: Header=BB50_4 Depth=1
	s_and_not1_saveexec_b32 s7, s7
	s_cbranch_execz .LBB50_407
; %bb.406:                              ;   in Loop: Header=BB50_4 Depth=1
	s_waitcnt vmcnt(0) lgkmcnt(0)
	v_dual_add_f32 v11, v8, v8 :: v_dual_mov_b32 v12, 0xff800000
.LBB50_407:                             ;   in Loop: Header=BB50_4 Depth=1
	s_or_b32 exec_lo, exec_lo, s7
	s_delay_alu instid0(SALU_CYCLE_1) | instskip(SKIP_1) | instid1(SALU_CYCLE_1)
	s_or_b32 exec_lo, exec_lo, s6
	s_and_saveexec_b32 s6, s2
	s_xor_b32 s2, exec_lo, s6
	s_cbranch_execz .LBB50_309
.LBB50_408:                             ;   in Loop: Header=BB50_4 Depth=1
	v_add_co_u32 v7, s6, s26, v1
	s_delay_alu instid0(VALU_DEP_1)
	v_add_co_ci_u32_e64 v8, null, s27, 0, s6
	s_waitcnt vmcnt(0) lgkmcnt(3)
	global_store_b64 v[7:8], v[9:10], off
	s_or_b32 exec_lo, exec_lo, s2
	s_and_saveexec_b32 s2, s3
	s_cbranch_execz .LBB50_310
.LBB50_409:                             ;   in Loop: Header=BB50_4 Depth=1
	v_add_co_u32 v7, s3, s26, v20
	s_delay_alu instid0(VALU_DEP_1)
	v_add_co_ci_u32_e64 v8, null, s27, 0, s3
	s_waitcnt vmcnt(0) lgkmcnt(2)
	global_store_b64 v[7:8], v[13:14], off
	s_or_b32 exec_lo, exec_lo, s2
	s_and_saveexec_b32 s2, s4
	s_cbranch_execz .LBB50_311
.LBB50_410:                             ;   in Loop: Header=BB50_4 Depth=1
	v_add_co_u32 v7, vcc_lo, s26, v22
	v_add_co_ci_u32_e32 v8, vcc_lo, s27, v21, vcc_lo
	s_waitcnt vmcnt(0) lgkmcnt(1)
	global_store_b64 v[7:8], v[15:16], off offset:-4
	s_or_b32 exec_lo, exec_lo, s2
	s_and_saveexec_b32 s2, s5
	s_cbranch_execz .LBB50_3
.LBB50_411:                             ;   in Loop: Header=BB50_4 Depth=1
	v_add_co_u32 v7, vcc_lo, s26, v3
	v_add_co_ci_u32_e32 v8, vcc_lo, s27, v4, vcc_lo
	s_waitcnt vmcnt(0) lgkmcnt(0)
	global_store_b64 v[7:8], v[11:12], off offset:-4
	s_branch .LBB50_3
.LBB50_412:
	s_cbranch_execz .LBB50_414
	s_branch .LBB50_809
.LBB50_413:
.LBB50_414:
	v_dual_mov_b32 v2, 0 :: v_dual_lshlrev_b32 v1, 2, v0
	s_mov_b32 s5, 0
	s_mov_b32 s2, exec_lo
	s_delay_alu instid0(VALU_DEP_1)
	v_cmpx_gt_i64_e64 s[14:15], v[1:2]
	s_cbranch_execz .LBB50_809
; %bb.415:
	s_mov_b64 s[8:9], src_private_base
	s_mov_b32 s8, 8
	v_dual_mov_b32 v1, v2 :: v_dual_mov_b32 v18, 0x248d3132
	s_waitcnt vmcnt(0) lgkmcnt(1)
	v_dual_mov_b32 v15, s9 :: v_dual_mov_b32 v14, s8
	v_mov_b32_e32 v19, 0xd800000
	v_mov_b32_e32 v20, 0x4016cbe4
	s_add_u32 s6, s0, 0xd30
	s_addc_u32 s7, s1, 0
	s_mov_b32 s10, 0
	s_mov_b32 s11, s9
	;; [unrolled: 1-line block ×7, first 2 shown]
	s_branch .LBB50_418
.LBB50_416:                             ;   in Loop: Header=BB50_418 Depth=1
	s_or_b32 exec_lo, exec_lo, s1
.LBB50_417:                             ;   in Loop: Header=BB50_418 Depth=1
	s_delay_alu instid0(SALU_CYCLE_1)
	s_or_b32 exec_lo, exec_lo, s0
	s_waitcnt lgkmcnt(2)
	global_store_b128 v[16:17], v[6:9], off
	s_waitcnt vmcnt(0) lgkmcnt(1)
	global_store_b128 v[16:17], v[10:13], off offset:16
	s_load_b32 s0, s[6:7], 0xc
	s_waitcnt lgkmcnt(0)
	s_and_b32 s0, s0, 0xffff
	s_delay_alu instid0(SALU_CYCLE_1) | instskip(SKIP_1) | instid1(VALU_DEP_1)
	v_add_co_u32 v0, vcc_lo, v0, s0
	v_add_co_ci_u32_e32 v1, vcc_lo, 0, v1, vcc_lo
	v_lshlrev_b64 v[2:3], 2, v[0:1]
	s_delay_alu instid0(VALU_DEP_1) | instskip(SKIP_1) | instid1(VALU_DEP_1)
	v_cmp_le_i64_e32 vcc_lo, s[14:15], v[2:3]
	v_cmp_lt_u64_e64 s0, 0xffff, v[2:3]
	s_or_b32 s0, vcc_lo, s0
	s_delay_alu instid0(SALU_CYCLE_1) | instskip(NEXT) | instid1(SALU_CYCLE_1)
	s_and_b32 s0, exec_lo, s0
	s_or_b32 s5, s0, s5
	s_delay_alu instid0(SALU_CYCLE_1)
	s_and_not1_b32 exec_lo, exec_lo, s5
	s_cbranch_execz .LBB50_809
.LBB50_418:                             ; =>This Inner Loop Header: Depth=1
	v_lshlrev_b64 v[2:3], 5, v[0:1]
                                        ; implicit-def: $vgpr7
	s_delay_alu instid0(VALU_DEP_1) | instskip(NEXT) | instid1(VALU_DEP_2)
	v_add_co_u32 v16, vcc_lo, s12, v2
	v_add_co_ci_u32_e32 v17, vcc_lo, s13, v3, vcc_lo
	s_waitcnt lgkmcnt(0)
	s_clause 0x1
	global_load_b128 v[10:13], v[16:17], off
	global_load_b128 v[2:5], v[16:17], off offset:16
	flat_store_b32 v[14:15], v18 dlc
	s_waitcnt_vscnt null, 0x0
	s_waitcnt vmcnt(1)
	v_cmp_o_f32_e32 vcc_lo, v10, v10
	v_cmp_o_f32_e64 s0, v11, v11
	s_delay_alu instid0(VALU_DEP_1) | instskip(NEXT) | instid1(SALU_CYCLE_1)
	s_and_b32 s0, vcc_lo, s0
	s_and_saveexec_b32 s1, s0
	s_delay_alu instid0(SALU_CYCLE_1)
	s_xor_b32 s21, exec_lo, s1
	s_cbranch_execz .LBB50_502
; %bb.419:                              ;   in Loop: Header=BB50_418 Depth=1
	v_max_f32_e64 v9, |v11|, |v11|
	v_max_f32_e64 v21, |v10|, |v10|
	v_cmp_gt_i32_e64 s1, 0, v10
	v_cmp_lt_i32_e64 s2, -1, v10
	v_cmp_gt_i32_e64 s0, 0, v11
                                        ; implicit-def: $vgpr7
	s_mov_b32 s3, exec_lo
	v_max_f32_e32 v8, v21, v9
	s_delay_alu instid0(VALU_DEP_1)
	v_cmpx_nlt_f32_e32 0x4b000000, v8
	s_xor_b32 s22, exec_lo, s3
	s_cbranch_execz .LBB50_491
; %bb.420:                              ;   in Loop: Header=BB50_418 Depth=1
	v_cmp_neq_f32_e32 vcc_lo, 1.0, v10
	v_cmp_neq_f32_e64 s3, 0, v11
                                        ; implicit-def: $vgpr7
	s_delay_alu instid0(VALU_DEP_1) | instskip(NEXT) | instid1(SALU_CYCLE_1)
	s_or_b32 s3, vcc_lo, s3
	s_and_saveexec_b32 s4, s3
	s_delay_alu instid0(SALU_CYCLE_1)
	s_xor_b32 s23, exec_lo, s4
	s_cbranch_execz .LBB50_488
; %bb.421:                              ;   in Loop: Header=BB50_418 Depth=1
	v_dual_mov_b32 v6, s10 :: v_dual_mov_b32 v7, s11
	v_cmp_ngt_f32_e64 s3, 0x395db3d7, |v10|
	v_cmp_ngt_f32_e64 s4, 0x395db3d7, |v11|
	flat_store_b32 v[6:7], v19 dlc
	s_waitcnt_vscnt null, 0x0
	flat_load_b32 v6, v[6:7] glc dlc
	s_waitcnt vmcnt(0)
	s_or_b32 s3, s3, s4
	s_waitcnt lgkmcnt(0)
	v_add_f32_e32 v8, 1.0, v6
	v_dual_mov_b32 v6, s16 :: v_dual_mov_b32 v7, s17
	flat_store_b32 v[6:7], v8 dlc
	s_waitcnt_vscnt null, 0x0
	flat_load_b32 v6, v[6:7] glc dlc
	s_waitcnt vmcnt(0)
                                        ; implicit-def: $vgpr7
	s_and_saveexec_b32 s4, s3
	s_delay_alu instid0(SALU_CYCLE_1)
	s_xor_b32 s24, exec_lo, s4
	s_cbranch_execz .LBB50_485
; %bb.422:                              ;   in Loop: Header=BB50_418 Depth=1
	v_add_f32_e64 v8, |v10|, 1.0
	v_add_f32_e64 v7, |v10|, -1.0
	s_mov_b32 s3, exec_lo
	s_waitcnt vmcnt(0) lgkmcnt(0)
	s_delay_alu instid0(VALU_DEP_2) | instskip(NEXT) | instid1(VALU_DEP_2)
	v_max_f32_e64 v6, v9, |v8|
	v_max_f32_e64 v9, v9, |v7|
	s_delay_alu instid0(VALU_DEP_2) | instskip(NEXT) | instid1(VALU_DEP_2)
	v_cvt_f64_f32_e32 v[21:22], v6
	v_cvt_f64_f32_e32 v[23:24], v9
	v_cmp_neq_f32_e32 vcc_lo, 0x7f800000, v6
	s_delay_alu instid0(VALU_DEP_3) | instskip(NEXT) | instid1(VALU_DEP_3)
	v_frexp_exp_i32_f64_e32 v21, v[21:22]
	v_frexp_exp_i32_f64_e32 v22, v[23:24]
	s_delay_alu instid0(VALU_DEP_2) | instskip(NEXT) | instid1(VALU_DEP_2)
	v_sub_nc_u32_e32 v23, 0, v21
	v_sub_nc_u32_e32 v24, 0, v22
	s_delay_alu instid0(VALU_DEP_2) | instskip(NEXT) | instid1(VALU_DEP_2)
	v_ldexp_f32 v25, |v8|, v23
	v_ldexp_f32 v26, |v7|, v24
	;; [unrolled: 1-line block ×4, first 2 shown]
	s_delay_alu instid0(VALU_DEP_3) | instskip(NEXT) | instid1(VALU_DEP_1)
	v_dual_mul_f32 v25, v25, v25 :: v_dual_mul_f32 v26, v26, v26
	v_dual_fmac_f32 v25, v23, v23 :: v_dual_fmac_f32 v26, v24, v24
	s_delay_alu instid0(VALU_DEP_1) | instskip(NEXT) | instid1(VALU_DEP_1)
	v_sqrt_f32_e32 v23, v25
	v_sqrt_f32_e32 v24, v26
	s_waitcnt_depctr 0xfff
	v_ldexp_f32 v21, v23, v21
	v_ldexp_f32 v22, v24, v22
	s_delay_alu instid0(VALU_DEP_2) | instskip(SKIP_1) | instid1(VALU_DEP_3)
	v_cndmask_b32_e32 v23, 0x7f800000, v21, vcc_lo
	v_cmp_neq_f32_e32 vcc_lo, 0x7f800000, v9
                                        ; implicit-def: $vgpr21
	v_cndmask_b32_e32 v9, 0x7f800000, v22, vcc_lo
	s_delay_alu instid0(VALU_DEP_1) | instskip(NEXT) | instid1(VALU_DEP_1)
	v_add_f32_e32 v6, v23, v9
	v_mul_f32_e32 v6, 0.5, v6
	s_delay_alu instid0(VALU_DEP_1) | instskip(SKIP_1) | instid1(VALU_DEP_1)
	v_cmp_ngt_f32_e32 vcc_lo, 1.0, v6
	v_cndmask_b32_e32 v6, 1.0, v6, vcc_lo
	v_cmpx_ngt_f32_e32 0x41200000, v6
	s_xor_b32 s4, exec_lo, s3
	s_cbranch_execz .LBB50_424
; %bb.423:                              ;   in Loop: Header=BB50_418 Depth=1
	v_fma_f32 v21, v6, v6, -1.0
	s_delay_alu instid0(VALU_DEP_1) | instskip(SKIP_1) | instid1(VALU_DEP_2)
	v_mul_f32_e32 v22, 0x4f800000, v21
	v_cmp_gt_f32_e32 vcc_lo, 0xf800000, v21
	v_cndmask_b32_e32 v21, v21, v22, vcc_lo
	s_delay_alu instid0(VALU_DEP_1) | instskip(SKIP_3) | instid1(VALU_DEP_2)
	v_sqrt_f32_e32 v22, v21
	s_waitcnt_depctr 0xfff
	v_add_nc_u32_e32 v24, -1, v22
	v_add_nc_u32_e32 v25, 1, v22
	v_fma_f32 v26, -v24, v22, v21
	s_delay_alu instid0(VALU_DEP_2) | instskip(NEXT) | instid1(VALU_DEP_2)
	v_fma_f32 v27, -v25, v22, v21
	v_cmp_ge_f32_e64 s3, 0, v26
	s_delay_alu instid0(VALU_DEP_1) | instskip(NEXT) | instid1(VALU_DEP_3)
	v_cndmask_b32_e64 v22, v22, v24, s3
	v_cmp_lt_f32_e64 s3, 0, v27
	s_delay_alu instid0(VALU_DEP_1) | instskip(NEXT) | instid1(VALU_DEP_1)
	v_cndmask_b32_e64 v22, v22, v25, s3
	v_mul_f32_e32 v24, 0x37800000, v22
	s_delay_alu instid0(VALU_DEP_1) | instskip(SKIP_1) | instid1(VALU_DEP_2)
	v_cndmask_b32_e32 v22, v22, v24, vcc_lo
	v_cmp_class_f32_e64 vcc_lo, v21, 0x260
	v_cndmask_b32_e32 v21, v22, v21, vcc_lo
	s_delay_alu instid0(VALU_DEP_1) | instskip(NEXT) | instid1(VALU_DEP_1)
	v_add_f32_e32 v21, v6, v21
	v_cmp_gt_f32_e32 vcc_lo, 0x800000, v21
	s_delay_alu instid0(VALU_DEP_4) | instskip(NEXT) | instid1(VALU_DEP_1)
	v_cndmask_b32_e64 v22, 1.0, 0x4f800000, vcc_lo
	v_mul_f32_e32 v21, v21, v22
	s_delay_alu instid0(VALU_DEP_1) | instskip(SKIP_3) | instid1(VALU_DEP_2)
	v_log_f32_e32 v21, v21
	s_waitcnt_depctr 0xfff
	v_mul_f32_e32 v22, 0x3f317217, v21
	v_cmp_gt_f32_e64 s3, 0x7f800000, |v21|
	v_fma_f32 v24, 0x3f317217, v21, -v22
	s_delay_alu instid0(VALU_DEP_1) | instskip(NEXT) | instid1(VALU_DEP_1)
	v_fmac_f32_e32 v24, 0x3377d1cf, v21
	v_add_f32_e32 v22, v22, v24
	s_delay_alu instid0(VALU_DEP_1) | instskip(SKIP_1) | instid1(VALU_DEP_1)
	v_cndmask_b32_e64 v21, v21, v22, s3
	v_cndmask_b32_e64 v22, 0, 0x41b17218, vcc_lo
	v_sub_f32_e32 v21, v21, v22
.LBB50_424:                             ;   in Loop: Header=BB50_418 Depth=1
	s_or_saveexec_b32 s4, s4
	v_and_b32_e32 v22, 0x7fffffff, v11
	s_xor_b32 exec_lo, exec_lo, s4
	s_cbranch_execz .LBB50_446
; %bb.425:                              ;   in Loop: Header=BB50_418 Depth=1
	v_cmp_neq_f32_e64 s3, |v10|, 1.0
	v_cmp_ngt_f32_e64 s25, 0x25000000, |v11|
                                        ; implicit-def: $vgpr21
	s_delay_alu instid0(VALU_DEP_1) | instskip(NEXT) | instid1(SALU_CYCLE_1)
	s_or_b32 s3, s3, s25
	s_and_saveexec_b32 s25, s3
	s_delay_alu instid0(SALU_CYCLE_1)
	s_xor_b32 s25, exec_lo, s25
	s_cbranch_execz .LBB50_443
; %bb.426:                              ;   in Loop: Header=BB50_418 Depth=1
	v_mul_f32_e64 v21, 0x34000000, |v7|
	s_delay_alu instid0(VALU_DEP_1) | instskip(NEXT) | instid1(VALU_DEP_1)
	v_cmp_le_f32_e64 s3, v21, |v11|
                                        ; implicit-def: $vgpr21
	s_and_saveexec_b32 s26, s3
	s_delay_alu instid0(SALU_CYCLE_1)
	s_xor_b32 s26, exec_lo, s26
	s_cbranch_execz .LBB50_436
; %bb.427:                              ;   in Loop: Header=BB50_418 Depth=1
	v_mov_b32_e32 v21, v22
	s_mov_b32 s3, exec_lo
	v_cmpx_neq_f32_e32 0, v8
	s_cbranch_execz .LBB50_429
; %bb.428:                              ;   in Loop: Header=BB50_418 Depth=1
	v_mul_f32_e32 v21, v11, v11
	v_add_f32_e32 v24, v8, v23
	s_delay_alu instid0(VALU_DEP_1) | instskip(NEXT) | instid1(VALU_DEP_1)
	v_div_scale_f32 v25, null, v24, v24, v21
	v_rcp_f32_e32 v26, v25
	s_waitcnt_depctr 0xfff
	v_fma_f32 v27, -v25, v26, 1.0
	s_delay_alu instid0(VALU_DEP_1) | instskip(SKIP_1) | instid1(VALU_DEP_1)
	v_fmac_f32_e32 v26, v27, v26
	v_div_scale_f32 v27, vcc_lo, v21, v24, v21
	v_mul_f32_e32 v28, v27, v26
	s_delay_alu instid0(VALU_DEP_1) | instskip(NEXT) | instid1(VALU_DEP_1)
	v_fma_f32 v29, -v25, v28, v27
	v_fmac_f32_e32 v28, v29, v26
	s_delay_alu instid0(VALU_DEP_1) | instskip(NEXT) | instid1(VALU_DEP_1)
	v_fma_f32 v25, -v25, v28, v27
	v_div_fmas_f32 v25, v25, v26, v28
	s_delay_alu instid0(VALU_DEP_1)
	v_div_fixup_f32 v21, v25, v24, v21
.LBB50_429:                             ;   in Loop: Header=BB50_418 Depth=1
	s_or_b32 exec_lo, exec_lo, s3
	v_sub_f32_e64 v25, 1.0, |v10|
	s_mov_b32 s3, exec_lo
                                        ; implicit-def: $vgpr24
	s_delay_alu instid0(VALU_DEP_1)
	v_cmpx_ngt_f32_e32 0, v25
	s_xor_b32 s3, exec_lo, s3
	s_cbranch_execz .LBB50_433
; %bb.430:                              ;   in Loop: Header=BB50_418 Depth=1
	v_mov_b32_e32 v24, v22
	s_mov_b32 s27, exec_lo
	v_cmpx_neq_f32_e32 0, v25
	s_cbranch_execz .LBB50_432
; %bb.431:                              ;   in Loop: Header=BB50_418 Depth=1
	v_dual_mul_f32 v24, v11, v11 :: v_dual_add_f32 v25, v25, v9
	s_delay_alu instid0(VALU_DEP_1) | instskip(NEXT) | instid1(VALU_DEP_1)
	v_div_scale_f32 v26, null, v25, v25, v24
	v_rcp_f32_e32 v27, v26
	s_waitcnt_depctr 0xfff
	v_fma_f32 v28, -v26, v27, 1.0
	s_delay_alu instid0(VALU_DEP_1) | instskip(SKIP_1) | instid1(VALU_DEP_1)
	v_fmac_f32_e32 v27, v28, v27
	v_div_scale_f32 v28, vcc_lo, v24, v25, v24
	v_mul_f32_e32 v29, v28, v27
	s_delay_alu instid0(VALU_DEP_1) | instskip(NEXT) | instid1(VALU_DEP_1)
	v_fma_f32 v30, -v26, v29, v28
	v_fmac_f32_e32 v29, v30, v27
	s_delay_alu instid0(VALU_DEP_1) | instskip(NEXT) | instid1(VALU_DEP_1)
	v_fma_f32 v26, -v26, v29, v28
	v_div_fmas_f32 v26, v26, v27, v29
	s_delay_alu instid0(VALU_DEP_1)
	v_div_fixup_f32 v24, v26, v25, v24
.LBB50_432:                             ;   in Loop: Header=BB50_418 Depth=1
	s_or_b32 exec_lo, exec_lo, s27
                                        ; implicit-def: $vgpr25
.LBB50_433:                             ;   in Loop: Header=BB50_418 Depth=1
	s_and_not1_saveexec_b32 s3, s3
; %bb.434:                              ;   in Loop: Header=BB50_418 Depth=1
	v_sub_f32_e32 v24, v9, v25
; %bb.435:                              ;   in Loop: Header=BB50_418 Depth=1
	s_or_b32 exec_lo, exec_lo, s3
	s_delay_alu instid0(VALU_DEP_1) | instskip(NEXT) | instid1(VALU_DEP_1)
	v_dual_mul_f32 v24, 0.5, v24 :: v_dual_add_f32 v25, 1.0, v6
	v_fmac_f32_e32 v24, 0.5, v21
	s_delay_alu instid0(VALU_DEP_1) | instskip(NEXT) | instid1(VALU_DEP_1)
	v_mul_f32_e32 v21, v25, v24
	v_mul_f32_e32 v25, 0x4f800000, v21
	v_cmp_gt_f32_e32 vcc_lo, 0xf800000, v21
	s_delay_alu instid0(VALU_DEP_2) | instskip(NEXT) | instid1(VALU_DEP_1)
	v_cndmask_b32_e32 v21, v21, v25, vcc_lo
	v_sqrt_f32_e32 v25, v21
	s_waitcnt_depctr 0xfff
	v_add_nc_u32_e32 v26, -1, v25
	v_add_nc_u32_e32 v27, 1, v25
	s_delay_alu instid0(VALU_DEP_2) | instskip(NEXT) | instid1(VALU_DEP_2)
	v_fma_f32 v28, -v26, v25, v21
	v_fma_f32 v29, -v27, v25, v21
	s_delay_alu instid0(VALU_DEP_2) | instskip(NEXT) | instid1(VALU_DEP_1)
	v_cmp_ge_f32_e64 s3, 0, v28
	v_cndmask_b32_e64 v25, v25, v26, s3
	s_delay_alu instid0(VALU_DEP_3) | instskip(NEXT) | instid1(VALU_DEP_1)
	v_cmp_lt_f32_e64 s3, 0, v29
	v_cndmask_b32_e64 v25, v25, v27, s3
	s_delay_alu instid0(VALU_DEP_1) | instskip(NEXT) | instid1(VALU_DEP_1)
	v_mul_f32_e32 v26, 0x37800000, v25
	v_cndmask_b32_e32 v25, v25, v26, vcc_lo
	v_cmp_class_f32_e64 vcc_lo, v21, 0x260
	s_delay_alu instid0(VALU_DEP_2) | instskip(NEXT) | instid1(VALU_DEP_1)
	v_cndmask_b32_e32 v21, v25, v21, vcc_lo
	v_add_f32_e32 v21, v24, v21
	s_delay_alu instid0(VALU_DEP_1) | instskip(NEXT) | instid1(VALU_DEP_1)
	v_add_f32_e32 v26, 1.0, v21
	v_cvt_f64_f32_e32 v[24:25], v26
	s_delay_alu instid0(VALU_DEP_1) | instskip(SKIP_1) | instid1(VALU_DEP_1)
	v_frexp_exp_i32_f64_e32 v24, v[24:25]
	v_frexp_mant_f32_e32 v25, v26
	v_cmp_gt_f32_e32 vcc_lo, 0x3f2aaaab, v25
	v_add_f32_e32 v25, -1.0, v26
	s_delay_alu instid0(VALU_DEP_1) | instskip(NEXT) | instid1(VALU_DEP_1)
	v_sub_f32_e32 v28, v25, v26
	v_add_f32_e32 v28, 1.0, v28
	v_subrev_co_ci_u32_e32 v24, vcc_lo, 0, v24, vcc_lo
	s_delay_alu instid0(VALU_DEP_1) | instskip(SKIP_1) | instid1(VALU_DEP_2)
	v_sub_nc_u32_e32 v27, 0, v24
	v_cvt_f32_i32_e32 v24, v24
	v_ldexp_f32 v26, v26, v27
	v_sub_f32_e32 v25, v21, v25
	s_delay_alu instid0(VALU_DEP_2) | instskip(NEXT) | instid1(VALU_DEP_1)
	v_add_f32_e32 v29, 1.0, v26
	v_dual_add_f32 v25, v25, v28 :: v_dual_add_f32 v28, -1.0, v29
	s_delay_alu instid0(VALU_DEP_1) | instskip(NEXT) | instid1(VALU_DEP_2)
	v_ldexp_f32 v25, v25, v27
	v_sub_f32_e32 v28, v26, v28
	s_delay_alu instid0(VALU_DEP_1) | instskip(SKIP_1) | instid1(VALU_DEP_2)
	v_dual_add_f32 v28, v25, v28 :: v_dual_add_f32 v27, -1.0, v26
	v_cmp_eq_f32_e32 vcc_lo, 0x7f800000, v21
	v_add_f32_e32 v30, 1.0, v27
	s_delay_alu instid0(VALU_DEP_1) | instskip(NEXT) | instid1(VALU_DEP_4)
	v_sub_f32_e32 v26, v26, v30
	v_add_f32_e32 v30, v29, v28
	s_delay_alu instid0(VALU_DEP_1) | instskip(NEXT) | instid1(VALU_DEP_3)
	v_sub_f32_e32 v29, v30, v29
	v_add_f32_e32 v25, v25, v26
	v_rcp_f32_e32 v26, v30
	s_delay_alu instid0(VALU_DEP_2) | instskip(NEXT) | instid1(VALU_DEP_2)
	v_sub_f32_e32 v28, v28, v29
	v_add_f32_e32 v31, v27, v25
	s_delay_alu instid0(VALU_DEP_1) | instskip(SKIP_2) | instid1(VALU_DEP_1)
	v_sub_f32_e32 v27, v31, v27
	s_waitcnt_depctr 0xfff
	v_dual_mul_f32 v32, v31, v26 :: v_dual_sub_f32 v25, v25, v27
	v_mul_f32_e32 v33, v30, v32
	s_delay_alu instid0(VALU_DEP_1) | instskip(NEXT) | instid1(VALU_DEP_1)
	v_fma_f32 v29, v32, v30, -v33
	v_fmac_f32_e32 v29, v32, v28
	s_delay_alu instid0(VALU_DEP_1) | instskip(NEXT) | instid1(VALU_DEP_1)
	v_add_f32_e32 v34, v33, v29
	v_sub_f32_e32 v35, v31, v34
	s_delay_alu instid0(VALU_DEP_1) | instskip(SKIP_1) | instid1(VALU_DEP_2)
	v_sub_f32_e32 v31, v31, v35
	v_sub_f32_e32 v27, v34, v33
	;; [unrolled: 1-line block ×3, first 2 shown]
	s_delay_alu instid0(VALU_DEP_2) | instskip(NEXT) | instid1(VALU_DEP_2)
	v_sub_f32_e32 v27, v27, v29
	v_add_f32_e32 v25, v25, v31
	s_delay_alu instid0(VALU_DEP_1) | instskip(NEXT) | instid1(VALU_DEP_1)
	v_add_f32_e32 v25, v27, v25
	v_add_f32_e32 v27, v35, v25
	s_delay_alu instid0(VALU_DEP_1) | instskip(NEXT) | instid1(VALU_DEP_1)
	v_mul_f32_e32 v29, v26, v27
	v_dual_sub_f32 v34, v35, v27 :: v_dual_mul_f32 v31, v30, v29
	s_delay_alu instid0(VALU_DEP_1) | instskip(NEXT) | instid1(VALU_DEP_2)
	v_add_f32_e32 v25, v25, v34
	v_fma_f32 v30, v29, v30, -v31
	s_delay_alu instid0(VALU_DEP_1) | instskip(NEXT) | instid1(VALU_DEP_1)
	v_fmac_f32_e32 v30, v29, v28
	v_add_f32_e32 v28, v31, v30
	s_delay_alu instid0(VALU_DEP_1) | instskip(SKIP_1) | instid1(VALU_DEP_2)
	v_sub_f32_e32 v33, v27, v28
	v_sub_f32_e32 v31, v28, v31
	;; [unrolled: 1-line block ×3, first 2 shown]
	s_delay_alu instid0(VALU_DEP_1) | instskip(NEXT) | instid1(VALU_DEP_1)
	v_sub_f32_e32 v27, v27, v28
	v_dual_sub_f32 v28, v31, v30 :: v_dual_add_f32 v25, v25, v27
	v_add_f32_e32 v27, v32, v29
	s_delay_alu instid0(VALU_DEP_1) | instskip(NEXT) | instid1(VALU_DEP_1)
	v_dual_add_f32 v25, v28, v25 :: v_dual_sub_f32 v28, v27, v32
	v_add_f32_e32 v25, v33, v25
	s_delay_alu instid0(VALU_DEP_1) | instskip(NEXT) | instid1(VALU_DEP_1)
	v_dual_sub_f32 v28, v29, v28 :: v_dual_mul_f32 v25, v26, v25
	v_add_f32_e32 v25, v28, v25
	s_delay_alu instid0(VALU_DEP_1) | instskip(NEXT) | instid1(VALU_DEP_1)
	v_add_f32_e32 v26, v27, v25
	v_mul_f32_e32 v28, v26, v26
	s_delay_alu instid0(VALU_DEP_1) | instskip(SKIP_1) | instid1(VALU_DEP_2)
	v_fmaak_f32 v29, s18, v28, 0x3ecc95a3
	v_mul_f32_e32 v30, v26, v28
	v_fmaak_f32 v28, v28, v29, 0x3f2aaada
	v_ldexp_f32 v29, v26, 1
	v_sub_f32_e32 v26, v26, v27
	s_delay_alu instid0(VALU_DEP_3) | instskip(NEXT) | instid1(VALU_DEP_2)
	v_mul_f32_e32 v28, v30, v28
	v_dual_mul_f32 v30, 0x3f317218, v24 :: v_dual_sub_f32 v25, v25, v26
	s_delay_alu instid0(VALU_DEP_2) | instskip(NEXT) | instid1(VALU_DEP_2)
	v_add_f32_e32 v27, v29, v28
	v_ldexp_f32 v25, v25, 1
	s_delay_alu instid0(VALU_DEP_2) | instskip(NEXT) | instid1(VALU_DEP_4)
	v_sub_f32_e32 v26, v27, v29
	v_fma_f32 v29, 0x3f317218, v24, -v30
	s_delay_alu instid0(VALU_DEP_1) | instskip(NEXT) | instid1(VALU_DEP_1)
	v_dual_sub_f32 v26, v28, v26 :: v_dual_fmac_f32 v29, 0xb102e308, v24
	v_dual_add_f32 v24, v25, v26 :: v_dual_add_f32 v25, v30, v29
	s_delay_alu instid0(VALU_DEP_1) | instskip(NEXT) | instid1(VALU_DEP_2)
	v_add_f32_e32 v26, v27, v24
	v_sub_f32_e32 v30, v25, v30
	s_delay_alu instid0(VALU_DEP_2) | instskip(NEXT) | instid1(VALU_DEP_2)
	v_dual_add_f32 v28, v25, v26 :: v_dual_sub_f32 v27, v26, v27
	v_sub_f32_e32 v29, v29, v30
	s_delay_alu instid0(VALU_DEP_2) | instskip(NEXT) | instid1(VALU_DEP_3)
	v_sub_f32_e32 v31, v28, v25
	v_sub_f32_e32 v24, v24, v27
	s_delay_alu instid0(VALU_DEP_2) | instskip(NEXT) | instid1(VALU_DEP_2)
	v_sub_f32_e32 v32, v28, v31
	v_dual_sub_f32 v26, v26, v31 :: v_dual_add_f32 v27, v29, v24
	s_delay_alu instid0(VALU_DEP_2) | instskip(NEXT) | instid1(VALU_DEP_1)
	v_sub_f32_e32 v25, v25, v32
	v_add_f32_e32 v25, v26, v25
	s_delay_alu instid0(VALU_DEP_3) | instskip(NEXT) | instid1(VALU_DEP_2)
	v_sub_f32_e32 v26, v27, v29
	v_add_f32_e32 v25, v27, v25
	s_delay_alu instid0(VALU_DEP_2) | instskip(SKIP_1) | instid1(VALU_DEP_2)
	v_sub_f32_e32 v27, v27, v26
	v_sub_f32_e32 v24, v24, v26
	v_dual_add_f32 v30, v28, v25 :: v_dual_sub_f32 v27, v29, v27
	s_delay_alu instid0(VALU_DEP_1) | instskip(NEXT) | instid1(VALU_DEP_1)
	v_sub_f32_e32 v26, v30, v28
	v_dual_add_f32 v24, v24, v27 :: v_dual_sub_f32 v25, v25, v26
	s_delay_alu instid0(VALU_DEP_1) | instskip(NEXT) | instid1(VALU_DEP_1)
	v_add_f32_e32 v24, v24, v25
	v_add_f32_e32 v24, v30, v24
	s_delay_alu instid0(VALU_DEP_1) | instskip(SKIP_1) | instid1(VALU_DEP_2)
	v_cndmask_b32_e32 v24, v24, v21, vcc_lo
	v_cmp_ngt_f32_e32 vcc_lo, -1.0, v21
	v_cndmask_b32_e32 v24, 0x7fc00000, v24, vcc_lo
	v_cmp_neq_f32_e32 vcc_lo, -1.0, v21
	s_delay_alu instid0(VALU_DEP_2) | instskip(SKIP_1) | instid1(VALU_DEP_2)
	v_cndmask_b32_e32 v24, 0xff800000, v24, vcc_lo
	v_cmp_gt_f32_e64 vcc_lo, 0x33800000, |v21|
	v_cndmask_b32_e32 v21, v24, v21, vcc_lo
.LBB50_436:                             ;   in Loop: Header=BB50_418 Depth=1
	s_and_not1_saveexec_b32 s26, s26
	s_cbranch_execz .LBB50_442
; %bb.437:                              ;   in Loop: Header=BB50_418 Depth=1
	s_mov_b32 s27, exec_lo
                                        ; implicit-def: $vgpr21
	v_cmpx_nlt_f32_e64 |v10|, 1.0
	s_xor_b32 s27, exec_lo, s27
	s_cbranch_execz .LBB50_439
; %bb.438:                              ;   in Loop: Header=BB50_418 Depth=1
	v_mul_f32_e32 v21, v7, v8
	s_delay_alu instid0(VALU_DEP_1) | instskip(SKIP_1) | instid1(VALU_DEP_2)
	v_mul_f32_e32 v24, 0x4f800000, v21
	v_cmp_gt_f32_e32 vcc_lo, 0xf800000, v21
	v_cndmask_b32_e32 v21, v21, v24, vcc_lo
	s_delay_alu instid0(VALU_DEP_1) | instskip(SKIP_3) | instid1(VALU_DEP_2)
	v_sqrt_f32_e32 v24, v21
	s_waitcnt_depctr 0xfff
	v_add_nc_u32_e32 v25, -1, v24
	v_add_nc_u32_e32 v26, 1, v24
	v_fma_f32 v27, -v25, v24, v21
	s_delay_alu instid0(VALU_DEP_2) | instskip(NEXT) | instid1(VALU_DEP_2)
	v_fma_f32 v28, -v26, v24, v21
	v_cmp_ge_f32_e64 s3, 0, v27
	s_delay_alu instid0(VALU_DEP_1) | instskip(NEXT) | instid1(VALU_DEP_3)
	v_cndmask_b32_e64 v24, v24, v25, s3
	v_cmp_lt_f32_e64 s3, 0, v28
	s_delay_alu instid0(VALU_DEP_1) | instskip(NEXT) | instid1(VALU_DEP_1)
	v_cndmask_b32_e64 v24, v24, v26, s3
	v_mul_f32_e32 v25, 0x37800000, v24
	s_delay_alu instid0(VALU_DEP_1) | instskip(SKIP_1) | instid1(VALU_DEP_2)
	v_cndmask_b32_e32 v24, v24, v25, vcc_lo
	v_cmp_class_f32_e64 vcc_lo, v21, 0x260
	v_cndmask_b32_e32 v21, v24, v21, vcc_lo
	s_delay_alu instid0(VALU_DEP_1) | instskip(NEXT) | instid1(VALU_DEP_1)
	v_add_f32_e32 v21, v7, v21
	v_add_f32_e32 v26, 1.0, v21
	s_delay_alu instid0(VALU_DEP_1) | instskip(NEXT) | instid1(VALU_DEP_1)
	v_cvt_f64_f32_e32 v[24:25], v26
	v_frexp_exp_i32_f64_e32 v24, v[24:25]
	v_frexp_mant_f32_e32 v25, v26
	s_delay_alu instid0(VALU_DEP_1) | instskip(SKIP_1) | instid1(VALU_DEP_1)
	v_cmp_gt_f32_e32 vcc_lo, 0x3f2aaaab, v25
	v_add_f32_e32 v25, -1.0, v26
	v_sub_f32_e32 v28, v25, v26
	s_delay_alu instid0(VALU_DEP_1) | instskip(SKIP_2) | instid1(VALU_DEP_2)
	v_dual_sub_f32 v25, v21, v25 :: v_dual_add_f32 v28, 1.0, v28
	v_subrev_co_ci_u32_e32 v24, vcc_lo, 0, v24, vcc_lo
	v_cmp_eq_f32_e32 vcc_lo, 0x7f800000, v21
	v_sub_nc_u32_e32 v27, 0, v24
	v_cvt_f32_i32_e32 v24, v24
	s_delay_alu instid0(VALU_DEP_2) | instskip(SKIP_1) | instid1(VALU_DEP_2)
	v_ldexp_f32 v26, v26, v27
	v_add_f32_e32 v25, v25, v28
	v_add_f32_e32 v29, 1.0, v26
	s_delay_alu instid0(VALU_DEP_2) | instskip(NEXT) | instid1(VALU_DEP_2)
	v_ldexp_f32 v25, v25, v27
	v_add_f32_e32 v28, -1.0, v29
	s_delay_alu instid0(VALU_DEP_1) | instskip(NEXT) | instid1(VALU_DEP_1)
	v_dual_sub_f32 v28, v26, v28 :: v_dual_add_f32 v27, -1.0, v26
	v_add_f32_e32 v28, v25, v28
	s_delay_alu instid0(VALU_DEP_2) | instskip(NEXT) | instid1(VALU_DEP_1)
	v_add_f32_e32 v30, 1.0, v27
	v_sub_f32_e32 v26, v26, v30
	s_delay_alu instid0(VALU_DEP_1) | instskip(NEXT) | instid1(VALU_DEP_1)
	v_add_f32_e32 v25, v25, v26
	v_dual_add_f32 v30, v29, v28 :: v_dual_add_f32 v31, v27, v25
	s_delay_alu instid0(VALU_DEP_1) | instskip(SKIP_1) | instid1(VALU_DEP_1)
	v_rcp_f32_e32 v26, v30
	v_sub_f32_e32 v29, v30, v29
	v_dual_sub_f32 v27, v31, v27 :: v_dual_sub_f32 v28, v28, v29
	s_waitcnt_depctr 0xfff
	v_dual_sub_f32 v25, v25, v27 :: v_dual_mul_f32 v32, v31, v26
	s_delay_alu instid0(VALU_DEP_1) | instskip(NEXT) | instid1(VALU_DEP_1)
	v_mul_f32_e32 v33, v30, v32
	v_fma_f32 v29, v32, v30, -v33
	s_delay_alu instid0(VALU_DEP_1) | instskip(NEXT) | instid1(VALU_DEP_1)
	v_fmac_f32_e32 v29, v32, v28
	v_add_f32_e32 v34, v33, v29
	s_delay_alu instid0(VALU_DEP_1) | instskip(SKIP_1) | instid1(VALU_DEP_2)
	v_sub_f32_e32 v35, v31, v34
	v_sub_f32_e32 v27, v34, v33
	;; [unrolled: 1-line block ×3, first 2 shown]
	s_delay_alu instid0(VALU_DEP_2) | instskip(NEXT) | instid1(VALU_DEP_2)
	v_sub_f32_e32 v27, v27, v29
	v_sub_f32_e32 v31, v31, v34
	s_delay_alu instid0(VALU_DEP_1) | instskip(NEXT) | instid1(VALU_DEP_1)
	v_add_f32_e32 v25, v25, v31
	v_add_f32_e32 v25, v27, v25
	s_delay_alu instid0(VALU_DEP_1) | instskip(NEXT) | instid1(VALU_DEP_1)
	v_add_f32_e32 v27, v35, v25
	v_mul_f32_e32 v29, v26, v27
	s_delay_alu instid0(VALU_DEP_1) | instskip(NEXT) | instid1(VALU_DEP_1)
	v_mul_f32_e32 v31, v30, v29
	v_fma_f32 v30, v29, v30, -v31
	s_delay_alu instid0(VALU_DEP_1) | instskip(SKIP_1) | instid1(VALU_DEP_2)
	v_fmac_f32_e32 v30, v29, v28
	v_sub_f32_e32 v34, v35, v27
	v_add_f32_e32 v28, v31, v30
	s_delay_alu instid0(VALU_DEP_2) | instskip(NEXT) | instid1(VALU_DEP_2)
	v_add_f32_e32 v25, v25, v34
	v_sub_f32_e32 v33, v27, v28
	v_sub_f32_e32 v31, v28, v31
	s_delay_alu instid0(VALU_DEP_2) | instskip(NEXT) | instid1(VALU_DEP_1)
	v_sub_f32_e32 v27, v27, v33
	v_sub_f32_e32 v27, v27, v28
	s_delay_alu instid0(VALU_DEP_1) | instskip(SKIP_1) | instid1(VALU_DEP_1)
	v_dual_sub_f32 v28, v31, v30 :: v_dual_add_f32 v25, v25, v27
	v_add_f32_e32 v27, v32, v29
	v_dual_add_f32 v25, v28, v25 :: v_dual_sub_f32 v28, v27, v32
	s_delay_alu instid0(VALU_DEP_1) | instskip(NEXT) | instid1(VALU_DEP_1)
	v_add_f32_e32 v25, v33, v25
	v_dual_sub_f32 v28, v29, v28 :: v_dual_mul_f32 v25, v26, v25
	s_delay_alu instid0(VALU_DEP_1) | instskip(NEXT) | instid1(VALU_DEP_1)
	v_add_f32_e32 v25, v28, v25
	v_add_f32_e32 v26, v27, v25
	s_delay_alu instid0(VALU_DEP_1) | instskip(NEXT) | instid1(VALU_DEP_1)
	v_mul_f32_e32 v28, v26, v26
	v_fmaak_f32 v29, s18, v28, 0x3ecc95a3
	v_mul_f32_e32 v30, v26, v28
	s_delay_alu instid0(VALU_DEP_2) | instskip(SKIP_2) | instid1(VALU_DEP_3)
	v_fmaak_f32 v28, v28, v29, 0x3f2aaada
	v_ldexp_f32 v29, v26, 1
	v_sub_f32_e32 v26, v26, v27
	v_mul_f32_e32 v28, v30, v28
	s_delay_alu instid0(VALU_DEP_2) | instskip(NEXT) | instid1(VALU_DEP_2)
	v_dual_mul_f32 v30, 0x3f317218, v24 :: v_dual_sub_f32 v25, v25, v26
	v_add_f32_e32 v27, v29, v28
	s_delay_alu instid0(VALU_DEP_2) | instskip(NEXT) | instid1(VALU_DEP_2)
	v_ldexp_f32 v25, v25, 1
	v_sub_f32_e32 v26, v27, v29
	s_delay_alu instid0(VALU_DEP_4) | instskip(NEXT) | instid1(VALU_DEP_1)
	v_fma_f32 v29, 0x3f317218, v24, -v30
	v_dual_sub_f32 v26, v28, v26 :: v_dual_fmac_f32 v29, 0xb102e308, v24
	s_delay_alu instid0(VALU_DEP_1) | instskip(NEXT) | instid1(VALU_DEP_1)
	v_dual_add_f32 v24, v25, v26 :: v_dual_add_f32 v25, v30, v29
	v_add_f32_e32 v26, v27, v24
	s_delay_alu instid0(VALU_DEP_2) | instskip(NEXT) | instid1(VALU_DEP_2)
	v_sub_f32_e32 v30, v25, v30
	v_dual_add_f32 v28, v25, v26 :: v_dual_sub_f32 v27, v26, v27
	s_delay_alu instid0(VALU_DEP_2) | instskip(NEXT) | instid1(VALU_DEP_2)
	v_sub_f32_e32 v29, v29, v30
	v_sub_f32_e32 v31, v28, v25
	s_delay_alu instid0(VALU_DEP_3) | instskip(NEXT) | instid1(VALU_DEP_2)
	v_sub_f32_e32 v24, v24, v27
	v_sub_f32_e32 v32, v28, v31
	s_delay_alu instid0(VALU_DEP_2) | instskip(NEXT) | instid1(VALU_DEP_2)
	v_dual_sub_f32 v26, v26, v31 :: v_dual_add_f32 v27, v29, v24
	v_sub_f32_e32 v25, v25, v32
	s_delay_alu instid0(VALU_DEP_1) | instskip(NEXT) | instid1(VALU_DEP_3)
	v_add_f32_e32 v25, v26, v25
	v_sub_f32_e32 v26, v27, v29
	s_delay_alu instid0(VALU_DEP_2) | instskip(NEXT) | instid1(VALU_DEP_2)
	v_add_f32_e32 v25, v27, v25
	v_sub_f32_e32 v27, v27, v26
	v_sub_f32_e32 v24, v24, v26
	s_delay_alu instid0(VALU_DEP_2) | instskip(NEXT) | instid1(VALU_DEP_1)
	v_dual_add_f32 v30, v28, v25 :: v_dual_sub_f32 v27, v29, v27
	v_sub_f32_e32 v26, v30, v28
	s_delay_alu instid0(VALU_DEP_1) | instskip(NEXT) | instid1(VALU_DEP_1)
	v_dual_add_f32 v24, v24, v27 :: v_dual_sub_f32 v25, v25, v26
	v_add_f32_e32 v24, v24, v25
	s_delay_alu instid0(VALU_DEP_1) | instskip(NEXT) | instid1(VALU_DEP_1)
	v_add_f32_e32 v24, v30, v24
	v_cndmask_b32_e32 v24, v24, v21, vcc_lo
	v_cmp_ngt_f32_e32 vcc_lo, -1.0, v21
	s_delay_alu instid0(VALU_DEP_2) | instskip(SKIP_1) | instid1(VALU_DEP_2)
	v_cndmask_b32_e32 v24, 0x7fc00000, v24, vcc_lo
	v_cmp_neq_f32_e32 vcc_lo, -1.0, v21
	v_cndmask_b32_e32 v24, 0xff800000, v24, vcc_lo
	v_cmp_gt_f32_e64 vcc_lo, 0x33800000, |v21|
	s_delay_alu instid0(VALU_DEP_2)
	v_cndmask_b32_e32 v21, v24, v21, vcc_lo
.LBB50_439:                             ;   in Loop: Header=BB50_418 Depth=1
	s_and_not1_saveexec_b32 s27, s27
	s_cbranch_execz .LBB50_441
; %bb.440:                              ;   in Loop: Header=BB50_418 Depth=1
	v_sub_f32_e64 v21, 1.0, |v10|
	s_delay_alu instid0(VALU_DEP_1) | instskip(NEXT) | instid1(VALU_DEP_1)
	v_mul_f32_e32 v21, v21, v8
	v_mul_f32_e32 v24, 0x4f800000, v21
	v_cmp_gt_f32_e32 vcc_lo, 0xf800000, v21
	s_delay_alu instid0(VALU_DEP_2) | instskip(NEXT) | instid1(VALU_DEP_1)
	v_cndmask_b32_e32 v21, v21, v24, vcc_lo
	v_sqrt_f32_e32 v24, v21
	s_waitcnt_depctr 0xfff
	v_add_nc_u32_e32 v25, -1, v24
	v_add_nc_u32_e32 v26, 1, v24
	s_delay_alu instid0(VALU_DEP_2) | instskip(NEXT) | instid1(VALU_DEP_2)
	v_fma_f32 v27, -v25, v24, v21
	v_fma_f32 v28, -v26, v24, v21
	s_delay_alu instid0(VALU_DEP_2) | instskip(NEXT) | instid1(VALU_DEP_1)
	v_cmp_ge_f32_e64 s3, 0, v27
	v_cndmask_b32_e64 v24, v24, v25, s3
	s_delay_alu instid0(VALU_DEP_3) | instskip(NEXT) | instid1(VALU_DEP_1)
	v_cmp_lt_f32_e64 s3, 0, v28
	v_cndmask_b32_e64 v24, v24, v26, s3
	s_delay_alu instid0(VALU_DEP_1) | instskip(NEXT) | instid1(VALU_DEP_1)
	v_mul_f32_e32 v25, 0x37800000, v24
	v_cndmask_b32_e32 v24, v24, v25, vcc_lo
	v_cmp_class_f32_e64 vcc_lo, v21, 0x260
	v_and_b32_e32 v25, 0x7fffffff, v11
	s_delay_alu instid0(VALU_DEP_3) | instskip(NEXT) | instid1(VALU_DEP_1)
	v_cndmask_b32_e32 v21, v24, v21, vcc_lo
	v_div_scale_f32 v24, null, v21, v21, v25
	v_div_scale_f32 v25, vcc_lo, v25, v21, v25
	s_delay_alu instid0(VALU_DEP_2) | instskip(SKIP_2) | instid1(VALU_DEP_1)
	v_rcp_f32_e32 v26, v24
	s_waitcnt_depctr 0xfff
	v_fma_f32 v27, -v24, v26, 1.0
	v_fmac_f32_e32 v26, v27, v26
	s_delay_alu instid0(VALU_DEP_1) | instskip(NEXT) | instid1(VALU_DEP_1)
	v_mul_f32_e32 v27, v25, v26
	v_fma_f32 v28, -v24, v27, v25
	s_delay_alu instid0(VALU_DEP_1) | instskip(NEXT) | instid1(VALU_DEP_1)
	v_fmac_f32_e32 v27, v28, v26
	v_fma_f32 v24, -v24, v27, v25
	s_delay_alu instid0(VALU_DEP_1) | instskip(NEXT) | instid1(VALU_DEP_1)
	v_div_fmas_f32 v24, v24, v26, v27
	v_div_fixup_f32 v21, v24, v21, |v11|
.LBB50_441:                             ;   in Loop: Header=BB50_418 Depth=1
	s_or_b32 exec_lo, exec_lo, s27
.LBB50_442:                             ;   in Loop: Header=BB50_418 Depth=1
	s_delay_alu instid0(SALU_CYCLE_1)
	s_or_b32 exec_lo, exec_lo, s26
.LBB50_443:                             ;   in Loop: Header=BB50_418 Depth=1
	s_and_not1_saveexec_b32 s25, s25
	s_cbranch_execz .LBB50_445
; %bb.444:                              ;   in Loop: Header=BB50_418 Depth=1
	v_mul_f32_e64 v21, 0x4f800000, |v11|
	v_cmp_gt_f32_e64 vcc_lo, 0xf800000, |v11|
	s_delay_alu instid0(VALU_DEP_1) | instskip(NEXT) | instid1(VALU_DEP_1)
	v_cndmask_b32_e64 v21, |v11|, v21, vcc_lo
	v_sqrt_f32_e32 v24, v21
	s_waitcnt_depctr 0xfff
	v_add_nc_u32_e32 v25, -1, v24
	v_add_nc_u32_e32 v26, 1, v24
	s_delay_alu instid0(VALU_DEP_2) | instskip(NEXT) | instid1(VALU_DEP_2)
	v_fma_f32 v27, -v25, v24, v21
	v_fma_f32 v28, -v26, v24, v21
	s_delay_alu instid0(VALU_DEP_2) | instskip(NEXT) | instid1(VALU_DEP_1)
	v_cmp_ge_f32_e64 s3, 0, v27
	v_cndmask_b32_e64 v24, v24, v25, s3
	s_delay_alu instid0(VALU_DEP_3) | instskip(NEXT) | instid1(VALU_DEP_1)
	v_cmp_lt_f32_e64 s3, 0, v28
	v_cndmask_b32_e64 v24, v24, v26, s3
	s_delay_alu instid0(VALU_DEP_1) | instskip(NEXT) | instid1(VALU_DEP_1)
	v_mul_f32_e32 v25, 0x37800000, v24
	v_cndmask_b32_e32 v24, v24, v25, vcc_lo
	v_cmp_class_f32_e64 vcc_lo, v21, 0x260
	s_delay_alu instid0(VALU_DEP_2)
	v_cndmask_b32_e32 v21, v24, v21, vcc_lo
.LBB50_445:                             ;   in Loop: Header=BB50_418 Depth=1
	s_or_b32 exec_lo, exec_lo, s25
.LBB50_446:                             ;   in Loop: Header=BB50_418 Depth=1
	s_delay_alu instid0(SALU_CYCLE_1) | instskip(NEXT) | instid1(SALU_CYCLE_1)
	s_or_b32 exec_lo, exec_lo, s4
	s_mov_b32 s25, exec_lo
                                        ; implicit-def: $sgpr3
                                        ; implicit-def: $vgpr24
                                        ; implicit-def: $vgpr26
                                        ; implicit-def: $vgpr25
	v_cmpx_ngt_f32_e64 0x21000000, |v10|
	s_xor_b32 s25, exec_lo, s25
	s_cbranch_execz .LBB50_470
; %bb.447:                              ;   in Loop: Header=BB50_418 Depth=1
	v_and_b32_e32 v25, 0x7fffffff, v10
	s_mov_b32 s3, 0
	s_mov_b32 s26, exec_lo
	s_delay_alu instid0(VALU_DEP_1) | instskip(NEXT) | instid1(VALU_DEP_1)
	v_div_scale_f32 v24, null, v6, v6, v25
	v_rcp_f32_e32 v26, v24
	s_waitcnt_depctr 0xfff
	v_fma_f32 v27, -v24, v26, 1.0
	s_delay_alu instid0(VALU_DEP_1) | instskip(SKIP_1) | instid1(VALU_DEP_1)
	v_fmac_f32_e32 v26, v27, v26
	v_div_scale_f32 v27, vcc_lo, v25, v6, v25
	v_mul_f32_e32 v28, v27, v26
	s_delay_alu instid0(VALU_DEP_1) | instskip(NEXT) | instid1(VALU_DEP_1)
	v_fma_f32 v29, -v24, v28, v27
	v_fmac_f32_e32 v28, v29, v26
	s_delay_alu instid0(VALU_DEP_1) | instskip(NEXT) | instid1(VALU_DEP_1)
	v_fma_f32 v24, -v24, v28, v27
	v_div_fmas_f32 v24, v24, v26, v28
                                        ; implicit-def: $vgpr26
	s_delay_alu instid0(VALU_DEP_1) | instskip(NEXT) | instid1(VALU_DEP_1)
	v_div_fixup_f32 v24, v24, v6, |v10|
	v_cmpx_lt_f32_e32 0x3f244674, v24
	s_cbranch_execz .LBB50_469
; %bb.448:                              ;   in Loop: Header=BB50_418 Depth=1
	v_cmp_neq_f32_e64 s3, |v10|, 1.0
	v_cmp_ngt_f32_e64 s4, 0x30800000, |v11|
                                        ; implicit-def: $sgpr27
                                        ; implicit-def: $vgpr26
	s_delay_alu instid0(VALU_DEP_1) | instskip(NEXT) | instid1(SALU_CYCLE_1)
	s_or_b32 s3, s3, s4
	s_and_saveexec_b32 s4, s3
	s_delay_alu instid0(SALU_CYCLE_1)
	s_xor_b32 s4, exec_lo, s4
	s_cbranch_execz .LBB50_466
; %bb.449:                              ;   in Loop: Header=BB50_418 Depth=1
	v_mul_f32_e64 v26, 0x34000000, |v7|
                                        ; implicit-def: $sgpr27
	s_delay_alu instid0(VALU_DEP_1) | instskip(NEXT) | instid1(VALU_DEP_1)
	v_cmp_le_f32_e64 s3, v26, |v11|
                                        ; implicit-def: $vgpr26
	s_and_saveexec_b32 s28, s3
	s_delay_alu instid0(SALU_CYCLE_1)
	s_xor_b32 s28, exec_lo, s28
	s_cbranch_execz .LBB50_459
; %bb.450:                              ;   in Loop: Header=BB50_418 Depth=1
	v_mov_b32_e32 v26, v22
	s_mov_b32 s3, exec_lo
	v_cmpx_neq_f32_e32 0, v8
	s_cbranch_execz .LBB50_452
; %bb.451:                              ;   in Loop: Header=BB50_418 Depth=1
	v_mul_f32_e32 v26, v11, v11
	v_add_f32_e32 v8, v8, v23
	s_delay_alu instid0(VALU_DEP_1) | instskip(NEXT) | instid1(VALU_DEP_1)
	v_div_scale_f32 v23, null, v8, v8, v26
	v_rcp_f32_e32 v27, v23
	s_waitcnt_depctr 0xfff
	v_fma_f32 v28, -v23, v27, 1.0
	s_delay_alu instid0(VALU_DEP_1) | instskip(SKIP_1) | instid1(VALU_DEP_1)
	v_fmac_f32_e32 v27, v28, v27
	v_div_scale_f32 v28, vcc_lo, v26, v8, v26
	v_mul_f32_e32 v29, v28, v27
	s_delay_alu instid0(VALU_DEP_1) | instskip(NEXT) | instid1(VALU_DEP_1)
	v_fma_f32 v30, -v23, v29, v28
	v_fmac_f32_e32 v29, v30, v27
	s_delay_alu instid0(VALU_DEP_1) | instskip(NEXT) | instid1(VALU_DEP_1)
	v_fma_f32 v23, -v23, v29, v28
	v_div_fmas_f32 v23, v23, v27, v29
	s_delay_alu instid0(VALU_DEP_1)
	v_div_fixup_f32 v26, v23, v8, v26
.LBB50_452:                             ;   in Loop: Header=BB50_418 Depth=1
	s_or_b32 exec_lo, exec_lo, s3
	s_delay_alu instid0(SALU_CYCLE_1)
	s_mov_b32 s3, exec_lo
	v_cmpx_ngt_f32_e32 0, v7
	s_xor_b32 s3, exec_lo, s3
	s_cbranch_execz .LBB50_456
; %bb.453:                              ;   in Loop: Header=BB50_418 Depth=1
	s_mov_b32 s27, exec_lo
	v_cmpx_neq_f32_e32 0, v7
	s_cbranch_execz .LBB50_455
; %bb.454:                              ;   in Loop: Header=BB50_418 Depth=1
	v_mul_f32_e32 v8, v11, v11
	v_add_f32_e32 v7, v7, v9
	s_delay_alu instid0(VALU_DEP_1) | instskip(NEXT) | instid1(VALU_DEP_1)
	v_div_scale_f32 v9, null, v7, v7, v8
	v_rcp_f32_e32 v22, v9
	s_waitcnt_depctr 0xfff
	v_fma_f32 v23, -v9, v22, 1.0
	s_delay_alu instid0(VALU_DEP_1) | instskip(SKIP_1) | instid1(VALU_DEP_1)
	v_fmac_f32_e32 v22, v23, v22
	v_div_scale_f32 v23, vcc_lo, v8, v7, v8
	v_mul_f32_e32 v27, v23, v22
	s_delay_alu instid0(VALU_DEP_1) | instskip(NEXT) | instid1(VALU_DEP_1)
	v_fma_f32 v28, -v9, v27, v23
	v_fmac_f32_e32 v27, v28, v22
	s_delay_alu instid0(VALU_DEP_1) | instskip(NEXT) | instid1(VALU_DEP_1)
	v_fma_f32 v9, -v9, v27, v23
	v_div_fmas_f32 v9, v9, v22, v27
	s_delay_alu instid0(VALU_DEP_1)
	v_div_fixup_f32 v22, v9, v7, v8
.LBB50_455:                             ;   in Loop: Header=BB50_418 Depth=1
	s_or_b32 exec_lo, exec_lo, s27
                                        ; implicit-def: $vgpr9
                                        ; implicit-def: $vgpr7
.LBB50_456:                             ;   in Loop: Header=BB50_418 Depth=1
	s_and_not1_saveexec_b32 s3, s3
; %bb.457:                              ;   in Loop: Header=BB50_418 Depth=1
	v_sub_f32_e32 v22, v9, v7
; %bb.458:                              ;   in Loop: Header=BB50_418 Depth=1
	s_or_b32 exec_lo, exec_lo, s3
	s_delay_alu instid0(VALU_DEP_1) | instskip(SKIP_2) | instid1(VALU_DEP_2)
	v_mul_f32_e32 v7, 0.5, v22
	v_add_f32_e64 v6, |v10|, v6
	s_mov_b32 s27, -1
	v_fmac_f32_e32 v7, 0.5, v26
	s_delay_alu instid0(VALU_DEP_1) | instskip(NEXT) | instid1(VALU_DEP_1)
	v_mul_f32_e32 v6, v6, v7
	v_mul_f32_e32 v7, 0x4f800000, v6
	v_cmp_gt_f32_e32 vcc_lo, 0xf800000, v6
	s_delay_alu instid0(VALU_DEP_2) | instskip(NEXT) | instid1(VALU_DEP_1)
	v_cndmask_b32_e32 v6, v6, v7, vcc_lo
	v_sqrt_f32_e32 v7, v6
	s_waitcnt_depctr 0xfff
	v_add_nc_u32_e32 v8, -1, v7
	v_add_nc_u32_e32 v9, 1, v7
	s_delay_alu instid0(VALU_DEP_2) | instskip(NEXT) | instid1(VALU_DEP_2)
	v_fma_f32 v22, -v8, v7, v6
	v_fma_f32 v23, -v9, v7, v6
	s_delay_alu instid0(VALU_DEP_2) | instskip(NEXT) | instid1(VALU_DEP_1)
	v_cmp_ge_f32_e64 s3, 0, v22
	v_cndmask_b32_e64 v7, v7, v8, s3
	s_delay_alu instid0(VALU_DEP_3) | instskip(NEXT) | instid1(VALU_DEP_1)
	v_cmp_lt_f32_e64 s3, 0, v23
	v_cndmask_b32_e64 v7, v7, v9, s3
	s_delay_alu instid0(VALU_DEP_1) | instskip(NEXT) | instid1(VALU_DEP_1)
	v_mul_f32_e32 v8, 0x37800000, v7
	v_cndmask_b32_e32 v7, v7, v8, vcc_lo
	v_cmp_class_f32_e64 vcc_lo, v6, 0x260
                                        ; implicit-def: $vgpr8
	s_delay_alu instid0(VALU_DEP_2)
	v_cndmask_b32_e32 v26, v7, v6, vcc_lo
                                        ; implicit-def: $vgpr7
.LBB50_459:                             ;   in Loop: Header=BB50_418 Depth=1
	s_and_not1_saveexec_b32 s28, s28
	s_cbranch_execz .LBB50_465
; %bb.460:                              ;   in Loop: Header=BB50_418 Depth=1
	s_mov_b32 s30, exec_lo
                                        ; implicit-def: $vgpr26
                                        ; implicit-def: $sgpr29
	v_cmpx_ngt_f32_e64 |v10|, 1.0
	s_xor_b32 s30, exec_lo, s30
	s_cbranch_execz .LBB50_462
; %bb.461:                              ;   in Loop: Header=BB50_418 Depth=1
	v_sub_f32_e64 v6, 1.0, |v10|
	s_mov_b32 s29, -1
	s_delay_alu instid0(VALU_DEP_1) | instskip(NEXT) | instid1(VALU_DEP_1)
	v_mul_f32_e32 v6, v6, v8
	v_mul_f32_e32 v7, 0x4f800000, v6
	v_cmp_gt_f32_e32 vcc_lo, 0xf800000, v6
	s_delay_alu instid0(VALU_DEP_2) | instskip(NEXT) | instid1(VALU_DEP_1)
	v_cndmask_b32_e32 v6, v6, v7, vcc_lo
	v_sqrt_f32_e32 v7, v6
	s_waitcnt_depctr 0xfff
	v_add_nc_u32_e32 v8, -1, v7
	v_add_nc_u32_e32 v9, 1, v7
	s_delay_alu instid0(VALU_DEP_2) | instskip(NEXT) | instid1(VALU_DEP_2)
	v_fma_f32 v22, -v8, v7, v6
	v_fma_f32 v23, -v9, v7, v6
	s_delay_alu instid0(VALU_DEP_2) | instskip(NEXT) | instid1(VALU_DEP_1)
	v_cmp_ge_f32_e64 s3, 0, v22
	v_cndmask_b32_e64 v7, v7, v8, s3
	s_delay_alu instid0(VALU_DEP_3) | instskip(NEXT) | instid1(VALU_DEP_1)
	v_cmp_lt_f32_e64 s3, 0, v23
	v_cndmask_b32_e64 v7, v7, v9, s3
	s_delay_alu instid0(VALU_DEP_1) | instskip(NEXT) | instid1(VALU_DEP_1)
	v_mul_f32_e32 v8, 0x37800000, v7
	v_cndmask_b32_e32 v7, v7, v8, vcc_lo
	v_cmp_class_f32_e64 vcc_lo, v6, 0x260
                                        ; implicit-def: $vgpr8
	s_delay_alu instid0(VALU_DEP_2)
	v_cndmask_b32_e32 v26, v7, v6, vcc_lo
                                        ; implicit-def: $vgpr7
.LBB50_462:                             ;   in Loop: Header=BB50_418 Depth=1
	s_and_not1_saveexec_b32 s30, s30
	s_cbranch_execz .LBB50_464
; %bb.463:                              ;   in Loop: Header=BB50_418 Depth=1
	v_mul_f32_e32 v6, v8, v7
	s_or_b32 s29, s29, exec_lo
	s_delay_alu instid0(VALU_DEP_1) | instskip(SKIP_1) | instid1(VALU_DEP_2)
	v_mul_f32_e32 v7, 0x4f800000, v6
	v_cmp_gt_f32_e32 vcc_lo, 0xf800000, v6
	v_cndmask_b32_e32 v6, v6, v7, vcc_lo
	s_delay_alu instid0(VALU_DEP_1) | instskip(SKIP_3) | instid1(VALU_DEP_2)
	v_sqrt_f32_e32 v7, v6
	s_waitcnt_depctr 0xfff
	v_add_nc_u32_e32 v8, -1, v7
	v_add_nc_u32_e32 v9, 1, v7
	v_fma_f32 v22, -v8, v7, v6
	s_delay_alu instid0(VALU_DEP_2) | instskip(NEXT) | instid1(VALU_DEP_2)
	v_fma_f32 v23, -v9, v7, v6
	v_cmp_ge_f32_e64 s3, 0, v22
	s_delay_alu instid0(VALU_DEP_1) | instskip(NEXT) | instid1(VALU_DEP_3)
	v_cndmask_b32_e64 v7, v7, v8, s3
	v_cmp_lt_f32_e64 s3, 0, v23
	s_delay_alu instid0(VALU_DEP_1) | instskip(SKIP_1) | instid1(VALU_DEP_2)
	v_cndmask_b32_e64 v7, v7, v9, s3
	v_mul_f32_e64 v9, 0x57800000, |v11|
	v_mul_f32_e32 v8, 0x37800000, v7
	s_delay_alu instid0(VALU_DEP_1) | instskip(SKIP_1) | instid1(VALU_DEP_4)
	v_cndmask_b32_e32 v7, v7, v8, vcc_lo
	v_cmp_class_f32_e64 vcc_lo, v6, 0x260
	v_mul_f32_e64 v8, |v10|, v9
	s_delay_alu instid0(VALU_DEP_3) | instskip(NEXT) | instid1(VALU_DEP_1)
	v_cndmask_b32_e32 v6, v7, v6, vcc_lo
	v_div_scale_f32 v7, null, v6, v6, v8
	v_div_scale_f32 v23, vcc_lo, v8, v6, v8
	s_delay_alu instid0(VALU_DEP_2) | instskip(SKIP_2) | instid1(VALU_DEP_1)
	v_rcp_f32_e32 v9, v7
	s_waitcnt_depctr 0xfff
	v_fma_f32 v22, -v7, v9, 1.0
	v_fmac_f32_e32 v9, v22, v9
	s_delay_alu instid0(VALU_DEP_1) | instskip(NEXT) | instid1(VALU_DEP_1)
	v_mul_f32_e32 v22, v23, v9
	v_fma_f32 v25, -v7, v22, v23
	s_delay_alu instid0(VALU_DEP_1) | instskip(SKIP_1) | instid1(VALU_DEP_2)
	v_fmac_f32_e32 v22, v25, v9
	v_mul_f32_e64 v25, 0x57800000, |v10|
	v_fma_f32 v7, -v7, v22, v23
	s_delay_alu instid0(VALU_DEP_1) | instskip(NEXT) | instid1(VALU_DEP_1)
	v_div_fmas_f32 v7, v7, v9, v22
	v_div_fixup_f32 v26, v7, v6, v8
.LBB50_464:                             ;   in Loop: Header=BB50_418 Depth=1
	s_or_b32 exec_lo, exec_lo, s30
	s_delay_alu instid0(SALU_CYCLE_1) | instskip(SKIP_1) | instid1(SALU_CYCLE_1)
	s_and_not1_b32 s3, s27, exec_lo
	s_and_b32 s27, s29, exec_lo
	s_or_b32 s27, s3, s27
.LBB50_465:                             ;   in Loop: Header=BB50_418 Depth=1
	s_or_b32 exec_lo, exec_lo, s28
	s_delay_alu instid0(SALU_CYCLE_1)
	s_and_b32 s27, s27, exec_lo
                                        ; implicit-def: $vgpr6
.LBB50_466:                             ;   in Loop: Header=BB50_418 Depth=1
	s_and_not1_saveexec_b32 s28, s4
	s_cbranch_execz .LBB50_468
; %bb.467:                              ;   in Loop: Header=BB50_418 Depth=1
	v_add_f32_e32 v6, 1.0, v6
	v_mul_f32_e64 v7, 0x4f800000, |v11|
	v_cmp_gt_f32_e64 vcc_lo, 0xf800000, |v11|
	s_or_b32 s27, s27, exec_lo
	s_delay_alu instid0(VALU_DEP_3) | instskip(NEXT) | instid1(VALU_DEP_2)
	v_mul_f32_e32 v6, 0.5, v6
	v_cndmask_b32_e64 v7, |v11|, v7, vcc_lo
	s_delay_alu instid0(VALU_DEP_2) | instskip(SKIP_1) | instid1(VALU_DEP_1)
	v_mul_f32_e32 v8, 0x4f800000, v6
	v_cmp_gt_f32_e64 s3, 0xf800000, v6
	v_cndmask_b32_e64 v6, v6, v8, s3
	s_delay_alu instid0(VALU_DEP_4) | instskip(NEXT) | instid1(VALU_DEP_1)
	v_sqrt_f32_e32 v8, v7
	v_sqrt_f32_e32 v9, v6
	s_waitcnt_depctr 0xfff
	v_add_nc_u32_e32 v22, -1, v8
	v_add_nc_u32_e32 v25, 1, v8
	v_add_nc_u32_e32 v23, -1, v9
	s_delay_alu instid0(VALU_DEP_3) | instskip(SKIP_1) | instid1(VALU_DEP_4)
	v_fma_f32 v26, -v22, v8, v7
	v_add_nc_u32_e32 v27, 1, v9
	v_fma_f32 v29, -v25, v8, v7
	s_delay_alu instid0(VALU_DEP_4) | instskip(NEXT) | instid1(VALU_DEP_4)
	v_fma_f32 v28, -v23, v9, v6
	v_cmp_ge_f32_e64 s4, 0, v26
	s_delay_alu instid0(VALU_DEP_1) | instskip(NEXT) | instid1(VALU_DEP_3)
	v_cndmask_b32_e64 v8, v8, v22, s4
	v_cmp_ge_f32_e64 s4, 0, v28
	v_fma_f32 v22, -v27, v9, v6
	s_delay_alu instid0(VALU_DEP_2) | instskip(SKIP_1) | instid1(VALU_DEP_1)
	v_cndmask_b32_e64 v9, v9, v23, s4
	v_cmp_lt_f32_e64 s4, 0, v29
	v_cndmask_b32_e64 v8, v8, v25, s4
	s_delay_alu instid0(VALU_DEP_4) | instskip(NEXT) | instid1(VALU_DEP_2)
	v_cmp_lt_f32_e64 s4, 0, v22
	v_dual_mov_b32 v25, 1.0 :: v_dual_mul_f32 v22, 0x37800000, v8
	s_delay_alu instid0(VALU_DEP_2) | instskip(NEXT) | instid1(VALU_DEP_1)
	v_cndmask_b32_e64 v9, v9, v27, s4
	v_dual_cndmask_b32 v8, v8, v22 :: v_dual_mul_f32 v23, 0x37800000, v9
	v_cmp_class_f32_e64 vcc_lo, v7, 0x260
	s_delay_alu instid0(VALU_DEP_2) | instskip(NEXT) | instid1(VALU_DEP_3)
	v_cndmask_b32_e64 v9, v9, v23, s3
	v_cndmask_b32_e32 v7, v8, v7, vcc_lo
	v_cmp_class_f32_e64 vcc_lo, v6, 0x260
	s_delay_alu instid0(VALU_DEP_3) | instskip(NEXT) | instid1(VALU_DEP_1)
	v_cndmask_b32_e32 v6, v9, v6, vcc_lo
	v_mul_f32_e32 v26, v7, v6
.LBB50_468:                             ;   in Loop: Header=BB50_418 Depth=1
	s_or_b32 exec_lo, exec_lo, s28
	s_delay_alu instid0(SALU_CYCLE_1)
	s_and_b32 s3, s27, exec_lo
.LBB50_469:                             ;   in Loop: Header=BB50_418 Depth=1
	s_or_b32 exec_lo, exec_lo, s26
	s_delay_alu instid0(SALU_CYCLE_1)
	s_and_b32 s3, s3, exec_lo
                                        ; implicit-def: $vgpr6
.LBB50_470:                             ;   in Loop: Header=BB50_418 Depth=1
	s_and_not1_saveexec_b32 s4, s25
; %bb.471:                              ;   in Loop: Header=BB50_418 Depth=1
	v_mul_f32_e32 v26, 0x4b800000, v6
	v_mul_f32_e64 v25, 0x4b800000, |v10|
	s_or_b32 s3, s3, exec_lo
                                        ; implicit-def: $vgpr24
; %bb.472:                              ;   in Loop: Header=BB50_418 Depth=1
	s_or_b32 exec_lo, exec_lo, s4
	s_xor_b32 s3, s3, -1
                                        ; implicit-def: $vgpr6
	s_delay_alu instid0(SALU_CYCLE_1) | instskip(NEXT) | instid1(SALU_CYCLE_1)
	s_and_saveexec_b32 s4, s3
	s_xor_b32 s4, exec_lo, s4
	s_cbranch_execz .LBB50_478
; %bb.473:                              ;   in Loop: Header=BB50_418 Depth=1
                                        ; implicit-def: $vgpr6
	s_and_saveexec_b32 s3, s2
	s_delay_alu instid0(SALU_CYCLE_1)
	s_xor_b32 s3, exec_lo, s3
	s_cbranch_execz .LBB50_475
; %bb.474:                              ;   in Loop: Header=BB50_418 Depth=1
	v_fma_f32 v6, |v24|, -0.5, 0.5
	v_mul_f32_e32 v7, v24, v24
	v_cmp_gt_f32_e64 vcc_lo, |v24|, 0.5
	s_delay_alu instid0(VALU_DEP_2) | instskip(NEXT) | instid1(VALU_DEP_1)
	v_cndmask_b32_e32 v6, v7, v6, vcc_lo
	v_fmaak_f32 v7, s19, v6, 0x3c5fc5da
	v_sqrt_f32_e32 v8, v6
	s_delay_alu instid0(VALU_DEP_1) | instskip(NEXT) | instid1(VALU_DEP_1)
	v_fmaak_f32 v7, v6, v7, 0x3d034c3c
	v_fmaak_f32 v7, v6, v7, 0x3d3641b1
	s_delay_alu instid0(VALU_DEP_1) | instskip(NEXT) | instid1(VALU_DEP_1)
	v_fmaak_f32 v7, v6, v7, 0x3d999bc8
	v_fmaak_f32 v7, v6, v7, 0x3e2aaaac
	s_delay_alu instid0(VALU_DEP_1) | instskip(NEXT) | instid1(VALU_DEP_1)
	v_mul_f32_e32 v6, v6, v7
	v_fmac_f32_e32 v24, v24, v6
	s_delay_alu instid0(TRANS32_DEP_1) | instid1(VALU_DEP_1)
	v_dual_fmac_f32 v8, v8, v6 :: v_dual_sub_f32 v7, 0x3fc90fdb, v24
	s_delay_alu instid0(VALU_DEP_1) | instskip(NEXT) | instid1(VALU_DEP_1)
	v_add_f32_e32 v6, v8, v8
                                        ; implicit-def: $vgpr24
	v_cndmask_b32_e32 v6, v7, v6, vcc_lo
.LBB50_475:                             ;   in Loop: Header=BB50_418 Depth=1
	s_and_not1_saveexec_b32 s25, s3
	s_cbranch_execz .LBB50_477
; %bb.476:                              ;   in Loop: Header=BB50_418 Depth=1
	v_fma_f32 v6, |v24|, -0.5, 0.5
	v_mul_f32_e32 v7, v24, v24
	v_cmp_gt_f32_e64 vcc_lo, |v24|, 0.5
	v_cmp_lt_f32_e64 s3, 0, v24
	s_delay_alu instid0(VALU_DEP_3) | instskip(NEXT) | instid1(VALU_DEP_1)
	v_cndmask_b32_e32 v6, v7, v6, vcc_lo
	v_fmaak_f32 v7, s19, v6, 0x3c5fc5da
	v_sqrt_f32_e32 v8, v6
	s_delay_alu instid0(VALU_DEP_1) | instskip(NEXT) | instid1(VALU_DEP_1)
	v_fmaak_f32 v7, v6, v7, 0x3d034c3c
	v_fmaak_f32 v7, v6, v7, 0x3d3641b1
	s_delay_alu instid0(VALU_DEP_1) | instskip(NEXT) | instid1(VALU_DEP_1)
	v_fmaak_f32 v7, v6, v7, 0x3d999bc8
	v_fmaak_f32 v7, v6, v7, 0x3e2aaaac
	s_delay_alu instid0(VALU_DEP_1) | instskip(SKIP_3) | instid1(VALU_DEP_1)
	v_mul_f32_e32 v6, v6, v7
	s_waitcnt_depctr 0xfff
	v_fmac_f32_e32 v8, v8, v6
	v_fma_f32 v6, -v24, v6, -v24
	v_dual_add_f32 v7, v8, v8 :: v_dual_sub_f32 v6, 0x3fc90fdb, v6
	s_delay_alu instid0(VALU_DEP_1) | instskip(NEXT) | instid1(VALU_DEP_1)
	v_sub_f32_e32 v8, 0x40490fdb, v7
	v_cndmask_b32_e64 v7, v7, v8, s3
	s_delay_alu instid0(VALU_DEP_1)
	v_cndmask_b32_e32 v6, v6, v7, vcc_lo
.LBB50_477:                             ;   in Loop: Header=BB50_418 Depth=1
	s_or_b32 exec_lo, exec_lo, s25
                                        ; implicit-def: $vgpr26
                                        ; implicit-def: $vgpr25
.LBB50_478:                             ;   in Loop: Header=BB50_418 Depth=1
	s_and_not1_saveexec_b32 s4, s4
	s_cbranch_execz .LBB50_484
; %bb.479:                              ;   in Loop: Header=BB50_418 Depth=1
                                        ; implicit-def: $vgpr6
	s_and_saveexec_b32 s3, s2
	s_delay_alu instid0(SALU_CYCLE_1)
	s_xor_b32 s3, exec_lo, s3
	s_cbranch_execz .LBB50_481
; %bb.480:                              ;   in Loop: Header=BB50_418 Depth=1
	v_max_f32_e64 v6, |v26|, |v26|
	v_max_f32_e32 v7, v25, v25
	v_cmp_gt_f32_e64 vcc_lo, |v26|, v25
	v_cmp_neq_f32_e64 s2, 0, v26
	v_cmp_class_f32_e64 s25, v26, 0x204
	s_delay_alu instid0(VALU_DEP_4) | instskip(SKIP_1) | instid1(VALU_DEP_2)
	v_max_f32_e32 v8, v7, v6
	v_min_f32_e32 v6, v7, v6
	v_frexp_mant_f32_e32 v9, v8
	s_delay_alu instid0(VALU_DEP_1) | instskip(NEXT) | instid1(VALU_DEP_2)
	v_rcp_f32_e32 v7, v9
	v_frexp_mant_f32_e32 v9, v6
	v_frexp_exp_i32_f32_e32 v6, v6
	s_waitcnt_depctr 0xfff
	v_mul_f32_e32 v7, v9, v7
	v_frexp_exp_i32_f32_e32 v8, v8
	s_delay_alu instid0(VALU_DEP_1) | instskip(NEXT) | instid1(VALU_DEP_1)
	v_sub_nc_u32_e32 v6, v6, v8
	v_ldexp_f32 v6, v7, v6
	s_delay_alu instid0(VALU_DEP_1) | instskip(NEXT) | instid1(VALU_DEP_1)
	v_mul_f32_e32 v7, v6, v6
	v_fmaak_f32 v8, s20, v7, 0xbc7a590c
	s_delay_alu instid0(VALU_DEP_1) | instskip(NEXT) | instid1(VALU_DEP_1)
	v_fmaak_f32 v8, v7, v8, 0x3d29fb3f
	v_fmaak_f32 v8, v7, v8, 0xbd97d4d7
	s_delay_alu instid0(VALU_DEP_1) | instskip(NEXT) | instid1(VALU_DEP_1)
	v_fmaak_f32 v8, v7, v8, 0x3dd931b2
	;; [unrolled: 3-line block ×3, first 2 shown]
	v_fmaak_f32 v8, v7, v8, 0xbeaaaa62
	s_delay_alu instid0(VALU_DEP_1) | instskip(NEXT) | instid1(VALU_DEP_1)
	v_mul_f32_e32 v7, v7, v8
	v_fmac_f32_e32 v6, v6, v7
	s_delay_alu instid0(VALU_DEP_1) | instskip(NEXT) | instid1(VALU_DEP_1)
	v_sub_f32_e32 v7, 0x3fc90fdb, v6
	v_cndmask_b32_e32 v6, v6, v7, vcc_lo
	v_cmp_eq_f32_e32 vcc_lo, 0x7f800000, v25
	s_delay_alu instid0(VALU_DEP_2) | instskip(SKIP_2) | instid1(VALU_DEP_2)
	v_cndmask_b32_e64 v6, 0, v6, s2
	s_and_b32 s2, vcc_lo, s25
	v_cmp_o_f32_e32 vcc_lo, v25, v26
                                        ; implicit-def: $vgpr25
	v_cndmask_b32_e64 v6, v6, 0x3f490fdb, s2
	s_delay_alu instid0(VALU_DEP_1) | instskip(NEXT) | instid1(VALU_DEP_1)
	v_cndmask_b32_e32 v6, 0x7fc00000, v6, vcc_lo
	v_bfi_b32 v6, 0x7fffffff, v6, v26
                                        ; implicit-def: $vgpr26
.LBB50_481:                             ;   in Loop: Header=BB50_418 Depth=1
	s_and_not1_saveexec_b32 s25, s3
	s_cbranch_execz .LBB50_483
; %bb.482:                              ;   in Loop: Header=BB50_418 Depth=1
	v_max_f32_e64 v6, |v26|, |v26|
	v_max_f32_e32 v7, v25, v25
	v_cmp_gt_f32_e64 vcc_lo, |v26|, v25
	v_cmp_neq_f32_e64 s3, 0, v26
	v_cmp_eq_f32_e64 s2, 0x7f800000, v25
	v_cmp_class_f32_e64 s26, v26, 0x204
	v_max_f32_e32 v8, v7, v6
	v_min_f32_e32 v6, v7, v6
	s_delay_alu instid0(VALU_DEP_2) | instskip(SKIP_1) | instid1(VALU_DEP_2)
	v_frexp_mant_f32_e32 v9, v8
	v_frexp_exp_i32_f32_e32 v8, v8
	v_rcp_f32_e32 v7, v9
	s_delay_alu instid0(VALU_DEP_3) | instskip(SKIP_1) | instid1(VALU_DEP_2)
	v_frexp_exp_i32_f32_e32 v9, v6
	v_frexp_mant_f32_e32 v6, v6
	v_sub_nc_u32_e32 v8, v9, v8
	s_waitcnt_depctr 0xfff
	v_mul_f32_e32 v6, v6, v7
	s_delay_alu instid0(VALU_DEP_1) | instskip(NEXT) | instid1(VALU_DEP_1)
	v_ldexp_f32 v6, v6, v8
	v_mul_f32_e32 v7, v6, v6
	s_delay_alu instid0(VALU_DEP_1) | instskip(NEXT) | instid1(VALU_DEP_1)
	v_fmaak_f32 v8, s20, v7, 0xbc7a590c
	v_fmaak_f32 v8, v7, v8, 0x3d29fb3f
	s_delay_alu instid0(VALU_DEP_1) | instskip(NEXT) | instid1(VALU_DEP_1)
	v_fmaak_f32 v8, v7, v8, 0xbd97d4d7
	v_fmaak_f32 v8, v7, v8, 0x3dd931b2
	;; [unrolled: 3-line block ×3, first 2 shown]
	s_delay_alu instid0(VALU_DEP_1) | instskip(NEXT) | instid1(VALU_DEP_1)
	v_fmaak_f32 v8, v7, v8, 0xbeaaaa62
	v_mul_f32_e32 v7, v7, v8
	s_delay_alu instid0(VALU_DEP_1) | instskip(NEXT) | instid1(VALU_DEP_1)
	v_fmac_f32_e32 v6, v6, v7
	v_sub_f32_e32 v7, 0x3fc90fdb, v6
	s_delay_alu instid0(VALU_DEP_1) | instskip(SKIP_1) | instid1(VALU_DEP_2)
	v_cndmask_b32_e32 v6, v6, v7, vcc_lo
	v_cmp_lt_f32_e32 vcc_lo, 0, v25
	v_sub_f32_e32 v7, 0x40490fdb, v6
	s_delay_alu instid0(VALU_DEP_1) | instskip(SKIP_2) | instid1(VALU_DEP_2)
	v_cndmask_b32_e32 v6, v6, v7, vcc_lo
	v_cndmask_b32_e32 v7, 0x3f490fdb, v20, vcc_lo
	s_and_b32 vcc_lo, s2, s26
	v_cndmask_b32_e64 v6, 0x40490fdb, v6, s3
	s_delay_alu instid0(VALU_DEP_1) | instskip(SKIP_1) | instid1(VALU_DEP_2)
	v_cndmask_b32_e32 v6, v6, v7, vcc_lo
	v_cmp_o_f32_e64 vcc_lo, v26, -v25
	v_cndmask_b32_e32 v6, 0x7fc00000, v6, vcc_lo
	s_delay_alu instid0(VALU_DEP_1)
	v_bfi_b32 v6, 0x7fffffff, v6, v26
.LBB50_483:                             ;   in Loop: Header=BB50_418 Depth=1
	s_or_b32 exec_lo, exec_lo, s25
.LBB50_484:                             ;   in Loop: Header=BB50_418 Depth=1
	s_delay_alu instid0(SALU_CYCLE_1)
	s_or_b32 exec_lo, exec_lo, s4
	v_cndmask_b32_e64 v7, -v21, v21, s0
.LBB50_485:                             ;   in Loop: Header=BB50_418 Depth=1
	s_and_not1_saveexec_b32 s2, s24
	s_cbranch_execz .LBB50_487
; %bb.486:                              ;   in Loop: Header=BB50_418 Depth=1
	s_waitcnt vmcnt(0) lgkmcnt(0)
	v_dual_mov_b32 v6, s8 :: v_dual_mov_b32 v7, s9
	flat_load_b32 v6, v[6:7] glc dlc
	s_waitcnt vmcnt(0)
	v_xor_b32_e32 v7, 0x80000000, v11
	s_waitcnt lgkmcnt(0)
	v_sub_f32_e32 v6, v6, v10
	s_delay_alu instid0(VALU_DEP_1)
	v_add_f32_e32 v6, 0x3fc90fdb, v6
.LBB50_487:                             ;   in Loop: Header=BB50_418 Depth=1
	s_or_b32 exec_lo, exec_lo, s2
.LBB50_488:                             ;   in Loop: Header=BB50_418 Depth=1
	s_and_not1_saveexec_b32 s2, s23
	s_cbranch_execz .LBB50_490
; %bb.489:                              ;   in Loop: Header=BB50_418 Depth=1
	v_xor_b32_e32 v7, 0x80000000, v11
	s_waitcnt vmcnt(0) lgkmcnt(0)
	v_mov_b32_e32 v6, 0
.LBB50_490:                             ;   in Loop: Header=BB50_418 Depth=1
	s_or_b32 exec_lo, exec_lo, s2
                                        ; implicit-def: $vgpr21
                                        ; implicit-def: $vgpr9
                                        ; implicit-def: $vgpr8
.LBB50_491:                             ;   in Loop: Header=BB50_418 Depth=1
	s_and_not1_saveexec_b32 s4, s22
	s_cbranch_execz .LBB50_501
; %bb.492:                              ;   in Loop: Header=BB50_418 Depth=1
	v_cmp_lt_f32_e64 s2, |v10|, |v11|
                                        ; implicit-def: $vgpr7
                                        ; implicit-def: $vgpr6
	s_mov_b32 s3, exec_lo
	s_delay_alu instid0(VALU_DEP_1) | instskip(NEXT) | instid1(VALU_DEP_1)
	v_cndmask_b32_e64 v22, |v10|, |v11|, s2
	v_cmpx_nlt_f32_e32 0x7effffff, v22
	s_xor_b32 s22, exec_lo, s3
	s_cbranch_execz .LBB50_498
; %bb.493:                              ;   in Loop: Header=BB50_418 Depth=1
	v_cndmask_b32_e64 v23, |v11|, |v10|, s2
	v_cmp_nlt_f32_e32 vcc_lo, 0x5e000000, v22
                                        ; implicit-def: $vgpr7
                                        ; implicit-def: $vgpr6
	s_delay_alu instid0(VALU_DEP_2) | instskip(NEXT) | instid1(VALU_DEP_1)
	v_cmp_ngt_f32_e64 s3, 0x20000000, v23
	s_and_b32 s3, vcc_lo, s3
	s_delay_alu instid0(SALU_CYCLE_1) | instskip(NEXT) | instid1(SALU_CYCLE_1)
	s_and_saveexec_b32 s23, s3
	s_xor_b32 s23, exec_lo, s23
	s_cbranch_execz .LBB50_495
; %bb.494:                              ;   in Loop: Header=BB50_418 Depth=1
	s_waitcnt vmcnt(0) lgkmcnt(0)
	v_frexp_mant_f32_e32 v6, v8
	v_min_f32_e32 v7, v21, v9
	v_frexp_exp_i32_f32_e32 v8, v8
	s_delay_alu instid0(VALU_DEP_3) | instskip(NEXT) | instid1(VALU_DEP_2)
	v_rcp_f32_e32 v6, v6
	v_frexp_mant_f32_e32 v21, v7
	v_mul_f32_e32 v9, v23, v23
	v_frexp_exp_i32_f32_e32 v7, v7
	s_delay_alu instid0(VALU_DEP_1) | instskip(SKIP_3) | instid1(VALU_DEP_2)
	v_sub_nc_u32_e32 v7, v7, v8
	s_waitcnt_depctr 0xfff
	v_mul_f32_e32 v6, v21, v6
	v_fmac_f32_e32 v9, v22, v22
	v_ldexp_f32 v6, v6, v7
	s_delay_alu instid0(VALU_DEP_2) | instskip(SKIP_1) | instid1(VALU_DEP_1)
	v_cmp_gt_f32_e32 vcc_lo, 0x800000, v9
	v_cndmask_b32_e64 v8, 1.0, 0x4f800000, vcc_lo
	v_dual_mul_f32 v7, v9, v8 :: v_dual_mul_f32 v8, v6, v6
	s_delay_alu instid0(VALU_DEP_1) | instskip(NEXT) | instid1(VALU_DEP_1)
	v_fmaak_f32 v9, s20, v8, 0xbc7a590c
	v_fmaak_f32 v9, v8, v9, 0x3d29fb3f
	s_delay_alu instid0(VALU_DEP_1) | instskip(NEXT) | instid1(VALU_DEP_1)
	v_fmaak_f32 v9, v8, v9, 0xbd97d4d7
	v_fmaak_f32 v9, v8, v9, 0x3dd931b2
	;; [unrolled: 3-line block ×3, first 2 shown]
	s_delay_alu instid0(VALU_DEP_1) | instskip(NEXT) | instid1(VALU_DEP_1)
	v_fmaak_f32 v9, v8, v9, 0xbeaaaa62
	v_mul_f32_e32 v8, v8, v9
	v_log_f32_e32 v7, v7
                                        ; implicit-def: $vgpr9
	s_delay_alu instid0(VALU_DEP_1) | instskip(SKIP_3) | instid1(VALU_DEP_2)
	v_fmac_f32_e32 v6, v6, v8
                                        ; implicit-def: $vgpr8
	s_waitcnt_depctr 0xfff
	v_mul_f32_e32 v21, 0x3f317217, v7
	v_cmp_gt_f32_e64 s3, 0x7f800000, |v7|
	v_fma_f32 v22, 0x3f317217, v7, -v21
	s_delay_alu instid0(VALU_DEP_1) | instskip(NEXT) | instid1(VALU_DEP_1)
	v_fmac_f32_e32 v22, 0x3377d1cf, v7
	v_add_f32_e32 v21, v21, v22
	s_delay_alu instid0(VALU_DEP_1) | instskip(SKIP_1) | instid1(VALU_DEP_1)
	v_cndmask_b32_e64 v7, v7, v21, s3
	v_cndmask_b32_e64 v21, 0, 0x41b17218, vcc_lo
	v_sub_f32_e32 v7, v7, v21
                                        ; implicit-def: $vgpr21
	s_delay_alu instid0(VALU_DEP_1)
	v_mul_f32_e32 v7, 0.5, v7
.LBB50_495:                             ;   in Loop: Header=BB50_418 Depth=1
	s_and_not1_saveexec_b32 s3, s23
	s_cbranch_execz .LBB50_497
; %bb.496:                              ;   in Loop: Header=BB50_418 Depth=1
	s_waitcnt vmcnt(0) lgkmcnt(0)
	v_cvt_f64_f32_e32 v[6:7], v8
	v_cmp_neq_f32_e32 vcc_lo, 0x7f800000, v8
	v_min_f32_e32 v9, v21, v9
	v_frexp_exp_i32_f32_e32 v21, v8
	s_delay_alu instid0(VALU_DEP_2) | instskip(SKIP_1) | instid1(VALU_DEP_2)
	v_frexp_exp_i32_f32_e32 v23, v9
	v_frexp_mant_f32_e32 v9, v9
	v_sub_nc_u32_e32 v21, v23, v21
	v_frexp_exp_i32_f64_e32 v6, v[6:7]
	s_delay_alu instid0(VALU_DEP_1) | instskip(NEXT) | instid1(VALU_DEP_1)
	v_sub_nc_u32_e32 v7, 0, v6
	v_ldexp_f32 v22, |v11|, v7
	v_ldexp_f32 v7, |v10|, v7
	s_delay_alu instid0(VALU_DEP_2) | instskip(NEXT) | instid1(VALU_DEP_1)
	v_mul_f32_e32 v22, v22, v22
	v_fmac_f32_e32 v22, v7, v7
	v_frexp_mant_f32_e32 v7, v8
	s_delay_alu instid0(VALU_DEP_2) | instskip(NEXT) | instid1(VALU_DEP_1)
	v_sqrt_f32_e32 v22, v22
	v_rcp_f32_e32 v7, v7
	s_waitcnt_depctr 0xfff
	v_ldexp_f32 v6, v22, v6
	s_delay_alu instid0(VALU_DEP_1) | instskip(NEXT) | instid1(VALU_DEP_1)
	v_dual_mul_f32 v7, v9, v7 :: v_dual_cndmask_b32 v8, 0x7f800000, v6
	v_ldexp_f32 v6, v7, v21
	s_delay_alu instid0(VALU_DEP_2) | instskip(NEXT) | instid1(VALU_DEP_2)
	v_cmp_gt_f32_e32 vcc_lo, 0x800000, v8
	v_mul_f32_e32 v9, v6, v6
	v_cndmask_b32_e64 v7, 1.0, 0x4f800000, vcc_lo
	s_delay_alu instid0(VALU_DEP_1) | instskip(NEXT) | instid1(VALU_DEP_1)
	v_dual_mul_f32 v7, v8, v7 :: v_dual_fmaak_f32 v8, s20, v9, 0xbc7a590c
	v_log_f32_e32 v7, v7
	s_waitcnt_depctr 0xfff
	v_mul_f32_e32 v21, 0x3f317217, v7
	s_delay_alu instid0(VALU_DEP_1) | instskip(NEXT) | instid1(VALU_DEP_1)
	v_fma_f32 v22, 0x3f317217, v7, -v21
	v_fmac_f32_e32 v22, 0x3377d1cf, v7
	s_delay_alu instid0(VALU_DEP_1) | instskip(SKIP_2) | instid1(VALU_DEP_3)
	v_add_f32_e32 v21, v21, v22
	v_cndmask_b32_e64 v22, 0, 0x41b17218, vcc_lo
	v_cmp_gt_f32_e64 vcc_lo, 0x7f800000, |v7|
	v_dual_fmaak_f32 v8, v9, v8, 0x3d29fb3f :: v_dual_cndmask_b32 v7, v7, v21
	s_delay_alu instid0(VALU_DEP_1) | instskip(NEXT) | instid1(VALU_DEP_1)
	v_dual_fmaak_f32 v8, v9, v8, 0xbd97d4d7 :: v_dual_sub_f32 v7, v7, v22
	v_fmaak_f32 v8, v9, v8, 0x3dd931b2
	s_delay_alu instid0(VALU_DEP_1) | instskip(NEXT) | instid1(VALU_DEP_1)
	v_fmaak_f32 v8, v9, v8, 0xbe1160e6
	v_fmaak_f32 v8, v9, v8, 0x3e4cb8bf
	s_delay_alu instid0(VALU_DEP_1) | instskip(NEXT) | instid1(VALU_DEP_1)
	v_fmaak_f32 v8, v9, v8, 0xbeaaaa62
	v_mul_f32_e32 v8, v9, v8
	s_delay_alu instid0(VALU_DEP_1)
	v_fmac_f32_e32 v6, v6, v8
.LBB50_497:                             ;   in Loop: Header=BB50_418 Depth=1
	s_or_b32 exec_lo, exec_lo, s3
                                        ; implicit-def: $vgpr21
                                        ; implicit-def: $vgpr9
                                        ; implicit-def: $vgpr8
.LBB50_498:                             ;   in Loop: Header=BB50_418 Depth=1
	s_and_not1_saveexec_b32 s22, s22
	s_cbranch_execz .LBB50_500
; %bb.499:                              ;   in Loop: Header=BB50_418 Depth=1
	s_waitcnt vmcnt(0) lgkmcnt(0)
	v_div_scale_f32 v6, null, 0x402df854, 0x402df854, v10
	v_div_scale_f32 v7, null, 0x402df854, 0x402df854, v11
	v_div_scale_f32 v26, vcc_lo, v10, 0x402df854, v10
	s_delay_alu instid0(VALU_DEP_3) | instskip(NEXT) | instid1(VALU_DEP_2)
	v_rcp_f32_e32 v22, v6
	v_rcp_f32_e32 v23, v7
	v_min_f32_e32 v9, v21, v9
	s_waitcnt_depctr 0xfff
	v_fma_f32 v24, -v6, v22, 1.0
	v_fma_f32 v25, -v7, v23, 1.0
	s_delay_alu instid0(VALU_DEP_1) | instskip(SKIP_1) | instid1(VALU_DEP_2)
	v_dual_fmac_f32 v22, v24, v22 :: v_dual_fmac_f32 v23, v25, v23
	v_div_scale_f32 v24, s3, v11, 0x402df854, v11
	v_mul_f32_e32 v25, v26, v22
	s_delay_alu instid0(VALU_DEP_2) | instskip(NEXT) | instid1(VALU_DEP_2)
	v_mul_f32_e32 v27, v24, v23
	v_fma_f32 v28, -v6, v25, v26
	s_delay_alu instid0(VALU_DEP_2) | instskip(NEXT) | instid1(VALU_DEP_2)
	v_fma_f32 v29, -v7, v27, v24
	v_fmac_f32_e32 v25, v28, v22
	s_delay_alu instid0(VALU_DEP_2) | instskip(NEXT) | instid1(VALU_DEP_2)
	v_fmac_f32_e32 v27, v29, v23
	v_fma_f32 v6, -v6, v25, v26
	s_delay_alu instid0(VALU_DEP_2) | instskip(NEXT) | instid1(VALU_DEP_2)
	v_fma_f32 v7, -v7, v27, v24
	v_div_fmas_f32 v6, v6, v22, v25
	s_mov_b32 vcc_lo, s3
	s_delay_alu instid0(VALU_DEP_2) | instskip(NEXT) | instid1(VALU_DEP_2)
	v_div_fmas_f32 v7, v7, v23, v27
	v_div_fixup_f32 v22, v6, 0x402df854, v10
	s_delay_alu instid0(VALU_DEP_2) | instskip(NEXT) | instid1(VALU_DEP_1)
	v_div_fixup_f32 v23, v7, 0x402df854, v11
	v_max_f32_e64 v24, |v22|, |v23|
	s_delay_alu instid0(VALU_DEP_1) | instskip(SKIP_1) | instid1(VALU_DEP_2)
	v_cvt_f64_f32_e32 v[6:7], v24
	v_cmp_neq_f32_e32 vcc_lo, 0x7f800000, v24
	v_frexp_exp_i32_f64_e32 v6, v[6:7]
	s_delay_alu instid0(VALU_DEP_1) | instskip(NEXT) | instid1(VALU_DEP_1)
	v_sub_nc_u32_e32 v7, 0, v6
	v_ldexp_f32 v23, |v23|, v7
	v_ldexp_f32 v7, |v22|, v7
	s_delay_alu instid0(VALU_DEP_2) | instskip(NEXT) | instid1(VALU_DEP_1)
	v_mul_f32_e32 v22, v23, v23
	v_fmac_f32_e32 v22, v7, v7
	s_delay_alu instid0(VALU_DEP_1) | instskip(SKIP_2) | instid1(VALU_DEP_2)
	v_sqrt_f32_e32 v7, v22
	v_frexp_mant_f32_e32 v22, v8
	v_frexp_exp_i32_f32_e32 v8, v8
	v_rcp_f32_e32 v21, v22
	s_waitcnt_depctr 0xfff
	v_ldexp_f32 v6, v7, v6
	v_frexp_exp_i32_f32_e32 v7, v9
	v_frexp_mant_f32_e32 v9, v9
	s_delay_alu instid0(VALU_DEP_3) | instskip(NEXT) | instid1(VALU_DEP_3)
	v_cndmask_b32_e32 v22, 0x7f800000, v6, vcc_lo
	v_sub_nc_u32_e32 v6, v7, v8
	s_delay_alu instid0(VALU_DEP_3) | instskip(NEXT) | instid1(VALU_DEP_3)
	v_mul_f32_e32 v7, v9, v21
	v_cmp_gt_f32_e32 vcc_lo, 0x800000, v22
	s_delay_alu instid0(VALU_DEP_2) | instskip(SKIP_1) | instid1(VALU_DEP_1)
	v_ldexp_f32 v6, v7, v6
	v_cndmask_b32_e64 v8, 1.0, 0x4f800000, vcc_lo
	v_mul_f32_e32 v7, v22, v8
	s_delay_alu instid0(VALU_DEP_3) | instskip(NEXT) | instid1(VALU_DEP_1)
	v_mul_f32_e32 v8, v6, v6
	v_fmaak_f32 v9, s20, v8, 0xbc7a590c
	s_delay_alu instid0(VALU_DEP_1) | instskip(NEXT) | instid1(VALU_DEP_1)
	v_fmaak_f32 v9, v8, v9, 0x3d29fb3f
	v_fmaak_f32 v9, v8, v9, 0xbd97d4d7
	s_delay_alu instid0(VALU_DEP_1) | instskip(NEXT) | instid1(VALU_DEP_1)
	v_fmaak_f32 v9, v8, v9, 0x3dd931b2
	;; [unrolled: 3-line block ×3, first 2 shown]
	v_fmaak_f32 v9, v8, v9, 0xbeaaaa62
	s_delay_alu instid0(VALU_DEP_1) | instskip(SKIP_3) | instid1(VALU_DEP_1)
	v_mul_f32_e32 v8, v8, v9
	v_log_f32_e32 v7, v7
	s_waitcnt_depctr 0xfff
	v_dual_fmac_f32 v6, v6, v8 :: v_dual_mul_f32 v21, 0x3f317217, v7
	v_fma_f32 v22, 0x3f317217, v7, -v21
	s_delay_alu instid0(VALU_DEP_1) | instskip(NEXT) | instid1(VALU_DEP_1)
	v_fmac_f32_e32 v22, 0x3377d1cf, v7
	v_add_f32_e32 v21, v21, v22
	v_cndmask_b32_e64 v22, 0, 0x41b17218, vcc_lo
	v_cmp_gt_f32_e64 vcc_lo, 0x7f800000, |v7|
	s_delay_alu instid0(VALU_DEP_3) | instskip(NEXT) | instid1(VALU_DEP_1)
	v_cndmask_b32_e32 v7, v7, v21, vcc_lo
	v_sub_f32_e32 v7, v7, v22
	s_delay_alu instid0(VALU_DEP_1)
	v_add_f32_e32 v7, 1.0, v7
.LBB50_500:                             ;   in Loop: Header=BB50_418 Depth=1
	s_or_b32 exec_lo, exec_lo, s22
	s_waitcnt vmcnt(0) lgkmcnt(0)
	v_sub_f32_e32 v8, 0x3fc90fdb, v6
	v_cmp_gt_f32_e32 vcc_lo, 0, v10
	v_cndmask_b32_e64 v9, 0, 0x40490fdb, s1
	v_cmp_class_f32_e64 s1, v10, 0x204
	v_add_f32_e32 v7, 0x3f317218, v7
	v_cndmask_b32_e64 v6, v6, v8, s2
	v_cmp_class_f32_e64 s2, v11, 0x204
	s_delay_alu instid0(VALU_DEP_3) | instskip(NEXT) | instid1(VALU_DEP_3)
	v_cndmask_b32_e64 v7, -v7, v7, s0
	v_sub_f32_e32 v8, 0x40490fdb, v6
	s_delay_alu instid0(VALU_DEP_1) | instskip(SKIP_2) | instid1(VALU_DEP_3)
	v_cndmask_b32_e32 v6, v6, v8, vcc_lo
	v_cndmask_b32_e32 v8, 0x3f490fdb, v20, vcc_lo
	v_cmp_eq_f32_e32 vcc_lo, 0, v11
	v_cndmask_b32_e32 v6, v6, v9, vcc_lo
	s_and_b32 vcc_lo, s1, s2
	s_delay_alu instid0(VALU_DEP_1) | instskip(SKIP_1) | instid1(VALU_DEP_2)
	v_cndmask_b32_e32 v6, v6, v8, vcc_lo
	v_cmp_o_f32_e32 vcc_lo, v10, v11
	v_cndmask_b32_e64 v6, 0x7fc00000, |v6|, vcc_lo
.LBB50_501:                             ;   in Loop: Header=BB50_418 Depth=1
	s_or_b32 exec_lo, exec_lo, s4
.LBB50_502:                             ;   in Loop: Header=BB50_418 Depth=1
	s_and_not1_saveexec_b32 s0, s21
	s_cbranch_execz .LBB50_516
; %bb.503:                              ;   in Loop: Header=BB50_418 Depth=1
	v_cmp_neq_f32_e64 s1, 0x7f800000, |v10|
                                        ; implicit-def: $vgpr7
	s_delay_alu instid0(VALU_DEP_1) | instskip(NEXT) | instid1(SALU_CYCLE_1)
	s_and_saveexec_b32 s2, s1
	s_xor_b32 s1, exec_lo, s2
	s_cbranch_execz .LBB50_513
; %bb.504:                              ;   in Loop: Header=BB50_418 Depth=1
	v_cmp_neq_f32_e64 s2, 0x7f800000, |v11|
                                        ; implicit-def: $vgpr7
	s_delay_alu instid0(VALU_DEP_1) | instskip(NEXT) | instid1(SALU_CYCLE_1)
	s_and_saveexec_b32 s3, s2
	s_xor_b32 s2, exec_lo, s3
	s_cbranch_execz .LBB50_510
; %bb.505:                              ;   in Loop: Header=BB50_418 Depth=1
	s_mov_b32 s3, exec_lo
                                        ; implicit-def: $vgpr7
	v_cmpx_neq_f32_e32 0, v10
	s_xor_b32 s3, exec_lo, s3
	s_cbranch_execz .LBB50_507
; %bb.506:                              ;   in Loop: Header=BB50_418 Depth=1
	s_waitcnt vmcnt(0) lgkmcnt(0)
	v_add_f32_e32 v6, 0, v11
	s_delay_alu instid0(VALU_DEP_1)
	v_add_f32_e32 v7, v10, v6
.LBB50_507:                             ;   in Loop: Header=BB50_418 Depth=1
	s_or_saveexec_b32 s3, s3
	s_waitcnt vmcnt(0) lgkmcnt(0)
	s_delay_alu instid0(VALU_DEP_1)
	v_mov_b32_e32 v6, v7
	s_xor_b32 exec_lo, exec_lo, s3
	s_cbranch_execz .LBB50_509
; %bb.508:                              ;   in Loop: Header=BB50_418 Depth=1
	v_dual_mov_b32 v6, s8 :: v_dual_mov_b32 v7, s9
	flat_load_b32 v6, v[6:7] glc dlc
	s_waitcnt vmcnt(0) lgkmcnt(0)
	v_dual_add_f32 v7, v11, v11 :: v_dual_add_f32 v6, 0x3fc90fdb, v6
.LBB50_509:                             ;   in Loop: Header=BB50_418 Depth=1
	s_or_b32 exec_lo, exec_lo, s3
.LBB50_510:                             ;   in Loop: Header=BB50_418 Depth=1
	s_and_not1_saveexec_b32 s2, s2
	s_cbranch_execz .LBB50_512
; %bb.511:                              ;   in Loop: Header=BB50_418 Depth=1
	s_waitcnt vmcnt(0) lgkmcnt(0)
	v_add_f32_e32 v6, v10, v10
	v_xor_b32_e32 v7, 0x80000000, v11
.LBB50_512:                             ;   in Loop: Header=BB50_418 Depth=1
	s_or_b32 exec_lo, exec_lo, s2
.LBB50_513:                             ;   in Loop: Header=BB50_418 Depth=1
	s_and_not1_saveexec_b32 s1, s1
	s_cbranch_execz .LBB50_515
; %bb.514:                              ;   in Loop: Header=BB50_418 Depth=1
	s_waitcnt vmcnt(0) lgkmcnt(0)
	v_dual_add_f32 v6, v11, v11 :: v_dual_mov_b32 v7, 0xff800000
.LBB50_515:                             ;   in Loop: Header=BB50_418 Depth=1
	s_or_b32 exec_lo, exec_lo, s1
.LBB50_516:                             ;   in Loop: Header=BB50_418 Depth=1
	s_delay_alu instid0(SALU_CYCLE_1) | instskip(SKIP_3) | instid1(VALU_DEP_2)
	s_or_b32 exec_lo, exec_lo, s0
	v_cmp_o_f32_e32 vcc_lo, v12, v12
	v_cmp_o_f32_e64 s0, v13, v13
	v_dual_mov_b32 v8, s8 :: v_dual_mov_b32 v9, s9
	s_and_b32 s0, vcc_lo, s0
	flat_store_b32 v[8:9], v18 dlc
	s_waitcnt_vscnt null, 0x0
	s_and_saveexec_b32 s1, s0
	s_delay_alu instid0(SALU_CYCLE_1)
	s_xor_b32 s21, exec_lo, s1
	s_cbranch_execz .LBB50_600
; %bb.517:                              ;   in Loop: Header=BB50_418 Depth=1
	v_max_f32_e64 v11, |v13|, |v13|
	v_max_f32_e64 v21, |v12|, |v12|
	v_cmp_gt_i32_e64 s1, 0, v12
	v_cmp_lt_i32_e64 s2, -1, v12
	v_cmp_gt_i32_e64 s0, 0, v13
	s_mov_b32 s3, exec_lo
	v_max_f32_e32 v10, v21, v11
	s_delay_alu instid0(VALU_DEP_1)
	v_cmpx_nlt_f32_e32 0x4b000000, v10
	s_xor_b32 s22, exec_lo, s3
	s_cbranch_execz .LBB50_589
; %bb.518:                              ;   in Loop: Header=BB50_418 Depth=1
	v_cmp_neq_f32_e32 vcc_lo, 1.0, v12
	v_cmp_neq_f32_e64 s3, 0, v13
	s_delay_alu instid0(VALU_DEP_1) | instskip(NEXT) | instid1(SALU_CYCLE_1)
	s_or_b32 s3, vcc_lo, s3
	s_and_saveexec_b32 s4, s3
	s_delay_alu instid0(SALU_CYCLE_1)
	s_xor_b32 s23, exec_lo, s4
	s_cbranch_execz .LBB50_586
; %bb.519:                              ;   in Loop: Header=BB50_418 Depth=1
	v_dual_mov_b32 v8, s10 :: v_dual_mov_b32 v9, s11
	v_cmp_ngt_f32_e64 s3, 0x395db3d7, |v12|
	v_cmp_ngt_f32_e64 s4, 0x395db3d7, |v13|
	flat_store_b32 v[8:9], v19 dlc
	s_waitcnt_vscnt null, 0x0
	flat_load_b32 v8, v[8:9] glc dlc
	s_waitcnt vmcnt(0)
	s_or_b32 s3, s3, s4
	s_waitcnt lgkmcnt(0)
	v_add_f32_e32 v10, 1.0, v8
	v_dual_mov_b32 v8, s16 :: v_dual_mov_b32 v9, s17
	flat_store_b32 v[8:9], v10 dlc
	s_waitcnt_vscnt null, 0x0
	flat_load_b32 v8, v[8:9] glc dlc
	s_waitcnt vmcnt(0)
	s_and_saveexec_b32 s4, s3
	s_delay_alu instid0(SALU_CYCLE_1)
	s_xor_b32 s24, exec_lo, s4
	s_cbranch_execz .LBB50_583
; %bb.520:                              ;   in Loop: Header=BB50_418 Depth=1
	v_add_f32_e64 v10, |v12|, 1.0
	v_add_f32_e64 v9, |v12|, -1.0
	s_mov_b32 s3, exec_lo
	s_waitcnt lgkmcnt(0)
	s_delay_alu instid0(VALU_DEP_2) | instskip(NEXT) | instid1(VALU_DEP_2)
	v_max_f32_e64 v8, v11, |v10|
	v_max_f32_e64 v11, v11, |v9|
	s_delay_alu instid0(VALU_DEP_2) | instskip(NEXT) | instid1(VALU_DEP_2)
	v_cvt_f64_f32_e32 v[21:22], v8
	v_cvt_f64_f32_e32 v[23:24], v11
	v_cmp_neq_f32_e32 vcc_lo, 0x7f800000, v8
	s_delay_alu instid0(VALU_DEP_3) | instskip(NEXT) | instid1(VALU_DEP_3)
	v_frexp_exp_i32_f64_e32 v21, v[21:22]
	v_frexp_exp_i32_f64_e32 v22, v[23:24]
	s_delay_alu instid0(VALU_DEP_2) | instskip(NEXT) | instid1(VALU_DEP_2)
	v_sub_nc_u32_e32 v23, 0, v21
	v_sub_nc_u32_e32 v24, 0, v22
	s_delay_alu instid0(VALU_DEP_2) | instskip(NEXT) | instid1(VALU_DEP_2)
	v_ldexp_f32 v25, |v10|, v23
	v_ldexp_f32 v26, |v9|, v24
	;; [unrolled: 1-line block ×4, first 2 shown]
	s_delay_alu instid0(VALU_DEP_3) | instskip(NEXT) | instid1(VALU_DEP_1)
	v_dual_mul_f32 v25, v25, v25 :: v_dual_mul_f32 v26, v26, v26
	v_dual_fmac_f32 v25, v23, v23 :: v_dual_fmac_f32 v26, v24, v24
	s_delay_alu instid0(VALU_DEP_1) | instskip(NEXT) | instid1(VALU_DEP_1)
	v_sqrt_f32_e32 v23, v25
	v_sqrt_f32_e32 v24, v26
	s_waitcnt_depctr 0xfff
	v_ldexp_f32 v21, v23, v21
	v_ldexp_f32 v22, v24, v22
	s_delay_alu instid0(VALU_DEP_2) | instskip(SKIP_1) | instid1(VALU_DEP_3)
	v_cndmask_b32_e32 v23, 0x7f800000, v21, vcc_lo
	v_cmp_neq_f32_e32 vcc_lo, 0x7f800000, v11
                                        ; implicit-def: $vgpr21
	v_cndmask_b32_e32 v11, 0x7f800000, v22, vcc_lo
	s_delay_alu instid0(VALU_DEP_1) | instskip(NEXT) | instid1(VALU_DEP_1)
	v_add_f32_e32 v8, v23, v11
	v_mul_f32_e32 v8, 0.5, v8
	s_delay_alu instid0(VALU_DEP_1) | instskip(SKIP_1) | instid1(VALU_DEP_1)
	v_cmp_ngt_f32_e32 vcc_lo, 1.0, v8
	v_cndmask_b32_e32 v8, 1.0, v8, vcc_lo
	v_cmpx_ngt_f32_e32 0x41200000, v8
	s_xor_b32 s4, exec_lo, s3
	s_cbranch_execz .LBB50_522
; %bb.521:                              ;   in Loop: Header=BB50_418 Depth=1
	v_fma_f32 v21, v8, v8, -1.0
	s_delay_alu instid0(VALU_DEP_1) | instskip(SKIP_1) | instid1(VALU_DEP_2)
	v_mul_f32_e32 v22, 0x4f800000, v21
	v_cmp_gt_f32_e32 vcc_lo, 0xf800000, v21
	v_cndmask_b32_e32 v21, v21, v22, vcc_lo
	s_delay_alu instid0(VALU_DEP_1) | instskip(SKIP_3) | instid1(VALU_DEP_2)
	v_sqrt_f32_e32 v22, v21
	s_waitcnt_depctr 0xfff
	v_add_nc_u32_e32 v24, -1, v22
	v_add_nc_u32_e32 v25, 1, v22
	v_fma_f32 v26, -v24, v22, v21
	s_delay_alu instid0(VALU_DEP_2) | instskip(NEXT) | instid1(VALU_DEP_2)
	v_fma_f32 v27, -v25, v22, v21
	v_cmp_ge_f32_e64 s3, 0, v26
	s_delay_alu instid0(VALU_DEP_1) | instskip(NEXT) | instid1(VALU_DEP_3)
	v_cndmask_b32_e64 v22, v22, v24, s3
	v_cmp_lt_f32_e64 s3, 0, v27
	s_delay_alu instid0(VALU_DEP_1) | instskip(NEXT) | instid1(VALU_DEP_1)
	v_cndmask_b32_e64 v22, v22, v25, s3
	v_mul_f32_e32 v24, 0x37800000, v22
	s_delay_alu instid0(VALU_DEP_1) | instskip(SKIP_1) | instid1(VALU_DEP_2)
	v_cndmask_b32_e32 v22, v22, v24, vcc_lo
	v_cmp_class_f32_e64 vcc_lo, v21, 0x260
	v_cndmask_b32_e32 v21, v22, v21, vcc_lo
	s_delay_alu instid0(VALU_DEP_1) | instskip(NEXT) | instid1(VALU_DEP_1)
	v_add_f32_e32 v21, v8, v21
	v_cmp_gt_f32_e32 vcc_lo, 0x800000, v21
	s_delay_alu instid0(VALU_DEP_4) | instskip(NEXT) | instid1(VALU_DEP_1)
	v_cndmask_b32_e64 v22, 1.0, 0x4f800000, vcc_lo
	v_mul_f32_e32 v21, v21, v22
	s_delay_alu instid0(VALU_DEP_1) | instskip(SKIP_3) | instid1(VALU_DEP_2)
	v_log_f32_e32 v21, v21
	s_waitcnt_depctr 0xfff
	v_mul_f32_e32 v22, 0x3f317217, v21
	v_cmp_gt_f32_e64 s3, 0x7f800000, |v21|
	v_fma_f32 v24, 0x3f317217, v21, -v22
	s_delay_alu instid0(VALU_DEP_1) | instskip(NEXT) | instid1(VALU_DEP_1)
	v_fmac_f32_e32 v24, 0x3377d1cf, v21
	v_add_f32_e32 v22, v22, v24
	s_delay_alu instid0(VALU_DEP_1) | instskip(SKIP_1) | instid1(VALU_DEP_1)
	v_cndmask_b32_e64 v21, v21, v22, s3
	v_cndmask_b32_e64 v22, 0, 0x41b17218, vcc_lo
	v_sub_f32_e32 v21, v21, v22
.LBB50_522:                             ;   in Loop: Header=BB50_418 Depth=1
	s_or_saveexec_b32 s4, s4
	v_and_b32_e32 v22, 0x7fffffff, v13
	s_xor_b32 exec_lo, exec_lo, s4
	s_cbranch_execz .LBB50_544
; %bb.523:                              ;   in Loop: Header=BB50_418 Depth=1
	v_cmp_neq_f32_e64 s3, |v12|, 1.0
	v_cmp_ngt_f32_e64 s25, 0x25000000, |v13|
                                        ; implicit-def: $vgpr21
	s_delay_alu instid0(VALU_DEP_1) | instskip(NEXT) | instid1(SALU_CYCLE_1)
	s_or_b32 s3, s3, s25
	s_and_saveexec_b32 s25, s3
	s_delay_alu instid0(SALU_CYCLE_1)
	s_xor_b32 s25, exec_lo, s25
	s_cbranch_execz .LBB50_541
; %bb.524:                              ;   in Loop: Header=BB50_418 Depth=1
	v_mul_f32_e64 v21, 0x34000000, |v9|
	s_delay_alu instid0(VALU_DEP_1) | instskip(NEXT) | instid1(VALU_DEP_1)
	v_cmp_le_f32_e64 s3, v21, |v13|
                                        ; implicit-def: $vgpr21
	s_and_saveexec_b32 s26, s3
	s_delay_alu instid0(SALU_CYCLE_1)
	s_xor_b32 s26, exec_lo, s26
	s_cbranch_execz .LBB50_534
; %bb.525:                              ;   in Loop: Header=BB50_418 Depth=1
	v_mov_b32_e32 v21, v22
	s_mov_b32 s3, exec_lo
	v_cmpx_neq_f32_e32 0, v10
	s_cbranch_execz .LBB50_527
; %bb.526:                              ;   in Loop: Header=BB50_418 Depth=1
	v_dual_mul_f32 v21, v13, v13 :: v_dual_add_f32 v24, v10, v23
	s_delay_alu instid0(VALU_DEP_1) | instskip(NEXT) | instid1(VALU_DEP_1)
	v_div_scale_f32 v25, null, v24, v24, v21
	v_rcp_f32_e32 v26, v25
	s_waitcnt_depctr 0xfff
	v_fma_f32 v27, -v25, v26, 1.0
	s_delay_alu instid0(VALU_DEP_1) | instskip(SKIP_1) | instid1(VALU_DEP_1)
	v_fmac_f32_e32 v26, v27, v26
	v_div_scale_f32 v27, vcc_lo, v21, v24, v21
	v_mul_f32_e32 v28, v27, v26
	s_delay_alu instid0(VALU_DEP_1) | instskip(NEXT) | instid1(VALU_DEP_1)
	v_fma_f32 v29, -v25, v28, v27
	v_fmac_f32_e32 v28, v29, v26
	s_delay_alu instid0(VALU_DEP_1) | instskip(NEXT) | instid1(VALU_DEP_1)
	v_fma_f32 v25, -v25, v28, v27
	v_div_fmas_f32 v25, v25, v26, v28
	s_delay_alu instid0(VALU_DEP_1)
	v_div_fixup_f32 v21, v25, v24, v21
.LBB50_527:                             ;   in Loop: Header=BB50_418 Depth=1
	s_or_b32 exec_lo, exec_lo, s3
	v_sub_f32_e64 v25, 1.0, |v12|
	s_mov_b32 s3, exec_lo
                                        ; implicit-def: $vgpr24
	s_delay_alu instid0(VALU_DEP_1)
	v_cmpx_ngt_f32_e32 0, v25
	s_xor_b32 s3, exec_lo, s3
	s_cbranch_execz .LBB50_531
; %bb.528:                              ;   in Loop: Header=BB50_418 Depth=1
	v_mov_b32_e32 v24, v22
	s_mov_b32 s27, exec_lo
	v_cmpx_neq_f32_e32 0, v25
	s_cbranch_execz .LBB50_530
; %bb.529:                              ;   in Loop: Header=BB50_418 Depth=1
	v_mul_f32_e32 v24, v13, v13
	v_add_f32_e32 v25, v25, v11
	s_delay_alu instid0(VALU_DEP_1) | instskip(NEXT) | instid1(VALU_DEP_1)
	v_div_scale_f32 v26, null, v25, v25, v24
	v_rcp_f32_e32 v27, v26
	s_waitcnt_depctr 0xfff
	v_fma_f32 v28, -v26, v27, 1.0
	s_delay_alu instid0(VALU_DEP_1) | instskip(SKIP_1) | instid1(VALU_DEP_1)
	v_fmac_f32_e32 v27, v28, v27
	v_div_scale_f32 v28, vcc_lo, v24, v25, v24
	v_mul_f32_e32 v29, v28, v27
	s_delay_alu instid0(VALU_DEP_1) | instskip(NEXT) | instid1(VALU_DEP_1)
	v_fma_f32 v30, -v26, v29, v28
	v_fmac_f32_e32 v29, v30, v27
	s_delay_alu instid0(VALU_DEP_1) | instskip(NEXT) | instid1(VALU_DEP_1)
	v_fma_f32 v26, -v26, v29, v28
	v_div_fmas_f32 v26, v26, v27, v29
	s_delay_alu instid0(VALU_DEP_1)
	v_div_fixup_f32 v24, v26, v25, v24
.LBB50_530:                             ;   in Loop: Header=BB50_418 Depth=1
	s_or_b32 exec_lo, exec_lo, s27
                                        ; implicit-def: $vgpr25
.LBB50_531:                             ;   in Loop: Header=BB50_418 Depth=1
	s_and_not1_saveexec_b32 s3, s3
; %bb.532:                              ;   in Loop: Header=BB50_418 Depth=1
	v_sub_f32_e32 v24, v11, v25
; %bb.533:                              ;   in Loop: Header=BB50_418 Depth=1
	s_or_b32 exec_lo, exec_lo, s3
	s_delay_alu instid0(VALU_DEP_1) | instskip(NEXT) | instid1(VALU_DEP_1)
	v_mul_f32_e32 v24, 0.5, v24
	v_dual_add_f32 v25, 1.0, v8 :: v_dual_fmac_f32 v24, 0.5, v21
	s_delay_alu instid0(VALU_DEP_1) | instskip(NEXT) | instid1(VALU_DEP_1)
	v_mul_f32_e32 v21, v25, v24
	v_mul_f32_e32 v25, 0x4f800000, v21
	v_cmp_gt_f32_e32 vcc_lo, 0xf800000, v21
	s_delay_alu instid0(VALU_DEP_2) | instskip(NEXT) | instid1(VALU_DEP_1)
	v_cndmask_b32_e32 v21, v21, v25, vcc_lo
	v_sqrt_f32_e32 v25, v21
	s_waitcnt_depctr 0xfff
	v_add_nc_u32_e32 v26, -1, v25
	v_add_nc_u32_e32 v27, 1, v25
	s_delay_alu instid0(VALU_DEP_2) | instskip(NEXT) | instid1(VALU_DEP_2)
	v_fma_f32 v28, -v26, v25, v21
	v_fma_f32 v29, -v27, v25, v21
	s_delay_alu instid0(VALU_DEP_2) | instskip(NEXT) | instid1(VALU_DEP_1)
	v_cmp_ge_f32_e64 s3, 0, v28
	v_cndmask_b32_e64 v25, v25, v26, s3
	s_delay_alu instid0(VALU_DEP_3) | instskip(NEXT) | instid1(VALU_DEP_1)
	v_cmp_lt_f32_e64 s3, 0, v29
	v_cndmask_b32_e64 v25, v25, v27, s3
	s_delay_alu instid0(VALU_DEP_1) | instskip(NEXT) | instid1(VALU_DEP_1)
	v_mul_f32_e32 v26, 0x37800000, v25
	v_cndmask_b32_e32 v25, v25, v26, vcc_lo
	v_cmp_class_f32_e64 vcc_lo, v21, 0x260
	s_delay_alu instid0(VALU_DEP_2) | instskip(NEXT) | instid1(VALU_DEP_1)
	v_cndmask_b32_e32 v21, v25, v21, vcc_lo
	v_add_f32_e32 v21, v24, v21
	s_delay_alu instid0(VALU_DEP_1) | instskip(NEXT) | instid1(VALU_DEP_1)
	v_add_f32_e32 v26, 1.0, v21
	v_cvt_f64_f32_e32 v[24:25], v26
	s_delay_alu instid0(VALU_DEP_1) | instskip(SKIP_1) | instid1(VALU_DEP_1)
	v_frexp_exp_i32_f64_e32 v24, v[24:25]
	v_frexp_mant_f32_e32 v25, v26
	v_cmp_gt_f32_e32 vcc_lo, 0x3f2aaaab, v25
	v_add_f32_e32 v25, -1.0, v26
	s_delay_alu instid0(VALU_DEP_1) | instskip(NEXT) | instid1(VALU_DEP_1)
	v_sub_f32_e32 v28, v25, v26
	v_add_f32_e32 v28, 1.0, v28
	v_subrev_co_ci_u32_e32 v24, vcc_lo, 0, v24, vcc_lo
	s_delay_alu instid0(VALU_DEP_1) | instskip(SKIP_1) | instid1(VALU_DEP_2)
	v_sub_nc_u32_e32 v27, 0, v24
	v_cvt_f32_i32_e32 v24, v24
	v_ldexp_f32 v26, v26, v27
	v_sub_f32_e32 v25, v21, v25
	s_delay_alu instid0(VALU_DEP_1) | instskip(NEXT) | instid1(VALU_DEP_1)
	v_add_f32_e32 v25, v25, v28
	v_ldexp_f32 v25, v25, v27
	s_delay_alu instid0(VALU_DEP_4) | instskip(NEXT) | instid1(VALU_DEP_1)
	v_add_f32_e32 v29, 1.0, v26
	v_add_f32_e32 v28, -1.0, v29
	s_delay_alu instid0(VALU_DEP_1) | instskip(NEXT) | instid1(VALU_DEP_1)
	v_sub_f32_e32 v28, v26, v28
	v_dual_add_f32 v28, v25, v28 :: v_dual_add_f32 v27, -1.0, v26
	s_delay_alu instid0(VALU_DEP_1) | instskip(SKIP_1) | instid1(VALU_DEP_2)
	v_add_f32_e32 v30, 1.0, v27
	v_cmp_eq_f32_e32 vcc_lo, 0x7f800000, v21
	v_sub_f32_e32 v26, v26, v30
	s_delay_alu instid0(VALU_DEP_4) | instskip(NEXT) | instid1(VALU_DEP_1)
	v_add_f32_e32 v30, v29, v28
	v_sub_f32_e32 v29, v30, v29
	s_delay_alu instid0(VALU_DEP_3) | instskip(SKIP_1) | instid1(VALU_DEP_2)
	v_add_f32_e32 v25, v25, v26
	v_rcp_f32_e32 v26, v30
	v_sub_f32_e32 v28, v28, v29
	s_delay_alu instid0(VALU_DEP_2) | instskip(NEXT) | instid1(VALU_DEP_1)
	v_add_f32_e32 v31, v27, v25
	v_sub_f32_e32 v27, v31, v27
	s_waitcnt_depctr 0xfff
	v_dual_mul_f32 v32, v31, v26 :: v_dual_sub_f32 v25, v25, v27
	s_delay_alu instid0(VALU_DEP_1) | instskip(NEXT) | instid1(VALU_DEP_1)
	v_mul_f32_e32 v33, v30, v32
	v_fma_f32 v29, v32, v30, -v33
	s_delay_alu instid0(VALU_DEP_1) | instskip(NEXT) | instid1(VALU_DEP_1)
	v_fmac_f32_e32 v29, v32, v28
	v_add_f32_e32 v34, v33, v29
	s_delay_alu instid0(VALU_DEP_1) | instskip(NEXT) | instid1(VALU_DEP_1)
	v_sub_f32_e32 v35, v31, v34
	v_sub_f32_e32 v31, v31, v35
	;; [unrolled: 1-line block ×3, first 2 shown]
	s_delay_alu instid0(VALU_DEP_2) | instskip(NEXT) | instid1(VALU_DEP_2)
	v_sub_f32_e32 v31, v31, v34
	v_sub_f32_e32 v27, v27, v29
	s_delay_alu instid0(VALU_DEP_2) | instskip(NEXT) | instid1(VALU_DEP_1)
	v_add_f32_e32 v25, v25, v31
	v_add_f32_e32 v25, v27, v25
	s_delay_alu instid0(VALU_DEP_1) | instskip(NEXT) | instid1(VALU_DEP_1)
	v_add_f32_e32 v27, v35, v25
	v_mul_f32_e32 v29, v26, v27
	s_delay_alu instid0(VALU_DEP_1) | instskip(NEXT) | instid1(VALU_DEP_1)
	v_dual_sub_f32 v34, v35, v27 :: v_dual_mul_f32 v31, v30, v29
	v_add_f32_e32 v25, v25, v34
	s_delay_alu instid0(VALU_DEP_2) | instskip(NEXT) | instid1(VALU_DEP_1)
	v_fma_f32 v30, v29, v30, -v31
	v_fmac_f32_e32 v30, v29, v28
	s_delay_alu instid0(VALU_DEP_1) | instskip(NEXT) | instid1(VALU_DEP_1)
	v_add_f32_e32 v28, v31, v30
	v_sub_f32_e32 v33, v27, v28
	v_sub_f32_e32 v31, v28, v31
	s_delay_alu instid0(VALU_DEP_2) | instskip(NEXT) | instid1(VALU_DEP_1)
	v_sub_f32_e32 v27, v27, v33
	v_sub_f32_e32 v27, v27, v28
	s_delay_alu instid0(VALU_DEP_1) | instskip(SKIP_1) | instid1(VALU_DEP_1)
	v_dual_sub_f32 v28, v31, v30 :: v_dual_add_f32 v25, v25, v27
	v_add_f32_e32 v27, v32, v29
	v_dual_add_f32 v25, v28, v25 :: v_dual_sub_f32 v28, v27, v32
	s_delay_alu instid0(VALU_DEP_1) | instskip(NEXT) | instid1(VALU_DEP_1)
	v_add_f32_e32 v25, v33, v25
	v_dual_sub_f32 v28, v29, v28 :: v_dual_mul_f32 v25, v26, v25
	s_delay_alu instid0(VALU_DEP_1) | instskip(NEXT) | instid1(VALU_DEP_1)
	v_add_f32_e32 v25, v28, v25
	v_add_f32_e32 v26, v27, v25
	s_delay_alu instid0(VALU_DEP_1) | instskip(NEXT) | instid1(VALU_DEP_1)
	v_mul_f32_e32 v28, v26, v26
	v_fmaak_f32 v29, s18, v28, 0x3ecc95a3
	v_mul_f32_e32 v30, v26, v28
	s_delay_alu instid0(VALU_DEP_2) | instskip(SKIP_2) | instid1(VALU_DEP_3)
	v_fmaak_f32 v28, v28, v29, 0x3f2aaada
	v_ldexp_f32 v29, v26, 1
	v_sub_f32_e32 v26, v26, v27
	v_mul_f32_e32 v28, v30, v28
	s_delay_alu instid0(VALU_DEP_2) | instskip(NEXT) | instid1(VALU_DEP_2)
	v_dual_mul_f32 v30, 0x3f317218, v24 :: v_dual_sub_f32 v25, v25, v26
	v_add_f32_e32 v27, v29, v28
	s_delay_alu instid0(VALU_DEP_2) | instskip(NEXT) | instid1(VALU_DEP_2)
	v_ldexp_f32 v25, v25, 1
	v_sub_f32_e32 v26, v27, v29
	s_delay_alu instid0(VALU_DEP_4) | instskip(NEXT) | instid1(VALU_DEP_1)
	v_fma_f32 v29, 0x3f317218, v24, -v30
	v_dual_sub_f32 v26, v28, v26 :: v_dual_fmac_f32 v29, 0xb102e308, v24
	s_delay_alu instid0(VALU_DEP_1) | instskip(NEXT) | instid1(VALU_DEP_1)
	v_dual_add_f32 v24, v25, v26 :: v_dual_add_f32 v25, v30, v29
	v_add_f32_e32 v26, v27, v24
	s_delay_alu instid0(VALU_DEP_2) | instskip(NEXT) | instid1(VALU_DEP_2)
	v_sub_f32_e32 v30, v25, v30
	v_dual_add_f32 v28, v25, v26 :: v_dual_sub_f32 v27, v26, v27
	s_delay_alu instid0(VALU_DEP_2) | instskip(NEXT) | instid1(VALU_DEP_2)
	v_sub_f32_e32 v29, v29, v30
	v_sub_f32_e32 v31, v28, v25
	s_delay_alu instid0(VALU_DEP_3) | instskip(NEXT) | instid1(VALU_DEP_2)
	v_sub_f32_e32 v24, v24, v27
	v_sub_f32_e32 v32, v28, v31
	s_delay_alu instid0(VALU_DEP_2) | instskip(NEXT) | instid1(VALU_DEP_2)
	v_dual_sub_f32 v26, v26, v31 :: v_dual_add_f32 v27, v29, v24
	v_sub_f32_e32 v25, v25, v32
	s_delay_alu instid0(VALU_DEP_1) | instskip(NEXT) | instid1(VALU_DEP_3)
	v_add_f32_e32 v25, v26, v25
	v_sub_f32_e32 v26, v27, v29
	s_delay_alu instid0(VALU_DEP_2) | instskip(NEXT) | instid1(VALU_DEP_2)
	v_add_f32_e32 v25, v27, v25
	v_sub_f32_e32 v27, v27, v26
	v_sub_f32_e32 v24, v24, v26
	s_delay_alu instid0(VALU_DEP_2) | instskip(NEXT) | instid1(VALU_DEP_1)
	v_dual_add_f32 v30, v28, v25 :: v_dual_sub_f32 v27, v29, v27
	v_sub_f32_e32 v26, v30, v28
	s_delay_alu instid0(VALU_DEP_1) | instskip(NEXT) | instid1(VALU_DEP_1)
	v_dual_add_f32 v24, v24, v27 :: v_dual_sub_f32 v25, v25, v26
	v_add_f32_e32 v24, v24, v25
	s_delay_alu instid0(VALU_DEP_1) | instskip(NEXT) | instid1(VALU_DEP_1)
	v_add_f32_e32 v24, v30, v24
	v_cndmask_b32_e32 v24, v24, v21, vcc_lo
	v_cmp_ngt_f32_e32 vcc_lo, -1.0, v21
	s_delay_alu instid0(VALU_DEP_2) | instskip(SKIP_1) | instid1(VALU_DEP_2)
	v_cndmask_b32_e32 v24, 0x7fc00000, v24, vcc_lo
	v_cmp_neq_f32_e32 vcc_lo, -1.0, v21
	v_cndmask_b32_e32 v24, 0xff800000, v24, vcc_lo
	v_cmp_gt_f32_e64 vcc_lo, 0x33800000, |v21|
	s_delay_alu instid0(VALU_DEP_2)
	v_cndmask_b32_e32 v21, v24, v21, vcc_lo
.LBB50_534:                             ;   in Loop: Header=BB50_418 Depth=1
	s_and_not1_saveexec_b32 s26, s26
	s_cbranch_execz .LBB50_540
; %bb.535:                              ;   in Loop: Header=BB50_418 Depth=1
	s_mov_b32 s27, exec_lo
                                        ; implicit-def: $vgpr21
	v_cmpx_nlt_f32_e64 |v12|, 1.0
	s_xor_b32 s27, exec_lo, s27
	s_cbranch_execz .LBB50_537
; %bb.536:                              ;   in Loop: Header=BB50_418 Depth=1
	v_mul_f32_e32 v21, v9, v10
	s_delay_alu instid0(VALU_DEP_1) | instskip(SKIP_1) | instid1(VALU_DEP_2)
	v_mul_f32_e32 v24, 0x4f800000, v21
	v_cmp_gt_f32_e32 vcc_lo, 0xf800000, v21
	v_cndmask_b32_e32 v21, v21, v24, vcc_lo
	s_delay_alu instid0(VALU_DEP_1) | instskip(SKIP_3) | instid1(VALU_DEP_2)
	v_sqrt_f32_e32 v24, v21
	s_waitcnt_depctr 0xfff
	v_add_nc_u32_e32 v25, -1, v24
	v_add_nc_u32_e32 v26, 1, v24
	v_fma_f32 v27, -v25, v24, v21
	s_delay_alu instid0(VALU_DEP_2) | instskip(NEXT) | instid1(VALU_DEP_2)
	v_fma_f32 v28, -v26, v24, v21
	v_cmp_ge_f32_e64 s3, 0, v27
	s_delay_alu instid0(VALU_DEP_1) | instskip(NEXT) | instid1(VALU_DEP_3)
	v_cndmask_b32_e64 v24, v24, v25, s3
	v_cmp_lt_f32_e64 s3, 0, v28
	s_delay_alu instid0(VALU_DEP_1) | instskip(NEXT) | instid1(VALU_DEP_1)
	v_cndmask_b32_e64 v24, v24, v26, s3
	v_mul_f32_e32 v25, 0x37800000, v24
	s_delay_alu instid0(VALU_DEP_1) | instskip(SKIP_1) | instid1(VALU_DEP_2)
	v_cndmask_b32_e32 v24, v24, v25, vcc_lo
	v_cmp_class_f32_e64 vcc_lo, v21, 0x260
	v_cndmask_b32_e32 v21, v24, v21, vcc_lo
	s_delay_alu instid0(VALU_DEP_1) | instskip(NEXT) | instid1(VALU_DEP_1)
	v_add_f32_e32 v21, v9, v21
	v_add_f32_e32 v26, 1.0, v21
	s_delay_alu instid0(VALU_DEP_1) | instskip(NEXT) | instid1(VALU_DEP_1)
	v_cvt_f64_f32_e32 v[24:25], v26
	v_frexp_exp_i32_f64_e32 v24, v[24:25]
	v_frexp_mant_f32_e32 v25, v26
	s_delay_alu instid0(VALU_DEP_1) | instskip(SKIP_1) | instid1(VALU_DEP_1)
	v_cmp_gt_f32_e32 vcc_lo, 0x3f2aaaab, v25
	v_add_f32_e32 v25, -1.0, v26
	v_sub_f32_e32 v28, v25, v26
	s_delay_alu instid0(VALU_DEP_1) | instskip(SKIP_2) | instid1(VALU_DEP_2)
	v_add_f32_e32 v28, 1.0, v28
	v_subrev_co_ci_u32_e32 v24, vcc_lo, 0, v24, vcc_lo
	v_cmp_eq_f32_e32 vcc_lo, 0x7f800000, v21
	v_sub_nc_u32_e32 v27, 0, v24
	v_cvt_f32_i32_e32 v24, v24
	s_delay_alu instid0(VALU_DEP_2) | instskip(SKIP_1) | instid1(VALU_DEP_1)
	v_ldexp_f32 v26, v26, v27
	v_sub_f32_e32 v25, v21, v25
	v_add_f32_e32 v25, v25, v28
	s_delay_alu instid0(VALU_DEP_1) | instskip(NEXT) | instid1(VALU_DEP_4)
	v_ldexp_f32 v25, v25, v27
	v_add_f32_e32 v27, -1.0, v26
	s_delay_alu instid0(VALU_DEP_1) | instskip(NEXT) | instid1(VALU_DEP_1)
	v_dual_add_f32 v29, 1.0, v26 :: v_dual_add_f32 v30, 1.0, v27
	v_add_f32_e32 v28, -1.0, v29
	s_delay_alu instid0(VALU_DEP_1) | instskip(NEXT) | instid1(VALU_DEP_3)
	v_sub_f32_e32 v28, v26, v28
	v_sub_f32_e32 v26, v26, v30
	s_delay_alu instid0(VALU_DEP_2) | instskip(NEXT) | instid1(VALU_DEP_2)
	v_add_f32_e32 v28, v25, v28
	v_add_f32_e32 v25, v25, v26
	s_delay_alu instid0(VALU_DEP_1) | instskip(NEXT) | instid1(VALU_DEP_1)
	v_dual_add_f32 v30, v29, v28 :: v_dual_add_f32 v31, v27, v25
	v_rcp_f32_e32 v26, v30
	v_sub_f32_e32 v29, v30, v29
	s_delay_alu instid0(VALU_DEP_1) | instskip(SKIP_2) | instid1(VALU_DEP_1)
	v_dual_sub_f32 v27, v31, v27 :: v_dual_sub_f32 v28, v28, v29
	s_waitcnt_depctr 0xfff
	v_dual_sub_f32 v25, v25, v27 :: v_dual_mul_f32 v32, v31, v26
	v_mul_f32_e32 v33, v30, v32
	s_delay_alu instid0(VALU_DEP_1) | instskip(NEXT) | instid1(VALU_DEP_1)
	v_fma_f32 v29, v32, v30, -v33
	v_fmac_f32_e32 v29, v32, v28
	s_delay_alu instid0(VALU_DEP_1) | instskip(NEXT) | instid1(VALU_DEP_1)
	v_add_f32_e32 v34, v33, v29
	v_sub_f32_e32 v35, v31, v34
	v_sub_f32_e32 v27, v34, v33
	s_delay_alu instid0(VALU_DEP_2) | instskip(NEXT) | instid1(VALU_DEP_2)
	v_sub_f32_e32 v31, v31, v35
	v_sub_f32_e32 v27, v27, v29
	s_delay_alu instid0(VALU_DEP_2) | instskip(NEXT) | instid1(VALU_DEP_1)
	v_sub_f32_e32 v31, v31, v34
	v_add_f32_e32 v25, v25, v31
	s_delay_alu instid0(VALU_DEP_1) | instskip(NEXT) | instid1(VALU_DEP_1)
	v_add_f32_e32 v25, v27, v25
	v_add_f32_e32 v27, v35, v25
	s_delay_alu instid0(VALU_DEP_1) | instskip(NEXT) | instid1(VALU_DEP_1)
	v_mul_f32_e32 v29, v26, v27
	v_mul_f32_e32 v31, v30, v29
	s_delay_alu instid0(VALU_DEP_1) | instskip(NEXT) | instid1(VALU_DEP_1)
	v_fma_f32 v30, v29, v30, -v31
	v_fmac_f32_e32 v30, v29, v28
	v_sub_f32_e32 v34, v35, v27
	s_delay_alu instid0(VALU_DEP_2) | instskip(NEXT) | instid1(VALU_DEP_2)
	v_add_f32_e32 v28, v31, v30
	v_add_f32_e32 v25, v25, v34
	s_delay_alu instid0(VALU_DEP_2) | instskip(SKIP_1) | instid1(VALU_DEP_2)
	v_sub_f32_e32 v33, v27, v28
	v_sub_f32_e32 v31, v28, v31
	;; [unrolled: 1-line block ×3, first 2 shown]
	s_delay_alu instid0(VALU_DEP_1) | instskip(NEXT) | instid1(VALU_DEP_1)
	v_sub_f32_e32 v27, v27, v28
	v_dual_sub_f32 v28, v31, v30 :: v_dual_add_f32 v25, v25, v27
	v_add_f32_e32 v27, v32, v29
	s_delay_alu instid0(VALU_DEP_1) | instskip(NEXT) | instid1(VALU_DEP_1)
	v_dual_add_f32 v25, v28, v25 :: v_dual_sub_f32 v28, v27, v32
	v_add_f32_e32 v25, v33, v25
	s_delay_alu instid0(VALU_DEP_1) | instskip(NEXT) | instid1(VALU_DEP_1)
	v_dual_sub_f32 v28, v29, v28 :: v_dual_mul_f32 v25, v26, v25
	v_add_f32_e32 v25, v28, v25
	s_delay_alu instid0(VALU_DEP_1) | instskip(NEXT) | instid1(VALU_DEP_1)
	v_add_f32_e32 v26, v27, v25
	v_mul_f32_e32 v28, v26, v26
	s_delay_alu instid0(VALU_DEP_1) | instskip(SKIP_1) | instid1(VALU_DEP_2)
	v_fmaak_f32 v29, s18, v28, 0x3ecc95a3
	v_mul_f32_e32 v30, v26, v28
	v_fmaak_f32 v28, v28, v29, 0x3f2aaada
	v_ldexp_f32 v29, v26, 1
	v_sub_f32_e32 v26, v26, v27
	s_delay_alu instid0(VALU_DEP_3) | instskip(NEXT) | instid1(VALU_DEP_2)
	v_mul_f32_e32 v28, v30, v28
	v_dual_mul_f32 v30, 0x3f317218, v24 :: v_dual_sub_f32 v25, v25, v26
	s_delay_alu instid0(VALU_DEP_2) | instskip(NEXT) | instid1(VALU_DEP_2)
	v_add_f32_e32 v27, v29, v28
	v_ldexp_f32 v25, v25, 1
	s_delay_alu instid0(VALU_DEP_2) | instskip(NEXT) | instid1(VALU_DEP_4)
	v_sub_f32_e32 v26, v27, v29
	v_fma_f32 v29, 0x3f317218, v24, -v30
	s_delay_alu instid0(VALU_DEP_1) | instskip(NEXT) | instid1(VALU_DEP_1)
	v_dual_sub_f32 v26, v28, v26 :: v_dual_fmac_f32 v29, 0xb102e308, v24
	v_dual_add_f32 v24, v25, v26 :: v_dual_add_f32 v25, v30, v29
	s_delay_alu instid0(VALU_DEP_1) | instskip(NEXT) | instid1(VALU_DEP_2)
	v_add_f32_e32 v26, v27, v24
	v_sub_f32_e32 v30, v25, v30
	s_delay_alu instid0(VALU_DEP_2) | instskip(NEXT) | instid1(VALU_DEP_2)
	v_dual_add_f32 v28, v25, v26 :: v_dual_sub_f32 v27, v26, v27
	v_sub_f32_e32 v29, v29, v30
	s_delay_alu instid0(VALU_DEP_2) | instskip(NEXT) | instid1(VALU_DEP_3)
	v_sub_f32_e32 v31, v28, v25
	v_sub_f32_e32 v24, v24, v27
	s_delay_alu instid0(VALU_DEP_2) | instskip(NEXT) | instid1(VALU_DEP_2)
	v_sub_f32_e32 v32, v28, v31
	v_dual_sub_f32 v26, v26, v31 :: v_dual_add_f32 v27, v29, v24
	s_delay_alu instid0(VALU_DEP_2) | instskip(NEXT) | instid1(VALU_DEP_1)
	v_sub_f32_e32 v25, v25, v32
	v_add_f32_e32 v25, v26, v25
	s_delay_alu instid0(VALU_DEP_3) | instskip(NEXT) | instid1(VALU_DEP_2)
	v_sub_f32_e32 v26, v27, v29
	v_add_f32_e32 v25, v27, v25
	s_delay_alu instid0(VALU_DEP_2) | instskip(SKIP_1) | instid1(VALU_DEP_2)
	v_sub_f32_e32 v27, v27, v26
	v_sub_f32_e32 v24, v24, v26
	v_dual_add_f32 v30, v28, v25 :: v_dual_sub_f32 v27, v29, v27
	s_delay_alu instid0(VALU_DEP_1) | instskip(NEXT) | instid1(VALU_DEP_1)
	v_sub_f32_e32 v26, v30, v28
	v_dual_add_f32 v24, v24, v27 :: v_dual_sub_f32 v25, v25, v26
	s_delay_alu instid0(VALU_DEP_1) | instskip(NEXT) | instid1(VALU_DEP_1)
	v_add_f32_e32 v24, v24, v25
	v_add_f32_e32 v24, v30, v24
	s_delay_alu instid0(VALU_DEP_1) | instskip(SKIP_1) | instid1(VALU_DEP_2)
	v_cndmask_b32_e32 v24, v24, v21, vcc_lo
	v_cmp_ngt_f32_e32 vcc_lo, -1.0, v21
	v_cndmask_b32_e32 v24, 0x7fc00000, v24, vcc_lo
	v_cmp_neq_f32_e32 vcc_lo, -1.0, v21
	s_delay_alu instid0(VALU_DEP_2) | instskip(SKIP_1) | instid1(VALU_DEP_2)
	v_cndmask_b32_e32 v24, 0xff800000, v24, vcc_lo
	v_cmp_gt_f32_e64 vcc_lo, 0x33800000, |v21|
	v_cndmask_b32_e32 v21, v24, v21, vcc_lo
.LBB50_537:                             ;   in Loop: Header=BB50_418 Depth=1
	s_and_not1_saveexec_b32 s27, s27
	s_cbranch_execz .LBB50_539
; %bb.538:                              ;   in Loop: Header=BB50_418 Depth=1
	v_sub_f32_e64 v21, 1.0, |v12|
	s_delay_alu instid0(VALU_DEP_1) | instskip(NEXT) | instid1(VALU_DEP_1)
	v_mul_f32_e32 v21, v21, v10
	v_mul_f32_e32 v24, 0x4f800000, v21
	v_cmp_gt_f32_e32 vcc_lo, 0xf800000, v21
	s_delay_alu instid0(VALU_DEP_2) | instskip(NEXT) | instid1(VALU_DEP_1)
	v_cndmask_b32_e32 v21, v21, v24, vcc_lo
	v_sqrt_f32_e32 v24, v21
	s_waitcnt_depctr 0xfff
	v_add_nc_u32_e32 v25, -1, v24
	v_add_nc_u32_e32 v26, 1, v24
	s_delay_alu instid0(VALU_DEP_2) | instskip(NEXT) | instid1(VALU_DEP_2)
	v_fma_f32 v27, -v25, v24, v21
	v_fma_f32 v28, -v26, v24, v21
	s_delay_alu instid0(VALU_DEP_2) | instskip(NEXT) | instid1(VALU_DEP_1)
	v_cmp_ge_f32_e64 s3, 0, v27
	v_cndmask_b32_e64 v24, v24, v25, s3
	s_delay_alu instid0(VALU_DEP_3) | instskip(NEXT) | instid1(VALU_DEP_1)
	v_cmp_lt_f32_e64 s3, 0, v28
	v_cndmask_b32_e64 v24, v24, v26, s3
	s_delay_alu instid0(VALU_DEP_1) | instskip(NEXT) | instid1(VALU_DEP_1)
	v_mul_f32_e32 v25, 0x37800000, v24
	v_cndmask_b32_e32 v24, v24, v25, vcc_lo
	v_cmp_class_f32_e64 vcc_lo, v21, 0x260
	v_and_b32_e32 v25, 0x7fffffff, v13
	s_delay_alu instid0(VALU_DEP_3) | instskip(NEXT) | instid1(VALU_DEP_1)
	v_cndmask_b32_e32 v21, v24, v21, vcc_lo
	v_div_scale_f32 v24, null, v21, v21, v25
	v_div_scale_f32 v25, vcc_lo, v25, v21, v25
	s_delay_alu instid0(VALU_DEP_2) | instskip(SKIP_2) | instid1(VALU_DEP_1)
	v_rcp_f32_e32 v26, v24
	s_waitcnt_depctr 0xfff
	v_fma_f32 v27, -v24, v26, 1.0
	v_fmac_f32_e32 v26, v27, v26
	s_delay_alu instid0(VALU_DEP_1) | instskip(NEXT) | instid1(VALU_DEP_1)
	v_mul_f32_e32 v27, v25, v26
	v_fma_f32 v28, -v24, v27, v25
	s_delay_alu instid0(VALU_DEP_1) | instskip(NEXT) | instid1(VALU_DEP_1)
	v_fmac_f32_e32 v27, v28, v26
	v_fma_f32 v24, -v24, v27, v25
	s_delay_alu instid0(VALU_DEP_1) | instskip(NEXT) | instid1(VALU_DEP_1)
	v_div_fmas_f32 v24, v24, v26, v27
	v_div_fixup_f32 v21, v24, v21, |v13|
.LBB50_539:                             ;   in Loop: Header=BB50_418 Depth=1
	s_or_b32 exec_lo, exec_lo, s27
.LBB50_540:                             ;   in Loop: Header=BB50_418 Depth=1
	s_delay_alu instid0(SALU_CYCLE_1)
	s_or_b32 exec_lo, exec_lo, s26
.LBB50_541:                             ;   in Loop: Header=BB50_418 Depth=1
	s_and_not1_saveexec_b32 s25, s25
	s_cbranch_execz .LBB50_543
; %bb.542:                              ;   in Loop: Header=BB50_418 Depth=1
	v_mul_f32_e64 v21, 0x4f800000, |v13|
	v_cmp_gt_f32_e64 vcc_lo, 0xf800000, |v13|
	s_delay_alu instid0(VALU_DEP_1) | instskip(NEXT) | instid1(VALU_DEP_1)
	v_cndmask_b32_e64 v21, |v13|, v21, vcc_lo
	v_sqrt_f32_e32 v24, v21
	s_waitcnt_depctr 0xfff
	v_add_nc_u32_e32 v25, -1, v24
	v_add_nc_u32_e32 v26, 1, v24
	s_delay_alu instid0(VALU_DEP_2) | instskip(NEXT) | instid1(VALU_DEP_2)
	v_fma_f32 v27, -v25, v24, v21
	v_fma_f32 v28, -v26, v24, v21
	s_delay_alu instid0(VALU_DEP_2) | instskip(NEXT) | instid1(VALU_DEP_1)
	v_cmp_ge_f32_e64 s3, 0, v27
	v_cndmask_b32_e64 v24, v24, v25, s3
	s_delay_alu instid0(VALU_DEP_3) | instskip(NEXT) | instid1(VALU_DEP_1)
	v_cmp_lt_f32_e64 s3, 0, v28
	v_cndmask_b32_e64 v24, v24, v26, s3
	s_delay_alu instid0(VALU_DEP_1) | instskip(NEXT) | instid1(VALU_DEP_1)
	v_mul_f32_e32 v25, 0x37800000, v24
	v_cndmask_b32_e32 v24, v24, v25, vcc_lo
	v_cmp_class_f32_e64 vcc_lo, v21, 0x260
	s_delay_alu instid0(VALU_DEP_2)
	v_cndmask_b32_e32 v21, v24, v21, vcc_lo
.LBB50_543:                             ;   in Loop: Header=BB50_418 Depth=1
	s_or_b32 exec_lo, exec_lo, s25
.LBB50_544:                             ;   in Loop: Header=BB50_418 Depth=1
	s_delay_alu instid0(SALU_CYCLE_1) | instskip(NEXT) | instid1(SALU_CYCLE_1)
	s_or_b32 exec_lo, exec_lo, s4
	s_mov_b32 s25, exec_lo
                                        ; implicit-def: $sgpr3
                                        ; implicit-def: $vgpr24
                                        ; implicit-def: $vgpr26
                                        ; implicit-def: $vgpr25
	v_cmpx_ngt_f32_e64 0x21000000, |v12|
	s_xor_b32 s25, exec_lo, s25
	s_cbranch_execz .LBB50_568
; %bb.545:                              ;   in Loop: Header=BB50_418 Depth=1
	v_and_b32_e32 v25, 0x7fffffff, v12
	s_mov_b32 s3, 0
	s_mov_b32 s26, exec_lo
	s_delay_alu instid0(VALU_DEP_1) | instskip(NEXT) | instid1(VALU_DEP_1)
	v_div_scale_f32 v24, null, v8, v8, v25
	v_rcp_f32_e32 v26, v24
	s_waitcnt_depctr 0xfff
	v_fma_f32 v27, -v24, v26, 1.0
	s_delay_alu instid0(VALU_DEP_1) | instskip(SKIP_1) | instid1(VALU_DEP_1)
	v_fmac_f32_e32 v26, v27, v26
	v_div_scale_f32 v27, vcc_lo, v25, v8, v25
	v_mul_f32_e32 v28, v27, v26
	s_delay_alu instid0(VALU_DEP_1) | instskip(NEXT) | instid1(VALU_DEP_1)
	v_fma_f32 v29, -v24, v28, v27
	v_fmac_f32_e32 v28, v29, v26
	s_delay_alu instid0(VALU_DEP_1) | instskip(NEXT) | instid1(VALU_DEP_1)
	v_fma_f32 v24, -v24, v28, v27
	v_div_fmas_f32 v24, v24, v26, v28
                                        ; implicit-def: $vgpr26
	s_delay_alu instid0(VALU_DEP_1) | instskip(NEXT) | instid1(VALU_DEP_1)
	v_div_fixup_f32 v24, v24, v8, |v12|
	v_cmpx_lt_f32_e32 0x3f244674, v24
	s_cbranch_execz .LBB50_567
; %bb.546:                              ;   in Loop: Header=BB50_418 Depth=1
	v_cmp_neq_f32_e64 s3, |v12|, 1.0
	v_cmp_ngt_f32_e64 s4, 0x30800000, |v13|
                                        ; implicit-def: $sgpr27
                                        ; implicit-def: $vgpr26
	s_delay_alu instid0(VALU_DEP_1) | instskip(NEXT) | instid1(SALU_CYCLE_1)
	s_or_b32 s3, s3, s4
	s_and_saveexec_b32 s4, s3
	s_delay_alu instid0(SALU_CYCLE_1)
	s_xor_b32 s4, exec_lo, s4
	s_cbranch_execz .LBB50_564
; %bb.547:                              ;   in Loop: Header=BB50_418 Depth=1
	v_mul_f32_e64 v26, 0x34000000, |v9|
                                        ; implicit-def: $sgpr27
	s_delay_alu instid0(VALU_DEP_1) | instskip(NEXT) | instid1(VALU_DEP_1)
	v_cmp_le_f32_e64 s3, v26, |v13|
                                        ; implicit-def: $vgpr26
	s_and_saveexec_b32 s28, s3
	s_delay_alu instid0(SALU_CYCLE_1)
	s_xor_b32 s28, exec_lo, s28
	s_cbranch_execz .LBB50_557
; %bb.548:                              ;   in Loop: Header=BB50_418 Depth=1
	v_mov_b32_e32 v26, v22
	s_mov_b32 s3, exec_lo
	v_cmpx_neq_f32_e32 0, v10
	s_cbranch_execz .LBB50_550
; %bb.549:                              ;   in Loop: Header=BB50_418 Depth=1
	v_mul_f32_e32 v26, v13, v13
	v_add_f32_e32 v10, v10, v23
	s_delay_alu instid0(VALU_DEP_1) | instskip(NEXT) | instid1(VALU_DEP_1)
	v_div_scale_f32 v23, null, v10, v10, v26
	v_rcp_f32_e32 v27, v23
	s_waitcnt_depctr 0xfff
	v_fma_f32 v28, -v23, v27, 1.0
	s_delay_alu instid0(VALU_DEP_1) | instskip(SKIP_1) | instid1(VALU_DEP_1)
	v_fmac_f32_e32 v27, v28, v27
	v_div_scale_f32 v28, vcc_lo, v26, v10, v26
	v_mul_f32_e32 v29, v28, v27
	s_delay_alu instid0(VALU_DEP_1) | instskip(NEXT) | instid1(VALU_DEP_1)
	v_fma_f32 v30, -v23, v29, v28
	v_fmac_f32_e32 v29, v30, v27
	s_delay_alu instid0(VALU_DEP_1) | instskip(NEXT) | instid1(VALU_DEP_1)
	v_fma_f32 v23, -v23, v29, v28
	v_div_fmas_f32 v23, v23, v27, v29
	s_delay_alu instid0(VALU_DEP_1)
	v_div_fixup_f32 v26, v23, v10, v26
.LBB50_550:                             ;   in Loop: Header=BB50_418 Depth=1
	s_or_b32 exec_lo, exec_lo, s3
	s_delay_alu instid0(SALU_CYCLE_1)
	s_mov_b32 s3, exec_lo
	v_cmpx_ngt_f32_e32 0, v9
	s_xor_b32 s3, exec_lo, s3
	s_cbranch_execz .LBB50_554
; %bb.551:                              ;   in Loop: Header=BB50_418 Depth=1
	s_mov_b32 s27, exec_lo
	v_cmpx_neq_f32_e32 0, v9
	s_cbranch_execz .LBB50_553
; %bb.552:                              ;   in Loop: Header=BB50_418 Depth=1
	v_mul_f32_e32 v10, v13, v13
	v_add_f32_e32 v9, v9, v11
	s_delay_alu instid0(VALU_DEP_1) | instskip(NEXT) | instid1(VALU_DEP_1)
	v_div_scale_f32 v11, null, v9, v9, v10
	v_rcp_f32_e32 v13, v11
	s_waitcnt_depctr 0xfff
	v_fma_f32 v22, -v11, v13, 1.0
	s_delay_alu instid0(VALU_DEP_1) | instskip(SKIP_1) | instid1(VALU_DEP_1)
	v_fmac_f32_e32 v13, v22, v13
	v_div_scale_f32 v22, vcc_lo, v10, v9, v10
	v_mul_f32_e32 v23, v22, v13
	s_delay_alu instid0(VALU_DEP_1) | instskip(NEXT) | instid1(VALU_DEP_1)
	v_fma_f32 v27, -v11, v23, v22
	v_fmac_f32_e32 v23, v27, v13
	s_delay_alu instid0(VALU_DEP_1) | instskip(NEXT) | instid1(VALU_DEP_1)
	v_fma_f32 v11, -v11, v23, v22
	v_div_fmas_f32 v11, v11, v13, v23
	s_delay_alu instid0(VALU_DEP_1)
	v_div_fixup_f32 v22, v11, v9, v10
.LBB50_553:                             ;   in Loop: Header=BB50_418 Depth=1
	s_or_b32 exec_lo, exec_lo, s27
                                        ; implicit-def: $vgpr11
                                        ; implicit-def: $vgpr9
.LBB50_554:                             ;   in Loop: Header=BB50_418 Depth=1
	s_and_not1_saveexec_b32 s3, s3
; %bb.555:                              ;   in Loop: Header=BB50_418 Depth=1
	v_sub_f32_e32 v22, v11, v9
; %bb.556:                              ;   in Loop: Header=BB50_418 Depth=1
	s_or_b32 exec_lo, exec_lo, s3
	s_delay_alu instid0(VALU_DEP_1) | instskip(SKIP_2) | instid1(VALU_DEP_2)
	v_mul_f32_e32 v9, 0.5, v22
	v_add_f32_e64 v8, |v12|, v8
	s_mov_b32 s27, -1
	v_fmac_f32_e32 v9, 0.5, v26
	s_delay_alu instid0(VALU_DEP_1) | instskip(NEXT) | instid1(VALU_DEP_1)
	v_mul_f32_e32 v8, v8, v9
	v_mul_f32_e32 v9, 0x4f800000, v8
	v_cmp_gt_f32_e32 vcc_lo, 0xf800000, v8
	s_delay_alu instid0(VALU_DEP_2) | instskip(NEXT) | instid1(VALU_DEP_1)
	v_cndmask_b32_e32 v8, v8, v9, vcc_lo
	v_sqrt_f32_e32 v9, v8
	s_waitcnt_depctr 0xfff
	v_add_nc_u32_e32 v10, -1, v9
	v_add_nc_u32_e32 v11, 1, v9
	s_delay_alu instid0(VALU_DEP_2) | instskip(NEXT) | instid1(VALU_DEP_2)
	v_fma_f32 v12, -v10, v9, v8
	v_fma_f32 v13, -v11, v9, v8
	s_delay_alu instid0(VALU_DEP_2) | instskip(NEXT) | instid1(VALU_DEP_1)
	v_cmp_ge_f32_e64 s3, 0, v12
	v_cndmask_b32_e64 v9, v9, v10, s3
	s_delay_alu instid0(VALU_DEP_3) | instskip(NEXT) | instid1(VALU_DEP_1)
	v_cmp_lt_f32_e64 s3, 0, v13
	v_cndmask_b32_e64 v9, v9, v11, s3
	s_delay_alu instid0(VALU_DEP_1) | instskip(NEXT) | instid1(VALU_DEP_1)
	v_mul_f32_e32 v10, 0x37800000, v9
	v_cndmask_b32_e32 v9, v9, v10, vcc_lo
	v_cmp_class_f32_e64 vcc_lo, v8, 0x260
                                        ; implicit-def: $vgpr10_vgpr11_vgpr12_vgpr13
                                        ; implicit-def: $vgpr10
	s_delay_alu instid0(VALU_DEP_2)
	v_cndmask_b32_e32 v26, v9, v8, vcc_lo
                                        ; implicit-def: $vgpr9
.LBB50_557:                             ;   in Loop: Header=BB50_418 Depth=1
	s_and_not1_saveexec_b32 s28, s28
	s_cbranch_execz .LBB50_563
; %bb.558:                              ;   in Loop: Header=BB50_418 Depth=1
	s_mov_b32 s30, exec_lo
                                        ; implicit-def: $vgpr26
                                        ; implicit-def: $sgpr29
	v_cmpx_ngt_f32_e64 |v12|, 1.0
	s_xor_b32 s30, exec_lo, s30
	s_cbranch_execz .LBB50_560
; %bb.559:                              ;   in Loop: Header=BB50_418 Depth=1
	v_sub_f32_e64 v8, 1.0, |v12|
	s_mov_b32 s29, -1
	s_delay_alu instid0(VALU_DEP_1) | instskip(NEXT) | instid1(VALU_DEP_1)
	v_mul_f32_e32 v8, v8, v10
	v_mul_f32_e32 v9, 0x4f800000, v8
	v_cmp_gt_f32_e32 vcc_lo, 0xf800000, v8
	s_delay_alu instid0(VALU_DEP_2) | instskip(NEXT) | instid1(VALU_DEP_1)
	v_cndmask_b32_e32 v8, v8, v9, vcc_lo
	v_sqrt_f32_e32 v9, v8
	s_waitcnt_depctr 0xfff
	v_add_nc_u32_e32 v10, -1, v9
	v_add_nc_u32_e32 v11, 1, v9
	s_delay_alu instid0(VALU_DEP_2) | instskip(NEXT) | instid1(VALU_DEP_2)
	v_fma_f32 v12, -v10, v9, v8
	v_fma_f32 v13, -v11, v9, v8
	s_delay_alu instid0(VALU_DEP_2) | instskip(NEXT) | instid1(VALU_DEP_1)
	v_cmp_ge_f32_e64 s3, 0, v12
	v_cndmask_b32_e64 v9, v9, v10, s3
	s_delay_alu instid0(VALU_DEP_3) | instskip(NEXT) | instid1(VALU_DEP_1)
	v_cmp_lt_f32_e64 s3, 0, v13
	v_cndmask_b32_e64 v9, v9, v11, s3
	s_delay_alu instid0(VALU_DEP_1) | instskip(NEXT) | instid1(VALU_DEP_1)
	v_mul_f32_e32 v10, 0x37800000, v9
	v_cndmask_b32_e32 v9, v9, v10, vcc_lo
	v_cmp_class_f32_e64 vcc_lo, v8, 0x260
                                        ; implicit-def: $vgpr10_vgpr11_vgpr12_vgpr13
                                        ; implicit-def: $vgpr10
	s_delay_alu instid0(VALU_DEP_2)
	v_cndmask_b32_e32 v26, v9, v8, vcc_lo
                                        ; implicit-def: $vgpr9
.LBB50_560:                             ;   in Loop: Header=BB50_418 Depth=1
	s_and_not1_saveexec_b32 s30, s30
	s_cbranch_execz .LBB50_562
; %bb.561:                              ;   in Loop: Header=BB50_418 Depth=1
	v_mul_f32_e32 v8, v10, v9
	v_mul_f32_e64 v25, 0x57800000, |v12|
	s_or_b32 s29, s29, exec_lo
	s_delay_alu instid0(VALU_DEP_2) | instskip(SKIP_1) | instid1(VALU_DEP_2)
	v_mul_f32_e32 v9, 0x4f800000, v8
	v_cmp_gt_f32_e32 vcc_lo, 0xf800000, v8
	v_cndmask_b32_e32 v8, v8, v9, vcc_lo
	s_delay_alu instid0(VALU_DEP_1) | instskip(SKIP_3) | instid1(VALU_DEP_2)
	v_sqrt_f32_e32 v9, v8
	s_waitcnt_depctr 0xfff
	v_add_nc_u32_e32 v10, -1, v9
	v_add_nc_u32_e32 v11, 1, v9
	v_fma_f32 v22, -v10, v9, v8
	s_delay_alu instid0(VALU_DEP_2) | instskip(NEXT) | instid1(VALU_DEP_2)
	v_fma_f32 v23, -v11, v9, v8
	v_cmp_ge_f32_e64 s3, 0, v22
	s_delay_alu instid0(VALU_DEP_1) | instskip(NEXT) | instid1(VALU_DEP_3)
	v_cndmask_b32_e64 v9, v9, v10, s3
	v_cmp_lt_f32_e64 s3, 0, v23
	s_delay_alu instid0(VALU_DEP_1) | instskip(SKIP_1) | instid1(VALU_DEP_2)
	v_cndmask_b32_e64 v9, v9, v11, s3
	v_mul_f32_e64 v11, 0x57800000, |v13|
	v_mul_f32_e32 v10, 0x37800000, v9
	s_delay_alu instid0(VALU_DEP_1) | instskip(SKIP_1) | instid1(VALU_DEP_4)
	v_cndmask_b32_e32 v9, v9, v10, vcc_lo
	v_cmp_class_f32_e64 vcc_lo, v8, 0x260
	v_mul_f32_e64 v10, |v12|, v11
	s_delay_alu instid0(VALU_DEP_3) | instskip(NEXT) | instid1(VALU_DEP_1)
	v_cndmask_b32_e32 v8, v9, v8, vcc_lo
	v_div_scale_f32 v9, null, v8, v8, v10
	v_div_scale_f32 v22, vcc_lo, v10, v8, v10
	s_delay_alu instid0(VALU_DEP_2) | instskip(SKIP_2) | instid1(VALU_DEP_1)
	v_rcp_f32_e32 v11, v9
	s_waitcnt_depctr 0xfff
	v_fma_f32 v13, -v9, v11, 1.0
	v_fmac_f32_e32 v11, v13, v11
	s_delay_alu instid0(VALU_DEP_1) | instskip(NEXT) | instid1(VALU_DEP_1)
	v_mul_f32_e32 v13, v22, v11
	v_fma_f32 v23, -v9, v13, v22
	s_delay_alu instid0(VALU_DEP_1) | instskip(NEXT) | instid1(VALU_DEP_1)
	v_fmac_f32_e32 v13, v23, v11
	v_fma_f32 v9, -v9, v13, v22
	s_delay_alu instid0(VALU_DEP_1) | instskip(NEXT) | instid1(VALU_DEP_1)
	v_div_fmas_f32 v9, v9, v11, v13
	v_div_fixup_f32 v26, v9, v8, v10
.LBB50_562:                             ;   in Loop: Header=BB50_418 Depth=1
	s_or_b32 exec_lo, exec_lo, s30
	s_delay_alu instid0(SALU_CYCLE_1) | instskip(SKIP_1) | instid1(SALU_CYCLE_1)
	s_and_not1_b32 s3, s27, exec_lo
	s_and_b32 s27, s29, exec_lo
	s_or_b32 s27, s3, s27
.LBB50_563:                             ;   in Loop: Header=BB50_418 Depth=1
	s_or_b32 exec_lo, exec_lo, s28
	s_delay_alu instid0(SALU_CYCLE_1)
	s_and_b32 s27, s27, exec_lo
                                        ; implicit-def: $vgpr10_vgpr11_vgpr12_vgpr13
                                        ; implicit-def: $vgpr8
.LBB50_564:                             ;   in Loop: Header=BB50_418 Depth=1
	s_and_not1_saveexec_b32 s28, s4
	s_cbranch_execz .LBB50_566
; %bb.565:                              ;   in Loop: Header=BB50_418 Depth=1
	v_add_f32_e32 v8, 1.0, v8
	v_mul_f32_e64 v9, 0x4f800000, |v13|
	v_cmp_gt_f32_e64 vcc_lo, 0xf800000, |v13|
	s_or_b32 s27, s27, exec_lo
	s_delay_alu instid0(VALU_DEP_3) | instskip(NEXT) | instid1(VALU_DEP_2)
	v_mul_f32_e32 v8, 0.5, v8
	v_cndmask_b32_e64 v9, |v13|, v9, vcc_lo
	s_delay_alu instid0(VALU_DEP_2) | instskip(SKIP_1) | instid1(VALU_DEP_1)
	v_mul_f32_e32 v10, 0x4f800000, v8
	v_cmp_gt_f32_e64 s3, 0xf800000, v8
	v_cndmask_b32_e64 v8, v8, v10, s3
	s_delay_alu instid0(VALU_DEP_4) | instskip(NEXT) | instid1(VALU_DEP_1)
	v_sqrt_f32_e32 v10, v9
	v_sqrt_f32_e32 v11, v8
	s_waitcnt_depctr 0xfff
	v_add_nc_u32_e32 v12, -1, v10
	v_add_nc_u32_e32 v22, 1, v10
	v_add_nc_u32_e32 v13, -1, v11
	s_delay_alu instid0(VALU_DEP_3) | instskip(SKIP_1) | instid1(VALU_DEP_4)
	v_fma_f32 v23, -v12, v10, v9
	v_add_nc_u32_e32 v25, 1, v11
	v_fma_f32 v27, -v22, v10, v9
	s_delay_alu instid0(VALU_DEP_4) | instskip(NEXT) | instid1(VALU_DEP_4)
	v_fma_f32 v26, -v13, v11, v8
	v_cmp_ge_f32_e64 s4, 0, v23
	s_delay_alu instid0(VALU_DEP_1) | instskip(NEXT) | instid1(VALU_DEP_3)
	v_cndmask_b32_e64 v10, v10, v12, s4
	v_cmp_ge_f32_e64 s4, 0, v26
	v_fma_f32 v12, -v25, v11, v8
	s_delay_alu instid0(VALU_DEP_2) | instskip(SKIP_1) | instid1(VALU_DEP_1)
	v_cndmask_b32_e64 v11, v11, v13, s4
	v_cmp_lt_f32_e64 s4, 0, v27
	v_cndmask_b32_e64 v10, v10, v22, s4
	s_delay_alu instid0(VALU_DEP_4) | instskip(NEXT) | instid1(VALU_DEP_2)
	v_cmp_lt_f32_e64 s4, 0, v12
	v_mul_f32_e32 v12, 0x37800000, v10
	s_delay_alu instid0(VALU_DEP_2) | instskip(NEXT) | instid1(VALU_DEP_2)
	v_cndmask_b32_e64 v11, v11, v25, s4
	v_dual_mov_b32 v25, 1.0 :: v_dual_cndmask_b32 v10, v10, v12
	s_delay_alu instid0(VALU_DEP_2) | instskip(SKIP_1) | instid1(VALU_DEP_2)
	v_mul_f32_e32 v13, 0x37800000, v11
	v_cmp_class_f32_e64 vcc_lo, v9, 0x260
	v_cndmask_b32_e64 v11, v11, v13, s3
	s_delay_alu instid0(VALU_DEP_4) | instskip(SKIP_1) | instid1(VALU_DEP_3)
	v_cndmask_b32_e32 v9, v10, v9, vcc_lo
	v_cmp_class_f32_e64 vcc_lo, v8, 0x260
	v_cndmask_b32_e32 v8, v11, v8, vcc_lo
	s_delay_alu instid0(VALU_DEP_1)
	v_mul_f32_e32 v26, v9, v8
.LBB50_566:                             ;   in Loop: Header=BB50_418 Depth=1
	s_or_b32 exec_lo, exec_lo, s28
	s_delay_alu instid0(SALU_CYCLE_1)
	s_and_b32 s3, s27, exec_lo
.LBB50_567:                             ;   in Loop: Header=BB50_418 Depth=1
	s_or_b32 exec_lo, exec_lo, s26
	s_delay_alu instid0(SALU_CYCLE_1)
	s_and_b32 s3, s3, exec_lo
                                        ; implicit-def: $vgpr8
                                        ; implicit-def: $vgpr10_vgpr11_vgpr12_vgpr13
.LBB50_568:                             ;   in Loop: Header=BB50_418 Depth=1
	s_and_not1_saveexec_b32 s4, s25
; %bb.569:                              ;   in Loop: Header=BB50_418 Depth=1
	v_mul_f32_e32 v26, 0x4b800000, v8
	v_mul_f32_e64 v25, 0x4b800000, |v12|
	s_or_b32 s3, s3, exec_lo
                                        ; implicit-def: $vgpr24
; %bb.570:                              ;   in Loop: Header=BB50_418 Depth=1
	s_or_b32 exec_lo, exec_lo, s4
	s_xor_b32 s3, s3, -1
	s_delay_alu instid0(SALU_CYCLE_1) | instskip(NEXT) | instid1(SALU_CYCLE_1)
	s_and_saveexec_b32 s4, s3
	s_xor_b32 s4, exec_lo, s4
	s_cbranch_execz .LBB50_576
; %bb.571:                              ;   in Loop: Header=BB50_418 Depth=1
	s_and_saveexec_b32 s3, s2
	s_delay_alu instid0(SALU_CYCLE_1)
	s_xor_b32 s3, exec_lo, s3
	s_cbranch_execz .LBB50_573
; %bb.572:                              ;   in Loop: Header=BB50_418 Depth=1
	v_fma_f32 v8, |v24|, -0.5, 0.5
	v_mul_f32_e32 v9, v24, v24
	v_cmp_gt_f32_e64 vcc_lo, |v24|, 0.5
	s_delay_alu instid0(VALU_DEP_2) | instskip(NEXT) | instid1(VALU_DEP_1)
	v_cndmask_b32_e32 v8, v9, v8, vcc_lo
	v_fmaak_f32 v9, s19, v8, 0x3c5fc5da
	v_sqrt_f32_e32 v10, v8
	s_delay_alu instid0(VALU_DEP_1) | instskip(NEXT) | instid1(VALU_DEP_1)
	v_fmaak_f32 v9, v8, v9, 0x3d034c3c
	v_fmaak_f32 v9, v8, v9, 0x3d3641b1
	s_delay_alu instid0(VALU_DEP_1) | instskip(NEXT) | instid1(VALU_DEP_1)
	v_fmaak_f32 v9, v8, v9, 0x3d999bc8
	v_fmaak_f32 v9, v8, v9, 0x3e2aaaac
	s_delay_alu instid0(VALU_DEP_1) | instskip(NEXT) | instid1(VALU_DEP_1)
	v_mul_f32_e32 v8, v8, v9
	v_fmac_f32_e32 v24, v24, v8
	s_delay_alu instid0(VALU_DEP_1) | instskip(NEXT) | instid1(TRANS32_DEP_1)
	v_sub_f32_e32 v9, 0x3fc90fdb, v24
	v_fmac_f32_e32 v10, v10, v8
                                        ; implicit-def: $vgpr24
	s_delay_alu instid0(VALU_DEP_1) | instskip(NEXT) | instid1(VALU_DEP_1)
	v_add_f32_e32 v8, v10, v10
	v_cndmask_b32_e32 v8, v9, v8, vcc_lo
.LBB50_573:                             ;   in Loop: Header=BB50_418 Depth=1
	s_and_not1_saveexec_b32 s25, s3
	s_cbranch_execz .LBB50_575
; %bb.574:                              ;   in Loop: Header=BB50_418 Depth=1
	v_fma_f32 v8, |v24|, -0.5, 0.5
	v_mul_f32_e32 v9, v24, v24
	v_cmp_gt_f32_e64 vcc_lo, |v24|, 0.5
	v_cmp_lt_f32_e64 s3, 0, v24
	s_delay_alu instid0(VALU_DEP_3) | instskip(NEXT) | instid1(VALU_DEP_1)
	v_cndmask_b32_e32 v8, v9, v8, vcc_lo
	v_fmaak_f32 v9, s19, v8, 0x3c5fc5da
	v_sqrt_f32_e32 v10, v8
	s_delay_alu instid0(VALU_DEP_1) | instskip(NEXT) | instid1(VALU_DEP_1)
	v_fmaak_f32 v9, v8, v9, 0x3d034c3c
	v_fmaak_f32 v9, v8, v9, 0x3d3641b1
	s_delay_alu instid0(VALU_DEP_1) | instskip(NEXT) | instid1(VALU_DEP_1)
	v_fmaak_f32 v9, v8, v9, 0x3d999bc8
	v_fmaak_f32 v9, v8, v9, 0x3e2aaaac
	s_delay_alu instid0(VALU_DEP_1) | instskip(SKIP_3) | instid1(VALU_DEP_1)
	v_mul_f32_e32 v8, v8, v9
	s_waitcnt_depctr 0xfff
	v_fmac_f32_e32 v10, v10, v8
	v_fma_f32 v8, -v24, v8, -v24
	v_dual_add_f32 v9, v10, v10 :: v_dual_sub_f32 v8, 0x3fc90fdb, v8
	s_delay_alu instid0(VALU_DEP_1) | instskip(NEXT) | instid1(VALU_DEP_1)
	v_sub_f32_e32 v10, 0x40490fdb, v9
	v_cndmask_b32_e64 v9, v9, v10, s3
	s_delay_alu instid0(VALU_DEP_1)
	v_cndmask_b32_e32 v8, v8, v9, vcc_lo
.LBB50_575:                             ;   in Loop: Header=BB50_418 Depth=1
	s_or_b32 exec_lo, exec_lo, s25
                                        ; implicit-def: $vgpr26
                                        ; implicit-def: $vgpr25
.LBB50_576:                             ;   in Loop: Header=BB50_418 Depth=1
	s_and_not1_saveexec_b32 s4, s4
	s_cbranch_execz .LBB50_582
; %bb.577:                              ;   in Loop: Header=BB50_418 Depth=1
	s_and_saveexec_b32 s3, s2
	s_delay_alu instid0(SALU_CYCLE_1)
	s_xor_b32 s3, exec_lo, s3
	s_cbranch_execz .LBB50_579
; %bb.578:                              ;   in Loop: Header=BB50_418 Depth=1
	v_max_f32_e64 v8, |v26|, |v26|
	v_max_f32_e32 v9, v25, v25
	v_cmp_gt_f32_e64 vcc_lo, |v26|, v25
	v_cmp_neq_f32_e64 s2, 0, v26
	v_cmp_class_f32_e64 s25, v26, 0x204
	s_delay_alu instid0(VALU_DEP_4) | instskip(SKIP_1) | instid1(VALU_DEP_2)
	v_max_f32_e32 v10, v9, v8
	v_min_f32_e32 v8, v9, v8
	v_frexp_mant_f32_e32 v11, v10
	s_delay_alu instid0(VALU_DEP_1) | instskip(NEXT) | instid1(VALU_DEP_2)
	v_rcp_f32_e32 v9, v11
	v_frexp_mant_f32_e32 v11, v8
	v_frexp_exp_i32_f32_e32 v8, v8
	s_waitcnt_depctr 0xfff
	v_mul_f32_e32 v9, v11, v9
	v_frexp_exp_i32_f32_e32 v10, v10
	s_delay_alu instid0(VALU_DEP_1) | instskip(NEXT) | instid1(VALU_DEP_1)
	v_sub_nc_u32_e32 v8, v8, v10
	v_ldexp_f32 v8, v9, v8
	s_delay_alu instid0(VALU_DEP_1) | instskip(NEXT) | instid1(VALU_DEP_1)
	v_mul_f32_e32 v9, v8, v8
	v_fmaak_f32 v10, s20, v9, 0xbc7a590c
	s_delay_alu instid0(VALU_DEP_1) | instskip(NEXT) | instid1(VALU_DEP_1)
	v_fmaak_f32 v10, v9, v10, 0x3d29fb3f
	v_fmaak_f32 v10, v9, v10, 0xbd97d4d7
	s_delay_alu instid0(VALU_DEP_1) | instskip(NEXT) | instid1(VALU_DEP_1)
	v_fmaak_f32 v10, v9, v10, 0x3dd931b2
	;; [unrolled: 3-line block ×3, first 2 shown]
	v_fmaak_f32 v10, v9, v10, 0xbeaaaa62
	s_delay_alu instid0(VALU_DEP_1) | instskip(NEXT) | instid1(VALU_DEP_1)
	v_mul_f32_e32 v9, v9, v10
	v_fmac_f32_e32 v8, v8, v9
	s_delay_alu instid0(VALU_DEP_1) | instskip(NEXT) | instid1(VALU_DEP_1)
	v_sub_f32_e32 v9, 0x3fc90fdb, v8
	v_cndmask_b32_e32 v8, v8, v9, vcc_lo
	v_cmp_eq_f32_e32 vcc_lo, 0x7f800000, v25
	s_delay_alu instid0(VALU_DEP_2) | instskip(SKIP_2) | instid1(VALU_DEP_2)
	v_cndmask_b32_e64 v8, 0, v8, s2
	s_and_b32 s2, vcc_lo, s25
	v_cmp_o_f32_e32 vcc_lo, v25, v26
                                        ; implicit-def: $vgpr25
	v_cndmask_b32_e64 v8, v8, 0x3f490fdb, s2
	s_delay_alu instid0(VALU_DEP_1) | instskip(NEXT) | instid1(VALU_DEP_1)
	v_cndmask_b32_e32 v8, 0x7fc00000, v8, vcc_lo
	v_bfi_b32 v8, 0x7fffffff, v8, v26
                                        ; implicit-def: $vgpr26
.LBB50_579:                             ;   in Loop: Header=BB50_418 Depth=1
	s_and_not1_saveexec_b32 s25, s3
	s_cbranch_execz .LBB50_581
; %bb.580:                              ;   in Loop: Header=BB50_418 Depth=1
	v_max_f32_e64 v8, |v26|, |v26|
	v_max_f32_e32 v9, v25, v25
	v_cmp_gt_f32_e64 vcc_lo, |v26|, v25
	v_cmp_neq_f32_e64 s3, 0, v26
	v_cmp_eq_f32_e64 s2, 0x7f800000, v25
	v_cmp_class_f32_e64 s26, v26, 0x204
	v_max_f32_e32 v10, v9, v8
	v_min_f32_e32 v8, v9, v8
	s_delay_alu instid0(VALU_DEP_2) | instskip(SKIP_1) | instid1(VALU_DEP_2)
	v_frexp_mant_f32_e32 v11, v10
	v_frexp_exp_i32_f32_e32 v10, v10
	v_rcp_f32_e32 v9, v11
	s_delay_alu instid0(VALU_DEP_3) | instskip(SKIP_1) | instid1(VALU_DEP_2)
	v_frexp_exp_i32_f32_e32 v11, v8
	v_frexp_mant_f32_e32 v8, v8
	v_sub_nc_u32_e32 v10, v11, v10
	s_waitcnt_depctr 0xfff
	v_mul_f32_e32 v8, v8, v9
	s_delay_alu instid0(VALU_DEP_1) | instskip(NEXT) | instid1(VALU_DEP_1)
	v_ldexp_f32 v8, v8, v10
	v_mul_f32_e32 v9, v8, v8
	s_delay_alu instid0(VALU_DEP_1) | instskip(NEXT) | instid1(VALU_DEP_1)
	v_fmaak_f32 v10, s20, v9, 0xbc7a590c
	v_fmaak_f32 v10, v9, v10, 0x3d29fb3f
	s_delay_alu instid0(VALU_DEP_1) | instskip(NEXT) | instid1(VALU_DEP_1)
	v_fmaak_f32 v10, v9, v10, 0xbd97d4d7
	v_fmaak_f32 v10, v9, v10, 0x3dd931b2
	;; [unrolled: 3-line block ×3, first 2 shown]
	s_delay_alu instid0(VALU_DEP_1) | instskip(NEXT) | instid1(VALU_DEP_1)
	v_fmaak_f32 v10, v9, v10, 0xbeaaaa62
	v_mul_f32_e32 v9, v9, v10
	s_delay_alu instid0(VALU_DEP_1) | instskip(NEXT) | instid1(VALU_DEP_1)
	v_fmac_f32_e32 v8, v8, v9
	v_sub_f32_e32 v9, 0x3fc90fdb, v8
	s_delay_alu instid0(VALU_DEP_1) | instskip(SKIP_1) | instid1(VALU_DEP_2)
	v_cndmask_b32_e32 v8, v8, v9, vcc_lo
	v_cmp_lt_f32_e32 vcc_lo, 0, v25
	v_sub_f32_e32 v9, 0x40490fdb, v8
	s_delay_alu instid0(VALU_DEP_1) | instskip(SKIP_2) | instid1(VALU_DEP_2)
	v_cndmask_b32_e32 v8, v8, v9, vcc_lo
	v_cndmask_b32_e32 v9, 0x3f490fdb, v20, vcc_lo
	s_and_b32 vcc_lo, s2, s26
	v_cndmask_b32_e64 v8, 0x40490fdb, v8, s3
	s_delay_alu instid0(VALU_DEP_1) | instskip(SKIP_1) | instid1(VALU_DEP_2)
	v_cndmask_b32_e32 v8, v8, v9, vcc_lo
	v_cmp_o_f32_e64 vcc_lo, v26, -v25
	v_cndmask_b32_e32 v8, 0x7fc00000, v8, vcc_lo
	s_delay_alu instid0(VALU_DEP_1)
	v_bfi_b32 v8, 0x7fffffff, v8, v26
.LBB50_581:                             ;   in Loop: Header=BB50_418 Depth=1
	s_or_b32 exec_lo, exec_lo, s25
.LBB50_582:                             ;   in Loop: Header=BB50_418 Depth=1
	s_delay_alu instid0(SALU_CYCLE_1)
	s_or_b32 exec_lo, exec_lo, s4
	v_cndmask_b32_e64 v9, -v21, v21, s0
                                        ; implicit-def: $vgpr10_vgpr11_vgpr12_vgpr13
.LBB50_583:                             ;   in Loop: Header=BB50_418 Depth=1
	s_and_not1_saveexec_b32 s2, s24
	s_cbranch_execz .LBB50_585
; %bb.584:                              ;   in Loop: Header=BB50_418 Depth=1
	s_waitcnt lgkmcnt(0)
	v_dual_mov_b32 v8, s8 :: v_dual_mov_b32 v9, s9
	flat_load_b32 v8, v[8:9] glc dlc
	s_waitcnt vmcnt(0)
	v_xor_b32_e32 v9, 0x80000000, v13
	s_waitcnt lgkmcnt(0)
	v_sub_f32_e32 v8, v8, v12
	s_delay_alu instid0(VALU_DEP_1)
	v_add_f32_e32 v8, 0x3fc90fdb, v8
.LBB50_585:                             ;   in Loop: Header=BB50_418 Depth=1
	s_or_b32 exec_lo, exec_lo, s2
                                        ; implicit-def: $vgpr10_vgpr11_vgpr12_vgpr13
.LBB50_586:                             ;   in Loop: Header=BB50_418 Depth=1
	s_and_not1_saveexec_b32 s2, s23
	s_cbranch_execz .LBB50_588
; %bb.587:                              ;   in Loop: Header=BB50_418 Depth=1
	v_xor_b32_e32 v9, 0x80000000, v13
	s_waitcnt lgkmcnt(0)
	v_mov_b32_e32 v8, 0
.LBB50_588:                             ;   in Loop: Header=BB50_418 Depth=1
	s_or_b32 exec_lo, exec_lo, s2
                                        ; implicit-def: $vgpr10_vgpr11_vgpr12_vgpr13
                                        ; implicit-def: $vgpr21
                                        ; implicit-def: $vgpr11
                                        ; implicit-def: $vgpr10
.LBB50_589:                             ;   in Loop: Header=BB50_418 Depth=1
	s_and_not1_saveexec_b32 s4, s22
	s_cbranch_execz .LBB50_599
; %bb.590:                              ;   in Loop: Header=BB50_418 Depth=1
	v_cmp_lt_f32_e64 s2, |v12|, |v13|
                                        ; implicit-def: $vgpr9
                                        ; implicit-def: $vgpr8
	s_mov_b32 s3, exec_lo
	s_delay_alu instid0(VALU_DEP_1) | instskip(NEXT) | instid1(VALU_DEP_1)
	v_cndmask_b32_e64 v22, |v12|, |v13|, s2
	v_cmpx_nlt_f32_e32 0x7effffff, v22
	s_xor_b32 s22, exec_lo, s3
	s_cbranch_execz .LBB50_596
; %bb.591:                              ;   in Loop: Header=BB50_418 Depth=1
	v_cndmask_b32_e64 v23, |v13|, |v12|, s2
	v_cmp_nlt_f32_e32 vcc_lo, 0x5e000000, v22
                                        ; implicit-def: $vgpr9
                                        ; implicit-def: $vgpr8
	s_delay_alu instid0(VALU_DEP_2) | instskip(NEXT) | instid1(VALU_DEP_1)
	v_cmp_ngt_f32_e64 s3, 0x20000000, v23
	s_and_b32 s3, vcc_lo, s3
	s_delay_alu instid0(SALU_CYCLE_1) | instskip(NEXT) | instid1(SALU_CYCLE_1)
	s_and_saveexec_b32 s23, s3
	s_xor_b32 s23, exec_lo, s23
	s_cbranch_execz .LBB50_593
; %bb.592:                              ;   in Loop: Header=BB50_418 Depth=1
	s_waitcnt lgkmcnt(0)
	v_frexp_mant_f32_e32 v8, v10
	v_min_f32_e32 v9, v21, v11
	v_frexp_exp_i32_f32_e32 v10, v10
	s_delay_alu instid0(VALU_DEP_3) | instskip(NEXT) | instid1(VALU_DEP_2)
	v_rcp_f32_e32 v8, v8
	v_frexp_mant_f32_e32 v21, v9
	v_mul_f32_e32 v11, v23, v23
	v_frexp_exp_i32_f32_e32 v9, v9
	s_delay_alu instid0(VALU_DEP_1) | instskip(SKIP_2) | instid1(VALU_DEP_1)
	v_sub_nc_u32_e32 v9, v9, v10
	s_waitcnt_depctr 0xfff
	v_dual_mul_f32 v8, v21, v8 :: v_dual_fmac_f32 v11, v22, v22
	v_ldexp_f32 v8, v8, v9
	s_delay_alu instid0(VALU_DEP_2) | instskip(SKIP_1) | instid1(VALU_DEP_1)
	v_cmp_gt_f32_e32 vcc_lo, 0x800000, v11
	v_cndmask_b32_e64 v10, 1.0, 0x4f800000, vcc_lo
	v_dual_mul_f32 v9, v11, v10 :: v_dual_mul_f32 v10, v8, v8
	s_delay_alu instid0(VALU_DEP_1) | instskip(NEXT) | instid1(VALU_DEP_1)
	v_fmaak_f32 v11, s20, v10, 0xbc7a590c
	v_fmaak_f32 v11, v10, v11, 0x3d29fb3f
	s_delay_alu instid0(VALU_DEP_1) | instskip(NEXT) | instid1(VALU_DEP_1)
	v_fmaak_f32 v11, v10, v11, 0xbd97d4d7
	v_fmaak_f32 v11, v10, v11, 0x3dd931b2
	;; [unrolled: 3-line block ×3, first 2 shown]
	s_delay_alu instid0(VALU_DEP_1) | instskip(NEXT) | instid1(VALU_DEP_1)
	v_fmaak_f32 v11, v10, v11, 0xbeaaaa62
	v_mul_f32_e32 v10, v10, v11
	v_log_f32_e32 v9, v9
                                        ; implicit-def: $vgpr11
	s_delay_alu instid0(VALU_DEP_1) | instskip(SKIP_3) | instid1(VALU_DEP_2)
	v_fmac_f32_e32 v8, v8, v10
                                        ; implicit-def: $vgpr10
	s_waitcnt_depctr 0xfff
	v_mul_f32_e32 v21, 0x3f317217, v9
	v_cmp_gt_f32_e64 s3, 0x7f800000, |v9|
	v_fma_f32 v22, 0x3f317217, v9, -v21
	s_delay_alu instid0(VALU_DEP_1) | instskip(NEXT) | instid1(VALU_DEP_1)
	v_fmac_f32_e32 v22, 0x3377d1cf, v9
	v_add_f32_e32 v21, v21, v22
	s_delay_alu instid0(VALU_DEP_1) | instskip(SKIP_1) | instid1(VALU_DEP_1)
	v_cndmask_b32_e64 v9, v9, v21, s3
	v_cndmask_b32_e64 v21, 0, 0x41b17218, vcc_lo
	v_sub_f32_e32 v9, v9, v21
                                        ; implicit-def: $vgpr21
	s_delay_alu instid0(VALU_DEP_1)
	v_mul_f32_e32 v9, 0.5, v9
.LBB50_593:                             ;   in Loop: Header=BB50_418 Depth=1
	s_and_not1_saveexec_b32 s3, s23
	s_cbranch_execz .LBB50_595
; %bb.594:                              ;   in Loop: Header=BB50_418 Depth=1
	s_waitcnt lgkmcnt(0)
	v_cvt_f64_f32_e32 v[8:9], v10
	v_cmp_neq_f32_e32 vcc_lo, 0x7f800000, v10
	v_min_f32_e32 v11, v21, v11
	v_frexp_exp_i32_f32_e32 v21, v10
	s_delay_alu instid0(VALU_DEP_2) | instskip(SKIP_1) | instid1(VALU_DEP_2)
	v_frexp_exp_i32_f32_e32 v23, v11
	v_frexp_mant_f32_e32 v11, v11
	v_sub_nc_u32_e32 v21, v23, v21
	v_frexp_exp_i32_f64_e32 v8, v[8:9]
	s_delay_alu instid0(VALU_DEP_1) | instskip(NEXT) | instid1(VALU_DEP_1)
	v_sub_nc_u32_e32 v9, 0, v8
	v_ldexp_f32 v22, |v13|, v9
	v_ldexp_f32 v9, |v12|, v9
	s_delay_alu instid0(VALU_DEP_2) | instskip(NEXT) | instid1(VALU_DEP_1)
	v_mul_f32_e32 v22, v22, v22
	v_fmac_f32_e32 v22, v9, v9
	v_frexp_mant_f32_e32 v9, v10
	s_delay_alu instid0(VALU_DEP_2) | instskip(NEXT) | instid1(VALU_DEP_1)
	v_sqrt_f32_e32 v22, v22
	v_rcp_f32_e32 v9, v9
	s_waitcnt_depctr 0xfff
	v_ldexp_f32 v8, v22, v8
	s_delay_alu instid0(VALU_DEP_1) | instskip(NEXT) | instid1(VALU_DEP_1)
	v_dual_mul_f32 v9, v11, v9 :: v_dual_cndmask_b32 v10, 0x7f800000, v8
	v_ldexp_f32 v8, v9, v21
	s_delay_alu instid0(VALU_DEP_2) | instskip(NEXT) | instid1(VALU_DEP_2)
	v_cmp_gt_f32_e32 vcc_lo, 0x800000, v10
	v_mul_f32_e32 v11, v8, v8
	v_cndmask_b32_e64 v9, 1.0, 0x4f800000, vcc_lo
	s_delay_alu instid0(VALU_DEP_1) | instskip(NEXT) | instid1(VALU_DEP_1)
	v_dual_mul_f32 v9, v10, v9 :: v_dual_fmaak_f32 v10, s20, v11, 0xbc7a590c
	v_log_f32_e32 v9, v9
	s_waitcnt_depctr 0xfff
	v_mul_f32_e32 v21, 0x3f317217, v9
	s_delay_alu instid0(VALU_DEP_1) | instskip(NEXT) | instid1(VALU_DEP_1)
	v_fma_f32 v22, 0x3f317217, v9, -v21
	v_fmac_f32_e32 v22, 0x3377d1cf, v9
	s_delay_alu instid0(VALU_DEP_1) | instskip(SKIP_2) | instid1(VALU_DEP_3)
	v_add_f32_e32 v21, v21, v22
	v_cndmask_b32_e64 v22, 0, 0x41b17218, vcc_lo
	v_cmp_gt_f32_e64 vcc_lo, 0x7f800000, |v9|
	v_dual_fmaak_f32 v10, v11, v10, 0x3d29fb3f :: v_dual_cndmask_b32 v9, v9, v21
	s_delay_alu instid0(VALU_DEP_1) | instskip(NEXT) | instid1(VALU_DEP_2)
	v_fmaak_f32 v10, v11, v10, 0xbd97d4d7
	v_sub_f32_e32 v9, v9, v22
	s_delay_alu instid0(VALU_DEP_2) | instskip(NEXT) | instid1(VALU_DEP_1)
	v_fmaak_f32 v10, v11, v10, 0x3dd931b2
	v_fmaak_f32 v10, v11, v10, 0xbe1160e6
	s_delay_alu instid0(VALU_DEP_1) | instskip(NEXT) | instid1(VALU_DEP_1)
	v_fmaak_f32 v10, v11, v10, 0x3e4cb8bf
	v_fmaak_f32 v10, v11, v10, 0xbeaaaa62
	s_delay_alu instid0(VALU_DEP_1) | instskip(NEXT) | instid1(VALU_DEP_1)
	v_mul_f32_e32 v10, v11, v10
	v_fmac_f32_e32 v8, v8, v10
.LBB50_595:                             ;   in Loop: Header=BB50_418 Depth=1
	s_or_b32 exec_lo, exec_lo, s3
                                        ; implicit-def: $vgpr21
                                        ; implicit-def: $vgpr11
                                        ; implicit-def: $vgpr10
.LBB50_596:                             ;   in Loop: Header=BB50_418 Depth=1
	s_and_not1_saveexec_b32 s22, s22
	s_cbranch_execz .LBB50_598
; %bb.597:                              ;   in Loop: Header=BB50_418 Depth=1
	s_waitcnt lgkmcnt(0)
	v_div_scale_f32 v8, null, 0x402df854, 0x402df854, v12
	v_div_scale_f32 v9, null, 0x402df854, 0x402df854, v13
	v_div_scale_f32 v26, vcc_lo, v12, 0x402df854, v12
	s_delay_alu instid0(VALU_DEP_3) | instskip(NEXT) | instid1(VALU_DEP_2)
	v_rcp_f32_e32 v22, v8
	v_rcp_f32_e32 v23, v9
	v_min_f32_e32 v11, v21, v11
	s_waitcnt_depctr 0xfff
	v_fma_f32 v24, -v8, v22, 1.0
	v_fma_f32 v25, -v9, v23, 1.0
	s_delay_alu instid0(VALU_DEP_1) | instskip(SKIP_1) | instid1(VALU_DEP_2)
	v_dual_fmac_f32 v22, v24, v22 :: v_dual_fmac_f32 v23, v25, v23
	v_div_scale_f32 v24, s3, v13, 0x402df854, v13
	v_mul_f32_e32 v25, v26, v22
	s_delay_alu instid0(VALU_DEP_2) | instskip(NEXT) | instid1(VALU_DEP_2)
	v_mul_f32_e32 v27, v24, v23
	v_fma_f32 v28, -v8, v25, v26
	s_delay_alu instid0(VALU_DEP_2) | instskip(NEXT) | instid1(VALU_DEP_2)
	v_fma_f32 v29, -v9, v27, v24
	v_fmac_f32_e32 v25, v28, v22
	s_delay_alu instid0(VALU_DEP_2) | instskip(NEXT) | instid1(VALU_DEP_2)
	v_fmac_f32_e32 v27, v29, v23
	v_fma_f32 v8, -v8, v25, v26
	s_delay_alu instid0(VALU_DEP_2) | instskip(NEXT) | instid1(VALU_DEP_2)
	v_fma_f32 v9, -v9, v27, v24
	v_div_fmas_f32 v8, v8, v22, v25
	s_mov_b32 vcc_lo, s3
	s_delay_alu instid0(VALU_DEP_2) | instskip(NEXT) | instid1(VALU_DEP_2)
	v_div_fmas_f32 v9, v9, v23, v27
	v_div_fixup_f32 v22, v8, 0x402df854, v12
	s_delay_alu instid0(VALU_DEP_2) | instskip(NEXT) | instid1(VALU_DEP_1)
	v_div_fixup_f32 v23, v9, 0x402df854, v13
	v_max_f32_e64 v24, |v22|, |v23|
	s_delay_alu instid0(VALU_DEP_1) | instskip(SKIP_1) | instid1(VALU_DEP_2)
	v_cvt_f64_f32_e32 v[8:9], v24
	v_cmp_neq_f32_e32 vcc_lo, 0x7f800000, v24
	v_frexp_exp_i32_f64_e32 v8, v[8:9]
	s_delay_alu instid0(VALU_DEP_1) | instskip(NEXT) | instid1(VALU_DEP_1)
	v_sub_nc_u32_e32 v9, 0, v8
	v_ldexp_f32 v23, |v23|, v9
	v_ldexp_f32 v9, |v22|, v9
	s_delay_alu instid0(VALU_DEP_2) | instskip(NEXT) | instid1(VALU_DEP_1)
	v_mul_f32_e32 v22, v23, v23
	v_fmac_f32_e32 v22, v9, v9
	s_delay_alu instid0(VALU_DEP_1) | instskip(SKIP_2) | instid1(VALU_DEP_2)
	v_sqrt_f32_e32 v9, v22
	v_frexp_mant_f32_e32 v22, v10
	v_frexp_exp_i32_f32_e32 v10, v10
	v_rcp_f32_e32 v21, v22
	s_waitcnt_depctr 0xfff
	v_ldexp_f32 v8, v9, v8
	v_frexp_exp_i32_f32_e32 v9, v11
	v_frexp_mant_f32_e32 v11, v11
	s_delay_alu instid0(VALU_DEP_3) | instskip(NEXT) | instid1(VALU_DEP_3)
	v_cndmask_b32_e32 v22, 0x7f800000, v8, vcc_lo
	v_sub_nc_u32_e32 v8, v9, v10
	s_delay_alu instid0(VALU_DEP_3) | instskip(NEXT) | instid1(VALU_DEP_3)
	v_mul_f32_e32 v9, v11, v21
	v_cmp_gt_f32_e32 vcc_lo, 0x800000, v22
	s_delay_alu instid0(VALU_DEP_2) | instskip(SKIP_1) | instid1(VALU_DEP_1)
	v_ldexp_f32 v8, v9, v8
	v_cndmask_b32_e64 v10, 1.0, 0x4f800000, vcc_lo
	v_dual_mul_f32 v9, v22, v10 :: v_dual_mul_f32 v10, v8, v8
	s_delay_alu instid0(VALU_DEP_1) | instskip(NEXT) | instid1(VALU_DEP_1)
	v_log_f32_e32 v9, v9
	v_fmaak_f32 v11, s20, v10, 0xbc7a590c
	s_delay_alu instid0(VALU_DEP_1) | instskip(SKIP_3) | instid1(VALU_DEP_2)
	v_fmaak_f32 v11, v10, v11, 0x3d29fb3f
	s_waitcnt_depctr 0xfff
	v_mul_f32_e32 v21, 0x3f317217, v9
	v_fmaak_f32 v11, v10, v11, 0xbd97d4d7
	v_fma_f32 v22, 0x3f317217, v9, -v21
	s_delay_alu instid0(VALU_DEP_2) | instskip(NEXT) | instid1(VALU_DEP_2)
	v_fmaak_f32 v11, v10, v11, 0x3dd931b2
	v_fmac_f32_e32 v22, 0x3377d1cf, v9
	s_delay_alu instid0(VALU_DEP_2) | instskip(NEXT) | instid1(VALU_DEP_2)
	v_fmaak_f32 v11, v10, v11, 0xbe1160e6
	v_add_f32_e32 v21, v21, v22
	s_delay_alu instid0(VALU_DEP_2) | instskip(SKIP_2) | instid1(VALU_DEP_3)
	v_fmaak_f32 v11, v10, v11, 0x3e4cb8bf
	v_cndmask_b32_e64 v22, 0, 0x41b17218, vcc_lo
	v_cmp_gt_f32_e64 vcc_lo, 0x7f800000, |v9|
	v_fmaak_f32 v11, v10, v11, 0xbeaaaa62
	s_delay_alu instid0(VALU_DEP_1) | instskip(NEXT) | instid1(VALU_DEP_1)
	v_dual_cndmask_b32 v9, v9, v21 :: v_dual_mul_f32 v10, v10, v11
	v_sub_f32_e32 v9, v9, v22
	s_delay_alu instid0(VALU_DEP_1)
	v_dual_fmac_f32 v8, v8, v10 :: v_dual_add_f32 v9, 1.0, v9
.LBB50_598:                             ;   in Loop: Header=BB50_418 Depth=1
	s_or_b32 exec_lo, exec_lo, s22
	s_waitcnt lgkmcnt(0)
	s_delay_alu instid0(VALU_DEP_1)
	v_sub_f32_e32 v10, 0x3fc90fdb, v8
	v_cmp_gt_f32_e32 vcc_lo, 0, v12
	v_cndmask_b32_e64 v11, 0, 0x40490fdb, s1
	v_cmp_class_f32_e64 s1, v12, 0x204
	v_add_f32_e32 v9, 0x3f317218, v9
	v_cndmask_b32_e64 v8, v8, v10, s2
	v_cmp_class_f32_e64 s2, v13, 0x204
	s_delay_alu instid0(VALU_DEP_3) | instskip(NEXT) | instid1(VALU_DEP_3)
	v_cndmask_b32_e64 v9, -v9, v9, s0
	v_sub_f32_e32 v10, 0x40490fdb, v8
	s_delay_alu instid0(VALU_DEP_1) | instskip(SKIP_2) | instid1(VALU_DEP_3)
	v_cndmask_b32_e32 v8, v8, v10, vcc_lo
	v_cndmask_b32_e32 v10, 0x3f490fdb, v20, vcc_lo
	v_cmp_eq_f32_e32 vcc_lo, 0, v13
	v_cndmask_b32_e32 v8, v8, v11, vcc_lo
	s_and_b32 vcc_lo, s1, s2
	s_delay_alu instid0(VALU_DEP_1) | instskip(SKIP_1) | instid1(VALU_DEP_2)
	v_cndmask_b32_e32 v8, v8, v10, vcc_lo
	v_cmp_o_f32_e32 vcc_lo, v12, v13
	v_cndmask_b32_e64 v8, 0x7fc00000, |v8|, vcc_lo
.LBB50_599:                             ;   in Loop: Header=BB50_418 Depth=1
	s_or_b32 exec_lo, exec_lo, s4
                                        ; implicit-def: $vgpr10_vgpr11_vgpr12_vgpr13
.LBB50_600:                             ;   in Loop: Header=BB50_418 Depth=1
	s_and_not1_saveexec_b32 s0, s21
	s_cbranch_execz .LBB50_614
; %bb.601:                              ;   in Loop: Header=BB50_418 Depth=1
	v_cmp_neq_f32_e64 s1, 0x7f800000, |v12|
	s_delay_alu instid0(VALU_DEP_1) | instskip(NEXT) | instid1(SALU_CYCLE_1)
	s_and_saveexec_b32 s2, s1
	s_xor_b32 s1, exec_lo, s2
	s_cbranch_execz .LBB50_611
; %bb.602:                              ;   in Loop: Header=BB50_418 Depth=1
	v_cmp_neq_f32_e64 s2, 0x7f800000, |v13|
	s_delay_alu instid0(VALU_DEP_1) | instskip(NEXT) | instid1(SALU_CYCLE_1)
	s_and_saveexec_b32 s3, s2
	s_xor_b32 s2, exec_lo, s3
	s_cbranch_execz .LBB50_608
; %bb.603:                              ;   in Loop: Header=BB50_418 Depth=1
	s_mov_b32 s3, exec_lo
	v_cmpx_neq_f32_e32 0, v12
	s_xor_b32 s3, exec_lo, s3
	s_cbranch_execz .LBB50_605
; %bb.604:                              ;   in Loop: Header=BB50_418 Depth=1
	s_waitcnt lgkmcnt(0)
	v_add_f32_e32 v8, 0, v13
	s_delay_alu instid0(VALU_DEP_1)
	v_add_f32_e32 v9, v12, v8
                                        ; implicit-def: $vgpr10_vgpr11_vgpr12_vgpr13
.LBB50_605:                             ;   in Loop: Header=BB50_418 Depth=1
	s_or_saveexec_b32 s3, s3
	s_waitcnt lgkmcnt(0)
	s_delay_alu instid0(VALU_DEP_1)
	v_mov_b32_e32 v8, v9
	s_xor_b32 exec_lo, exec_lo, s3
	s_cbranch_execz .LBB50_607
; %bb.606:                              ;   in Loop: Header=BB50_418 Depth=1
	v_dual_mov_b32 v8, s8 :: v_dual_mov_b32 v9, s9
	flat_load_b32 v8, v[8:9] glc dlc
	s_waitcnt vmcnt(0) lgkmcnt(0)
	v_dual_add_f32 v9, v13, v13 :: v_dual_add_f32 v8, 0x3fc90fdb, v8
.LBB50_607:                             ;   in Loop: Header=BB50_418 Depth=1
	s_or_b32 exec_lo, exec_lo, s3
                                        ; implicit-def: $vgpr10_vgpr11_vgpr12_vgpr13
.LBB50_608:                             ;   in Loop: Header=BB50_418 Depth=1
	s_and_not1_saveexec_b32 s2, s2
	s_cbranch_execz .LBB50_610
; %bb.609:                              ;   in Loop: Header=BB50_418 Depth=1
	s_waitcnt lgkmcnt(0)
	v_add_f32_e32 v8, v12, v12
	v_xor_b32_e32 v9, 0x80000000, v13
.LBB50_610:                             ;   in Loop: Header=BB50_418 Depth=1
	s_or_b32 exec_lo, exec_lo, s2
                                        ; implicit-def: $vgpr10_vgpr11_vgpr12_vgpr13
.LBB50_611:                             ;   in Loop: Header=BB50_418 Depth=1
	s_and_not1_saveexec_b32 s1, s1
	s_cbranch_execz .LBB50_613
; %bb.612:                              ;   in Loop: Header=BB50_418 Depth=1
	s_waitcnt lgkmcnt(0)
	v_dual_add_f32 v8, v13, v13 :: v_dual_mov_b32 v9, 0xff800000
.LBB50_613:                             ;   in Loop: Header=BB50_418 Depth=1
	s_or_b32 exec_lo, exec_lo, s1
.LBB50_614:                             ;   in Loop: Header=BB50_418 Depth=1
	s_delay_alu instid0(SALU_CYCLE_1) | instskip(SKIP_4) | instid1(VALU_DEP_2)
	s_or_b32 exec_lo, exec_lo, s0
	s_waitcnt vmcnt(0)
	v_cmp_o_f32_e32 vcc_lo, v2, v2
	v_cmp_o_f32_e64 s0, v3, v3
	v_dual_mov_b32 v11, s9 :: v_dual_mov_b32 v10, s8
	s_and_b32 s0, vcc_lo, s0
	flat_store_b32 v[10:11], v18 dlc
	s_waitcnt_vscnt null, 0x0
                                        ; implicit-def: $vgpr11
	s_and_saveexec_b32 s1, s0
	s_delay_alu instid0(SALU_CYCLE_1)
	s_xor_b32 s21, exec_lo, s1
	s_cbranch_execz .LBB50_698
; %bb.615:                              ;   in Loop: Header=BB50_418 Depth=1
	v_max_f32_e64 v13, |v3|, |v3|
	v_max_f32_e64 v21, |v2|, |v2|
	v_cmp_gt_i32_e64 s1, 0, v2
	v_cmp_lt_i32_e64 s2, -1, v2
	v_cmp_gt_i32_e64 s0, 0, v3
                                        ; implicit-def: $vgpr11
	s_mov_b32 s3, exec_lo
	v_max_f32_e32 v12, v21, v13
	s_delay_alu instid0(VALU_DEP_1)
	v_cmpx_nlt_f32_e32 0x4b000000, v12
	s_xor_b32 s22, exec_lo, s3
	s_cbranch_execz .LBB50_687
; %bb.616:                              ;   in Loop: Header=BB50_418 Depth=1
	v_cmp_neq_f32_e32 vcc_lo, 1.0, v2
	v_cmp_neq_f32_e64 s3, 0, v3
                                        ; implicit-def: $vgpr11
	s_delay_alu instid0(VALU_DEP_1) | instskip(NEXT) | instid1(SALU_CYCLE_1)
	s_or_b32 s3, vcc_lo, s3
	s_and_saveexec_b32 s4, s3
	s_delay_alu instid0(SALU_CYCLE_1)
	s_xor_b32 s23, exec_lo, s4
	s_cbranch_execz .LBB50_684
; %bb.617:                              ;   in Loop: Header=BB50_418 Depth=1
	v_dual_mov_b32 v10, s10 :: v_dual_mov_b32 v11, s11
	v_cmp_ngt_f32_e64 s3, 0x395db3d7, |v2|
	v_cmp_ngt_f32_e64 s4, 0x395db3d7, |v3|
	flat_store_b32 v[10:11], v19 dlc
	s_waitcnt_vscnt null, 0x0
	flat_load_b32 v10, v[10:11] glc dlc
	s_waitcnt vmcnt(0)
	s_or_b32 s3, s3, s4
	s_waitcnt lgkmcnt(0)
	v_add_f32_e32 v12, 1.0, v10
	v_dual_mov_b32 v10, s16 :: v_dual_mov_b32 v11, s17
	flat_store_b32 v[10:11], v12 dlc
	s_waitcnt_vscnt null, 0x0
	flat_load_b32 v10, v[10:11] glc dlc
	s_waitcnt vmcnt(0)
                                        ; implicit-def: $vgpr11
	s_and_saveexec_b32 s4, s3
	s_delay_alu instid0(SALU_CYCLE_1)
	s_xor_b32 s24, exec_lo, s4
	s_cbranch_execz .LBB50_681
; %bb.618:                              ;   in Loop: Header=BB50_418 Depth=1
	v_add_f32_e64 v12, |v2|, 1.0
	v_add_f32_e64 v11, |v2|, -1.0
	s_mov_b32 s3, exec_lo
	s_waitcnt vmcnt(0) lgkmcnt(0)
	s_delay_alu instid0(VALU_DEP_2) | instskip(NEXT) | instid1(VALU_DEP_2)
	v_max_f32_e64 v10, v13, |v12|
	v_max_f32_e64 v13, v13, |v11|
	s_delay_alu instid0(VALU_DEP_2) | instskip(NEXT) | instid1(VALU_DEP_2)
	v_cvt_f64_f32_e32 v[21:22], v10
	v_cvt_f64_f32_e32 v[23:24], v13
	v_cmp_neq_f32_e32 vcc_lo, 0x7f800000, v10
	s_delay_alu instid0(VALU_DEP_3) | instskip(NEXT) | instid1(VALU_DEP_3)
	v_frexp_exp_i32_f64_e32 v21, v[21:22]
	v_frexp_exp_i32_f64_e32 v22, v[23:24]
	s_delay_alu instid0(VALU_DEP_2) | instskip(NEXT) | instid1(VALU_DEP_2)
	v_sub_nc_u32_e32 v23, 0, v21
	v_sub_nc_u32_e32 v24, 0, v22
	s_delay_alu instid0(VALU_DEP_2) | instskip(NEXT) | instid1(VALU_DEP_2)
	v_ldexp_f32 v25, |v12|, v23
	v_ldexp_f32 v26, |v11|, v24
	;; [unrolled: 1-line block ×4, first 2 shown]
	s_delay_alu instid0(VALU_DEP_3) | instskip(NEXT) | instid1(VALU_DEP_1)
	v_dual_mul_f32 v25, v25, v25 :: v_dual_mul_f32 v26, v26, v26
	v_dual_fmac_f32 v25, v23, v23 :: v_dual_fmac_f32 v26, v24, v24
	s_delay_alu instid0(VALU_DEP_1) | instskip(NEXT) | instid1(VALU_DEP_1)
	v_sqrt_f32_e32 v23, v25
	v_sqrt_f32_e32 v24, v26
	s_waitcnt_depctr 0xfff
	v_ldexp_f32 v21, v23, v21
	v_ldexp_f32 v22, v24, v22
	s_delay_alu instid0(VALU_DEP_2) | instskip(SKIP_1) | instid1(VALU_DEP_3)
	v_cndmask_b32_e32 v23, 0x7f800000, v21, vcc_lo
	v_cmp_neq_f32_e32 vcc_lo, 0x7f800000, v13
                                        ; implicit-def: $vgpr21
	v_cndmask_b32_e32 v13, 0x7f800000, v22, vcc_lo
	s_delay_alu instid0(VALU_DEP_1) | instskip(NEXT) | instid1(VALU_DEP_1)
	v_add_f32_e32 v10, v23, v13
	v_mul_f32_e32 v10, 0.5, v10
	s_delay_alu instid0(VALU_DEP_1) | instskip(SKIP_1) | instid1(VALU_DEP_1)
	v_cmp_ngt_f32_e32 vcc_lo, 1.0, v10
	v_cndmask_b32_e32 v10, 1.0, v10, vcc_lo
	v_cmpx_ngt_f32_e32 0x41200000, v10
	s_xor_b32 s4, exec_lo, s3
	s_cbranch_execz .LBB50_620
; %bb.619:                              ;   in Loop: Header=BB50_418 Depth=1
	v_fma_f32 v21, v10, v10, -1.0
	s_delay_alu instid0(VALU_DEP_1) | instskip(SKIP_1) | instid1(VALU_DEP_2)
	v_mul_f32_e32 v22, 0x4f800000, v21
	v_cmp_gt_f32_e32 vcc_lo, 0xf800000, v21
	v_cndmask_b32_e32 v21, v21, v22, vcc_lo
	s_delay_alu instid0(VALU_DEP_1) | instskip(SKIP_3) | instid1(VALU_DEP_2)
	v_sqrt_f32_e32 v22, v21
	s_waitcnt_depctr 0xfff
	v_add_nc_u32_e32 v24, -1, v22
	v_add_nc_u32_e32 v25, 1, v22
	v_fma_f32 v26, -v24, v22, v21
	s_delay_alu instid0(VALU_DEP_2) | instskip(NEXT) | instid1(VALU_DEP_2)
	v_fma_f32 v27, -v25, v22, v21
	v_cmp_ge_f32_e64 s3, 0, v26
	s_delay_alu instid0(VALU_DEP_1) | instskip(NEXT) | instid1(VALU_DEP_3)
	v_cndmask_b32_e64 v22, v22, v24, s3
	v_cmp_lt_f32_e64 s3, 0, v27
	s_delay_alu instid0(VALU_DEP_1) | instskip(NEXT) | instid1(VALU_DEP_1)
	v_cndmask_b32_e64 v22, v22, v25, s3
	v_mul_f32_e32 v24, 0x37800000, v22
	s_delay_alu instid0(VALU_DEP_1) | instskip(SKIP_1) | instid1(VALU_DEP_2)
	v_cndmask_b32_e32 v22, v22, v24, vcc_lo
	v_cmp_class_f32_e64 vcc_lo, v21, 0x260
	v_cndmask_b32_e32 v21, v22, v21, vcc_lo
	s_delay_alu instid0(VALU_DEP_1) | instskip(NEXT) | instid1(VALU_DEP_1)
	v_add_f32_e32 v21, v10, v21
	v_cmp_gt_f32_e32 vcc_lo, 0x800000, v21
	s_delay_alu instid0(VALU_DEP_4) | instskip(NEXT) | instid1(VALU_DEP_1)
	v_cndmask_b32_e64 v22, 1.0, 0x4f800000, vcc_lo
	v_mul_f32_e32 v21, v21, v22
	s_delay_alu instid0(VALU_DEP_1) | instskip(SKIP_3) | instid1(VALU_DEP_2)
	v_log_f32_e32 v21, v21
	s_waitcnt_depctr 0xfff
	v_mul_f32_e32 v22, 0x3f317217, v21
	v_cmp_gt_f32_e64 s3, 0x7f800000, |v21|
	v_fma_f32 v24, 0x3f317217, v21, -v22
	s_delay_alu instid0(VALU_DEP_1) | instskip(NEXT) | instid1(VALU_DEP_1)
	v_fmac_f32_e32 v24, 0x3377d1cf, v21
	v_add_f32_e32 v22, v22, v24
	s_delay_alu instid0(VALU_DEP_1) | instskip(SKIP_1) | instid1(VALU_DEP_1)
	v_cndmask_b32_e64 v21, v21, v22, s3
	v_cndmask_b32_e64 v22, 0, 0x41b17218, vcc_lo
	v_sub_f32_e32 v21, v21, v22
.LBB50_620:                             ;   in Loop: Header=BB50_418 Depth=1
	s_or_saveexec_b32 s4, s4
	v_and_b32_e32 v22, 0x7fffffff, v3
	s_xor_b32 exec_lo, exec_lo, s4
	s_cbranch_execz .LBB50_642
; %bb.621:                              ;   in Loop: Header=BB50_418 Depth=1
	v_cmp_neq_f32_e64 s3, |v2|, 1.0
	v_cmp_ngt_f32_e64 s25, 0x25000000, |v3|
                                        ; implicit-def: $vgpr21
	s_delay_alu instid0(VALU_DEP_1) | instskip(NEXT) | instid1(SALU_CYCLE_1)
	s_or_b32 s3, s3, s25
	s_and_saveexec_b32 s25, s3
	s_delay_alu instid0(SALU_CYCLE_1)
	s_xor_b32 s25, exec_lo, s25
	s_cbranch_execz .LBB50_639
; %bb.622:                              ;   in Loop: Header=BB50_418 Depth=1
	v_mul_f32_e64 v21, 0x34000000, |v11|
	s_delay_alu instid0(VALU_DEP_1) | instskip(NEXT) | instid1(VALU_DEP_1)
	v_cmp_le_f32_e64 s3, v21, |v3|
                                        ; implicit-def: $vgpr21
	s_and_saveexec_b32 s26, s3
	s_delay_alu instid0(SALU_CYCLE_1)
	s_xor_b32 s26, exec_lo, s26
	s_cbranch_execz .LBB50_632
; %bb.623:                              ;   in Loop: Header=BB50_418 Depth=1
	v_mov_b32_e32 v21, v22
	s_mov_b32 s3, exec_lo
	v_cmpx_neq_f32_e32 0, v12
	s_cbranch_execz .LBB50_625
; %bb.624:                              ;   in Loop: Header=BB50_418 Depth=1
	v_mul_f32_e32 v21, v3, v3
	v_add_f32_e32 v24, v12, v23
	s_delay_alu instid0(VALU_DEP_1) | instskip(NEXT) | instid1(VALU_DEP_1)
	v_div_scale_f32 v25, null, v24, v24, v21
	v_rcp_f32_e32 v26, v25
	s_waitcnt_depctr 0xfff
	v_fma_f32 v27, -v25, v26, 1.0
	s_delay_alu instid0(VALU_DEP_1) | instskip(SKIP_1) | instid1(VALU_DEP_1)
	v_fmac_f32_e32 v26, v27, v26
	v_div_scale_f32 v27, vcc_lo, v21, v24, v21
	v_mul_f32_e32 v28, v27, v26
	s_delay_alu instid0(VALU_DEP_1) | instskip(NEXT) | instid1(VALU_DEP_1)
	v_fma_f32 v29, -v25, v28, v27
	v_fmac_f32_e32 v28, v29, v26
	s_delay_alu instid0(VALU_DEP_1) | instskip(NEXT) | instid1(VALU_DEP_1)
	v_fma_f32 v25, -v25, v28, v27
	v_div_fmas_f32 v25, v25, v26, v28
	s_delay_alu instid0(VALU_DEP_1)
	v_div_fixup_f32 v21, v25, v24, v21
.LBB50_625:                             ;   in Loop: Header=BB50_418 Depth=1
	s_or_b32 exec_lo, exec_lo, s3
	v_sub_f32_e64 v25, 1.0, |v2|
	s_mov_b32 s3, exec_lo
                                        ; implicit-def: $vgpr24
	s_delay_alu instid0(VALU_DEP_1)
	v_cmpx_ngt_f32_e32 0, v25
	s_xor_b32 s3, exec_lo, s3
	s_cbranch_execz .LBB50_629
; %bb.626:                              ;   in Loop: Header=BB50_418 Depth=1
	v_mov_b32_e32 v24, v22
	s_mov_b32 s27, exec_lo
	v_cmpx_neq_f32_e32 0, v25
	s_cbranch_execz .LBB50_628
; %bb.627:                              ;   in Loop: Header=BB50_418 Depth=1
	v_dual_mul_f32 v24, v3, v3 :: v_dual_add_f32 v25, v25, v13
	s_delay_alu instid0(VALU_DEP_1) | instskip(NEXT) | instid1(VALU_DEP_1)
	v_div_scale_f32 v26, null, v25, v25, v24
	v_rcp_f32_e32 v27, v26
	s_waitcnt_depctr 0xfff
	v_fma_f32 v28, -v26, v27, 1.0
	s_delay_alu instid0(VALU_DEP_1) | instskip(SKIP_1) | instid1(VALU_DEP_1)
	v_fmac_f32_e32 v27, v28, v27
	v_div_scale_f32 v28, vcc_lo, v24, v25, v24
	v_mul_f32_e32 v29, v28, v27
	s_delay_alu instid0(VALU_DEP_1) | instskip(NEXT) | instid1(VALU_DEP_1)
	v_fma_f32 v30, -v26, v29, v28
	v_fmac_f32_e32 v29, v30, v27
	s_delay_alu instid0(VALU_DEP_1) | instskip(NEXT) | instid1(VALU_DEP_1)
	v_fma_f32 v26, -v26, v29, v28
	v_div_fmas_f32 v26, v26, v27, v29
	s_delay_alu instid0(VALU_DEP_1)
	v_div_fixup_f32 v24, v26, v25, v24
.LBB50_628:                             ;   in Loop: Header=BB50_418 Depth=1
	s_or_b32 exec_lo, exec_lo, s27
                                        ; implicit-def: $vgpr25
.LBB50_629:                             ;   in Loop: Header=BB50_418 Depth=1
	s_and_not1_saveexec_b32 s3, s3
; %bb.630:                              ;   in Loop: Header=BB50_418 Depth=1
	v_sub_f32_e32 v24, v13, v25
; %bb.631:                              ;   in Loop: Header=BB50_418 Depth=1
	s_or_b32 exec_lo, exec_lo, s3
	s_delay_alu instid0(VALU_DEP_1) | instskip(NEXT) | instid1(VALU_DEP_1)
	v_dual_mul_f32 v24, 0.5, v24 :: v_dual_add_f32 v25, 1.0, v10
	v_fmac_f32_e32 v24, 0.5, v21
	s_delay_alu instid0(VALU_DEP_1) | instskip(NEXT) | instid1(VALU_DEP_1)
	v_mul_f32_e32 v21, v25, v24
	v_mul_f32_e32 v25, 0x4f800000, v21
	v_cmp_gt_f32_e32 vcc_lo, 0xf800000, v21
	s_delay_alu instid0(VALU_DEP_2) | instskip(NEXT) | instid1(VALU_DEP_1)
	v_cndmask_b32_e32 v21, v21, v25, vcc_lo
	v_sqrt_f32_e32 v25, v21
	s_waitcnt_depctr 0xfff
	v_add_nc_u32_e32 v26, -1, v25
	v_add_nc_u32_e32 v27, 1, v25
	s_delay_alu instid0(VALU_DEP_2) | instskip(NEXT) | instid1(VALU_DEP_2)
	v_fma_f32 v28, -v26, v25, v21
	v_fma_f32 v29, -v27, v25, v21
	s_delay_alu instid0(VALU_DEP_2) | instskip(NEXT) | instid1(VALU_DEP_1)
	v_cmp_ge_f32_e64 s3, 0, v28
	v_cndmask_b32_e64 v25, v25, v26, s3
	s_delay_alu instid0(VALU_DEP_3) | instskip(NEXT) | instid1(VALU_DEP_1)
	v_cmp_lt_f32_e64 s3, 0, v29
	v_cndmask_b32_e64 v25, v25, v27, s3
	s_delay_alu instid0(VALU_DEP_1) | instskip(NEXT) | instid1(VALU_DEP_1)
	v_mul_f32_e32 v26, 0x37800000, v25
	v_cndmask_b32_e32 v25, v25, v26, vcc_lo
	v_cmp_class_f32_e64 vcc_lo, v21, 0x260
	s_delay_alu instid0(VALU_DEP_2) | instskip(NEXT) | instid1(VALU_DEP_1)
	v_cndmask_b32_e32 v21, v25, v21, vcc_lo
	v_add_f32_e32 v21, v24, v21
	s_delay_alu instid0(VALU_DEP_1) | instskip(NEXT) | instid1(VALU_DEP_1)
	v_add_f32_e32 v26, 1.0, v21
	v_cvt_f64_f32_e32 v[24:25], v26
	s_delay_alu instid0(VALU_DEP_1) | instskip(SKIP_1) | instid1(VALU_DEP_1)
	v_frexp_exp_i32_f64_e32 v24, v[24:25]
	v_frexp_mant_f32_e32 v25, v26
	v_cmp_gt_f32_e32 vcc_lo, 0x3f2aaaab, v25
	v_add_f32_e32 v25, -1.0, v26
	s_delay_alu instid0(VALU_DEP_1) | instskip(NEXT) | instid1(VALU_DEP_1)
	v_sub_f32_e32 v28, v25, v26
	v_add_f32_e32 v28, 1.0, v28
	v_subrev_co_ci_u32_e32 v24, vcc_lo, 0, v24, vcc_lo
	s_delay_alu instid0(VALU_DEP_1) | instskip(SKIP_1) | instid1(VALU_DEP_2)
	v_sub_nc_u32_e32 v27, 0, v24
	v_cvt_f32_i32_e32 v24, v24
	v_ldexp_f32 v26, v26, v27
	v_sub_f32_e32 v25, v21, v25
	s_delay_alu instid0(VALU_DEP_2) | instskip(NEXT) | instid1(VALU_DEP_1)
	v_add_f32_e32 v29, 1.0, v26
	v_dual_add_f32 v25, v25, v28 :: v_dual_add_f32 v28, -1.0, v29
	s_delay_alu instid0(VALU_DEP_1) | instskip(NEXT) | instid1(VALU_DEP_2)
	v_ldexp_f32 v25, v25, v27
	v_sub_f32_e32 v28, v26, v28
	s_delay_alu instid0(VALU_DEP_1) | instskip(SKIP_1) | instid1(VALU_DEP_2)
	v_dual_add_f32 v28, v25, v28 :: v_dual_add_f32 v27, -1.0, v26
	v_cmp_eq_f32_e32 vcc_lo, 0x7f800000, v21
	v_add_f32_e32 v30, 1.0, v27
	s_delay_alu instid0(VALU_DEP_1) | instskip(NEXT) | instid1(VALU_DEP_4)
	v_sub_f32_e32 v26, v26, v30
	v_add_f32_e32 v30, v29, v28
	s_delay_alu instid0(VALU_DEP_1) | instskip(NEXT) | instid1(VALU_DEP_3)
	v_sub_f32_e32 v29, v30, v29
	v_add_f32_e32 v25, v25, v26
	v_rcp_f32_e32 v26, v30
	s_delay_alu instid0(VALU_DEP_2) | instskip(NEXT) | instid1(VALU_DEP_2)
	v_sub_f32_e32 v28, v28, v29
	v_add_f32_e32 v31, v27, v25
	s_delay_alu instid0(VALU_DEP_1) | instskip(SKIP_2) | instid1(VALU_DEP_1)
	v_sub_f32_e32 v27, v31, v27
	s_waitcnt_depctr 0xfff
	v_dual_mul_f32 v32, v31, v26 :: v_dual_sub_f32 v25, v25, v27
	v_mul_f32_e32 v33, v30, v32
	s_delay_alu instid0(VALU_DEP_1) | instskip(NEXT) | instid1(VALU_DEP_1)
	v_fma_f32 v29, v32, v30, -v33
	v_fmac_f32_e32 v29, v32, v28
	s_delay_alu instid0(VALU_DEP_1) | instskip(NEXT) | instid1(VALU_DEP_1)
	v_add_f32_e32 v34, v33, v29
	v_sub_f32_e32 v35, v31, v34
	s_delay_alu instid0(VALU_DEP_1) | instskip(SKIP_1) | instid1(VALU_DEP_2)
	v_sub_f32_e32 v31, v31, v35
	v_sub_f32_e32 v27, v34, v33
	;; [unrolled: 1-line block ×3, first 2 shown]
	s_delay_alu instid0(VALU_DEP_2) | instskip(NEXT) | instid1(VALU_DEP_2)
	v_sub_f32_e32 v27, v27, v29
	v_add_f32_e32 v25, v25, v31
	s_delay_alu instid0(VALU_DEP_1) | instskip(NEXT) | instid1(VALU_DEP_1)
	v_add_f32_e32 v25, v27, v25
	v_add_f32_e32 v27, v35, v25
	s_delay_alu instid0(VALU_DEP_1) | instskip(NEXT) | instid1(VALU_DEP_1)
	v_mul_f32_e32 v29, v26, v27
	v_dual_sub_f32 v34, v35, v27 :: v_dual_mul_f32 v31, v30, v29
	s_delay_alu instid0(VALU_DEP_1) | instskip(NEXT) | instid1(VALU_DEP_2)
	v_add_f32_e32 v25, v25, v34
	v_fma_f32 v30, v29, v30, -v31
	s_delay_alu instid0(VALU_DEP_1) | instskip(NEXT) | instid1(VALU_DEP_1)
	v_fmac_f32_e32 v30, v29, v28
	v_add_f32_e32 v28, v31, v30
	s_delay_alu instid0(VALU_DEP_1) | instskip(SKIP_1) | instid1(VALU_DEP_2)
	v_sub_f32_e32 v33, v27, v28
	v_sub_f32_e32 v31, v28, v31
	;; [unrolled: 1-line block ×3, first 2 shown]
	s_delay_alu instid0(VALU_DEP_1) | instskip(NEXT) | instid1(VALU_DEP_1)
	v_sub_f32_e32 v27, v27, v28
	v_dual_sub_f32 v28, v31, v30 :: v_dual_add_f32 v25, v25, v27
	v_add_f32_e32 v27, v32, v29
	s_delay_alu instid0(VALU_DEP_1) | instskip(NEXT) | instid1(VALU_DEP_1)
	v_dual_add_f32 v25, v28, v25 :: v_dual_sub_f32 v28, v27, v32
	v_add_f32_e32 v25, v33, v25
	s_delay_alu instid0(VALU_DEP_1) | instskip(NEXT) | instid1(VALU_DEP_1)
	v_dual_sub_f32 v28, v29, v28 :: v_dual_mul_f32 v25, v26, v25
	v_add_f32_e32 v25, v28, v25
	s_delay_alu instid0(VALU_DEP_1) | instskip(NEXT) | instid1(VALU_DEP_1)
	v_add_f32_e32 v26, v27, v25
	v_mul_f32_e32 v28, v26, v26
	s_delay_alu instid0(VALU_DEP_1) | instskip(SKIP_1) | instid1(VALU_DEP_2)
	v_fmaak_f32 v29, s18, v28, 0x3ecc95a3
	v_mul_f32_e32 v30, v26, v28
	v_fmaak_f32 v28, v28, v29, 0x3f2aaada
	v_ldexp_f32 v29, v26, 1
	v_sub_f32_e32 v26, v26, v27
	s_delay_alu instid0(VALU_DEP_3) | instskip(NEXT) | instid1(VALU_DEP_2)
	v_mul_f32_e32 v28, v30, v28
	v_dual_mul_f32 v30, 0x3f317218, v24 :: v_dual_sub_f32 v25, v25, v26
	s_delay_alu instid0(VALU_DEP_2) | instskip(NEXT) | instid1(VALU_DEP_2)
	v_add_f32_e32 v27, v29, v28
	v_ldexp_f32 v25, v25, 1
	s_delay_alu instid0(VALU_DEP_2) | instskip(NEXT) | instid1(VALU_DEP_4)
	v_sub_f32_e32 v26, v27, v29
	v_fma_f32 v29, 0x3f317218, v24, -v30
	s_delay_alu instid0(VALU_DEP_1) | instskip(NEXT) | instid1(VALU_DEP_1)
	v_dual_sub_f32 v26, v28, v26 :: v_dual_fmac_f32 v29, 0xb102e308, v24
	v_dual_add_f32 v24, v25, v26 :: v_dual_add_f32 v25, v30, v29
	s_delay_alu instid0(VALU_DEP_1) | instskip(NEXT) | instid1(VALU_DEP_2)
	v_add_f32_e32 v26, v27, v24
	v_sub_f32_e32 v30, v25, v30
	s_delay_alu instid0(VALU_DEP_2) | instskip(NEXT) | instid1(VALU_DEP_2)
	v_dual_add_f32 v28, v25, v26 :: v_dual_sub_f32 v27, v26, v27
	v_sub_f32_e32 v29, v29, v30
	s_delay_alu instid0(VALU_DEP_2) | instskip(NEXT) | instid1(VALU_DEP_3)
	v_sub_f32_e32 v31, v28, v25
	v_sub_f32_e32 v24, v24, v27
	s_delay_alu instid0(VALU_DEP_2) | instskip(NEXT) | instid1(VALU_DEP_2)
	v_sub_f32_e32 v32, v28, v31
	v_dual_sub_f32 v26, v26, v31 :: v_dual_add_f32 v27, v29, v24
	s_delay_alu instid0(VALU_DEP_2) | instskip(NEXT) | instid1(VALU_DEP_1)
	v_sub_f32_e32 v25, v25, v32
	v_add_f32_e32 v25, v26, v25
	s_delay_alu instid0(VALU_DEP_3) | instskip(NEXT) | instid1(VALU_DEP_2)
	v_sub_f32_e32 v26, v27, v29
	v_add_f32_e32 v25, v27, v25
	s_delay_alu instid0(VALU_DEP_2) | instskip(SKIP_1) | instid1(VALU_DEP_2)
	v_sub_f32_e32 v27, v27, v26
	v_sub_f32_e32 v24, v24, v26
	v_dual_add_f32 v30, v28, v25 :: v_dual_sub_f32 v27, v29, v27
	s_delay_alu instid0(VALU_DEP_1) | instskip(NEXT) | instid1(VALU_DEP_1)
	v_sub_f32_e32 v26, v30, v28
	v_dual_add_f32 v24, v24, v27 :: v_dual_sub_f32 v25, v25, v26
	s_delay_alu instid0(VALU_DEP_1) | instskip(NEXT) | instid1(VALU_DEP_1)
	v_add_f32_e32 v24, v24, v25
	v_add_f32_e32 v24, v30, v24
	s_delay_alu instid0(VALU_DEP_1) | instskip(SKIP_1) | instid1(VALU_DEP_2)
	v_cndmask_b32_e32 v24, v24, v21, vcc_lo
	v_cmp_ngt_f32_e32 vcc_lo, -1.0, v21
	v_cndmask_b32_e32 v24, 0x7fc00000, v24, vcc_lo
	v_cmp_neq_f32_e32 vcc_lo, -1.0, v21
	s_delay_alu instid0(VALU_DEP_2) | instskip(SKIP_1) | instid1(VALU_DEP_2)
	v_cndmask_b32_e32 v24, 0xff800000, v24, vcc_lo
	v_cmp_gt_f32_e64 vcc_lo, 0x33800000, |v21|
	v_cndmask_b32_e32 v21, v24, v21, vcc_lo
.LBB50_632:                             ;   in Loop: Header=BB50_418 Depth=1
	s_and_not1_saveexec_b32 s26, s26
	s_cbranch_execz .LBB50_638
; %bb.633:                              ;   in Loop: Header=BB50_418 Depth=1
	s_mov_b32 s27, exec_lo
                                        ; implicit-def: $vgpr21
	v_cmpx_nlt_f32_e64 |v2|, 1.0
	s_xor_b32 s27, exec_lo, s27
	s_cbranch_execz .LBB50_635
; %bb.634:                              ;   in Loop: Header=BB50_418 Depth=1
	v_mul_f32_e32 v21, v11, v12
	s_delay_alu instid0(VALU_DEP_1) | instskip(SKIP_1) | instid1(VALU_DEP_2)
	v_mul_f32_e32 v24, 0x4f800000, v21
	v_cmp_gt_f32_e32 vcc_lo, 0xf800000, v21
	v_cndmask_b32_e32 v21, v21, v24, vcc_lo
	s_delay_alu instid0(VALU_DEP_1) | instskip(SKIP_3) | instid1(VALU_DEP_2)
	v_sqrt_f32_e32 v24, v21
	s_waitcnt_depctr 0xfff
	v_add_nc_u32_e32 v25, -1, v24
	v_add_nc_u32_e32 v26, 1, v24
	v_fma_f32 v27, -v25, v24, v21
	s_delay_alu instid0(VALU_DEP_2) | instskip(NEXT) | instid1(VALU_DEP_2)
	v_fma_f32 v28, -v26, v24, v21
	v_cmp_ge_f32_e64 s3, 0, v27
	s_delay_alu instid0(VALU_DEP_1) | instskip(NEXT) | instid1(VALU_DEP_3)
	v_cndmask_b32_e64 v24, v24, v25, s3
	v_cmp_lt_f32_e64 s3, 0, v28
	s_delay_alu instid0(VALU_DEP_1) | instskip(NEXT) | instid1(VALU_DEP_1)
	v_cndmask_b32_e64 v24, v24, v26, s3
	v_mul_f32_e32 v25, 0x37800000, v24
	s_delay_alu instid0(VALU_DEP_1) | instskip(SKIP_1) | instid1(VALU_DEP_2)
	v_cndmask_b32_e32 v24, v24, v25, vcc_lo
	v_cmp_class_f32_e64 vcc_lo, v21, 0x260
	v_cndmask_b32_e32 v21, v24, v21, vcc_lo
	s_delay_alu instid0(VALU_DEP_1) | instskip(NEXT) | instid1(VALU_DEP_1)
	v_add_f32_e32 v21, v11, v21
	v_add_f32_e32 v26, 1.0, v21
	s_delay_alu instid0(VALU_DEP_1) | instskip(NEXT) | instid1(VALU_DEP_1)
	v_cvt_f64_f32_e32 v[24:25], v26
	v_frexp_exp_i32_f64_e32 v24, v[24:25]
	v_frexp_mant_f32_e32 v25, v26
	s_delay_alu instid0(VALU_DEP_1) | instskip(SKIP_1) | instid1(VALU_DEP_1)
	v_cmp_gt_f32_e32 vcc_lo, 0x3f2aaaab, v25
	v_add_f32_e32 v25, -1.0, v26
	v_sub_f32_e32 v28, v25, v26
	s_delay_alu instid0(VALU_DEP_1) | instskip(SKIP_2) | instid1(VALU_DEP_2)
	v_dual_sub_f32 v25, v21, v25 :: v_dual_add_f32 v28, 1.0, v28
	v_subrev_co_ci_u32_e32 v24, vcc_lo, 0, v24, vcc_lo
	v_cmp_eq_f32_e32 vcc_lo, 0x7f800000, v21
	v_sub_nc_u32_e32 v27, 0, v24
	v_cvt_f32_i32_e32 v24, v24
	s_delay_alu instid0(VALU_DEP_2) | instskip(SKIP_1) | instid1(VALU_DEP_2)
	v_ldexp_f32 v26, v26, v27
	v_add_f32_e32 v25, v25, v28
	v_add_f32_e32 v29, 1.0, v26
	s_delay_alu instid0(VALU_DEP_2) | instskip(NEXT) | instid1(VALU_DEP_2)
	v_ldexp_f32 v25, v25, v27
	v_add_f32_e32 v28, -1.0, v29
	s_delay_alu instid0(VALU_DEP_1) | instskip(NEXT) | instid1(VALU_DEP_1)
	v_dual_sub_f32 v28, v26, v28 :: v_dual_add_f32 v27, -1.0, v26
	v_add_f32_e32 v28, v25, v28
	s_delay_alu instid0(VALU_DEP_2) | instskip(NEXT) | instid1(VALU_DEP_1)
	v_add_f32_e32 v30, 1.0, v27
	v_sub_f32_e32 v26, v26, v30
	s_delay_alu instid0(VALU_DEP_1) | instskip(NEXT) | instid1(VALU_DEP_1)
	v_add_f32_e32 v25, v25, v26
	v_dual_add_f32 v30, v29, v28 :: v_dual_add_f32 v31, v27, v25
	s_delay_alu instid0(VALU_DEP_1) | instskip(SKIP_1) | instid1(VALU_DEP_1)
	v_rcp_f32_e32 v26, v30
	v_sub_f32_e32 v29, v30, v29
	v_dual_sub_f32 v27, v31, v27 :: v_dual_sub_f32 v28, v28, v29
	s_waitcnt_depctr 0xfff
	v_dual_sub_f32 v25, v25, v27 :: v_dual_mul_f32 v32, v31, v26
	s_delay_alu instid0(VALU_DEP_1) | instskip(NEXT) | instid1(VALU_DEP_1)
	v_mul_f32_e32 v33, v30, v32
	v_fma_f32 v29, v32, v30, -v33
	s_delay_alu instid0(VALU_DEP_1) | instskip(NEXT) | instid1(VALU_DEP_1)
	v_fmac_f32_e32 v29, v32, v28
	v_add_f32_e32 v34, v33, v29
	s_delay_alu instid0(VALU_DEP_1) | instskip(SKIP_1) | instid1(VALU_DEP_2)
	v_sub_f32_e32 v35, v31, v34
	v_sub_f32_e32 v27, v34, v33
	;; [unrolled: 1-line block ×3, first 2 shown]
	s_delay_alu instid0(VALU_DEP_2) | instskip(NEXT) | instid1(VALU_DEP_2)
	v_sub_f32_e32 v27, v27, v29
	v_sub_f32_e32 v31, v31, v34
	s_delay_alu instid0(VALU_DEP_1) | instskip(NEXT) | instid1(VALU_DEP_1)
	v_add_f32_e32 v25, v25, v31
	v_add_f32_e32 v25, v27, v25
	s_delay_alu instid0(VALU_DEP_1) | instskip(NEXT) | instid1(VALU_DEP_1)
	v_add_f32_e32 v27, v35, v25
	v_mul_f32_e32 v29, v26, v27
	s_delay_alu instid0(VALU_DEP_1) | instskip(NEXT) | instid1(VALU_DEP_1)
	v_mul_f32_e32 v31, v30, v29
	v_fma_f32 v30, v29, v30, -v31
	s_delay_alu instid0(VALU_DEP_1) | instskip(SKIP_1) | instid1(VALU_DEP_2)
	v_fmac_f32_e32 v30, v29, v28
	v_sub_f32_e32 v34, v35, v27
	v_add_f32_e32 v28, v31, v30
	s_delay_alu instid0(VALU_DEP_2) | instskip(NEXT) | instid1(VALU_DEP_2)
	v_add_f32_e32 v25, v25, v34
	v_sub_f32_e32 v33, v27, v28
	v_sub_f32_e32 v31, v28, v31
	s_delay_alu instid0(VALU_DEP_2) | instskip(NEXT) | instid1(VALU_DEP_1)
	v_sub_f32_e32 v27, v27, v33
	v_sub_f32_e32 v27, v27, v28
	s_delay_alu instid0(VALU_DEP_1) | instskip(SKIP_1) | instid1(VALU_DEP_1)
	v_dual_sub_f32 v28, v31, v30 :: v_dual_add_f32 v25, v25, v27
	v_add_f32_e32 v27, v32, v29
	v_dual_add_f32 v25, v28, v25 :: v_dual_sub_f32 v28, v27, v32
	s_delay_alu instid0(VALU_DEP_1) | instskip(NEXT) | instid1(VALU_DEP_1)
	v_add_f32_e32 v25, v33, v25
	v_dual_sub_f32 v28, v29, v28 :: v_dual_mul_f32 v25, v26, v25
	s_delay_alu instid0(VALU_DEP_1) | instskip(NEXT) | instid1(VALU_DEP_1)
	v_add_f32_e32 v25, v28, v25
	v_add_f32_e32 v26, v27, v25
	s_delay_alu instid0(VALU_DEP_1) | instskip(NEXT) | instid1(VALU_DEP_1)
	v_mul_f32_e32 v28, v26, v26
	v_fmaak_f32 v29, s18, v28, 0x3ecc95a3
	v_mul_f32_e32 v30, v26, v28
	s_delay_alu instid0(VALU_DEP_2) | instskip(SKIP_2) | instid1(VALU_DEP_3)
	v_fmaak_f32 v28, v28, v29, 0x3f2aaada
	v_ldexp_f32 v29, v26, 1
	v_sub_f32_e32 v26, v26, v27
	v_mul_f32_e32 v28, v30, v28
	s_delay_alu instid0(VALU_DEP_2) | instskip(NEXT) | instid1(VALU_DEP_2)
	v_dual_mul_f32 v30, 0x3f317218, v24 :: v_dual_sub_f32 v25, v25, v26
	v_add_f32_e32 v27, v29, v28
	s_delay_alu instid0(VALU_DEP_2) | instskip(NEXT) | instid1(VALU_DEP_2)
	v_ldexp_f32 v25, v25, 1
	v_sub_f32_e32 v26, v27, v29
	s_delay_alu instid0(VALU_DEP_4) | instskip(NEXT) | instid1(VALU_DEP_1)
	v_fma_f32 v29, 0x3f317218, v24, -v30
	v_dual_sub_f32 v26, v28, v26 :: v_dual_fmac_f32 v29, 0xb102e308, v24
	s_delay_alu instid0(VALU_DEP_1) | instskip(NEXT) | instid1(VALU_DEP_1)
	v_dual_add_f32 v24, v25, v26 :: v_dual_add_f32 v25, v30, v29
	v_add_f32_e32 v26, v27, v24
	s_delay_alu instid0(VALU_DEP_2) | instskip(NEXT) | instid1(VALU_DEP_2)
	v_sub_f32_e32 v30, v25, v30
	v_dual_add_f32 v28, v25, v26 :: v_dual_sub_f32 v27, v26, v27
	s_delay_alu instid0(VALU_DEP_2) | instskip(NEXT) | instid1(VALU_DEP_2)
	v_sub_f32_e32 v29, v29, v30
	v_sub_f32_e32 v31, v28, v25
	s_delay_alu instid0(VALU_DEP_3) | instskip(NEXT) | instid1(VALU_DEP_2)
	v_sub_f32_e32 v24, v24, v27
	v_sub_f32_e32 v32, v28, v31
	s_delay_alu instid0(VALU_DEP_2) | instskip(NEXT) | instid1(VALU_DEP_2)
	v_dual_sub_f32 v26, v26, v31 :: v_dual_add_f32 v27, v29, v24
	v_sub_f32_e32 v25, v25, v32
	s_delay_alu instid0(VALU_DEP_1) | instskip(NEXT) | instid1(VALU_DEP_3)
	v_add_f32_e32 v25, v26, v25
	v_sub_f32_e32 v26, v27, v29
	s_delay_alu instid0(VALU_DEP_2) | instskip(NEXT) | instid1(VALU_DEP_2)
	v_add_f32_e32 v25, v27, v25
	v_sub_f32_e32 v27, v27, v26
	v_sub_f32_e32 v24, v24, v26
	s_delay_alu instid0(VALU_DEP_2) | instskip(NEXT) | instid1(VALU_DEP_1)
	v_dual_add_f32 v30, v28, v25 :: v_dual_sub_f32 v27, v29, v27
	v_sub_f32_e32 v26, v30, v28
	s_delay_alu instid0(VALU_DEP_1) | instskip(NEXT) | instid1(VALU_DEP_1)
	v_dual_add_f32 v24, v24, v27 :: v_dual_sub_f32 v25, v25, v26
	v_add_f32_e32 v24, v24, v25
	s_delay_alu instid0(VALU_DEP_1) | instskip(NEXT) | instid1(VALU_DEP_1)
	v_add_f32_e32 v24, v30, v24
	v_cndmask_b32_e32 v24, v24, v21, vcc_lo
	v_cmp_ngt_f32_e32 vcc_lo, -1.0, v21
	s_delay_alu instid0(VALU_DEP_2) | instskip(SKIP_1) | instid1(VALU_DEP_2)
	v_cndmask_b32_e32 v24, 0x7fc00000, v24, vcc_lo
	v_cmp_neq_f32_e32 vcc_lo, -1.0, v21
	v_cndmask_b32_e32 v24, 0xff800000, v24, vcc_lo
	v_cmp_gt_f32_e64 vcc_lo, 0x33800000, |v21|
	s_delay_alu instid0(VALU_DEP_2)
	v_cndmask_b32_e32 v21, v24, v21, vcc_lo
.LBB50_635:                             ;   in Loop: Header=BB50_418 Depth=1
	s_and_not1_saveexec_b32 s27, s27
	s_cbranch_execz .LBB50_637
; %bb.636:                              ;   in Loop: Header=BB50_418 Depth=1
	v_sub_f32_e64 v21, 1.0, |v2|
	s_delay_alu instid0(VALU_DEP_1) | instskip(NEXT) | instid1(VALU_DEP_1)
	v_mul_f32_e32 v21, v21, v12
	v_mul_f32_e32 v24, 0x4f800000, v21
	v_cmp_gt_f32_e32 vcc_lo, 0xf800000, v21
	s_delay_alu instid0(VALU_DEP_2) | instskip(NEXT) | instid1(VALU_DEP_1)
	v_cndmask_b32_e32 v21, v21, v24, vcc_lo
	v_sqrt_f32_e32 v24, v21
	s_waitcnt_depctr 0xfff
	v_add_nc_u32_e32 v25, -1, v24
	v_add_nc_u32_e32 v26, 1, v24
	s_delay_alu instid0(VALU_DEP_2) | instskip(NEXT) | instid1(VALU_DEP_2)
	v_fma_f32 v27, -v25, v24, v21
	v_fma_f32 v28, -v26, v24, v21
	s_delay_alu instid0(VALU_DEP_2) | instskip(NEXT) | instid1(VALU_DEP_1)
	v_cmp_ge_f32_e64 s3, 0, v27
	v_cndmask_b32_e64 v24, v24, v25, s3
	s_delay_alu instid0(VALU_DEP_3) | instskip(NEXT) | instid1(VALU_DEP_1)
	v_cmp_lt_f32_e64 s3, 0, v28
	v_cndmask_b32_e64 v24, v24, v26, s3
	s_delay_alu instid0(VALU_DEP_1) | instskip(NEXT) | instid1(VALU_DEP_1)
	v_mul_f32_e32 v25, 0x37800000, v24
	v_cndmask_b32_e32 v24, v24, v25, vcc_lo
	v_cmp_class_f32_e64 vcc_lo, v21, 0x260
	v_and_b32_e32 v25, 0x7fffffff, v3
	s_delay_alu instid0(VALU_DEP_3) | instskip(NEXT) | instid1(VALU_DEP_1)
	v_cndmask_b32_e32 v21, v24, v21, vcc_lo
	v_div_scale_f32 v24, null, v21, v21, v25
	v_div_scale_f32 v25, vcc_lo, v25, v21, v25
	s_delay_alu instid0(VALU_DEP_2) | instskip(SKIP_2) | instid1(VALU_DEP_1)
	v_rcp_f32_e32 v26, v24
	s_waitcnt_depctr 0xfff
	v_fma_f32 v27, -v24, v26, 1.0
	v_fmac_f32_e32 v26, v27, v26
	s_delay_alu instid0(VALU_DEP_1) | instskip(NEXT) | instid1(VALU_DEP_1)
	v_mul_f32_e32 v27, v25, v26
	v_fma_f32 v28, -v24, v27, v25
	s_delay_alu instid0(VALU_DEP_1) | instskip(NEXT) | instid1(VALU_DEP_1)
	v_fmac_f32_e32 v27, v28, v26
	v_fma_f32 v24, -v24, v27, v25
	s_delay_alu instid0(VALU_DEP_1) | instskip(NEXT) | instid1(VALU_DEP_1)
	v_div_fmas_f32 v24, v24, v26, v27
	v_div_fixup_f32 v21, v24, v21, |v3|
.LBB50_637:                             ;   in Loop: Header=BB50_418 Depth=1
	s_or_b32 exec_lo, exec_lo, s27
.LBB50_638:                             ;   in Loop: Header=BB50_418 Depth=1
	s_delay_alu instid0(SALU_CYCLE_1)
	s_or_b32 exec_lo, exec_lo, s26
.LBB50_639:                             ;   in Loop: Header=BB50_418 Depth=1
	s_and_not1_saveexec_b32 s25, s25
	s_cbranch_execz .LBB50_641
; %bb.640:                              ;   in Loop: Header=BB50_418 Depth=1
	v_mul_f32_e64 v21, 0x4f800000, |v3|
	v_cmp_gt_f32_e64 vcc_lo, 0xf800000, |v3|
	s_delay_alu instid0(VALU_DEP_1) | instskip(NEXT) | instid1(VALU_DEP_1)
	v_cndmask_b32_e64 v21, |v3|, v21, vcc_lo
	v_sqrt_f32_e32 v24, v21
	s_waitcnt_depctr 0xfff
	v_add_nc_u32_e32 v25, -1, v24
	v_add_nc_u32_e32 v26, 1, v24
	s_delay_alu instid0(VALU_DEP_2) | instskip(NEXT) | instid1(VALU_DEP_2)
	v_fma_f32 v27, -v25, v24, v21
	v_fma_f32 v28, -v26, v24, v21
	s_delay_alu instid0(VALU_DEP_2) | instskip(NEXT) | instid1(VALU_DEP_1)
	v_cmp_ge_f32_e64 s3, 0, v27
	v_cndmask_b32_e64 v24, v24, v25, s3
	s_delay_alu instid0(VALU_DEP_3) | instskip(NEXT) | instid1(VALU_DEP_1)
	v_cmp_lt_f32_e64 s3, 0, v28
	v_cndmask_b32_e64 v24, v24, v26, s3
	s_delay_alu instid0(VALU_DEP_1) | instskip(NEXT) | instid1(VALU_DEP_1)
	v_mul_f32_e32 v25, 0x37800000, v24
	v_cndmask_b32_e32 v24, v24, v25, vcc_lo
	v_cmp_class_f32_e64 vcc_lo, v21, 0x260
	s_delay_alu instid0(VALU_DEP_2)
	v_cndmask_b32_e32 v21, v24, v21, vcc_lo
.LBB50_641:                             ;   in Loop: Header=BB50_418 Depth=1
	s_or_b32 exec_lo, exec_lo, s25
.LBB50_642:                             ;   in Loop: Header=BB50_418 Depth=1
	s_delay_alu instid0(SALU_CYCLE_1) | instskip(NEXT) | instid1(SALU_CYCLE_1)
	s_or_b32 exec_lo, exec_lo, s4
	s_mov_b32 s25, exec_lo
                                        ; implicit-def: $sgpr3
                                        ; implicit-def: $vgpr24
                                        ; implicit-def: $vgpr26
                                        ; implicit-def: $vgpr25
	v_cmpx_ngt_f32_e64 0x21000000, |v2|
	s_xor_b32 s25, exec_lo, s25
	s_cbranch_execz .LBB50_666
; %bb.643:                              ;   in Loop: Header=BB50_418 Depth=1
	v_and_b32_e32 v25, 0x7fffffff, v2
	s_mov_b32 s3, 0
	s_mov_b32 s26, exec_lo
	s_delay_alu instid0(VALU_DEP_1) | instskip(NEXT) | instid1(VALU_DEP_1)
	v_div_scale_f32 v24, null, v10, v10, v25
	v_rcp_f32_e32 v26, v24
	s_waitcnt_depctr 0xfff
	v_fma_f32 v27, -v24, v26, 1.0
	s_delay_alu instid0(VALU_DEP_1) | instskip(SKIP_1) | instid1(VALU_DEP_1)
	v_fmac_f32_e32 v26, v27, v26
	v_div_scale_f32 v27, vcc_lo, v25, v10, v25
	v_mul_f32_e32 v28, v27, v26
	s_delay_alu instid0(VALU_DEP_1) | instskip(NEXT) | instid1(VALU_DEP_1)
	v_fma_f32 v29, -v24, v28, v27
	v_fmac_f32_e32 v28, v29, v26
	s_delay_alu instid0(VALU_DEP_1) | instskip(NEXT) | instid1(VALU_DEP_1)
	v_fma_f32 v24, -v24, v28, v27
	v_div_fmas_f32 v24, v24, v26, v28
                                        ; implicit-def: $vgpr26
	s_delay_alu instid0(VALU_DEP_1) | instskip(NEXT) | instid1(VALU_DEP_1)
	v_div_fixup_f32 v24, v24, v10, |v2|
	v_cmpx_lt_f32_e32 0x3f244674, v24
	s_cbranch_execz .LBB50_665
; %bb.644:                              ;   in Loop: Header=BB50_418 Depth=1
	v_cmp_neq_f32_e64 s3, |v2|, 1.0
	v_cmp_ngt_f32_e64 s4, 0x30800000, |v3|
                                        ; implicit-def: $sgpr27
                                        ; implicit-def: $vgpr26
	s_delay_alu instid0(VALU_DEP_1) | instskip(NEXT) | instid1(SALU_CYCLE_1)
	s_or_b32 s3, s3, s4
	s_and_saveexec_b32 s4, s3
	s_delay_alu instid0(SALU_CYCLE_1)
	s_xor_b32 s4, exec_lo, s4
	s_cbranch_execz .LBB50_662
; %bb.645:                              ;   in Loop: Header=BB50_418 Depth=1
	v_mul_f32_e64 v26, 0x34000000, |v11|
                                        ; implicit-def: $sgpr27
	s_delay_alu instid0(VALU_DEP_1) | instskip(NEXT) | instid1(VALU_DEP_1)
	v_cmp_le_f32_e64 s3, v26, |v3|
                                        ; implicit-def: $vgpr26
	s_and_saveexec_b32 s28, s3
	s_delay_alu instid0(SALU_CYCLE_1)
	s_xor_b32 s28, exec_lo, s28
	s_cbranch_execz .LBB50_655
; %bb.646:                              ;   in Loop: Header=BB50_418 Depth=1
	v_mov_b32_e32 v26, v22
	s_mov_b32 s3, exec_lo
	v_cmpx_neq_f32_e32 0, v12
	s_cbranch_execz .LBB50_648
; %bb.647:                              ;   in Loop: Header=BB50_418 Depth=1
	v_mul_f32_e32 v26, v3, v3
	v_add_f32_e32 v12, v12, v23
	s_delay_alu instid0(VALU_DEP_1) | instskip(NEXT) | instid1(VALU_DEP_1)
	v_div_scale_f32 v23, null, v12, v12, v26
	v_rcp_f32_e32 v27, v23
	s_waitcnt_depctr 0xfff
	v_fma_f32 v28, -v23, v27, 1.0
	s_delay_alu instid0(VALU_DEP_1) | instskip(SKIP_1) | instid1(VALU_DEP_1)
	v_fmac_f32_e32 v27, v28, v27
	v_div_scale_f32 v28, vcc_lo, v26, v12, v26
	v_mul_f32_e32 v29, v28, v27
	s_delay_alu instid0(VALU_DEP_1) | instskip(NEXT) | instid1(VALU_DEP_1)
	v_fma_f32 v30, -v23, v29, v28
	v_fmac_f32_e32 v29, v30, v27
	s_delay_alu instid0(VALU_DEP_1) | instskip(NEXT) | instid1(VALU_DEP_1)
	v_fma_f32 v23, -v23, v29, v28
	v_div_fmas_f32 v23, v23, v27, v29
	s_delay_alu instid0(VALU_DEP_1)
	v_div_fixup_f32 v26, v23, v12, v26
.LBB50_648:                             ;   in Loop: Header=BB50_418 Depth=1
	s_or_b32 exec_lo, exec_lo, s3
	s_delay_alu instid0(SALU_CYCLE_1)
	s_mov_b32 s3, exec_lo
	v_cmpx_ngt_f32_e32 0, v11
	s_xor_b32 s3, exec_lo, s3
	s_cbranch_execz .LBB50_652
; %bb.649:                              ;   in Loop: Header=BB50_418 Depth=1
	s_mov_b32 s27, exec_lo
	v_cmpx_neq_f32_e32 0, v11
	s_cbranch_execz .LBB50_651
; %bb.650:                              ;   in Loop: Header=BB50_418 Depth=1
	v_mul_f32_e32 v12, v3, v3
	v_add_f32_e32 v11, v11, v13
	s_delay_alu instid0(VALU_DEP_1) | instskip(NEXT) | instid1(VALU_DEP_1)
	v_div_scale_f32 v13, null, v11, v11, v12
	v_rcp_f32_e32 v22, v13
	s_waitcnt_depctr 0xfff
	v_fma_f32 v23, -v13, v22, 1.0
	s_delay_alu instid0(VALU_DEP_1) | instskip(SKIP_1) | instid1(VALU_DEP_1)
	v_fmac_f32_e32 v22, v23, v22
	v_div_scale_f32 v23, vcc_lo, v12, v11, v12
	v_mul_f32_e32 v27, v23, v22
	s_delay_alu instid0(VALU_DEP_1) | instskip(NEXT) | instid1(VALU_DEP_1)
	v_fma_f32 v28, -v13, v27, v23
	v_fmac_f32_e32 v27, v28, v22
	s_delay_alu instid0(VALU_DEP_1) | instskip(NEXT) | instid1(VALU_DEP_1)
	v_fma_f32 v13, -v13, v27, v23
	v_div_fmas_f32 v13, v13, v22, v27
	s_delay_alu instid0(VALU_DEP_1)
	v_div_fixup_f32 v22, v13, v11, v12
.LBB50_651:                             ;   in Loop: Header=BB50_418 Depth=1
	s_or_b32 exec_lo, exec_lo, s27
                                        ; implicit-def: $vgpr13
                                        ; implicit-def: $vgpr11
.LBB50_652:                             ;   in Loop: Header=BB50_418 Depth=1
	s_and_not1_saveexec_b32 s3, s3
; %bb.653:                              ;   in Loop: Header=BB50_418 Depth=1
	v_sub_f32_e32 v22, v13, v11
; %bb.654:                              ;   in Loop: Header=BB50_418 Depth=1
	s_or_b32 exec_lo, exec_lo, s3
	s_delay_alu instid0(VALU_DEP_1) | instskip(SKIP_2) | instid1(VALU_DEP_2)
	v_mul_f32_e32 v11, 0.5, v22
	v_add_f32_e64 v10, |v2|, v10
	s_mov_b32 s27, -1
	v_fmac_f32_e32 v11, 0.5, v26
	s_delay_alu instid0(VALU_DEP_1) | instskip(NEXT) | instid1(VALU_DEP_1)
	v_mul_f32_e32 v10, v10, v11
	v_mul_f32_e32 v11, 0x4f800000, v10
	v_cmp_gt_f32_e32 vcc_lo, 0xf800000, v10
	s_delay_alu instid0(VALU_DEP_2) | instskip(NEXT) | instid1(VALU_DEP_1)
	v_cndmask_b32_e32 v10, v10, v11, vcc_lo
	v_sqrt_f32_e32 v11, v10
	s_waitcnt_depctr 0xfff
	v_add_nc_u32_e32 v12, -1, v11
	v_add_nc_u32_e32 v13, 1, v11
	s_delay_alu instid0(VALU_DEP_2) | instskip(NEXT) | instid1(VALU_DEP_2)
	v_fma_f32 v22, -v12, v11, v10
	v_fma_f32 v23, -v13, v11, v10
	s_delay_alu instid0(VALU_DEP_2) | instskip(NEXT) | instid1(VALU_DEP_1)
	v_cmp_ge_f32_e64 s3, 0, v22
	v_cndmask_b32_e64 v11, v11, v12, s3
	s_delay_alu instid0(VALU_DEP_3) | instskip(NEXT) | instid1(VALU_DEP_1)
	v_cmp_lt_f32_e64 s3, 0, v23
	v_cndmask_b32_e64 v11, v11, v13, s3
	s_delay_alu instid0(VALU_DEP_1) | instskip(NEXT) | instid1(VALU_DEP_1)
	v_mul_f32_e32 v12, 0x37800000, v11
	v_cndmask_b32_e32 v11, v11, v12, vcc_lo
	v_cmp_class_f32_e64 vcc_lo, v10, 0x260
                                        ; implicit-def: $vgpr12
	s_delay_alu instid0(VALU_DEP_2)
	v_cndmask_b32_e32 v26, v11, v10, vcc_lo
                                        ; implicit-def: $vgpr11
.LBB50_655:                             ;   in Loop: Header=BB50_418 Depth=1
	s_and_not1_saveexec_b32 s28, s28
	s_cbranch_execz .LBB50_661
; %bb.656:                              ;   in Loop: Header=BB50_418 Depth=1
	s_mov_b32 s30, exec_lo
                                        ; implicit-def: $vgpr26
                                        ; implicit-def: $sgpr29
	v_cmpx_ngt_f32_e64 |v2|, 1.0
	s_xor_b32 s30, exec_lo, s30
	s_cbranch_execz .LBB50_658
; %bb.657:                              ;   in Loop: Header=BB50_418 Depth=1
	v_sub_f32_e64 v10, 1.0, |v2|
	s_mov_b32 s29, -1
	s_delay_alu instid0(VALU_DEP_1) | instskip(NEXT) | instid1(VALU_DEP_1)
	v_mul_f32_e32 v10, v10, v12
	v_mul_f32_e32 v11, 0x4f800000, v10
	v_cmp_gt_f32_e32 vcc_lo, 0xf800000, v10
	s_delay_alu instid0(VALU_DEP_2) | instskip(NEXT) | instid1(VALU_DEP_1)
	v_cndmask_b32_e32 v10, v10, v11, vcc_lo
	v_sqrt_f32_e32 v11, v10
	s_waitcnt_depctr 0xfff
	v_add_nc_u32_e32 v12, -1, v11
	v_add_nc_u32_e32 v13, 1, v11
	s_delay_alu instid0(VALU_DEP_2) | instskip(NEXT) | instid1(VALU_DEP_2)
	v_fma_f32 v22, -v12, v11, v10
	v_fma_f32 v23, -v13, v11, v10
	s_delay_alu instid0(VALU_DEP_2) | instskip(NEXT) | instid1(VALU_DEP_1)
	v_cmp_ge_f32_e64 s3, 0, v22
	v_cndmask_b32_e64 v11, v11, v12, s3
	s_delay_alu instid0(VALU_DEP_3) | instskip(NEXT) | instid1(VALU_DEP_1)
	v_cmp_lt_f32_e64 s3, 0, v23
	v_cndmask_b32_e64 v11, v11, v13, s3
	s_delay_alu instid0(VALU_DEP_1) | instskip(NEXT) | instid1(VALU_DEP_1)
	v_mul_f32_e32 v12, 0x37800000, v11
	v_cndmask_b32_e32 v11, v11, v12, vcc_lo
	v_cmp_class_f32_e64 vcc_lo, v10, 0x260
                                        ; implicit-def: $vgpr12
	s_delay_alu instid0(VALU_DEP_2)
	v_cndmask_b32_e32 v26, v11, v10, vcc_lo
                                        ; implicit-def: $vgpr11
.LBB50_658:                             ;   in Loop: Header=BB50_418 Depth=1
	s_and_not1_saveexec_b32 s30, s30
	s_cbranch_execz .LBB50_660
; %bb.659:                              ;   in Loop: Header=BB50_418 Depth=1
	v_mul_f32_e32 v10, v12, v11
	s_or_b32 s29, s29, exec_lo
	s_delay_alu instid0(VALU_DEP_1) | instskip(SKIP_1) | instid1(VALU_DEP_2)
	v_mul_f32_e32 v11, 0x4f800000, v10
	v_cmp_gt_f32_e32 vcc_lo, 0xf800000, v10
	v_cndmask_b32_e32 v10, v10, v11, vcc_lo
	s_delay_alu instid0(VALU_DEP_1) | instskip(SKIP_3) | instid1(VALU_DEP_2)
	v_sqrt_f32_e32 v11, v10
	s_waitcnt_depctr 0xfff
	v_add_nc_u32_e32 v12, -1, v11
	v_add_nc_u32_e32 v13, 1, v11
	v_fma_f32 v22, -v12, v11, v10
	s_delay_alu instid0(VALU_DEP_2) | instskip(NEXT) | instid1(VALU_DEP_2)
	v_fma_f32 v23, -v13, v11, v10
	v_cmp_ge_f32_e64 s3, 0, v22
	s_delay_alu instid0(VALU_DEP_1) | instskip(NEXT) | instid1(VALU_DEP_3)
	v_cndmask_b32_e64 v11, v11, v12, s3
	v_cmp_lt_f32_e64 s3, 0, v23
	s_delay_alu instid0(VALU_DEP_1) | instskip(SKIP_1) | instid1(VALU_DEP_2)
	v_cndmask_b32_e64 v11, v11, v13, s3
	v_mul_f32_e64 v13, 0x57800000, |v3|
	v_mul_f32_e32 v12, 0x37800000, v11
	s_delay_alu instid0(VALU_DEP_1) | instskip(SKIP_1) | instid1(VALU_DEP_4)
	v_cndmask_b32_e32 v11, v11, v12, vcc_lo
	v_cmp_class_f32_e64 vcc_lo, v10, 0x260
	v_mul_f32_e64 v12, |v2|, v13
	s_delay_alu instid0(VALU_DEP_3) | instskip(NEXT) | instid1(VALU_DEP_1)
	v_cndmask_b32_e32 v10, v11, v10, vcc_lo
	v_div_scale_f32 v11, null, v10, v10, v12
	v_div_scale_f32 v23, vcc_lo, v12, v10, v12
	s_delay_alu instid0(VALU_DEP_2) | instskip(SKIP_2) | instid1(VALU_DEP_1)
	v_rcp_f32_e32 v13, v11
	s_waitcnt_depctr 0xfff
	v_fma_f32 v22, -v11, v13, 1.0
	v_fmac_f32_e32 v13, v22, v13
	s_delay_alu instid0(VALU_DEP_1) | instskip(NEXT) | instid1(VALU_DEP_1)
	v_mul_f32_e32 v22, v23, v13
	v_fma_f32 v25, -v11, v22, v23
	s_delay_alu instid0(VALU_DEP_1) | instskip(SKIP_1) | instid1(VALU_DEP_2)
	v_fmac_f32_e32 v22, v25, v13
	v_mul_f32_e64 v25, 0x57800000, |v2|
	v_fma_f32 v11, -v11, v22, v23
	s_delay_alu instid0(VALU_DEP_1) | instskip(NEXT) | instid1(VALU_DEP_1)
	v_div_fmas_f32 v11, v11, v13, v22
	v_div_fixup_f32 v26, v11, v10, v12
.LBB50_660:                             ;   in Loop: Header=BB50_418 Depth=1
	s_or_b32 exec_lo, exec_lo, s30
	s_delay_alu instid0(SALU_CYCLE_1) | instskip(SKIP_1) | instid1(SALU_CYCLE_1)
	s_and_not1_b32 s3, s27, exec_lo
	s_and_b32 s27, s29, exec_lo
	s_or_b32 s27, s3, s27
.LBB50_661:                             ;   in Loop: Header=BB50_418 Depth=1
	s_or_b32 exec_lo, exec_lo, s28
	s_delay_alu instid0(SALU_CYCLE_1)
	s_and_b32 s27, s27, exec_lo
                                        ; implicit-def: $vgpr10
.LBB50_662:                             ;   in Loop: Header=BB50_418 Depth=1
	s_and_not1_saveexec_b32 s28, s4
	s_cbranch_execz .LBB50_664
; %bb.663:                              ;   in Loop: Header=BB50_418 Depth=1
	v_add_f32_e32 v10, 1.0, v10
	v_mul_f32_e64 v11, 0x4f800000, |v3|
	v_cmp_gt_f32_e64 vcc_lo, 0xf800000, |v3|
	s_or_b32 s27, s27, exec_lo
	s_delay_alu instid0(VALU_DEP_3) | instskip(NEXT) | instid1(VALU_DEP_2)
	v_mul_f32_e32 v10, 0.5, v10
	v_cndmask_b32_e64 v11, |v3|, v11, vcc_lo
	s_delay_alu instid0(VALU_DEP_2) | instskip(SKIP_1) | instid1(VALU_DEP_1)
	v_mul_f32_e32 v12, 0x4f800000, v10
	v_cmp_gt_f32_e64 s3, 0xf800000, v10
	v_cndmask_b32_e64 v10, v10, v12, s3
	s_delay_alu instid0(VALU_DEP_4) | instskip(NEXT) | instid1(VALU_DEP_1)
	v_sqrt_f32_e32 v12, v11
	v_sqrt_f32_e32 v13, v10
	s_waitcnt_depctr 0xfff
	v_add_nc_u32_e32 v22, -1, v12
	v_add_nc_u32_e32 v25, 1, v12
	v_add_nc_u32_e32 v23, -1, v13
	s_delay_alu instid0(VALU_DEP_3) | instskip(SKIP_1) | instid1(VALU_DEP_4)
	v_fma_f32 v26, -v22, v12, v11
	v_add_nc_u32_e32 v27, 1, v13
	v_fma_f32 v29, -v25, v12, v11
	s_delay_alu instid0(VALU_DEP_4) | instskip(NEXT) | instid1(VALU_DEP_4)
	v_fma_f32 v28, -v23, v13, v10
	v_cmp_ge_f32_e64 s4, 0, v26
	s_delay_alu instid0(VALU_DEP_1) | instskip(NEXT) | instid1(VALU_DEP_3)
	v_cndmask_b32_e64 v12, v12, v22, s4
	v_cmp_ge_f32_e64 s4, 0, v28
	v_fma_f32 v22, -v27, v13, v10
	s_delay_alu instid0(VALU_DEP_2) | instskip(SKIP_1) | instid1(VALU_DEP_1)
	v_cndmask_b32_e64 v13, v13, v23, s4
	v_cmp_lt_f32_e64 s4, 0, v29
	v_cndmask_b32_e64 v12, v12, v25, s4
	s_delay_alu instid0(VALU_DEP_4) | instskip(NEXT) | instid1(VALU_DEP_2)
	v_cmp_lt_f32_e64 s4, 0, v22
	v_dual_mov_b32 v25, 1.0 :: v_dual_mul_f32 v22, 0x37800000, v12
	s_delay_alu instid0(VALU_DEP_2) | instskip(NEXT) | instid1(VALU_DEP_1)
	v_cndmask_b32_e64 v13, v13, v27, s4
	v_dual_cndmask_b32 v12, v12, v22 :: v_dual_mul_f32 v23, 0x37800000, v13
	v_cmp_class_f32_e64 vcc_lo, v11, 0x260
	s_delay_alu instid0(VALU_DEP_2) | instskip(NEXT) | instid1(VALU_DEP_3)
	v_cndmask_b32_e64 v13, v13, v23, s3
	v_cndmask_b32_e32 v11, v12, v11, vcc_lo
	v_cmp_class_f32_e64 vcc_lo, v10, 0x260
	s_delay_alu instid0(VALU_DEP_3) | instskip(NEXT) | instid1(VALU_DEP_1)
	v_cndmask_b32_e32 v10, v13, v10, vcc_lo
	v_mul_f32_e32 v26, v11, v10
.LBB50_664:                             ;   in Loop: Header=BB50_418 Depth=1
	s_or_b32 exec_lo, exec_lo, s28
	s_delay_alu instid0(SALU_CYCLE_1)
	s_and_b32 s3, s27, exec_lo
.LBB50_665:                             ;   in Loop: Header=BB50_418 Depth=1
	s_or_b32 exec_lo, exec_lo, s26
	s_delay_alu instid0(SALU_CYCLE_1)
	s_and_b32 s3, s3, exec_lo
                                        ; implicit-def: $vgpr10
.LBB50_666:                             ;   in Loop: Header=BB50_418 Depth=1
	s_and_not1_saveexec_b32 s4, s25
; %bb.667:                              ;   in Loop: Header=BB50_418 Depth=1
	v_mul_f32_e32 v26, 0x4b800000, v10
	v_mul_f32_e64 v25, 0x4b800000, |v2|
	s_or_b32 s3, s3, exec_lo
                                        ; implicit-def: $vgpr24
; %bb.668:                              ;   in Loop: Header=BB50_418 Depth=1
	s_or_b32 exec_lo, exec_lo, s4
	s_xor_b32 s3, s3, -1
                                        ; implicit-def: $vgpr10
	s_delay_alu instid0(SALU_CYCLE_1) | instskip(NEXT) | instid1(SALU_CYCLE_1)
	s_and_saveexec_b32 s4, s3
	s_xor_b32 s4, exec_lo, s4
	s_cbranch_execz .LBB50_674
; %bb.669:                              ;   in Loop: Header=BB50_418 Depth=1
                                        ; implicit-def: $vgpr10
	s_and_saveexec_b32 s3, s2
	s_delay_alu instid0(SALU_CYCLE_1)
	s_xor_b32 s3, exec_lo, s3
	s_cbranch_execz .LBB50_671
; %bb.670:                              ;   in Loop: Header=BB50_418 Depth=1
	v_fma_f32 v10, |v24|, -0.5, 0.5
	v_mul_f32_e32 v11, v24, v24
	v_cmp_gt_f32_e64 vcc_lo, |v24|, 0.5
	s_delay_alu instid0(VALU_DEP_2) | instskip(NEXT) | instid1(VALU_DEP_1)
	v_cndmask_b32_e32 v10, v11, v10, vcc_lo
	v_fmaak_f32 v11, s19, v10, 0x3c5fc5da
	v_sqrt_f32_e32 v12, v10
	s_delay_alu instid0(VALU_DEP_1) | instskip(NEXT) | instid1(VALU_DEP_1)
	v_fmaak_f32 v11, v10, v11, 0x3d034c3c
	v_fmaak_f32 v11, v10, v11, 0x3d3641b1
	s_delay_alu instid0(VALU_DEP_1) | instskip(NEXT) | instid1(VALU_DEP_1)
	v_fmaak_f32 v11, v10, v11, 0x3d999bc8
	v_fmaak_f32 v11, v10, v11, 0x3e2aaaac
	s_delay_alu instid0(VALU_DEP_1) | instskip(NEXT) | instid1(VALU_DEP_1)
	v_mul_f32_e32 v10, v10, v11
	v_fmac_f32_e32 v24, v24, v10
	s_delay_alu instid0(TRANS32_DEP_1) | instid1(VALU_DEP_1)
	v_dual_fmac_f32 v12, v12, v10 :: v_dual_sub_f32 v11, 0x3fc90fdb, v24
	s_delay_alu instid0(VALU_DEP_1) | instskip(NEXT) | instid1(VALU_DEP_1)
	v_add_f32_e32 v10, v12, v12
                                        ; implicit-def: $vgpr24
	v_cndmask_b32_e32 v10, v11, v10, vcc_lo
.LBB50_671:                             ;   in Loop: Header=BB50_418 Depth=1
	s_and_not1_saveexec_b32 s25, s3
	s_cbranch_execz .LBB50_673
; %bb.672:                              ;   in Loop: Header=BB50_418 Depth=1
	v_fma_f32 v10, |v24|, -0.5, 0.5
	v_mul_f32_e32 v11, v24, v24
	v_cmp_gt_f32_e64 vcc_lo, |v24|, 0.5
	v_cmp_lt_f32_e64 s3, 0, v24
	s_delay_alu instid0(VALU_DEP_3) | instskip(NEXT) | instid1(VALU_DEP_1)
	v_cndmask_b32_e32 v10, v11, v10, vcc_lo
	v_fmaak_f32 v11, s19, v10, 0x3c5fc5da
	v_sqrt_f32_e32 v12, v10
	s_delay_alu instid0(VALU_DEP_1) | instskip(NEXT) | instid1(VALU_DEP_1)
	v_fmaak_f32 v11, v10, v11, 0x3d034c3c
	v_fmaak_f32 v11, v10, v11, 0x3d3641b1
	s_delay_alu instid0(VALU_DEP_1) | instskip(NEXT) | instid1(VALU_DEP_1)
	v_fmaak_f32 v11, v10, v11, 0x3d999bc8
	v_fmaak_f32 v11, v10, v11, 0x3e2aaaac
	s_delay_alu instid0(VALU_DEP_1) | instskip(SKIP_3) | instid1(VALU_DEP_1)
	v_mul_f32_e32 v10, v10, v11
	s_waitcnt_depctr 0xfff
	v_fmac_f32_e32 v12, v12, v10
	v_fma_f32 v10, -v24, v10, -v24
	v_dual_add_f32 v11, v12, v12 :: v_dual_sub_f32 v10, 0x3fc90fdb, v10
	s_delay_alu instid0(VALU_DEP_1) | instskip(NEXT) | instid1(VALU_DEP_1)
	v_sub_f32_e32 v12, 0x40490fdb, v11
	v_cndmask_b32_e64 v11, v11, v12, s3
	s_delay_alu instid0(VALU_DEP_1)
	v_cndmask_b32_e32 v10, v10, v11, vcc_lo
.LBB50_673:                             ;   in Loop: Header=BB50_418 Depth=1
	s_or_b32 exec_lo, exec_lo, s25
                                        ; implicit-def: $vgpr26
                                        ; implicit-def: $vgpr25
.LBB50_674:                             ;   in Loop: Header=BB50_418 Depth=1
	s_and_not1_saveexec_b32 s4, s4
	s_cbranch_execz .LBB50_680
; %bb.675:                              ;   in Loop: Header=BB50_418 Depth=1
                                        ; implicit-def: $vgpr10
	s_and_saveexec_b32 s3, s2
	s_delay_alu instid0(SALU_CYCLE_1)
	s_xor_b32 s3, exec_lo, s3
	s_cbranch_execz .LBB50_677
; %bb.676:                              ;   in Loop: Header=BB50_418 Depth=1
	v_max_f32_e64 v10, |v26|, |v26|
	v_max_f32_e32 v11, v25, v25
	v_cmp_gt_f32_e64 vcc_lo, |v26|, v25
	v_cmp_neq_f32_e64 s2, 0, v26
	v_cmp_class_f32_e64 s25, v26, 0x204
	s_delay_alu instid0(VALU_DEP_4) | instskip(SKIP_1) | instid1(VALU_DEP_2)
	v_max_f32_e32 v12, v11, v10
	v_min_f32_e32 v10, v11, v10
	v_frexp_mant_f32_e32 v13, v12
	s_delay_alu instid0(VALU_DEP_1) | instskip(NEXT) | instid1(VALU_DEP_2)
	v_rcp_f32_e32 v11, v13
	v_frexp_mant_f32_e32 v13, v10
	v_frexp_exp_i32_f32_e32 v10, v10
	s_waitcnt_depctr 0xfff
	v_mul_f32_e32 v11, v13, v11
	v_frexp_exp_i32_f32_e32 v12, v12
	s_delay_alu instid0(VALU_DEP_1) | instskip(NEXT) | instid1(VALU_DEP_1)
	v_sub_nc_u32_e32 v10, v10, v12
	v_ldexp_f32 v10, v11, v10
	s_delay_alu instid0(VALU_DEP_1) | instskip(NEXT) | instid1(VALU_DEP_1)
	v_mul_f32_e32 v11, v10, v10
	v_fmaak_f32 v12, s20, v11, 0xbc7a590c
	s_delay_alu instid0(VALU_DEP_1) | instskip(NEXT) | instid1(VALU_DEP_1)
	v_fmaak_f32 v12, v11, v12, 0x3d29fb3f
	v_fmaak_f32 v12, v11, v12, 0xbd97d4d7
	s_delay_alu instid0(VALU_DEP_1) | instskip(NEXT) | instid1(VALU_DEP_1)
	v_fmaak_f32 v12, v11, v12, 0x3dd931b2
	;; [unrolled: 3-line block ×3, first 2 shown]
	v_fmaak_f32 v12, v11, v12, 0xbeaaaa62
	s_delay_alu instid0(VALU_DEP_1) | instskip(NEXT) | instid1(VALU_DEP_1)
	v_mul_f32_e32 v11, v11, v12
	v_fmac_f32_e32 v10, v10, v11
	s_delay_alu instid0(VALU_DEP_1) | instskip(NEXT) | instid1(VALU_DEP_1)
	v_sub_f32_e32 v11, 0x3fc90fdb, v10
	v_cndmask_b32_e32 v10, v10, v11, vcc_lo
	v_cmp_eq_f32_e32 vcc_lo, 0x7f800000, v25
	s_delay_alu instid0(VALU_DEP_2) | instskip(SKIP_2) | instid1(VALU_DEP_2)
	v_cndmask_b32_e64 v10, 0, v10, s2
	s_and_b32 s2, vcc_lo, s25
	v_cmp_o_f32_e32 vcc_lo, v25, v26
                                        ; implicit-def: $vgpr25
	v_cndmask_b32_e64 v10, v10, 0x3f490fdb, s2
	s_delay_alu instid0(VALU_DEP_1) | instskip(NEXT) | instid1(VALU_DEP_1)
	v_cndmask_b32_e32 v10, 0x7fc00000, v10, vcc_lo
	v_bfi_b32 v10, 0x7fffffff, v10, v26
                                        ; implicit-def: $vgpr26
.LBB50_677:                             ;   in Loop: Header=BB50_418 Depth=1
	s_and_not1_saveexec_b32 s25, s3
	s_cbranch_execz .LBB50_679
; %bb.678:                              ;   in Loop: Header=BB50_418 Depth=1
	v_max_f32_e64 v10, |v26|, |v26|
	v_max_f32_e32 v11, v25, v25
	v_cmp_gt_f32_e64 vcc_lo, |v26|, v25
	v_cmp_neq_f32_e64 s3, 0, v26
	v_cmp_eq_f32_e64 s2, 0x7f800000, v25
	v_cmp_class_f32_e64 s26, v26, 0x204
	v_max_f32_e32 v12, v11, v10
	v_min_f32_e32 v10, v11, v10
	s_delay_alu instid0(VALU_DEP_2) | instskip(SKIP_1) | instid1(VALU_DEP_2)
	v_frexp_mant_f32_e32 v13, v12
	v_frexp_exp_i32_f32_e32 v12, v12
	v_rcp_f32_e32 v11, v13
	s_delay_alu instid0(VALU_DEP_3) | instskip(SKIP_1) | instid1(VALU_DEP_2)
	v_frexp_exp_i32_f32_e32 v13, v10
	v_frexp_mant_f32_e32 v10, v10
	v_sub_nc_u32_e32 v12, v13, v12
	s_waitcnt_depctr 0xfff
	v_mul_f32_e32 v10, v10, v11
	s_delay_alu instid0(VALU_DEP_1) | instskip(NEXT) | instid1(VALU_DEP_1)
	v_ldexp_f32 v10, v10, v12
	v_mul_f32_e32 v11, v10, v10
	s_delay_alu instid0(VALU_DEP_1) | instskip(NEXT) | instid1(VALU_DEP_1)
	v_fmaak_f32 v12, s20, v11, 0xbc7a590c
	v_fmaak_f32 v12, v11, v12, 0x3d29fb3f
	s_delay_alu instid0(VALU_DEP_1) | instskip(NEXT) | instid1(VALU_DEP_1)
	v_fmaak_f32 v12, v11, v12, 0xbd97d4d7
	v_fmaak_f32 v12, v11, v12, 0x3dd931b2
	;; [unrolled: 3-line block ×3, first 2 shown]
	s_delay_alu instid0(VALU_DEP_1) | instskip(NEXT) | instid1(VALU_DEP_1)
	v_fmaak_f32 v12, v11, v12, 0xbeaaaa62
	v_mul_f32_e32 v11, v11, v12
	s_delay_alu instid0(VALU_DEP_1) | instskip(NEXT) | instid1(VALU_DEP_1)
	v_fmac_f32_e32 v10, v10, v11
	v_sub_f32_e32 v11, 0x3fc90fdb, v10
	s_delay_alu instid0(VALU_DEP_1) | instskip(SKIP_1) | instid1(VALU_DEP_2)
	v_cndmask_b32_e32 v10, v10, v11, vcc_lo
	v_cmp_lt_f32_e32 vcc_lo, 0, v25
	v_sub_f32_e32 v11, 0x40490fdb, v10
	s_delay_alu instid0(VALU_DEP_1) | instskip(SKIP_2) | instid1(VALU_DEP_2)
	v_cndmask_b32_e32 v10, v10, v11, vcc_lo
	v_cndmask_b32_e32 v11, 0x3f490fdb, v20, vcc_lo
	s_and_b32 vcc_lo, s2, s26
	v_cndmask_b32_e64 v10, 0x40490fdb, v10, s3
	s_delay_alu instid0(VALU_DEP_1) | instskip(SKIP_1) | instid1(VALU_DEP_2)
	v_cndmask_b32_e32 v10, v10, v11, vcc_lo
	v_cmp_o_f32_e64 vcc_lo, v26, -v25
	v_cndmask_b32_e32 v10, 0x7fc00000, v10, vcc_lo
	s_delay_alu instid0(VALU_DEP_1)
	v_bfi_b32 v10, 0x7fffffff, v10, v26
.LBB50_679:                             ;   in Loop: Header=BB50_418 Depth=1
	s_or_b32 exec_lo, exec_lo, s25
.LBB50_680:                             ;   in Loop: Header=BB50_418 Depth=1
	s_delay_alu instid0(SALU_CYCLE_1)
	s_or_b32 exec_lo, exec_lo, s4
	v_cndmask_b32_e64 v11, -v21, v21, s0
.LBB50_681:                             ;   in Loop: Header=BB50_418 Depth=1
	s_and_not1_saveexec_b32 s2, s24
	s_cbranch_execz .LBB50_683
; %bb.682:                              ;   in Loop: Header=BB50_418 Depth=1
	s_waitcnt vmcnt(0) lgkmcnt(0)
	v_dual_mov_b32 v11, s9 :: v_dual_mov_b32 v10, s8
	flat_load_b32 v10, v[10:11] glc dlc
	s_waitcnt vmcnt(0)
	v_xor_b32_e32 v11, 0x80000000, v3
	s_waitcnt lgkmcnt(0)
	v_sub_f32_e32 v10, v10, v2
	s_delay_alu instid0(VALU_DEP_1)
	v_add_f32_e32 v10, 0x3fc90fdb, v10
.LBB50_683:                             ;   in Loop: Header=BB50_418 Depth=1
	s_or_b32 exec_lo, exec_lo, s2
.LBB50_684:                             ;   in Loop: Header=BB50_418 Depth=1
	s_and_not1_saveexec_b32 s2, s23
	s_cbranch_execz .LBB50_686
; %bb.685:                              ;   in Loop: Header=BB50_418 Depth=1
	v_xor_b32_e32 v11, 0x80000000, v3
	s_waitcnt vmcnt(0) lgkmcnt(0)
	v_mov_b32_e32 v10, 0
.LBB50_686:                             ;   in Loop: Header=BB50_418 Depth=1
	s_or_b32 exec_lo, exec_lo, s2
                                        ; implicit-def: $vgpr21
                                        ; implicit-def: $vgpr13
                                        ; implicit-def: $vgpr12
.LBB50_687:                             ;   in Loop: Header=BB50_418 Depth=1
	s_and_not1_saveexec_b32 s4, s22
	s_cbranch_execz .LBB50_697
; %bb.688:                              ;   in Loop: Header=BB50_418 Depth=1
	v_cmp_lt_f32_e64 s2, |v2|, |v3|
                                        ; implicit-def: $vgpr11
                                        ; implicit-def: $vgpr10
	s_mov_b32 s3, exec_lo
	s_delay_alu instid0(VALU_DEP_1) | instskip(NEXT) | instid1(VALU_DEP_1)
	v_cndmask_b32_e64 v22, |v2|, |v3|, s2
	v_cmpx_nlt_f32_e32 0x7effffff, v22
	s_xor_b32 s22, exec_lo, s3
	s_cbranch_execz .LBB50_694
; %bb.689:                              ;   in Loop: Header=BB50_418 Depth=1
	v_cndmask_b32_e64 v23, |v3|, |v2|, s2
	v_cmp_nlt_f32_e32 vcc_lo, 0x5e000000, v22
                                        ; implicit-def: $vgpr11
                                        ; implicit-def: $vgpr10
	s_delay_alu instid0(VALU_DEP_2) | instskip(NEXT) | instid1(VALU_DEP_1)
	v_cmp_ngt_f32_e64 s3, 0x20000000, v23
	s_and_b32 s3, vcc_lo, s3
	s_delay_alu instid0(SALU_CYCLE_1) | instskip(NEXT) | instid1(SALU_CYCLE_1)
	s_and_saveexec_b32 s23, s3
	s_xor_b32 s23, exec_lo, s23
	s_cbranch_execz .LBB50_691
; %bb.690:                              ;   in Loop: Header=BB50_418 Depth=1
	s_waitcnt vmcnt(0) lgkmcnt(0)
	v_frexp_mant_f32_e32 v10, v12
	v_min_f32_e32 v11, v21, v13
	v_frexp_exp_i32_f32_e32 v12, v12
	s_delay_alu instid0(VALU_DEP_3) | instskip(NEXT) | instid1(VALU_DEP_2)
	v_rcp_f32_e32 v10, v10
	v_frexp_mant_f32_e32 v21, v11
	v_mul_f32_e32 v13, v23, v23
	v_frexp_exp_i32_f32_e32 v11, v11
	s_delay_alu instid0(VALU_DEP_1) | instskip(SKIP_3) | instid1(VALU_DEP_2)
	v_sub_nc_u32_e32 v11, v11, v12
	s_waitcnt_depctr 0xfff
	v_mul_f32_e32 v10, v21, v10
	v_fmac_f32_e32 v13, v22, v22
	v_ldexp_f32 v10, v10, v11
	s_delay_alu instid0(VALU_DEP_2) | instskip(SKIP_1) | instid1(VALU_DEP_1)
	v_cmp_gt_f32_e32 vcc_lo, 0x800000, v13
	v_cndmask_b32_e64 v12, 1.0, 0x4f800000, vcc_lo
	v_dual_mul_f32 v11, v13, v12 :: v_dual_mul_f32 v12, v10, v10
	s_delay_alu instid0(VALU_DEP_1) | instskip(NEXT) | instid1(VALU_DEP_1)
	v_fmaak_f32 v13, s20, v12, 0xbc7a590c
	v_fmaak_f32 v13, v12, v13, 0x3d29fb3f
	s_delay_alu instid0(VALU_DEP_1) | instskip(NEXT) | instid1(VALU_DEP_1)
	v_fmaak_f32 v13, v12, v13, 0xbd97d4d7
	v_fmaak_f32 v13, v12, v13, 0x3dd931b2
	;; [unrolled: 3-line block ×3, first 2 shown]
	s_delay_alu instid0(VALU_DEP_1) | instskip(NEXT) | instid1(VALU_DEP_1)
	v_fmaak_f32 v13, v12, v13, 0xbeaaaa62
	v_mul_f32_e32 v12, v12, v13
	v_log_f32_e32 v11, v11
                                        ; implicit-def: $vgpr13
	s_delay_alu instid0(VALU_DEP_1) | instskip(SKIP_3) | instid1(VALU_DEP_2)
	v_fmac_f32_e32 v10, v10, v12
                                        ; implicit-def: $vgpr12
	s_waitcnt_depctr 0xfff
	v_mul_f32_e32 v21, 0x3f317217, v11
	v_cmp_gt_f32_e64 s3, 0x7f800000, |v11|
	v_fma_f32 v22, 0x3f317217, v11, -v21
	s_delay_alu instid0(VALU_DEP_1) | instskip(NEXT) | instid1(VALU_DEP_1)
	v_fmac_f32_e32 v22, 0x3377d1cf, v11
	v_add_f32_e32 v21, v21, v22
	s_delay_alu instid0(VALU_DEP_1) | instskip(SKIP_1) | instid1(VALU_DEP_1)
	v_cndmask_b32_e64 v11, v11, v21, s3
	v_cndmask_b32_e64 v21, 0, 0x41b17218, vcc_lo
	v_sub_f32_e32 v11, v11, v21
                                        ; implicit-def: $vgpr21
	s_delay_alu instid0(VALU_DEP_1)
	v_mul_f32_e32 v11, 0.5, v11
.LBB50_691:                             ;   in Loop: Header=BB50_418 Depth=1
	s_and_not1_saveexec_b32 s3, s23
	s_cbranch_execz .LBB50_693
; %bb.692:                              ;   in Loop: Header=BB50_418 Depth=1
	s_waitcnt vmcnt(0) lgkmcnt(0)
	v_cvt_f64_f32_e32 v[10:11], v12
	v_cmp_neq_f32_e32 vcc_lo, 0x7f800000, v12
	v_min_f32_e32 v13, v21, v13
	v_frexp_exp_i32_f32_e32 v21, v12
	s_delay_alu instid0(VALU_DEP_2) | instskip(SKIP_1) | instid1(VALU_DEP_2)
	v_frexp_exp_i32_f32_e32 v23, v13
	v_frexp_mant_f32_e32 v13, v13
	v_sub_nc_u32_e32 v21, v23, v21
	v_frexp_exp_i32_f64_e32 v10, v[10:11]
	s_delay_alu instid0(VALU_DEP_1) | instskip(NEXT) | instid1(VALU_DEP_1)
	v_sub_nc_u32_e32 v11, 0, v10
	v_ldexp_f32 v22, |v3|, v11
	v_ldexp_f32 v11, |v2|, v11
	s_delay_alu instid0(VALU_DEP_2) | instskip(NEXT) | instid1(VALU_DEP_1)
	v_mul_f32_e32 v22, v22, v22
	v_fmac_f32_e32 v22, v11, v11
	v_frexp_mant_f32_e32 v11, v12
	s_delay_alu instid0(VALU_DEP_2) | instskip(NEXT) | instid1(VALU_DEP_1)
	v_sqrt_f32_e32 v22, v22
	v_rcp_f32_e32 v11, v11
	s_waitcnt_depctr 0xfff
	v_ldexp_f32 v10, v22, v10
	s_delay_alu instid0(VALU_DEP_1) | instskip(NEXT) | instid1(VALU_DEP_1)
	v_dual_mul_f32 v11, v13, v11 :: v_dual_cndmask_b32 v12, 0x7f800000, v10
	v_ldexp_f32 v10, v11, v21
	s_delay_alu instid0(VALU_DEP_2) | instskip(NEXT) | instid1(VALU_DEP_2)
	v_cmp_gt_f32_e32 vcc_lo, 0x800000, v12
	v_mul_f32_e32 v13, v10, v10
	v_cndmask_b32_e64 v11, 1.0, 0x4f800000, vcc_lo
	s_delay_alu instid0(VALU_DEP_1) | instskip(NEXT) | instid1(VALU_DEP_1)
	v_dual_mul_f32 v11, v12, v11 :: v_dual_fmaak_f32 v12, s20, v13, 0xbc7a590c
	v_log_f32_e32 v11, v11
	s_waitcnt_depctr 0xfff
	v_mul_f32_e32 v21, 0x3f317217, v11
	s_delay_alu instid0(VALU_DEP_1) | instskip(NEXT) | instid1(VALU_DEP_1)
	v_fma_f32 v22, 0x3f317217, v11, -v21
	v_fmac_f32_e32 v22, 0x3377d1cf, v11
	s_delay_alu instid0(VALU_DEP_1) | instskip(SKIP_2) | instid1(VALU_DEP_3)
	v_add_f32_e32 v21, v21, v22
	v_cndmask_b32_e64 v22, 0, 0x41b17218, vcc_lo
	v_cmp_gt_f32_e64 vcc_lo, 0x7f800000, |v11|
	v_dual_fmaak_f32 v12, v13, v12, 0x3d29fb3f :: v_dual_cndmask_b32 v11, v11, v21
	s_delay_alu instid0(VALU_DEP_1) | instskip(NEXT) | instid1(VALU_DEP_1)
	v_dual_fmaak_f32 v12, v13, v12, 0xbd97d4d7 :: v_dual_sub_f32 v11, v11, v22
	v_fmaak_f32 v12, v13, v12, 0x3dd931b2
	s_delay_alu instid0(VALU_DEP_1) | instskip(NEXT) | instid1(VALU_DEP_1)
	v_fmaak_f32 v12, v13, v12, 0xbe1160e6
	v_fmaak_f32 v12, v13, v12, 0x3e4cb8bf
	s_delay_alu instid0(VALU_DEP_1) | instskip(NEXT) | instid1(VALU_DEP_1)
	v_fmaak_f32 v12, v13, v12, 0xbeaaaa62
	v_mul_f32_e32 v12, v13, v12
	s_delay_alu instid0(VALU_DEP_1)
	v_fmac_f32_e32 v10, v10, v12
.LBB50_693:                             ;   in Loop: Header=BB50_418 Depth=1
	s_or_b32 exec_lo, exec_lo, s3
                                        ; implicit-def: $vgpr21
                                        ; implicit-def: $vgpr13
                                        ; implicit-def: $vgpr12
.LBB50_694:                             ;   in Loop: Header=BB50_418 Depth=1
	s_and_not1_saveexec_b32 s22, s22
	s_cbranch_execz .LBB50_696
; %bb.695:                              ;   in Loop: Header=BB50_418 Depth=1
	s_waitcnt vmcnt(0) lgkmcnt(0)
	v_div_scale_f32 v10, null, 0x402df854, 0x402df854, v2
	v_div_scale_f32 v11, null, 0x402df854, 0x402df854, v3
	v_div_scale_f32 v26, vcc_lo, v2, 0x402df854, v2
	s_delay_alu instid0(VALU_DEP_3) | instskip(NEXT) | instid1(VALU_DEP_2)
	v_rcp_f32_e32 v22, v10
	v_rcp_f32_e32 v23, v11
	v_min_f32_e32 v13, v21, v13
	s_waitcnt_depctr 0xfff
	v_fma_f32 v24, -v10, v22, 1.0
	v_fma_f32 v25, -v11, v23, 1.0
	s_delay_alu instid0(VALU_DEP_1) | instskip(SKIP_1) | instid1(VALU_DEP_2)
	v_dual_fmac_f32 v22, v24, v22 :: v_dual_fmac_f32 v23, v25, v23
	v_div_scale_f32 v24, s3, v3, 0x402df854, v3
	v_mul_f32_e32 v25, v26, v22
	s_delay_alu instid0(VALU_DEP_2) | instskip(NEXT) | instid1(VALU_DEP_2)
	v_mul_f32_e32 v27, v24, v23
	v_fma_f32 v28, -v10, v25, v26
	s_delay_alu instid0(VALU_DEP_2) | instskip(NEXT) | instid1(VALU_DEP_2)
	v_fma_f32 v29, -v11, v27, v24
	v_fmac_f32_e32 v25, v28, v22
	s_delay_alu instid0(VALU_DEP_2) | instskip(NEXT) | instid1(VALU_DEP_2)
	v_fmac_f32_e32 v27, v29, v23
	v_fma_f32 v10, -v10, v25, v26
	s_delay_alu instid0(VALU_DEP_2) | instskip(NEXT) | instid1(VALU_DEP_2)
	v_fma_f32 v11, -v11, v27, v24
	v_div_fmas_f32 v10, v10, v22, v25
	s_mov_b32 vcc_lo, s3
	s_delay_alu instid0(VALU_DEP_2) | instskip(NEXT) | instid1(VALU_DEP_2)
	v_div_fmas_f32 v11, v11, v23, v27
	v_div_fixup_f32 v22, v10, 0x402df854, v2
	s_delay_alu instid0(VALU_DEP_2) | instskip(NEXT) | instid1(VALU_DEP_1)
	v_div_fixup_f32 v23, v11, 0x402df854, v3
	v_max_f32_e64 v24, |v22|, |v23|
	s_delay_alu instid0(VALU_DEP_1) | instskip(SKIP_1) | instid1(VALU_DEP_2)
	v_cvt_f64_f32_e32 v[10:11], v24
	v_cmp_neq_f32_e32 vcc_lo, 0x7f800000, v24
	v_frexp_exp_i32_f64_e32 v10, v[10:11]
	s_delay_alu instid0(VALU_DEP_1) | instskip(NEXT) | instid1(VALU_DEP_1)
	v_sub_nc_u32_e32 v11, 0, v10
	v_ldexp_f32 v23, |v23|, v11
	v_ldexp_f32 v11, |v22|, v11
	s_delay_alu instid0(VALU_DEP_2) | instskip(NEXT) | instid1(VALU_DEP_1)
	v_mul_f32_e32 v22, v23, v23
	v_fmac_f32_e32 v22, v11, v11
	s_delay_alu instid0(VALU_DEP_1) | instskip(SKIP_2) | instid1(VALU_DEP_2)
	v_sqrt_f32_e32 v11, v22
	v_frexp_mant_f32_e32 v22, v12
	v_frexp_exp_i32_f32_e32 v12, v12
	v_rcp_f32_e32 v21, v22
	s_waitcnt_depctr 0xfff
	v_ldexp_f32 v10, v11, v10
	v_frexp_exp_i32_f32_e32 v11, v13
	v_frexp_mant_f32_e32 v13, v13
	s_delay_alu instid0(VALU_DEP_3) | instskip(NEXT) | instid1(VALU_DEP_3)
	v_cndmask_b32_e32 v22, 0x7f800000, v10, vcc_lo
	v_sub_nc_u32_e32 v10, v11, v12
	s_delay_alu instid0(VALU_DEP_3) | instskip(NEXT) | instid1(VALU_DEP_3)
	v_mul_f32_e32 v11, v13, v21
	v_cmp_gt_f32_e32 vcc_lo, 0x800000, v22
	s_delay_alu instid0(VALU_DEP_2) | instskip(SKIP_1) | instid1(VALU_DEP_1)
	v_ldexp_f32 v10, v11, v10
	v_cndmask_b32_e64 v12, 1.0, 0x4f800000, vcc_lo
	v_mul_f32_e32 v11, v22, v12
	s_delay_alu instid0(VALU_DEP_3) | instskip(NEXT) | instid1(VALU_DEP_1)
	v_mul_f32_e32 v12, v10, v10
	v_fmaak_f32 v13, s20, v12, 0xbc7a590c
	s_delay_alu instid0(VALU_DEP_1) | instskip(NEXT) | instid1(VALU_DEP_1)
	v_fmaak_f32 v13, v12, v13, 0x3d29fb3f
	v_fmaak_f32 v13, v12, v13, 0xbd97d4d7
	s_delay_alu instid0(VALU_DEP_1) | instskip(NEXT) | instid1(VALU_DEP_1)
	v_fmaak_f32 v13, v12, v13, 0x3dd931b2
	;; [unrolled: 3-line block ×3, first 2 shown]
	v_fmaak_f32 v13, v12, v13, 0xbeaaaa62
	s_delay_alu instid0(VALU_DEP_1) | instskip(SKIP_3) | instid1(VALU_DEP_1)
	v_mul_f32_e32 v12, v12, v13
	v_log_f32_e32 v11, v11
	s_waitcnt_depctr 0xfff
	v_dual_fmac_f32 v10, v10, v12 :: v_dual_mul_f32 v21, 0x3f317217, v11
	v_fma_f32 v22, 0x3f317217, v11, -v21
	s_delay_alu instid0(VALU_DEP_1) | instskip(NEXT) | instid1(VALU_DEP_1)
	v_fmac_f32_e32 v22, 0x3377d1cf, v11
	v_add_f32_e32 v21, v21, v22
	v_cndmask_b32_e64 v22, 0, 0x41b17218, vcc_lo
	v_cmp_gt_f32_e64 vcc_lo, 0x7f800000, |v11|
	s_delay_alu instid0(VALU_DEP_3) | instskip(NEXT) | instid1(VALU_DEP_1)
	v_cndmask_b32_e32 v11, v11, v21, vcc_lo
	v_sub_f32_e32 v11, v11, v22
	s_delay_alu instid0(VALU_DEP_1)
	v_add_f32_e32 v11, 1.0, v11
.LBB50_696:                             ;   in Loop: Header=BB50_418 Depth=1
	s_or_b32 exec_lo, exec_lo, s22
	s_waitcnt vmcnt(0) lgkmcnt(0)
	v_sub_f32_e32 v12, 0x3fc90fdb, v10
	v_cmp_gt_f32_e32 vcc_lo, 0, v2
	v_cndmask_b32_e64 v13, 0, 0x40490fdb, s1
	v_cmp_class_f32_e64 s1, v2, 0x204
	v_add_f32_e32 v11, 0x3f317218, v11
	v_cndmask_b32_e64 v10, v10, v12, s2
	v_cmp_class_f32_e64 s2, v3, 0x204
	s_delay_alu instid0(VALU_DEP_3) | instskip(NEXT) | instid1(VALU_DEP_3)
	v_cndmask_b32_e64 v11, -v11, v11, s0
	v_sub_f32_e32 v12, 0x40490fdb, v10
	s_delay_alu instid0(VALU_DEP_1) | instskip(SKIP_2) | instid1(VALU_DEP_3)
	v_cndmask_b32_e32 v10, v10, v12, vcc_lo
	v_cndmask_b32_e32 v12, 0x3f490fdb, v20, vcc_lo
	v_cmp_eq_f32_e32 vcc_lo, 0, v3
	v_cndmask_b32_e32 v10, v10, v13, vcc_lo
	s_and_b32 vcc_lo, s1, s2
	s_delay_alu instid0(VALU_DEP_1) | instskip(SKIP_1) | instid1(VALU_DEP_2)
	v_cndmask_b32_e32 v10, v10, v12, vcc_lo
	v_cmp_o_f32_e32 vcc_lo, v2, v3
	v_cndmask_b32_e64 v10, 0x7fc00000, |v10|, vcc_lo
.LBB50_697:                             ;   in Loop: Header=BB50_418 Depth=1
	s_or_b32 exec_lo, exec_lo, s4
.LBB50_698:                             ;   in Loop: Header=BB50_418 Depth=1
	s_and_not1_saveexec_b32 s0, s21
	s_cbranch_execz .LBB50_712
; %bb.699:                              ;   in Loop: Header=BB50_418 Depth=1
	v_cmp_neq_f32_e64 s1, 0x7f800000, |v2|
                                        ; implicit-def: $vgpr11
	s_delay_alu instid0(VALU_DEP_1) | instskip(NEXT) | instid1(SALU_CYCLE_1)
	s_and_saveexec_b32 s2, s1
	s_xor_b32 s1, exec_lo, s2
	s_cbranch_execz .LBB50_709
; %bb.700:                              ;   in Loop: Header=BB50_418 Depth=1
	v_cmp_neq_f32_e64 s2, 0x7f800000, |v3|
                                        ; implicit-def: $vgpr11
	s_delay_alu instid0(VALU_DEP_1) | instskip(NEXT) | instid1(SALU_CYCLE_1)
	s_and_saveexec_b32 s3, s2
	s_xor_b32 s2, exec_lo, s3
	s_cbranch_execz .LBB50_706
; %bb.701:                              ;   in Loop: Header=BB50_418 Depth=1
	s_mov_b32 s3, exec_lo
                                        ; implicit-def: $vgpr11
	v_cmpx_neq_f32_e32 0, v2
	s_xor_b32 s3, exec_lo, s3
	s_cbranch_execz .LBB50_703
; %bb.702:                              ;   in Loop: Header=BB50_418 Depth=1
	s_waitcnt vmcnt(0) lgkmcnt(0)
	v_add_f32_e32 v10, 0, v3
	s_delay_alu instid0(VALU_DEP_1)
	v_add_f32_e32 v11, v2, v10
.LBB50_703:                             ;   in Loop: Header=BB50_418 Depth=1
	s_or_saveexec_b32 s3, s3
	s_waitcnt vmcnt(0) lgkmcnt(0)
	s_delay_alu instid0(VALU_DEP_1)
	v_mov_b32_e32 v10, v11
	s_xor_b32 exec_lo, exec_lo, s3
	s_cbranch_execz .LBB50_705
; %bb.704:                              ;   in Loop: Header=BB50_418 Depth=1
	v_dual_mov_b32 v11, s9 :: v_dual_mov_b32 v10, s8
	flat_load_b32 v10, v[10:11] glc dlc
	s_waitcnt vmcnt(0) lgkmcnt(0)
	v_dual_add_f32 v11, v3, v3 :: v_dual_add_f32 v10, 0x3fc90fdb, v10
.LBB50_705:                             ;   in Loop: Header=BB50_418 Depth=1
	s_or_b32 exec_lo, exec_lo, s3
.LBB50_706:                             ;   in Loop: Header=BB50_418 Depth=1
	s_and_not1_saveexec_b32 s2, s2
	s_cbranch_execz .LBB50_708
; %bb.707:                              ;   in Loop: Header=BB50_418 Depth=1
	s_waitcnt vmcnt(0) lgkmcnt(0)
	v_add_f32_e32 v10, v2, v2
	v_xor_b32_e32 v11, 0x80000000, v3
.LBB50_708:                             ;   in Loop: Header=BB50_418 Depth=1
	s_or_b32 exec_lo, exec_lo, s2
.LBB50_709:                             ;   in Loop: Header=BB50_418 Depth=1
	s_and_not1_saveexec_b32 s1, s1
	s_cbranch_execz .LBB50_711
; %bb.710:                              ;   in Loop: Header=BB50_418 Depth=1
	s_waitcnt vmcnt(0) lgkmcnt(0)
	v_dual_add_f32 v10, v3, v3 :: v_dual_mov_b32 v11, 0xff800000
.LBB50_711:                             ;   in Loop: Header=BB50_418 Depth=1
	s_or_b32 exec_lo, exec_lo, s1
.LBB50_712:                             ;   in Loop: Header=BB50_418 Depth=1
	s_delay_alu instid0(SALU_CYCLE_1) | instskip(SKIP_3) | instid1(VALU_DEP_2)
	s_or_b32 exec_lo, exec_lo, s0
	v_cmp_o_f32_e32 vcc_lo, v4, v4
	v_cmp_o_f32_e64 s0, v5, v5
	v_dual_mov_b32 v2, s8 :: v_dual_mov_b32 v3, s9
	s_and_b32 s0, vcc_lo, s0
	flat_store_b32 v[2:3], v18 dlc
	s_waitcnt_vscnt null, 0x0
	s_and_saveexec_b32 s1, s0
	s_delay_alu instid0(SALU_CYCLE_1)
	s_xor_b32 s21, exec_lo, s1
	s_cbranch_execz .LBB50_796
; %bb.713:                              ;   in Loop: Header=BB50_418 Depth=1
	v_max_f32_e64 v21, |v5|, |v5|
	v_max_f32_e64 v3, |v4|, |v4|
	v_cmp_gt_i32_e64 s1, 0, v4
	v_cmp_lt_i32_e64 s2, -1, v4
	v_cmp_gt_i32_e64 s0, 0, v5
	s_mov_b32 s3, exec_lo
	v_max_f32_e32 v2, v3, v21
	s_delay_alu instid0(VALU_DEP_1)
	v_cmpx_nlt_f32_e32 0x4b000000, v2
	s_xor_b32 s22, exec_lo, s3
	s_cbranch_execz .LBB50_785
; %bb.714:                              ;   in Loop: Header=BB50_418 Depth=1
	v_cmp_neq_f32_e32 vcc_lo, 1.0, v4
	v_cmp_neq_f32_e64 s3, 0, v5
	s_delay_alu instid0(VALU_DEP_1) | instskip(NEXT) | instid1(SALU_CYCLE_1)
	s_or_b32 s3, vcc_lo, s3
	s_and_saveexec_b32 s4, s3
	s_delay_alu instid0(SALU_CYCLE_1)
	s_xor_b32 s23, exec_lo, s4
	s_cbranch_execz .LBB50_782
; %bb.715:                              ;   in Loop: Header=BB50_418 Depth=1
	v_dual_mov_b32 v2, s10 :: v_dual_mov_b32 v3, s11
	v_cmp_ngt_f32_e64 s3, 0x395db3d7, |v4|
	v_cmp_ngt_f32_e64 s4, 0x395db3d7, |v5|
	flat_store_b32 v[2:3], v19 dlc
	s_waitcnt_vscnt null, 0x0
	flat_load_b32 v2, v[2:3] glc dlc
	s_waitcnt vmcnt(0)
	s_or_b32 s3, s3, s4
	s_waitcnt lgkmcnt(0)
	v_add_f32_e32 v12, 1.0, v2
	v_dual_mov_b32 v2, s16 :: v_dual_mov_b32 v3, s17
	flat_store_b32 v[2:3], v12 dlc
	s_waitcnt_vscnt null, 0x0
	flat_load_b32 v2, v[2:3] glc dlc
	s_waitcnt vmcnt(0)
	s_and_saveexec_b32 s4, s3
	s_delay_alu instid0(SALU_CYCLE_1)
	s_xor_b32 s24, exec_lo, s4
	s_cbranch_execz .LBB50_779
; %bb.716:                              ;   in Loop: Header=BB50_418 Depth=1
	v_add_f32_e64 v3, |v4|, 1.0
	s_waitcnt lgkmcnt(0)
	v_add_f32_e64 v2, |v4|, -1.0
	s_mov_b32 s3, exec_lo
	s_delay_alu instid0(VALU_DEP_2) | instskip(NEXT) | instid1(VALU_DEP_2)
	v_max_f32_e64 v23, v21, |v3|
	v_max_f32_e64 v24, v21, |v2|
	s_delay_alu instid0(VALU_DEP_2) | instskip(NEXT) | instid1(VALU_DEP_2)
	v_cvt_f64_f32_e32 v[12:13], v23
	v_cvt_f64_f32_e32 v[21:22], v24
	v_cmp_neq_f32_e32 vcc_lo, 0x7f800000, v23
	s_delay_alu instid0(VALU_DEP_3) | instskip(NEXT) | instid1(VALU_DEP_3)
	v_frexp_exp_i32_f64_e32 v12, v[12:13]
	v_frexp_exp_i32_f64_e32 v13, v[21:22]
	s_delay_alu instid0(VALU_DEP_2) | instskip(NEXT) | instid1(VALU_DEP_2)
	v_sub_nc_u32_e32 v21, 0, v12
	v_sub_nc_u32_e32 v22, 0, v13
	s_delay_alu instid0(VALU_DEP_2) | instskip(NEXT) | instid1(VALU_DEP_2)
	v_ldexp_f32 v25, |v3|, v21
	v_ldexp_f32 v26, |v2|, v22
	;; [unrolled: 1-line block ×4, first 2 shown]
	s_delay_alu instid0(VALU_DEP_3) | instskip(NEXT) | instid1(VALU_DEP_1)
	v_dual_mul_f32 v25, v25, v25 :: v_dual_mul_f32 v26, v26, v26
	v_dual_fmac_f32 v25, v21, v21 :: v_dual_fmac_f32 v26, v22, v22
	s_delay_alu instid0(VALU_DEP_1) | instskip(NEXT) | instid1(VALU_DEP_1)
	v_sqrt_f32_e32 v21, v25
	v_sqrt_f32_e32 v22, v26
	s_waitcnt_depctr 0xfff
	v_ldexp_f32 v12, v21, v12
	v_ldexp_f32 v13, v22, v13
	s_delay_alu instid0(VALU_DEP_2) | instskip(SKIP_1) | instid1(VALU_DEP_3)
	v_cndmask_b32_e32 v23, 0x7f800000, v12, vcc_lo
	v_cmp_neq_f32_e32 vcc_lo, 0x7f800000, v24
	v_cndmask_b32_e32 v21, 0x7f800000, v13, vcc_lo
                                        ; implicit-def: $vgpr13
	s_delay_alu instid0(VALU_DEP_1) | instskip(NEXT) | instid1(VALU_DEP_1)
	v_add_f32_e32 v12, v23, v21
	v_mul_f32_e32 v12, 0.5, v12
	s_delay_alu instid0(VALU_DEP_1) | instskip(SKIP_1) | instid1(VALU_DEP_1)
	v_cmp_ngt_f32_e32 vcc_lo, 1.0, v12
	v_cndmask_b32_e32 v12, 1.0, v12, vcc_lo
	v_cmpx_ngt_f32_e32 0x41200000, v12
	s_xor_b32 s4, exec_lo, s3
	s_cbranch_execz .LBB50_718
; %bb.717:                              ;   in Loop: Header=BB50_418 Depth=1
	v_fma_f32 v13, v12, v12, -1.0
	s_delay_alu instid0(VALU_DEP_1) | instskip(SKIP_1) | instid1(VALU_DEP_2)
	v_mul_f32_e32 v22, 0x4f800000, v13
	v_cmp_gt_f32_e32 vcc_lo, 0xf800000, v13
	v_cndmask_b32_e32 v13, v13, v22, vcc_lo
	s_delay_alu instid0(VALU_DEP_1) | instskip(SKIP_3) | instid1(VALU_DEP_2)
	v_sqrt_f32_e32 v22, v13
	s_waitcnt_depctr 0xfff
	v_add_nc_u32_e32 v24, -1, v22
	v_add_nc_u32_e32 v25, 1, v22
	v_fma_f32 v26, -v24, v22, v13
	s_delay_alu instid0(VALU_DEP_2) | instskip(NEXT) | instid1(VALU_DEP_2)
	v_fma_f32 v27, -v25, v22, v13
	v_cmp_ge_f32_e64 s3, 0, v26
	s_delay_alu instid0(VALU_DEP_1) | instskip(NEXT) | instid1(VALU_DEP_3)
	v_cndmask_b32_e64 v22, v22, v24, s3
	v_cmp_lt_f32_e64 s3, 0, v27
	s_delay_alu instid0(VALU_DEP_1) | instskip(NEXT) | instid1(VALU_DEP_1)
	v_cndmask_b32_e64 v22, v22, v25, s3
	v_mul_f32_e32 v24, 0x37800000, v22
	s_delay_alu instid0(VALU_DEP_1) | instskip(SKIP_1) | instid1(VALU_DEP_2)
	v_cndmask_b32_e32 v22, v22, v24, vcc_lo
	v_cmp_class_f32_e64 vcc_lo, v13, 0x260
	v_cndmask_b32_e32 v13, v22, v13, vcc_lo
	s_delay_alu instid0(VALU_DEP_1) | instskip(NEXT) | instid1(VALU_DEP_1)
	v_add_f32_e32 v13, v12, v13
	v_cmp_gt_f32_e32 vcc_lo, 0x800000, v13
	s_delay_alu instid0(VALU_DEP_4) | instskip(NEXT) | instid1(VALU_DEP_1)
	v_cndmask_b32_e64 v22, 1.0, 0x4f800000, vcc_lo
	v_mul_f32_e32 v13, v13, v22
	s_delay_alu instid0(VALU_DEP_1) | instskip(SKIP_3) | instid1(VALU_DEP_2)
	v_log_f32_e32 v13, v13
	s_waitcnt_depctr 0xfff
	v_mul_f32_e32 v22, 0x3f317217, v13
	v_cmp_gt_f32_e64 s3, 0x7f800000, |v13|
	v_fma_f32 v24, 0x3f317217, v13, -v22
	s_delay_alu instid0(VALU_DEP_1) | instskip(NEXT) | instid1(VALU_DEP_1)
	v_fmac_f32_e32 v24, 0x3377d1cf, v13
	v_add_f32_e32 v22, v22, v24
	s_delay_alu instid0(VALU_DEP_1) | instskip(SKIP_1) | instid1(VALU_DEP_1)
	v_cndmask_b32_e64 v13, v13, v22, s3
	v_cndmask_b32_e64 v22, 0, 0x41b17218, vcc_lo
	v_sub_f32_e32 v13, v13, v22
.LBB50_718:                             ;   in Loop: Header=BB50_418 Depth=1
	s_or_saveexec_b32 s4, s4
	v_and_b32_e32 v22, 0x7fffffff, v5
	s_xor_b32 exec_lo, exec_lo, s4
	s_cbranch_execz .LBB50_740
; %bb.719:                              ;   in Loop: Header=BB50_418 Depth=1
	v_cmp_neq_f32_e64 s3, |v4|, 1.0
	v_cmp_ngt_f32_e64 s25, 0x25000000, |v5|
                                        ; implicit-def: $vgpr13
	s_delay_alu instid0(VALU_DEP_1) | instskip(NEXT) | instid1(SALU_CYCLE_1)
	s_or_b32 s3, s3, s25
	s_and_saveexec_b32 s25, s3
	s_delay_alu instid0(SALU_CYCLE_1)
	s_xor_b32 s25, exec_lo, s25
	s_cbranch_execz .LBB50_737
; %bb.720:                              ;   in Loop: Header=BB50_418 Depth=1
	v_mul_f32_e64 v13, 0x34000000, |v2|
	s_delay_alu instid0(VALU_DEP_1) | instskip(NEXT) | instid1(VALU_DEP_1)
	v_cmp_le_f32_e64 s3, v13, |v5|
                                        ; implicit-def: $vgpr13
	s_and_saveexec_b32 s26, s3
	s_delay_alu instid0(SALU_CYCLE_1)
	s_xor_b32 s26, exec_lo, s26
	s_cbranch_execz .LBB50_730
; %bb.721:                              ;   in Loop: Header=BB50_418 Depth=1
	v_mov_b32_e32 v13, v22
	s_mov_b32 s3, exec_lo
	v_cmpx_neq_f32_e32 0, v3
	s_cbranch_execz .LBB50_723
; %bb.722:                              ;   in Loop: Header=BB50_418 Depth=1
	v_dual_mul_f32 v13, v5, v5 :: v_dual_add_f32 v24, v3, v23
	s_delay_alu instid0(VALU_DEP_1) | instskip(NEXT) | instid1(VALU_DEP_1)
	v_div_scale_f32 v25, null, v24, v24, v13
	v_rcp_f32_e32 v26, v25
	s_waitcnt_depctr 0xfff
	v_fma_f32 v27, -v25, v26, 1.0
	s_delay_alu instid0(VALU_DEP_1) | instskip(SKIP_1) | instid1(VALU_DEP_1)
	v_fmac_f32_e32 v26, v27, v26
	v_div_scale_f32 v27, vcc_lo, v13, v24, v13
	v_mul_f32_e32 v28, v27, v26
	s_delay_alu instid0(VALU_DEP_1) | instskip(NEXT) | instid1(VALU_DEP_1)
	v_fma_f32 v29, -v25, v28, v27
	v_fmac_f32_e32 v28, v29, v26
	s_delay_alu instid0(VALU_DEP_1) | instskip(NEXT) | instid1(VALU_DEP_1)
	v_fma_f32 v25, -v25, v28, v27
	v_div_fmas_f32 v25, v25, v26, v28
	s_delay_alu instid0(VALU_DEP_1)
	v_div_fixup_f32 v13, v25, v24, v13
.LBB50_723:                             ;   in Loop: Header=BB50_418 Depth=1
	s_or_b32 exec_lo, exec_lo, s3
	v_sub_f32_e64 v25, 1.0, |v4|
	s_mov_b32 s3, exec_lo
                                        ; implicit-def: $vgpr24
	s_delay_alu instid0(VALU_DEP_1)
	v_cmpx_ngt_f32_e32 0, v25
	s_xor_b32 s3, exec_lo, s3
	s_cbranch_execz .LBB50_727
; %bb.724:                              ;   in Loop: Header=BB50_418 Depth=1
	v_mov_b32_e32 v24, v22
	s_mov_b32 s27, exec_lo
	v_cmpx_neq_f32_e32 0, v25
	s_cbranch_execz .LBB50_726
; %bb.725:                              ;   in Loop: Header=BB50_418 Depth=1
	v_mul_f32_e32 v24, v5, v5
	v_add_f32_e32 v25, v25, v21
	s_delay_alu instid0(VALU_DEP_1) | instskip(NEXT) | instid1(VALU_DEP_1)
	v_div_scale_f32 v26, null, v25, v25, v24
	v_rcp_f32_e32 v27, v26
	s_waitcnt_depctr 0xfff
	v_fma_f32 v28, -v26, v27, 1.0
	s_delay_alu instid0(VALU_DEP_1) | instskip(SKIP_1) | instid1(VALU_DEP_1)
	v_fmac_f32_e32 v27, v28, v27
	v_div_scale_f32 v28, vcc_lo, v24, v25, v24
	v_mul_f32_e32 v29, v28, v27
	s_delay_alu instid0(VALU_DEP_1) | instskip(NEXT) | instid1(VALU_DEP_1)
	v_fma_f32 v30, -v26, v29, v28
	v_fmac_f32_e32 v29, v30, v27
	s_delay_alu instid0(VALU_DEP_1) | instskip(NEXT) | instid1(VALU_DEP_1)
	v_fma_f32 v26, -v26, v29, v28
	v_div_fmas_f32 v26, v26, v27, v29
	s_delay_alu instid0(VALU_DEP_1)
	v_div_fixup_f32 v24, v26, v25, v24
.LBB50_726:                             ;   in Loop: Header=BB50_418 Depth=1
	s_or_b32 exec_lo, exec_lo, s27
                                        ; implicit-def: $vgpr25
.LBB50_727:                             ;   in Loop: Header=BB50_418 Depth=1
	s_and_not1_saveexec_b32 s3, s3
; %bb.728:                              ;   in Loop: Header=BB50_418 Depth=1
	v_sub_f32_e32 v24, v21, v25
; %bb.729:                              ;   in Loop: Header=BB50_418 Depth=1
	s_or_b32 exec_lo, exec_lo, s3
	s_delay_alu instid0(VALU_DEP_1) | instskip(NEXT) | instid1(VALU_DEP_1)
	v_mul_f32_e32 v24, 0.5, v24
	v_dual_add_f32 v25, 1.0, v12 :: v_dual_fmac_f32 v24, 0.5, v13
	s_delay_alu instid0(VALU_DEP_1) | instskip(NEXT) | instid1(VALU_DEP_1)
	v_mul_f32_e32 v13, v25, v24
	v_mul_f32_e32 v25, 0x4f800000, v13
	v_cmp_gt_f32_e32 vcc_lo, 0xf800000, v13
	s_delay_alu instid0(VALU_DEP_2) | instskip(NEXT) | instid1(VALU_DEP_1)
	v_cndmask_b32_e32 v13, v13, v25, vcc_lo
	v_sqrt_f32_e32 v25, v13
	s_waitcnt_depctr 0xfff
	v_add_nc_u32_e32 v26, -1, v25
	v_add_nc_u32_e32 v27, 1, v25
	s_delay_alu instid0(VALU_DEP_2) | instskip(NEXT) | instid1(VALU_DEP_2)
	v_fma_f32 v28, -v26, v25, v13
	v_fma_f32 v29, -v27, v25, v13
	s_delay_alu instid0(VALU_DEP_2) | instskip(NEXT) | instid1(VALU_DEP_1)
	v_cmp_ge_f32_e64 s3, 0, v28
	v_cndmask_b32_e64 v25, v25, v26, s3
	s_delay_alu instid0(VALU_DEP_3) | instskip(NEXT) | instid1(VALU_DEP_1)
	v_cmp_lt_f32_e64 s3, 0, v29
	v_cndmask_b32_e64 v25, v25, v27, s3
	s_delay_alu instid0(VALU_DEP_1) | instskip(NEXT) | instid1(VALU_DEP_1)
	v_mul_f32_e32 v26, 0x37800000, v25
	v_cndmask_b32_e32 v25, v25, v26, vcc_lo
	v_cmp_class_f32_e64 vcc_lo, v13, 0x260
	s_delay_alu instid0(VALU_DEP_2) | instskip(NEXT) | instid1(VALU_DEP_1)
	v_cndmask_b32_e32 v13, v25, v13, vcc_lo
	v_add_f32_e32 v13, v24, v13
	s_delay_alu instid0(VALU_DEP_1) | instskip(NEXT) | instid1(VALU_DEP_1)
	v_add_f32_e32 v26, 1.0, v13
	v_cvt_f64_f32_e32 v[24:25], v26
	s_delay_alu instid0(VALU_DEP_1) | instskip(SKIP_1) | instid1(VALU_DEP_1)
	v_frexp_exp_i32_f64_e32 v24, v[24:25]
	v_frexp_mant_f32_e32 v25, v26
	v_cmp_gt_f32_e32 vcc_lo, 0x3f2aaaab, v25
	v_add_f32_e32 v25, -1.0, v26
	s_delay_alu instid0(VALU_DEP_1) | instskip(NEXT) | instid1(VALU_DEP_1)
	v_sub_f32_e32 v28, v25, v26
	v_add_f32_e32 v28, 1.0, v28
	v_subrev_co_ci_u32_e32 v24, vcc_lo, 0, v24, vcc_lo
	s_delay_alu instid0(VALU_DEP_1) | instskip(SKIP_1) | instid1(VALU_DEP_2)
	v_sub_nc_u32_e32 v27, 0, v24
	v_cvt_f32_i32_e32 v24, v24
	v_ldexp_f32 v26, v26, v27
	v_sub_f32_e32 v25, v13, v25
	s_delay_alu instid0(VALU_DEP_1) | instskip(NEXT) | instid1(VALU_DEP_1)
	v_add_f32_e32 v25, v25, v28
	v_ldexp_f32 v25, v25, v27
	s_delay_alu instid0(VALU_DEP_4) | instskip(NEXT) | instid1(VALU_DEP_1)
	v_add_f32_e32 v29, 1.0, v26
	v_add_f32_e32 v28, -1.0, v29
	s_delay_alu instid0(VALU_DEP_1) | instskip(NEXT) | instid1(VALU_DEP_1)
	v_sub_f32_e32 v28, v26, v28
	v_dual_add_f32 v28, v25, v28 :: v_dual_add_f32 v27, -1.0, v26
	s_delay_alu instid0(VALU_DEP_1) | instskip(SKIP_1) | instid1(VALU_DEP_2)
	v_add_f32_e32 v30, 1.0, v27
	v_cmp_eq_f32_e32 vcc_lo, 0x7f800000, v13
	v_sub_f32_e32 v26, v26, v30
	s_delay_alu instid0(VALU_DEP_4) | instskip(NEXT) | instid1(VALU_DEP_1)
	v_add_f32_e32 v30, v29, v28
	v_sub_f32_e32 v29, v30, v29
	s_delay_alu instid0(VALU_DEP_3) | instskip(SKIP_1) | instid1(VALU_DEP_2)
	v_add_f32_e32 v25, v25, v26
	v_rcp_f32_e32 v26, v30
	v_sub_f32_e32 v28, v28, v29
	s_delay_alu instid0(VALU_DEP_2) | instskip(NEXT) | instid1(VALU_DEP_1)
	v_add_f32_e32 v31, v27, v25
	v_sub_f32_e32 v27, v31, v27
	s_waitcnt_depctr 0xfff
	v_dual_mul_f32 v32, v31, v26 :: v_dual_sub_f32 v25, v25, v27
	s_delay_alu instid0(VALU_DEP_1) | instskip(NEXT) | instid1(VALU_DEP_1)
	v_mul_f32_e32 v33, v30, v32
	v_fma_f32 v29, v32, v30, -v33
	s_delay_alu instid0(VALU_DEP_1) | instskip(NEXT) | instid1(VALU_DEP_1)
	v_fmac_f32_e32 v29, v32, v28
	v_add_f32_e32 v34, v33, v29
	s_delay_alu instid0(VALU_DEP_1) | instskip(NEXT) | instid1(VALU_DEP_1)
	v_sub_f32_e32 v35, v31, v34
	v_sub_f32_e32 v31, v31, v35
	;; [unrolled: 1-line block ×3, first 2 shown]
	s_delay_alu instid0(VALU_DEP_2) | instskip(NEXT) | instid1(VALU_DEP_2)
	v_sub_f32_e32 v31, v31, v34
	v_sub_f32_e32 v27, v27, v29
	s_delay_alu instid0(VALU_DEP_2) | instskip(NEXT) | instid1(VALU_DEP_1)
	v_add_f32_e32 v25, v25, v31
	v_add_f32_e32 v25, v27, v25
	s_delay_alu instid0(VALU_DEP_1) | instskip(NEXT) | instid1(VALU_DEP_1)
	v_add_f32_e32 v27, v35, v25
	v_mul_f32_e32 v29, v26, v27
	s_delay_alu instid0(VALU_DEP_1) | instskip(NEXT) | instid1(VALU_DEP_1)
	v_dual_sub_f32 v34, v35, v27 :: v_dual_mul_f32 v31, v30, v29
	v_add_f32_e32 v25, v25, v34
	s_delay_alu instid0(VALU_DEP_2) | instskip(NEXT) | instid1(VALU_DEP_1)
	v_fma_f32 v30, v29, v30, -v31
	v_fmac_f32_e32 v30, v29, v28
	s_delay_alu instid0(VALU_DEP_1) | instskip(NEXT) | instid1(VALU_DEP_1)
	v_add_f32_e32 v28, v31, v30
	v_sub_f32_e32 v33, v27, v28
	v_sub_f32_e32 v31, v28, v31
	s_delay_alu instid0(VALU_DEP_2) | instskip(NEXT) | instid1(VALU_DEP_1)
	v_sub_f32_e32 v27, v27, v33
	v_sub_f32_e32 v27, v27, v28
	s_delay_alu instid0(VALU_DEP_1) | instskip(SKIP_1) | instid1(VALU_DEP_1)
	v_dual_sub_f32 v28, v31, v30 :: v_dual_add_f32 v25, v25, v27
	v_add_f32_e32 v27, v32, v29
	v_dual_add_f32 v25, v28, v25 :: v_dual_sub_f32 v28, v27, v32
	s_delay_alu instid0(VALU_DEP_1) | instskip(NEXT) | instid1(VALU_DEP_1)
	v_add_f32_e32 v25, v33, v25
	v_dual_sub_f32 v28, v29, v28 :: v_dual_mul_f32 v25, v26, v25
	s_delay_alu instid0(VALU_DEP_1) | instskip(NEXT) | instid1(VALU_DEP_1)
	v_add_f32_e32 v25, v28, v25
	v_add_f32_e32 v26, v27, v25
	s_delay_alu instid0(VALU_DEP_1) | instskip(NEXT) | instid1(VALU_DEP_1)
	v_mul_f32_e32 v28, v26, v26
	v_fmaak_f32 v29, s18, v28, 0x3ecc95a3
	v_mul_f32_e32 v30, v26, v28
	s_delay_alu instid0(VALU_DEP_2) | instskip(SKIP_2) | instid1(VALU_DEP_3)
	v_fmaak_f32 v28, v28, v29, 0x3f2aaada
	v_ldexp_f32 v29, v26, 1
	v_sub_f32_e32 v26, v26, v27
	v_mul_f32_e32 v28, v30, v28
	s_delay_alu instid0(VALU_DEP_2) | instskip(NEXT) | instid1(VALU_DEP_2)
	v_dual_mul_f32 v30, 0x3f317218, v24 :: v_dual_sub_f32 v25, v25, v26
	v_add_f32_e32 v27, v29, v28
	s_delay_alu instid0(VALU_DEP_2) | instskip(NEXT) | instid1(VALU_DEP_2)
	v_ldexp_f32 v25, v25, 1
	v_sub_f32_e32 v26, v27, v29
	s_delay_alu instid0(VALU_DEP_4) | instskip(NEXT) | instid1(VALU_DEP_1)
	v_fma_f32 v29, 0x3f317218, v24, -v30
	v_dual_sub_f32 v26, v28, v26 :: v_dual_fmac_f32 v29, 0xb102e308, v24
	s_delay_alu instid0(VALU_DEP_1) | instskip(NEXT) | instid1(VALU_DEP_1)
	v_dual_add_f32 v24, v25, v26 :: v_dual_add_f32 v25, v30, v29
	v_add_f32_e32 v26, v27, v24
	s_delay_alu instid0(VALU_DEP_2) | instskip(NEXT) | instid1(VALU_DEP_2)
	v_sub_f32_e32 v30, v25, v30
	v_dual_add_f32 v28, v25, v26 :: v_dual_sub_f32 v27, v26, v27
	s_delay_alu instid0(VALU_DEP_2) | instskip(NEXT) | instid1(VALU_DEP_2)
	v_sub_f32_e32 v29, v29, v30
	v_sub_f32_e32 v31, v28, v25
	s_delay_alu instid0(VALU_DEP_3) | instskip(NEXT) | instid1(VALU_DEP_2)
	v_sub_f32_e32 v24, v24, v27
	v_sub_f32_e32 v32, v28, v31
	s_delay_alu instid0(VALU_DEP_2) | instskip(NEXT) | instid1(VALU_DEP_2)
	v_dual_sub_f32 v26, v26, v31 :: v_dual_add_f32 v27, v29, v24
	v_sub_f32_e32 v25, v25, v32
	s_delay_alu instid0(VALU_DEP_1) | instskip(NEXT) | instid1(VALU_DEP_3)
	v_add_f32_e32 v25, v26, v25
	v_sub_f32_e32 v26, v27, v29
	s_delay_alu instid0(VALU_DEP_2) | instskip(NEXT) | instid1(VALU_DEP_2)
	v_add_f32_e32 v25, v27, v25
	v_sub_f32_e32 v27, v27, v26
	v_sub_f32_e32 v24, v24, v26
	s_delay_alu instid0(VALU_DEP_2) | instskip(NEXT) | instid1(VALU_DEP_1)
	v_dual_add_f32 v30, v28, v25 :: v_dual_sub_f32 v27, v29, v27
	v_sub_f32_e32 v26, v30, v28
	s_delay_alu instid0(VALU_DEP_1) | instskip(NEXT) | instid1(VALU_DEP_1)
	v_dual_add_f32 v24, v24, v27 :: v_dual_sub_f32 v25, v25, v26
	v_add_f32_e32 v24, v24, v25
	s_delay_alu instid0(VALU_DEP_1) | instskip(NEXT) | instid1(VALU_DEP_1)
	v_add_f32_e32 v24, v30, v24
	v_cndmask_b32_e32 v24, v24, v13, vcc_lo
	v_cmp_ngt_f32_e32 vcc_lo, -1.0, v13
	s_delay_alu instid0(VALU_DEP_2) | instskip(SKIP_1) | instid1(VALU_DEP_2)
	v_cndmask_b32_e32 v24, 0x7fc00000, v24, vcc_lo
	v_cmp_neq_f32_e32 vcc_lo, -1.0, v13
	v_cndmask_b32_e32 v24, 0xff800000, v24, vcc_lo
	v_cmp_gt_f32_e64 vcc_lo, 0x33800000, |v13|
	s_delay_alu instid0(VALU_DEP_2)
	v_cndmask_b32_e32 v13, v24, v13, vcc_lo
.LBB50_730:                             ;   in Loop: Header=BB50_418 Depth=1
	s_and_not1_saveexec_b32 s26, s26
	s_cbranch_execz .LBB50_736
; %bb.731:                              ;   in Loop: Header=BB50_418 Depth=1
	s_mov_b32 s27, exec_lo
                                        ; implicit-def: $vgpr13
	v_cmpx_nlt_f32_e64 |v4|, 1.0
	s_xor_b32 s27, exec_lo, s27
	s_cbranch_execz .LBB50_733
; %bb.732:                              ;   in Loop: Header=BB50_418 Depth=1
	v_mul_f32_e32 v13, v2, v3
	s_delay_alu instid0(VALU_DEP_1) | instskip(SKIP_1) | instid1(VALU_DEP_2)
	v_mul_f32_e32 v24, 0x4f800000, v13
	v_cmp_gt_f32_e32 vcc_lo, 0xf800000, v13
	v_cndmask_b32_e32 v13, v13, v24, vcc_lo
	s_delay_alu instid0(VALU_DEP_1) | instskip(SKIP_3) | instid1(VALU_DEP_2)
	v_sqrt_f32_e32 v24, v13
	s_waitcnt_depctr 0xfff
	v_add_nc_u32_e32 v25, -1, v24
	v_add_nc_u32_e32 v26, 1, v24
	v_fma_f32 v27, -v25, v24, v13
	s_delay_alu instid0(VALU_DEP_2) | instskip(NEXT) | instid1(VALU_DEP_2)
	v_fma_f32 v28, -v26, v24, v13
	v_cmp_ge_f32_e64 s3, 0, v27
	s_delay_alu instid0(VALU_DEP_1) | instskip(NEXT) | instid1(VALU_DEP_3)
	v_cndmask_b32_e64 v24, v24, v25, s3
	v_cmp_lt_f32_e64 s3, 0, v28
	s_delay_alu instid0(VALU_DEP_1) | instskip(NEXT) | instid1(VALU_DEP_1)
	v_cndmask_b32_e64 v24, v24, v26, s3
	v_mul_f32_e32 v25, 0x37800000, v24
	s_delay_alu instid0(VALU_DEP_1) | instskip(SKIP_1) | instid1(VALU_DEP_2)
	v_cndmask_b32_e32 v24, v24, v25, vcc_lo
	v_cmp_class_f32_e64 vcc_lo, v13, 0x260
	v_cndmask_b32_e32 v13, v24, v13, vcc_lo
	s_delay_alu instid0(VALU_DEP_1) | instskip(NEXT) | instid1(VALU_DEP_1)
	v_add_f32_e32 v13, v2, v13
	v_add_f32_e32 v26, 1.0, v13
	s_delay_alu instid0(VALU_DEP_1) | instskip(NEXT) | instid1(VALU_DEP_1)
	v_cvt_f64_f32_e32 v[24:25], v26
	v_frexp_exp_i32_f64_e32 v24, v[24:25]
	v_frexp_mant_f32_e32 v25, v26
	s_delay_alu instid0(VALU_DEP_1) | instskip(SKIP_1) | instid1(VALU_DEP_1)
	v_cmp_gt_f32_e32 vcc_lo, 0x3f2aaaab, v25
	v_add_f32_e32 v25, -1.0, v26
	v_sub_f32_e32 v28, v25, v26
	s_delay_alu instid0(VALU_DEP_1) | instskip(SKIP_2) | instid1(VALU_DEP_2)
	v_add_f32_e32 v28, 1.0, v28
	v_subrev_co_ci_u32_e32 v24, vcc_lo, 0, v24, vcc_lo
	v_cmp_eq_f32_e32 vcc_lo, 0x7f800000, v13
	v_sub_nc_u32_e32 v27, 0, v24
	v_cvt_f32_i32_e32 v24, v24
	s_delay_alu instid0(VALU_DEP_2) | instskip(SKIP_1) | instid1(VALU_DEP_1)
	v_ldexp_f32 v26, v26, v27
	v_sub_f32_e32 v25, v13, v25
	v_add_f32_e32 v25, v25, v28
	s_delay_alu instid0(VALU_DEP_1) | instskip(NEXT) | instid1(VALU_DEP_4)
	v_ldexp_f32 v25, v25, v27
	v_add_f32_e32 v27, -1.0, v26
	s_delay_alu instid0(VALU_DEP_1) | instskip(NEXT) | instid1(VALU_DEP_1)
	v_dual_add_f32 v29, 1.0, v26 :: v_dual_add_f32 v30, 1.0, v27
	v_add_f32_e32 v28, -1.0, v29
	s_delay_alu instid0(VALU_DEP_1) | instskip(NEXT) | instid1(VALU_DEP_3)
	v_sub_f32_e32 v28, v26, v28
	v_sub_f32_e32 v26, v26, v30
	s_delay_alu instid0(VALU_DEP_2) | instskip(NEXT) | instid1(VALU_DEP_2)
	v_add_f32_e32 v28, v25, v28
	v_add_f32_e32 v25, v25, v26
	s_delay_alu instid0(VALU_DEP_1) | instskip(NEXT) | instid1(VALU_DEP_1)
	v_dual_add_f32 v30, v29, v28 :: v_dual_add_f32 v31, v27, v25
	v_rcp_f32_e32 v26, v30
	v_sub_f32_e32 v29, v30, v29
	s_delay_alu instid0(VALU_DEP_1) | instskip(SKIP_2) | instid1(VALU_DEP_1)
	v_dual_sub_f32 v27, v31, v27 :: v_dual_sub_f32 v28, v28, v29
	s_waitcnt_depctr 0xfff
	v_dual_sub_f32 v25, v25, v27 :: v_dual_mul_f32 v32, v31, v26
	v_mul_f32_e32 v33, v30, v32
	s_delay_alu instid0(VALU_DEP_1) | instskip(NEXT) | instid1(VALU_DEP_1)
	v_fma_f32 v29, v32, v30, -v33
	v_fmac_f32_e32 v29, v32, v28
	s_delay_alu instid0(VALU_DEP_1) | instskip(NEXT) | instid1(VALU_DEP_1)
	v_add_f32_e32 v34, v33, v29
	v_sub_f32_e32 v35, v31, v34
	v_sub_f32_e32 v27, v34, v33
	s_delay_alu instid0(VALU_DEP_2) | instskip(NEXT) | instid1(VALU_DEP_2)
	v_sub_f32_e32 v31, v31, v35
	v_sub_f32_e32 v27, v27, v29
	s_delay_alu instid0(VALU_DEP_2) | instskip(NEXT) | instid1(VALU_DEP_1)
	v_sub_f32_e32 v31, v31, v34
	v_add_f32_e32 v25, v25, v31
	s_delay_alu instid0(VALU_DEP_1) | instskip(NEXT) | instid1(VALU_DEP_1)
	v_add_f32_e32 v25, v27, v25
	v_add_f32_e32 v27, v35, v25
	s_delay_alu instid0(VALU_DEP_1) | instskip(NEXT) | instid1(VALU_DEP_1)
	v_mul_f32_e32 v29, v26, v27
	v_mul_f32_e32 v31, v30, v29
	s_delay_alu instid0(VALU_DEP_1) | instskip(NEXT) | instid1(VALU_DEP_1)
	v_fma_f32 v30, v29, v30, -v31
	v_fmac_f32_e32 v30, v29, v28
	v_sub_f32_e32 v34, v35, v27
	s_delay_alu instid0(VALU_DEP_2) | instskip(NEXT) | instid1(VALU_DEP_2)
	v_add_f32_e32 v28, v31, v30
	v_add_f32_e32 v25, v25, v34
	s_delay_alu instid0(VALU_DEP_2) | instskip(SKIP_1) | instid1(VALU_DEP_2)
	v_sub_f32_e32 v33, v27, v28
	v_sub_f32_e32 v31, v28, v31
	;; [unrolled: 1-line block ×3, first 2 shown]
	s_delay_alu instid0(VALU_DEP_1) | instskip(NEXT) | instid1(VALU_DEP_1)
	v_sub_f32_e32 v27, v27, v28
	v_dual_sub_f32 v28, v31, v30 :: v_dual_add_f32 v25, v25, v27
	v_add_f32_e32 v27, v32, v29
	s_delay_alu instid0(VALU_DEP_1) | instskip(NEXT) | instid1(VALU_DEP_1)
	v_dual_add_f32 v25, v28, v25 :: v_dual_sub_f32 v28, v27, v32
	v_add_f32_e32 v25, v33, v25
	s_delay_alu instid0(VALU_DEP_1) | instskip(NEXT) | instid1(VALU_DEP_1)
	v_dual_sub_f32 v28, v29, v28 :: v_dual_mul_f32 v25, v26, v25
	v_add_f32_e32 v25, v28, v25
	s_delay_alu instid0(VALU_DEP_1) | instskip(NEXT) | instid1(VALU_DEP_1)
	v_add_f32_e32 v26, v27, v25
	v_mul_f32_e32 v28, v26, v26
	s_delay_alu instid0(VALU_DEP_1) | instskip(SKIP_1) | instid1(VALU_DEP_2)
	v_fmaak_f32 v29, s18, v28, 0x3ecc95a3
	v_mul_f32_e32 v30, v26, v28
	v_fmaak_f32 v28, v28, v29, 0x3f2aaada
	v_ldexp_f32 v29, v26, 1
	v_sub_f32_e32 v26, v26, v27
	s_delay_alu instid0(VALU_DEP_3) | instskip(NEXT) | instid1(VALU_DEP_2)
	v_mul_f32_e32 v28, v30, v28
	v_dual_mul_f32 v30, 0x3f317218, v24 :: v_dual_sub_f32 v25, v25, v26
	s_delay_alu instid0(VALU_DEP_2) | instskip(NEXT) | instid1(VALU_DEP_2)
	v_add_f32_e32 v27, v29, v28
	v_ldexp_f32 v25, v25, 1
	s_delay_alu instid0(VALU_DEP_2) | instskip(NEXT) | instid1(VALU_DEP_4)
	v_sub_f32_e32 v26, v27, v29
	v_fma_f32 v29, 0x3f317218, v24, -v30
	s_delay_alu instid0(VALU_DEP_1) | instskip(NEXT) | instid1(VALU_DEP_1)
	v_dual_sub_f32 v26, v28, v26 :: v_dual_fmac_f32 v29, 0xb102e308, v24
	v_dual_add_f32 v24, v25, v26 :: v_dual_add_f32 v25, v30, v29
	s_delay_alu instid0(VALU_DEP_1) | instskip(NEXT) | instid1(VALU_DEP_2)
	v_add_f32_e32 v26, v27, v24
	v_sub_f32_e32 v30, v25, v30
	s_delay_alu instid0(VALU_DEP_2) | instskip(NEXT) | instid1(VALU_DEP_2)
	v_dual_add_f32 v28, v25, v26 :: v_dual_sub_f32 v27, v26, v27
	v_sub_f32_e32 v29, v29, v30
	s_delay_alu instid0(VALU_DEP_2) | instskip(NEXT) | instid1(VALU_DEP_3)
	v_sub_f32_e32 v31, v28, v25
	v_sub_f32_e32 v24, v24, v27
	s_delay_alu instid0(VALU_DEP_2) | instskip(NEXT) | instid1(VALU_DEP_2)
	v_sub_f32_e32 v32, v28, v31
	v_dual_sub_f32 v26, v26, v31 :: v_dual_add_f32 v27, v29, v24
	s_delay_alu instid0(VALU_DEP_2) | instskip(NEXT) | instid1(VALU_DEP_1)
	v_sub_f32_e32 v25, v25, v32
	v_add_f32_e32 v25, v26, v25
	s_delay_alu instid0(VALU_DEP_3) | instskip(NEXT) | instid1(VALU_DEP_2)
	v_sub_f32_e32 v26, v27, v29
	v_add_f32_e32 v25, v27, v25
	s_delay_alu instid0(VALU_DEP_2) | instskip(SKIP_1) | instid1(VALU_DEP_2)
	v_sub_f32_e32 v27, v27, v26
	v_sub_f32_e32 v24, v24, v26
	v_dual_add_f32 v30, v28, v25 :: v_dual_sub_f32 v27, v29, v27
	s_delay_alu instid0(VALU_DEP_1) | instskip(NEXT) | instid1(VALU_DEP_1)
	v_sub_f32_e32 v26, v30, v28
	v_dual_add_f32 v24, v24, v27 :: v_dual_sub_f32 v25, v25, v26
	s_delay_alu instid0(VALU_DEP_1) | instskip(NEXT) | instid1(VALU_DEP_1)
	v_add_f32_e32 v24, v24, v25
	v_add_f32_e32 v24, v30, v24
	s_delay_alu instid0(VALU_DEP_1) | instskip(SKIP_1) | instid1(VALU_DEP_2)
	v_cndmask_b32_e32 v24, v24, v13, vcc_lo
	v_cmp_ngt_f32_e32 vcc_lo, -1.0, v13
	v_cndmask_b32_e32 v24, 0x7fc00000, v24, vcc_lo
	v_cmp_neq_f32_e32 vcc_lo, -1.0, v13
	s_delay_alu instid0(VALU_DEP_2) | instskip(SKIP_1) | instid1(VALU_DEP_2)
	v_cndmask_b32_e32 v24, 0xff800000, v24, vcc_lo
	v_cmp_gt_f32_e64 vcc_lo, 0x33800000, |v13|
	v_cndmask_b32_e32 v13, v24, v13, vcc_lo
.LBB50_733:                             ;   in Loop: Header=BB50_418 Depth=1
	s_and_not1_saveexec_b32 s27, s27
	s_cbranch_execz .LBB50_735
; %bb.734:                              ;   in Loop: Header=BB50_418 Depth=1
	v_sub_f32_e64 v13, 1.0, |v4|
	s_delay_alu instid0(VALU_DEP_1) | instskip(NEXT) | instid1(VALU_DEP_1)
	v_mul_f32_e32 v13, v13, v3
	v_mul_f32_e32 v24, 0x4f800000, v13
	v_cmp_gt_f32_e32 vcc_lo, 0xf800000, v13
	s_delay_alu instid0(VALU_DEP_2) | instskip(NEXT) | instid1(VALU_DEP_1)
	v_cndmask_b32_e32 v13, v13, v24, vcc_lo
	v_sqrt_f32_e32 v24, v13
	s_waitcnt_depctr 0xfff
	v_add_nc_u32_e32 v25, -1, v24
	v_add_nc_u32_e32 v26, 1, v24
	s_delay_alu instid0(VALU_DEP_2) | instskip(NEXT) | instid1(VALU_DEP_2)
	v_fma_f32 v27, -v25, v24, v13
	v_fma_f32 v28, -v26, v24, v13
	s_delay_alu instid0(VALU_DEP_2) | instskip(NEXT) | instid1(VALU_DEP_1)
	v_cmp_ge_f32_e64 s3, 0, v27
	v_cndmask_b32_e64 v24, v24, v25, s3
	s_delay_alu instid0(VALU_DEP_3) | instskip(NEXT) | instid1(VALU_DEP_1)
	v_cmp_lt_f32_e64 s3, 0, v28
	v_cndmask_b32_e64 v24, v24, v26, s3
	s_delay_alu instid0(VALU_DEP_1) | instskip(NEXT) | instid1(VALU_DEP_1)
	v_mul_f32_e32 v25, 0x37800000, v24
	v_cndmask_b32_e32 v24, v24, v25, vcc_lo
	v_cmp_class_f32_e64 vcc_lo, v13, 0x260
	v_and_b32_e32 v25, 0x7fffffff, v5
	s_delay_alu instid0(VALU_DEP_3) | instskip(NEXT) | instid1(VALU_DEP_1)
	v_cndmask_b32_e32 v13, v24, v13, vcc_lo
	v_div_scale_f32 v24, null, v13, v13, v25
	v_div_scale_f32 v25, vcc_lo, v25, v13, v25
	s_delay_alu instid0(VALU_DEP_2) | instskip(SKIP_2) | instid1(VALU_DEP_1)
	v_rcp_f32_e32 v26, v24
	s_waitcnt_depctr 0xfff
	v_fma_f32 v27, -v24, v26, 1.0
	v_fmac_f32_e32 v26, v27, v26
	s_delay_alu instid0(VALU_DEP_1) | instskip(NEXT) | instid1(VALU_DEP_1)
	v_mul_f32_e32 v27, v25, v26
	v_fma_f32 v28, -v24, v27, v25
	s_delay_alu instid0(VALU_DEP_1) | instskip(NEXT) | instid1(VALU_DEP_1)
	v_fmac_f32_e32 v27, v28, v26
	v_fma_f32 v24, -v24, v27, v25
	s_delay_alu instid0(VALU_DEP_1) | instskip(NEXT) | instid1(VALU_DEP_1)
	v_div_fmas_f32 v24, v24, v26, v27
	v_div_fixup_f32 v13, v24, v13, |v5|
.LBB50_735:                             ;   in Loop: Header=BB50_418 Depth=1
	s_or_b32 exec_lo, exec_lo, s27
.LBB50_736:                             ;   in Loop: Header=BB50_418 Depth=1
	s_delay_alu instid0(SALU_CYCLE_1)
	s_or_b32 exec_lo, exec_lo, s26
.LBB50_737:                             ;   in Loop: Header=BB50_418 Depth=1
	s_and_not1_saveexec_b32 s25, s25
	s_cbranch_execz .LBB50_739
; %bb.738:                              ;   in Loop: Header=BB50_418 Depth=1
	v_mul_f32_e64 v13, 0x4f800000, |v5|
	v_cmp_gt_f32_e64 vcc_lo, 0xf800000, |v5|
	s_delay_alu instid0(VALU_DEP_1) | instskip(NEXT) | instid1(VALU_DEP_1)
	v_cndmask_b32_e64 v13, |v5|, v13, vcc_lo
	v_sqrt_f32_e32 v24, v13
	s_waitcnt_depctr 0xfff
	v_add_nc_u32_e32 v25, -1, v24
	v_add_nc_u32_e32 v26, 1, v24
	s_delay_alu instid0(VALU_DEP_2) | instskip(NEXT) | instid1(VALU_DEP_2)
	v_fma_f32 v27, -v25, v24, v13
	v_fma_f32 v28, -v26, v24, v13
	s_delay_alu instid0(VALU_DEP_2) | instskip(NEXT) | instid1(VALU_DEP_1)
	v_cmp_ge_f32_e64 s3, 0, v27
	v_cndmask_b32_e64 v24, v24, v25, s3
	s_delay_alu instid0(VALU_DEP_3) | instskip(NEXT) | instid1(VALU_DEP_1)
	v_cmp_lt_f32_e64 s3, 0, v28
	v_cndmask_b32_e64 v24, v24, v26, s3
	s_delay_alu instid0(VALU_DEP_1) | instskip(NEXT) | instid1(VALU_DEP_1)
	v_mul_f32_e32 v25, 0x37800000, v24
	v_cndmask_b32_e32 v24, v24, v25, vcc_lo
	v_cmp_class_f32_e64 vcc_lo, v13, 0x260
	s_delay_alu instid0(VALU_DEP_2)
	v_cndmask_b32_e32 v13, v24, v13, vcc_lo
.LBB50_739:                             ;   in Loop: Header=BB50_418 Depth=1
	s_or_b32 exec_lo, exec_lo, s25
.LBB50_740:                             ;   in Loop: Header=BB50_418 Depth=1
	s_delay_alu instid0(SALU_CYCLE_1) | instskip(NEXT) | instid1(SALU_CYCLE_1)
	s_or_b32 exec_lo, exec_lo, s4
	s_mov_b32 s25, exec_lo
                                        ; implicit-def: $sgpr3
                                        ; implicit-def: $vgpr24
                                        ; implicit-def: $vgpr26
                                        ; implicit-def: $vgpr25
	v_cmpx_ngt_f32_e64 0x21000000, |v4|
	s_xor_b32 s25, exec_lo, s25
	s_cbranch_execz .LBB50_764
; %bb.741:                              ;   in Loop: Header=BB50_418 Depth=1
	v_and_b32_e32 v25, 0x7fffffff, v4
	s_mov_b32 s3, 0
	s_mov_b32 s26, exec_lo
	s_delay_alu instid0(VALU_DEP_1) | instskip(NEXT) | instid1(VALU_DEP_1)
	v_div_scale_f32 v24, null, v12, v12, v25
	v_rcp_f32_e32 v26, v24
	s_waitcnt_depctr 0xfff
	v_fma_f32 v27, -v24, v26, 1.0
	s_delay_alu instid0(VALU_DEP_1) | instskip(SKIP_1) | instid1(VALU_DEP_1)
	v_fmac_f32_e32 v26, v27, v26
	v_div_scale_f32 v27, vcc_lo, v25, v12, v25
	v_mul_f32_e32 v28, v27, v26
	s_delay_alu instid0(VALU_DEP_1) | instskip(NEXT) | instid1(VALU_DEP_1)
	v_fma_f32 v29, -v24, v28, v27
	v_fmac_f32_e32 v28, v29, v26
	s_delay_alu instid0(VALU_DEP_1) | instskip(NEXT) | instid1(VALU_DEP_1)
	v_fma_f32 v24, -v24, v28, v27
	v_div_fmas_f32 v24, v24, v26, v28
                                        ; implicit-def: $vgpr26
	s_delay_alu instid0(VALU_DEP_1) | instskip(NEXT) | instid1(VALU_DEP_1)
	v_div_fixup_f32 v24, v24, v12, |v4|
	v_cmpx_lt_f32_e32 0x3f244674, v24
	s_cbranch_execz .LBB50_763
; %bb.742:                              ;   in Loop: Header=BB50_418 Depth=1
	v_cmp_neq_f32_e64 s3, |v4|, 1.0
	v_cmp_ngt_f32_e64 s4, 0x30800000, |v5|
                                        ; implicit-def: $sgpr27
                                        ; implicit-def: $vgpr26
	s_delay_alu instid0(VALU_DEP_1) | instskip(NEXT) | instid1(SALU_CYCLE_1)
	s_or_b32 s3, s3, s4
	s_and_saveexec_b32 s4, s3
	s_delay_alu instid0(SALU_CYCLE_1)
	s_xor_b32 s4, exec_lo, s4
	s_cbranch_execz .LBB50_760
; %bb.743:                              ;   in Loop: Header=BB50_418 Depth=1
	v_mul_f32_e64 v26, 0x34000000, |v2|
                                        ; implicit-def: $sgpr27
	s_delay_alu instid0(VALU_DEP_1) | instskip(NEXT) | instid1(VALU_DEP_1)
	v_cmp_le_f32_e64 s3, v26, |v5|
                                        ; implicit-def: $vgpr26
	s_and_saveexec_b32 s28, s3
	s_delay_alu instid0(SALU_CYCLE_1)
	s_xor_b32 s28, exec_lo, s28
	s_cbranch_execz .LBB50_753
; %bb.744:                              ;   in Loop: Header=BB50_418 Depth=1
	v_mov_b32_e32 v26, v22
	s_mov_b32 s3, exec_lo
	v_cmpx_neq_f32_e32 0, v3
	s_cbranch_execz .LBB50_746
; %bb.745:                              ;   in Loop: Header=BB50_418 Depth=1
	v_dual_mul_f32 v26, v5, v5 :: v_dual_add_f32 v3, v3, v23
	s_delay_alu instid0(VALU_DEP_1) | instskip(NEXT) | instid1(VALU_DEP_1)
	v_div_scale_f32 v23, null, v3, v3, v26
	v_rcp_f32_e32 v27, v23
	s_waitcnt_depctr 0xfff
	v_fma_f32 v28, -v23, v27, 1.0
	s_delay_alu instid0(VALU_DEP_1) | instskip(SKIP_1) | instid1(VALU_DEP_1)
	v_fmac_f32_e32 v27, v28, v27
	v_div_scale_f32 v28, vcc_lo, v26, v3, v26
	v_mul_f32_e32 v29, v28, v27
	s_delay_alu instid0(VALU_DEP_1) | instskip(NEXT) | instid1(VALU_DEP_1)
	v_fma_f32 v30, -v23, v29, v28
	v_fmac_f32_e32 v29, v30, v27
	s_delay_alu instid0(VALU_DEP_1) | instskip(NEXT) | instid1(VALU_DEP_1)
	v_fma_f32 v23, -v23, v29, v28
	v_div_fmas_f32 v23, v23, v27, v29
	s_delay_alu instid0(VALU_DEP_1)
	v_div_fixup_f32 v26, v23, v3, v26
.LBB50_746:                             ;   in Loop: Header=BB50_418 Depth=1
	s_or_b32 exec_lo, exec_lo, s3
	s_delay_alu instid0(SALU_CYCLE_1)
	s_mov_b32 s3, exec_lo
	v_cmpx_ngt_f32_e32 0, v2
	s_xor_b32 s3, exec_lo, s3
	s_cbranch_execz .LBB50_750
; %bb.747:                              ;   in Loop: Header=BB50_418 Depth=1
	s_mov_b32 s27, exec_lo
	v_cmpx_neq_f32_e32 0, v2
	s_cbranch_execz .LBB50_749
; %bb.748:                              ;   in Loop: Header=BB50_418 Depth=1
	v_mul_f32_e32 v3, v5, v5
	v_add_f32_e32 v2, v2, v21
	s_delay_alu instid0(VALU_DEP_1) | instskip(NEXT) | instid1(VALU_DEP_1)
	v_div_scale_f32 v5, null, v2, v2, v3
	v_rcp_f32_e32 v21, v5
	s_waitcnt_depctr 0xfff
	v_fma_f32 v22, -v5, v21, 1.0
	s_delay_alu instid0(VALU_DEP_1) | instskip(SKIP_1) | instid1(VALU_DEP_1)
	v_fmac_f32_e32 v21, v22, v21
	v_div_scale_f32 v22, vcc_lo, v3, v2, v3
	v_mul_f32_e32 v23, v22, v21
	s_delay_alu instid0(VALU_DEP_1) | instskip(NEXT) | instid1(VALU_DEP_1)
	v_fma_f32 v27, -v5, v23, v22
	v_fmac_f32_e32 v23, v27, v21
	s_delay_alu instid0(VALU_DEP_1) | instskip(NEXT) | instid1(VALU_DEP_1)
	v_fma_f32 v5, -v5, v23, v22
	v_div_fmas_f32 v5, v5, v21, v23
	s_delay_alu instid0(VALU_DEP_1)
	v_div_fixup_f32 v22, v5, v2, v3
.LBB50_749:                             ;   in Loop: Header=BB50_418 Depth=1
	s_or_b32 exec_lo, exec_lo, s27
                                        ; implicit-def: $vgpr21
                                        ; implicit-def: $vgpr2
.LBB50_750:                             ;   in Loop: Header=BB50_418 Depth=1
	s_and_not1_saveexec_b32 s3, s3
; %bb.751:                              ;   in Loop: Header=BB50_418 Depth=1
	v_sub_f32_e32 v22, v21, v2
; %bb.752:                              ;   in Loop: Header=BB50_418 Depth=1
	s_or_b32 exec_lo, exec_lo, s3
	s_delay_alu instid0(VALU_DEP_1) | instskip(SKIP_2) | instid1(VALU_DEP_2)
	v_mul_f32_e32 v2, 0.5, v22
	v_add_f32_e64 v3, |v4|, v12
	s_mov_b32 s27, -1
	v_fmac_f32_e32 v2, 0.5, v26
	s_delay_alu instid0(VALU_DEP_1) | instskip(NEXT) | instid1(VALU_DEP_1)
	v_mul_f32_e32 v2, v3, v2
	v_mul_f32_e32 v3, 0x4f800000, v2
	v_cmp_gt_f32_e32 vcc_lo, 0xf800000, v2
	s_delay_alu instid0(VALU_DEP_2) | instskip(NEXT) | instid1(VALU_DEP_1)
	v_cndmask_b32_e32 v2, v2, v3, vcc_lo
	v_sqrt_f32_e32 v3, v2
	s_waitcnt_depctr 0xfff
	v_add_nc_u32_e32 v4, -1, v3
	v_add_nc_u32_e32 v5, 1, v3
	s_delay_alu instid0(VALU_DEP_2) | instskip(NEXT) | instid1(VALU_DEP_2)
	v_fma_f32 v12, -v4, v3, v2
	v_fma_f32 v21, -v5, v3, v2
	s_delay_alu instid0(VALU_DEP_2) | instskip(NEXT) | instid1(VALU_DEP_1)
	v_cmp_ge_f32_e64 s3, 0, v12
	v_cndmask_b32_e64 v3, v3, v4, s3
	s_delay_alu instid0(VALU_DEP_3) | instskip(NEXT) | instid1(VALU_DEP_1)
	v_cmp_lt_f32_e64 s3, 0, v21
	v_cndmask_b32_e64 v3, v3, v5, s3
	s_delay_alu instid0(VALU_DEP_1) | instskip(NEXT) | instid1(VALU_DEP_1)
	v_mul_f32_e32 v4, 0x37800000, v3
	v_cndmask_b32_e32 v3, v3, v4, vcc_lo
	v_cmp_class_f32_e64 vcc_lo, v2, 0x260
	s_delay_alu instid0(VALU_DEP_2)
	v_cndmask_b32_e32 v26, v3, v2, vcc_lo
                                        ; implicit-def: $vgpr2_vgpr3_vgpr4_vgpr5
                                        ; implicit-def: $vgpr3
                                        ; implicit-def: $vgpr2
.LBB50_753:                             ;   in Loop: Header=BB50_418 Depth=1
	s_and_not1_saveexec_b32 s28, s28
	s_cbranch_execz .LBB50_759
; %bb.754:                              ;   in Loop: Header=BB50_418 Depth=1
	s_mov_b32 s30, exec_lo
                                        ; implicit-def: $vgpr26
                                        ; implicit-def: $sgpr29
	v_cmpx_ngt_f32_e64 |v4|, 1.0
	s_xor_b32 s30, exec_lo, s30
	s_cbranch_execz .LBB50_756
; %bb.755:                              ;   in Loop: Header=BB50_418 Depth=1
	v_sub_f32_e64 v2, 1.0, |v4|
	s_mov_b32 s29, -1
	s_delay_alu instid0(VALU_DEP_1) | instskip(NEXT) | instid1(VALU_DEP_1)
	v_mul_f32_e32 v2, v2, v3
	v_mul_f32_e32 v3, 0x4f800000, v2
	v_cmp_gt_f32_e32 vcc_lo, 0xf800000, v2
	s_delay_alu instid0(VALU_DEP_2) | instskip(NEXT) | instid1(VALU_DEP_1)
	v_cndmask_b32_e32 v2, v2, v3, vcc_lo
	v_sqrt_f32_e32 v3, v2
	s_waitcnt_depctr 0xfff
	v_add_nc_u32_e32 v4, -1, v3
	v_add_nc_u32_e32 v5, 1, v3
	s_delay_alu instid0(VALU_DEP_2) | instskip(NEXT) | instid1(VALU_DEP_2)
	v_fma_f32 v12, -v4, v3, v2
	v_fma_f32 v21, -v5, v3, v2
	s_delay_alu instid0(VALU_DEP_2) | instskip(NEXT) | instid1(VALU_DEP_1)
	v_cmp_ge_f32_e64 s3, 0, v12
	v_cndmask_b32_e64 v3, v3, v4, s3
	s_delay_alu instid0(VALU_DEP_3) | instskip(NEXT) | instid1(VALU_DEP_1)
	v_cmp_lt_f32_e64 s3, 0, v21
	v_cndmask_b32_e64 v3, v3, v5, s3
	s_delay_alu instid0(VALU_DEP_1) | instskip(NEXT) | instid1(VALU_DEP_1)
	v_mul_f32_e32 v4, 0x37800000, v3
	v_cndmask_b32_e32 v3, v3, v4, vcc_lo
	v_cmp_class_f32_e64 vcc_lo, v2, 0x260
	s_delay_alu instid0(VALU_DEP_2)
	v_cndmask_b32_e32 v26, v3, v2, vcc_lo
                                        ; implicit-def: $vgpr2_vgpr3_vgpr4_vgpr5
                                        ; implicit-def: $vgpr3
                                        ; implicit-def: $vgpr2
.LBB50_756:                             ;   in Loop: Header=BB50_418 Depth=1
	s_and_not1_saveexec_b32 s30, s30
	s_cbranch_execz .LBB50_758
; %bb.757:                              ;   in Loop: Header=BB50_418 Depth=1
	v_mul_f32_e32 v2, v3, v2
	v_mul_f32_e64 v5, 0x57800000, |v5|
	v_mul_f32_e64 v25, 0x57800000, |v4|
	s_or_b32 s29, s29, exec_lo
	s_delay_alu instid0(VALU_DEP_3) | instskip(SKIP_2) | instid1(VALU_DEP_3)
	v_mul_f32_e32 v3, 0x4f800000, v2
	v_cmp_gt_f32_e32 vcc_lo, 0xf800000, v2
	v_mul_f32_e64 v5, |v4|, v5
	v_cndmask_b32_e32 v2, v2, v3, vcc_lo
	s_delay_alu instid0(VALU_DEP_1) | instskip(SKIP_3) | instid1(VALU_DEP_2)
	v_sqrt_f32_e32 v3, v2
	s_waitcnt_depctr 0xfff
	v_add_nc_u32_e32 v12, -1, v3
	v_add_nc_u32_e32 v21, 1, v3
	v_fma_f32 v22, -v12, v3, v2
	s_delay_alu instid0(VALU_DEP_2) | instskip(NEXT) | instid1(VALU_DEP_2)
	v_fma_f32 v23, -v21, v3, v2
	v_cmp_ge_f32_e64 s3, 0, v22
	s_delay_alu instid0(VALU_DEP_1) | instskip(NEXT) | instid1(VALU_DEP_3)
	v_cndmask_b32_e64 v3, v3, v12, s3
	v_cmp_lt_f32_e64 s3, 0, v23
	s_delay_alu instid0(VALU_DEP_1) | instskip(NEXT) | instid1(VALU_DEP_1)
	v_cndmask_b32_e64 v3, v3, v21, s3
	v_mul_f32_e32 v12, 0x37800000, v3
	s_delay_alu instid0(VALU_DEP_1) | instskip(SKIP_1) | instid1(VALU_DEP_2)
	v_cndmask_b32_e32 v3, v3, v12, vcc_lo
	v_cmp_class_f32_e64 vcc_lo, v2, 0x260
	v_cndmask_b32_e32 v2, v3, v2, vcc_lo
	s_delay_alu instid0(VALU_DEP_1) | instskip(SKIP_1) | instid1(VALU_DEP_2)
	v_div_scale_f32 v3, null, v2, v2, v5
	v_div_scale_f32 v22, vcc_lo, v5, v2, v5
	v_rcp_f32_e32 v12, v3
	s_waitcnt_depctr 0xfff
	v_fma_f32 v21, -v3, v12, 1.0
	s_delay_alu instid0(VALU_DEP_1) | instskip(NEXT) | instid1(VALU_DEP_1)
	v_fmac_f32_e32 v12, v21, v12
	v_mul_f32_e32 v21, v22, v12
	s_delay_alu instid0(VALU_DEP_1) | instskip(NEXT) | instid1(VALU_DEP_1)
	v_fma_f32 v23, -v3, v21, v22
	v_fmac_f32_e32 v21, v23, v12
	s_delay_alu instid0(VALU_DEP_1) | instskip(NEXT) | instid1(VALU_DEP_1)
	v_fma_f32 v3, -v3, v21, v22
	v_div_fmas_f32 v3, v3, v12, v21
	s_delay_alu instid0(VALU_DEP_1)
	v_div_fixup_f32 v26, v3, v2, v5
.LBB50_758:                             ;   in Loop: Header=BB50_418 Depth=1
	s_or_b32 exec_lo, exec_lo, s30
	s_delay_alu instid0(SALU_CYCLE_1) | instskip(SKIP_1) | instid1(SALU_CYCLE_1)
	s_and_not1_b32 s3, s27, exec_lo
	s_and_b32 s27, s29, exec_lo
	s_or_b32 s27, s3, s27
.LBB50_759:                             ;   in Loop: Header=BB50_418 Depth=1
	s_or_b32 exec_lo, exec_lo, s28
	s_delay_alu instid0(SALU_CYCLE_1)
	s_and_b32 s27, s27, exec_lo
                                        ; implicit-def: $vgpr2_vgpr3_vgpr4_vgpr5
                                        ; implicit-def: $vgpr12
.LBB50_760:                             ;   in Loop: Header=BB50_418 Depth=1
	s_and_not1_saveexec_b32 s28, s4
	s_cbranch_execz .LBB50_762
; %bb.761:                              ;   in Loop: Header=BB50_418 Depth=1
	v_add_f32_e32 v2, 1.0, v12
	v_mul_f32_e64 v3, 0x4f800000, |v5|
	v_cmp_gt_f32_e64 vcc_lo, 0xf800000, |v5|
	s_or_b32 s27, s27, exec_lo
	s_delay_alu instid0(VALU_DEP_3) | instskip(NEXT) | instid1(VALU_DEP_2)
	v_mul_f32_e32 v2, 0.5, v2
	v_cndmask_b32_e64 v3, |v5|, v3, vcc_lo
	s_delay_alu instid0(VALU_DEP_2) | instskip(SKIP_1) | instid1(VALU_DEP_1)
	v_mul_f32_e32 v4, 0x4f800000, v2
	v_cmp_gt_f32_e64 s3, 0xf800000, v2
	v_cndmask_b32_e64 v2, v2, v4, s3
	s_delay_alu instid0(VALU_DEP_4) | instskip(NEXT) | instid1(VALU_DEP_1)
	v_sqrt_f32_e32 v4, v3
	v_sqrt_f32_e32 v5, v2
	s_waitcnt_depctr 0xfff
	v_add_nc_u32_e32 v12, -1, v4
	v_add_nc_u32_e32 v22, 1, v4
	v_add_nc_u32_e32 v21, -1, v5
	s_delay_alu instid0(VALU_DEP_3) | instskip(SKIP_1) | instid1(VALU_DEP_4)
	v_fma_f32 v23, -v12, v4, v3
	v_add_nc_u32_e32 v25, 1, v5
	v_fma_f32 v27, -v22, v4, v3
	s_delay_alu instid0(VALU_DEP_4) | instskip(NEXT) | instid1(VALU_DEP_4)
	v_fma_f32 v26, -v21, v5, v2
	v_cmp_ge_f32_e64 s4, 0, v23
	s_delay_alu instid0(VALU_DEP_1) | instskip(NEXT) | instid1(VALU_DEP_3)
	v_cndmask_b32_e64 v4, v4, v12, s4
	v_cmp_ge_f32_e64 s4, 0, v26
	v_fma_f32 v12, -v25, v5, v2
	s_delay_alu instid0(VALU_DEP_2) | instskip(SKIP_1) | instid1(VALU_DEP_1)
	v_cndmask_b32_e64 v5, v5, v21, s4
	v_cmp_lt_f32_e64 s4, 0, v27
	v_cndmask_b32_e64 v4, v4, v22, s4
	s_delay_alu instid0(VALU_DEP_4) | instskip(NEXT) | instid1(VALU_DEP_2)
	v_cmp_lt_f32_e64 s4, 0, v12
	v_mul_f32_e32 v12, 0x37800000, v4
	s_delay_alu instid0(VALU_DEP_2) | instskip(NEXT) | instid1(VALU_DEP_2)
	v_cndmask_b32_e64 v5, v5, v25, s4
	v_dual_mov_b32 v25, 1.0 :: v_dual_cndmask_b32 v4, v4, v12
	s_delay_alu instid0(VALU_DEP_2) | instskip(SKIP_1) | instid1(VALU_DEP_2)
	v_mul_f32_e32 v21, 0x37800000, v5
	v_cmp_class_f32_e64 vcc_lo, v3, 0x260
	v_cndmask_b32_e64 v5, v5, v21, s3
	s_delay_alu instid0(VALU_DEP_4) | instskip(SKIP_1) | instid1(VALU_DEP_3)
	v_cndmask_b32_e32 v3, v4, v3, vcc_lo
	v_cmp_class_f32_e64 vcc_lo, v2, 0x260
	v_cndmask_b32_e32 v2, v5, v2, vcc_lo
	s_delay_alu instid0(VALU_DEP_1)
	v_mul_f32_e32 v26, v3, v2
.LBB50_762:                             ;   in Loop: Header=BB50_418 Depth=1
	s_or_b32 exec_lo, exec_lo, s28
	s_delay_alu instid0(SALU_CYCLE_1)
	s_and_b32 s3, s27, exec_lo
.LBB50_763:                             ;   in Loop: Header=BB50_418 Depth=1
	s_or_b32 exec_lo, exec_lo, s26
	s_delay_alu instid0(SALU_CYCLE_1)
	s_and_b32 s3, s3, exec_lo
                                        ; implicit-def: $vgpr12
                                        ; implicit-def: $vgpr2_vgpr3_vgpr4_vgpr5
.LBB50_764:                             ;   in Loop: Header=BB50_418 Depth=1
	s_and_not1_saveexec_b32 s4, s25
; %bb.765:                              ;   in Loop: Header=BB50_418 Depth=1
	v_mul_f32_e32 v26, 0x4b800000, v12
	v_mul_f32_e64 v25, 0x4b800000, |v4|
	s_or_b32 s3, s3, exec_lo
                                        ; implicit-def: $vgpr24
; %bb.766:                              ;   in Loop: Header=BB50_418 Depth=1
	s_or_b32 exec_lo, exec_lo, s4
	s_xor_b32 s3, s3, -1
	s_delay_alu instid0(SALU_CYCLE_1) | instskip(NEXT) | instid1(SALU_CYCLE_1)
	s_and_saveexec_b32 s4, s3
	s_xor_b32 s4, exec_lo, s4
	s_cbranch_execz .LBB50_772
; %bb.767:                              ;   in Loop: Header=BB50_418 Depth=1
	s_and_saveexec_b32 s3, s2
	s_delay_alu instid0(SALU_CYCLE_1)
	s_xor_b32 s3, exec_lo, s3
	s_cbranch_execz .LBB50_769
; %bb.768:                              ;   in Loop: Header=BB50_418 Depth=1
	v_fma_f32 v2, |v24|, -0.5, 0.5
	v_mul_f32_e32 v3, v24, v24
	v_cmp_gt_f32_e64 vcc_lo, |v24|, 0.5
	s_delay_alu instid0(VALU_DEP_2) | instskip(NEXT) | instid1(VALU_DEP_1)
	v_cndmask_b32_e32 v2, v3, v2, vcc_lo
	v_fmaak_f32 v3, s19, v2, 0x3c5fc5da
	v_sqrt_f32_e32 v4, v2
	s_delay_alu instid0(VALU_DEP_1) | instskip(NEXT) | instid1(VALU_DEP_1)
	v_fmaak_f32 v3, v2, v3, 0x3d034c3c
	v_fmaak_f32 v3, v2, v3, 0x3d3641b1
	s_delay_alu instid0(VALU_DEP_1) | instskip(NEXT) | instid1(VALU_DEP_1)
	v_fmaak_f32 v3, v2, v3, 0x3d999bc8
	v_fmaak_f32 v3, v2, v3, 0x3e2aaaac
	s_delay_alu instid0(VALU_DEP_1) | instskip(NEXT) | instid1(VALU_DEP_1)
	v_mul_f32_e32 v2, v2, v3
	v_fmac_f32_e32 v24, v24, v2
	s_delay_alu instid0(TRANS32_DEP_1) | instid1(VALU_DEP_1)
	v_dual_fmac_f32 v4, v4, v2 :: v_dual_sub_f32 v3, 0x3fc90fdb, v24
	s_delay_alu instid0(VALU_DEP_1) | instskip(NEXT) | instid1(VALU_DEP_1)
	v_add_f32_e32 v2, v4, v4
                                        ; implicit-def: $vgpr24
	v_cndmask_b32_e32 v12, v3, v2, vcc_lo
.LBB50_769:                             ;   in Loop: Header=BB50_418 Depth=1
	s_and_not1_saveexec_b32 s25, s3
	s_cbranch_execz .LBB50_771
; %bb.770:                              ;   in Loop: Header=BB50_418 Depth=1
	v_fma_f32 v2, |v24|, -0.5, 0.5
	v_mul_f32_e32 v3, v24, v24
	v_cmp_gt_f32_e64 vcc_lo, |v24|, 0.5
	v_cmp_lt_f32_e64 s3, 0, v24
	s_delay_alu instid0(VALU_DEP_3) | instskip(NEXT) | instid1(VALU_DEP_1)
	v_cndmask_b32_e32 v2, v3, v2, vcc_lo
	v_fmaak_f32 v3, s19, v2, 0x3c5fc5da
	v_sqrt_f32_e32 v4, v2
	s_delay_alu instid0(VALU_DEP_1) | instskip(NEXT) | instid1(VALU_DEP_1)
	v_fmaak_f32 v3, v2, v3, 0x3d034c3c
	v_fmaak_f32 v3, v2, v3, 0x3d3641b1
	s_delay_alu instid0(VALU_DEP_1) | instskip(NEXT) | instid1(VALU_DEP_1)
	v_fmaak_f32 v3, v2, v3, 0x3d999bc8
	v_fmaak_f32 v3, v2, v3, 0x3e2aaaac
	s_delay_alu instid0(VALU_DEP_1) | instskip(SKIP_3) | instid1(VALU_DEP_1)
	v_mul_f32_e32 v2, v2, v3
	s_waitcnt_depctr 0xfff
	v_fmac_f32_e32 v4, v4, v2
	v_fma_f32 v2, -v24, v2, -v24
	v_dual_add_f32 v3, v4, v4 :: v_dual_sub_f32 v2, 0x3fc90fdb, v2
	s_delay_alu instid0(VALU_DEP_1) | instskip(NEXT) | instid1(VALU_DEP_1)
	v_sub_f32_e32 v4, 0x40490fdb, v3
	v_cndmask_b32_e64 v3, v3, v4, s3
	s_delay_alu instid0(VALU_DEP_1)
	v_cndmask_b32_e32 v12, v2, v3, vcc_lo
.LBB50_771:                             ;   in Loop: Header=BB50_418 Depth=1
	s_or_b32 exec_lo, exec_lo, s25
                                        ; implicit-def: $vgpr26
                                        ; implicit-def: $vgpr25
.LBB50_772:                             ;   in Loop: Header=BB50_418 Depth=1
	s_and_not1_saveexec_b32 s4, s4
	s_cbranch_execz .LBB50_778
; %bb.773:                              ;   in Loop: Header=BB50_418 Depth=1
	s_and_saveexec_b32 s3, s2
	s_delay_alu instid0(SALU_CYCLE_1)
	s_xor_b32 s3, exec_lo, s3
	s_cbranch_execz .LBB50_775
; %bb.774:                              ;   in Loop: Header=BB50_418 Depth=1
	v_max_f32_e64 v2, |v26|, |v26|
	v_max_f32_e32 v3, v25, v25
	v_cmp_gt_f32_e64 vcc_lo, |v26|, v25
	v_cmp_neq_f32_e64 s2, 0, v26
	v_cmp_class_f32_e64 s25, v26, 0x204
	s_delay_alu instid0(VALU_DEP_4) | instskip(SKIP_1) | instid1(VALU_DEP_2)
	v_max_f32_e32 v4, v3, v2
	v_min_f32_e32 v2, v3, v2
	v_frexp_mant_f32_e32 v5, v4
	s_delay_alu instid0(VALU_DEP_1) | instskip(NEXT) | instid1(VALU_DEP_2)
	v_rcp_f32_e32 v3, v5
	v_frexp_mant_f32_e32 v5, v2
	v_frexp_exp_i32_f32_e32 v2, v2
	s_waitcnt_depctr 0xfff
	v_mul_f32_e32 v3, v5, v3
	v_frexp_exp_i32_f32_e32 v4, v4
	s_delay_alu instid0(VALU_DEP_1) | instskip(NEXT) | instid1(VALU_DEP_1)
	v_sub_nc_u32_e32 v2, v2, v4
	v_ldexp_f32 v2, v3, v2
	s_delay_alu instid0(VALU_DEP_1) | instskip(NEXT) | instid1(VALU_DEP_1)
	v_mul_f32_e32 v3, v2, v2
	v_fmaak_f32 v4, s20, v3, 0xbc7a590c
	s_delay_alu instid0(VALU_DEP_1) | instskip(NEXT) | instid1(VALU_DEP_1)
	v_fmaak_f32 v4, v3, v4, 0x3d29fb3f
	v_fmaak_f32 v4, v3, v4, 0xbd97d4d7
	s_delay_alu instid0(VALU_DEP_1) | instskip(NEXT) | instid1(VALU_DEP_1)
	v_fmaak_f32 v4, v3, v4, 0x3dd931b2
	;; [unrolled: 3-line block ×3, first 2 shown]
	v_fmaak_f32 v4, v3, v4, 0xbeaaaa62
	s_delay_alu instid0(VALU_DEP_1) | instskip(NEXT) | instid1(VALU_DEP_1)
	v_mul_f32_e32 v3, v3, v4
	v_fmac_f32_e32 v2, v2, v3
	s_delay_alu instid0(VALU_DEP_1) | instskip(NEXT) | instid1(VALU_DEP_1)
	v_sub_f32_e32 v3, 0x3fc90fdb, v2
	v_cndmask_b32_e32 v2, v2, v3, vcc_lo
	v_cmp_eq_f32_e32 vcc_lo, 0x7f800000, v25
	s_delay_alu instid0(VALU_DEP_2) | instskip(SKIP_2) | instid1(VALU_DEP_2)
	v_cndmask_b32_e64 v2, 0, v2, s2
	s_and_b32 s2, vcc_lo, s25
	v_cmp_o_f32_e32 vcc_lo, v25, v26
                                        ; implicit-def: $vgpr25
	v_cndmask_b32_e64 v2, v2, 0x3f490fdb, s2
	s_delay_alu instid0(VALU_DEP_1) | instskip(NEXT) | instid1(VALU_DEP_1)
	v_cndmask_b32_e32 v2, 0x7fc00000, v2, vcc_lo
	v_bfi_b32 v12, 0x7fffffff, v2, v26
                                        ; implicit-def: $vgpr26
.LBB50_775:                             ;   in Loop: Header=BB50_418 Depth=1
	s_and_not1_saveexec_b32 s25, s3
	s_cbranch_execz .LBB50_777
; %bb.776:                              ;   in Loop: Header=BB50_418 Depth=1
	v_max_f32_e64 v2, |v26|, |v26|
	v_max_f32_e32 v3, v25, v25
	v_cmp_gt_f32_e64 vcc_lo, |v26|, v25
	v_cmp_neq_f32_e64 s3, 0, v26
	v_cmp_eq_f32_e64 s2, 0x7f800000, v25
	v_cmp_class_f32_e64 s26, v26, 0x204
	v_max_f32_e32 v4, v3, v2
	v_min_f32_e32 v2, v3, v2
	s_delay_alu instid0(VALU_DEP_2) | instskip(SKIP_1) | instid1(VALU_DEP_2)
	v_frexp_mant_f32_e32 v5, v4
	v_frexp_exp_i32_f32_e32 v4, v4
	v_rcp_f32_e32 v3, v5
	s_delay_alu instid0(VALU_DEP_3) | instskip(SKIP_1) | instid1(VALU_DEP_2)
	v_frexp_exp_i32_f32_e32 v5, v2
	v_frexp_mant_f32_e32 v2, v2
	v_sub_nc_u32_e32 v4, v5, v4
	s_waitcnt_depctr 0xfff
	v_mul_f32_e32 v2, v2, v3
	s_delay_alu instid0(VALU_DEP_1) | instskip(NEXT) | instid1(VALU_DEP_1)
	v_ldexp_f32 v2, v2, v4
	v_mul_f32_e32 v3, v2, v2
	s_delay_alu instid0(VALU_DEP_1) | instskip(NEXT) | instid1(VALU_DEP_1)
	v_fmaak_f32 v4, s20, v3, 0xbc7a590c
	v_fmaak_f32 v4, v3, v4, 0x3d29fb3f
	s_delay_alu instid0(VALU_DEP_1) | instskip(NEXT) | instid1(VALU_DEP_1)
	v_fmaak_f32 v4, v3, v4, 0xbd97d4d7
	v_fmaak_f32 v4, v3, v4, 0x3dd931b2
	;; [unrolled: 3-line block ×3, first 2 shown]
	s_delay_alu instid0(VALU_DEP_1) | instskip(NEXT) | instid1(VALU_DEP_1)
	v_fmaak_f32 v4, v3, v4, 0xbeaaaa62
	v_mul_f32_e32 v3, v3, v4
	s_delay_alu instid0(VALU_DEP_1) | instskip(NEXT) | instid1(VALU_DEP_1)
	v_fmac_f32_e32 v2, v2, v3
	v_sub_f32_e32 v3, 0x3fc90fdb, v2
	s_delay_alu instid0(VALU_DEP_1) | instskip(SKIP_1) | instid1(VALU_DEP_2)
	v_cndmask_b32_e32 v2, v2, v3, vcc_lo
	v_cmp_lt_f32_e32 vcc_lo, 0, v25
	v_sub_f32_e32 v3, 0x40490fdb, v2
	s_delay_alu instid0(VALU_DEP_1) | instskip(SKIP_2) | instid1(VALU_DEP_2)
	v_cndmask_b32_e32 v2, v2, v3, vcc_lo
	v_cndmask_b32_e32 v3, 0x3f490fdb, v20, vcc_lo
	s_and_b32 vcc_lo, s2, s26
	v_cndmask_b32_e64 v2, 0x40490fdb, v2, s3
	s_delay_alu instid0(VALU_DEP_1) | instskip(SKIP_1) | instid1(VALU_DEP_2)
	v_cndmask_b32_e32 v2, v2, v3, vcc_lo
	v_cmp_o_f32_e64 vcc_lo, v26, -v25
	v_cndmask_b32_e32 v2, 0x7fc00000, v2, vcc_lo
	s_delay_alu instid0(VALU_DEP_1)
	v_bfi_b32 v12, 0x7fffffff, v2, v26
.LBB50_777:                             ;   in Loop: Header=BB50_418 Depth=1
	s_or_b32 exec_lo, exec_lo, s25
.LBB50_778:                             ;   in Loop: Header=BB50_418 Depth=1
	s_delay_alu instid0(SALU_CYCLE_1)
	s_or_b32 exec_lo, exec_lo, s4
	v_cndmask_b32_e64 v13, -v13, v13, s0
                                        ; implicit-def: $vgpr2_vgpr3_vgpr4_vgpr5
.LBB50_779:                             ;   in Loop: Header=BB50_418 Depth=1
	s_and_not1_saveexec_b32 s2, s24
	s_cbranch_execz .LBB50_781
; %bb.780:                              ;   in Loop: Header=BB50_418 Depth=1
	s_waitcnt lgkmcnt(0)
	v_dual_mov_b32 v2, s8 :: v_dual_mov_b32 v3, s9
	v_xor_b32_e32 v13, 0x80000000, v5
	flat_load_b32 v2, v[2:3] glc dlc
	s_waitcnt vmcnt(0) lgkmcnt(0)
	v_sub_f32_e32 v2, v2, v4
	s_delay_alu instid0(VALU_DEP_1)
	v_add_f32_e32 v12, 0x3fc90fdb, v2
.LBB50_781:                             ;   in Loop: Header=BB50_418 Depth=1
	s_or_b32 exec_lo, exec_lo, s2
                                        ; implicit-def: $vgpr2_vgpr3_vgpr4_vgpr5
.LBB50_782:                             ;   in Loop: Header=BB50_418 Depth=1
	s_and_not1_saveexec_b32 s2, s23
; %bb.783:                              ;   in Loop: Header=BB50_418 Depth=1
	v_xor_b32_e32 v13, 0x80000000, v5
	v_mov_b32_e32 v12, 0
; %bb.784:                              ;   in Loop: Header=BB50_418 Depth=1
	s_or_b32 exec_lo, exec_lo, s2
                                        ; implicit-def: $vgpr2_vgpr3_vgpr4_vgpr5
                                        ; implicit-def: $vgpr21
                                        ; implicit-def: $vgpr3
                                        ; implicit-def: $vgpr2
.LBB50_785:                             ;   in Loop: Header=BB50_418 Depth=1
	s_and_not1_saveexec_b32 s4, s22
	s_cbranch_execz .LBB50_795
; %bb.786:                              ;   in Loop: Header=BB50_418 Depth=1
	v_cmp_lt_f32_e64 s2, |v4|, |v5|
                                        ; implicit-def: $vgpr13
                                        ; implicit-def: $vgpr12
	s_mov_b32 s3, exec_lo
	s_delay_alu instid0(VALU_DEP_1) | instskip(NEXT) | instid1(VALU_DEP_1)
	v_cndmask_b32_e64 v22, |v4|, |v5|, s2
	v_cmpx_nlt_f32_e32 0x7effffff, v22
	s_xor_b32 s22, exec_lo, s3
	s_cbranch_execz .LBB50_792
; %bb.787:                              ;   in Loop: Header=BB50_418 Depth=1
	v_cndmask_b32_e64 v23, |v5|, |v4|, s2
	v_cmp_nlt_f32_e32 vcc_lo, 0x5e000000, v22
                                        ; implicit-def: $vgpr13
                                        ; implicit-def: $vgpr12
	s_delay_alu instid0(VALU_DEP_2) | instskip(NEXT) | instid1(VALU_DEP_1)
	v_cmp_ngt_f32_e64 s3, 0x20000000, v23
	s_and_b32 s3, vcc_lo, s3
	s_delay_alu instid0(SALU_CYCLE_1) | instskip(NEXT) | instid1(SALU_CYCLE_1)
	s_and_saveexec_b32 s23, s3
	s_xor_b32 s23, exec_lo, s23
	s_cbranch_execz .LBB50_789
; %bb.788:                              ;   in Loop: Header=BB50_418 Depth=1
	s_waitcnt lgkmcnt(0)
	v_frexp_mant_f32_e32 v12, v2
	v_frexp_exp_i32_f32_e32 v2, v2
	v_mul_f32_e32 v13, v23, v23
	s_delay_alu instid0(VALU_DEP_3) | instskip(SKIP_1) | instid1(VALU_DEP_1)
	v_rcp_f32_e32 v12, v12
	v_min_f32_e32 v3, v3, v21
	v_frexp_mant_f32_e32 v21, v3
	s_waitcnt_depctr 0xfff
	v_mul_f32_e32 v12, v21, v12
	v_frexp_exp_i32_f32_e32 v3, v3
	s_delay_alu instid0(VALU_DEP_1) | instskip(NEXT) | instid1(VALU_DEP_1)
	v_sub_nc_u32_e32 v2, v3, v2
	v_ldexp_f32 v12, v12, v2
	v_fmac_f32_e32 v13, v22, v22
	s_delay_alu instid0(VALU_DEP_1) | instskip(SKIP_1) | instid1(VALU_DEP_1)
	v_cmp_gt_f32_e32 vcc_lo, 0x800000, v13
	v_cndmask_b32_e64 v3, 1.0, 0x4f800000, vcc_lo
	v_dual_mul_f32 v2, v13, v3 :: v_dual_mul_f32 v3, v12, v12
	s_delay_alu instid0(VALU_DEP_1) | instskip(SKIP_3) | instid1(VALU_DEP_2)
	v_log_f32_e32 v2, v2
	s_waitcnt_depctr 0xfff
	v_mul_f32_e32 v21, 0x3f317217, v2
	v_cmp_gt_f32_e64 s3, 0x7f800000, |v2|
	v_fma_f32 v22, 0x3f317217, v2, -v21
	s_delay_alu instid0(VALU_DEP_1) | instskip(NEXT) | instid1(VALU_DEP_1)
	v_fmac_f32_e32 v22, 0x3377d1cf, v2
	v_add_f32_e32 v21, v21, v22
	s_delay_alu instid0(VALU_DEP_1) | instskip(SKIP_1) | instid1(VALU_DEP_1)
	v_cndmask_b32_e64 v2, v2, v21, s3
	v_cndmask_b32_e64 v21, 0, 0x41b17218, vcc_lo
	v_dual_fmaak_f32 v13, s20, v3, 0xbc7a590c :: v_dual_sub_f32 v2, v2, v21
	s_delay_alu instid0(VALU_DEP_1) | instskip(NEXT) | instid1(VALU_DEP_1)
	v_fmaak_f32 v13, v3, v13, 0x3d29fb3f
                                        ; implicit-def: $vgpr21
	v_fmaak_f32 v13, v3, v13, 0xbd97d4d7
	s_delay_alu instid0(VALU_DEP_1) | instskip(NEXT) | instid1(VALU_DEP_1)
	v_fmaak_f32 v13, v3, v13, 0x3dd931b2
	v_fmaak_f32 v13, v3, v13, 0xbe1160e6
	s_delay_alu instid0(VALU_DEP_1) | instskip(NEXT) | instid1(VALU_DEP_1)
	v_fmaak_f32 v13, v3, v13, 0x3e4cb8bf
	v_fmaak_f32 v13, v3, v13, 0xbeaaaa62
	s_delay_alu instid0(VALU_DEP_1) | instskip(SKIP_1) | instid1(VALU_DEP_2)
	v_mul_f32_e32 v3, v3, v13
	v_mul_f32_e32 v13, 0.5, v2
                                        ; implicit-def: $vgpr2
	v_fmac_f32_e32 v12, v12, v3
                                        ; implicit-def: $vgpr3
.LBB50_789:                             ;   in Loop: Header=BB50_418 Depth=1
	s_and_not1_saveexec_b32 s3, s23
	s_cbranch_execz .LBB50_791
; %bb.790:                              ;   in Loop: Header=BB50_418 Depth=1
	s_waitcnt lgkmcnt(0)
	v_cvt_f64_f32_e32 v[12:13], v2
	v_cmp_neq_f32_e32 vcc_lo, 0x7f800000, v2
	v_min_f32_e32 v3, v3, v21
	v_frexp_exp_i32_f32_e32 v21, v2
	s_delay_alu instid0(VALU_DEP_2) | instskip(SKIP_1) | instid1(VALU_DEP_2)
	v_frexp_exp_i32_f32_e32 v23, v3
	v_frexp_mant_f32_e32 v3, v3
	v_sub_nc_u32_e32 v21, v23, v21
	v_frexp_exp_i32_f64_e32 v12, v[12:13]
	s_delay_alu instid0(VALU_DEP_1) | instskip(NEXT) | instid1(VALU_DEP_1)
	v_sub_nc_u32_e32 v13, 0, v12
	v_ldexp_f32 v22, |v5|, v13
	v_ldexp_f32 v13, |v4|, v13
	s_delay_alu instid0(VALU_DEP_2) | instskip(NEXT) | instid1(VALU_DEP_1)
	v_mul_f32_e32 v22, v22, v22
	v_fmac_f32_e32 v22, v13, v13
	v_frexp_mant_f32_e32 v13, v2
	s_delay_alu instid0(VALU_DEP_2) | instskip(NEXT) | instid1(VALU_DEP_1)
	v_sqrt_f32_e32 v22, v22
	v_rcp_f32_e32 v13, v13
	s_waitcnt_depctr 0xfff
	v_ldexp_f32 v12, v22, v12
	s_delay_alu instid0(VALU_DEP_1) | instskip(NEXT) | instid1(VALU_DEP_1)
	v_dual_mul_f32 v3, v3, v13 :: v_dual_cndmask_b32 v2, 0x7f800000, v12
	v_ldexp_f32 v12, v3, v21
	s_delay_alu instid0(VALU_DEP_2) | instskip(NEXT) | instid1(VALU_DEP_2)
	v_cmp_gt_f32_e32 vcc_lo, 0x800000, v2
	v_mul_f32_e32 v13, v12, v12
	v_cndmask_b32_e64 v3, 1.0, 0x4f800000, vcc_lo
	s_delay_alu instid0(VALU_DEP_1) | instskip(NEXT) | instid1(VALU_DEP_1)
	v_dual_mul_f32 v2, v2, v3 :: v_dual_fmaak_f32 v3, s20, v13, 0xbc7a590c
	v_log_f32_e32 v2, v2
	s_waitcnt_depctr 0xfff
	v_mul_f32_e32 v21, 0x3f317217, v2
	s_delay_alu instid0(VALU_DEP_1) | instskip(NEXT) | instid1(VALU_DEP_1)
	v_fma_f32 v22, 0x3f317217, v2, -v21
	v_fmac_f32_e32 v22, 0x3377d1cf, v2
	s_delay_alu instid0(VALU_DEP_1) | instskip(SKIP_2) | instid1(VALU_DEP_3)
	v_add_f32_e32 v21, v21, v22
	v_cndmask_b32_e64 v22, 0, 0x41b17218, vcc_lo
	v_cmp_gt_f32_e64 vcc_lo, 0x7f800000, |v2|
	v_dual_fmaak_f32 v3, v13, v3, 0x3d29fb3f :: v_dual_cndmask_b32 v2, v2, v21
	s_delay_alu instid0(VALU_DEP_1) | instskip(NEXT) | instid1(VALU_DEP_1)
	v_fmaak_f32 v3, v13, v3, 0xbd97d4d7
	v_fmaak_f32 v3, v13, v3, 0x3dd931b2
	s_delay_alu instid0(VALU_DEP_1) | instskip(NEXT) | instid1(VALU_DEP_1)
	v_fmaak_f32 v3, v13, v3, 0xbe1160e6
	v_fmaak_f32 v3, v13, v3, 0x3e4cb8bf
	s_delay_alu instid0(VALU_DEP_1) | instskip(NEXT) | instid1(VALU_DEP_1)
	v_fmaak_f32 v3, v13, v3, 0xbeaaaa62
	v_mul_f32_e32 v3, v13, v3
	s_delay_alu instid0(VALU_DEP_1)
	v_dual_sub_f32 v13, v2, v22 :: v_dual_fmac_f32 v12, v12, v3
.LBB50_791:                             ;   in Loop: Header=BB50_418 Depth=1
	s_or_b32 exec_lo, exec_lo, s3
                                        ; implicit-def: $vgpr3
                                        ; implicit-def: $vgpr21
                                        ; implicit-def: $vgpr2
.LBB50_792:                             ;   in Loop: Header=BB50_418 Depth=1
	s_and_not1_saveexec_b32 s22, s22
	s_cbranch_execz .LBB50_794
; %bb.793:                              ;   in Loop: Header=BB50_418 Depth=1
	v_div_scale_f32 v12, null, 0x402df854, 0x402df854, v4
	v_div_scale_f32 v13, null, 0x402df854, 0x402df854, v5
	v_div_scale_f32 v26, vcc_lo, v4, 0x402df854, v4
	s_delay_alu instid0(VALU_DEP_3) | instskip(NEXT) | instid1(VALU_DEP_2)
	v_rcp_f32_e32 v22, v12
	v_rcp_f32_e32 v23, v13
	v_min_f32_e32 v3, v3, v21
	s_waitcnt_depctr 0xfff
	v_fma_f32 v24, -v12, v22, 1.0
	v_fma_f32 v25, -v13, v23, 1.0
	s_delay_alu instid0(VALU_DEP_1) | instskip(SKIP_1) | instid1(VALU_DEP_2)
	v_dual_fmac_f32 v22, v24, v22 :: v_dual_fmac_f32 v23, v25, v23
	v_div_scale_f32 v24, s3, v5, 0x402df854, v5
	v_mul_f32_e32 v25, v26, v22
	s_delay_alu instid0(VALU_DEP_2) | instskip(NEXT) | instid1(VALU_DEP_2)
	v_mul_f32_e32 v27, v24, v23
	v_fma_f32 v28, -v12, v25, v26
	s_delay_alu instid0(VALU_DEP_2) | instskip(NEXT) | instid1(VALU_DEP_2)
	v_fma_f32 v29, -v13, v27, v24
	v_fmac_f32_e32 v25, v28, v22
	s_delay_alu instid0(VALU_DEP_2) | instskip(NEXT) | instid1(VALU_DEP_2)
	v_fmac_f32_e32 v27, v29, v23
	v_fma_f32 v12, -v12, v25, v26
	s_delay_alu instid0(VALU_DEP_2) | instskip(NEXT) | instid1(VALU_DEP_2)
	v_fma_f32 v13, -v13, v27, v24
	v_div_fmas_f32 v12, v12, v22, v25
	s_mov_b32 vcc_lo, s3
	s_delay_alu instid0(VALU_DEP_2) | instskip(NEXT) | instid1(VALU_DEP_2)
	v_div_fmas_f32 v13, v13, v23, v27
	v_div_fixup_f32 v22, v12, 0x402df854, v4
	s_delay_alu instid0(VALU_DEP_2) | instskip(NEXT) | instid1(VALU_DEP_1)
	v_div_fixup_f32 v23, v13, 0x402df854, v5
	v_max_f32_e64 v24, |v22|, |v23|
	s_delay_alu instid0(VALU_DEP_1) | instskip(SKIP_1) | instid1(VALU_DEP_2)
	v_cvt_f64_f32_e32 v[12:13], v24
	v_cmp_neq_f32_e32 vcc_lo, 0x7f800000, v24
	v_frexp_exp_i32_f64_e32 v12, v[12:13]
	s_delay_alu instid0(VALU_DEP_1) | instskip(NEXT) | instid1(VALU_DEP_1)
	v_sub_nc_u32_e32 v13, 0, v12
	v_ldexp_f32 v23, |v23|, v13
	v_ldexp_f32 v13, |v22|, v13
	s_delay_alu instid0(VALU_DEP_2) | instskip(NEXT) | instid1(VALU_DEP_1)
	v_mul_f32_e32 v22, v23, v23
	v_fmac_f32_e32 v22, v13, v13
	s_delay_alu instid0(VALU_DEP_1) | instskip(SKIP_3) | instid1(VALU_DEP_2)
	v_sqrt_f32_e32 v13, v22
	s_waitcnt lgkmcnt(0)
	v_frexp_mant_f32_e32 v22, v2
	v_frexp_exp_i32_f32_e32 v2, v2
	v_rcp_f32_e32 v21, v22
	s_waitcnt_depctr 0xfff
	v_ldexp_f32 v12, v13, v12
	v_frexp_exp_i32_f32_e32 v13, v3
	v_frexp_mant_f32_e32 v3, v3
	s_delay_alu instid0(VALU_DEP_3) | instskip(NEXT) | instid1(VALU_DEP_3)
	v_cndmask_b32_e32 v22, 0x7f800000, v12, vcc_lo
	v_sub_nc_u32_e32 v2, v13, v2
	s_delay_alu instid0(VALU_DEP_3) | instskip(NEXT) | instid1(VALU_DEP_3)
	v_mul_f32_e32 v3, v3, v21
	v_cmp_gt_f32_e32 vcc_lo, 0x800000, v22
	s_delay_alu instid0(VALU_DEP_2) | instskip(SKIP_1) | instid1(VALU_DEP_1)
	v_ldexp_f32 v12, v3, v2
	v_cndmask_b32_e64 v13, 1.0, 0x4f800000, vcc_lo
	v_mul_f32_e32 v2, v22, v13
	s_delay_alu instid0(VALU_DEP_1) | instskip(SKIP_2) | instid1(VALU_DEP_1)
	v_log_f32_e32 v2, v2
	s_waitcnt_depctr 0xfff
	v_mul_f32_e32 v21, 0x3f317217, v2
	v_fma_f32 v22, 0x3f317217, v2, -v21
	s_delay_alu instid0(VALU_DEP_1) | instskip(NEXT) | instid1(VALU_DEP_1)
	v_fmac_f32_e32 v22, 0x3377d1cf, v2
	v_add_f32_e32 v21, v21, v22
	v_cndmask_b32_e64 v22, 0, 0x41b17218, vcc_lo
	v_cmp_gt_f32_e64 vcc_lo, 0x7f800000, |v2|
	s_delay_alu instid0(VALU_DEP_3) | instskip(NEXT) | instid1(VALU_DEP_1)
	v_dual_mul_f32 v3, v12, v12 :: v_dual_cndmask_b32 v2, v2, v21
	v_dual_fmaak_f32 v13, s20, v3, 0xbc7a590c :: v_dual_sub_f32 v2, v2, v22
	s_delay_alu instid0(VALU_DEP_1) | instskip(NEXT) | instid1(VALU_DEP_1)
	v_fmaak_f32 v13, v3, v13, 0x3d29fb3f
	v_fmaak_f32 v13, v3, v13, 0xbd97d4d7
	s_delay_alu instid0(VALU_DEP_1) | instskip(NEXT) | instid1(VALU_DEP_1)
	v_fmaak_f32 v13, v3, v13, 0x3dd931b2
	v_fmaak_f32 v13, v3, v13, 0xbe1160e6
	;; [unrolled: 3-line block ×3, first 2 shown]
	s_delay_alu instid0(VALU_DEP_1) | instskip(NEXT) | instid1(VALU_DEP_1)
	v_mul_f32_e32 v3, v3, v13
	v_dual_add_f32 v13, 1.0, v2 :: v_dual_fmac_f32 v12, v12, v3
.LBB50_794:                             ;   in Loop: Header=BB50_418 Depth=1
	s_or_b32 exec_lo, exec_lo, s22
	s_waitcnt lgkmcnt(0)
	s_delay_alu instid0(VALU_DEP_1) | instskip(SKIP_1) | instid1(VALU_DEP_2)
	v_sub_f32_e32 v2, 0x3fc90fdb, v12
	v_cmp_gt_f32_e32 vcc_lo, 0, v4
	v_cndmask_b32_e64 v2, v12, v2, s2
	v_cndmask_b32_e64 v12, 0, 0x40490fdb, s1
	v_cmp_class_f32_e64 s1, v4, 0x204
	v_cmp_class_f32_e64 s2, v5, 0x204
	s_delay_alu instid0(VALU_DEP_4) | instskip(NEXT) | instid1(VALU_DEP_1)
	v_sub_f32_e32 v3, 0x40490fdb, v2
	v_cndmask_b32_e32 v2, v2, v3, vcc_lo
	v_cndmask_b32_e32 v3, 0x3f490fdb, v20, vcc_lo
	v_cmp_eq_f32_e32 vcc_lo, 0, v5
	s_delay_alu instid0(VALU_DEP_3) | instskip(SKIP_1) | instid1(VALU_DEP_1)
	v_cndmask_b32_e32 v2, v2, v12, vcc_lo
	s_and_b32 vcc_lo, s1, s2
	v_dual_cndmask_b32 v2, v2, v3 :: v_dual_add_f32 v3, 0x3f317218, v13
	v_cmp_o_f32_e32 vcc_lo, v4, v5
	s_delay_alu instid0(VALU_DEP_2) | instskip(NEXT) | instid1(VALU_DEP_3)
	v_cndmask_b32_e64 v13, -v3, v3, s0
	v_cndmask_b32_e64 v12, 0x7fc00000, |v2|, vcc_lo
.LBB50_795:                             ;   in Loop: Header=BB50_418 Depth=1
	s_or_b32 exec_lo, exec_lo, s4
                                        ; implicit-def: $vgpr2_vgpr3_vgpr4_vgpr5
.LBB50_796:                             ;   in Loop: Header=BB50_418 Depth=1
	s_and_not1_saveexec_b32 s0, s21
	s_cbranch_execz .LBB50_417
; %bb.797:                              ;   in Loop: Header=BB50_418 Depth=1
	v_cmp_neq_f32_e64 s1, 0x7f800000, |v4|
	s_delay_alu instid0(VALU_DEP_1) | instskip(NEXT) | instid1(SALU_CYCLE_1)
	s_and_saveexec_b32 s2, s1
	s_xor_b32 s1, exec_lo, s2
	s_cbranch_execz .LBB50_807
; %bb.798:                              ;   in Loop: Header=BB50_418 Depth=1
	v_cmp_neq_f32_e64 s2, 0x7f800000, |v5|
	s_delay_alu instid0(VALU_DEP_1) | instskip(NEXT) | instid1(SALU_CYCLE_1)
	s_and_saveexec_b32 s3, s2
	s_xor_b32 s2, exec_lo, s3
	s_cbranch_execz .LBB50_804
; %bb.799:                              ;   in Loop: Header=BB50_418 Depth=1
	s_mov_b32 s3, exec_lo
	v_cmpx_neq_f32_e32 0, v4
	s_xor_b32 s3, exec_lo, s3
	s_cbranch_execz .LBB50_801
; %bb.800:                              ;   in Loop: Header=BB50_418 Depth=1
	s_waitcnt lgkmcnt(0)
	v_add_f32_e32 v2, 0, v5
	s_delay_alu instid0(VALU_DEP_1)
	v_add_f32_e32 v13, v4, v2
                                        ; implicit-def: $vgpr2_vgpr3_vgpr4_vgpr5
.LBB50_801:                             ;   in Loop: Header=BB50_418 Depth=1
	s_or_saveexec_b32 s3, s3
	s_delay_alu instid0(VALU_DEP_1)
	v_mov_b32_e32 v12, v13
	s_xor_b32 exec_lo, exec_lo, s3
	s_cbranch_execz .LBB50_803
; %bb.802:                              ;   in Loop: Header=BB50_418 Depth=1
	s_waitcnt lgkmcnt(0)
	v_dual_mov_b32 v2, s8 :: v_dual_mov_b32 v3, s9
	v_add_f32_e32 v13, v5, v5
	flat_load_b32 v2, v[2:3] glc dlc
	s_waitcnt vmcnt(0) lgkmcnt(0)
	v_add_f32_e32 v12, 0x3fc90fdb, v2
.LBB50_803:                             ;   in Loop: Header=BB50_418 Depth=1
	s_or_b32 exec_lo, exec_lo, s3
                                        ; implicit-def: $vgpr2_vgpr3_vgpr4_vgpr5
.LBB50_804:                             ;   in Loop: Header=BB50_418 Depth=1
	s_and_not1_saveexec_b32 s2, s2
; %bb.805:                              ;   in Loop: Header=BB50_418 Depth=1
	v_add_f32_e32 v12, v4, v4
	v_xor_b32_e32 v13, 0x80000000, v5
; %bb.806:                              ;   in Loop: Header=BB50_418 Depth=1
	s_or_b32 exec_lo, exec_lo, s2
                                        ; implicit-def: $vgpr2_vgpr3_vgpr4_vgpr5
.LBB50_807:                             ;   in Loop: Header=BB50_418 Depth=1
	s_and_not1_saveexec_b32 s1, s1
	s_cbranch_execz .LBB50_416
; %bb.808:                              ;   in Loop: Header=BB50_418 Depth=1
	v_dual_add_f32 v12, v5, v5 :: v_dual_mov_b32 v13, 0xff800000
	s_branch .LBB50_416
.LBB50_809:
	s_endpgm
	.section	.rodata,"a",@progbits
	.p2align	6, 0x0
	.amdhsa_kernel _ZN2at6native12_GLOBAL__N_125multi_tensor_apply_kernelINS1_18TensorListMetadataILi1EEENS1_14UnaryOpFunctorIN3c107complexIfEELi1ELi1ELi0EEEJNS0_4AcosIS8_EEEEEvT_T0_DpT1_
		.amdhsa_group_segment_fixed_size 0
		.amdhsa_private_segment_fixed_size 16
		.amdhsa_kernarg_size 3632
		.amdhsa_user_sgpr_count 15
		.amdhsa_user_sgpr_dispatch_ptr 0
		.amdhsa_user_sgpr_queue_ptr 0
		.amdhsa_user_sgpr_kernarg_segment_ptr 1
		.amdhsa_user_sgpr_dispatch_id 0
		.amdhsa_user_sgpr_private_segment_size 0
		.amdhsa_wavefront_size32 1
		.amdhsa_uses_dynamic_stack 0
		.amdhsa_enable_private_segment 1
		.amdhsa_system_sgpr_workgroup_id_x 1
		.amdhsa_system_sgpr_workgroup_id_y 0
		.amdhsa_system_sgpr_workgroup_id_z 0
		.amdhsa_system_sgpr_workgroup_info 0
		.amdhsa_system_vgpr_workitem_id 0
		.amdhsa_next_free_vgpr 45
		.amdhsa_next_free_sgpr 43
		.amdhsa_reserve_vcc 1
		.amdhsa_float_round_mode_32 0
		.amdhsa_float_round_mode_16_64 0
		.amdhsa_float_denorm_mode_32 3
		.amdhsa_float_denorm_mode_16_64 3
		.amdhsa_dx10_clamp 1
		.amdhsa_ieee_mode 1
		.amdhsa_fp16_overflow 0
		.amdhsa_workgroup_processor_mode 1
		.amdhsa_memory_ordered 1
		.amdhsa_forward_progress 0
		.amdhsa_shared_vgpr_count 0
		.amdhsa_exception_fp_ieee_invalid_op 0
		.amdhsa_exception_fp_denorm_src 0
		.amdhsa_exception_fp_ieee_div_zero 0
		.amdhsa_exception_fp_ieee_overflow 0
		.amdhsa_exception_fp_ieee_underflow 0
		.amdhsa_exception_fp_ieee_inexact 0
		.amdhsa_exception_int_div_zero 0
	.end_amdhsa_kernel
	.section	.text._ZN2at6native12_GLOBAL__N_125multi_tensor_apply_kernelINS1_18TensorListMetadataILi1EEENS1_14UnaryOpFunctorIN3c107complexIfEELi1ELi1ELi0EEEJNS0_4AcosIS8_EEEEEvT_T0_DpT1_,"axG",@progbits,_ZN2at6native12_GLOBAL__N_125multi_tensor_apply_kernelINS1_18TensorListMetadataILi1EEENS1_14UnaryOpFunctorIN3c107complexIfEELi1ELi1ELi0EEEJNS0_4AcosIS8_EEEEEvT_T0_DpT1_,comdat
.Lfunc_end50:
	.size	_ZN2at6native12_GLOBAL__N_125multi_tensor_apply_kernelINS1_18TensorListMetadataILi1EEENS1_14UnaryOpFunctorIN3c107complexIfEELi1ELi1ELi0EEEJNS0_4AcosIS8_EEEEEvT_T0_DpT1_, .Lfunc_end50-_ZN2at6native12_GLOBAL__N_125multi_tensor_apply_kernelINS1_18TensorListMetadataILi1EEENS1_14UnaryOpFunctorIN3c107complexIfEELi1ELi1ELi0EEEJNS0_4AcosIS8_EEEEEvT_T0_DpT1_
                                        ; -- End function
	.section	.AMDGPU.csdata,"",@progbits
; Kernel info:
; codeLenInByte = 61340
; NumSgprs: 45
; NumVgprs: 45
; ScratchSize: 16
; MemoryBound: 0
; FloatMode: 240
; IeeeMode: 1
; LDSByteSize: 0 bytes/workgroup (compile time only)
; SGPRBlocks: 5
; VGPRBlocks: 5
; NumSGPRsForWavesPerEU: 45
; NumVGPRsForWavesPerEU: 45
; Occupancy: 16
; WaveLimiterHint : 0
; COMPUTE_PGM_RSRC2:SCRATCH_EN: 1
; COMPUTE_PGM_RSRC2:USER_SGPR: 15
; COMPUTE_PGM_RSRC2:TRAP_HANDLER: 0
; COMPUTE_PGM_RSRC2:TGID_X_EN: 1
; COMPUTE_PGM_RSRC2:TGID_Y_EN: 0
; COMPUTE_PGM_RSRC2:TGID_Z_EN: 0
; COMPUTE_PGM_RSRC2:TIDIG_COMP_CNT: 0
	.section	.text._ZN2at6native12_GLOBAL__N_125multi_tensor_apply_kernelINS1_18TensorListMetadataILi1EEENS1_14UnaryOpFunctorIN3c104HalfELi1ELi1ELi0EEEJNS0_4AcosIfEEEEEvT_T0_DpT1_,"axG",@progbits,_ZN2at6native12_GLOBAL__N_125multi_tensor_apply_kernelINS1_18TensorListMetadataILi1EEENS1_14UnaryOpFunctorIN3c104HalfELi1ELi1ELi0EEEJNS0_4AcosIfEEEEEvT_T0_DpT1_,comdat
	.globl	_ZN2at6native12_GLOBAL__N_125multi_tensor_apply_kernelINS1_18TensorListMetadataILi1EEENS1_14UnaryOpFunctorIN3c104HalfELi1ELi1ELi0EEEJNS0_4AcosIfEEEEEvT_T0_DpT1_ ; -- Begin function _ZN2at6native12_GLOBAL__N_125multi_tensor_apply_kernelINS1_18TensorListMetadataILi1EEENS1_14UnaryOpFunctorIN3c104HalfELi1ELi1ELi0EEEJNS0_4AcosIfEEEEEvT_T0_DpT1_
	.p2align	8
	.type	_ZN2at6native12_GLOBAL__N_125multi_tensor_apply_kernelINS1_18TensorListMetadataILi1EEENS1_14UnaryOpFunctorIN3c104HalfELi1ELi1ELi0EEEJNS0_4AcosIfEEEEEvT_T0_DpT1_,@function
_ZN2at6native12_GLOBAL__N_125multi_tensor_apply_kernelINS1_18TensorListMetadataILi1EEENS1_14UnaryOpFunctorIN3c104HalfELi1ELi1ELi0EEEJNS0_4AcosIfEEEEEvT_T0_DpT1_: ; @_ZN2at6native12_GLOBAL__N_125multi_tensor_apply_kernelINS1_18TensorListMetadataILi1EEENS1_14UnaryOpFunctorIN3c104HalfELi1ELi1ELi0EEEJNS0_4AcosIfEEEEEvT_T0_DpT1_
; %bb.0:
	v_mov_b32_e32 v1, s15
	s_add_u32 s2, s0, s15
	s_mul_hi_u32 s3, s15, 3
	s_mul_i32 s15, s15, 3
	s_addc_u32 s4, s1, 0
	global_load_u8 v1, v1, s[0:1] offset:1760
	s_add_u32 s2, s2, s15
	s_addc_u32 s3, s4, s3
	s_mov_b32 s13, 0
	s_load_b32 s2, s[2:3], 0x820
	s_waitcnt vmcnt(0)
	v_readfirstlane_b32 s5, v1
	s_delay_alu instid0(VALU_DEP_1)
	s_lshl_b32 s3, s5, 3
	s_clause 0x1
	s_load_b64 s[8:9], s[0:1], s3 offset:0x0
	s_load_b64 s[4:5], s[0:1], s3 offset:0x370
	s_waitcnt lgkmcnt(0)
	s_ashr_i32 s3, s2, 31
	s_delay_alu instid0(SALU_CYCLE_1)
	s_lshl_b64 s[10:11], s[2:3], 17
	s_lshl_b64 s[2:3], s[2:3], 16
	s_and_b32 s12, s8, 7
	s_sub_u32 s6, s4, s2
	s_subb_u32 s7, s5, s3
	s_and_b32 s2, s4, 3
	s_mov_b32 s3, s13
	s_delay_alu instid0(SALU_CYCLE_1) | instskip(NEXT) | instid1(SALU_CYCLE_1)
	s_or_b64 s[2:3], s[12:13], s[2:3]
	s_cmp_eq_u64 s[2:3], 0
	s_cbranch_scc1 .LBB51_21
; %bb.1:
	v_cmp_lt_i64_e64 s2, s[6:7], 1
	s_delay_alu instid0(VALU_DEP_1)
	s_and_b32 vcc_lo, exec_lo, s2
	s_cbranch_vccnz .LBB51_20
; %bb.2:
	s_load_b32 s2, s[0:1], 0xd3c
	v_cmp_gt_u64_e64 s3, 0x10000, s[6:7]
	v_lshlrev_b32_e32 v1, 1, v0
	s_mov_b32 s19, 0.5
	s_mov_b32 s20, -0.5
	s_mov_b32 s21, 0x3d1c21a7
	s_waitcnt lgkmcnt(0)
	s_and_b32 s2, s2, 0xffff
	s_and_b32 s3, s3, exec_lo
	v_add_co_u32 v5, s5, v0, s2
	s_cselect_b32 s13, s7, 0
	s_cselect_b32 s12, s6, 0x10000
	s_lshl_b32 s3, s2, 1
	s_mul_i32 s4, s2, 3
	s_lshl_b32 s16, s2, 2
	v_add_co_ci_u32_e64 v6, null, 0, 0, s5
	s_add_u32 s5, s8, s10
	s_mul_i32 s17, s2, 6
	s_addc_u32 s14, s9, s11
	s_lshl_b32 s18, s2, 3
	v_add_co_u32 v7, s2, s4, v0
	v_lshlrev_b32_e32 v3, 1, v5
	v_add_co_ci_u32_e64 v8, null, 0, 0, s2
	v_add_co_u32 v9, s2, s3, v0
	s_delay_alu instid0(VALU_DEP_1) | instskip(SKIP_1) | instid1(VALU_DEP_1)
	v_add_co_ci_u32_e64 v10, null, 0, 0, s2
	v_add_co_u32 v1, s2, s5, v1
	v_add_co_ci_u32_e64 v2, null, s14, 0, s2
	v_add_co_u32 v3, s2, s5, v3
	s_delay_alu instid0(VALU_DEP_1)
	v_add_co_ci_u32_e64 v4, null, s14, 0, s2
	s_mov_b64 s[14:15], 0
	s_branch .LBB51_4
.LBB51_3:                               ;   in Loop: Header=BB51_4 Depth=1
	s_or_b32 exec_lo, exec_lo, s3
	s_add_u32 s14, s14, s16
	s_addc_u32 s15, s15, 0
	v_add_co_u32 v1, vcc_lo, v1, s18
	v_cmp_lt_i64_e64 s2, s[14:15], s[6:7]
	v_cmp_gt_u64_e64 s3, 0x10000, s[14:15]
	v_add_co_ci_u32_e32 v2, vcc_lo, 0, v2, vcc_lo
	v_add_co_u32 v3, vcc_lo, v3, s18
	v_add_co_ci_u32_e32 v4, vcc_lo, 0, v4, vcc_lo
	s_delay_alu instid0(VALU_DEP_4) | instskip(NEXT) | instid1(SALU_CYCLE_1)
	s_and_b32 s2, s2, s3
	s_and_b32 vcc_lo, exec_lo, s2
	s_cbranch_vccz .LBB51_20
.LBB51_4:                               ; =>This Inner Loop Header: Depth=1
	s_waitcnt vmcnt(0)
	v_add_co_u32 v11, s2, v0, s14
	s_delay_alu instid0(VALU_DEP_1) | instskip(SKIP_1) | instid1(VALU_DEP_2)
	v_add_co_ci_u32_e64 v12, null, 0, s15, s2
	v_mov_b32_e32 v14, 0
	v_cmp_gt_u64_e64 s4, s[12:13], v[11:12]
	s_delay_alu instid0(VALU_DEP_1)
	s_and_saveexec_b32 s2, s4
	s_cbranch_execz .LBB51_6
; %bb.5:                                ;   in Loop: Header=BB51_4 Depth=1
	global_load_u16 v14, v[1:2], off
.LBB51_6:                               ;   in Loop: Header=BB51_4 Depth=1
	s_or_b32 exec_lo, exec_lo, s2
	v_add_co_u32 v11, vcc_lo, v5, s14
	v_add_co_ci_u32_e32 v12, vcc_lo, s15, v6, vcc_lo
	v_mov_b32_e32 v13, 0
	s_delay_alu instid0(VALU_DEP_2) | instskip(NEXT) | instid1(VALU_DEP_1)
	v_cmp_gt_u64_e64 s3, s[12:13], v[11:12]
	s_and_saveexec_b32 s2, s3
	s_cbranch_execz .LBB51_8
; %bb.7:                                ;   in Loop: Header=BB51_4 Depth=1
	global_load_u16 v13, v[3:4], off
.LBB51_8:                               ;   in Loop: Header=BB51_4 Depth=1
	s_or_b32 exec_lo, exec_lo, s2
	v_add_co_u32 v11, vcc_lo, v9, s14
	v_add_co_ci_u32_e32 v12, vcc_lo, s15, v10, vcc_lo
	s_delay_alu instid0(VALU_DEP_1) | instskip(SKIP_1) | instid1(VALU_DEP_2)
	v_cmp_gt_u64_e64 s2, s[12:13], v[11:12]
	v_dual_mov_b32 v11, 0 :: v_dual_mov_b32 v12, 0
	s_and_saveexec_b32 s5, s2
	s_cbranch_execz .LBB51_10
; %bb.9:                                ;   in Loop: Header=BB51_4 Depth=1
	v_add_co_u32 v15, vcc_lo, v1, s16
	v_add_co_ci_u32_e32 v16, vcc_lo, 0, v2, vcc_lo
	global_load_u16 v12, v[15:16], off
.LBB51_10:                              ;   in Loop: Header=BB51_4 Depth=1
	s_or_b32 exec_lo, exec_lo, s5
	v_add_co_u32 v15, vcc_lo, v7, s14
	v_add_co_ci_u32_e32 v16, vcc_lo, s15, v8, vcc_lo
	s_delay_alu instid0(VALU_DEP_1)
	v_cmp_gt_u64_e32 vcc_lo, s[12:13], v[15:16]
	s_and_saveexec_b32 s22, vcc_lo
	s_cbranch_execnz .LBB51_15
; %bb.11:                               ;   in Loop: Header=BB51_4 Depth=1
	s_or_b32 exec_lo, exec_lo, s22
	s_and_saveexec_b32 s22, s4
	s_cbranch_execnz .LBB51_16
.LBB51_12:                              ;   in Loop: Header=BB51_4 Depth=1
	s_or_b32 exec_lo, exec_lo, s22
	s_and_saveexec_b32 s5, s3
	s_cbranch_execnz .LBB51_17
.LBB51_13:                              ;   in Loop: Header=BB51_4 Depth=1
	s_or_b32 exec_lo, exec_lo, s5
	s_and_saveexec_b32 s4, s2
	s_cbranch_execnz .LBB51_18
.LBB51_14:                              ;   in Loop: Header=BB51_4 Depth=1
	s_or_b32 exec_lo, exec_lo, s4
	s_and_saveexec_b32 s3, vcc_lo
	s_cbranch_execz .LBB51_3
	s_branch .LBB51_19
.LBB51_15:                              ;   in Loop: Header=BB51_4 Depth=1
	v_add_co_u32 v15, s5, v1, s17
	s_delay_alu instid0(VALU_DEP_1)
	v_add_co_ci_u32_e64 v16, s5, 0, v2, s5
	global_load_u16 v11, v[15:16], off
	s_or_b32 exec_lo, exec_lo, s22
	s_and_saveexec_b32 s22, s4
	s_cbranch_execz .LBB51_12
.LBB51_16:                              ;   in Loop: Header=BB51_4 Depth=1
	s_waitcnt vmcnt(0)
	v_cvt_f32_f16_e32 v15, v14
	v_fma_mix_f32 v16, |v14|, s20, s19 op_sel_hi:[1,0,0]
	v_cmp_gt_f16_e64 s5, 0, v14
	s_delay_alu instid0(VALU_DEP_3) | instskip(SKIP_1) | instid1(VALU_DEP_1)
	v_mul_f32_e32 v17, v15, v15
	v_cmp_gt_f32_e64 s4, |v15|, 0.5
	v_cndmask_b32_e64 v15, v17, v16, s4
	s_delay_alu instid0(VALU_DEP_1) | instskip(SKIP_1) | instid1(VALU_DEP_1)
	v_fmaak_f32 v16, s21, v15, 0x3c5fc5da
	v_sqrt_f32_e32 v17, v15
	v_fmaak_f32 v16, v15, v16, 0x3d034c3c
	s_delay_alu instid0(VALU_DEP_1) | instskip(NEXT) | instid1(VALU_DEP_1)
	v_fmaak_f32 v16, v15, v16, 0x3d3641b1
	v_fmaak_f32 v16, v15, v16, 0x3d999bc8
	s_delay_alu instid0(VALU_DEP_1) | instskip(NEXT) | instid1(VALU_DEP_1)
	v_fmaak_f32 v16, v15, v16, 0x3e2aaaac
	v_mul_f32_e32 v15, v15, v16
	s_waitcnt_depctr 0xfff
	v_fmac_f32_e32 v17, v17, v15
	s_delay_alu instid0(VALU_DEP_1) | instskip(SKIP_1) | instid1(VALU_DEP_2)
	v_add_f32_e32 v16, v17, v17
	v_fma_mix_f32 v15, v14, v15, v14 op_sel_hi:[1,0,1]
	v_sub_f32_e32 v17, 0x40490fdb, v16
	s_delay_alu instid0(VALU_DEP_2) | instskip(NEXT) | instid1(VALU_DEP_2)
	v_sub_f32_e32 v15, 0x3fc90fdb, v15
	v_cndmask_b32_e64 v14, v16, v17, s5
	s_delay_alu instid0(VALU_DEP_1) | instskip(NEXT) | instid1(VALU_DEP_1)
	v_cndmask_b32_e64 v14, v15, v14, s4
	v_cvt_f16_f32_e32 v14, v14
	global_store_b16 v[1:2], v14, off
	s_or_b32 exec_lo, exec_lo, s22
	s_and_saveexec_b32 s5, s3
	s_cbranch_execz .LBB51_13
.LBB51_17:                              ;   in Loop: Header=BB51_4 Depth=1
	s_waitcnt vmcnt(0)
	v_cvt_f32_f16_e32 v14, v13
	v_fma_mix_f32 v15, |v13|, s20, s19 op_sel_hi:[1,0,0]
	v_cmp_gt_f16_e64 s4, 0, v13
	s_delay_alu instid0(VALU_DEP_3) | instskip(SKIP_1) | instid1(VALU_DEP_1)
	v_mul_f32_e32 v16, v14, v14
	v_cmp_gt_f32_e64 s3, |v14|, 0.5
	v_cndmask_b32_e64 v14, v16, v15, s3
	s_delay_alu instid0(VALU_DEP_1) | instskip(SKIP_1) | instid1(VALU_DEP_1)
	v_fmaak_f32 v15, s21, v14, 0x3c5fc5da
	v_sqrt_f32_e32 v16, v14
	v_fmaak_f32 v15, v14, v15, 0x3d034c3c
	s_delay_alu instid0(VALU_DEP_1) | instskip(NEXT) | instid1(VALU_DEP_1)
	v_fmaak_f32 v15, v14, v15, 0x3d3641b1
	v_fmaak_f32 v15, v14, v15, 0x3d999bc8
	s_delay_alu instid0(VALU_DEP_1) | instskip(NEXT) | instid1(VALU_DEP_1)
	v_fmaak_f32 v15, v14, v15, 0x3e2aaaac
	v_mul_f32_e32 v14, v14, v15
	s_waitcnt_depctr 0xfff
	v_fmac_f32_e32 v16, v16, v14
	s_delay_alu instid0(VALU_DEP_1) | instskip(SKIP_1) | instid1(VALU_DEP_2)
	v_add_f32_e32 v15, v16, v16
	v_fma_mix_f32 v14, v13, v14, v13 op_sel_hi:[1,0,1]
	v_sub_f32_e32 v16, 0x40490fdb, v15
	s_delay_alu instid0(VALU_DEP_2) | instskip(NEXT) | instid1(VALU_DEP_2)
	v_sub_f32_e32 v14, 0x3fc90fdb, v14
	v_cndmask_b32_e64 v13, v15, v16, s4
	s_delay_alu instid0(VALU_DEP_1) | instskip(NEXT) | instid1(VALU_DEP_1)
	v_cndmask_b32_e64 v13, v14, v13, s3
	v_cvt_f16_f32_e32 v13, v13
	global_store_b16 v[3:4], v13, off
	s_or_b32 exec_lo, exec_lo, s5
	s_and_saveexec_b32 s4, s2
	s_cbranch_execz .LBB51_14
.LBB51_18:                              ;   in Loop: Header=BB51_4 Depth=1
	s_waitcnt vmcnt(0)
	v_cvt_f32_f16_e32 v13, v12
	v_fma_mix_f32 v14, |v12|, s20, s19 op_sel_hi:[1,0,0]
	v_cmp_gt_f16_e64 s3, 0, v12
	s_delay_alu instid0(VALU_DEP_3) | instskip(SKIP_1) | instid1(VALU_DEP_1)
	v_mul_f32_e32 v15, v13, v13
	v_cmp_gt_f32_e64 s2, |v13|, 0.5
	v_cndmask_b32_e64 v13, v15, v14, s2
	s_delay_alu instid0(VALU_DEP_1) | instskip(SKIP_1) | instid1(VALU_DEP_1)
	v_fmaak_f32 v14, s21, v13, 0x3c5fc5da
	v_sqrt_f32_e32 v15, v13
	v_fmaak_f32 v14, v13, v14, 0x3d034c3c
	s_delay_alu instid0(VALU_DEP_1) | instskip(NEXT) | instid1(VALU_DEP_1)
	v_fmaak_f32 v14, v13, v14, 0x3d3641b1
	v_fmaak_f32 v14, v13, v14, 0x3d999bc8
	s_delay_alu instid0(VALU_DEP_1) | instskip(NEXT) | instid1(VALU_DEP_1)
	v_fmaak_f32 v14, v13, v14, 0x3e2aaaac
	v_mul_f32_e32 v13, v13, v14
	s_waitcnt_depctr 0xfff
	v_fmac_f32_e32 v15, v15, v13
	s_delay_alu instid0(VALU_DEP_1) | instskip(SKIP_1) | instid1(VALU_DEP_2)
	v_add_f32_e32 v14, v15, v15
	v_fma_mix_f32 v13, v12, v13, v12 op_sel_hi:[1,0,1]
	v_sub_f32_e32 v15, 0x40490fdb, v14
	s_delay_alu instid0(VALU_DEP_2) | instskip(NEXT) | instid1(VALU_DEP_2)
	v_sub_f32_e32 v13, 0x3fc90fdb, v13
	v_cndmask_b32_e64 v12, v14, v15, s3
	s_delay_alu instid0(VALU_DEP_1) | instskip(NEXT) | instid1(VALU_DEP_1)
	v_cndmask_b32_e64 v12, v13, v12, s2
	v_cvt_f16_f32_e32 v14, v12
	v_add_co_u32 v12, s2, v1, s16
	s_delay_alu instid0(VALU_DEP_1)
	v_add_co_ci_u32_e64 v13, s2, 0, v2, s2
	global_store_b16 v[12:13], v14, off
	s_or_b32 exec_lo, exec_lo, s4
	s_and_saveexec_b32 s3, vcc_lo
	s_cbranch_execz .LBB51_3
.LBB51_19:                              ;   in Loop: Header=BB51_4 Depth=1
	s_waitcnt vmcnt(0)
	v_cvt_f32_f16_e32 v12, v11
	v_fma_mix_f32 v13, |v11|, s20, s19 op_sel_hi:[1,0,0]
	v_cmp_gt_f16_e64 s2, 0, v11
	s_delay_alu instid0(VALU_DEP_3) | instskip(SKIP_1) | instid1(VALU_DEP_2)
	v_mul_f32_e32 v14, v12, v12
	v_cmp_gt_f32_e64 vcc_lo, |v12|, 0.5
	v_cndmask_b32_e32 v12, v14, v13, vcc_lo
	s_delay_alu instid0(VALU_DEP_1) | instskip(SKIP_1) | instid1(VALU_DEP_1)
	v_fmaak_f32 v13, s21, v12, 0x3c5fc5da
	v_sqrt_f32_e32 v14, v12
	v_fmaak_f32 v13, v12, v13, 0x3d034c3c
	s_delay_alu instid0(VALU_DEP_1) | instskip(NEXT) | instid1(VALU_DEP_1)
	v_fmaak_f32 v13, v12, v13, 0x3d3641b1
	v_fmaak_f32 v13, v12, v13, 0x3d999bc8
	s_delay_alu instid0(VALU_DEP_1) | instskip(NEXT) | instid1(VALU_DEP_1)
	v_fmaak_f32 v13, v12, v13, 0x3e2aaaac
	v_mul_f32_e32 v12, v12, v13
	s_waitcnt_depctr 0xfff
	v_fmac_f32_e32 v14, v14, v12
	s_delay_alu instid0(VALU_DEP_1) | instskip(SKIP_1) | instid1(VALU_DEP_1)
	v_add_f32_e32 v13, v14, v14
	v_fma_mix_f32 v12, v11, v12, v11 op_sel_hi:[1,0,1]
	v_sub_f32_e32 v12, 0x3fc90fdb, v12
	s_delay_alu instid0(VALU_DEP_3) | instskip(NEXT) | instid1(VALU_DEP_1)
	v_sub_f32_e32 v14, 0x40490fdb, v13
	v_cndmask_b32_e64 v11, v13, v14, s2
	s_delay_alu instid0(VALU_DEP_1) | instskip(NEXT) | instid1(VALU_DEP_1)
	v_cndmask_b32_e32 v11, v12, v11, vcc_lo
	v_cvt_f16_f32_e32 v13, v11
	v_add_co_u32 v11, vcc_lo, v1, s17
	v_add_co_ci_u32_e32 v12, vcc_lo, 0, v2, vcc_lo
	global_store_b16 v[11:12], v13, off
	s_branch .LBB51_3
.LBB51_20:
	s_cbranch_execz .LBB51_22
	s_branch .LBB51_25
.LBB51_21:
.LBB51_22:
	v_dual_mov_b32 v2, 0 :: v_dual_lshlrev_b32 v1, 2, v0
	s_mov_b32 s4, 0
	s_mov_b32 s2, exec_lo
	s_delay_alu instid0(VALU_DEP_1)
	v_cmpx_gt_i64_e64 s[6:7], v[1:2]
	s_cbranch_execz .LBB51_25
; %bb.23:
	s_load_b32 s0, s[0:1], 0xd3c
	v_lshlrev_b32_e32 v1, 3, v0
	s_waitcnt lgkmcnt(0)
	s_and_b32 s0, s0, 0xffff
	s_delay_alu instid0(SALU_CYCLE_1) | instskip(SKIP_3) | instid1(VALU_DEP_1)
	s_lshl_b32 s5, s0, 2
	s_add_u32 s1, s8, s10
	s_addc_u32 s2, s9, s11
	v_add_co_u32 v3, s1, s1, v1
	v_add_co_ci_u32_e64 v4, null, s2, 0, s1
	v_add_lshl_u32 v1, v0, s0, 2
	s_delay_alu instid0(VALU_DEP_3) | instskip(NEXT) | instid1(VALU_DEP_3)
	v_add_co_u32 v3, vcc_lo, v3, 4
	v_add_co_ci_u32_e32 v4, vcc_lo, 0, v4, vcc_lo
	s_lshl_b32 s8, s0, 3
	s_mov_b32 s9, 0.5
	s_mov_b32 s10, -0.5
	s_mov_b32 s11, 0x3d1c21a7
.LBB51_24:                              ; =>This Inner Loop Header: Depth=1
	global_load_b64 v[5:6], v[3:4], off offset:-4
	s_waitcnt vmcnt(0)
	v_lshrrev_b32_e32 v0, 16, v5
	v_cvt_f32_f16_e32 v8, v5
	v_fma_mix_f32 v9, |v5|, s10, s9 op_sel_hi:[1,0,0]
	v_lshrrev_b32_e32 v7, 16, v6
	v_cvt_f32_f16_e32 v11, v6
	v_cvt_f32_f16_e32 v15, v0
	v_mul_f32_e32 v14, v8, v8
	v_cmp_gt_f32_e64 vcc_lo, |v8|, 0.5
	v_fma_mix_f32 v12, |v6|, s10, s9 op_sel_hi:[1,0,0]
	v_cvt_f32_f16_e32 v17, v7
	v_cmp_gt_f32_e64 s0, |v11|, 0.5
	v_fma_mix_f32 v10, |v5|, s10, s9 op_sel:[1,0,0] op_sel_hi:[1,0,0]
	v_cndmask_b32_e32 v8, v14, v9, vcc_lo
	v_fma_mix_f32 v13, |v6|, s10, s9 op_sel:[1,0,0] op_sel_hi:[1,0,0]
	v_mul_f32_e32 v9, v15, v15
	v_cmp_gt_f32_e64 s1, |v15|, 0.5
	v_cmp_gt_f32_e64 s2, |v17|, 0.5
	v_fmaak_f32 v14, s11, v8, 0x3c5fc5da
	v_mul_f32_e32 v16, v11, v11
	v_cmp_gt_f16_e64 s3, 0, v5
	v_cndmask_b32_e64 v9, v9, v10, s1
	s_delay_alu instid0(VALU_DEP_3) | instskip(SKIP_1) | instid1(VALU_DEP_3)
	v_cndmask_b32_e64 v11, v16, v12, s0
	v_mul_f32_e32 v12, v17, v17
	v_sqrt_f32_e32 v18, v9
	s_delay_alu instid0(VALU_DEP_2) | instskip(NEXT) | instid1(VALU_DEP_1)
	v_sqrt_f32_e32 v17, v11
	v_cndmask_b32_e64 v12, v12, v13, s2
	s_delay_alu instid0(VALU_DEP_1) | instskip(NEXT) | instid1(VALU_DEP_1)
	v_dual_fmaak_f32 v10, s11, v11, 0x3c5fc5da :: v_dual_fmaak_f32 v15, s11, v12, 0x3c5fc5da
	v_dual_fmaak_f32 v10, v11, v10, 0x3d034c3c :: v_dual_fmaak_f32 v15, v12, v15, 0x3d034c3c
	s_delay_alu instid0(VALU_DEP_1) | instskip(SKIP_1) | instid1(VALU_DEP_2)
	v_fmaak_f32 v10, v11, v10, 0x3d3641b1
	v_sqrt_f32_e32 v16, v8
	v_fmaak_f32 v15, v12, v15, 0x3d3641b1
	s_delay_alu instid0(VALU_DEP_1) | instskip(NEXT) | instid1(VALU_DEP_1)
	v_dual_fmaak_f32 v10, v11, v10, 0x3d999bc8 :: v_dual_fmaak_f32 v15, v12, v15, 0x3d999bc8
	v_fmaak_f32 v10, v11, v10, 0x3e2aaaac
	s_delay_alu instid0(VALU_DEP_1) | instskip(NEXT) | instid1(VALU_DEP_1)
	v_dual_mul_f32 v10, v11, v10 :: v_dual_fmaak_f32 v11, v12, v15, 0x3e2aaaac
	v_fmac_f32_e32 v17, v17, v10
	v_fmaak_f32 v13, v8, v14, 0x3d034c3c
	s_delay_alu instid0(VALU_DEP_3) | instskip(NEXT) | instid1(VALU_DEP_1)
	v_dual_fmaak_f32 v14, s11, v9, 0x3c5fc5da :: v_dual_mul_f32 v11, v12, v11
	v_fmaak_f32 v14, v9, v14, 0x3d034c3c
	s_delay_alu instid0(VALU_DEP_1) | instskip(NEXT) | instid1(VALU_DEP_1)
	v_dual_fmaak_f32 v13, v8, v13, 0x3d3641b1 :: v_dual_fmaak_f32 v14, v9, v14, 0x3d3641b1
	v_dual_fmaak_f32 v13, v8, v13, 0x3d999bc8 :: v_dual_fmaak_f32 v14, v9, v14, 0x3d999bc8
	s_delay_alu instid0(VALU_DEP_1) | instskip(NEXT) | instid1(VALU_DEP_1)
	v_dual_fmaak_f32 v13, v8, v13, 0x3e2aaaac :: v_dual_fmaak_f32 v14, v9, v14, 0x3e2aaaac
	v_mul_f32_e32 v8, v8, v13
	v_sqrt_f32_e32 v13, v12
	s_delay_alu instid0(VALU_DEP_2) | instskip(SKIP_1) | instid1(VALU_DEP_2)
	v_mul_f32_e32 v9, v9, v14
	v_add_f32_e32 v14, v17, v17
	v_fmac_f32_e32 v18, v18, v9
	v_fma_mix_f32 v9, v5, v9, v5 op_sel:[1,0,1] op_sel_hi:[1,0,1]
	s_waitcnt_depctr 0xfff
	v_dual_fmac_f32 v16, v16, v8 :: v_dual_fmac_f32 v13, v13, v11
	v_fma_mix_f32 v8, v5, v8, v5 op_sel_hi:[1,0,1]
	v_sub_f32_e32 v17, 0x40490fdb, v14
	s_delay_alu instid0(VALU_DEP_3) | instskip(NEXT) | instid1(VALU_DEP_4)
	v_dual_sub_f32 v9, 0x3fc90fdb, v9 :: v_dual_add_f32 v12, v16, v16
	v_add_f32_e32 v13, v13, v13
	v_fma_mix_f32 v11, v6, v11, v6 op_sel:[1,0,1] op_sel_hi:[1,0,1]
	v_add_f32_e32 v16, v18, v18
	v_sub_f32_e32 v8, 0x3fc90fdb, v8
	v_sub_f32_e32 v15, 0x40490fdb, v12
	v_fma_mix_f32 v10, v6, v10, v6 op_sel_hi:[1,0,1]
	v_sub_f32_e32 v11, 0x3fc90fdb, v11
	s_delay_alu instid0(VALU_DEP_3) | instskip(SKIP_2) | instid1(VALU_DEP_3)
	v_cndmask_b32_e64 v5, v12, v15, s3
	v_cmp_gt_f16_e64 s3, 0, v6
	v_dual_sub_f32 v12, 0x40490fdb, v13 :: v_dual_sub_f32 v15, 0x40490fdb, v16
	v_dual_sub_f32 v10, 0x3fc90fdb, v10 :: v_dual_cndmask_b32 v5, v8, v5
	s_delay_alu instid0(VALU_DEP_3) | instskip(SKIP_2) | instid1(VALU_DEP_4)
	v_cndmask_b32_e64 v6, v14, v17, s3
	v_cmp_gt_f16_e64 s3, 0, v7
	v_cmp_le_i64_e32 vcc_lo, s[6:7], v[1:2]
	v_cvt_f16_f32_e32 v5, v5
	s_delay_alu instid0(VALU_DEP_4) | instskip(NEXT) | instid1(VALU_DEP_4)
	v_cndmask_b32_e64 v6, v10, v6, s0
	v_cndmask_b32_e64 v7, v13, v12, s3
	v_cmp_gt_f16_e64 s3, 0, v0
	v_cmp_lt_u64_e64 s0, 0xffff, v[1:2]
	s_delay_alu instid0(VALU_DEP_4) | instskip(NEXT) | instid1(VALU_DEP_4)
	v_cvt_f16_f32_e32 v6, v6
	v_cndmask_b32_e64 v7, v11, v7, s2
	s_delay_alu instid0(VALU_DEP_4) | instskip(NEXT) | instid1(VALU_DEP_4)
	v_cndmask_b32_e64 v0, v16, v15, s3
	s_or_b32 s0, vcc_lo, s0
	s_delay_alu instid0(VALU_DEP_2) | instskip(NEXT) | instid1(VALU_DEP_2)
	v_cvt_f16_f32_e32 v7, v7
	v_cndmask_b32_e64 v0, v9, v0, s1
	v_add_co_u32 v1, s1, v1, s5
	s_delay_alu instid0(VALU_DEP_1) | instskip(NEXT) | instid1(VALU_DEP_3)
	v_add_co_ci_u32_e64 v2, s1, 0, v2, s1
	v_cvt_f16_f32_e32 v0, v0
	v_pack_b32_f16 v6, v6, v7
	s_and_b32 s0, exec_lo, s0
	s_delay_alu instid0(SALU_CYCLE_1) | instskip(NEXT) | instid1(VALU_DEP_2)
	s_or_b32 s4, s0, s4
	v_pack_b32_f16 v5, v5, v0
	global_store_b64 v[3:4], v[5:6], off offset:-4
	v_add_co_u32 v3, vcc_lo, v3, s8
	v_add_co_ci_u32_e32 v4, vcc_lo, 0, v4, vcc_lo
	s_and_not1_b32 exec_lo, exec_lo, s4
	s_cbranch_execnz .LBB51_24
.LBB51_25:
	s_nop 0
	s_sendmsg sendmsg(MSG_DEALLOC_VGPRS)
	s_endpgm
	.section	.rodata,"a",@progbits
	.p2align	6, 0x0
	.amdhsa_kernel _ZN2at6native12_GLOBAL__N_125multi_tensor_apply_kernelINS1_18TensorListMetadataILi1EEENS1_14UnaryOpFunctorIN3c104HalfELi1ELi1ELi0EEEJNS0_4AcosIfEEEEEvT_T0_DpT1_
		.amdhsa_group_segment_fixed_size 0
		.amdhsa_private_segment_fixed_size 0
		.amdhsa_kernarg_size 3632
		.amdhsa_user_sgpr_count 15
		.amdhsa_user_sgpr_dispatch_ptr 0
		.amdhsa_user_sgpr_queue_ptr 0
		.amdhsa_user_sgpr_kernarg_segment_ptr 1
		.amdhsa_user_sgpr_dispatch_id 0
		.amdhsa_user_sgpr_private_segment_size 0
		.amdhsa_wavefront_size32 1
		.amdhsa_uses_dynamic_stack 0
		.amdhsa_enable_private_segment 0
		.amdhsa_system_sgpr_workgroup_id_x 1
		.amdhsa_system_sgpr_workgroup_id_y 0
		.amdhsa_system_sgpr_workgroup_id_z 0
		.amdhsa_system_sgpr_workgroup_info 0
		.amdhsa_system_vgpr_workitem_id 0
		.amdhsa_next_free_vgpr 19
		.amdhsa_next_free_sgpr 23
		.amdhsa_reserve_vcc 1
		.amdhsa_float_round_mode_32 0
		.amdhsa_float_round_mode_16_64 0
		.amdhsa_float_denorm_mode_32 3
		.amdhsa_float_denorm_mode_16_64 3
		.amdhsa_dx10_clamp 1
		.amdhsa_ieee_mode 1
		.amdhsa_fp16_overflow 0
		.amdhsa_workgroup_processor_mode 1
		.amdhsa_memory_ordered 1
		.amdhsa_forward_progress 0
		.amdhsa_shared_vgpr_count 0
		.amdhsa_exception_fp_ieee_invalid_op 0
		.amdhsa_exception_fp_denorm_src 0
		.amdhsa_exception_fp_ieee_div_zero 0
		.amdhsa_exception_fp_ieee_overflow 0
		.amdhsa_exception_fp_ieee_underflow 0
		.amdhsa_exception_fp_ieee_inexact 0
		.amdhsa_exception_int_div_zero 0
	.end_amdhsa_kernel
	.section	.text._ZN2at6native12_GLOBAL__N_125multi_tensor_apply_kernelINS1_18TensorListMetadataILi1EEENS1_14UnaryOpFunctorIN3c104HalfELi1ELi1ELi0EEEJNS0_4AcosIfEEEEEvT_T0_DpT1_,"axG",@progbits,_ZN2at6native12_GLOBAL__N_125multi_tensor_apply_kernelINS1_18TensorListMetadataILi1EEENS1_14UnaryOpFunctorIN3c104HalfELi1ELi1ELi0EEEJNS0_4AcosIfEEEEEvT_T0_DpT1_,comdat
.Lfunc_end51:
	.size	_ZN2at6native12_GLOBAL__N_125multi_tensor_apply_kernelINS1_18TensorListMetadataILi1EEENS1_14UnaryOpFunctorIN3c104HalfELi1ELi1ELi0EEEJNS0_4AcosIfEEEEEvT_T0_DpT1_, .Lfunc_end51-_ZN2at6native12_GLOBAL__N_125multi_tensor_apply_kernelINS1_18TensorListMetadataILi1EEENS1_14UnaryOpFunctorIN3c104HalfELi1ELi1ELi0EEEJNS0_4AcosIfEEEEEvT_T0_DpT1_
                                        ; -- End function
	.section	.AMDGPU.csdata,"",@progbits
; Kernel info:
; codeLenInByte = 2384
; NumSgprs: 25
; NumVgprs: 19
; ScratchSize: 0
; MemoryBound: 0
; FloatMode: 240
; IeeeMode: 1
; LDSByteSize: 0 bytes/workgroup (compile time only)
; SGPRBlocks: 3
; VGPRBlocks: 2
; NumSGPRsForWavesPerEU: 25
; NumVGPRsForWavesPerEU: 19
; Occupancy: 16
; WaveLimiterHint : 0
; COMPUTE_PGM_RSRC2:SCRATCH_EN: 0
; COMPUTE_PGM_RSRC2:USER_SGPR: 15
; COMPUTE_PGM_RSRC2:TRAP_HANDLER: 0
; COMPUTE_PGM_RSRC2:TGID_X_EN: 1
; COMPUTE_PGM_RSRC2:TGID_Y_EN: 0
; COMPUTE_PGM_RSRC2:TGID_Z_EN: 0
; COMPUTE_PGM_RSRC2:TIDIG_COMP_CNT: 0
	.section	.text._ZN2at6native12_GLOBAL__N_125multi_tensor_apply_kernelINS1_18TensorListMetadataILi1EEENS1_14UnaryOpFunctorIN3c108BFloat16ELi1ELi1ELi0EEEJNS0_4AcosIfEEEEEvT_T0_DpT1_,"axG",@progbits,_ZN2at6native12_GLOBAL__N_125multi_tensor_apply_kernelINS1_18TensorListMetadataILi1EEENS1_14UnaryOpFunctorIN3c108BFloat16ELi1ELi1ELi0EEEJNS0_4AcosIfEEEEEvT_T0_DpT1_,comdat
	.globl	_ZN2at6native12_GLOBAL__N_125multi_tensor_apply_kernelINS1_18TensorListMetadataILi1EEENS1_14UnaryOpFunctorIN3c108BFloat16ELi1ELi1ELi0EEEJNS0_4AcosIfEEEEEvT_T0_DpT1_ ; -- Begin function _ZN2at6native12_GLOBAL__N_125multi_tensor_apply_kernelINS1_18TensorListMetadataILi1EEENS1_14UnaryOpFunctorIN3c108BFloat16ELi1ELi1ELi0EEEJNS0_4AcosIfEEEEEvT_T0_DpT1_
	.p2align	8
	.type	_ZN2at6native12_GLOBAL__N_125multi_tensor_apply_kernelINS1_18TensorListMetadataILi1EEENS1_14UnaryOpFunctorIN3c108BFloat16ELi1ELi1ELi0EEEJNS0_4AcosIfEEEEEvT_T0_DpT1_,@function
_ZN2at6native12_GLOBAL__N_125multi_tensor_apply_kernelINS1_18TensorListMetadataILi1EEENS1_14UnaryOpFunctorIN3c108BFloat16ELi1ELi1ELi0EEEJNS0_4AcosIfEEEEEvT_T0_DpT1_: ; @_ZN2at6native12_GLOBAL__N_125multi_tensor_apply_kernelINS1_18TensorListMetadataILi1EEENS1_14UnaryOpFunctorIN3c108BFloat16ELi1ELi1ELi0EEEJNS0_4AcosIfEEEEEvT_T0_DpT1_
; %bb.0:
	v_mov_b32_e32 v1, s15
	s_add_u32 s2, s0, s15
	s_mul_hi_u32 s3, s15, 3
	s_mul_i32 s15, s15, 3
	s_addc_u32 s4, s1, 0
	global_load_u8 v1, v1, s[0:1] offset:1760
	s_add_u32 s2, s2, s15
	s_addc_u32 s3, s4, s3
	s_mov_b32 s13, 0
	s_load_b32 s2, s[2:3], 0x820
	s_waitcnt vmcnt(0)
	v_readfirstlane_b32 s5, v1
	s_delay_alu instid0(VALU_DEP_1)
	s_lshl_b32 s3, s5, 3
	s_clause 0x1
	s_load_b64 s[8:9], s[0:1], s3 offset:0x0
	s_load_b64 s[4:5], s[0:1], s3 offset:0x370
	s_waitcnt lgkmcnt(0)
	s_ashr_i32 s3, s2, 31
	s_delay_alu instid0(SALU_CYCLE_1)
	s_lshl_b64 s[10:11], s[2:3], 17
	s_lshl_b64 s[2:3], s[2:3], 16
	s_and_b32 s12, s8, 7
	s_sub_u32 s6, s4, s2
	s_subb_u32 s7, s5, s3
	s_and_b32 s2, s4, 3
	s_mov_b32 s3, s13
	s_delay_alu instid0(SALU_CYCLE_1) | instskip(NEXT) | instid1(SALU_CYCLE_1)
	s_or_b64 s[2:3], s[12:13], s[2:3]
	s_cmp_eq_u64 s[2:3], 0
	s_cbranch_scc1 .LBB52_21
; %bb.1:
	v_cmp_lt_i64_e64 s2, s[6:7], 1
	s_delay_alu instid0(VALU_DEP_1)
	s_and_b32 vcc_lo, exec_lo, s2
	s_cbranch_vccnz .LBB52_20
; %bb.2:
	s_load_b32 s2, s[0:1], 0xd3c
	v_cmp_gt_u64_e64 s3, 0x10000, s[6:7]
	v_lshlrev_b32_e32 v1, 1, v0
	s_mov_b32 s19, 0x3d1c21a7
	s_waitcnt lgkmcnt(0)
	s_and_b32 s2, s2, 0xffff
	s_delay_alu instid0(VALU_DEP_2)
	s_and_b32 s3, s3, exec_lo
	v_add_co_u32 v5, s5, v0, s2
	s_cselect_b32 s13, s7, 0
	s_cselect_b32 s12, s6, 0x10000
	s_lshl_b32 s3, s2, 1
	s_lshl_b32 s16, s2, 2
	v_lshlrev_b32_e32 v3, 1, v5
	v_add_co_ci_u32_e64 v6, null, 0, 0, s5
	s_add_u32 s5, s8, s10
	v_add_co_u32 v9, s3, s3, v0
	s_mul_i32 s4, s2, 3
	s_addc_u32 s14, s9, s11
	v_add_co_ci_u32_e64 v10, null, 0, 0, s3
	v_add_co_u32 v1, s3, s5, v1
	v_add_co_u32 v7, s4, s4, v0
	v_add_co_ci_u32_e64 v2, null, s14, 0, s3
	v_add_co_u32 v3, s3, s5, v3
	v_add_co_ci_u32_e64 v8, null, 0, 0, s4
	v_add_co_ci_u32_e64 v4, null, s14, 0, s3
	s_lshl_b32 s17, s2, 3
	s_mul_i32 s18, s2, 6
	s_mov_b64 s[14:15], 0
	s_branch .LBB52_4
.LBB52_3:                               ;   in Loop: Header=BB52_4 Depth=1
	s_or_b32 exec_lo, exec_lo, s3
	s_add_u32 s14, s14, s16
	s_addc_u32 s15, s15, 0
	v_add_co_u32 v1, vcc_lo, v1, s17
	v_cmp_lt_i64_e64 s2, s[14:15], s[6:7]
	v_cmp_gt_u64_e64 s3, 0x10000, s[14:15]
	v_add_co_ci_u32_e32 v2, vcc_lo, 0, v2, vcc_lo
	v_add_co_u32 v3, vcc_lo, v3, s17
	v_add_co_ci_u32_e32 v4, vcc_lo, 0, v4, vcc_lo
	s_delay_alu instid0(VALU_DEP_4) | instskip(NEXT) | instid1(SALU_CYCLE_1)
	s_and_b32 s2, s2, s3
	s_and_b32 vcc_lo, exec_lo, s2
	s_cbranch_vccz .LBB52_20
.LBB52_4:                               ; =>This Inner Loop Header: Depth=1
	s_waitcnt vmcnt(0)
	v_add_co_u32 v11, s2, v0, s14
	s_delay_alu instid0(VALU_DEP_1) | instskip(SKIP_1) | instid1(VALU_DEP_2)
	v_add_co_ci_u32_e64 v12, null, 0, s15, s2
	v_mov_b32_e32 v14, 0
	v_cmp_gt_u64_e64 s4, s[12:13], v[11:12]
	s_delay_alu instid0(VALU_DEP_1)
	s_and_saveexec_b32 s2, s4
	s_cbranch_execz .LBB52_6
; %bb.5:                                ;   in Loop: Header=BB52_4 Depth=1
	global_load_u16 v14, v[1:2], off
.LBB52_6:                               ;   in Loop: Header=BB52_4 Depth=1
	s_or_b32 exec_lo, exec_lo, s2
	v_add_co_u32 v11, vcc_lo, v5, s14
	v_add_co_ci_u32_e32 v12, vcc_lo, s15, v6, vcc_lo
	v_mov_b32_e32 v13, 0
	s_delay_alu instid0(VALU_DEP_2) | instskip(NEXT) | instid1(VALU_DEP_1)
	v_cmp_gt_u64_e64 s3, s[12:13], v[11:12]
	s_and_saveexec_b32 s2, s3
	s_cbranch_execz .LBB52_8
; %bb.7:                                ;   in Loop: Header=BB52_4 Depth=1
	global_load_u16 v13, v[3:4], off
.LBB52_8:                               ;   in Loop: Header=BB52_4 Depth=1
	s_or_b32 exec_lo, exec_lo, s2
	v_add_co_u32 v11, vcc_lo, v9, s14
	v_add_co_ci_u32_e32 v12, vcc_lo, s15, v10, vcc_lo
	s_delay_alu instid0(VALU_DEP_1) | instskip(SKIP_1) | instid1(VALU_DEP_2)
	v_cmp_gt_u64_e64 s2, s[12:13], v[11:12]
	v_dual_mov_b32 v11, 0 :: v_dual_mov_b32 v12, 0
	s_and_saveexec_b32 s5, s2
	s_cbranch_execz .LBB52_10
; %bb.9:                                ;   in Loop: Header=BB52_4 Depth=1
	v_add_co_u32 v15, vcc_lo, v1, s16
	v_add_co_ci_u32_e32 v16, vcc_lo, 0, v2, vcc_lo
	global_load_u16 v12, v[15:16], off
.LBB52_10:                              ;   in Loop: Header=BB52_4 Depth=1
	s_or_b32 exec_lo, exec_lo, s5
	v_add_co_u32 v15, vcc_lo, v7, s14
	v_add_co_ci_u32_e32 v16, vcc_lo, s15, v8, vcc_lo
	s_delay_alu instid0(VALU_DEP_1)
	v_cmp_gt_u64_e32 vcc_lo, s[12:13], v[15:16]
	s_and_saveexec_b32 s20, vcc_lo
	s_cbranch_execnz .LBB52_15
; %bb.11:                               ;   in Loop: Header=BB52_4 Depth=1
	s_or_b32 exec_lo, exec_lo, s20
	s_and_saveexec_b32 s20, s4
	s_cbranch_execnz .LBB52_16
.LBB52_12:                              ;   in Loop: Header=BB52_4 Depth=1
	s_or_b32 exec_lo, exec_lo, s20
	s_and_saveexec_b32 s5, s3
	s_cbranch_execnz .LBB52_17
.LBB52_13:                              ;   in Loop: Header=BB52_4 Depth=1
	s_or_b32 exec_lo, exec_lo, s5
	s_and_saveexec_b32 s4, s2
	s_cbranch_execnz .LBB52_18
.LBB52_14:                              ;   in Loop: Header=BB52_4 Depth=1
	s_or_b32 exec_lo, exec_lo, s4
	s_and_saveexec_b32 s3, vcc_lo
	s_cbranch_execz .LBB52_3
	s_branch .LBB52_19
.LBB52_15:                              ;   in Loop: Header=BB52_4 Depth=1
	v_add_co_u32 v15, s5, v1, s18
	s_delay_alu instid0(VALU_DEP_1)
	v_add_co_ci_u32_e64 v16, s5, 0, v2, s5
	global_load_u16 v11, v[15:16], off
	s_or_b32 exec_lo, exec_lo, s20
	s_and_saveexec_b32 s20, s4
	s_cbranch_execz .LBB52_12
.LBB52_16:                              ;   in Loop: Header=BB52_4 Depth=1
	s_waitcnt vmcnt(0)
	v_lshlrev_b32_e32 v14, 16, v14
	s_delay_alu instid0(VALU_DEP_1) | instskip(SKIP_2) | instid1(VALU_DEP_1)
	v_fma_f32 v15, |v14|, -0.5, 0.5
	v_mul_f32_e32 v16, v14, v14
	v_cmp_gt_f32_e64 s4, |v14|, 0.5
	v_cndmask_b32_e64 v15, v16, v15, s4
	s_delay_alu instid0(VALU_DEP_1) | instskip(SKIP_1) | instid1(VALU_DEP_1)
	v_fmaak_f32 v16, s19, v15, 0x3c5fc5da
	v_sqrt_f32_e32 v17, v15
	v_fmaak_f32 v16, v15, v16, 0x3d034c3c
	s_delay_alu instid0(VALU_DEP_1) | instskip(NEXT) | instid1(VALU_DEP_1)
	v_fmaak_f32 v16, v15, v16, 0x3d3641b1
	v_fmaak_f32 v16, v15, v16, 0x3d999bc8
	s_delay_alu instid0(VALU_DEP_1) | instskip(NEXT) | instid1(VALU_DEP_1)
	v_fmaak_f32 v16, v15, v16, 0x3e2aaaac
	v_mul_f32_e32 v15, v15, v16
	v_cmp_gt_f32_e64 s5, 0, v14
	s_delay_alu instid0(TRANS32_DEP_1) | instid1(VALU_DEP_2)
	v_fmac_f32_e32 v17, v17, v15
	v_fmac_f32_e32 v14, v14, v15
	s_delay_alu instid0(VALU_DEP_2) | instskip(NEXT) | instid1(VALU_DEP_2)
	v_add_f32_e32 v16, v17, v17
	v_sub_f32_e32 v14, 0x3fc90fdb, v14
	s_delay_alu instid0(VALU_DEP_2) | instskip(NEXT) | instid1(VALU_DEP_1)
	v_sub_f32_e32 v17, 0x40490fdb, v16
	v_cndmask_b32_e64 v15, v16, v17, s5
	s_delay_alu instid0(VALU_DEP_1) | instskip(NEXT) | instid1(VALU_DEP_1)
	v_cndmask_b32_e64 v14, v14, v15, s4
	v_bfe_u32 v15, v14, 16, 1
	v_cmp_o_f32_e64 s4, v14, v14
	s_delay_alu instid0(VALU_DEP_2) | instskip(NEXT) | instid1(VALU_DEP_1)
	v_add3_u32 v15, v14, v15, 0x7fff
	v_lshrrev_b32_e32 v15, 16, v15
	s_delay_alu instid0(VALU_DEP_1)
	v_cndmask_b32_e64 v14, 0x7fc0, v15, s4
	global_store_b16 v[1:2], v14, off
	s_or_b32 exec_lo, exec_lo, s20
	s_and_saveexec_b32 s5, s3
	s_cbranch_execz .LBB52_13
.LBB52_17:                              ;   in Loop: Header=BB52_4 Depth=1
	s_waitcnt vmcnt(0)
	v_lshlrev_b32_e32 v13, 16, v13
	s_delay_alu instid0(VALU_DEP_1) | instskip(SKIP_2) | instid1(VALU_DEP_1)
	v_fma_f32 v14, |v13|, -0.5, 0.5
	v_mul_f32_e32 v15, v13, v13
	v_cmp_gt_f32_e64 s3, |v13|, 0.5
	v_cndmask_b32_e64 v14, v15, v14, s3
	s_delay_alu instid0(VALU_DEP_1) | instskip(SKIP_1) | instid1(VALU_DEP_1)
	v_fmaak_f32 v15, s19, v14, 0x3c5fc5da
	v_sqrt_f32_e32 v16, v14
	v_fmaak_f32 v15, v14, v15, 0x3d034c3c
	s_delay_alu instid0(VALU_DEP_1) | instskip(NEXT) | instid1(VALU_DEP_1)
	v_fmaak_f32 v15, v14, v15, 0x3d3641b1
	v_fmaak_f32 v15, v14, v15, 0x3d999bc8
	s_delay_alu instid0(VALU_DEP_1) | instskip(NEXT) | instid1(VALU_DEP_1)
	v_fmaak_f32 v15, v14, v15, 0x3e2aaaac
	v_mul_f32_e32 v14, v14, v15
	v_cmp_gt_f32_e64 s4, 0, v13
	s_delay_alu instid0(TRANS32_DEP_1) | instid1(VALU_DEP_2)
	v_fmac_f32_e32 v16, v16, v14
	v_fmac_f32_e32 v13, v13, v14
	s_delay_alu instid0(VALU_DEP_2) | instskip(NEXT) | instid1(VALU_DEP_2)
	v_add_f32_e32 v15, v16, v16
	v_sub_f32_e32 v13, 0x3fc90fdb, v13
	s_delay_alu instid0(VALU_DEP_2) | instskip(NEXT) | instid1(VALU_DEP_1)
	v_sub_f32_e32 v16, 0x40490fdb, v15
	v_cndmask_b32_e64 v14, v15, v16, s4
	s_delay_alu instid0(VALU_DEP_1) | instskip(NEXT) | instid1(VALU_DEP_1)
	v_cndmask_b32_e64 v13, v13, v14, s3
	v_bfe_u32 v14, v13, 16, 1
	v_cmp_o_f32_e64 s3, v13, v13
	s_delay_alu instid0(VALU_DEP_2) | instskip(NEXT) | instid1(VALU_DEP_1)
	v_add3_u32 v14, v13, v14, 0x7fff
	v_lshrrev_b32_e32 v14, 16, v14
	s_delay_alu instid0(VALU_DEP_1)
	v_cndmask_b32_e64 v13, 0x7fc0, v14, s3
	global_store_b16 v[3:4], v13, off
	s_or_b32 exec_lo, exec_lo, s5
	s_and_saveexec_b32 s4, s2
	s_cbranch_execz .LBB52_14
.LBB52_18:                              ;   in Loop: Header=BB52_4 Depth=1
	s_waitcnt vmcnt(0)
	v_lshlrev_b32_e32 v12, 16, v12
	s_delay_alu instid0(VALU_DEP_1) | instskip(SKIP_2) | instid1(VALU_DEP_1)
	v_fma_f32 v13, |v12|, -0.5, 0.5
	v_mul_f32_e32 v14, v12, v12
	v_cmp_gt_f32_e64 s2, |v12|, 0.5
	v_cndmask_b32_e64 v13, v14, v13, s2
	s_delay_alu instid0(VALU_DEP_1) | instskip(SKIP_1) | instid1(VALU_DEP_1)
	v_fmaak_f32 v14, s19, v13, 0x3c5fc5da
	v_sqrt_f32_e32 v15, v13
	v_fmaak_f32 v14, v13, v14, 0x3d034c3c
	s_delay_alu instid0(VALU_DEP_1) | instskip(NEXT) | instid1(VALU_DEP_1)
	v_fmaak_f32 v14, v13, v14, 0x3d3641b1
	v_fmaak_f32 v14, v13, v14, 0x3d999bc8
	s_delay_alu instid0(VALU_DEP_1) | instskip(NEXT) | instid1(VALU_DEP_1)
	v_fmaak_f32 v14, v13, v14, 0x3e2aaaac
	v_mul_f32_e32 v13, v13, v14
	v_cmp_gt_f32_e64 s3, 0, v12
	s_delay_alu instid0(TRANS32_DEP_1) | instid1(VALU_DEP_2)
	v_fmac_f32_e32 v15, v15, v13
	v_fmac_f32_e32 v12, v12, v13
	s_delay_alu instid0(VALU_DEP_2) | instskip(NEXT) | instid1(VALU_DEP_2)
	v_add_f32_e32 v14, v15, v15
	v_sub_f32_e32 v12, 0x3fc90fdb, v12
	s_delay_alu instid0(VALU_DEP_2) | instskip(NEXT) | instid1(VALU_DEP_1)
	v_sub_f32_e32 v15, 0x40490fdb, v14
	v_cndmask_b32_e64 v13, v14, v15, s3
	s_delay_alu instid0(VALU_DEP_1) | instskip(NEXT) | instid1(VALU_DEP_1)
	v_cndmask_b32_e64 v12, v12, v13, s2
	v_bfe_u32 v13, v12, 16, 1
	v_cmp_o_f32_e64 s2, v12, v12
	s_delay_alu instid0(VALU_DEP_2) | instskip(NEXT) | instid1(VALU_DEP_1)
	v_add3_u32 v13, v12, v13, 0x7fff
	v_lshrrev_b32_e32 v13, 16, v13
	s_delay_alu instid0(VALU_DEP_1) | instskip(SKIP_1) | instid1(VALU_DEP_1)
	v_cndmask_b32_e64 v14, 0x7fc0, v13, s2
	v_add_co_u32 v12, s2, v1, s16
	v_add_co_ci_u32_e64 v13, s2, 0, v2, s2
	global_store_b16 v[12:13], v14, off
	s_or_b32 exec_lo, exec_lo, s4
	s_and_saveexec_b32 s3, vcc_lo
	s_cbranch_execz .LBB52_3
.LBB52_19:                              ;   in Loop: Header=BB52_4 Depth=1
	s_waitcnt vmcnt(0)
	v_lshlrev_b32_e32 v11, 16, v11
	s_delay_alu instid0(VALU_DEP_1) | instskip(SKIP_2) | instid1(VALU_DEP_2)
	v_fma_f32 v12, |v11|, -0.5, 0.5
	v_mul_f32_e32 v13, v11, v11
	v_cmp_gt_f32_e64 vcc_lo, |v11|, 0.5
	v_cndmask_b32_e32 v12, v13, v12, vcc_lo
	v_cmp_gt_f32_e64 s2, 0, v11
	s_delay_alu instid0(VALU_DEP_2) | instskip(SKIP_1) | instid1(VALU_DEP_1)
	v_fmaak_f32 v13, s19, v12, 0x3c5fc5da
	v_sqrt_f32_e32 v14, v12
	v_fmaak_f32 v13, v12, v13, 0x3d034c3c
	s_delay_alu instid0(VALU_DEP_1) | instskip(NEXT) | instid1(VALU_DEP_1)
	v_fmaak_f32 v13, v12, v13, 0x3d3641b1
	v_fmaak_f32 v13, v12, v13, 0x3d999bc8
	s_delay_alu instid0(VALU_DEP_1) | instskip(NEXT) | instid1(VALU_DEP_1)
	v_fmaak_f32 v13, v12, v13, 0x3e2aaaac
	v_mul_f32_e32 v12, v12, v13
	s_waitcnt_depctr 0xfff
	v_fmac_f32_e32 v14, v14, v12
	s_delay_alu instid0(VALU_DEP_1) | instskip(NEXT) | instid1(VALU_DEP_1)
	v_add_f32_e32 v13, v14, v14
	v_dual_fmac_f32 v11, v11, v12 :: v_dual_sub_f32 v14, 0x40490fdb, v13
	s_delay_alu instid0(VALU_DEP_1) | instskip(NEXT) | instid1(VALU_DEP_2)
	v_sub_f32_e32 v11, 0x3fc90fdb, v11
	v_cndmask_b32_e64 v12, v13, v14, s2
	s_delay_alu instid0(VALU_DEP_1) | instskip(NEXT) | instid1(VALU_DEP_1)
	v_cndmask_b32_e32 v11, v11, v12, vcc_lo
	v_bfe_u32 v12, v11, 16, 1
	v_cmp_o_f32_e32 vcc_lo, v11, v11
	s_delay_alu instid0(VALU_DEP_2) | instskip(NEXT) | instid1(VALU_DEP_1)
	v_add3_u32 v12, v11, v12, 0x7fff
	v_lshrrev_b32_e32 v12, 16, v12
	s_delay_alu instid0(VALU_DEP_1)
	v_cndmask_b32_e32 v13, 0x7fc0, v12, vcc_lo
	v_add_co_u32 v11, vcc_lo, v1, s18
	v_add_co_ci_u32_e32 v12, vcc_lo, 0, v2, vcc_lo
	global_store_b16 v[11:12], v13, off
	s_branch .LBB52_3
.LBB52_20:
	s_cbranch_execz .LBB52_22
	s_branch .LBB52_25
.LBB52_21:
.LBB52_22:
	v_dual_mov_b32 v2, 0 :: v_dual_lshlrev_b32 v1, 2, v0
	s_mov_b32 s12, 0
	s_mov_b32 s2, exec_lo
	s_delay_alu instid0(VALU_DEP_1)
	v_cmpx_gt_i64_e64 s[6:7], v[1:2]
	s_cbranch_execz .LBB52_25
; %bb.23:
	s_load_b32 s0, s[0:1], 0xd3c
	v_lshlrev_b32_e32 v1, 3, v0
	s_waitcnt lgkmcnt(0)
	s_and_b32 s0, s0, 0xffff
	s_add_u32 s1, s8, s10
	s_addc_u32 s2, s9, s11
	v_add_co_u32 v3, s1, s1, v1
	s_delay_alu instid0(VALU_DEP_1)
	v_add_co_ci_u32_e64 v4, null, s2, 0, s1
	v_add_lshl_u32 v1, v0, s0, 2
	s_lshl_b32 s8, s0, 3
	s_lshl_b32 s9, s0, 2
	s_mov_b32 s10, 0x3d1c21a7
.LBB52_24:                              ; =>This Inner Loop Header: Depth=1
	global_load_b64 v[5:6], v[3:4], off
	s_waitcnt vmcnt(0)
	v_and_b32_e32 v7, 0xffff0000, v5
	v_lshlrev_b32_e32 v0, 16, v5
	v_alignbit_b32 v5, v6, v5, 16
	s_delay_alu instid0(VALU_DEP_3) | instskip(NEXT) | instid1(VALU_DEP_3)
	v_dual_mul_f32 v11, v7, v7 :: v_dual_and_b32 v6, 0xffff0000, v6
	v_mul_f32_e32 v9, v0, v0
	v_fma_f32 v8, |v0|, -0.5, 0.5
	v_cmp_gt_f32_e64 vcc_lo, |v0|, 0.5
	v_cmp_gt_f32_e64 s3, 0, v0
	v_fma_f32 v12, |v6|, -0.5, 0.5
	v_cmp_gt_f32_e64 s1, |v6|, 0.5
	v_cmp_gt_f32_e64 s5, 0, v6
	v_cndmask_b32_e32 v8, v9, v8, vcc_lo
	v_fma_f32 v10, |v7|, -0.5, 0.5
	v_cmp_gt_f32_e64 s0, |v7|, 0.5
	v_cmp_gt_f32_e64 s4, 0, v7
	s_delay_alu instid0(VALU_DEP_4) | instskip(NEXT) | instid1(VALU_DEP_2)
	v_sqrt_f32_e32 v16, v8
	v_cndmask_b32_e64 v9, v11, v10, s0
	s_delay_alu instid0(VALU_DEP_1) | instskip(NEXT) | instid1(VALU_DEP_1)
	v_dual_mul_f32 v13, v6, v6 :: v_dual_fmaak_f32 v14, s10, v9, 0x3c5fc5da
	v_cndmask_b32_e64 v12, v13, v12, s1
	v_fmaak_f32 v13, s10, v8, 0x3c5fc5da
	v_sqrt_f32_e32 v17, v9
	s_delay_alu instid0(VALU_DEP_3) | instskip(NEXT) | instid1(VALU_DEP_3)
	v_fmaak_f32 v14, v9, v14, 0x3d034c3c
	v_sqrt_f32_e32 v18, v12
	s_delay_alu instid0(VALU_DEP_2) | instskip(NEXT) | instid1(VALU_DEP_1)
	v_fmaak_f32 v13, v8, v13, 0x3d034c3c
	v_dual_fmaak_f32 v14, v9, v14, 0x3d3641b1 :: v_dual_fmaak_f32 v13, v8, v13, 0x3d3641b1
	s_delay_alu instid0(VALU_DEP_1) | instskip(NEXT) | instid1(VALU_DEP_1)
	v_dual_fmaak_f32 v14, v9, v14, 0x3d999bc8 :: v_dual_fmaak_f32 v13, v8, v13, 0x3d999bc8
	v_dual_fmaak_f32 v14, v9, v14, 0x3e2aaaac :: v_dual_fmaak_f32 v13, v8, v13, 0x3e2aaaac
	s_delay_alu instid0(VALU_DEP_1)
	v_dual_mul_f32 v9, v9, v14 :: v_dual_mul_f32 v8, v8, v13
	v_and_b32_e32 v5, 0xffff0000, v5
	s_delay_alu instid0(TRANS32_DEP_2) | instid1(VALU_DEP_2)
	v_dual_fmac_f32 v17, v17, v9 :: v_dual_fmac_f32 v16, v16, v8
	s_delay_alu instid0(VALU_DEP_2) | instskip(SKIP_3) | instid1(VALU_DEP_2)
	v_fma_f32 v10, |v5|, -0.5, 0.5
	v_mul_f32_e32 v11, v5, v5
	v_cmp_gt_f32_e64 s2, |v5|, 0.5
	v_fmac_f32_e32 v0, v0, v8
	v_cndmask_b32_e64 v10, v11, v10, s2
	v_fmaak_f32 v11, s10, v12, 0x3c5fc5da
	s_delay_alu instid0(VALU_DEP_3) | instskip(NEXT) | instid1(VALU_DEP_3)
	v_sub_f32_e32 v0, 0x3fc90fdb, v0
	v_fmaak_f32 v15, s10, v10, 0x3c5fc5da
	v_sqrt_f32_e32 v13, v10
	s_delay_alu instid0(VALU_DEP_1) | instskip(NEXT) | instid1(VALU_DEP_1)
	v_fmaak_f32 v15, v10, v15, 0x3d034c3c
	v_fmaak_f32 v15, v10, v15, 0x3d3641b1
	s_delay_alu instid0(VALU_DEP_1) | instskip(NEXT) | instid1(VALU_DEP_1)
	v_fmaak_f32 v15, v10, v15, 0x3d999bc8
	v_fmaak_f32 v14, v10, v15, 0x3e2aaaac
	s_delay_alu instid0(VALU_DEP_1) | instskip(SKIP_1) | instid1(VALU_DEP_1)
	v_mul_f32_e32 v10, v10, v14
	v_dual_add_f32 v14, v17, v17 :: v_dual_fmaak_f32 v11, v12, v11, 0x3d034c3c
	v_sub_f32_e32 v8, 0x40490fdb, v14
	s_delay_alu instid0(VALU_DEP_2) | instskip(NEXT) | instid1(VALU_DEP_2)
	v_fmaak_f32 v11, v12, v11, 0x3d3641b1
	v_cndmask_b32_e64 v8, v14, v8, s4
	s_delay_alu instid0(VALU_DEP_2) | instskip(NEXT) | instid1(VALU_DEP_1)
	v_fmaak_f32 v11, v12, v11, 0x3d999bc8
	v_fmaak_f32 v11, v12, v11, 0x3e2aaaac
	s_delay_alu instid0(VALU_DEP_1) | instskip(SKIP_1) | instid1(VALU_DEP_1)
	v_mul_f32_e32 v11, v12, v11
	v_add_f32_e32 v12, v16, v16
	v_dual_sub_f32 v16, 0x40490fdb, v12 :: v_dual_fmac_f32 v13, v13, v10
	s_delay_alu instid0(VALU_DEP_3) | instskip(SKIP_1) | instid1(VALU_DEP_3)
	v_dual_fmac_f32 v6, v6, v11 :: v_dual_fmac_f32 v7, v7, v9
	v_fmac_f32_e32 v18, v18, v11
	v_cndmask_b32_e64 v11, v12, v16, s3
	s_delay_alu instid0(VALU_DEP_3) | instskip(NEXT) | instid1(VALU_DEP_4)
	v_dual_add_f32 v9, v13, v13 :: v_dual_sub_f32 v6, 0x3fc90fdb, v6
	v_sub_f32_e32 v7, 0x3fc90fdb, v7
	s_delay_alu instid0(VALU_DEP_4)
	v_add_f32_e32 v15, v18, v18
	v_cmp_gt_f32_e64 s3, 0, v5
	v_cndmask_b32_e32 v0, v0, v11, vcc_lo
	v_sub_f32_e32 v12, 0x40490fdb, v9
	v_cndmask_b32_e64 v7, v7, v8, s0
	v_sub_f32_e32 v13, 0x40490fdb, v15
	v_cmp_lt_u64_e64 s0, 0xffff, v[1:2]
	s_delay_alu instid0(VALU_DEP_4) | instskip(NEXT) | instid1(VALU_DEP_4)
	v_cndmask_b32_e64 v9, v9, v12, s3
	v_bfe_u32 v8, v7, 16, 1
	v_cmp_o_f32_e32 vcc_lo, v7, v7
	s_delay_alu instid0(VALU_DEP_2) | instskip(SKIP_2) | instid1(VALU_DEP_3)
	v_add3_u32 v8, v7, v8, 0x7fff
	v_fmac_f32_e32 v5, v5, v10
	v_cndmask_b32_e64 v10, v15, v13, s5
	v_and_b32_e32 v8, 0xffff0000, v8
	s_delay_alu instid0(VALU_DEP_3) | instskip(NEXT) | instid1(VALU_DEP_3)
	v_sub_f32_e32 v5, 0x3fc90fdb, v5
	v_cndmask_b32_e64 v6, v6, v10, s1
	s_delay_alu instid0(VALU_DEP_3) | instskip(NEXT) | instid1(VALU_DEP_3)
	v_cndmask_b32_e32 v7, 0x7fc00000, v8, vcc_lo
	v_cndmask_b32_e64 v5, v5, v9, s2
	v_bfe_u32 v9, v0, 16, 1
	s_delay_alu instid0(VALU_DEP_4) | instskip(SKIP_1) | instid1(VALU_DEP_4)
	v_bfe_u32 v10, v6, 16, 1
	v_cmp_o_f32_e32 vcc_lo, v0, v0
	v_bfe_u32 v11, v5, 16, 1
	s_delay_alu instid0(VALU_DEP_4) | instskip(NEXT) | instid1(VALU_DEP_4)
	v_add3_u32 v9, v0, v9, 0x7fff
	v_add3_u32 v10, v6, v10, 0x7fff
	s_delay_alu instid0(VALU_DEP_3) | instskip(NEXT) | instid1(VALU_DEP_3)
	v_add3_u32 v11, v5, v11, 0x7fff
	v_lshrrev_b32_e32 v9, 16, v9
	s_delay_alu instid0(VALU_DEP_3) | instskip(NEXT) | instid1(VALU_DEP_3)
	v_and_b32_e32 v10, 0xffff0000, v10
	v_lshrrev_b32_e32 v11, 16, v11
	s_delay_alu instid0(VALU_DEP_3) | instskip(SKIP_1) | instid1(VALU_DEP_2)
	v_cndmask_b32_e32 v0, 0x7fc0, v9, vcc_lo
	v_cmp_o_f32_e32 vcc_lo, v6, v6
	v_or_b32_e32 v0, v0, v7
	v_cndmask_b32_e32 v6, 0x7fc00000, v10, vcc_lo
	v_cmp_o_f32_e32 vcc_lo, v5, v5
	v_cndmask_b32_e32 v5, 0x7fc0, v11, vcc_lo
	v_cmp_le_i64_e32 vcc_lo, s[6:7], v[1:2]
	v_add_co_u32 v1, s1, v1, s9
	s_delay_alu instid0(VALU_DEP_1) | instskip(NEXT) | instid1(VALU_DEP_4)
	v_add_co_ci_u32_e64 v2, s1, 0, v2, s1
	v_or3_b32 v6, 0, v5, v6
	v_or3_b32 v5, v0, 0, 0
	s_or_b32 s0, vcc_lo, s0
	s_delay_alu instid0(SALU_CYCLE_1) | instskip(SKIP_4) | instid1(SALU_CYCLE_1)
	s_and_b32 s0, exec_lo, s0
	global_store_b64 v[3:4], v[5:6], off
	v_add_co_u32 v3, vcc_lo, v3, s8
	v_add_co_ci_u32_e32 v4, vcc_lo, 0, v4, vcc_lo
	s_or_b32 s12, s0, s12
	s_and_not1_b32 exec_lo, exec_lo, s12
	s_cbranch_execnz .LBB52_24
.LBB52_25:
	s_nop 0
	s_sendmsg sendmsg(MSG_DEALLOC_VGPRS)
	s_endpgm
	.section	.rodata,"a",@progbits
	.p2align	6, 0x0
	.amdhsa_kernel _ZN2at6native12_GLOBAL__N_125multi_tensor_apply_kernelINS1_18TensorListMetadataILi1EEENS1_14UnaryOpFunctorIN3c108BFloat16ELi1ELi1ELi0EEEJNS0_4AcosIfEEEEEvT_T0_DpT1_
		.amdhsa_group_segment_fixed_size 0
		.amdhsa_private_segment_fixed_size 0
		.amdhsa_kernarg_size 3632
		.amdhsa_user_sgpr_count 15
		.amdhsa_user_sgpr_dispatch_ptr 0
		.amdhsa_user_sgpr_queue_ptr 0
		.amdhsa_user_sgpr_kernarg_segment_ptr 1
		.amdhsa_user_sgpr_dispatch_id 0
		.amdhsa_user_sgpr_private_segment_size 0
		.amdhsa_wavefront_size32 1
		.amdhsa_uses_dynamic_stack 0
		.amdhsa_enable_private_segment 0
		.amdhsa_system_sgpr_workgroup_id_x 1
		.amdhsa_system_sgpr_workgroup_id_y 0
		.amdhsa_system_sgpr_workgroup_id_z 0
		.amdhsa_system_sgpr_workgroup_info 0
		.amdhsa_system_vgpr_workitem_id 0
		.amdhsa_next_free_vgpr 19
		.amdhsa_next_free_sgpr 21
		.amdhsa_reserve_vcc 1
		.amdhsa_float_round_mode_32 0
		.amdhsa_float_round_mode_16_64 0
		.amdhsa_float_denorm_mode_32 3
		.amdhsa_float_denorm_mode_16_64 3
		.amdhsa_dx10_clamp 1
		.amdhsa_ieee_mode 1
		.amdhsa_fp16_overflow 0
		.amdhsa_workgroup_processor_mode 1
		.amdhsa_memory_ordered 1
		.amdhsa_forward_progress 0
		.amdhsa_shared_vgpr_count 0
		.amdhsa_exception_fp_ieee_invalid_op 0
		.amdhsa_exception_fp_denorm_src 0
		.amdhsa_exception_fp_ieee_div_zero 0
		.amdhsa_exception_fp_ieee_overflow 0
		.amdhsa_exception_fp_ieee_underflow 0
		.amdhsa_exception_fp_ieee_inexact 0
		.amdhsa_exception_int_div_zero 0
	.end_amdhsa_kernel
	.section	.text._ZN2at6native12_GLOBAL__N_125multi_tensor_apply_kernelINS1_18TensorListMetadataILi1EEENS1_14UnaryOpFunctorIN3c108BFloat16ELi1ELi1ELi0EEEJNS0_4AcosIfEEEEEvT_T0_DpT1_,"axG",@progbits,_ZN2at6native12_GLOBAL__N_125multi_tensor_apply_kernelINS1_18TensorListMetadataILi1EEENS1_14UnaryOpFunctorIN3c108BFloat16ELi1ELi1ELi0EEEJNS0_4AcosIfEEEEEvT_T0_DpT1_,comdat
.Lfunc_end52:
	.size	_ZN2at6native12_GLOBAL__N_125multi_tensor_apply_kernelINS1_18TensorListMetadataILi1EEENS1_14UnaryOpFunctorIN3c108BFloat16ELi1ELi1ELi0EEEJNS0_4AcosIfEEEEEvT_T0_DpT1_, .Lfunc_end52-_ZN2at6native12_GLOBAL__N_125multi_tensor_apply_kernelINS1_18TensorListMetadataILi1EEENS1_14UnaryOpFunctorIN3c108BFloat16ELi1ELi1ELi0EEEJNS0_4AcosIfEEEEEvT_T0_DpT1_
                                        ; -- End function
	.section	.AMDGPU.csdata,"",@progbits
; Kernel info:
; codeLenInByte = 2704
; NumSgprs: 23
; NumVgprs: 19
; ScratchSize: 0
; MemoryBound: 0
; FloatMode: 240
; IeeeMode: 1
; LDSByteSize: 0 bytes/workgroup (compile time only)
; SGPRBlocks: 2
; VGPRBlocks: 2
; NumSGPRsForWavesPerEU: 23
; NumVGPRsForWavesPerEU: 19
; Occupancy: 16
; WaveLimiterHint : 0
; COMPUTE_PGM_RSRC2:SCRATCH_EN: 0
; COMPUTE_PGM_RSRC2:USER_SGPR: 15
; COMPUTE_PGM_RSRC2:TRAP_HANDLER: 0
; COMPUTE_PGM_RSRC2:TGID_X_EN: 1
; COMPUTE_PGM_RSRC2:TGID_Y_EN: 0
; COMPUTE_PGM_RSRC2:TGID_Z_EN: 0
; COMPUTE_PGM_RSRC2:TIDIG_COMP_CNT: 0
	.section	.text._ZN2at6native12_GLOBAL__N_125multi_tensor_apply_kernelINS1_18TensorListMetadataILi2EEENS1_14UnaryOpFunctorIdLi2ELi1ELi1EEEJNS0_4AsinIdEEEEEvT_T0_DpT1_,"axG",@progbits,_ZN2at6native12_GLOBAL__N_125multi_tensor_apply_kernelINS1_18TensorListMetadataILi2EEENS1_14UnaryOpFunctorIdLi2ELi1ELi1EEEJNS0_4AsinIdEEEEEvT_T0_DpT1_,comdat
	.globl	_ZN2at6native12_GLOBAL__N_125multi_tensor_apply_kernelINS1_18TensorListMetadataILi2EEENS1_14UnaryOpFunctorIdLi2ELi1ELi1EEEJNS0_4AsinIdEEEEEvT_T0_DpT1_ ; -- Begin function _ZN2at6native12_GLOBAL__N_125multi_tensor_apply_kernelINS1_18TensorListMetadataILi2EEENS1_14UnaryOpFunctorIdLi2ELi1ELi1EEEJNS0_4AsinIdEEEEEvT_T0_DpT1_
	.p2align	8
	.type	_ZN2at6native12_GLOBAL__N_125multi_tensor_apply_kernelINS1_18TensorListMetadataILi2EEENS1_14UnaryOpFunctorIdLi2ELi1ELi1EEEJNS0_4AsinIdEEEEEvT_T0_DpT1_,@function
_ZN2at6native12_GLOBAL__N_125multi_tensor_apply_kernelINS1_18TensorListMetadataILi2EEENS1_14UnaryOpFunctorIdLi2ELi1ELi1EEEJNS0_4AsinIdEEEEEvT_T0_DpT1_: ; @_ZN2at6native12_GLOBAL__N_125multi_tensor_apply_kernelINS1_18TensorListMetadataILi2EEENS1_14UnaryOpFunctorIdLi2ELi1ELi1EEEJNS0_4AsinIdEEEEEvT_T0_DpT1_
; %bb.0:
	v_mov_b32_e32 v1, s15
	s_add_u32 s2, s0, s15
	s_mul_hi_u32 s3, s15, 3
	s_mul_i32 s15, s15, 3
	s_addc_u32 s4, s1, 0
	global_load_u8 v1, v1, s[0:1] offset:1536
	s_add_u32 s2, s2, s15
	s_addc_u32 s3, s4, s3
	s_mov_b32 s13, 0
	s_load_b32 s6, s[2:3], 0x740
	s_mov_b32 s15, s13
	s_mov_b32 s17, s13
	s_waitcnt lgkmcnt(0)
	s_ashr_i32 s7, s6, 31
	s_waitcnt vmcnt(0)
	v_readfirstlane_b32 s5, v1
	s_delay_alu instid0(VALU_DEP_1)
	s_lshl_b32 s2, s5, 3
	s_lshl_b64 s[4:5], s[6:7], 19
	s_clause 0x2
	s_load_b64 s[10:11], s[0:1], s2 offset:0x0
	s_load_b64 s[30:31], s[0:1], s2 offset:0x200
	;; [unrolled: 1-line block ×3, first 2 shown]
	s_mov_b32 s2, -1
	s_waitcnt lgkmcnt(0)
	s_add_u32 s3, s10, s4
	s_addc_u32 s33, s11, s5
	s_and_b32 s12, s3, 31
	s_add_u32 s42, s30, s4
	s_addc_u32 s43, s31, s5
	s_and_b32 s14, s8, 3
	s_and_b32 s16, s42, 31
	s_or_b64 s[12:13], s[12:13], s[14:15]
	s_lshl_b64 s[6:7], s[6:7], 16
	s_or_b64 s[12:13], s[16:17], s[12:13]
	s_sub_u32 s6, s8, s6
	s_subb_u32 s7, s9, s7
	s_cmp_eq_u64 s[12:13], 0
	s_cbranch_scc0 .LBB53_13
; %bb.1:
	v_dual_mov_b32 v18, 0 :: v_dual_lshlrev_b32 v17, 2, v0
	s_mov_b32 s44, exec_lo
	s_delay_alu instid0(VALU_DEP_1)
	v_cmpx_gt_i64_e64 s[6:7], v[17:18]
	s_cbranch_execz .LBB53_12
; %bb.2:
	s_load_b32 s2, s[0:1], 0xc5c
	v_lshlrev_b32_e32 v23, 5, v0
	s_mov_b32 s8, 0x78a05eaf
	s_mov_b32 s12, 0x9fea6a70
	s_mov_b32 s14, 0x37024d6a
	s_mov_b32 s16, 0x98a70509
	s_mov_b32 s18, 0xa300c8d2
	s_mov_b32 s20, 0x4b77012b
	s_mov_b32 s22, 0x11dccb70
	s_mov_b32 s24, 0xa0adacf
	s_mov_b32 s26, 0xc668963f
	s_mov_b32 s28, 0xb41ce4bd
	s_mov_b32 s34, 0x3336fd5b
	s_mov_b32 s36, 0x55555380
	s_mov_b32 s38, 0x54442d18
	s_mov_b32 s40, 0x33145c07
	s_mov_b32 s9, 0xbf90a5a3
	s_mov_b32 s13, 0x3fa05985
	s_mov_b32 s15, 0x3f940521
	s_mov_b32 s17, 0x3f7ab3a0
	s_waitcnt lgkmcnt(0)
	s_and_b32 s2, s2, 0xffff
	s_mov_b32 s19, 0x3f88ed60
	v_add_lshl_u32 v17, v0, s2, 2
	s_mov_b32 s21, 0x3f8c6fa8
	s_mov_b32 s23, 0x3f91c6c1
	;; [unrolled: 1-line block ×10, first 2 shown]
	s_lshl_b32 s46, s2, 2
	s_lshl_b32 s47, s2, 5
	s_branch .LBB53_4
.LBB53_3:                               ;   in Loop: Header=BB53_4 Depth=1
	s_or_b32 exec_lo, exec_lo, s2
	v_cmp_le_i64_e32 vcc_lo, s[6:7], v[17:18]
	v_cmp_lt_u64_e64 s2, 0xffff, v[17:18]
	v_add_co_u32 v1, s48, s42, v23
	v_bfi_b32 v14, 0x7fffffff, v14, v2
	v_bfi_b32 v12, 0x7fffffff, v12, v8
	;; [unrolled: 1-line block ×3, first 2 shown]
	s_or_b32 s2, vcc_lo, s2
	s_add_u32 s3, s3, s47
	v_add_co_u32 v17, vcc_lo, v17, s46
	s_addc_u32 s33, s33, 0
	s_add_u32 s42, s42, s47
	v_add_co_ci_u32_e64 v2, null, s43, 0, s48
	v_add_co_ci_u32_e32 v18, vcc_lo, 0, v18, vcc_lo
	s_addc_u32 s43, s43, 0
	v_bfi_b32 v16, 0x7fffffff, v16, v4
	s_and_b32 s2, exec_lo, s2
	s_clause 0x1
	global_store_b128 v[1:2], v[9:12], off
	global_store_b128 v[1:2], v[13:16], off offset:16
	s_or_b32 s45, s2, s45
	s_delay_alu instid0(SALU_CYCLE_1)
	s_and_not1_b32 exec_lo, exec_lo, s45
	s_cbranch_execz .LBB53_12
.LBB53_4:                               ; =>This Inner Loop Header: Depth=1
	v_add_co_u32 v1, s2, s3, v23
	s_delay_alu instid0(VALU_DEP_1)
	v_add_co_ci_u32_e64 v2, null, s33, 0, s2
	global_load_b128 v[5:8], v[1:2], off
	s_waitcnt vmcnt(0)
	v_fma_f64 v[13:14], |v[5:6]|, -0.5, 0.5
	v_mul_f64 v[3:4], v[5:6], v[5:6]
	v_cmp_ge_f64_e64 vcc_lo, |v[5:6]|, 0.5
	s_delay_alu instid0(VALU_DEP_2) | instskip(NEXT) | instid1(VALU_DEP_1)
	v_dual_cndmask_b32 v10, v4, v14 :: v_dual_cndmask_b32 v9, v3, v13
	v_fma_f64 v[3:4], v[9:10], s[12:13], s[8:9]
	s_delay_alu instid0(VALU_DEP_1) | instskip(NEXT) | instid1(VALU_DEP_1)
	v_fma_f64 v[3:4], v[9:10], v[3:4], s[14:15]
	v_fma_f64 v[3:4], v[9:10], v[3:4], s[16:17]
	s_delay_alu instid0(VALU_DEP_1) | instskip(NEXT) | instid1(VALU_DEP_1)
	v_fma_f64 v[3:4], v[9:10], v[3:4], s[18:19]
	v_fma_f64 v[11:12], v[9:10], v[3:4], s[20:21]
	global_load_b128 v[1:4], v[1:2], off offset:16
	v_fma_f64 v[11:12], v[9:10], v[11:12], s[22:23]
	s_delay_alu instid0(VALU_DEP_1) | instskip(NEXT) | instid1(VALU_DEP_1)
	v_fma_f64 v[11:12], v[9:10], v[11:12], s[24:25]
	v_fma_f64 v[11:12], v[9:10], v[11:12], s[26:27]
	s_delay_alu instid0(VALU_DEP_1) | instskip(NEXT) | instid1(VALU_DEP_1)
	v_fma_f64 v[11:12], v[9:10], v[11:12], s[28:29]
	;; [unrolled: 3-line block ×3, first 2 shown]
	v_mul_f64 v[11:12], v[9:10], v[11:12]
	s_delay_alu instid0(VALU_DEP_1)
	v_fma_f64 v[9:10], |v[5:6]|, v[11:12], |v[5:6]|
	s_and_saveexec_b32 s2, vcc_lo
	s_cbranch_execz .LBB53_6
; %bb.5:                                ;   in Loop: Header=BB53_4 Depth=1
	v_rsq_f64_e32 v[9:10], v[13:14]
	v_cmp_eq_f64_e32 vcc_lo, 0, v[13:14]
	s_waitcnt_depctr 0xfff
	v_mul_f64 v[15:16], v[13:14], v[9:10]
	v_mul_f64 v[9:10], v[9:10], 0.5
	s_delay_alu instid0(VALU_DEP_1) | instskip(NEXT) | instid1(VALU_DEP_1)
	v_fma_f64 v[19:20], -v[9:10], v[15:16], 0.5
	v_fma_f64 v[15:16], v[15:16], v[19:20], v[15:16]
	v_fma_f64 v[9:10], v[9:10], v[19:20], v[9:10]
	s_delay_alu instid0(VALU_DEP_2) | instskip(NEXT) | instid1(VALU_DEP_1)
	v_fma_f64 v[19:20], -v[15:16], v[15:16], v[13:14]
	v_fma_f64 v[9:10], v[19:20], v[9:10], v[15:16]
	s_delay_alu instid0(VALU_DEP_1) | instskip(NEXT) | instid1(VALU_DEP_1)
	v_dual_cndmask_b32 v10, v10, v14 :: v_dual_cndmask_b32 v9, v9, v13
	v_add_f64 v[15:16], v[9:10], v[9:10]
	v_mul_f64 v[19:20], v[9:10], v[9:10]
	s_delay_alu instid0(VALU_DEP_2) | instskip(NEXT) | instid1(VALU_DEP_1)
	v_rcp_f64_e32 v[21:22], v[15:16]
	v_add_f64 v[24:25], v[13:14], -v[19:20]
	v_fma_f64 v[28:29], v[9:10], v[9:10], -v[19:20]
	s_delay_alu instid0(VALU_DEP_2) | instskip(SKIP_3) | instid1(VALU_DEP_2)
	v_add_f64 v[13:14], v[13:14], -v[24:25]
	s_waitcnt_depctr 0xfff
	v_fma_f64 v[26:27], -v[15:16], v[21:22], 1.0
	v_add_f64 v[13:14], v[13:14], -v[19:20]
	v_fma_f64 v[19:20], v[26:27], v[21:22], v[21:22]
	s_delay_alu instid0(VALU_DEP_2) | instskip(NEXT) | instid1(VALU_DEP_2)
	v_add_f64 v[13:14], v[13:14], -v[28:29]
	v_fma_f64 v[21:22], -v[15:16], v[19:20], 1.0
	s_delay_alu instid0(VALU_DEP_2) | instskip(NEXT) | instid1(VALU_DEP_2)
	v_add_f64 v[13:14], v[24:25], v[13:14]
	v_fma_f64 v[19:20], v[21:22], v[19:20], v[19:20]
	s_delay_alu instid0(VALU_DEP_1) | instskip(NEXT) | instid1(VALU_DEP_1)
	v_mul_f64 v[21:22], v[13:14], v[19:20]
	v_fma_f64 v[13:14], -v[15:16], v[21:22], v[13:14]
	s_delay_alu instid0(VALU_DEP_1) | instskip(NEXT) | instid1(VALU_DEP_1)
	v_fma_f64 v[13:14], v[13:14], v[19:20], v[21:22]
	v_cndmask_b32_e64 v14, v14, 0, vcc_lo
	s_delay_alu instid0(VALU_DEP_2) | instskip(SKIP_1) | instid1(VALU_DEP_2)
	v_cndmask_b32_e64 v13, v13, 0, vcc_lo
	v_cmp_neq_f64_e64 vcc_lo, |v[5:6]|, 1.0
	v_add_f64 v[15:16], v[9:10], v[13:14]
	s_delay_alu instid0(VALU_DEP_1) | instskip(SKIP_1) | instid1(VALU_DEP_2)
	v_add_f64 v[9:10], v[15:16], -v[9:10]
	v_mul_f64 v[19:20], v[11:12], v[15:16]
	v_add_f64 v[9:10], v[13:14], -v[9:10]
	s_delay_alu instid0(VALU_DEP_2) | instskip(NEXT) | instid1(VALU_DEP_1)
	v_fma_f64 v[13:14], v[15:16], v[11:12], -v[19:20]
	v_fma_f64 v[11:12], v[9:10], v[11:12], v[13:14]
	s_delay_alu instid0(VALU_DEP_1) | instskip(NEXT) | instid1(VALU_DEP_1)
	v_add_f64 v[13:14], v[19:20], v[11:12]
	v_add_f64 v[21:22], v[15:16], v[13:14]
	v_add_f64 v[19:20], v[13:14], -v[19:20]
	s_delay_alu instid0(VALU_DEP_2) | instskip(NEXT) | instid1(VALU_DEP_2)
	v_add_f64 v[15:16], v[21:22], -v[15:16]
	v_add_f64 v[11:12], v[11:12], -v[19:20]
	s_delay_alu instid0(VALU_DEP_2) | instskip(NEXT) | instid1(VALU_DEP_2)
	v_add_f64 v[13:14], v[13:14], -v[15:16]
	v_add_f64 v[9:10], v[9:10], v[11:12]
	s_delay_alu instid0(VALU_DEP_1) | instskip(NEXT) | instid1(VALU_DEP_1)
	v_add_f64 v[9:10], v[9:10], v[13:14]
	v_add_f64 v[11:12], v[21:22], v[9:10]
	s_delay_alu instid0(VALU_DEP_1) | instskip(SKIP_1) | instid1(VALU_DEP_2)
	v_add_f64 v[13:14], -v[11:12], s[38:39]
	v_add_f64 v[19:20], v[11:12], -v[21:22]
	v_add_f64 v[15:16], -v[13:14], s[38:39]
	s_delay_alu instid0(VALU_DEP_2) | instskip(NEXT) | instid1(VALU_DEP_2)
	v_add_f64 v[9:10], v[19:20], -v[9:10]
	v_add_f64 v[11:12], v[15:16], -v[11:12]
	s_delay_alu instid0(VALU_DEP_1) | instskip(NEXT) | instid1(VALU_DEP_1)
	v_add_f64 v[11:12], v[11:12], s[40:41]
	v_add_f64 v[9:10], v[9:10], v[11:12]
	s_delay_alu instid0(VALU_DEP_1) | instskip(NEXT) | instid1(VALU_DEP_1)
	v_add_f64 v[9:10], v[13:14], v[9:10]
	v_add_f64 v[9:10], v[9:10], v[9:10]
	s_delay_alu instid0(VALU_DEP_1) | instskip(NEXT) | instid1(VALU_DEP_2)
	v_cndmask_b32_e32 v10, 0x3ff921fb, v10, vcc_lo
	v_cndmask_b32_e32 v9, 0x54442d18, v9, vcc_lo
.LBB53_6:                               ;   in Loop: Header=BB53_4 Depth=1
	s_or_b32 exec_lo, exec_lo, s2
	v_fma_f64 v[15:16], |v[7:8]|, -0.5, 0.5
	v_mul_f64 v[11:12], v[7:8], v[7:8]
	v_cmp_ge_f64_e64 vcc_lo, |v[7:8]|, 0.5
	s_delay_alu instid0(VALU_DEP_2) | instskip(NEXT) | instid1(VALU_DEP_1)
	v_dual_cndmask_b32 v12, v12, v16 :: v_dual_cndmask_b32 v11, v11, v15
	v_fma_f64 v[13:14], v[11:12], s[12:13], s[8:9]
	s_delay_alu instid0(VALU_DEP_1) | instskip(NEXT) | instid1(VALU_DEP_1)
	v_fma_f64 v[13:14], v[11:12], v[13:14], s[14:15]
	v_fma_f64 v[13:14], v[11:12], v[13:14], s[16:17]
	s_delay_alu instid0(VALU_DEP_1) | instskip(NEXT) | instid1(VALU_DEP_1)
	v_fma_f64 v[13:14], v[11:12], v[13:14], s[18:19]
	;; [unrolled: 3-line block ×5, first 2 shown]
	v_fma_f64 v[13:14], v[11:12], v[13:14], s[36:37]
	s_delay_alu instid0(VALU_DEP_1) | instskip(NEXT) | instid1(VALU_DEP_1)
	v_mul_f64 v[13:14], v[11:12], v[13:14]
	v_fma_f64 v[11:12], |v[7:8]|, v[13:14], |v[7:8]|
	s_and_saveexec_b32 s2, vcc_lo
	s_cbranch_execz .LBB53_8
; %bb.7:                                ;   in Loop: Header=BB53_4 Depth=1
	v_rsq_f64_e32 v[11:12], v[15:16]
	v_cmp_eq_f64_e32 vcc_lo, 0, v[15:16]
	s_waitcnt_depctr 0xfff
	v_mul_f64 v[19:20], v[15:16], v[11:12]
	v_mul_f64 v[11:12], v[11:12], 0.5
	s_delay_alu instid0(VALU_DEP_1) | instskip(NEXT) | instid1(VALU_DEP_1)
	v_fma_f64 v[21:22], -v[11:12], v[19:20], 0.5
	v_fma_f64 v[19:20], v[19:20], v[21:22], v[19:20]
	v_fma_f64 v[11:12], v[11:12], v[21:22], v[11:12]
	s_delay_alu instid0(VALU_DEP_2) | instskip(NEXT) | instid1(VALU_DEP_1)
	v_fma_f64 v[21:22], -v[19:20], v[19:20], v[15:16]
	v_fma_f64 v[11:12], v[21:22], v[11:12], v[19:20]
	s_delay_alu instid0(VALU_DEP_1) | instskip(NEXT) | instid1(VALU_DEP_1)
	v_dual_cndmask_b32 v12, v12, v16 :: v_dual_cndmask_b32 v11, v11, v15
	v_add_f64 v[19:20], v[11:12], v[11:12]
	v_mul_f64 v[21:22], v[11:12], v[11:12]
	s_delay_alu instid0(VALU_DEP_2) | instskip(NEXT) | instid1(VALU_DEP_1)
	v_rcp_f64_e32 v[24:25], v[19:20]
	v_add_f64 v[26:27], v[15:16], -v[21:22]
	v_fma_f64 v[30:31], v[11:12], v[11:12], -v[21:22]
	s_delay_alu instid0(VALU_DEP_2) | instskip(SKIP_3) | instid1(VALU_DEP_2)
	v_add_f64 v[15:16], v[15:16], -v[26:27]
	s_waitcnt_depctr 0xfff
	v_fma_f64 v[28:29], -v[19:20], v[24:25], 1.0
	v_add_f64 v[15:16], v[15:16], -v[21:22]
	v_fma_f64 v[21:22], v[28:29], v[24:25], v[24:25]
	s_delay_alu instid0(VALU_DEP_2) | instskip(NEXT) | instid1(VALU_DEP_2)
	v_add_f64 v[15:16], v[15:16], -v[30:31]
	v_fma_f64 v[24:25], -v[19:20], v[21:22], 1.0
	s_delay_alu instid0(VALU_DEP_2) | instskip(NEXT) | instid1(VALU_DEP_2)
	v_add_f64 v[15:16], v[26:27], v[15:16]
	v_fma_f64 v[21:22], v[24:25], v[21:22], v[21:22]
	s_delay_alu instid0(VALU_DEP_1) | instskip(NEXT) | instid1(VALU_DEP_1)
	v_mul_f64 v[24:25], v[15:16], v[21:22]
	v_fma_f64 v[15:16], -v[19:20], v[24:25], v[15:16]
	s_delay_alu instid0(VALU_DEP_1) | instskip(NEXT) | instid1(VALU_DEP_1)
	v_fma_f64 v[15:16], v[15:16], v[21:22], v[24:25]
	v_cndmask_b32_e64 v16, v16, 0, vcc_lo
	s_delay_alu instid0(VALU_DEP_2) | instskip(SKIP_1) | instid1(VALU_DEP_2)
	v_cndmask_b32_e64 v15, v15, 0, vcc_lo
	v_cmp_neq_f64_e64 vcc_lo, |v[7:8]|, 1.0
	v_add_f64 v[19:20], v[11:12], v[15:16]
	s_delay_alu instid0(VALU_DEP_1) | instskip(SKIP_1) | instid1(VALU_DEP_2)
	v_add_f64 v[11:12], v[19:20], -v[11:12]
	v_mul_f64 v[21:22], v[13:14], v[19:20]
	v_add_f64 v[11:12], v[15:16], -v[11:12]
	s_delay_alu instid0(VALU_DEP_2) | instskip(NEXT) | instid1(VALU_DEP_1)
	v_fma_f64 v[15:16], v[19:20], v[13:14], -v[21:22]
	v_fma_f64 v[13:14], v[11:12], v[13:14], v[15:16]
	s_delay_alu instid0(VALU_DEP_1) | instskip(NEXT) | instid1(VALU_DEP_1)
	v_add_f64 v[15:16], v[21:22], v[13:14]
	v_add_f64 v[24:25], v[19:20], v[15:16]
	v_add_f64 v[21:22], v[15:16], -v[21:22]
	s_delay_alu instid0(VALU_DEP_2) | instskip(NEXT) | instid1(VALU_DEP_2)
	v_add_f64 v[19:20], v[24:25], -v[19:20]
	v_add_f64 v[13:14], v[13:14], -v[21:22]
	s_delay_alu instid0(VALU_DEP_2) | instskip(NEXT) | instid1(VALU_DEP_2)
	v_add_f64 v[15:16], v[15:16], -v[19:20]
	v_add_f64 v[11:12], v[11:12], v[13:14]
	s_delay_alu instid0(VALU_DEP_1) | instskip(NEXT) | instid1(VALU_DEP_1)
	v_add_f64 v[11:12], v[11:12], v[15:16]
	v_add_f64 v[13:14], v[24:25], v[11:12]
	s_delay_alu instid0(VALU_DEP_1) | instskip(SKIP_1) | instid1(VALU_DEP_2)
	v_add_f64 v[15:16], -v[13:14], s[38:39]
	v_add_f64 v[21:22], v[13:14], -v[24:25]
	v_add_f64 v[19:20], -v[15:16], s[38:39]
	s_delay_alu instid0(VALU_DEP_2) | instskip(NEXT) | instid1(VALU_DEP_2)
	v_add_f64 v[11:12], v[21:22], -v[11:12]
	v_add_f64 v[13:14], v[19:20], -v[13:14]
	s_delay_alu instid0(VALU_DEP_1) | instskip(NEXT) | instid1(VALU_DEP_1)
	v_add_f64 v[13:14], v[13:14], s[40:41]
	v_add_f64 v[11:12], v[11:12], v[13:14]
	s_delay_alu instid0(VALU_DEP_1) | instskip(NEXT) | instid1(VALU_DEP_1)
	v_add_f64 v[11:12], v[15:16], v[11:12]
	v_add_f64 v[11:12], v[11:12], v[11:12]
	s_delay_alu instid0(VALU_DEP_1) | instskip(NEXT) | instid1(VALU_DEP_2)
	v_cndmask_b32_e32 v12, 0x3ff921fb, v12, vcc_lo
	v_cndmask_b32_e32 v11, 0x54442d18, v11, vcc_lo
.LBB53_8:                               ;   in Loop: Header=BB53_4 Depth=1
	s_or_b32 exec_lo, exec_lo, s2
	s_waitcnt vmcnt(0)
	v_fma_f64 v[19:20], |v[1:2]|, -0.5, 0.5
	v_mul_f64 v[13:14], v[1:2], v[1:2]
	v_cmp_ge_f64_e64 vcc_lo, |v[1:2]|, 0.5
	s_delay_alu instid0(VALU_DEP_2) | instskip(NEXT) | instid1(VALU_DEP_1)
	v_dual_cndmask_b32 v14, v14, v20 :: v_dual_cndmask_b32 v13, v13, v19
	v_fma_f64 v[15:16], v[13:14], s[12:13], s[8:9]
	s_delay_alu instid0(VALU_DEP_1) | instskip(NEXT) | instid1(VALU_DEP_1)
	v_fma_f64 v[15:16], v[13:14], v[15:16], s[14:15]
	v_fma_f64 v[15:16], v[13:14], v[15:16], s[16:17]
	s_delay_alu instid0(VALU_DEP_1) | instskip(NEXT) | instid1(VALU_DEP_1)
	v_fma_f64 v[15:16], v[13:14], v[15:16], s[18:19]
	;; [unrolled: 3-line block ×5, first 2 shown]
	v_fma_f64 v[15:16], v[13:14], v[15:16], s[36:37]
	s_delay_alu instid0(VALU_DEP_1) | instskip(NEXT) | instid1(VALU_DEP_1)
	v_mul_f64 v[15:16], v[13:14], v[15:16]
	v_fma_f64 v[13:14], |v[1:2]|, v[15:16], |v[1:2]|
	s_and_saveexec_b32 s2, vcc_lo
	s_cbranch_execz .LBB53_10
; %bb.9:                                ;   in Loop: Header=BB53_4 Depth=1
	v_rsq_f64_e32 v[13:14], v[19:20]
	v_cmp_eq_f64_e32 vcc_lo, 0, v[19:20]
	s_waitcnt_depctr 0xfff
	v_mul_f64 v[21:22], v[19:20], v[13:14]
	v_mul_f64 v[13:14], v[13:14], 0.5
	s_delay_alu instid0(VALU_DEP_1) | instskip(NEXT) | instid1(VALU_DEP_1)
	v_fma_f64 v[24:25], -v[13:14], v[21:22], 0.5
	v_fma_f64 v[21:22], v[21:22], v[24:25], v[21:22]
	v_fma_f64 v[13:14], v[13:14], v[24:25], v[13:14]
	s_delay_alu instid0(VALU_DEP_2) | instskip(NEXT) | instid1(VALU_DEP_1)
	v_fma_f64 v[24:25], -v[21:22], v[21:22], v[19:20]
	v_fma_f64 v[13:14], v[24:25], v[13:14], v[21:22]
	s_delay_alu instid0(VALU_DEP_1) | instskip(NEXT) | instid1(VALU_DEP_1)
	v_dual_cndmask_b32 v14, v14, v20 :: v_dual_cndmask_b32 v13, v13, v19
	v_add_f64 v[21:22], v[13:14], v[13:14]
	v_mul_f64 v[24:25], v[13:14], v[13:14]
	s_delay_alu instid0(VALU_DEP_2) | instskip(NEXT) | instid1(VALU_DEP_1)
	v_rcp_f64_e32 v[26:27], v[21:22]
	v_add_f64 v[28:29], v[19:20], -v[24:25]
	v_fma_f64 v[32:33], v[13:14], v[13:14], -v[24:25]
	s_delay_alu instid0(VALU_DEP_2) | instskip(SKIP_3) | instid1(VALU_DEP_2)
	v_add_f64 v[19:20], v[19:20], -v[28:29]
	s_waitcnt_depctr 0xfff
	v_fma_f64 v[30:31], -v[21:22], v[26:27], 1.0
	v_add_f64 v[19:20], v[19:20], -v[24:25]
	v_fma_f64 v[24:25], v[30:31], v[26:27], v[26:27]
	s_delay_alu instid0(VALU_DEP_2) | instskip(NEXT) | instid1(VALU_DEP_2)
	v_add_f64 v[19:20], v[19:20], -v[32:33]
	v_fma_f64 v[26:27], -v[21:22], v[24:25], 1.0
	s_delay_alu instid0(VALU_DEP_2) | instskip(NEXT) | instid1(VALU_DEP_2)
	v_add_f64 v[19:20], v[28:29], v[19:20]
	v_fma_f64 v[24:25], v[26:27], v[24:25], v[24:25]
	s_delay_alu instid0(VALU_DEP_1) | instskip(NEXT) | instid1(VALU_DEP_1)
	v_mul_f64 v[26:27], v[19:20], v[24:25]
	v_fma_f64 v[19:20], -v[21:22], v[26:27], v[19:20]
	s_delay_alu instid0(VALU_DEP_1) | instskip(NEXT) | instid1(VALU_DEP_1)
	v_fma_f64 v[19:20], v[19:20], v[24:25], v[26:27]
	v_cndmask_b32_e64 v20, v20, 0, vcc_lo
	s_delay_alu instid0(VALU_DEP_2) | instskip(SKIP_1) | instid1(VALU_DEP_2)
	v_cndmask_b32_e64 v19, v19, 0, vcc_lo
	v_cmp_neq_f64_e64 vcc_lo, |v[1:2]|, 1.0
	v_add_f64 v[21:22], v[13:14], v[19:20]
	s_delay_alu instid0(VALU_DEP_1) | instskip(SKIP_1) | instid1(VALU_DEP_2)
	v_add_f64 v[13:14], v[21:22], -v[13:14]
	v_mul_f64 v[24:25], v[15:16], v[21:22]
	v_add_f64 v[13:14], v[19:20], -v[13:14]
	s_delay_alu instid0(VALU_DEP_2) | instskip(NEXT) | instid1(VALU_DEP_1)
	v_fma_f64 v[19:20], v[21:22], v[15:16], -v[24:25]
	v_fma_f64 v[15:16], v[13:14], v[15:16], v[19:20]
	s_delay_alu instid0(VALU_DEP_1) | instskip(NEXT) | instid1(VALU_DEP_1)
	v_add_f64 v[19:20], v[24:25], v[15:16]
	v_add_f64 v[26:27], v[21:22], v[19:20]
	v_add_f64 v[24:25], v[19:20], -v[24:25]
	s_delay_alu instid0(VALU_DEP_2) | instskip(NEXT) | instid1(VALU_DEP_2)
	v_add_f64 v[21:22], v[26:27], -v[21:22]
	v_add_f64 v[15:16], v[15:16], -v[24:25]
	s_delay_alu instid0(VALU_DEP_2) | instskip(NEXT) | instid1(VALU_DEP_2)
	v_add_f64 v[19:20], v[19:20], -v[21:22]
	v_add_f64 v[13:14], v[13:14], v[15:16]
	s_delay_alu instid0(VALU_DEP_1) | instskip(NEXT) | instid1(VALU_DEP_1)
	v_add_f64 v[13:14], v[13:14], v[19:20]
	v_add_f64 v[15:16], v[26:27], v[13:14]
	s_delay_alu instid0(VALU_DEP_1) | instskip(SKIP_1) | instid1(VALU_DEP_2)
	v_add_f64 v[19:20], -v[15:16], s[38:39]
	v_add_f64 v[24:25], v[15:16], -v[26:27]
	v_add_f64 v[21:22], -v[19:20], s[38:39]
	s_delay_alu instid0(VALU_DEP_2) | instskip(NEXT) | instid1(VALU_DEP_2)
	v_add_f64 v[13:14], v[24:25], -v[13:14]
	v_add_f64 v[15:16], v[21:22], -v[15:16]
	s_delay_alu instid0(VALU_DEP_1) | instskip(NEXT) | instid1(VALU_DEP_1)
	v_add_f64 v[15:16], v[15:16], s[40:41]
	v_add_f64 v[13:14], v[13:14], v[15:16]
	s_delay_alu instid0(VALU_DEP_1) | instskip(NEXT) | instid1(VALU_DEP_1)
	v_add_f64 v[13:14], v[19:20], v[13:14]
	v_add_f64 v[13:14], v[13:14], v[13:14]
	s_delay_alu instid0(VALU_DEP_1) | instskip(NEXT) | instid1(VALU_DEP_2)
	v_cndmask_b32_e32 v14, 0x3ff921fb, v14, vcc_lo
	v_cndmask_b32_e32 v13, 0x54442d18, v13, vcc_lo
.LBB53_10:                              ;   in Loop: Header=BB53_4 Depth=1
	s_or_b32 exec_lo, exec_lo, s2
	v_fma_f64 v[21:22], |v[3:4]|, -0.5, 0.5
	v_mul_f64 v[15:16], v[3:4], v[3:4]
	v_cmp_ge_f64_e64 vcc_lo, |v[3:4]|, 0.5
	s_delay_alu instid0(VALU_DEP_2) | instskip(NEXT) | instid1(VALU_DEP_1)
	v_dual_cndmask_b32 v16, v16, v22 :: v_dual_cndmask_b32 v15, v15, v21
	v_fma_f64 v[19:20], v[15:16], s[12:13], s[8:9]
	s_delay_alu instid0(VALU_DEP_1) | instskip(NEXT) | instid1(VALU_DEP_1)
	v_fma_f64 v[19:20], v[15:16], v[19:20], s[14:15]
	v_fma_f64 v[19:20], v[15:16], v[19:20], s[16:17]
	s_delay_alu instid0(VALU_DEP_1) | instskip(NEXT) | instid1(VALU_DEP_1)
	v_fma_f64 v[19:20], v[15:16], v[19:20], s[18:19]
	;; [unrolled: 3-line block ×5, first 2 shown]
	v_fma_f64 v[19:20], v[15:16], v[19:20], s[36:37]
	s_delay_alu instid0(VALU_DEP_1) | instskip(NEXT) | instid1(VALU_DEP_1)
	v_mul_f64 v[19:20], v[15:16], v[19:20]
	v_fma_f64 v[15:16], |v[3:4]|, v[19:20], |v[3:4]|
	s_and_saveexec_b32 s2, vcc_lo
	s_cbranch_execz .LBB53_3
; %bb.11:                               ;   in Loop: Header=BB53_4 Depth=1
	v_rsq_f64_e32 v[15:16], v[21:22]
	v_cmp_eq_f64_e32 vcc_lo, 0, v[21:22]
	s_waitcnt_depctr 0xfff
	v_mul_f64 v[24:25], v[21:22], v[15:16]
	v_mul_f64 v[15:16], v[15:16], 0.5
	s_delay_alu instid0(VALU_DEP_1) | instskip(NEXT) | instid1(VALU_DEP_1)
	v_fma_f64 v[26:27], -v[15:16], v[24:25], 0.5
	v_fma_f64 v[24:25], v[24:25], v[26:27], v[24:25]
	v_fma_f64 v[15:16], v[15:16], v[26:27], v[15:16]
	s_delay_alu instid0(VALU_DEP_2) | instskip(NEXT) | instid1(VALU_DEP_1)
	v_fma_f64 v[26:27], -v[24:25], v[24:25], v[21:22]
	v_fma_f64 v[15:16], v[26:27], v[15:16], v[24:25]
	s_delay_alu instid0(VALU_DEP_1) | instskip(NEXT) | instid1(VALU_DEP_1)
	v_dual_cndmask_b32 v16, v16, v22 :: v_dual_cndmask_b32 v15, v15, v21
	v_add_f64 v[24:25], v[15:16], v[15:16]
	v_mul_f64 v[26:27], v[15:16], v[15:16]
	s_delay_alu instid0(VALU_DEP_2) | instskip(NEXT) | instid1(VALU_DEP_1)
	v_rcp_f64_e32 v[28:29], v[24:25]
	v_add_f64 v[30:31], v[21:22], -v[26:27]
	v_fma_f64 v[34:35], v[15:16], v[15:16], -v[26:27]
	s_delay_alu instid0(VALU_DEP_2) | instskip(SKIP_3) | instid1(VALU_DEP_2)
	v_add_f64 v[21:22], v[21:22], -v[30:31]
	s_waitcnt_depctr 0xfff
	v_fma_f64 v[32:33], -v[24:25], v[28:29], 1.0
	v_add_f64 v[21:22], v[21:22], -v[26:27]
	v_fma_f64 v[26:27], v[32:33], v[28:29], v[28:29]
	s_delay_alu instid0(VALU_DEP_2) | instskip(NEXT) | instid1(VALU_DEP_2)
	v_add_f64 v[21:22], v[21:22], -v[34:35]
	v_fma_f64 v[28:29], -v[24:25], v[26:27], 1.0
	s_delay_alu instid0(VALU_DEP_2) | instskip(NEXT) | instid1(VALU_DEP_2)
	v_add_f64 v[21:22], v[30:31], v[21:22]
	v_fma_f64 v[26:27], v[28:29], v[26:27], v[26:27]
	s_delay_alu instid0(VALU_DEP_1) | instskip(NEXT) | instid1(VALU_DEP_1)
	v_mul_f64 v[28:29], v[21:22], v[26:27]
	v_fma_f64 v[21:22], -v[24:25], v[28:29], v[21:22]
	s_delay_alu instid0(VALU_DEP_1) | instskip(NEXT) | instid1(VALU_DEP_1)
	v_fma_f64 v[21:22], v[21:22], v[26:27], v[28:29]
	v_cndmask_b32_e64 v22, v22, 0, vcc_lo
	s_delay_alu instid0(VALU_DEP_2) | instskip(SKIP_1) | instid1(VALU_DEP_2)
	v_cndmask_b32_e64 v21, v21, 0, vcc_lo
	v_cmp_neq_f64_e64 vcc_lo, |v[3:4]|, 1.0
	v_add_f64 v[24:25], v[15:16], v[21:22]
	s_delay_alu instid0(VALU_DEP_1) | instskip(SKIP_1) | instid1(VALU_DEP_2)
	v_add_f64 v[15:16], v[24:25], -v[15:16]
	v_mul_f64 v[26:27], v[19:20], v[24:25]
	v_add_f64 v[15:16], v[21:22], -v[15:16]
	s_delay_alu instid0(VALU_DEP_2) | instskip(NEXT) | instid1(VALU_DEP_1)
	v_fma_f64 v[21:22], v[24:25], v[19:20], -v[26:27]
	v_fma_f64 v[19:20], v[15:16], v[19:20], v[21:22]
	s_delay_alu instid0(VALU_DEP_1) | instskip(NEXT) | instid1(VALU_DEP_1)
	v_add_f64 v[21:22], v[26:27], v[19:20]
	v_add_f64 v[28:29], v[24:25], v[21:22]
	v_add_f64 v[26:27], v[21:22], -v[26:27]
	s_delay_alu instid0(VALU_DEP_2) | instskip(NEXT) | instid1(VALU_DEP_2)
	v_add_f64 v[24:25], v[28:29], -v[24:25]
	v_add_f64 v[19:20], v[19:20], -v[26:27]
	s_delay_alu instid0(VALU_DEP_2) | instskip(NEXT) | instid1(VALU_DEP_2)
	v_add_f64 v[21:22], v[21:22], -v[24:25]
	v_add_f64 v[15:16], v[15:16], v[19:20]
	s_delay_alu instid0(VALU_DEP_1) | instskip(NEXT) | instid1(VALU_DEP_1)
	v_add_f64 v[15:16], v[15:16], v[21:22]
	v_add_f64 v[19:20], v[28:29], v[15:16]
	s_delay_alu instid0(VALU_DEP_1) | instskip(SKIP_1) | instid1(VALU_DEP_2)
	v_add_f64 v[21:22], -v[19:20], s[38:39]
	v_add_f64 v[26:27], v[19:20], -v[28:29]
	v_add_f64 v[24:25], -v[21:22], s[38:39]
	s_delay_alu instid0(VALU_DEP_2) | instskip(NEXT) | instid1(VALU_DEP_2)
	v_add_f64 v[15:16], v[26:27], -v[15:16]
	v_add_f64 v[19:20], v[24:25], -v[19:20]
	s_delay_alu instid0(VALU_DEP_1) | instskip(NEXT) | instid1(VALU_DEP_1)
	v_add_f64 v[19:20], v[19:20], s[40:41]
	v_add_f64 v[15:16], v[15:16], v[19:20]
	s_delay_alu instid0(VALU_DEP_1) | instskip(NEXT) | instid1(VALU_DEP_1)
	v_add_f64 v[15:16], v[21:22], v[15:16]
	v_add_f64 v[15:16], v[15:16], v[15:16]
	s_delay_alu instid0(VALU_DEP_1) | instskip(NEXT) | instid1(VALU_DEP_2)
	v_cndmask_b32_e32 v16, 0x3ff921fb, v16, vcc_lo
	v_cndmask_b32_e32 v15, 0x54442d18, v15, vcc_lo
	s_branch .LBB53_3
.LBB53_12:
	s_or_b32 exec_lo, exec_lo, s44
	s_mov_b32 s2, 0
.LBB53_13:
	s_delay_alu instid0(SALU_CYCLE_1)
	s_and_not1_b32 vcc_lo, exec_lo, s2
	s_cbranch_vccnz .LBB53_41
; %bb.14:
	v_cmp_lt_i64_e64 s2, s[6:7], 1
	s_delay_alu instid0(VALU_DEP_1)
	s_and_b32 vcc_lo, exec_lo, s2
	s_cbranch_vccnz .LBB53_41
; %bb.15:
	s_load_b32 s0, s[0:1], 0xc5c
	v_dual_mov_b32 v2, 0 :: v_dual_lshlrev_b32 v1, 3, v0
	v_cmp_gt_u64_e64 s1, 0x10000, s[6:7]
	s_mov_b32 s12, 0x9fea6a70
	s_mov_b32 s14, 0x37024d6a
	s_delay_alu instid0(VALU_DEP_2) | instskip(NEXT) | instid1(VALU_DEP_1)
	v_add_co_u32 v21, s2, s10, v1
	v_add_co_ci_u32_e64 v22, null, s11, 0, s2
	v_add_co_u32 v23, s2, s30, v1
	s_delay_alu instid0(VALU_DEP_1)
	v_add_co_ci_u32_e64 v24, null, s31, 0, s2
	s_mov_b32 s16, 0x98a70509
	s_mov_b32 s18, 0xa300c8d2
	;; [unrolled: 1-line block ×6, first 2 shown]
	s_waitcnt lgkmcnt(0)
	s_and_b32 s0, s0, 0xffff
	s_and_b32 s1, s1, exec_lo
	v_mad_u64_u32 v[3:4], null, s0, 24, v[1:2]
	s_cselect_b32 s9, s7, 0
	s_cselect_b32 s8, s6, 0x10000
	s_lshl_b32 s3, s0, 4
	s_mul_i32 s2, s0, 3
	v_add_co_u32 v1, s3, s3, v1
	s_delay_alu instid0(VALU_DEP_2) | instskip(NEXT) | instid1(VALU_DEP_3)
	v_add_co_u32 v25, vcc_lo, s10, v3
	v_add_co_ci_u32_e32 v26, vcc_lo, s11, v4, vcc_lo
	v_add_co_u32 v29, s2, s2, v0
	v_add_co_u32 v27, vcc_lo, s30, v3
	v_add_co_ci_u32_e64 v2, null, 0, 0, s3
	v_add_co_ci_u32_e64 v30, null, 0, 0, s2
	v_add_co_u32 v33, s2, v0, s0
	v_add_co_ci_u32_e32 v28, vcc_lo, s31, v4, vcc_lo
	v_add_co_u32 v31, vcc_lo, s10, v1
	v_add_co_ci_u32_e32 v32, vcc_lo, s11, v2, vcc_lo
	v_add_co_u32 v34, vcc_lo, s30, v1
	v_lshlrev_b32_e32 v1, 3, v33
	s_lshl_b32 s1, s0, 1
	v_add_co_ci_u32_e32 v35, vcc_lo, s31, v2, vcc_lo
	v_add_co_u32 v37, s1, s1, v0
	s_delay_alu instid0(VALU_DEP_1) | instskip(SKIP_1) | instid1(VALU_DEP_1)
	v_add_co_ci_u32_e64 v38, null, 0, 0, s1
	v_add_co_u32 v39, s1, s10, v1
	v_add_co_ci_u32_e64 v40, null, s11, 0, s1
	v_add_co_u32 v41, s1, s30, v1
	v_add_co_ci_u32_e64 v36, null, 0, 0, s2
	v_add_co_ci_u32_e64 v42, null, s31, 0, s1
	s_mov_b32 s10, 0x78a05eaf
	s_mov_b32 s28, 0xb41ce4bd
	;; [unrolled: 1-line block ×20, first 2 shown]
	s_lshl_b32 s33, s0, 2
	s_lshl_b32 s42, s0, 5
	s_mov_b64 s[30:31], 0
	s_branch .LBB53_17
.LBB53_16:                              ;   in Loop: Header=BB53_17 Depth=1
	s_or_b32 exec_lo, exec_lo, s0
	v_add_co_u32 v21, vcc_lo, v21, s42
	v_add_co_ci_u32_e32 v22, vcc_lo, 0, v22, vcc_lo
	v_add_co_u32 v23, vcc_lo, v23, s42
	v_add_co_ci_u32_e32 v24, vcc_lo, 0, v24, vcc_lo
	;; [unrolled: 2-line block ×5, first 2 shown]
	s_add_u32 s30, s30, s33
	v_add_co_u32 v34, vcc_lo, v34, s42
	s_addc_u32 s31, s31, 0
	v_add_co_ci_u32_e32 v35, vcc_lo, 0, v35, vcc_lo
	v_cmp_ge_i64_e64 s0, s[30:31], s[6:7]
	v_cmp_lt_u64_e64 s1, 0xffff, s[30:31]
	v_add_co_u32 v39, vcc_lo, v39, s42
	v_add_co_ci_u32_e32 v40, vcc_lo, 0, v40, vcc_lo
	v_add_co_u32 v41, vcc_lo, v41, s42
	v_add_co_ci_u32_e32 v42, vcc_lo, 0, v42, vcc_lo
	s_or_b32 s0, s0, s1
	s_delay_alu instid0(SALU_CYCLE_1)
	s_and_b32 vcc_lo, exec_lo, s0
	s_cbranch_vccnz .LBB53_41
.LBB53_17:                              ; =>This Inner Loop Header: Depth=1
	v_add_co_u32 v3, s0, v0, s30
	s_delay_alu instid0(VALU_DEP_1) | instskip(SKIP_2) | instid1(VALU_DEP_3)
	v_add_co_ci_u32_e64 v4, null, 0, s31, s0
	v_mov_b32_e32 v1, 0
	v_mov_b32_e32 v2, 0
	v_cmp_gt_u64_e32 vcc_lo, s[8:9], v[3:4]
	s_delay_alu instid0(VALU_DEP_2)
	v_dual_mov_b32 v6, v2 :: v_dual_mov_b32 v5, v1
	s_and_saveexec_b32 s1, vcc_lo
	s_cbranch_execz .LBB53_19
; %bb.18:                               ;   in Loop: Header=BB53_17 Depth=1
	v_add_co_u32 v3, s0, v21, s4
	s_delay_alu instid0(VALU_DEP_1)
	v_add_co_ci_u32_e64 v4, s0, s5, v22, s0
	global_load_b64 v[5:6], v[3:4], off
.LBB53_19:                              ;   in Loop: Header=BB53_17 Depth=1
	s_or_b32 exec_lo, exec_lo, s1
	v_add_co_u32 v3, s0, v33, s30
	s_delay_alu instid0(VALU_DEP_1) | instskip(NEXT) | instid1(VALU_DEP_1)
	v_add_co_ci_u32_e64 v4, s0, s31, v36, s0
	v_cmp_gt_u64_e64 s0, s[8:9], v[3:4]
	s_delay_alu instid0(VALU_DEP_1)
	s_and_saveexec_b32 s2, s0
	s_cbranch_execz .LBB53_21
; %bb.20:                               ;   in Loop: Header=BB53_17 Depth=1
	v_add_co_u32 v1, s1, v39, s4
	s_delay_alu instid0(VALU_DEP_1)
	v_add_co_ci_u32_e64 v2, s1, s5, v40, s1
	global_load_b64 v[1:2], v[1:2], off
.LBB53_21:                              ;   in Loop: Header=BB53_17 Depth=1
	s_or_b32 exec_lo, exec_lo, s2
	v_add_co_u32 v7, s1, v37, s30
	s_delay_alu instid0(VALU_DEP_1) | instskip(SKIP_2) | instid1(VALU_DEP_3)
	v_add_co_ci_u32_e64 v8, s1, s31, v38, s1
	v_mov_b32_e32 v3, 0
	v_mov_b32_e32 v4, 0
	v_cmp_gt_u64_e64 s1, s[8:9], v[7:8]
	s_delay_alu instid0(VALU_DEP_2) | instskip(NEXT) | instid1(VALU_DEP_2)
	v_dual_mov_b32 v8, v4 :: v_dual_mov_b32 v7, v3
	s_and_saveexec_b32 s3, s1
	s_cbranch_execz .LBB53_23
; %bb.22:                               ;   in Loop: Header=BB53_17 Depth=1
	v_add_co_u32 v7, s2, v31, s4
	s_delay_alu instid0(VALU_DEP_1)
	v_add_co_ci_u32_e64 v8, s2, s5, v32, s2
	global_load_b64 v[7:8], v[7:8], off
.LBB53_23:                              ;   in Loop: Header=BB53_17 Depth=1
	s_or_b32 exec_lo, exec_lo, s3
	v_add_co_u32 v9, s2, v29, s30
	s_delay_alu instid0(VALU_DEP_1) | instskip(NEXT) | instid1(VALU_DEP_1)
	v_add_co_ci_u32_e64 v10, s2, s31, v30, s2
	v_cmp_gt_u64_e64 s2, s[8:9], v[9:10]
	s_delay_alu instid0(VALU_DEP_1)
	s_and_saveexec_b32 s43, s2
	s_cbranch_execz .LBB53_25
; %bb.24:                               ;   in Loop: Header=BB53_17 Depth=1
	v_add_co_u32 v3, s3, v25, s4
	s_delay_alu instid0(VALU_DEP_1)
	v_add_co_ci_u32_e64 v4, s3, s5, v26, s3
	global_load_b64 v[3:4], v[3:4], off
.LBB53_25:                              ;   in Loop: Header=BB53_17 Depth=1
	s_or_b32 exec_lo, exec_lo, s43
	s_waitcnt vmcnt(0)
	v_fma_f64 v[13:14], |v[5:6]|, -0.5, 0.5
	v_mul_f64 v[9:10], v[5:6], v[5:6]
	v_cmp_ge_f64_e64 s3, |v[5:6]|, 0.5
	s_delay_alu instid0(VALU_DEP_1) | instskip(NEXT) | instid1(VALU_DEP_3)
	v_cndmask_b32_e64 v10, v10, v14, s3
	v_cndmask_b32_e64 v9, v9, v13, s3
	s_delay_alu instid0(VALU_DEP_1) | instskip(NEXT) | instid1(VALU_DEP_1)
	v_fma_f64 v[11:12], v[9:10], s[12:13], s[10:11]
	v_fma_f64 v[11:12], v[9:10], v[11:12], s[14:15]
	s_delay_alu instid0(VALU_DEP_1) | instskip(NEXT) | instid1(VALU_DEP_1)
	v_fma_f64 v[11:12], v[9:10], v[11:12], s[16:17]
	v_fma_f64 v[11:12], v[9:10], v[11:12], s[18:19]
	;; [unrolled: 3-line block ×5, first 2 shown]
	s_delay_alu instid0(VALU_DEP_1) | instskip(NEXT) | instid1(VALU_DEP_1)
	v_fma_f64 v[11:12], v[9:10], v[11:12], s[36:37]
	v_mul_f64 v[11:12], v[9:10], v[11:12]
	s_delay_alu instid0(VALU_DEP_1)
	v_fma_f64 v[9:10], |v[5:6]|, v[11:12], |v[5:6]|
	s_and_saveexec_b32 s43, s3
	s_cbranch_execz .LBB53_27
; %bb.26:                               ;   in Loop: Header=BB53_17 Depth=1
	v_rsq_f64_e32 v[9:10], v[13:14]
	v_cmp_eq_f64_e64 s3, 0, v[13:14]
	s_waitcnt_depctr 0xfff
	v_mul_f64 v[15:16], v[13:14], v[9:10]
	v_mul_f64 v[9:10], v[9:10], 0.5
	s_delay_alu instid0(VALU_DEP_1) | instskip(NEXT) | instid1(VALU_DEP_1)
	v_fma_f64 v[17:18], -v[9:10], v[15:16], 0.5
	v_fma_f64 v[15:16], v[15:16], v[17:18], v[15:16]
	v_fma_f64 v[9:10], v[9:10], v[17:18], v[9:10]
	s_delay_alu instid0(VALU_DEP_2) | instskip(NEXT) | instid1(VALU_DEP_1)
	v_fma_f64 v[17:18], -v[15:16], v[15:16], v[13:14]
	v_fma_f64 v[9:10], v[17:18], v[9:10], v[15:16]
	s_delay_alu instid0(VALU_DEP_1) | instskip(NEXT) | instid1(VALU_DEP_2)
	v_cndmask_b32_e64 v10, v10, v14, s3
	v_cndmask_b32_e64 v9, v9, v13, s3
	s_delay_alu instid0(VALU_DEP_1) | instskip(SKIP_1) | instid1(VALU_DEP_2)
	v_add_f64 v[15:16], v[9:10], v[9:10]
	v_mul_f64 v[17:18], v[9:10], v[9:10]
	v_rcp_f64_e32 v[19:20], v[15:16]
	s_delay_alu instid0(VALU_DEP_1) | instskip(SKIP_1) | instid1(VALU_DEP_2)
	v_add_f64 v[43:44], v[13:14], -v[17:18]
	v_fma_f64 v[47:48], v[9:10], v[9:10], -v[17:18]
	v_add_f64 v[13:14], v[13:14], -v[43:44]
	s_waitcnt_depctr 0xfff
	v_fma_f64 v[45:46], -v[15:16], v[19:20], 1.0
	v_add_f64 v[13:14], v[13:14], -v[17:18]
	s_delay_alu instid0(VALU_DEP_2) | instskip(NEXT) | instid1(VALU_DEP_2)
	v_fma_f64 v[17:18], v[45:46], v[19:20], v[19:20]
	v_add_f64 v[13:14], v[13:14], -v[47:48]
	s_delay_alu instid0(VALU_DEP_2) | instskip(NEXT) | instid1(VALU_DEP_2)
	v_fma_f64 v[19:20], -v[15:16], v[17:18], 1.0
	v_add_f64 v[13:14], v[43:44], v[13:14]
	s_delay_alu instid0(VALU_DEP_2) | instskip(NEXT) | instid1(VALU_DEP_1)
	v_fma_f64 v[17:18], v[19:20], v[17:18], v[17:18]
	v_mul_f64 v[19:20], v[13:14], v[17:18]
	s_delay_alu instid0(VALU_DEP_1) | instskip(NEXT) | instid1(VALU_DEP_1)
	v_fma_f64 v[13:14], -v[15:16], v[19:20], v[13:14]
	v_fma_f64 v[13:14], v[13:14], v[17:18], v[19:20]
	s_delay_alu instid0(VALU_DEP_1) | instskip(NEXT) | instid1(VALU_DEP_2)
	v_cndmask_b32_e64 v14, v14, 0, s3
	v_cndmask_b32_e64 v13, v13, 0, s3
	v_cmp_neq_f64_e64 s3, |v[5:6]|, 1.0
	s_delay_alu instid0(VALU_DEP_2) | instskip(NEXT) | instid1(VALU_DEP_1)
	v_add_f64 v[15:16], v[9:10], v[13:14]
	v_add_f64 v[9:10], v[15:16], -v[9:10]
	v_mul_f64 v[17:18], v[11:12], v[15:16]
	s_delay_alu instid0(VALU_DEP_2) | instskip(NEXT) | instid1(VALU_DEP_2)
	v_add_f64 v[9:10], v[13:14], -v[9:10]
	v_fma_f64 v[13:14], v[15:16], v[11:12], -v[17:18]
	s_delay_alu instid0(VALU_DEP_1) | instskip(NEXT) | instid1(VALU_DEP_1)
	v_fma_f64 v[11:12], v[9:10], v[11:12], v[13:14]
	v_add_f64 v[13:14], v[17:18], v[11:12]
	s_delay_alu instid0(VALU_DEP_1) | instskip(SKIP_1) | instid1(VALU_DEP_2)
	v_add_f64 v[19:20], v[15:16], v[13:14]
	v_add_f64 v[17:18], v[13:14], -v[17:18]
	v_add_f64 v[15:16], v[19:20], -v[15:16]
	s_delay_alu instid0(VALU_DEP_2) | instskip(NEXT) | instid1(VALU_DEP_2)
	v_add_f64 v[11:12], v[11:12], -v[17:18]
	v_add_f64 v[13:14], v[13:14], -v[15:16]
	s_delay_alu instid0(VALU_DEP_2) | instskip(NEXT) | instid1(VALU_DEP_1)
	v_add_f64 v[9:10], v[9:10], v[11:12]
	v_add_f64 v[9:10], v[9:10], v[13:14]
	s_delay_alu instid0(VALU_DEP_1) | instskip(NEXT) | instid1(VALU_DEP_1)
	v_add_f64 v[11:12], v[19:20], v[9:10]
	v_add_f64 v[13:14], -v[11:12], s[38:39]
	v_add_f64 v[17:18], v[11:12], -v[19:20]
	s_delay_alu instid0(VALU_DEP_2) | instskip(NEXT) | instid1(VALU_DEP_2)
	v_add_f64 v[15:16], -v[13:14], s[38:39]
	v_add_f64 v[9:10], v[17:18], -v[9:10]
	s_delay_alu instid0(VALU_DEP_2) | instskip(NEXT) | instid1(VALU_DEP_1)
	v_add_f64 v[11:12], v[15:16], -v[11:12]
	v_add_f64 v[11:12], v[11:12], s[40:41]
	s_delay_alu instid0(VALU_DEP_1) | instskip(NEXT) | instid1(VALU_DEP_1)
	v_add_f64 v[9:10], v[9:10], v[11:12]
	v_add_f64 v[9:10], v[13:14], v[9:10]
	s_delay_alu instid0(VALU_DEP_1) | instskip(NEXT) | instid1(VALU_DEP_1)
	v_add_f64 v[9:10], v[9:10], v[9:10]
	v_cndmask_b32_e64 v10, 0x3ff921fb, v10, s3
	s_delay_alu instid0(VALU_DEP_2)
	v_cndmask_b32_e64 v9, 0x54442d18, v9, s3
.LBB53_27:                              ;   in Loop: Header=BB53_17 Depth=1
	s_or_b32 exec_lo, exec_lo, s43
	v_fma_f64 v[13:14], |v[1:2]|, -0.5, 0.5
	v_mul_f64 v[11:12], v[1:2], v[1:2]
	v_cmp_ge_f64_e64 s3, |v[1:2]|, 0.5
	s_delay_alu instid0(VALU_DEP_1) | instskip(NEXT) | instid1(VALU_DEP_3)
	v_cndmask_b32_e64 v12, v12, v14, s3
	v_cndmask_b32_e64 v11, v11, v13, s3
	s_delay_alu instid0(VALU_DEP_1) | instskip(NEXT) | instid1(VALU_DEP_1)
	v_fma_f64 v[15:16], v[11:12], s[12:13], s[10:11]
	v_fma_f64 v[15:16], v[11:12], v[15:16], s[14:15]
	s_delay_alu instid0(VALU_DEP_1) | instskip(NEXT) | instid1(VALU_DEP_1)
	v_fma_f64 v[15:16], v[11:12], v[15:16], s[16:17]
	v_fma_f64 v[15:16], v[11:12], v[15:16], s[18:19]
	;; [unrolled: 3-line block ×5, first 2 shown]
	s_delay_alu instid0(VALU_DEP_1) | instskip(NEXT) | instid1(VALU_DEP_1)
	v_fma_f64 v[15:16], v[11:12], v[15:16], s[36:37]
	v_mul_f64 v[15:16], v[11:12], v[15:16]
	s_delay_alu instid0(VALU_DEP_1)
	v_fma_f64 v[11:12], |v[1:2]|, v[15:16], |v[1:2]|
	s_and_saveexec_b32 s43, s3
	s_cbranch_execz .LBB53_29
; %bb.28:                               ;   in Loop: Header=BB53_17 Depth=1
	v_rsq_f64_e32 v[11:12], v[13:14]
	v_cmp_eq_f64_e64 s3, 0, v[13:14]
	s_waitcnt_depctr 0xfff
	v_mul_f64 v[17:18], v[13:14], v[11:12]
	v_mul_f64 v[11:12], v[11:12], 0.5
	s_delay_alu instid0(VALU_DEP_1) | instskip(NEXT) | instid1(VALU_DEP_1)
	v_fma_f64 v[19:20], -v[11:12], v[17:18], 0.5
	v_fma_f64 v[17:18], v[17:18], v[19:20], v[17:18]
	v_fma_f64 v[11:12], v[11:12], v[19:20], v[11:12]
	s_delay_alu instid0(VALU_DEP_2) | instskip(NEXT) | instid1(VALU_DEP_1)
	v_fma_f64 v[19:20], -v[17:18], v[17:18], v[13:14]
	v_fma_f64 v[11:12], v[19:20], v[11:12], v[17:18]
	s_delay_alu instid0(VALU_DEP_1) | instskip(NEXT) | instid1(VALU_DEP_2)
	v_cndmask_b32_e64 v12, v12, v14, s3
	v_cndmask_b32_e64 v11, v11, v13, s3
	s_delay_alu instid0(VALU_DEP_1) | instskip(SKIP_1) | instid1(VALU_DEP_2)
	v_add_f64 v[17:18], v[11:12], v[11:12]
	v_mul_f64 v[19:20], v[11:12], v[11:12]
	v_rcp_f64_e32 v[43:44], v[17:18]
	s_delay_alu instid0(VALU_DEP_1) | instskip(SKIP_1) | instid1(VALU_DEP_2)
	v_add_f64 v[45:46], v[13:14], -v[19:20]
	v_fma_f64 v[49:50], v[11:12], v[11:12], -v[19:20]
	v_add_f64 v[13:14], v[13:14], -v[45:46]
	s_waitcnt_depctr 0xfff
	v_fma_f64 v[47:48], -v[17:18], v[43:44], 1.0
	v_add_f64 v[13:14], v[13:14], -v[19:20]
	s_delay_alu instid0(VALU_DEP_2) | instskip(NEXT) | instid1(VALU_DEP_2)
	v_fma_f64 v[19:20], v[47:48], v[43:44], v[43:44]
	v_add_f64 v[13:14], v[13:14], -v[49:50]
	s_delay_alu instid0(VALU_DEP_2) | instskip(NEXT) | instid1(VALU_DEP_2)
	v_fma_f64 v[43:44], -v[17:18], v[19:20], 1.0
	v_add_f64 v[13:14], v[45:46], v[13:14]
	s_delay_alu instid0(VALU_DEP_2) | instskip(NEXT) | instid1(VALU_DEP_1)
	v_fma_f64 v[19:20], v[43:44], v[19:20], v[19:20]
	v_mul_f64 v[43:44], v[13:14], v[19:20]
	s_delay_alu instid0(VALU_DEP_1) | instskip(NEXT) | instid1(VALU_DEP_1)
	v_fma_f64 v[13:14], -v[17:18], v[43:44], v[13:14]
	v_fma_f64 v[13:14], v[13:14], v[19:20], v[43:44]
	s_delay_alu instid0(VALU_DEP_1) | instskip(NEXT) | instid1(VALU_DEP_2)
	v_cndmask_b32_e64 v14, v14, 0, s3
	v_cndmask_b32_e64 v13, v13, 0, s3
	v_cmp_neq_f64_e64 s3, |v[1:2]|, 1.0
	s_delay_alu instid0(VALU_DEP_2) | instskip(NEXT) | instid1(VALU_DEP_1)
	v_add_f64 v[17:18], v[11:12], v[13:14]
	v_add_f64 v[11:12], v[17:18], -v[11:12]
	v_mul_f64 v[19:20], v[15:16], v[17:18]
	s_delay_alu instid0(VALU_DEP_2) | instskip(NEXT) | instid1(VALU_DEP_2)
	v_add_f64 v[11:12], v[13:14], -v[11:12]
	v_fma_f64 v[13:14], v[17:18], v[15:16], -v[19:20]
	s_delay_alu instid0(VALU_DEP_1) | instskip(NEXT) | instid1(VALU_DEP_1)
	v_fma_f64 v[13:14], v[11:12], v[15:16], v[13:14]
	v_add_f64 v[15:16], v[19:20], v[13:14]
	s_delay_alu instid0(VALU_DEP_1) | instskip(SKIP_1) | instid1(VALU_DEP_2)
	v_add_f64 v[43:44], v[17:18], v[15:16]
	v_add_f64 v[19:20], v[15:16], -v[19:20]
	v_add_f64 v[17:18], v[43:44], -v[17:18]
	s_delay_alu instid0(VALU_DEP_2) | instskip(NEXT) | instid1(VALU_DEP_2)
	v_add_f64 v[13:14], v[13:14], -v[19:20]
	v_add_f64 v[15:16], v[15:16], -v[17:18]
	s_delay_alu instid0(VALU_DEP_2) | instskip(NEXT) | instid1(VALU_DEP_1)
	v_add_f64 v[11:12], v[11:12], v[13:14]
	v_add_f64 v[11:12], v[11:12], v[15:16]
	s_delay_alu instid0(VALU_DEP_1) | instskip(NEXT) | instid1(VALU_DEP_1)
	v_add_f64 v[13:14], v[43:44], v[11:12]
	v_add_f64 v[15:16], -v[13:14], s[38:39]
	v_add_f64 v[19:20], v[13:14], -v[43:44]
	s_delay_alu instid0(VALU_DEP_2) | instskip(NEXT) | instid1(VALU_DEP_2)
	v_add_f64 v[17:18], -v[15:16], s[38:39]
	v_add_f64 v[11:12], v[19:20], -v[11:12]
	s_delay_alu instid0(VALU_DEP_2) | instskip(NEXT) | instid1(VALU_DEP_1)
	v_add_f64 v[13:14], v[17:18], -v[13:14]
	v_add_f64 v[13:14], v[13:14], s[40:41]
	s_delay_alu instid0(VALU_DEP_1) | instskip(NEXT) | instid1(VALU_DEP_1)
	v_add_f64 v[11:12], v[11:12], v[13:14]
	v_add_f64 v[11:12], v[15:16], v[11:12]
	s_delay_alu instid0(VALU_DEP_1) | instskip(NEXT) | instid1(VALU_DEP_1)
	v_add_f64 v[11:12], v[11:12], v[11:12]
	v_cndmask_b32_e64 v12, 0x3ff921fb, v12, s3
	s_delay_alu instid0(VALU_DEP_2)
	v_cndmask_b32_e64 v11, 0x54442d18, v11, s3
.LBB53_29:                              ;   in Loop: Header=BB53_17 Depth=1
	s_or_b32 exec_lo, exec_lo, s43
	v_fma_f64 v[17:18], |v[7:8]|, -0.5, 0.5
	v_mul_f64 v[13:14], v[7:8], v[7:8]
	v_cmp_ge_f64_e64 s3, |v[7:8]|, 0.5
	s_delay_alu instid0(VALU_DEP_1) | instskip(NEXT) | instid1(VALU_DEP_3)
	v_cndmask_b32_e64 v14, v14, v18, s3
	v_cndmask_b32_e64 v13, v13, v17, s3
	s_delay_alu instid0(VALU_DEP_1) | instskip(NEXT) | instid1(VALU_DEP_1)
	v_fma_f64 v[15:16], v[13:14], s[12:13], s[10:11]
	v_fma_f64 v[15:16], v[13:14], v[15:16], s[14:15]
	s_delay_alu instid0(VALU_DEP_1) | instskip(NEXT) | instid1(VALU_DEP_1)
	v_fma_f64 v[15:16], v[13:14], v[15:16], s[16:17]
	v_fma_f64 v[15:16], v[13:14], v[15:16], s[18:19]
	;; [unrolled: 3-line block ×5, first 2 shown]
	s_delay_alu instid0(VALU_DEP_1) | instskip(NEXT) | instid1(VALU_DEP_1)
	v_fma_f64 v[15:16], v[13:14], v[15:16], s[36:37]
	v_mul_f64 v[15:16], v[13:14], v[15:16]
	s_delay_alu instid0(VALU_DEP_1)
	v_fma_f64 v[13:14], |v[7:8]|, v[15:16], |v[7:8]|
	s_and_saveexec_b32 s43, s3
	s_cbranch_execz .LBB53_31
; %bb.30:                               ;   in Loop: Header=BB53_17 Depth=1
	v_rsq_f64_e32 v[13:14], v[17:18]
	v_cmp_eq_f64_e64 s3, 0, v[17:18]
	s_waitcnt_depctr 0xfff
	v_mul_f64 v[19:20], v[17:18], v[13:14]
	v_mul_f64 v[13:14], v[13:14], 0.5
	s_delay_alu instid0(VALU_DEP_1) | instskip(NEXT) | instid1(VALU_DEP_1)
	v_fma_f64 v[43:44], -v[13:14], v[19:20], 0.5
	v_fma_f64 v[19:20], v[19:20], v[43:44], v[19:20]
	v_fma_f64 v[13:14], v[13:14], v[43:44], v[13:14]
	s_delay_alu instid0(VALU_DEP_2) | instskip(NEXT) | instid1(VALU_DEP_1)
	v_fma_f64 v[43:44], -v[19:20], v[19:20], v[17:18]
	v_fma_f64 v[13:14], v[43:44], v[13:14], v[19:20]
	s_delay_alu instid0(VALU_DEP_1) | instskip(NEXT) | instid1(VALU_DEP_2)
	v_cndmask_b32_e64 v14, v14, v18, s3
	v_cndmask_b32_e64 v13, v13, v17, s3
	s_delay_alu instid0(VALU_DEP_1) | instskip(SKIP_1) | instid1(VALU_DEP_2)
	v_add_f64 v[19:20], v[13:14], v[13:14]
	v_mul_f64 v[43:44], v[13:14], v[13:14]
	v_rcp_f64_e32 v[45:46], v[19:20]
	s_delay_alu instid0(VALU_DEP_1) | instskip(SKIP_1) | instid1(VALU_DEP_2)
	v_add_f64 v[47:48], v[17:18], -v[43:44]
	v_fma_f64 v[51:52], v[13:14], v[13:14], -v[43:44]
	v_add_f64 v[17:18], v[17:18], -v[47:48]
	s_waitcnt_depctr 0xfff
	v_fma_f64 v[49:50], -v[19:20], v[45:46], 1.0
	v_add_f64 v[17:18], v[17:18], -v[43:44]
	s_delay_alu instid0(VALU_DEP_2) | instskip(NEXT) | instid1(VALU_DEP_2)
	v_fma_f64 v[43:44], v[49:50], v[45:46], v[45:46]
	v_add_f64 v[17:18], v[17:18], -v[51:52]
	s_delay_alu instid0(VALU_DEP_2) | instskip(NEXT) | instid1(VALU_DEP_2)
	v_fma_f64 v[45:46], -v[19:20], v[43:44], 1.0
	v_add_f64 v[17:18], v[47:48], v[17:18]
	s_delay_alu instid0(VALU_DEP_2) | instskip(NEXT) | instid1(VALU_DEP_1)
	v_fma_f64 v[43:44], v[45:46], v[43:44], v[43:44]
	v_mul_f64 v[45:46], v[17:18], v[43:44]
	s_delay_alu instid0(VALU_DEP_1) | instskip(NEXT) | instid1(VALU_DEP_1)
	v_fma_f64 v[17:18], -v[19:20], v[45:46], v[17:18]
	v_fma_f64 v[17:18], v[17:18], v[43:44], v[45:46]
	s_delay_alu instid0(VALU_DEP_1) | instskip(NEXT) | instid1(VALU_DEP_2)
	v_cndmask_b32_e64 v18, v18, 0, s3
	v_cndmask_b32_e64 v17, v17, 0, s3
	v_cmp_neq_f64_e64 s3, |v[7:8]|, 1.0
	s_delay_alu instid0(VALU_DEP_2) | instskip(NEXT) | instid1(VALU_DEP_1)
	v_add_f64 v[19:20], v[13:14], v[17:18]
	v_add_f64 v[13:14], v[19:20], -v[13:14]
	v_mul_f64 v[43:44], v[15:16], v[19:20]
	s_delay_alu instid0(VALU_DEP_2) | instskip(NEXT) | instid1(VALU_DEP_2)
	v_add_f64 v[13:14], v[17:18], -v[13:14]
	v_fma_f64 v[17:18], v[19:20], v[15:16], -v[43:44]
	s_delay_alu instid0(VALU_DEP_1) | instskip(NEXT) | instid1(VALU_DEP_1)
	v_fma_f64 v[15:16], v[13:14], v[15:16], v[17:18]
	v_add_f64 v[17:18], v[43:44], v[15:16]
	s_delay_alu instid0(VALU_DEP_1) | instskip(SKIP_1) | instid1(VALU_DEP_2)
	v_add_f64 v[45:46], v[19:20], v[17:18]
	v_add_f64 v[43:44], v[17:18], -v[43:44]
	v_add_f64 v[19:20], v[45:46], -v[19:20]
	s_delay_alu instid0(VALU_DEP_2) | instskip(NEXT) | instid1(VALU_DEP_2)
	v_add_f64 v[15:16], v[15:16], -v[43:44]
	v_add_f64 v[17:18], v[17:18], -v[19:20]
	s_delay_alu instid0(VALU_DEP_2) | instskip(NEXT) | instid1(VALU_DEP_1)
	v_add_f64 v[13:14], v[13:14], v[15:16]
	v_add_f64 v[13:14], v[13:14], v[17:18]
	s_delay_alu instid0(VALU_DEP_1) | instskip(NEXT) | instid1(VALU_DEP_1)
	v_add_f64 v[15:16], v[45:46], v[13:14]
	v_add_f64 v[17:18], -v[15:16], s[38:39]
	v_add_f64 v[43:44], v[15:16], -v[45:46]
	s_delay_alu instid0(VALU_DEP_2) | instskip(NEXT) | instid1(VALU_DEP_2)
	v_add_f64 v[19:20], -v[17:18], s[38:39]
	v_add_f64 v[13:14], v[43:44], -v[13:14]
	s_delay_alu instid0(VALU_DEP_2) | instskip(NEXT) | instid1(VALU_DEP_1)
	v_add_f64 v[15:16], v[19:20], -v[15:16]
	v_add_f64 v[15:16], v[15:16], s[40:41]
	s_delay_alu instid0(VALU_DEP_1) | instskip(NEXT) | instid1(VALU_DEP_1)
	v_add_f64 v[13:14], v[13:14], v[15:16]
	v_add_f64 v[13:14], v[17:18], v[13:14]
	s_delay_alu instid0(VALU_DEP_1) | instskip(NEXT) | instid1(VALU_DEP_1)
	v_add_f64 v[13:14], v[13:14], v[13:14]
	v_cndmask_b32_e64 v14, 0x3ff921fb, v14, s3
	s_delay_alu instid0(VALU_DEP_2)
	v_cndmask_b32_e64 v13, 0x54442d18, v13, s3
.LBB53_31:                              ;   in Loop: Header=BB53_17 Depth=1
	s_or_b32 exec_lo, exec_lo, s43
	v_fma_f64 v[17:18], |v[3:4]|, -0.5, 0.5
	v_mul_f64 v[15:16], v[3:4], v[3:4]
	v_cmp_ge_f64_e64 s3, |v[3:4]|, 0.5
	s_delay_alu instid0(VALU_DEP_1) | instskip(NEXT) | instid1(VALU_DEP_3)
	v_cndmask_b32_e64 v16, v16, v18, s3
	v_cndmask_b32_e64 v15, v15, v17, s3
	s_delay_alu instid0(VALU_DEP_1) | instskip(NEXT) | instid1(VALU_DEP_1)
	v_fma_f64 v[19:20], v[15:16], s[12:13], s[10:11]
	v_fma_f64 v[19:20], v[15:16], v[19:20], s[14:15]
	s_delay_alu instid0(VALU_DEP_1) | instskip(NEXT) | instid1(VALU_DEP_1)
	v_fma_f64 v[19:20], v[15:16], v[19:20], s[16:17]
	v_fma_f64 v[19:20], v[15:16], v[19:20], s[18:19]
	s_delay_alu instid0(VALU_DEP_1) | instskip(NEXT) | instid1(VALU_DEP_1)
	v_fma_f64 v[19:20], v[15:16], v[19:20], s[20:21]
	v_fma_f64 v[19:20], v[15:16], v[19:20], s[22:23]
	s_delay_alu instid0(VALU_DEP_1) | instskip(NEXT) | instid1(VALU_DEP_1)
	v_fma_f64 v[19:20], v[15:16], v[19:20], s[24:25]
	v_fma_f64 v[19:20], v[15:16], v[19:20], s[26:27]
	s_delay_alu instid0(VALU_DEP_1) | instskip(NEXT) | instid1(VALU_DEP_1)
	v_fma_f64 v[19:20], v[15:16], v[19:20], s[28:29]
	v_fma_f64 v[19:20], v[15:16], v[19:20], s[34:35]
	s_delay_alu instid0(VALU_DEP_1) | instskip(NEXT) | instid1(VALU_DEP_1)
	v_fma_f64 v[19:20], v[15:16], v[19:20], s[36:37]
	v_mul_f64 v[19:20], v[15:16], v[19:20]
	s_delay_alu instid0(VALU_DEP_1)
	v_fma_f64 v[15:16], |v[3:4]|, v[19:20], |v[3:4]|
	s_and_saveexec_b32 s43, s3
	s_cbranch_execnz .LBB53_36
; %bb.32:                               ;   in Loop: Header=BB53_17 Depth=1
	s_or_b32 exec_lo, exec_lo, s43
	s_and_saveexec_b32 s3, vcc_lo
	s_delay_alu instid0(SALU_CYCLE_1)
	s_xor_b32 s3, exec_lo, s3
	s_cbranch_execnz .LBB53_37
.LBB53_33:                              ;   in Loop: Header=BB53_17 Depth=1
	s_or_b32 exec_lo, exec_lo, s3
	s_and_saveexec_b32 s3, s0
	s_cbranch_execnz .LBB53_38
.LBB53_34:                              ;   in Loop: Header=BB53_17 Depth=1
	s_or_b32 exec_lo, exec_lo, s3
	s_and_saveexec_b32 s0, s1
	s_cbranch_execnz .LBB53_39
.LBB53_35:                              ;   in Loop: Header=BB53_17 Depth=1
	s_or_b32 exec_lo, exec_lo, s0
	s_and_saveexec_b32 s0, s2
	s_cbranch_execz .LBB53_16
	s_branch .LBB53_40
.LBB53_36:                              ;   in Loop: Header=BB53_17 Depth=1
	v_rsq_f64_e32 v[15:16], v[17:18]
	v_cmp_eq_f64_e64 s3, 0, v[17:18]
	s_waitcnt_depctr 0xfff
	v_mul_f64 v[43:44], v[17:18], v[15:16]
	v_mul_f64 v[15:16], v[15:16], 0.5
	s_delay_alu instid0(VALU_DEP_1) | instskip(NEXT) | instid1(VALU_DEP_1)
	v_fma_f64 v[45:46], -v[15:16], v[43:44], 0.5
	v_fma_f64 v[43:44], v[43:44], v[45:46], v[43:44]
	v_fma_f64 v[15:16], v[15:16], v[45:46], v[15:16]
	s_delay_alu instid0(VALU_DEP_2) | instskip(NEXT) | instid1(VALU_DEP_1)
	v_fma_f64 v[45:46], -v[43:44], v[43:44], v[17:18]
	v_fma_f64 v[15:16], v[45:46], v[15:16], v[43:44]
	s_delay_alu instid0(VALU_DEP_1) | instskip(NEXT) | instid1(VALU_DEP_2)
	v_cndmask_b32_e64 v16, v16, v18, s3
	v_cndmask_b32_e64 v15, v15, v17, s3
	s_delay_alu instid0(VALU_DEP_1) | instskip(SKIP_1) | instid1(VALU_DEP_2)
	v_add_f64 v[43:44], v[15:16], v[15:16]
	v_mul_f64 v[45:46], v[15:16], v[15:16]
	v_rcp_f64_e32 v[47:48], v[43:44]
	s_delay_alu instid0(VALU_DEP_1) | instskip(SKIP_1) | instid1(VALU_DEP_2)
	v_add_f64 v[49:50], v[17:18], -v[45:46]
	v_fma_f64 v[53:54], v[15:16], v[15:16], -v[45:46]
	v_add_f64 v[17:18], v[17:18], -v[49:50]
	s_waitcnt_depctr 0xfff
	v_fma_f64 v[51:52], -v[43:44], v[47:48], 1.0
	v_add_f64 v[17:18], v[17:18], -v[45:46]
	s_delay_alu instid0(VALU_DEP_2) | instskip(NEXT) | instid1(VALU_DEP_2)
	v_fma_f64 v[45:46], v[51:52], v[47:48], v[47:48]
	v_add_f64 v[17:18], v[17:18], -v[53:54]
	s_delay_alu instid0(VALU_DEP_2) | instskip(NEXT) | instid1(VALU_DEP_2)
	v_fma_f64 v[47:48], -v[43:44], v[45:46], 1.0
	v_add_f64 v[17:18], v[49:50], v[17:18]
	s_delay_alu instid0(VALU_DEP_2) | instskip(NEXT) | instid1(VALU_DEP_1)
	v_fma_f64 v[45:46], v[47:48], v[45:46], v[45:46]
	v_mul_f64 v[47:48], v[17:18], v[45:46]
	s_delay_alu instid0(VALU_DEP_1) | instskip(NEXT) | instid1(VALU_DEP_1)
	v_fma_f64 v[17:18], -v[43:44], v[47:48], v[17:18]
	v_fma_f64 v[17:18], v[17:18], v[45:46], v[47:48]
	s_delay_alu instid0(VALU_DEP_1) | instskip(NEXT) | instid1(VALU_DEP_2)
	v_cndmask_b32_e64 v18, v18, 0, s3
	v_cndmask_b32_e64 v17, v17, 0, s3
	v_cmp_neq_f64_e64 s3, |v[3:4]|, 1.0
	s_delay_alu instid0(VALU_DEP_2) | instskip(NEXT) | instid1(VALU_DEP_1)
	v_add_f64 v[43:44], v[15:16], v[17:18]
	v_add_f64 v[15:16], v[43:44], -v[15:16]
	v_mul_f64 v[45:46], v[19:20], v[43:44]
	s_delay_alu instid0(VALU_DEP_2) | instskip(NEXT) | instid1(VALU_DEP_2)
	v_add_f64 v[15:16], v[17:18], -v[15:16]
	v_fma_f64 v[17:18], v[43:44], v[19:20], -v[45:46]
	s_delay_alu instid0(VALU_DEP_1) | instskip(NEXT) | instid1(VALU_DEP_1)
	v_fma_f64 v[17:18], v[15:16], v[19:20], v[17:18]
	v_add_f64 v[19:20], v[45:46], v[17:18]
	s_delay_alu instid0(VALU_DEP_1) | instskip(SKIP_1) | instid1(VALU_DEP_2)
	v_add_f64 v[47:48], v[43:44], v[19:20]
	v_add_f64 v[45:46], v[19:20], -v[45:46]
	v_add_f64 v[43:44], v[47:48], -v[43:44]
	s_delay_alu instid0(VALU_DEP_2) | instskip(NEXT) | instid1(VALU_DEP_2)
	v_add_f64 v[17:18], v[17:18], -v[45:46]
	v_add_f64 v[19:20], v[19:20], -v[43:44]
	s_delay_alu instid0(VALU_DEP_2) | instskip(NEXT) | instid1(VALU_DEP_1)
	v_add_f64 v[15:16], v[15:16], v[17:18]
	v_add_f64 v[15:16], v[15:16], v[19:20]
	s_delay_alu instid0(VALU_DEP_1) | instskip(NEXT) | instid1(VALU_DEP_1)
	v_add_f64 v[17:18], v[47:48], v[15:16]
	v_add_f64 v[19:20], -v[17:18], s[38:39]
	v_add_f64 v[45:46], v[17:18], -v[47:48]
	s_delay_alu instid0(VALU_DEP_2) | instskip(NEXT) | instid1(VALU_DEP_2)
	v_add_f64 v[43:44], -v[19:20], s[38:39]
	v_add_f64 v[15:16], v[45:46], -v[15:16]
	s_delay_alu instid0(VALU_DEP_2) | instskip(NEXT) | instid1(VALU_DEP_1)
	v_add_f64 v[17:18], v[43:44], -v[17:18]
	v_add_f64 v[17:18], v[17:18], s[40:41]
	s_delay_alu instid0(VALU_DEP_1) | instskip(NEXT) | instid1(VALU_DEP_1)
	v_add_f64 v[15:16], v[15:16], v[17:18]
	v_add_f64 v[15:16], v[19:20], v[15:16]
	s_delay_alu instid0(VALU_DEP_1) | instskip(NEXT) | instid1(VALU_DEP_1)
	v_add_f64 v[15:16], v[15:16], v[15:16]
	v_cndmask_b32_e64 v16, 0x3ff921fb, v16, s3
	s_delay_alu instid0(VALU_DEP_2) | instskip(SKIP_2) | instid1(SALU_CYCLE_1)
	v_cndmask_b32_e64 v15, 0x54442d18, v15, s3
	s_or_b32 exec_lo, exec_lo, s43
	s_and_saveexec_b32 s3, vcc_lo
	s_xor_b32 s3, exec_lo, s3
	s_cbranch_execz .LBB53_33
.LBB53_37:                              ;   in Loop: Header=BB53_17 Depth=1
	v_add_co_u32 v5, vcc_lo, v23, s4
	v_bfi_b32 v10, 0x7fffffff, v10, v6
	v_add_co_ci_u32_e32 v6, vcc_lo, s5, v24, vcc_lo
	global_store_b64 v[5:6], v[9:10], off
	s_or_b32 exec_lo, exec_lo, s3
	s_and_saveexec_b32 s3, s0
	s_cbranch_execz .LBB53_34
.LBB53_38:                              ;   in Loop: Header=BB53_17 Depth=1
	v_add_co_u32 v1, vcc_lo, v41, s4
	v_bfi_b32 v12, 0x7fffffff, v12, v2
	v_add_co_ci_u32_e32 v2, vcc_lo, s5, v42, vcc_lo
	global_store_b64 v[1:2], v[11:12], off
	s_or_b32 exec_lo, exec_lo, s3
	s_and_saveexec_b32 s0, s1
	s_cbranch_execz .LBB53_35
.LBB53_39:                              ;   in Loop: Header=BB53_17 Depth=1
	v_add_co_u32 v1, vcc_lo, v34, s4
	v_bfi_b32 v14, 0x7fffffff, v14, v8
	v_add_co_ci_u32_e32 v2, vcc_lo, s5, v35, vcc_lo
	global_store_b64 v[1:2], v[13:14], off
	s_or_b32 exec_lo, exec_lo, s0
	s_and_saveexec_b32 s0, s2
	s_cbranch_execz .LBB53_16
.LBB53_40:                              ;   in Loop: Header=BB53_17 Depth=1
	v_add_co_u32 v1, vcc_lo, v27, s4
	s_delay_alu instid0(VALU_DEP_2)
	v_bfi_b32 v16, 0x7fffffff, v16, v4
	v_add_co_ci_u32_e32 v2, vcc_lo, s5, v28, vcc_lo
	global_store_b64 v[1:2], v[15:16], off
	s_branch .LBB53_16
.LBB53_41:
	s_nop 0
	s_sendmsg sendmsg(MSG_DEALLOC_VGPRS)
	s_endpgm
	.section	.rodata,"a",@progbits
	.p2align	6, 0x0
	.amdhsa_kernel _ZN2at6native12_GLOBAL__N_125multi_tensor_apply_kernelINS1_18TensorListMetadataILi2EEENS1_14UnaryOpFunctorIdLi2ELi1ELi1EEEJNS0_4AsinIdEEEEEvT_T0_DpT1_
		.amdhsa_group_segment_fixed_size 0
		.amdhsa_private_segment_fixed_size 0
		.amdhsa_kernarg_size 3408
		.amdhsa_user_sgpr_count 15
		.amdhsa_user_sgpr_dispatch_ptr 0
		.amdhsa_user_sgpr_queue_ptr 0
		.amdhsa_user_sgpr_kernarg_segment_ptr 1
		.amdhsa_user_sgpr_dispatch_id 0
		.amdhsa_user_sgpr_private_segment_size 0
		.amdhsa_wavefront_size32 1
		.amdhsa_uses_dynamic_stack 0
		.amdhsa_enable_private_segment 0
		.amdhsa_system_sgpr_workgroup_id_x 1
		.amdhsa_system_sgpr_workgroup_id_y 0
		.amdhsa_system_sgpr_workgroup_id_z 0
		.amdhsa_system_sgpr_workgroup_info 0
		.amdhsa_system_vgpr_workitem_id 0
		.amdhsa_next_free_vgpr 55
		.amdhsa_next_free_sgpr 49
		.amdhsa_reserve_vcc 1
		.amdhsa_float_round_mode_32 0
		.amdhsa_float_round_mode_16_64 0
		.amdhsa_float_denorm_mode_32 3
		.amdhsa_float_denorm_mode_16_64 3
		.amdhsa_dx10_clamp 1
		.amdhsa_ieee_mode 1
		.amdhsa_fp16_overflow 0
		.amdhsa_workgroup_processor_mode 1
		.amdhsa_memory_ordered 1
		.amdhsa_forward_progress 0
		.amdhsa_shared_vgpr_count 0
		.amdhsa_exception_fp_ieee_invalid_op 0
		.amdhsa_exception_fp_denorm_src 0
		.amdhsa_exception_fp_ieee_div_zero 0
		.amdhsa_exception_fp_ieee_overflow 0
		.amdhsa_exception_fp_ieee_underflow 0
		.amdhsa_exception_fp_ieee_inexact 0
		.amdhsa_exception_int_div_zero 0
	.end_amdhsa_kernel
	.section	.text._ZN2at6native12_GLOBAL__N_125multi_tensor_apply_kernelINS1_18TensorListMetadataILi2EEENS1_14UnaryOpFunctorIdLi2ELi1ELi1EEEJNS0_4AsinIdEEEEEvT_T0_DpT1_,"axG",@progbits,_ZN2at6native12_GLOBAL__N_125multi_tensor_apply_kernelINS1_18TensorListMetadataILi2EEENS1_14UnaryOpFunctorIdLi2ELi1ELi1EEEJNS0_4AsinIdEEEEEvT_T0_DpT1_,comdat
.Lfunc_end53:
	.size	_ZN2at6native12_GLOBAL__N_125multi_tensor_apply_kernelINS1_18TensorListMetadataILi2EEENS1_14UnaryOpFunctorIdLi2ELi1ELi1EEEJNS0_4AsinIdEEEEEvT_T0_DpT1_, .Lfunc_end53-_ZN2at6native12_GLOBAL__N_125multi_tensor_apply_kernelINS1_18TensorListMetadataILi2EEENS1_14UnaryOpFunctorIdLi2ELi1ELi1EEEJNS0_4AsinIdEEEEEvT_T0_DpT1_
                                        ; -- End function
	.section	.AMDGPU.csdata,"",@progbits
; Kernel info:
; codeLenInByte = 7660
; NumSgprs: 51
; NumVgprs: 55
; ScratchSize: 0
; MemoryBound: 0
; FloatMode: 240
; IeeeMode: 1
; LDSByteSize: 0 bytes/workgroup (compile time only)
; SGPRBlocks: 6
; VGPRBlocks: 6
; NumSGPRsForWavesPerEU: 51
; NumVGPRsForWavesPerEU: 55
; Occupancy: 16
; WaveLimiterHint : 0
; COMPUTE_PGM_RSRC2:SCRATCH_EN: 0
; COMPUTE_PGM_RSRC2:USER_SGPR: 15
; COMPUTE_PGM_RSRC2:TRAP_HANDLER: 0
; COMPUTE_PGM_RSRC2:TGID_X_EN: 1
; COMPUTE_PGM_RSRC2:TGID_Y_EN: 0
; COMPUTE_PGM_RSRC2:TGID_Z_EN: 0
; COMPUTE_PGM_RSRC2:TIDIG_COMP_CNT: 0
	.section	.text._ZN2at6native12_GLOBAL__N_125multi_tensor_apply_kernelINS1_18TensorListMetadataILi2EEENS1_14UnaryOpFunctorIfLi2ELi1ELi1EEEJNS0_4AsinIfEEEEEvT_T0_DpT1_,"axG",@progbits,_ZN2at6native12_GLOBAL__N_125multi_tensor_apply_kernelINS1_18TensorListMetadataILi2EEENS1_14UnaryOpFunctorIfLi2ELi1ELi1EEEJNS0_4AsinIfEEEEEvT_T0_DpT1_,comdat
	.globl	_ZN2at6native12_GLOBAL__N_125multi_tensor_apply_kernelINS1_18TensorListMetadataILi2EEENS1_14UnaryOpFunctorIfLi2ELi1ELi1EEEJNS0_4AsinIfEEEEEvT_T0_DpT1_ ; -- Begin function _ZN2at6native12_GLOBAL__N_125multi_tensor_apply_kernelINS1_18TensorListMetadataILi2EEENS1_14UnaryOpFunctorIfLi2ELi1ELi1EEEJNS0_4AsinIfEEEEEvT_T0_DpT1_
	.p2align	8
	.type	_ZN2at6native12_GLOBAL__N_125multi_tensor_apply_kernelINS1_18TensorListMetadataILi2EEENS1_14UnaryOpFunctorIfLi2ELi1ELi1EEEJNS0_4AsinIfEEEEEvT_T0_DpT1_,@function
_ZN2at6native12_GLOBAL__N_125multi_tensor_apply_kernelINS1_18TensorListMetadataILi2EEENS1_14UnaryOpFunctorIfLi2ELi1ELi1EEEJNS0_4AsinIfEEEEEvT_T0_DpT1_: ; @_ZN2at6native12_GLOBAL__N_125multi_tensor_apply_kernelINS1_18TensorListMetadataILi2EEENS1_14UnaryOpFunctorIfLi2ELi1ELi1EEEJNS0_4AsinIfEEEEEvT_T0_DpT1_
; %bb.0:
	v_mov_b32_e32 v1, s15
	s_add_u32 s2, s0, s15
	s_mul_hi_u32 s3, s15, 3
	s_mul_i32 s15, s15, 3
	s_addc_u32 s4, s1, 0
	global_load_u8 v1, v1, s[0:1] offset:1536
	s_add_u32 s2, s2, s15
	s_addc_u32 s3, s4, s3
	s_mov_b32 s19, 0
	s_load_b32 s2, s[2:3], 0x740
	s_mov_b32 s21, s19
	s_mov_b32 s23, s19
	s_waitcnt vmcnt(0)
	v_readfirstlane_b32 s5, v1
	s_delay_alu instid0(VALU_DEP_1)
	s_lshl_b32 s3, s5, 3
	s_clause 0x2
	s_load_b64 s[10:11], s[0:1], s3 offset:0x0
	s_load_b64 s[12:13], s[0:1], s3 offset:0x200
	s_load_b64 s[8:9], s[0:1], s3 offset:0x400
	s_waitcnt lgkmcnt(0)
	s_ashr_i32 s3, s2, 31
	s_delay_alu instid0(SALU_CYCLE_1) | instskip(NEXT) | instid1(SALU_CYCLE_1)
	s_lshl_b64 s[6:7], s[2:3], 18
	s_add_u32 s5, s10, s6
	s_addc_u32 s14, s11, s7
	s_and_b32 s18, s5, 15
	s_add_u32 s15, s12, s6
	s_addc_u32 s16, s13, s7
	s_and_b32 s20, s8, 3
	s_and_b32 s22, s15, 15
	s_or_b64 s[18:19], s[18:19], s[20:21]
	s_lshl_b64 s[2:3], s[2:3], 16
	s_or_b64 s[18:19], s[22:23], s[18:19]
	s_sub_u32 s8, s8, s2
	s_subb_u32 s9, s9, s3
	s_cmp_eq_u64 s[18:19], 0
	s_mov_b32 s2, -1
	s_cbranch_scc0 .LBB54_5
; %bb.1:
	v_dual_mov_b32 v2, 0 :: v_dual_lshlrev_b32 v1, 2, v0
	s_mov_b32 s17, exec_lo
	s_delay_alu instid0(VALU_DEP_1)
	v_cmpx_gt_i64_e64 s[8:9], v[1:2]
	s_cbranch_execz .LBB54_4
; %bb.2:
	s_load_b32 s2, s[0:1], 0xc5c
	v_lshlrev_b32_e32 v3, 4, v0
	s_mov_b32 s18, 0
	s_mov_b32 s21, 0x3d1c21a7
	s_waitcnt lgkmcnt(0)
	s_and_b32 s2, s2, 0xffff
	s_delay_alu instid0(SALU_CYCLE_1)
	v_add_lshl_u32 v1, v0, s2, 2
	s_lshl_b32 s19, s2, 2
	s_lshl_b32 s20, s2, 4
.LBB54_3:                               ; =>This Inner Loop Header: Depth=1
	v_add_co_u32 v4, s2, s5, v3
	s_delay_alu instid0(VALU_DEP_1)
	v_add_co_ci_u32_e64 v5, null, s14, 0, s2
	v_cmp_le_i64_e32 vcc_lo, s[8:9], v[1:2]
	v_cmp_lt_u64_e64 s2, 0xffff, v[1:2]
	v_add_co_u32 v8, s3, s15, v3
	global_load_b128 v[4:7], v[4:5], off
	v_add_co_ci_u32_e64 v9, null, s16, 0, s3
	s_or_b32 s22, vcc_lo, s2
	v_add_co_u32 v1, s3, v1, s19
	s_delay_alu instid0(VALU_DEP_1)
	v_add_co_ci_u32_e64 v2, s3, 0, v2, s3
	s_add_u32 s5, s5, s20
	s_addc_u32 s14, s14, 0
	s_add_u32 s15, s15, s20
	s_addc_u32 s16, s16, 0
	s_waitcnt vmcnt(0)
	v_fma_f32 v10, |v4|, -0.5, 0.5
	v_mul_f32_e32 v11, v4, v4
	v_cmp_ge_f32_e64 s4, |v4|, 0.5
	v_fma_f32 v12, |v5|, -0.5, 0.5
	v_mul_f32_e32 v13, v5, v5
	v_cmp_ge_f32_e64 vcc_lo, |v5|, 0.5
	v_fma_f32 v14, |v6|, -0.5, 0.5
	v_mul_f32_e32 v15, v6, v6
	v_cmp_ge_f32_e64 s2, |v6|, 0.5
	v_cndmask_b32_e64 v10, v11, v10, s4
	v_cndmask_b32_e32 v11, v13, v12, vcc_lo
	v_fma_f32 v16, |v7|, -0.5, 0.5
	v_mul_f32_e32 v17, v7, v7
	v_cndmask_b32_e64 v12, v15, v14, s2
	v_fmaak_f32 v14, s21, v10, 0x3c5fc5da
	v_cmp_ge_f32_e64 s3, |v7|, 0.5
	v_sqrt_f32_e32 v15, v10
	v_cmp_lt_f32_e64 vcc_lo, |v5|, 0.5
	v_fmaak_f32 v18, s21, v12, 0x3c5fc5da
	v_fmaak_f32 v14, v10, v14, 0x3d034c3c
	v_cndmask_b32_e64 v13, v17, v16, s3
	v_fmaak_f32 v16, s21, v11, 0x3c5fc5da
	v_sqrt_f32_e32 v17, v11
	v_sqrt_f32_e32 v19, v12
	v_fmaak_f32 v14, v10, v14, 0x3d3641b1
	v_fmaak_f32 v20, s21, v13, 0x3c5fc5da
	v_sqrt_f32_e32 v21, v13
	v_fmaak_f32 v16, v11, v16, 0x3d034c3c
	v_cmp_lt_f32_e64 s2, |v6|, 0.5
	v_fmaak_f32 v14, v10, v14, 0x3d999bc8
	v_cmp_lt_f32_e64 s3, |v7|, 0.5
	v_cmp_lt_f32_e64 s4, |v4|, 0.5
	s_delay_alu instid0(VALU_DEP_3) | instskip(NEXT) | instid1(VALU_DEP_1)
	v_fmaak_f32 v14, v10, v14, 0x3e2aaaac
	v_mul_f32_e32 v10, v10, v14
	s_delay_alu instid0(VALU_DEP_1) | instskip(NEXT) | instid1(VALU_DEP_1)
	v_dual_fmaak_f32 v20, v13, v20, 0x3d034c3c :: v_dual_fmac_f32 v15, v15, v10
	v_fmaak_f32 v20, v13, v20, 0x3d3641b1
	s_delay_alu instid0(VALU_DEP_2) | instskip(NEXT) | instid1(VALU_DEP_2)
	v_add_f32_e32 v14, v15, v15
	v_fmaak_f32 v20, v13, v20, 0x3d999bc8
	s_delay_alu instid0(VALU_DEP_2) | instskip(NEXT) | instid1(VALU_DEP_2)
	v_sub_f32_e32 v14, 0x3fc90fdb, v14
	v_fmaak_f32 v20, v13, v20, 0x3e2aaaac
	s_delay_alu instid0(VALU_DEP_1) | instskip(NEXT) | instid1(VALU_DEP_1)
	v_mul_f32_e32 v13, v13, v20
	v_dual_fmaak_f32 v16, v11, v16, 0x3d3641b1 :: v_dual_fmac_f32 v21, v21, v13
	s_delay_alu instid0(VALU_DEP_1) | instskip(SKIP_1) | instid1(VALU_DEP_2)
	v_fmaak_f32 v16, v11, v16, 0x3d999bc8
	v_fma_f32 v13, |v7|, v13, |v7|
	v_fmaak_f32 v16, v11, v16, 0x3e2aaaac
	s_delay_alu instid0(VALU_DEP_1) | instskip(NEXT) | instid1(VALU_DEP_1)
	v_dual_fmaak_f32 v18, v12, v18, 0x3d034c3c :: v_dual_mul_f32 v11, v11, v16
	v_dual_fmaak_f32 v18, v12, v18, 0x3d3641b1 :: v_dual_fmac_f32 v17, v17, v11
	s_delay_alu instid0(VALU_DEP_1) | instskip(SKIP_1) | instid1(VALU_DEP_2)
	v_fmaak_f32 v18, v12, v18, 0x3d999bc8
	v_fma_f32 v11, |v5|, v11, |v5|
	v_dual_add_f32 v15, v17, v17 :: v_dual_fmaak_f32 v18, v12, v18, 0x3e2aaaac
	v_add_f32_e32 v17, v21, v21
	s_delay_alu instid0(VALU_DEP_2) | instskip(NEXT) | instid1(VALU_DEP_2)
	v_dual_sub_f32 v15, 0x3fc90fdb, v15 :: v_dual_mul_f32 v12, v12, v18
	v_sub_f32_e32 v17, 0x3fc90fdb, v17
	v_fma_f32 v10, |v4|, v10, |v4|
	s_delay_alu instid0(VALU_DEP_3) | instskip(NEXT) | instid1(VALU_DEP_4)
	v_cndmask_b32_e32 v11, v15, v11, vcc_lo
	v_fmac_f32_e32 v19, v19, v12
	v_fma_f32 v12, |v6|, v12, |v6|
	s_delay_alu instid0(VALU_DEP_4) | instskip(SKIP_3) | instid1(VALU_DEP_4)
	v_cndmask_b32_e64 v10, v14, v10, s4
	v_cndmask_b32_e64 v13, v17, v13, s3
	v_bfi_b32 v5, 0x7fffffff, v11, v5
	v_add_f32_e32 v16, v19, v19
	v_bfi_b32 v4, 0x7fffffff, v10, v4
	s_delay_alu instid0(VALU_DEP_4) | instskip(NEXT) | instid1(VALU_DEP_3)
	v_bfi_b32 v7, 0x7fffffff, v13, v7
	v_sub_f32_e32 v16, 0x3fc90fdb, v16
	s_delay_alu instid0(VALU_DEP_1) | instskip(SKIP_1) | instid1(SALU_CYCLE_1)
	v_cndmask_b32_e64 v12, v16, v12, s2
	s_and_b32 s2, exec_lo, s22
	s_or_b32 s18, s2, s18
	s_delay_alu instid0(VALU_DEP_1)
	v_bfi_b32 v6, 0x7fffffff, v12, v6
	global_store_b128 v[8:9], v[4:7], off
	s_and_not1_b32 exec_lo, exec_lo, s18
	s_cbranch_execnz .LBB54_3
.LBB54_4:
	s_or_b32 exec_lo, exec_lo, s17
	s_mov_b32 s2, 0
.LBB54_5:
	s_delay_alu instid0(SALU_CYCLE_1)
	s_and_not1_b32 vcc_lo, exec_lo, s2
	s_cbranch_vccnz .LBB54_25
; %bb.6:
	v_cmp_lt_i64_e64 s2, s[8:9], 1
	s_delay_alu instid0(VALU_DEP_1)
	s_and_b32 vcc_lo, exec_lo, s2
	s_cbranch_vccnz .LBB54_25
; %bb.7:
	s_load_b32 s0, s[0:1], 0xc5c
	v_dual_mov_b32 v10, 0 :: v_dual_lshlrev_b32 v9, 2, v0
	v_cmp_gt_u64_e64 s1, 0x10000, s[8:9]
	s_delay_alu instid0(VALU_DEP_2) | instskip(NEXT) | instid1(VALU_DEP_1)
	v_add_co_u32 v1, s2, s10, v9
	v_add_co_ci_u32_e64 v2, null, s11, 0, s2
	v_add_co_u32 v3, s2, s12, v9
	s_delay_alu instid0(VALU_DEP_1)
	v_add_co_ci_u32_e64 v4, null, s13, 0, s2
	s_waitcnt lgkmcnt(0)
	s_and_b32 s0, s0, 0xffff
	s_and_b32 s1, s1, exec_lo
	v_mad_u64_u32 v[7:8], null, s0, 12, v[9:10]
	s_cselect_b32 s5, s9, 0
	s_cselect_b32 s4, s8, 0x10000
	s_mul_i32 s2, s0, 3
	s_lshl_b32 s3, s0, 3
	s_lshl_b32 s1, s0, 1
	v_add_co_u32 v14, s3, s3, v9
	v_add_co_u32 v9, s2, s2, v0
	s_delay_alu instid0(VALU_DEP_1) | instskip(SKIP_3) | instid1(VALU_DEP_3)
	v_add_co_ci_u32_e64 v10, null, 0, 0, s2
	v_add_co_u32 v13, s2, v0, s0
	v_add_co_u32 v5, vcc_lo, s10, v7
	v_add_co_ci_u32_e32 v6, vcc_lo, s11, v8, vcc_lo
	v_lshlrev_b32_e32 v21, 2, v13
	v_add_co_u32 v7, vcc_lo, s12, v7
	v_add_co_ci_u32_e64 v15, null, 0, 0, s3
	v_add_co_ci_u32_e32 v8, vcc_lo, s13, v8, vcc_lo
	v_add_co_u32 v17, s1, s1, v0
	v_add_co_u32 v11, vcc_lo, s10, v14
	v_add_co_ci_u32_e64 v18, null, 0, 0, s1
	v_add_co_u32 v19, s1, s10, v21
	v_add_co_ci_u32_e32 v12, vcc_lo, s11, v15, vcc_lo
	v_add_co_u32 v14, vcc_lo, s12, v14
	v_add_co_ci_u32_e64 v20, null, s11, 0, s1
	v_add_co_u32 v21, s1, s12, v21
	v_add_co_ci_u32_e32 v15, vcc_lo, s13, v15, vcc_lo
	v_add_co_ci_u32_e64 v16, null, 0, 0, s2
	v_add_co_ci_u32_e64 v22, null, s13, 0, s1
	s_lshl_b32 s14, s0, 2
	s_lshl_b32 s12, s0, 4
	s_mov_b64 s[10:11], 0
	s_mov_b32 s13, 0x3d1c21a7
	s_branch .LBB54_9
.LBB54_8:                               ;   in Loop: Header=BB54_9 Depth=1
	s_or_b32 exec_lo, exec_lo, s0
	v_add_co_u32 v1, vcc_lo, v1, s12
	v_add_co_ci_u32_e32 v2, vcc_lo, 0, v2, vcc_lo
	v_add_co_u32 v3, vcc_lo, v3, s12
	v_add_co_ci_u32_e32 v4, vcc_lo, 0, v4, vcc_lo
	;; [unrolled: 2-line block ×5, first 2 shown]
	s_add_u32 s10, s10, s14
	v_add_co_u32 v14, vcc_lo, v14, s12
	s_addc_u32 s11, s11, 0
	v_add_co_ci_u32_e32 v15, vcc_lo, 0, v15, vcc_lo
	v_cmp_ge_i64_e64 s0, s[10:11], s[8:9]
	v_cmp_lt_u64_e64 s1, 0xffff, s[10:11]
	v_add_co_u32 v19, vcc_lo, v19, s12
	v_add_co_ci_u32_e32 v20, vcc_lo, 0, v20, vcc_lo
	v_add_co_u32 v21, vcc_lo, v21, s12
	v_add_co_ci_u32_e32 v22, vcc_lo, 0, v22, vcc_lo
	s_or_b32 s0, s0, s1
	s_delay_alu instid0(SALU_CYCLE_1)
	s_and_b32 vcc_lo, exec_lo, s0
	s_cbranch_vccnz .LBB54_25
.LBB54_9:                               ; =>This Inner Loop Header: Depth=1
	s_waitcnt vmcnt(0)
	v_add_co_u32 v23, s0, v0, s10
	s_delay_alu instid0(VALU_DEP_1) | instskip(SKIP_1) | instid1(VALU_DEP_2)
	v_add_co_ci_u32_e64 v24, null, 0, s11, s0
	v_mov_b32_e32 v26, 0
	v_cmp_gt_u64_e64 s2, s[4:5], v[23:24]
	s_delay_alu instid0(VALU_DEP_1)
	s_and_saveexec_b32 s0, s2
	s_cbranch_execz .LBB54_11
; %bb.10:                               ;   in Loop: Header=BB54_9 Depth=1
	v_add_co_u32 v23, vcc_lo, v1, s6
	v_add_co_ci_u32_e32 v24, vcc_lo, s7, v2, vcc_lo
	global_load_b32 v26, v[23:24], off
.LBB54_11:                              ;   in Loop: Header=BB54_9 Depth=1
	s_or_b32 exec_lo, exec_lo, s0
	v_add_co_u32 v23, vcc_lo, v13, s10
	v_add_co_ci_u32_e32 v24, vcc_lo, s11, v16, vcc_lo
	v_mov_b32_e32 v25, 0
	s_delay_alu instid0(VALU_DEP_2) | instskip(NEXT) | instid1(VALU_DEP_1)
	v_cmp_gt_u64_e64 s1, s[4:5], v[23:24]
	s_and_saveexec_b32 s0, s1
	s_cbranch_execz .LBB54_13
; %bb.12:                               ;   in Loop: Header=BB54_9 Depth=1
	v_add_co_u32 v23, vcc_lo, v19, s6
	v_add_co_ci_u32_e32 v24, vcc_lo, s7, v20, vcc_lo
	global_load_b32 v25, v[23:24], off
.LBB54_13:                              ;   in Loop: Header=BB54_9 Depth=1
	s_or_b32 exec_lo, exec_lo, s0
	v_add_co_u32 v23, vcc_lo, v17, s10
	v_add_co_ci_u32_e32 v24, vcc_lo, s11, v18, vcc_lo
	s_delay_alu instid0(VALU_DEP_1) | instskip(SKIP_1) | instid1(VALU_DEP_2)
	v_cmp_gt_u64_e64 s0, s[4:5], v[23:24]
	v_dual_mov_b32 v23, 0 :: v_dual_mov_b32 v24, 0
	s_and_saveexec_b32 s3, s0
	s_cbranch_execz .LBB54_15
; %bb.14:                               ;   in Loop: Header=BB54_9 Depth=1
	v_add_co_u32 v27, vcc_lo, v11, s6
	v_add_co_ci_u32_e32 v28, vcc_lo, s7, v12, vcc_lo
	global_load_b32 v24, v[27:28], off
.LBB54_15:                              ;   in Loop: Header=BB54_9 Depth=1
	s_or_b32 exec_lo, exec_lo, s3
	v_add_co_u32 v27, vcc_lo, v9, s10
	v_add_co_ci_u32_e32 v28, vcc_lo, s11, v10, vcc_lo
	s_delay_alu instid0(VALU_DEP_1)
	v_cmp_gt_u64_e32 vcc_lo, s[4:5], v[27:28]
	s_and_saveexec_b32 s15, vcc_lo
	s_cbranch_execnz .LBB54_20
; %bb.16:                               ;   in Loop: Header=BB54_9 Depth=1
	s_or_b32 exec_lo, exec_lo, s15
	s_and_saveexec_b32 s3, s2
	s_cbranch_execnz .LBB54_21
.LBB54_17:                              ;   in Loop: Header=BB54_9 Depth=1
	s_or_b32 exec_lo, exec_lo, s3
	s_and_saveexec_b32 s2, s1
	s_cbranch_execnz .LBB54_22
.LBB54_18:                              ;   in Loop: Header=BB54_9 Depth=1
	s_or_b32 exec_lo, exec_lo, s2
	s_and_saveexec_b32 s1, s0
	s_cbranch_execnz .LBB54_23
.LBB54_19:                              ;   in Loop: Header=BB54_9 Depth=1
	s_or_b32 exec_lo, exec_lo, s1
	s_and_saveexec_b32 s0, vcc_lo
	s_cbranch_execz .LBB54_8
	s_branch .LBB54_24
.LBB54_20:                              ;   in Loop: Header=BB54_9 Depth=1
	v_add_co_u32 v27, s3, v5, s6
	s_delay_alu instid0(VALU_DEP_1)
	v_add_co_ci_u32_e64 v28, s3, s7, v6, s3
	global_load_b32 v23, v[27:28], off
	s_or_b32 exec_lo, exec_lo, s15
	s_and_saveexec_b32 s3, s2
	s_cbranch_execz .LBB54_17
.LBB54_21:                              ;   in Loop: Header=BB54_9 Depth=1
	s_waitcnt vmcnt(0)
	v_fma_f32 v27, |v26|, -0.5, 0.5
	v_mul_f32_e32 v28, v26, v26
	v_cmp_ge_f32_e64 s2, |v26|, 0.5
	s_delay_alu instid0(VALU_DEP_1) | instskip(SKIP_1) | instid1(VALU_DEP_2)
	v_cndmask_b32_e64 v27, v28, v27, s2
	v_cmp_lt_f32_e64 s2, |v26|, 0.5
	v_fmaak_f32 v28, s13, v27, 0x3c5fc5da
	v_sqrt_f32_e32 v29, v27
	s_delay_alu instid0(VALU_DEP_1) | instskip(NEXT) | instid1(VALU_DEP_1)
	v_fmaak_f32 v28, v27, v28, 0x3d034c3c
	v_fmaak_f32 v28, v27, v28, 0x3d3641b1
	s_delay_alu instid0(VALU_DEP_1) | instskip(NEXT) | instid1(VALU_DEP_1)
	v_fmaak_f32 v28, v27, v28, 0x3d999bc8
	v_fmaak_f32 v28, v27, v28, 0x3e2aaaac
	s_delay_alu instid0(VALU_DEP_1) | instskip(SKIP_2) | instid1(VALU_DEP_1)
	v_mul_f32_e32 v27, v27, v28
	s_waitcnt_depctr 0xfff
	v_fmac_f32_e32 v29, v29, v27
	v_add_f32_e32 v28, v29, v29
	v_fma_f32 v27, |v26|, v27, |v26|
	s_delay_alu instid0(VALU_DEP_2) | instskip(NEXT) | instid1(VALU_DEP_1)
	v_sub_f32_e32 v28, 0x3fc90fdb, v28
	v_cndmask_b32_e64 v27, v28, v27, s2
	s_delay_alu instid0(VALU_DEP_1) | instskip(SKIP_1) | instid1(VALU_DEP_1)
	v_bfi_b32 v28, 0x7fffffff, v27, v26
	v_add_co_u32 v26, s2, v3, s6
	v_add_co_ci_u32_e64 v27, s2, s7, v4, s2
	global_store_b32 v[26:27], v28, off
	s_or_b32 exec_lo, exec_lo, s3
	s_and_saveexec_b32 s2, s1
	s_cbranch_execz .LBB54_18
.LBB54_22:                              ;   in Loop: Header=BB54_9 Depth=1
	s_waitcnt vmcnt(0)
	v_fma_f32 v26, |v25|, -0.5, 0.5
	v_mul_f32_e32 v27, v25, v25
	v_cmp_ge_f32_e64 s1, |v25|, 0.5
	s_delay_alu instid0(VALU_DEP_1) | instskip(SKIP_1) | instid1(VALU_DEP_2)
	v_cndmask_b32_e64 v26, v27, v26, s1
	v_cmp_lt_f32_e64 s1, |v25|, 0.5
	v_fmaak_f32 v27, s13, v26, 0x3c5fc5da
	v_sqrt_f32_e32 v28, v26
	s_delay_alu instid0(VALU_DEP_1) | instskip(NEXT) | instid1(VALU_DEP_1)
	v_fmaak_f32 v27, v26, v27, 0x3d034c3c
	v_fmaak_f32 v27, v26, v27, 0x3d3641b1
	s_delay_alu instid0(VALU_DEP_1) | instskip(NEXT) | instid1(VALU_DEP_1)
	v_fmaak_f32 v27, v26, v27, 0x3d999bc8
	v_fmaak_f32 v27, v26, v27, 0x3e2aaaac
	s_delay_alu instid0(VALU_DEP_1) | instskip(SKIP_2) | instid1(VALU_DEP_1)
	v_mul_f32_e32 v26, v26, v27
	s_waitcnt_depctr 0xfff
	v_fmac_f32_e32 v28, v28, v26
	v_add_f32_e32 v27, v28, v28
	v_fma_f32 v26, |v25|, v26, |v25|
	s_delay_alu instid0(VALU_DEP_2) | instskip(NEXT) | instid1(VALU_DEP_1)
	v_sub_f32_e32 v27, 0x3fc90fdb, v27
	v_cndmask_b32_e64 v26, v27, v26, s1
	s_delay_alu instid0(VALU_DEP_1) | instskip(SKIP_1) | instid1(VALU_DEP_1)
	v_bfi_b32 v27, 0x7fffffff, v26, v25
	v_add_co_u32 v25, s1, v21, s6
	v_add_co_ci_u32_e64 v26, s1, s7, v22, s1
	global_store_b32 v[25:26], v27, off
	s_or_b32 exec_lo, exec_lo, s2
	s_and_saveexec_b32 s1, s0
	s_cbranch_execz .LBB54_19
.LBB54_23:                              ;   in Loop: Header=BB54_9 Depth=1
	s_waitcnt vmcnt(0)
	v_fma_f32 v25, |v24|, -0.5, 0.5
	v_mul_f32_e32 v26, v24, v24
	v_cmp_ge_f32_e64 s0, |v24|, 0.5
	s_delay_alu instid0(VALU_DEP_1) | instskip(SKIP_1) | instid1(VALU_DEP_2)
	v_cndmask_b32_e64 v25, v26, v25, s0
	v_cmp_lt_f32_e64 s0, |v24|, 0.5
	v_fmaak_f32 v26, s13, v25, 0x3c5fc5da
	v_sqrt_f32_e32 v27, v25
	s_delay_alu instid0(VALU_DEP_1) | instskip(NEXT) | instid1(VALU_DEP_1)
	v_fmaak_f32 v26, v25, v26, 0x3d034c3c
	v_fmaak_f32 v26, v25, v26, 0x3d3641b1
	s_delay_alu instid0(VALU_DEP_1) | instskip(NEXT) | instid1(VALU_DEP_1)
	v_fmaak_f32 v26, v25, v26, 0x3d999bc8
	v_fmaak_f32 v26, v25, v26, 0x3e2aaaac
	s_delay_alu instid0(VALU_DEP_1) | instskip(SKIP_2) | instid1(VALU_DEP_1)
	v_mul_f32_e32 v25, v25, v26
	s_waitcnt_depctr 0xfff
	v_fmac_f32_e32 v27, v27, v25
	v_add_f32_e32 v26, v27, v27
	v_fma_f32 v25, |v24|, v25, |v24|
	s_delay_alu instid0(VALU_DEP_2) | instskip(NEXT) | instid1(VALU_DEP_1)
	v_sub_f32_e32 v26, 0x3fc90fdb, v26
	v_cndmask_b32_e64 v25, v26, v25, s0
	s_delay_alu instid0(VALU_DEP_1) | instskip(SKIP_1) | instid1(VALU_DEP_1)
	v_bfi_b32 v26, 0x7fffffff, v25, v24
	v_add_co_u32 v24, s0, v14, s6
	v_add_co_ci_u32_e64 v25, s0, s7, v15, s0
	global_store_b32 v[24:25], v26, off
	s_or_b32 exec_lo, exec_lo, s1
	s_and_saveexec_b32 s0, vcc_lo
	s_cbranch_execz .LBB54_8
.LBB54_24:                              ;   in Loop: Header=BB54_9 Depth=1
	s_waitcnt vmcnt(0)
	v_fma_f32 v24, |v23|, -0.5, 0.5
	v_mul_f32_e32 v25, v23, v23
	v_cmp_ge_f32_e64 vcc_lo, |v23|, 0.5
	s_delay_alu instid0(VALU_DEP_2) | instskip(SKIP_1) | instid1(VALU_DEP_2)
	v_cndmask_b32_e32 v24, v25, v24, vcc_lo
	v_cmp_lt_f32_e64 vcc_lo, |v23|, 0.5
	v_fmaak_f32 v25, s13, v24, 0x3c5fc5da
	v_sqrt_f32_e32 v26, v24
	s_delay_alu instid0(VALU_DEP_1) | instskip(NEXT) | instid1(VALU_DEP_1)
	v_fmaak_f32 v25, v24, v25, 0x3d034c3c
	v_fmaak_f32 v25, v24, v25, 0x3d3641b1
	s_delay_alu instid0(VALU_DEP_1) | instskip(NEXT) | instid1(VALU_DEP_1)
	v_fmaak_f32 v25, v24, v25, 0x3d999bc8
	v_fmaak_f32 v25, v24, v25, 0x3e2aaaac
	s_delay_alu instid0(VALU_DEP_1) | instskip(SKIP_3) | instid1(VALU_DEP_2)
	v_mul_f32_e32 v24, v24, v25
	s_waitcnt_depctr 0xfff
	v_fmac_f32_e32 v26, v26, v24
	v_fma_f32 v24, |v23|, v24, |v23|
	v_add_f32_e32 v25, v26, v26
	s_delay_alu instid0(VALU_DEP_1) | instskip(NEXT) | instid1(VALU_DEP_1)
	v_sub_f32_e32 v25, 0x3fc90fdb, v25
	v_cndmask_b32_e32 v24, v25, v24, vcc_lo
	s_delay_alu instid0(VALU_DEP_1)
	v_bfi_b32 v25, 0x7fffffff, v24, v23
	v_add_co_u32 v23, vcc_lo, v7, s6
	v_add_co_ci_u32_e32 v24, vcc_lo, s7, v8, vcc_lo
	global_store_b32 v[23:24], v25, off
	s_branch .LBB54_8
.LBB54_25:
	s_nop 0
	s_sendmsg sendmsg(MSG_DEALLOC_VGPRS)
	s_endpgm
	.section	.rodata,"a",@progbits
	.p2align	6, 0x0
	.amdhsa_kernel _ZN2at6native12_GLOBAL__N_125multi_tensor_apply_kernelINS1_18TensorListMetadataILi2EEENS1_14UnaryOpFunctorIfLi2ELi1ELi1EEEJNS0_4AsinIfEEEEEvT_T0_DpT1_
		.amdhsa_group_segment_fixed_size 0
		.amdhsa_private_segment_fixed_size 0
		.amdhsa_kernarg_size 3408
		.amdhsa_user_sgpr_count 15
		.amdhsa_user_sgpr_dispatch_ptr 0
		.amdhsa_user_sgpr_queue_ptr 0
		.amdhsa_user_sgpr_kernarg_segment_ptr 1
		.amdhsa_user_sgpr_dispatch_id 0
		.amdhsa_user_sgpr_private_segment_size 0
		.amdhsa_wavefront_size32 1
		.amdhsa_uses_dynamic_stack 0
		.amdhsa_enable_private_segment 0
		.amdhsa_system_sgpr_workgroup_id_x 1
		.amdhsa_system_sgpr_workgroup_id_y 0
		.amdhsa_system_sgpr_workgroup_id_z 0
		.amdhsa_system_sgpr_workgroup_info 0
		.amdhsa_system_vgpr_workitem_id 0
		.amdhsa_next_free_vgpr 30
		.amdhsa_next_free_sgpr 24
		.amdhsa_reserve_vcc 1
		.amdhsa_float_round_mode_32 0
		.amdhsa_float_round_mode_16_64 0
		.amdhsa_float_denorm_mode_32 3
		.amdhsa_float_denorm_mode_16_64 3
		.amdhsa_dx10_clamp 1
		.amdhsa_ieee_mode 1
		.amdhsa_fp16_overflow 0
		.amdhsa_workgroup_processor_mode 1
		.amdhsa_memory_ordered 1
		.amdhsa_forward_progress 0
		.amdhsa_shared_vgpr_count 0
		.amdhsa_exception_fp_ieee_invalid_op 0
		.amdhsa_exception_fp_denorm_src 0
		.amdhsa_exception_fp_ieee_div_zero 0
		.amdhsa_exception_fp_ieee_overflow 0
		.amdhsa_exception_fp_ieee_underflow 0
		.amdhsa_exception_fp_ieee_inexact 0
		.amdhsa_exception_int_div_zero 0
	.end_amdhsa_kernel
	.section	.text._ZN2at6native12_GLOBAL__N_125multi_tensor_apply_kernelINS1_18TensorListMetadataILi2EEENS1_14UnaryOpFunctorIfLi2ELi1ELi1EEEJNS0_4AsinIfEEEEEvT_T0_DpT1_,"axG",@progbits,_ZN2at6native12_GLOBAL__N_125multi_tensor_apply_kernelINS1_18TensorListMetadataILi2EEENS1_14UnaryOpFunctorIfLi2ELi1ELi1EEEJNS0_4AsinIfEEEEEvT_T0_DpT1_,comdat
.Lfunc_end54:
	.size	_ZN2at6native12_GLOBAL__N_125multi_tensor_apply_kernelINS1_18TensorListMetadataILi2EEENS1_14UnaryOpFunctorIfLi2ELi1ELi1EEEJNS0_4AsinIfEEEEEvT_T0_DpT1_, .Lfunc_end54-_ZN2at6native12_GLOBAL__N_125multi_tensor_apply_kernelINS1_18TensorListMetadataILi2EEENS1_14UnaryOpFunctorIfLi2ELi1ELi1EEEJNS0_4AsinIfEEEEEvT_T0_DpT1_
                                        ; -- End function
	.section	.AMDGPU.csdata,"",@progbits
; Kernel info:
; codeLenInByte = 2516
; NumSgprs: 26
; NumVgprs: 30
; ScratchSize: 0
; MemoryBound: 0
; FloatMode: 240
; IeeeMode: 1
; LDSByteSize: 0 bytes/workgroup (compile time only)
; SGPRBlocks: 3
; VGPRBlocks: 3
; NumSGPRsForWavesPerEU: 26
; NumVGPRsForWavesPerEU: 30
; Occupancy: 16
; WaveLimiterHint : 0
; COMPUTE_PGM_RSRC2:SCRATCH_EN: 0
; COMPUTE_PGM_RSRC2:USER_SGPR: 15
; COMPUTE_PGM_RSRC2:TRAP_HANDLER: 0
; COMPUTE_PGM_RSRC2:TGID_X_EN: 1
; COMPUTE_PGM_RSRC2:TGID_Y_EN: 0
; COMPUTE_PGM_RSRC2:TGID_Z_EN: 0
; COMPUTE_PGM_RSRC2:TIDIG_COMP_CNT: 0
	.text
	.p2align	2                               ; -- Begin function _ZNK2at6native4AsinIN3c107complexIdEEEclES4_
	.type	_ZNK2at6native4AsinIN3c107complexIdEEEclES4_,@function
_ZNK2at6native4AsinIN3c107complexIdEEEclES4_: ; @_ZNK2at6native4AsinIN3c107complexIdEEEclES4_
; %bb.0:
	s_waitcnt vmcnt(0) expcnt(0) lgkmcnt(0)
	v_cmp_o_f64_e32 vcc_lo, v[2:3], v[2:3]
	v_cmp_o_f64_e64 s0, v[0:1], v[0:1]
	s_delay_alu instid0(VALU_DEP_1) | instskip(NEXT) | instid1(SALU_CYCLE_1)
	s_and_b32 s0, vcc_lo, s0
	s_and_saveexec_b32 s1, s0
	s_delay_alu instid0(SALU_CYCLE_1)
	s_xor_b32 s6, exec_lo, s1
	s_cbranch_execnz .LBB55_3
; %bb.1:
	s_and_not1_saveexec_b32 s0, s6
	s_cbranch_execnz .LBB55_88
.LBB55_2:
	s_or_b32 exec_lo, exec_lo, s0
	s_waitcnt lgkmcnt(0)
	s_setpc_b64 s[30:31]
.LBB55_3:
	v_max_f64 v[8:9], |v[2:3]|, |v[2:3]|
	v_max_f64 v[6:7], |v[0:1]|, |v[0:1]|
	s_mov_b32 s0, exec_lo
	s_delay_alu instid0(VALU_DEP_1) | instskip(NEXT) | instid1(VALU_DEP_1)
	v_max_f64 v[4:5], v[6:7], v[8:9]
	v_cmpx_nlt_f64_e32 0x43300000, v[4:5]
	s_xor_b32 s2, exec_lo, s0
	s_cbranch_execz .LBB55_65
; %bb.4:
	v_cmp_neq_f64_e32 vcc_lo, 0, v[2:3]
	v_cmp_neq_f64_e64 s0, 0, v[0:1]
	s_delay_alu instid0(VALU_DEP_1) | instskip(NEXT) | instid1(SALU_CYCLE_1)
	s_or_b32 s0, vcc_lo, s0
	s_and_saveexec_b32 s3, s0
	s_cbranch_execz .LBB55_64
; %bb.5:
	s_mov_b64 s[0:1], src_private_base
	s_mov_b32 s0, s32
	v_dual_mov_b32 v6, 0xd800000 :: v_dual_mov_b32 v5, s1
	v_mov_b32_e32 v4, s0
	s_add_i32 s4, s32, 4
	s_delay_alu instid0(SALU_CYCLE_1)
	s_mov_b32 s0, s4
	flat_store_b32 v[4:5], v6 dlc
	s_waitcnt_vscnt null, 0x0
	flat_load_b32 v4, v[4:5] glc dlc
	s_waitcnt vmcnt(0) lgkmcnt(0)
	v_dual_add_f32 v6, 1.0, v4 :: v_dual_mov_b32 v5, s1
	v_mov_b32_e32 v4, s0
	s_mov_b32 s0, 0x1409212f
	s_mov_b32 s1, 0x3e43988e
	s_delay_alu instid0(SALU_CYCLE_1)
	v_cmp_nlt_f64_e64 s4, |v[2:3]|, s[0:1]
	flat_store_b32 v[4:5], v6 dlc
	s_waitcnt_vscnt null, 0x0
	flat_load_b32 v4, v[4:5] glc dlc
	s_waitcnt vmcnt(0)
	v_cmp_nlt_f64_e64 s0, |v[0:1]|, s[0:1]
	s_delay_alu instid0(VALU_DEP_1) | instskip(NEXT) | instid1(SALU_CYCLE_1)
	s_or_b32 s0, s0, s4
	s_and_saveexec_b32 s4, s0
	s_cbranch_execz .LBB55_63
; %bb.6:
	v_add_f64 v[6:7], |v[0:1]|, 1.0
	s_waitcnt lgkmcnt(0)
	v_add_f64 v[4:5], |v[0:1]|, -1.0
	v_cmp_class_f64_e64 s1, v[2:3], 0x204
	s_delay_alu instid0(VALU_DEP_3) | instskip(NEXT) | instid1(VALU_DEP_3)
	v_max_f64 v[10:11], v[8:9], |v[6:7]|
	v_max_f64 v[8:9], v[8:9], |v[4:5]|
	v_cmp_class_f64_e64 s5, v[6:7], 0x204
	v_cmp_class_f64_e64 s7, v[4:5], 0x204
	s_delay_alu instid0(VALU_DEP_4) | instskip(NEXT) | instid1(VALU_DEP_4)
	v_frexp_exp_i32_f64_e32 v24, v[10:11]
	v_frexp_exp_i32_f64_e32 v25, v[8:9]
	s_delay_alu instid0(VALU_DEP_2) | instskip(NEXT) | instid1(VALU_DEP_2)
	v_sub_nc_u32_e32 v12, 0, v24
	v_sub_nc_u32_e32 v14, 0, v25
	s_delay_alu instid0(VALU_DEP_2) | instskip(NEXT) | instid1(VALU_DEP_2)
	v_ldexp_f64 v[8:9], |v[6:7]|, v12
	v_ldexp_f64 v[10:11], |v[4:5]|, v14
	;; [unrolled: 1-line block ×4, first 2 shown]
	s_delay_alu instid0(VALU_DEP_4) | instskip(NEXT) | instid1(VALU_DEP_4)
	v_mul_f64 v[8:9], v[8:9], v[8:9]
	v_mul_f64 v[10:11], v[10:11], v[10:11]
	s_delay_alu instid0(VALU_DEP_2) | instskip(NEXT) | instid1(VALU_DEP_2)
	v_fma_f64 v[8:9], v[12:13], v[12:13], v[8:9]
	v_fma_f64 v[10:11], v[14:15], v[14:15], v[10:11]
	s_delay_alu instid0(VALU_DEP_2) | instskip(NEXT) | instid1(VALU_DEP_1)
	v_rsq_f64_e32 v[12:13], v[8:9]
	v_rsq_f64_e32 v[14:15], v[10:11]
	v_cmp_eq_f64_e32 vcc_lo, 0, v[8:9]
	v_cmp_eq_f64_e64 s0, 0, v[10:11]
	s_waitcnt_depctr 0xfff
	v_mul_f64 v[16:17], v[8:9], v[12:13]
	v_mul_f64 v[12:13], v[12:13], 0.5
	v_mul_f64 v[18:19], v[10:11], v[14:15]
	v_mul_f64 v[14:15], v[14:15], 0.5
	s_delay_alu instid0(VALU_DEP_3) | instskip(NEXT) | instid1(VALU_DEP_2)
	v_fma_f64 v[20:21], -v[12:13], v[16:17], 0.5
	v_fma_f64 v[22:23], -v[14:15], v[18:19], 0.5
	s_delay_alu instid0(VALU_DEP_2) | instskip(SKIP_1) | instid1(VALU_DEP_3)
	v_fma_f64 v[16:17], v[16:17], v[20:21], v[16:17]
	v_fma_f64 v[12:13], v[12:13], v[20:21], v[12:13]
	v_fma_f64 v[18:19], v[18:19], v[22:23], v[18:19]
	v_fma_f64 v[14:15], v[14:15], v[22:23], v[14:15]
	s_delay_alu instid0(VALU_DEP_4) | instskip(NEXT) | instid1(VALU_DEP_3)
	v_fma_f64 v[20:21], -v[16:17], v[16:17], v[8:9]
	v_fma_f64 v[22:23], -v[18:19], v[18:19], v[10:11]
	s_delay_alu instid0(VALU_DEP_2) | instskip(NEXT) | instid1(VALU_DEP_2)
	v_fma_f64 v[12:13], v[20:21], v[12:13], v[16:17]
	v_fma_f64 v[14:15], v[22:23], v[14:15], v[18:19]
	s_delay_alu instid0(VALU_DEP_2) | instskip(NEXT) | instid1(VALU_DEP_2)
	v_dual_cndmask_b32 v9, v13, v9 :: v_dual_cndmask_b32 v8, v12, v8
	v_cndmask_b32_e64 v11, v15, v11, s0
	s_delay_alu instid0(VALU_DEP_3)
	v_cndmask_b32_e64 v10, v14, v10, s0
	v_cmp_o_f64_e64 vcc_lo, v[6:7], |v[2:3]|
	v_cmp_o_f64_e64 s0, v[4:5], |v[2:3]|
	v_ldexp_f64 v[8:9], v[8:9], v24
                                        ; implicit-def: $vgpr14_vgpr15
	v_and_b32_e32 v13, 0x7fffffff, v3
	v_ldexp_f64 v[10:11], v[10:11], v25
	s_delay_alu instid0(VALU_DEP_3) | instskip(NEXT) | instid1(VALU_DEP_4)
	v_cndmask_b32_e32 v8, 0, v8, vcc_lo
	v_cndmask_b32_e32 v9, 0x7ff80000, v9, vcc_lo
	s_delay_alu instid0(VALU_DEP_3) | instskip(NEXT) | instid1(VALU_DEP_4)
	v_cndmask_b32_e64 v10, 0, v10, s0
	v_cndmask_b32_e64 v11, 0x7ff80000, v11, s0
	s_or_b32 s0, s1, s5
	s_delay_alu instid0(VALU_DEP_3) | instid1(SALU_CYCLE_1)
	v_cndmask_b32_e64 v17, v9, 0x7ff00000, s0
	v_cndmask_b32_e64 v16, v8, 0, s0
	s_or_b32 s0, s1, s7
	s_delay_alu instid0(SALU_CYCLE_1) | instskip(SKIP_2) | instid1(VALU_DEP_1)
	v_cndmask_b32_e64 v11, v11, 0x7ff00000, s0
	v_cndmask_b32_e64 v10, v10, 0, s0
	s_mov_b32 s0, exec_lo
	v_add_f64 v[8:9], v[16:17], v[10:11]
	s_delay_alu instid0(VALU_DEP_1) | instskip(NEXT) | instid1(VALU_DEP_1)
	v_mul_f64 v[8:9], v[8:9], 0.5
	v_cmp_ngt_f64_e32 vcc_lo, 1.0, v[8:9]
	v_cndmask_b32_e32 v9, 0x3ff00000, v9, vcc_lo
	v_cndmask_b32_e32 v8, 0, v8, vcc_lo
	s_delay_alu instid0(VALU_DEP_1)
	v_cmpx_ngt_f64_e32 0x40240000, v[8:9]
	s_xor_b32 s0, exec_lo, s0
	s_cbranch_execz .LBB55_8
; %bb.7:
	v_fma_f64 v[14:15], v[8:9], v[8:9], -1.0
	s_mov_b32 s9, 0x3fe55555
	s_mov_b32 s8, 0x55555555
	;; [unrolled: 1-line block ×6, first 2 shown]
	s_delay_alu instid0(VALU_DEP_1) | instskip(SKIP_1) | instid1(VALU_DEP_1)
	v_cmp_gt_f64_e32 vcc_lo, 0x10000000, v[14:15]
	v_cndmask_b32_e64 v12, 0, 1, vcc_lo
	v_lshlrev_b32_e32 v12, 8, v12
	s_delay_alu instid0(VALU_DEP_1) | instskip(SKIP_1) | instid1(VALU_DEP_2)
	v_ldexp_f64 v[14:15], v[14:15], v12
	v_cndmask_b32_e64 v12, 0, 0xffffff80, vcc_lo
	v_rsq_f64_e32 v[18:19], v[14:15]
	v_cmp_class_f64_e64 vcc_lo, v[14:15], 0x260
	s_waitcnt_depctr 0xfff
	v_mul_f64 v[20:21], v[14:15], v[18:19]
	v_mul_f64 v[18:19], v[18:19], 0.5
	s_delay_alu instid0(VALU_DEP_1) | instskip(NEXT) | instid1(VALU_DEP_1)
	v_fma_f64 v[22:23], -v[18:19], v[20:21], 0.5
	v_fma_f64 v[20:21], v[20:21], v[22:23], v[20:21]
	v_fma_f64 v[18:19], v[18:19], v[22:23], v[18:19]
	s_delay_alu instid0(VALU_DEP_2) | instskip(NEXT) | instid1(VALU_DEP_1)
	v_fma_f64 v[22:23], -v[20:21], v[20:21], v[14:15]
	v_fma_f64 v[20:21], v[22:23], v[18:19], v[20:21]
	s_delay_alu instid0(VALU_DEP_1) | instskip(NEXT) | instid1(VALU_DEP_1)
	v_fma_f64 v[22:23], -v[20:21], v[20:21], v[14:15]
	v_fma_f64 v[18:19], v[22:23], v[18:19], v[20:21]
	v_mov_b32_e32 v20, 0
	s_delay_alu instid0(VALU_DEP_2) | instskip(NEXT) | instid1(VALU_DEP_1)
	v_ldexp_f64 v[18:19], v[18:19], v12
	v_dual_cndmask_b32 v15, v19, v15 :: v_dual_cndmask_b32 v14, v18, v14
	s_delay_alu instid0(VALU_DEP_1) | instskip(NEXT) | instid1(VALU_DEP_1)
	v_add_f64 v[14:15], v[8:9], v[14:15]
	v_frexp_mant_f64_e32 v[18:19], v[14:15]
	v_frexp_exp_i32_f64_e32 v12, v[14:15]
	s_delay_alu instid0(VALU_DEP_2) | instskip(SKIP_2) | instid1(VALU_DEP_3)
	v_cmp_gt_f64_e32 vcc_lo, s[8:9], v[18:19]
	s_mov_b32 s8, 0x55555780
	v_cndmask_b32_e64 v21, 0x3ff00000, 2.0, vcc_lo
	v_subrev_co_ci_u32_e32 v12, vcc_lo, 0, v12, vcc_lo
	v_cmp_class_f64_e64 vcc_lo, v[14:15], 0x204
	s_delay_alu instid0(VALU_DEP_3) | instskip(NEXT) | instid1(VALU_DEP_1)
	v_mul_f64 v[18:19], v[18:19], v[20:21]
	v_add_f64 v[20:21], v[18:19], 1.0
	v_add_f64 v[26:27], v[18:19], -1.0
	s_delay_alu instid0(VALU_DEP_2) | instskip(SKIP_1) | instid1(VALU_DEP_1)
	v_rcp_f64_e32 v[22:23], v[20:21]
	v_add_f64 v[28:29], v[20:21], -1.0
	v_add_f64 v[18:19], v[18:19], -v[28:29]
	s_waitcnt_depctr 0xfff
	v_fma_f64 v[24:25], -v[20:21], v[22:23], 1.0
	s_delay_alu instid0(VALU_DEP_1) | instskip(NEXT) | instid1(VALU_DEP_1)
	v_fma_f64 v[22:23], v[24:25], v[22:23], v[22:23]
	v_fma_f64 v[24:25], -v[20:21], v[22:23], 1.0
	s_delay_alu instid0(VALU_DEP_1) | instskip(NEXT) | instid1(VALU_DEP_1)
	v_fma_f64 v[22:23], v[24:25], v[22:23], v[22:23]
	v_mul_f64 v[24:25], v[26:27], v[22:23]
	s_delay_alu instid0(VALU_DEP_1) | instskip(NEXT) | instid1(VALU_DEP_1)
	v_mul_f64 v[30:31], v[20:21], v[24:25]
	v_fma_f64 v[20:21], v[24:25], v[20:21], -v[30:31]
	s_delay_alu instid0(VALU_DEP_1) | instskip(NEXT) | instid1(VALU_DEP_1)
	v_fma_f64 v[18:19], v[24:25], v[18:19], v[20:21]
	v_add_f64 v[20:21], v[30:31], v[18:19]
	s_delay_alu instid0(VALU_DEP_1) | instskip(SKIP_1) | instid1(VALU_DEP_2)
	v_add_f64 v[28:29], v[26:27], -v[20:21]
	v_add_f64 v[30:31], v[20:21], -v[30:31]
	;; [unrolled: 1-line block ×3, first 2 shown]
	s_delay_alu instid0(VALU_DEP_2) | instskip(NEXT) | instid1(VALU_DEP_2)
	v_add_f64 v[18:19], v[30:31], -v[18:19]
	v_add_f64 v[20:21], v[26:27], -v[20:21]
	s_delay_alu instid0(VALU_DEP_1) | instskip(NEXT) | instid1(VALU_DEP_1)
	v_add_f64 v[18:19], v[18:19], v[20:21]
	v_add_f64 v[18:19], v[28:29], v[18:19]
	s_delay_alu instid0(VALU_DEP_1) | instskip(NEXT) | instid1(VALU_DEP_1)
	v_mul_f64 v[18:19], v[22:23], v[18:19]
	v_add_f64 v[20:21], v[24:25], v[18:19]
	s_delay_alu instid0(VALU_DEP_1) | instskip(NEXT) | instid1(VALU_DEP_1)
	v_mul_f64 v[22:23], v[20:21], v[20:21]
	v_fma_f64 v[26:27], v[22:23], s[12:13], s[10:11]
	s_mov_b32 s10, 0xd7f4df2e
	s_mov_b32 s11, 0x3fc7474d
	v_mul_f64 v[28:29], v[20:21], v[22:23]
	s_delay_alu instid0(VALU_DEP_2)
	v_fma_f64 v[26:27], v[22:23], v[26:27], s[10:11]
	s_mov_b32 s10, 0x16291751
	s_mov_b32 s11, 0x3fcc71c0
	s_delay_alu instid0(VALU_DEP_1) | instid1(SALU_CYCLE_1)
	v_fma_f64 v[26:27], v[22:23], v[26:27], s[10:11]
	s_mov_b32 s10, 0x9b27acf1
	s_mov_b32 s11, 0x3fd24924
	s_delay_alu instid0(VALU_DEP_1) | instid1(SALU_CYCLE_1)
	;; [unrolled: 4-line block ×3, first 2 shown]
	v_fma_f64 v[26:27], v[22:23], v[26:27], s[10:11]
	s_delay_alu instid0(VALU_DEP_1) | instskip(SKIP_4) | instid1(VALU_DEP_3)
	v_fma_f64 v[22:23], v[22:23], v[26:27], s[8:9]
	v_ldexp_f64 v[26:27], v[20:21], 1
	v_add_f64 v[20:21], v[20:21], -v[24:25]
	s_mov_b32 s8, 0xfefa39ef
	s_mov_b32 s9, 0x3fe62e42
	v_mul_f64 v[22:23], v[28:29], v[22:23]
	v_cvt_f64_i32_e32 v[28:29], v12
	s_delay_alu instid0(VALU_DEP_3) | instskip(NEXT) | instid1(VALU_DEP_3)
	v_add_f64 v[18:19], v[18:19], -v[20:21]
	v_add_f64 v[24:25], v[26:27], v[22:23]
	s_delay_alu instid0(VALU_DEP_3) | instskip(NEXT) | instid1(VALU_DEP_3)
	v_mul_f64 v[30:31], v[28:29], s[8:9]
	v_ldexp_f64 v[18:19], v[18:19], 1
	s_delay_alu instid0(VALU_DEP_3) | instskip(NEXT) | instid1(VALU_DEP_3)
	v_add_f64 v[20:21], v[24:25], -v[26:27]
	v_fma_f64 v[26:27], v[28:29], s[8:9], -v[30:31]
	s_mov_b32 s8, 0x3b39803f
	s_mov_b32 s9, 0x3c7abc9e
	s_delay_alu instid0(VALU_DEP_2) | instskip(NEXT) | instid1(VALU_DEP_2)
	v_add_f64 v[20:21], v[22:23], -v[20:21]
	v_fma_f64 v[22:23], v[28:29], s[8:9], v[26:27]
	s_delay_alu instid0(VALU_DEP_2) | instskip(NEXT) | instid1(VALU_DEP_2)
	v_add_f64 v[18:19], v[18:19], v[20:21]
	v_add_f64 v[20:21], v[30:31], v[22:23]
	s_delay_alu instid0(VALU_DEP_2) | instskip(NEXT) | instid1(VALU_DEP_2)
	v_add_f64 v[26:27], v[24:25], v[18:19]
	v_add_f64 v[30:31], v[20:21], -v[30:31]
	s_delay_alu instid0(VALU_DEP_2) | instskip(SKIP_1) | instid1(VALU_DEP_3)
	v_add_f64 v[28:29], v[20:21], v[26:27]
	v_add_f64 v[24:25], v[26:27], -v[24:25]
	v_add_f64 v[22:23], v[22:23], -v[30:31]
	s_delay_alu instid0(VALU_DEP_3) | instskip(NEXT) | instid1(VALU_DEP_3)
	v_add_f64 v[32:33], v[28:29], -v[20:21]
	v_add_f64 v[18:19], v[18:19], -v[24:25]
	s_delay_alu instid0(VALU_DEP_2) | instskip(SKIP_1) | instid1(VALU_DEP_3)
	v_add_f64 v[34:35], v[28:29], -v[32:33]
	v_add_f64 v[24:25], v[26:27], -v[32:33]
	v_add_f64 v[26:27], v[22:23], v[18:19]
	s_delay_alu instid0(VALU_DEP_3) | instskip(NEXT) | instid1(VALU_DEP_1)
	v_add_f64 v[20:21], v[20:21], -v[34:35]
	v_add_f64 v[20:21], v[24:25], v[20:21]
	s_delay_alu instid0(VALU_DEP_3) | instskip(NEXT) | instid1(VALU_DEP_2)
	v_add_f64 v[24:25], v[26:27], -v[22:23]
	v_add_f64 v[20:21], v[26:27], v[20:21]
	s_delay_alu instid0(VALU_DEP_2) | instskip(SKIP_1) | instid1(VALU_DEP_3)
	v_add_f64 v[26:27], v[26:27], -v[24:25]
	v_add_f64 v[18:19], v[18:19], -v[24:25]
	v_add_f64 v[30:31], v[28:29], v[20:21]
	s_delay_alu instid0(VALU_DEP_3) | instskip(NEXT) | instid1(VALU_DEP_2)
	v_add_f64 v[22:23], v[22:23], -v[26:27]
	v_add_f64 v[24:25], v[30:31], -v[28:29]
	s_delay_alu instid0(VALU_DEP_2) | instskip(NEXT) | instid1(VALU_DEP_2)
	v_add_f64 v[18:19], v[18:19], v[22:23]
	v_add_f64 v[20:21], v[20:21], -v[24:25]
	s_delay_alu instid0(VALU_DEP_1) | instskip(NEXT) | instid1(VALU_DEP_1)
	v_add_f64 v[18:19], v[18:19], v[20:21]
	v_add_f64 v[18:19], v[30:31], v[18:19]
	s_delay_alu instid0(VALU_DEP_1) | instskip(NEXT) | instid1(VALU_DEP_2)
	v_cndmask_b32_e32 v12, v18, v14, vcc_lo
	v_cndmask_b32_e32 v18, v19, v15, vcc_lo
	v_cmp_neq_f64_e32 vcc_lo, 0, v[14:15]
	s_delay_alu instid0(VALU_DEP_2) | instskip(NEXT) | instid1(VALU_DEP_4)
	v_cndmask_b32_e32 v15, 0xfff00000, v18, vcc_lo
	v_cndmask_b32_e32 v14, 0, v12, vcc_lo
.LBB55_8:
	s_or_saveexec_b32 s5, s0
	v_mov_b32_e32 v12, v2
	s_xor_b32 exec_lo, exec_lo, s5
	s_cbranch_execz .LBB55_30
; %bb.9:
	v_cmp_neq_f64_e64 s0, |v[0:1]|, 1.0
	v_cmp_ngt_f64_e64 s1, 0x39000000, |v[2:3]|
                                        ; implicit-def: $vgpr14_vgpr15
	s_delay_alu instid0(VALU_DEP_1) | instskip(NEXT) | instid1(SALU_CYCLE_1)
	s_or_b32 s0, s0, s1
	s_and_saveexec_b32 s1, s0
	s_delay_alu instid0(SALU_CYCLE_1)
	s_xor_b32 s7, exec_lo, s1
	s_cbranch_execz .LBB55_27
; %bb.10:
	v_ldexp_f64 v[14:15], |v[4:5]|, 0xffffffcc
	s_delay_alu instid0(VALU_DEP_1) | instskip(NEXT) | instid1(VALU_DEP_1)
	v_cmp_le_f64_e64 s0, v[14:15], |v[2:3]|
                                        ; implicit-def: $vgpr14_vgpr15
	s_and_saveexec_b32 s1, s0
	s_delay_alu instid0(SALU_CYCLE_1)
	s_xor_b32 s8, exec_lo, s1
	s_cbranch_execz .LBB55_20
; %bb.11:
	v_dual_mov_b32 v15, v13 :: v_dual_mov_b32 v14, v12
	s_mov_b32 s0, exec_lo
	v_cmpx_neq_f64_e32 0, v[6:7]
	s_cbranch_execz .LBB55_13
; %bb.12:
	v_mul_f64 v[14:15], v[2:3], v[2:3]
	v_add_f64 v[18:19], v[6:7], v[16:17]
	s_delay_alu instid0(VALU_DEP_1) | instskip(NEXT) | instid1(VALU_DEP_1)
	v_div_scale_f64 v[20:21], null, v[18:19], v[18:19], v[14:15]
	v_rcp_f64_e32 v[22:23], v[20:21]
	s_waitcnt_depctr 0xfff
	v_fma_f64 v[24:25], -v[20:21], v[22:23], 1.0
	s_delay_alu instid0(VALU_DEP_1) | instskip(NEXT) | instid1(VALU_DEP_1)
	v_fma_f64 v[22:23], v[22:23], v[24:25], v[22:23]
	v_fma_f64 v[24:25], -v[20:21], v[22:23], 1.0
	s_delay_alu instid0(VALU_DEP_1) | instskip(SKIP_1) | instid1(VALU_DEP_1)
	v_fma_f64 v[22:23], v[22:23], v[24:25], v[22:23]
	v_div_scale_f64 v[24:25], vcc_lo, v[14:15], v[18:19], v[14:15]
	v_mul_f64 v[26:27], v[24:25], v[22:23]
	s_delay_alu instid0(VALU_DEP_1) | instskip(NEXT) | instid1(VALU_DEP_1)
	v_fma_f64 v[20:21], -v[20:21], v[26:27], v[24:25]
	v_div_fmas_f64 v[20:21], v[20:21], v[22:23], v[26:27]
	s_delay_alu instid0(VALU_DEP_1)
	v_div_fixup_f64 v[14:15], v[20:21], v[18:19], v[14:15]
.LBB55_13:
	s_or_b32 exec_lo, exec_lo, s0
	v_add_f64 v[20:21], -|v[0:1]|, 1.0
	s_mov_b32 s0, exec_lo
                                        ; implicit-def: $vgpr18_vgpr19
	s_delay_alu instid0(VALU_DEP_1)
	v_cmpx_ngt_f64_e32 0, v[20:21]
	s_xor_b32 s0, exec_lo, s0
	s_cbranch_execz .LBB55_17
; %bb.14:
	v_dual_mov_b32 v19, v13 :: v_dual_mov_b32 v18, v12
	s_mov_b32 s1, exec_lo
	v_cmpx_neq_f64_e32 0, v[20:21]
	s_cbranch_execz .LBB55_16
; %bb.15:
	v_mul_f64 v[18:19], v[2:3], v[2:3]
	v_add_f64 v[20:21], v[20:21], v[10:11]
	s_delay_alu instid0(VALU_DEP_1) | instskip(NEXT) | instid1(VALU_DEP_1)
	v_div_scale_f64 v[22:23], null, v[20:21], v[20:21], v[18:19]
	v_rcp_f64_e32 v[24:25], v[22:23]
	s_waitcnt_depctr 0xfff
	v_fma_f64 v[26:27], -v[22:23], v[24:25], 1.0
	s_delay_alu instid0(VALU_DEP_1) | instskip(NEXT) | instid1(VALU_DEP_1)
	v_fma_f64 v[24:25], v[24:25], v[26:27], v[24:25]
	v_fma_f64 v[26:27], -v[22:23], v[24:25], 1.0
	s_delay_alu instid0(VALU_DEP_1) | instskip(SKIP_1) | instid1(VALU_DEP_1)
	v_fma_f64 v[24:25], v[24:25], v[26:27], v[24:25]
	v_div_scale_f64 v[26:27], vcc_lo, v[18:19], v[20:21], v[18:19]
	v_mul_f64 v[28:29], v[26:27], v[24:25]
	s_delay_alu instid0(VALU_DEP_1) | instskip(NEXT) | instid1(VALU_DEP_1)
	v_fma_f64 v[22:23], -v[22:23], v[28:29], v[26:27]
	v_div_fmas_f64 v[22:23], v[22:23], v[24:25], v[28:29]
	s_delay_alu instid0(VALU_DEP_1)
	v_div_fixup_f64 v[18:19], v[22:23], v[20:21], v[18:19]
.LBB55_16:
	s_or_b32 exec_lo, exec_lo, s1
                                        ; implicit-def: $vgpr20_vgpr21
.LBB55_17:
	s_and_not1_saveexec_b32 s0, s0
; %bb.18:
	v_add_f64 v[18:19], v[10:11], -v[20:21]
; %bb.19:
	s_or_b32 exec_lo, exec_lo, s0
	s_delay_alu instid0(VALU_DEP_1)
	v_mul_f64 v[18:19], v[18:19], 0.5
	v_add_f64 v[20:21], v[8:9], 1.0
	s_mov_b32 s1, 0x3fe55555
	s_mov_b32 s0, 0x55555555
	;; [unrolled: 1-line block ×6, first 2 shown]
	s_delay_alu instid0(VALU_DEP_2) | instskip(NEXT) | instid1(VALU_DEP_1)
	v_fma_f64 v[14:15], v[14:15], 0.5, v[18:19]
	v_mul_f64 v[18:19], v[20:21], v[14:15]
	s_delay_alu instid0(VALU_DEP_1) | instskip(SKIP_1) | instid1(VALU_DEP_1)
	v_cmp_gt_f64_e32 vcc_lo, 0x10000000, v[18:19]
	v_cndmask_b32_e64 v20, 0, 1, vcc_lo
	v_lshlrev_b32_e32 v20, 8, v20
	s_delay_alu instid0(VALU_DEP_1) | instskip(NEXT) | instid1(VALU_DEP_1)
	v_ldexp_f64 v[18:19], v[18:19], v20
	v_rsq_f64_e32 v[20:21], v[18:19]
	s_waitcnt_depctr 0xfff
	v_mul_f64 v[22:23], v[18:19], v[20:21]
	v_mul_f64 v[20:21], v[20:21], 0.5
	s_delay_alu instid0(VALU_DEP_1) | instskip(NEXT) | instid1(VALU_DEP_1)
	v_fma_f64 v[24:25], -v[20:21], v[22:23], 0.5
	v_fma_f64 v[22:23], v[22:23], v[24:25], v[22:23]
	v_fma_f64 v[20:21], v[20:21], v[24:25], v[20:21]
	s_delay_alu instid0(VALU_DEP_2) | instskip(NEXT) | instid1(VALU_DEP_1)
	v_fma_f64 v[24:25], -v[22:23], v[22:23], v[18:19]
	v_fma_f64 v[22:23], v[24:25], v[20:21], v[22:23]
	s_delay_alu instid0(VALU_DEP_1) | instskip(NEXT) | instid1(VALU_DEP_1)
	v_fma_f64 v[24:25], -v[22:23], v[22:23], v[18:19]
	v_fma_f64 v[20:21], v[24:25], v[20:21], v[22:23]
	v_cndmask_b32_e64 v22, 0, 0xffffff80, vcc_lo
	v_cmp_class_f64_e64 vcc_lo, v[18:19], 0x260
	s_delay_alu instid0(VALU_DEP_2) | instskip(NEXT) | instid1(VALU_DEP_1)
	v_ldexp_f64 v[20:21], v[20:21], v22
	v_dual_cndmask_b32 v19, v21, v19 :: v_dual_cndmask_b32 v18, v20, v18
	s_delay_alu instid0(VALU_DEP_1) | instskip(NEXT) | instid1(VALU_DEP_1)
	v_add_f64 v[18:19], v[14:15], v[18:19]
	v_add_f64 v[14:15], v[18:19], 1.0
	s_delay_alu instid0(VALU_DEP_1) | instskip(SKIP_2) | instid1(VALU_DEP_3)
	v_frexp_mant_f64_e32 v[20:21], v[14:15]
	v_frexp_exp_i32_f64_e32 v24, v[14:15]
	v_add_f64 v[22:23], v[14:15], -1.0
	v_cmp_gt_f64_e32 vcc_lo, s[0:1], v[20:21]
	s_mov_b32 s0, 0x55555780
	s_delay_alu instid0(VALU_DEP_2) | instskip(SKIP_2) | instid1(VALU_DEP_3)
	v_add_f64 v[20:21], v[22:23], -v[14:15]
	v_add_f64 v[22:23], v[18:19], -v[22:23]
	v_subrev_co_ci_u32_e32 v48, vcc_lo, 0, v24, vcc_lo
	v_add_f64 v[20:21], v[20:21], 1.0
	v_cmp_eq_f64_e32 vcc_lo, 0x7ff00000, v[18:19]
	s_delay_alu instid0(VALU_DEP_3) | instskip(NEXT) | instid1(VALU_DEP_1)
	v_sub_nc_u32_e32 v26, 0, v48
	v_ldexp_f64 v[14:15], v[14:15], v26
	s_delay_alu instid0(VALU_DEP_4) | instskip(NEXT) | instid1(VALU_DEP_2)
	v_add_f64 v[20:21], v[22:23], v[20:21]
	v_add_f64 v[24:25], v[14:15], 1.0
	v_add_f64 v[30:31], v[14:15], -1.0
	s_delay_alu instid0(VALU_DEP_3) | instskip(NEXT) | instid1(VALU_DEP_3)
	v_ldexp_f64 v[20:21], v[20:21], v26
	v_add_f64 v[22:23], v[24:25], -1.0
	s_delay_alu instid0(VALU_DEP_3) | instskip(NEXT) | instid1(VALU_DEP_2)
	v_add_f64 v[32:33], v[30:31], 1.0
	v_add_f64 v[22:23], v[14:15], -v[22:23]
	s_delay_alu instid0(VALU_DEP_2) | instskip(NEXT) | instid1(VALU_DEP_2)
	v_add_f64 v[14:15], v[14:15], -v[32:33]
	v_add_f64 v[22:23], v[20:21], v[22:23]
	s_delay_alu instid0(VALU_DEP_2) | instskip(NEXT) | instid1(VALU_DEP_2)
	v_add_f64 v[14:15], v[20:21], v[14:15]
	v_add_f64 v[26:27], v[24:25], v[22:23]
	s_delay_alu instid0(VALU_DEP_2) | instskip(NEXT) | instid1(VALU_DEP_2)
	v_add_f64 v[32:33], v[30:31], v[14:15]
	v_rcp_f64_e32 v[28:29], v[26:27]
	v_add_f64 v[24:25], v[26:27], -v[24:25]
	s_delay_alu instid0(VALU_DEP_2) | instskip(NEXT) | instid1(VALU_DEP_2)
	v_add_f64 v[30:31], v[32:33], -v[30:31]
	v_add_f64 v[22:23], v[22:23], -v[24:25]
	s_waitcnt_depctr 0xfff
	v_fma_f64 v[34:35], -v[26:27], v[28:29], 1.0
	v_add_f64 v[14:15], v[14:15], -v[30:31]
	s_delay_alu instid0(VALU_DEP_2) | instskip(NEXT) | instid1(VALU_DEP_1)
	v_fma_f64 v[28:29], v[34:35], v[28:29], v[28:29]
	v_fma_f64 v[20:21], -v[26:27], v[28:29], 1.0
	s_delay_alu instid0(VALU_DEP_1) | instskip(NEXT) | instid1(VALU_DEP_1)
	v_fma_f64 v[20:21], v[20:21], v[28:29], v[28:29]
	v_mul_f64 v[28:29], v[32:33], v[20:21]
	s_delay_alu instid0(VALU_DEP_1) | instskip(NEXT) | instid1(VALU_DEP_1)
	v_mul_f64 v[34:35], v[26:27], v[28:29]
	v_fma_f64 v[24:25], v[28:29], v[26:27], -v[34:35]
	s_delay_alu instid0(VALU_DEP_1) | instskip(NEXT) | instid1(VALU_DEP_1)
	v_fma_f64 v[24:25], v[28:29], v[22:23], v[24:25]
	v_add_f64 v[36:37], v[34:35], v[24:25]
	s_delay_alu instid0(VALU_DEP_1) | instskip(SKIP_1) | instid1(VALU_DEP_2)
	v_add_f64 v[38:39], v[32:33], -v[36:37]
	v_add_f64 v[30:31], v[36:37], -v[34:35]
	;; [unrolled: 1-line block ×3, first 2 shown]
	s_delay_alu instid0(VALU_DEP_2) | instskip(NEXT) | instid1(VALU_DEP_2)
	v_add_f64 v[24:25], v[30:31], -v[24:25]
	v_add_f64 v[32:33], v[32:33], -v[36:37]
	s_delay_alu instid0(VALU_DEP_1) | instskip(NEXT) | instid1(VALU_DEP_1)
	v_add_f64 v[14:15], v[14:15], v[32:33]
	v_add_f64 v[14:15], v[24:25], v[14:15]
	s_delay_alu instid0(VALU_DEP_1) | instskip(NEXT) | instid1(VALU_DEP_1)
	v_add_f64 v[24:25], v[38:39], v[14:15]
	v_mul_f64 v[30:31], v[20:21], v[24:25]
	v_add_f64 v[36:37], v[38:39], -v[24:25]
	s_delay_alu instid0(VALU_DEP_2) | instskip(NEXT) | instid1(VALU_DEP_2)
	v_mul_f64 v[32:33], v[26:27], v[30:31]
	v_add_f64 v[14:15], v[14:15], v[36:37]
	s_delay_alu instid0(VALU_DEP_2) | instskip(NEXT) | instid1(VALU_DEP_1)
	v_fma_f64 v[26:27], v[30:31], v[26:27], -v[32:33]
	v_fma_f64 v[22:23], v[30:31], v[22:23], v[26:27]
	s_delay_alu instid0(VALU_DEP_1) | instskip(NEXT) | instid1(VALU_DEP_1)
	v_add_f64 v[26:27], v[32:33], v[22:23]
	v_add_f64 v[34:35], v[24:25], -v[26:27]
	v_add_f64 v[32:33], v[26:27], -v[32:33]
	s_delay_alu instid0(VALU_DEP_2) | instskip(NEXT) | instid1(VALU_DEP_2)
	v_add_f64 v[24:25], v[24:25], -v[34:35]
	v_add_f64 v[22:23], v[32:33], -v[22:23]
	s_delay_alu instid0(VALU_DEP_2) | instskip(NEXT) | instid1(VALU_DEP_1)
	v_add_f64 v[24:25], v[24:25], -v[26:27]
	v_add_f64 v[14:15], v[14:15], v[24:25]
	v_add_f64 v[24:25], v[28:29], v[30:31]
	s_delay_alu instid0(VALU_DEP_2) | instskip(NEXT) | instid1(VALU_DEP_2)
	v_add_f64 v[14:15], v[22:23], v[14:15]
	v_add_f64 v[22:23], v[24:25], -v[28:29]
	s_delay_alu instid0(VALU_DEP_2) | instskip(NEXT) | instid1(VALU_DEP_2)
	v_add_f64 v[14:15], v[34:35], v[14:15]
	v_add_f64 v[22:23], v[30:31], -v[22:23]
	s_delay_alu instid0(VALU_DEP_2) | instskip(NEXT) | instid1(VALU_DEP_1)
	v_mul_f64 v[14:15], v[20:21], v[14:15]
	v_add_f64 v[14:15], v[22:23], v[14:15]
	s_delay_alu instid0(VALU_DEP_1) | instskip(NEXT) | instid1(VALU_DEP_1)
	v_add_f64 v[20:21], v[24:25], v[14:15]
	v_mul_f64 v[22:23], v[20:21], v[20:21]
	s_delay_alu instid0(VALU_DEP_1) | instskip(SKIP_3) | instid1(VALU_DEP_2)
	v_fma_f64 v[26:27], v[22:23], s[12:13], s[10:11]
	s_mov_b32 s10, 0xd7f4df2e
	s_mov_b32 s11, 0x3fc7474d
	v_mul_f64 v[28:29], v[20:21], v[22:23]
	v_fma_f64 v[26:27], v[22:23], v[26:27], s[10:11]
	s_mov_b32 s10, 0x16291751
	s_mov_b32 s11, 0x3fcc71c0
	s_delay_alu instid0(VALU_DEP_1) | instid1(SALU_CYCLE_1)
	v_fma_f64 v[26:27], v[22:23], v[26:27], s[10:11]
	s_mov_b32 s10, 0x9b27acf1
	s_mov_b32 s11, 0x3fd24924
	s_delay_alu instid0(VALU_DEP_1) | instid1(SALU_CYCLE_1)
	;; [unrolled: 4-line block ×3, first 2 shown]
	v_fma_f64 v[26:27], v[22:23], v[26:27], s[10:11]
	s_delay_alu instid0(VALU_DEP_1) | instskip(SKIP_4) | instid1(VALU_DEP_3)
	v_fma_f64 v[22:23], v[22:23], v[26:27], s[0:1]
	v_ldexp_f64 v[26:27], v[20:21], 1
	v_add_f64 v[20:21], v[20:21], -v[24:25]
	s_mov_b32 s0, 0xfefa39ef
	s_mov_b32 s1, 0x3fe62e42
	v_mul_f64 v[22:23], v[28:29], v[22:23]
	v_cvt_f64_i32_e32 v[28:29], v48
	s_delay_alu instid0(VALU_DEP_3) | instskip(NEXT) | instid1(VALU_DEP_3)
	v_add_f64 v[14:15], v[14:15], -v[20:21]
	v_add_f64 v[24:25], v[26:27], v[22:23]
	s_delay_alu instid0(VALU_DEP_3) | instskip(NEXT) | instid1(VALU_DEP_3)
	v_mul_f64 v[30:31], v[28:29], s[0:1]
	v_ldexp_f64 v[14:15], v[14:15], 1
	s_delay_alu instid0(VALU_DEP_3) | instskip(NEXT) | instid1(VALU_DEP_3)
	v_add_f64 v[20:21], v[24:25], -v[26:27]
	v_fma_f64 v[26:27], v[28:29], s[0:1], -v[30:31]
	s_mov_b32 s0, 0x3b39803f
	s_mov_b32 s1, 0x3c7abc9e
	s_delay_alu instid0(VALU_DEP_2) | instskip(NEXT) | instid1(VALU_DEP_2)
	v_add_f64 v[20:21], v[22:23], -v[20:21]
	v_fma_f64 v[22:23], v[28:29], s[0:1], v[26:27]
	s_delay_alu instid0(VALU_DEP_2) | instskip(NEXT) | instid1(VALU_DEP_2)
	v_add_f64 v[14:15], v[14:15], v[20:21]
	v_add_f64 v[20:21], v[30:31], v[22:23]
	s_delay_alu instid0(VALU_DEP_2) | instskip(NEXT) | instid1(VALU_DEP_2)
	v_add_f64 v[26:27], v[24:25], v[14:15]
	v_add_f64 v[30:31], v[20:21], -v[30:31]
	s_delay_alu instid0(VALU_DEP_2) | instskip(SKIP_1) | instid1(VALU_DEP_3)
	v_add_f64 v[28:29], v[20:21], v[26:27]
	v_add_f64 v[24:25], v[26:27], -v[24:25]
	v_add_f64 v[22:23], v[22:23], -v[30:31]
	s_delay_alu instid0(VALU_DEP_3) | instskip(NEXT) | instid1(VALU_DEP_3)
	v_add_f64 v[32:33], v[28:29], -v[20:21]
	v_add_f64 v[14:15], v[14:15], -v[24:25]
	s_delay_alu instid0(VALU_DEP_2) | instskip(SKIP_1) | instid1(VALU_DEP_3)
	v_add_f64 v[34:35], v[28:29], -v[32:33]
	v_add_f64 v[24:25], v[26:27], -v[32:33]
	v_add_f64 v[26:27], v[22:23], v[14:15]
	s_delay_alu instid0(VALU_DEP_3) | instskip(NEXT) | instid1(VALU_DEP_1)
	v_add_f64 v[20:21], v[20:21], -v[34:35]
	v_add_f64 v[20:21], v[24:25], v[20:21]
	s_delay_alu instid0(VALU_DEP_3) | instskip(NEXT) | instid1(VALU_DEP_2)
	v_add_f64 v[24:25], v[26:27], -v[22:23]
	v_add_f64 v[20:21], v[26:27], v[20:21]
	s_delay_alu instid0(VALU_DEP_2) | instskip(SKIP_1) | instid1(VALU_DEP_3)
	v_add_f64 v[26:27], v[26:27], -v[24:25]
	v_add_f64 v[14:15], v[14:15], -v[24:25]
	v_add_f64 v[30:31], v[28:29], v[20:21]
	s_delay_alu instid0(VALU_DEP_3) | instskip(NEXT) | instid1(VALU_DEP_2)
	v_add_f64 v[22:23], v[22:23], -v[26:27]
	v_add_f64 v[24:25], v[30:31], -v[28:29]
	s_delay_alu instid0(VALU_DEP_2) | instskip(NEXT) | instid1(VALU_DEP_2)
	v_add_f64 v[14:15], v[14:15], v[22:23]
	v_add_f64 v[20:21], v[20:21], -v[24:25]
	s_delay_alu instid0(VALU_DEP_1) | instskip(NEXT) | instid1(VALU_DEP_1)
	v_add_f64 v[14:15], v[14:15], v[20:21]
	v_add_f64 v[14:15], v[30:31], v[14:15]
	s_delay_alu instid0(VALU_DEP_1) | instskip(SKIP_1) | instid1(VALU_DEP_2)
	v_dual_cndmask_b32 v15, v15, v19 :: v_dual_cndmask_b32 v14, v14, v18
	v_cmp_ngt_f64_e32 vcc_lo, -1.0, v[18:19]
	v_cndmask_b32_e32 v15, 0x7ff80000, v15, vcc_lo
	v_cmp_nge_f64_e32 vcc_lo, -1.0, v[18:19]
	s_delay_alu instid0(VALU_DEP_4) | instskip(SKIP_1) | instid1(VALU_DEP_4)
	v_cndmask_b32_e32 v14, 0, v14, vcc_lo
	v_cmp_neq_f64_e32 vcc_lo, -1.0, v[18:19]
	v_cndmask_b32_e32 v15, 0xfff00000, v15, vcc_lo
.LBB55_20:
	s_and_not1_saveexec_b32 s8, s8
	s_cbranch_execz .LBB55_26
; %bb.21:
                                        ; implicit-def: $vgpr14_vgpr15
	s_mov_b32 s1, exec_lo
	v_cmpx_nlt_f64_e64 |v[0:1]|, 1.0
	s_xor_b32 s9, exec_lo, s1
	s_cbranch_execz .LBB55_23
; %bb.22:
	v_mul_f64 v[14:15], v[4:5], v[6:7]
	s_mov_b32 s1, 0x3fe55555
	s_mov_b32 s0, 0x55555555
	;; [unrolled: 1-line block ×6, first 2 shown]
	s_delay_alu instid0(VALU_DEP_1) | instskip(SKIP_1) | instid1(VALU_DEP_1)
	v_cmp_gt_f64_e32 vcc_lo, 0x10000000, v[14:15]
	v_cndmask_b32_e64 v18, 0, 1, vcc_lo
	v_lshlrev_b32_e32 v18, 8, v18
	s_delay_alu instid0(VALU_DEP_1) | instskip(NEXT) | instid1(VALU_DEP_1)
	v_ldexp_f64 v[14:15], v[14:15], v18
	v_rsq_f64_e32 v[18:19], v[14:15]
	s_waitcnt_depctr 0xfff
	v_mul_f64 v[20:21], v[14:15], v[18:19]
	v_mul_f64 v[18:19], v[18:19], 0.5
	s_delay_alu instid0(VALU_DEP_1) | instskip(NEXT) | instid1(VALU_DEP_1)
	v_fma_f64 v[22:23], -v[18:19], v[20:21], 0.5
	v_fma_f64 v[20:21], v[20:21], v[22:23], v[20:21]
	v_fma_f64 v[18:19], v[18:19], v[22:23], v[18:19]
	s_delay_alu instid0(VALU_DEP_2) | instskip(NEXT) | instid1(VALU_DEP_1)
	v_fma_f64 v[22:23], -v[20:21], v[20:21], v[14:15]
	v_fma_f64 v[20:21], v[22:23], v[18:19], v[20:21]
	s_delay_alu instid0(VALU_DEP_1) | instskip(NEXT) | instid1(VALU_DEP_1)
	v_fma_f64 v[22:23], -v[20:21], v[20:21], v[14:15]
	v_fma_f64 v[18:19], v[22:23], v[18:19], v[20:21]
	v_cndmask_b32_e64 v20, 0, 0xffffff80, vcc_lo
	v_cmp_class_f64_e64 vcc_lo, v[14:15], 0x260
	s_delay_alu instid0(VALU_DEP_2) | instskip(NEXT) | instid1(VALU_DEP_1)
	v_ldexp_f64 v[18:19], v[18:19], v20
	v_dual_cndmask_b32 v15, v19, v15 :: v_dual_cndmask_b32 v14, v18, v14
	s_delay_alu instid0(VALU_DEP_1) | instskip(NEXT) | instid1(VALU_DEP_1)
	v_add_f64 v[18:19], v[4:5], v[14:15]
	v_add_f64 v[14:15], v[18:19], 1.0
	s_delay_alu instid0(VALU_DEP_1) | instskip(SKIP_2) | instid1(VALU_DEP_3)
	v_frexp_mant_f64_e32 v[20:21], v[14:15]
	v_frexp_exp_i32_f64_e32 v24, v[14:15]
	v_add_f64 v[22:23], v[14:15], -1.0
	v_cmp_gt_f64_e32 vcc_lo, s[0:1], v[20:21]
	s_mov_b32 s0, 0x55555780
	s_delay_alu instid0(VALU_DEP_2) | instskip(SKIP_2) | instid1(VALU_DEP_3)
	v_add_f64 v[20:21], v[22:23], -v[14:15]
	v_add_f64 v[22:23], v[18:19], -v[22:23]
	v_subrev_co_ci_u32_e32 v48, vcc_lo, 0, v24, vcc_lo
	v_add_f64 v[20:21], v[20:21], 1.0
	v_cmp_eq_f64_e32 vcc_lo, 0x7ff00000, v[18:19]
	s_delay_alu instid0(VALU_DEP_3) | instskip(NEXT) | instid1(VALU_DEP_1)
	v_sub_nc_u32_e32 v26, 0, v48
	v_ldexp_f64 v[14:15], v[14:15], v26
	s_delay_alu instid0(VALU_DEP_4) | instskip(NEXT) | instid1(VALU_DEP_2)
	v_add_f64 v[20:21], v[22:23], v[20:21]
	v_add_f64 v[24:25], v[14:15], 1.0
	v_add_f64 v[30:31], v[14:15], -1.0
	s_delay_alu instid0(VALU_DEP_3) | instskip(NEXT) | instid1(VALU_DEP_3)
	v_ldexp_f64 v[20:21], v[20:21], v26
	v_add_f64 v[22:23], v[24:25], -1.0
	s_delay_alu instid0(VALU_DEP_3) | instskip(NEXT) | instid1(VALU_DEP_2)
	v_add_f64 v[32:33], v[30:31], 1.0
	v_add_f64 v[22:23], v[14:15], -v[22:23]
	s_delay_alu instid0(VALU_DEP_2) | instskip(NEXT) | instid1(VALU_DEP_2)
	v_add_f64 v[14:15], v[14:15], -v[32:33]
	v_add_f64 v[22:23], v[20:21], v[22:23]
	s_delay_alu instid0(VALU_DEP_2) | instskip(NEXT) | instid1(VALU_DEP_2)
	v_add_f64 v[14:15], v[20:21], v[14:15]
	v_add_f64 v[26:27], v[24:25], v[22:23]
	s_delay_alu instid0(VALU_DEP_2) | instskip(NEXT) | instid1(VALU_DEP_2)
	v_add_f64 v[32:33], v[30:31], v[14:15]
	v_rcp_f64_e32 v[28:29], v[26:27]
	v_add_f64 v[24:25], v[26:27], -v[24:25]
	s_delay_alu instid0(VALU_DEP_2) | instskip(NEXT) | instid1(VALU_DEP_2)
	v_add_f64 v[30:31], v[32:33], -v[30:31]
	v_add_f64 v[22:23], v[22:23], -v[24:25]
	s_waitcnt_depctr 0xfff
	v_fma_f64 v[34:35], -v[26:27], v[28:29], 1.0
	v_add_f64 v[14:15], v[14:15], -v[30:31]
	s_delay_alu instid0(VALU_DEP_2) | instskip(NEXT) | instid1(VALU_DEP_1)
	v_fma_f64 v[28:29], v[34:35], v[28:29], v[28:29]
	v_fma_f64 v[20:21], -v[26:27], v[28:29], 1.0
	s_delay_alu instid0(VALU_DEP_1) | instskip(NEXT) | instid1(VALU_DEP_1)
	v_fma_f64 v[20:21], v[20:21], v[28:29], v[28:29]
	v_mul_f64 v[28:29], v[32:33], v[20:21]
	s_delay_alu instid0(VALU_DEP_1) | instskip(NEXT) | instid1(VALU_DEP_1)
	v_mul_f64 v[34:35], v[26:27], v[28:29]
	v_fma_f64 v[24:25], v[28:29], v[26:27], -v[34:35]
	s_delay_alu instid0(VALU_DEP_1) | instskip(NEXT) | instid1(VALU_DEP_1)
	v_fma_f64 v[24:25], v[28:29], v[22:23], v[24:25]
	v_add_f64 v[36:37], v[34:35], v[24:25]
	s_delay_alu instid0(VALU_DEP_1) | instskip(SKIP_1) | instid1(VALU_DEP_2)
	v_add_f64 v[38:39], v[32:33], -v[36:37]
	v_add_f64 v[30:31], v[36:37], -v[34:35]
	;; [unrolled: 1-line block ×3, first 2 shown]
	s_delay_alu instid0(VALU_DEP_2) | instskip(NEXT) | instid1(VALU_DEP_2)
	v_add_f64 v[24:25], v[30:31], -v[24:25]
	v_add_f64 v[32:33], v[32:33], -v[36:37]
	s_delay_alu instid0(VALU_DEP_1) | instskip(NEXT) | instid1(VALU_DEP_1)
	v_add_f64 v[14:15], v[14:15], v[32:33]
	v_add_f64 v[14:15], v[24:25], v[14:15]
	s_delay_alu instid0(VALU_DEP_1) | instskip(NEXT) | instid1(VALU_DEP_1)
	v_add_f64 v[24:25], v[38:39], v[14:15]
	v_mul_f64 v[30:31], v[20:21], v[24:25]
	v_add_f64 v[36:37], v[38:39], -v[24:25]
	s_delay_alu instid0(VALU_DEP_2) | instskip(NEXT) | instid1(VALU_DEP_2)
	v_mul_f64 v[32:33], v[26:27], v[30:31]
	v_add_f64 v[14:15], v[14:15], v[36:37]
	s_delay_alu instid0(VALU_DEP_2) | instskip(NEXT) | instid1(VALU_DEP_1)
	v_fma_f64 v[26:27], v[30:31], v[26:27], -v[32:33]
	v_fma_f64 v[22:23], v[30:31], v[22:23], v[26:27]
	s_delay_alu instid0(VALU_DEP_1) | instskip(NEXT) | instid1(VALU_DEP_1)
	v_add_f64 v[26:27], v[32:33], v[22:23]
	v_add_f64 v[34:35], v[24:25], -v[26:27]
	v_add_f64 v[32:33], v[26:27], -v[32:33]
	s_delay_alu instid0(VALU_DEP_2) | instskip(NEXT) | instid1(VALU_DEP_2)
	v_add_f64 v[24:25], v[24:25], -v[34:35]
	v_add_f64 v[22:23], v[32:33], -v[22:23]
	s_delay_alu instid0(VALU_DEP_2) | instskip(NEXT) | instid1(VALU_DEP_1)
	v_add_f64 v[24:25], v[24:25], -v[26:27]
	v_add_f64 v[14:15], v[14:15], v[24:25]
	v_add_f64 v[24:25], v[28:29], v[30:31]
	s_delay_alu instid0(VALU_DEP_2) | instskip(NEXT) | instid1(VALU_DEP_2)
	v_add_f64 v[14:15], v[22:23], v[14:15]
	v_add_f64 v[22:23], v[24:25], -v[28:29]
	s_delay_alu instid0(VALU_DEP_2) | instskip(NEXT) | instid1(VALU_DEP_2)
	v_add_f64 v[14:15], v[34:35], v[14:15]
	v_add_f64 v[22:23], v[30:31], -v[22:23]
	s_delay_alu instid0(VALU_DEP_2) | instskip(NEXT) | instid1(VALU_DEP_1)
	v_mul_f64 v[14:15], v[20:21], v[14:15]
	v_add_f64 v[14:15], v[22:23], v[14:15]
	s_delay_alu instid0(VALU_DEP_1) | instskip(NEXT) | instid1(VALU_DEP_1)
	v_add_f64 v[20:21], v[24:25], v[14:15]
	v_mul_f64 v[22:23], v[20:21], v[20:21]
	s_delay_alu instid0(VALU_DEP_1) | instskip(SKIP_3) | instid1(VALU_DEP_2)
	v_fma_f64 v[26:27], v[22:23], s[12:13], s[10:11]
	s_mov_b32 s10, 0xd7f4df2e
	s_mov_b32 s11, 0x3fc7474d
	v_mul_f64 v[28:29], v[20:21], v[22:23]
	v_fma_f64 v[26:27], v[22:23], v[26:27], s[10:11]
	s_mov_b32 s10, 0x16291751
	s_mov_b32 s11, 0x3fcc71c0
	s_delay_alu instid0(VALU_DEP_1) | instid1(SALU_CYCLE_1)
	v_fma_f64 v[26:27], v[22:23], v[26:27], s[10:11]
	s_mov_b32 s10, 0x9b27acf1
	s_mov_b32 s11, 0x3fd24924
	s_delay_alu instid0(VALU_DEP_1) | instid1(SALU_CYCLE_1)
	;; [unrolled: 4-line block ×3, first 2 shown]
	v_fma_f64 v[26:27], v[22:23], v[26:27], s[10:11]
	s_delay_alu instid0(VALU_DEP_1) | instskip(SKIP_4) | instid1(VALU_DEP_3)
	v_fma_f64 v[22:23], v[22:23], v[26:27], s[0:1]
	v_ldexp_f64 v[26:27], v[20:21], 1
	v_add_f64 v[20:21], v[20:21], -v[24:25]
	s_mov_b32 s0, 0xfefa39ef
	s_mov_b32 s1, 0x3fe62e42
	v_mul_f64 v[22:23], v[28:29], v[22:23]
	v_cvt_f64_i32_e32 v[28:29], v48
	s_delay_alu instid0(VALU_DEP_3) | instskip(NEXT) | instid1(VALU_DEP_3)
	v_add_f64 v[14:15], v[14:15], -v[20:21]
	v_add_f64 v[24:25], v[26:27], v[22:23]
	s_delay_alu instid0(VALU_DEP_3) | instskip(NEXT) | instid1(VALU_DEP_3)
	v_mul_f64 v[30:31], v[28:29], s[0:1]
	v_ldexp_f64 v[14:15], v[14:15], 1
	s_delay_alu instid0(VALU_DEP_3) | instskip(NEXT) | instid1(VALU_DEP_3)
	v_add_f64 v[20:21], v[24:25], -v[26:27]
	v_fma_f64 v[26:27], v[28:29], s[0:1], -v[30:31]
	s_mov_b32 s0, 0x3b39803f
	s_mov_b32 s1, 0x3c7abc9e
	s_delay_alu instid0(VALU_DEP_2) | instskip(NEXT) | instid1(VALU_DEP_2)
	v_add_f64 v[20:21], v[22:23], -v[20:21]
	v_fma_f64 v[22:23], v[28:29], s[0:1], v[26:27]
	s_delay_alu instid0(VALU_DEP_2) | instskip(NEXT) | instid1(VALU_DEP_2)
	v_add_f64 v[14:15], v[14:15], v[20:21]
	v_add_f64 v[20:21], v[30:31], v[22:23]
	s_delay_alu instid0(VALU_DEP_2) | instskip(NEXT) | instid1(VALU_DEP_2)
	v_add_f64 v[26:27], v[24:25], v[14:15]
	v_add_f64 v[30:31], v[20:21], -v[30:31]
	s_delay_alu instid0(VALU_DEP_2) | instskip(SKIP_1) | instid1(VALU_DEP_3)
	v_add_f64 v[28:29], v[20:21], v[26:27]
	v_add_f64 v[24:25], v[26:27], -v[24:25]
	v_add_f64 v[22:23], v[22:23], -v[30:31]
	s_delay_alu instid0(VALU_DEP_3) | instskip(NEXT) | instid1(VALU_DEP_3)
	v_add_f64 v[32:33], v[28:29], -v[20:21]
	v_add_f64 v[14:15], v[14:15], -v[24:25]
	s_delay_alu instid0(VALU_DEP_2) | instskip(SKIP_1) | instid1(VALU_DEP_3)
	v_add_f64 v[34:35], v[28:29], -v[32:33]
	v_add_f64 v[24:25], v[26:27], -v[32:33]
	v_add_f64 v[26:27], v[22:23], v[14:15]
	s_delay_alu instid0(VALU_DEP_3) | instskip(NEXT) | instid1(VALU_DEP_1)
	v_add_f64 v[20:21], v[20:21], -v[34:35]
	v_add_f64 v[20:21], v[24:25], v[20:21]
	s_delay_alu instid0(VALU_DEP_3) | instskip(NEXT) | instid1(VALU_DEP_2)
	v_add_f64 v[24:25], v[26:27], -v[22:23]
	v_add_f64 v[20:21], v[26:27], v[20:21]
	s_delay_alu instid0(VALU_DEP_2) | instskip(SKIP_1) | instid1(VALU_DEP_3)
	v_add_f64 v[26:27], v[26:27], -v[24:25]
	v_add_f64 v[14:15], v[14:15], -v[24:25]
	v_add_f64 v[30:31], v[28:29], v[20:21]
	s_delay_alu instid0(VALU_DEP_3) | instskip(NEXT) | instid1(VALU_DEP_2)
	v_add_f64 v[22:23], v[22:23], -v[26:27]
	v_add_f64 v[24:25], v[30:31], -v[28:29]
	s_delay_alu instid0(VALU_DEP_2) | instskip(NEXT) | instid1(VALU_DEP_2)
	v_add_f64 v[14:15], v[14:15], v[22:23]
	v_add_f64 v[20:21], v[20:21], -v[24:25]
	s_delay_alu instid0(VALU_DEP_1) | instskip(NEXT) | instid1(VALU_DEP_1)
	v_add_f64 v[14:15], v[14:15], v[20:21]
	v_add_f64 v[14:15], v[30:31], v[14:15]
	s_delay_alu instid0(VALU_DEP_1) | instskip(SKIP_1) | instid1(VALU_DEP_2)
	v_dual_cndmask_b32 v15, v15, v19 :: v_dual_cndmask_b32 v14, v14, v18
	v_cmp_ngt_f64_e32 vcc_lo, -1.0, v[18:19]
	v_cndmask_b32_e32 v15, 0x7ff80000, v15, vcc_lo
	v_cmp_nge_f64_e32 vcc_lo, -1.0, v[18:19]
	s_delay_alu instid0(VALU_DEP_4) | instskip(SKIP_1) | instid1(VALU_DEP_4)
	v_cndmask_b32_e32 v14, 0, v14, vcc_lo
	v_cmp_neq_f64_e32 vcc_lo, -1.0, v[18:19]
	v_cndmask_b32_e32 v15, 0xfff00000, v15, vcc_lo
.LBB55_23:
	s_and_not1_saveexec_b32 s0, s9
	s_cbranch_execz .LBB55_25
; %bb.24:
	v_add_f64 v[14:15], -|v[0:1]|, 1.0
	s_delay_alu instid0(VALU_DEP_1) | instskip(NEXT) | instid1(VALU_DEP_1)
	v_mul_f64 v[14:15], v[14:15], v[6:7]
	v_cmp_gt_f64_e32 vcc_lo, 0x10000000, v[14:15]
	v_cndmask_b32_e64 v18, 0, 1, vcc_lo
	s_delay_alu instid0(VALU_DEP_1) | instskip(NEXT) | instid1(VALU_DEP_1)
	v_lshlrev_b32_e32 v18, 8, v18
	v_ldexp_f64 v[14:15], v[14:15], v18
	s_delay_alu instid0(VALU_DEP_1) | instskip(SKIP_3) | instid1(VALU_DEP_1)
	v_rsq_f64_e32 v[18:19], v[14:15]
	s_waitcnt_depctr 0xfff
	v_mul_f64 v[20:21], v[14:15], v[18:19]
	v_mul_f64 v[18:19], v[18:19], 0.5
	v_fma_f64 v[22:23], -v[18:19], v[20:21], 0.5
	s_delay_alu instid0(VALU_DEP_1) | instskip(SKIP_1) | instid1(VALU_DEP_2)
	v_fma_f64 v[20:21], v[20:21], v[22:23], v[20:21]
	v_fma_f64 v[18:19], v[18:19], v[22:23], v[18:19]
	v_fma_f64 v[22:23], -v[20:21], v[20:21], v[14:15]
	s_delay_alu instid0(VALU_DEP_1) | instskip(NEXT) | instid1(VALU_DEP_1)
	v_fma_f64 v[20:21], v[22:23], v[18:19], v[20:21]
	v_fma_f64 v[22:23], -v[20:21], v[20:21], v[14:15]
	s_delay_alu instid0(VALU_DEP_1) | instskip(SKIP_3) | instid1(VALU_DEP_2)
	v_fma_f64 v[18:19], v[22:23], v[18:19], v[20:21]
	v_mov_b32_e32 v21, v13
	v_cndmask_b32_e64 v20, 0, 0xffffff80, vcc_lo
	v_cmp_class_f64_e64 vcc_lo, v[14:15], 0x260
	v_ldexp_f64 v[18:19], v[18:19], v20
	s_delay_alu instid0(VALU_DEP_1) | instskip(NEXT) | instid1(VALU_DEP_2)
	v_dual_mov_b32 v20, v2 :: v_dual_cndmask_b32 v15, v19, v15
	v_cndmask_b32_e32 v14, v18, v14, vcc_lo
	s_delay_alu instid0(VALU_DEP_1) | instskip(SKIP_1) | instid1(VALU_DEP_2)
	v_div_scale_f64 v[18:19], null, v[14:15], v[14:15], v[20:21]
	v_div_scale_f64 v[20:21], vcc_lo, v[20:21], v[14:15], v[20:21]
	v_rcp_f64_e32 v[22:23], v[18:19]
	s_waitcnt_depctr 0xfff
	v_fma_f64 v[24:25], -v[18:19], v[22:23], 1.0
	s_delay_alu instid0(VALU_DEP_1) | instskip(NEXT) | instid1(VALU_DEP_1)
	v_fma_f64 v[22:23], v[22:23], v[24:25], v[22:23]
	v_fma_f64 v[24:25], -v[18:19], v[22:23], 1.0
	s_delay_alu instid0(VALU_DEP_1) | instskip(NEXT) | instid1(VALU_DEP_1)
	v_fma_f64 v[22:23], v[22:23], v[24:25], v[22:23]
	v_mul_f64 v[24:25], v[20:21], v[22:23]
	s_delay_alu instid0(VALU_DEP_1) | instskip(NEXT) | instid1(VALU_DEP_1)
	v_fma_f64 v[18:19], -v[18:19], v[24:25], v[20:21]
	v_div_fmas_f64 v[18:19], v[18:19], v[22:23], v[24:25]
	s_delay_alu instid0(VALU_DEP_1)
	v_div_fixup_f64 v[14:15], v[18:19], v[14:15], |v[2:3]|
.LBB55_25:
	s_or_b32 exec_lo, exec_lo, s0
.LBB55_26:
	s_delay_alu instid0(SALU_CYCLE_1)
	s_or_b32 exec_lo, exec_lo, s8
.LBB55_27:
	s_and_not1_saveexec_b32 s0, s7
	s_cbranch_execz .LBB55_29
; %bb.28:
	v_cmp_gt_f64_e64 s1, 0x10000000, |v[2:3]|
	s_delay_alu instid0(VALU_DEP_1) | instskip(NEXT) | instid1(VALU_DEP_1)
	v_cndmask_b32_e64 v14, 0, 1, s1
	v_lshlrev_b32_e32 v14, 8, v14
	s_delay_alu instid0(VALU_DEP_1) | instskip(NEXT) | instid1(VALU_DEP_1)
	v_ldexp_f64 v[14:15], |v[2:3]|, v14
	v_rsq_f64_e32 v[18:19], v[14:15]
	v_cmp_class_f64_e64 vcc_lo, v[14:15], 0x260
	s_waitcnt_depctr 0xfff
	v_mul_f64 v[20:21], v[14:15], v[18:19]
	v_mul_f64 v[18:19], v[18:19], 0.5
	s_delay_alu instid0(VALU_DEP_1) | instskip(NEXT) | instid1(VALU_DEP_1)
	v_fma_f64 v[22:23], -v[18:19], v[20:21], 0.5
	v_fma_f64 v[20:21], v[20:21], v[22:23], v[20:21]
	v_fma_f64 v[18:19], v[18:19], v[22:23], v[18:19]
	s_delay_alu instid0(VALU_DEP_2) | instskip(NEXT) | instid1(VALU_DEP_1)
	v_fma_f64 v[22:23], -v[20:21], v[20:21], v[14:15]
	v_fma_f64 v[20:21], v[22:23], v[18:19], v[20:21]
	s_delay_alu instid0(VALU_DEP_1) | instskip(NEXT) | instid1(VALU_DEP_1)
	v_fma_f64 v[22:23], -v[20:21], v[20:21], v[14:15]
	v_fma_f64 v[18:19], v[22:23], v[18:19], v[20:21]
	v_cndmask_b32_e64 v20, 0, 0xffffff80, s1
	s_delay_alu instid0(VALU_DEP_1) | instskip(NEXT) | instid1(VALU_DEP_1)
	v_ldexp_f64 v[18:19], v[18:19], v20
	v_dual_cndmask_b32 v15, v19, v15 :: v_dual_cndmask_b32 v14, v18, v14
.LBB55_29:
	s_or_b32 exec_lo, exec_lo, s0
.LBB55_30:
	s_delay_alu instid0(SALU_CYCLE_1) | instskip(SKIP_1) | instid1(VALU_DEP_1)
	s_or_b32 exec_lo, exec_lo, s5
	v_cmp_ngt_f64_e64 s1, 0x20200000, |v[0:1]|
                                        ; implicit-def: $sgpr0
                                        ; implicit-def: $vgpr18_vgpr19
                                        ; implicit-def: $vgpr22_vgpr23
                                        ; implicit-def: $vgpr20_vgpr21
	s_and_saveexec_b32 s5, s1
	s_delay_alu instid0(SALU_CYCLE_1)
	s_xor_b32 s1, exec_lo, s5
	s_cbranch_execz .LBB55_54
; %bb.31:
	v_dual_mov_b32 v20, v0 :: v_dual_and_b32 v21, 0x7fffffff, v1
	s_mov_b32 s8, 0x703afb7f
	s_mov_b32 s9, 0x3fe488ce
	;; [unrolled: 1-line block ×3, first 2 shown]
	s_mov_b32 s5, exec_lo
	v_div_scale_f64 v[18:19], null, v[8:9], v[8:9], v[20:21]
	s_delay_alu instid0(VALU_DEP_1) | instskip(SKIP_2) | instid1(VALU_DEP_1)
	v_rcp_f64_e32 v[22:23], v[18:19]
	s_waitcnt_depctr 0xfff
	v_fma_f64 v[24:25], -v[18:19], v[22:23], 1.0
	v_fma_f64 v[22:23], v[22:23], v[24:25], v[22:23]
	s_delay_alu instid0(VALU_DEP_1) | instskip(NEXT) | instid1(VALU_DEP_1)
	v_fma_f64 v[24:25], -v[18:19], v[22:23], 1.0
	v_fma_f64 v[22:23], v[22:23], v[24:25], v[22:23]
	v_div_scale_f64 v[24:25], vcc_lo, v[20:21], v[8:9], v[20:21]
	s_delay_alu instid0(VALU_DEP_1) | instskip(NEXT) | instid1(VALU_DEP_1)
	v_mul_f64 v[26:27], v[24:25], v[22:23]
	v_fma_f64 v[18:19], -v[18:19], v[26:27], v[24:25]
	s_delay_alu instid0(VALU_DEP_1) | instskip(NEXT) | instid1(VALU_DEP_1)
	v_div_fmas_f64 v[18:19], v[18:19], v[22:23], v[26:27]
                                        ; implicit-def: $vgpr22_vgpr23
	v_div_fixup_f64 v[18:19], v[18:19], v[8:9], |v[0:1]|
	s_delay_alu instid0(VALU_DEP_1)
	v_cmpx_lt_f64_e32 s[8:9], v[18:19]
	s_cbranch_execz .LBB55_53
; %bb.32:
	v_cmp_neq_f64_e64 s0, |v[0:1]|, 1.0
	v_cmp_ngt_f64_e64 s7, 0x3c400000, |v[2:3]|
                                        ; implicit-def: $vgpr22_vgpr23
	s_delay_alu instid0(VALU_DEP_1) | instskip(NEXT) | instid1(SALU_CYCLE_1)
	s_or_b32 s0, s0, s7
                                        ; implicit-def: $sgpr7
	s_and_saveexec_b32 s8, s0
	s_delay_alu instid0(SALU_CYCLE_1)
	s_xor_b32 s0, exec_lo, s8
	s_cbranch_execz .LBB55_50
; %bb.33:
	v_ldexp_f64 v[22:23], |v[4:5]|, 0xffffffcc
                                        ; implicit-def: $sgpr7
	s_delay_alu instid0(VALU_DEP_1) | instskip(NEXT) | instid1(VALU_DEP_1)
	v_cmp_le_f64_e64 s8, v[22:23], |v[2:3]|
                                        ; implicit-def: $vgpr22_vgpr23
	s_and_saveexec_b32 s9, s8
	s_delay_alu instid0(SALU_CYCLE_1)
	s_xor_b32 s8, exec_lo, s9
	s_cbranch_execz .LBB55_43
; %bb.34:
	v_dual_mov_b32 v23, v13 :: v_dual_mov_b32 v22, v12
	s_mov_b32 s7, exec_lo
	v_cmpx_neq_f64_e32 0, v[6:7]
	s_cbranch_execz .LBB55_36
; %bb.35:
	v_mul_f64 v[22:23], v[2:3], v[2:3]
	v_add_f64 v[6:7], v[6:7], v[16:17]
	s_delay_alu instid0(VALU_DEP_1) | instskip(NEXT) | instid1(VALU_DEP_1)
	v_div_scale_f64 v[16:17], null, v[6:7], v[6:7], v[22:23]
	v_rcp_f64_e32 v[24:25], v[16:17]
	s_waitcnt_depctr 0xfff
	v_fma_f64 v[26:27], -v[16:17], v[24:25], 1.0
	s_delay_alu instid0(VALU_DEP_1) | instskip(NEXT) | instid1(VALU_DEP_1)
	v_fma_f64 v[24:25], v[24:25], v[26:27], v[24:25]
	v_fma_f64 v[26:27], -v[16:17], v[24:25], 1.0
	s_delay_alu instid0(VALU_DEP_1) | instskip(SKIP_1) | instid1(VALU_DEP_1)
	v_fma_f64 v[24:25], v[24:25], v[26:27], v[24:25]
	v_div_scale_f64 v[26:27], vcc_lo, v[22:23], v[6:7], v[22:23]
	v_mul_f64 v[28:29], v[26:27], v[24:25]
	s_delay_alu instid0(VALU_DEP_1) | instskip(NEXT) | instid1(VALU_DEP_1)
	v_fma_f64 v[16:17], -v[16:17], v[28:29], v[26:27]
	v_div_fmas_f64 v[16:17], v[16:17], v[24:25], v[28:29]
	s_delay_alu instid0(VALU_DEP_1)
	v_div_fixup_f64 v[22:23], v[16:17], v[6:7], v[22:23]
.LBB55_36:
	s_or_b32 exec_lo, exec_lo, s7
	s_delay_alu instid0(SALU_CYCLE_1)
	s_mov_b32 s7, exec_lo
	v_cmpx_ngt_f64_e32 0, v[4:5]
	s_xor_b32 s7, exec_lo, s7
	s_cbranch_execz .LBB55_40
; %bb.37:
	s_mov_b32 s9, exec_lo
	v_cmpx_neq_f64_e32 0, v[4:5]
	s_cbranch_execz .LBB55_39
; %bb.38:
	v_mul_f64 v[6:7], v[2:3], v[2:3]
	v_add_f64 v[4:5], v[4:5], v[10:11]
	s_delay_alu instid0(VALU_DEP_1) | instskip(NEXT) | instid1(VALU_DEP_1)
	v_div_scale_f64 v[10:11], null, v[4:5], v[4:5], v[6:7]
	v_rcp_f64_e32 v[12:13], v[10:11]
	s_waitcnt_depctr 0xfff
	v_fma_f64 v[16:17], -v[10:11], v[12:13], 1.0
	s_delay_alu instid0(VALU_DEP_1) | instskip(NEXT) | instid1(VALU_DEP_1)
	v_fma_f64 v[12:13], v[12:13], v[16:17], v[12:13]
	v_fma_f64 v[16:17], -v[10:11], v[12:13], 1.0
	s_delay_alu instid0(VALU_DEP_1) | instskip(SKIP_1) | instid1(VALU_DEP_1)
	v_fma_f64 v[12:13], v[12:13], v[16:17], v[12:13]
	v_div_scale_f64 v[16:17], vcc_lo, v[6:7], v[4:5], v[6:7]
	v_mul_f64 v[24:25], v[16:17], v[12:13]
	s_delay_alu instid0(VALU_DEP_1) | instskip(NEXT) | instid1(VALU_DEP_1)
	v_fma_f64 v[10:11], -v[10:11], v[24:25], v[16:17]
	v_div_fmas_f64 v[10:11], v[10:11], v[12:13], v[24:25]
	s_delay_alu instid0(VALU_DEP_1)
	v_div_fixup_f64 v[12:13], v[10:11], v[4:5], v[6:7]
.LBB55_39:
	s_or_b32 exec_lo, exec_lo, s9
                                        ; implicit-def: $vgpr10_vgpr11
                                        ; implicit-def: $vgpr4_vgpr5
.LBB55_40:
	s_and_not1_saveexec_b32 s7, s7
; %bb.41:
	v_add_f64 v[12:13], v[10:11], -v[4:5]
; %bb.42:
	s_or_b32 exec_lo, exec_lo, s7
	s_delay_alu instid0(VALU_DEP_1) | instskip(SKIP_2) | instid1(VALU_DEP_2)
	v_mul_f64 v[4:5], v[12:13], 0.5
	v_add_f64 v[6:7], |v[0:1]|, v[8:9]
	s_mov_b32 s7, -1
	v_fma_f64 v[4:5], v[22:23], 0.5, v[4:5]
	s_delay_alu instid0(VALU_DEP_1) | instskip(NEXT) | instid1(VALU_DEP_1)
	v_mul_f64 v[4:5], v[6:7], v[4:5]
	v_cmp_gt_f64_e32 vcc_lo, 0x10000000, v[4:5]
	v_cndmask_b32_e64 v6, 0, 1, vcc_lo
	s_delay_alu instid0(VALU_DEP_1) | instskip(NEXT) | instid1(VALU_DEP_1)
	v_lshlrev_b32_e32 v6, 8, v6
	v_ldexp_f64 v[4:5], v[4:5], v6
	s_delay_alu instid0(VALU_DEP_1) | instskip(SKIP_3) | instid1(VALU_DEP_1)
	v_rsq_f64_e32 v[6:7], v[4:5]
	s_waitcnt_depctr 0xfff
	v_mul_f64 v[8:9], v[4:5], v[6:7]
	v_mul_f64 v[6:7], v[6:7], 0.5
	v_fma_f64 v[10:11], -v[6:7], v[8:9], 0.5
	s_delay_alu instid0(VALU_DEP_1) | instskip(SKIP_1) | instid1(VALU_DEP_2)
	v_fma_f64 v[8:9], v[8:9], v[10:11], v[8:9]
	v_fma_f64 v[6:7], v[6:7], v[10:11], v[6:7]
	v_fma_f64 v[10:11], -v[8:9], v[8:9], v[4:5]
	s_delay_alu instid0(VALU_DEP_1) | instskip(NEXT) | instid1(VALU_DEP_1)
	v_fma_f64 v[8:9], v[10:11], v[6:7], v[8:9]
	v_fma_f64 v[10:11], -v[8:9], v[8:9], v[4:5]
	s_delay_alu instid0(VALU_DEP_1) | instskip(SKIP_2) | instid1(VALU_DEP_2)
	v_fma_f64 v[6:7], v[10:11], v[6:7], v[8:9]
	v_cndmask_b32_e64 v8, 0, 0xffffff80, vcc_lo
	v_cmp_class_f64_e64 vcc_lo, v[4:5], 0x260
	v_ldexp_f64 v[6:7], v[6:7], v8
	s_delay_alu instid0(VALU_DEP_1)
	v_dual_cndmask_b32 v23, v7, v5 :: v_dual_cndmask_b32 v22, v6, v4
                                        ; implicit-def: $vgpr6_vgpr7
                                        ; implicit-def: $vgpr4_vgpr5
.LBB55_43:
	s_and_not1_saveexec_b32 s8, s8
	s_cbranch_execz .LBB55_49
; %bb.44:
	v_cmp_ngt_f64_e64 s10, |v[0:1]|, 1.0
                                        ; implicit-def: $vgpr22_vgpr23
                                        ; implicit-def: $sgpr9
	s_delay_alu instid0(VALU_DEP_1) | instskip(NEXT) | instid1(SALU_CYCLE_1)
	s_and_saveexec_b32 s11, s10
	s_xor_b32 s10, exec_lo, s11
	s_cbranch_execz .LBB55_46
; %bb.45:
	v_add_f64 v[4:5], -|v[0:1]|, 1.0
	s_mov_b32 s9, -1
	s_delay_alu instid0(VALU_DEP_1) | instskip(NEXT) | instid1(VALU_DEP_1)
	v_mul_f64 v[4:5], v[4:5], v[6:7]
	v_cmp_gt_f64_e32 vcc_lo, 0x10000000, v[4:5]
	v_cndmask_b32_e64 v6, 0, 1, vcc_lo
	s_delay_alu instid0(VALU_DEP_1) | instskip(NEXT) | instid1(VALU_DEP_1)
	v_lshlrev_b32_e32 v6, 8, v6
	v_ldexp_f64 v[4:5], v[4:5], v6
	s_delay_alu instid0(VALU_DEP_1) | instskip(SKIP_3) | instid1(VALU_DEP_1)
	v_rsq_f64_e32 v[6:7], v[4:5]
	s_waitcnt_depctr 0xfff
	v_mul_f64 v[8:9], v[4:5], v[6:7]
	v_mul_f64 v[6:7], v[6:7], 0.5
	v_fma_f64 v[10:11], -v[6:7], v[8:9], 0.5
	s_delay_alu instid0(VALU_DEP_1) | instskip(SKIP_1) | instid1(VALU_DEP_2)
	v_fma_f64 v[8:9], v[8:9], v[10:11], v[8:9]
	v_fma_f64 v[6:7], v[6:7], v[10:11], v[6:7]
	v_fma_f64 v[10:11], -v[8:9], v[8:9], v[4:5]
	s_delay_alu instid0(VALU_DEP_1) | instskip(NEXT) | instid1(VALU_DEP_1)
	v_fma_f64 v[8:9], v[10:11], v[6:7], v[8:9]
	v_fma_f64 v[10:11], -v[8:9], v[8:9], v[4:5]
	s_delay_alu instid0(VALU_DEP_1) | instskip(SKIP_2) | instid1(VALU_DEP_2)
	v_fma_f64 v[6:7], v[10:11], v[6:7], v[8:9]
	v_cndmask_b32_e64 v8, 0, 0xffffff80, vcc_lo
	v_cmp_class_f64_e64 vcc_lo, v[4:5], 0x260
	v_ldexp_f64 v[6:7], v[6:7], v8
	s_delay_alu instid0(VALU_DEP_1)
	v_dual_cndmask_b32 v23, v7, v5 :: v_dual_cndmask_b32 v22, v6, v4
                                        ; implicit-def: $vgpr6_vgpr7
                                        ; implicit-def: $vgpr4_vgpr5
.LBB55_46:
	s_and_not1_saveexec_b32 s10, s10
	s_cbranch_execz .LBB55_48
; %bb.47:
	v_mul_f64 v[4:5], v[6:7], v[4:5]
	v_ldexp_f64 v[20:21], |v[0:1]|, 0x6a
	s_or_b32 s9, s9, exec_lo
	s_delay_alu instid0(VALU_DEP_2) | instskip(SKIP_1) | instid1(VALU_DEP_1)
	v_cmp_gt_f64_e32 vcc_lo, 0x10000000, v[4:5]
	v_cndmask_b32_e64 v6, 0, 1, vcc_lo
	v_lshlrev_b32_e32 v6, 8, v6
	s_delay_alu instid0(VALU_DEP_1) | instskip(NEXT) | instid1(VALU_DEP_1)
	v_ldexp_f64 v[4:5], v[4:5], v6
	v_rsq_f64_e32 v[6:7], v[4:5]
	s_waitcnt_depctr 0xfff
	v_mul_f64 v[8:9], v[4:5], v[6:7]
	v_mul_f64 v[6:7], v[6:7], 0.5
	s_delay_alu instid0(VALU_DEP_1) | instskip(NEXT) | instid1(VALU_DEP_1)
	v_fma_f64 v[10:11], -v[6:7], v[8:9], 0.5
	v_fma_f64 v[8:9], v[8:9], v[10:11], v[8:9]
	v_fma_f64 v[6:7], v[6:7], v[10:11], v[6:7]
	s_delay_alu instid0(VALU_DEP_2) | instskip(NEXT) | instid1(VALU_DEP_1)
	v_fma_f64 v[10:11], -v[8:9], v[8:9], v[4:5]
	v_fma_f64 v[8:9], v[10:11], v[6:7], v[8:9]
	s_delay_alu instid0(VALU_DEP_1) | instskip(NEXT) | instid1(VALU_DEP_1)
	v_fma_f64 v[10:11], -v[8:9], v[8:9], v[4:5]
	v_fma_f64 v[6:7], v[10:11], v[6:7], v[8:9]
	v_ldexp_f64 v[8:9], |v[2:3]|, 0x6a
	v_cndmask_b32_e64 v10, 0, 0xffffff80, vcc_lo
	v_cmp_class_f64_e64 vcc_lo, v[4:5], 0x260
	s_delay_alu instid0(VALU_DEP_2) | instskip(NEXT) | instid1(VALU_DEP_4)
	v_ldexp_f64 v[6:7], v[6:7], v10
	v_mul_f64 v[8:9], |v[0:1]|, v[8:9]
	s_delay_alu instid0(VALU_DEP_2) | instskip(NEXT) | instid1(VALU_DEP_1)
	v_dual_cndmask_b32 v5, v7, v5 :: v_dual_cndmask_b32 v4, v6, v4
	v_div_scale_f64 v[6:7], null, v[4:5], v[4:5], v[8:9]
	v_div_scale_f64 v[16:17], vcc_lo, v[8:9], v[4:5], v[8:9]
	s_delay_alu instid0(VALU_DEP_2) | instskip(SKIP_2) | instid1(VALU_DEP_1)
	v_rcp_f64_e32 v[10:11], v[6:7]
	s_waitcnt_depctr 0xfff
	v_fma_f64 v[12:13], -v[6:7], v[10:11], 1.0
	v_fma_f64 v[10:11], v[10:11], v[12:13], v[10:11]
	s_delay_alu instid0(VALU_DEP_1) | instskip(NEXT) | instid1(VALU_DEP_1)
	v_fma_f64 v[12:13], -v[6:7], v[10:11], 1.0
	v_fma_f64 v[10:11], v[10:11], v[12:13], v[10:11]
	s_delay_alu instid0(VALU_DEP_1) | instskip(NEXT) | instid1(VALU_DEP_1)
	v_mul_f64 v[12:13], v[16:17], v[10:11]
	v_fma_f64 v[6:7], -v[6:7], v[12:13], v[16:17]
	s_delay_alu instid0(VALU_DEP_1) | instskip(NEXT) | instid1(VALU_DEP_1)
	v_div_fmas_f64 v[6:7], v[6:7], v[10:11], v[12:13]
	v_div_fixup_f64 v[22:23], v[6:7], v[4:5], v[8:9]
.LBB55_48:
	s_or_b32 exec_lo, exec_lo, s10
	s_delay_alu instid0(SALU_CYCLE_1) | instskip(SKIP_1) | instid1(SALU_CYCLE_1)
	s_and_not1_b32 s7, s7, exec_lo
	s_and_b32 s9, s9, exec_lo
	s_or_b32 s7, s7, s9
.LBB55_49:
	s_or_b32 exec_lo, exec_lo, s8
	s_delay_alu instid0(SALU_CYCLE_1)
	s_and_b32 s7, s7, exec_lo
                                        ; implicit-def: $vgpr8_vgpr9
.LBB55_50:
	s_and_not1_saveexec_b32 s8, s0
	s_cbranch_execz .LBB55_52
; %bb.51:
	v_add_f64 v[4:5], v[8:9], 1.0
	v_cmp_gt_f64_e64 s0, 0x10000000, |v[2:3]|
	s_or_b32 s7, s7, exec_lo
	s_delay_alu instid0(VALU_DEP_2) | instskip(NEXT) | instid1(VALU_DEP_2)
	v_mul_f64 v[4:5], v[4:5], 0.5
	v_cndmask_b32_e64 v6, 0, 1, s0
	s_delay_alu instid0(VALU_DEP_1) | instskip(NEXT) | instid1(VALU_DEP_3)
	v_lshlrev_b32_e32 v6, 8, v6
	v_cmp_gt_f64_e32 vcc_lo, 0x10000000, v[4:5]
	v_cndmask_b32_e64 v7, 0, 1, vcc_lo
	s_delay_alu instid0(VALU_DEP_1) | instskip(NEXT) | instid1(VALU_DEP_4)
	v_lshlrev_b32_e32 v8, 8, v7
	v_ldexp_f64 v[6:7], |v[2:3]|, v6
	v_cndmask_b32_e64 v2, 0, 0xffffff80, s0
	s_delay_alu instid0(VALU_DEP_3) | instskip(NEXT) | instid1(VALU_DEP_3)
	v_ldexp_f64 v[4:5], v[4:5], v8
	v_rsq_f64_e32 v[8:9], v[6:7]
	s_delay_alu instid0(VALU_DEP_1)
	v_rsq_f64_e32 v[10:11], v[4:5]
	v_cmp_class_f64_e64 s0, v[4:5], 0x260
	s_waitcnt_depctr 0xfff
	v_mul_f64 v[12:13], v[6:7], v[8:9]
	v_mul_f64 v[8:9], v[8:9], 0.5
	v_mul_f64 v[16:17], v[4:5], v[10:11]
	v_mul_f64 v[10:11], v[10:11], 0.5
	s_delay_alu instid0(VALU_DEP_3) | instskip(NEXT) | instid1(VALU_DEP_2)
	v_fma_f64 v[20:21], -v[8:9], v[12:13], 0.5
	v_fma_f64 v[22:23], -v[10:11], v[16:17], 0.5
	s_delay_alu instid0(VALU_DEP_2) | instskip(SKIP_1) | instid1(VALU_DEP_3)
	v_fma_f64 v[12:13], v[12:13], v[20:21], v[12:13]
	v_fma_f64 v[8:9], v[8:9], v[20:21], v[8:9]
	;; [unrolled: 1-line block ×4, first 2 shown]
	s_delay_alu instid0(VALU_DEP_4) | instskip(NEXT) | instid1(VALU_DEP_3)
	v_fma_f64 v[20:21], -v[12:13], v[12:13], v[6:7]
	v_fma_f64 v[22:23], -v[16:17], v[16:17], v[4:5]
	s_delay_alu instid0(VALU_DEP_2) | instskip(NEXT) | instid1(VALU_DEP_2)
	v_fma_f64 v[12:13], v[20:21], v[8:9], v[12:13]
	v_fma_f64 v[16:17], v[22:23], v[10:11], v[16:17]
	s_delay_alu instid0(VALU_DEP_2) | instskip(NEXT) | instid1(VALU_DEP_2)
	v_fma_f64 v[20:21], -v[12:13], v[12:13], v[6:7]
	v_fma_f64 v[22:23], -v[16:17], v[16:17], v[4:5]
	s_delay_alu instid0(VALU_DEP_2)
	v_fma_f64 v[8:9], v[20:21], v[8:9], v[12:13]
	v_cndmask_b32_e64 v12, 0, 0xffffff80, vcc_lo
	v_cmp_class_f64_e64 vcc_lo, v[6:7], 0x260
	v_mov_b32_e32 v20, 0
	v_mov_b32_e32 v21, 0x3ff00000
	v_fma_f64 v[10:11], v[22:23], v[10:11], v[16:17]
	v_ldexp_f64 v[8:9], v[8:9], v2
	s_delay_alu instid0(VALU_DEP_2) | instskip(NEXT) | instid1(VALU_DEP_2)
	v_ldexp_f64 v[10:11], v[10:11], v12
	v_dual_cndmask_b32 v7, v9, v7 :: v_dual_cndmask_b32 v6, v8, v6
	s_delay_alu instid0(VALU_DEP_2) | instskip(NEXT) | instid1(VALU_DEP_3)
	v_cndmask_b32_e64 v5, v11, v5, s0
	v_cndmask_b32_e64 v4, v10, v4, s0
	s_delay_alu instid0(VALU_DEP_1)
	v_mul_f64 v[22:23], v[6:7], v[4:5]
.LBB55_52:
	s_or_b32 exec_lo, exec_lo, s8
	s_delay_alu instid0(SALU_CYCLE_1)
	s_and_b32 s0, s7, exec_lo
.LBB55_53:
	s_or_b32 exec_lo, exec_lo, s5
	s_delay_alu instid0(SALU_CYCLE_1)
	s_and_b32 s0, s0, exec_lo
                                        ; implicit-def: $vgpr8_vgpr9
.LBB55_54:
	s_and_not1_saveexec_b32 s1, s1
; %bb.55:
	v_ldexp_f64 v[22:23], v[8:9], 53
	v_ldexp_f64 v[20:21], |v[0:1]|, 53
	s_or_b32 s0, s0, exec_lo
                                        ; implicit-def: $vgpr18_vgpr19
; %bb.56:
	s_or_b32 exec_lo, exec_lo, s1
	s_xor_b32 s0, s0, -1
                                        ; implicit-def: $vgpr6_vgpr7
	s_delay_alu instid0(SALU_CYCLE_1) | instskip(NEXT) | instid1(SALU_CYCLE_1)
	s_and_saveexec_b32 s1, s0
	s_xor_b32 s0, exec_lo, s1
	s_cbranch_execz .LBB55_60
; %bb.57:
	v_fma_f64 v[4:5], |v[18:19]|, -0.5, 0.5
	v_mul_f64 v[6:7], v[18:19], v[18:19]
	v_cmp_ge_f64_e64 vcc_lo, |v[18:19]|, 0.5
	s_mov_b32 s8, 0x78a05eaf
	s_mov_b32 s10, 0x9fea6a70
	s_mov_b32 s9, 0xbf90a5a3
	s_mov_b32 s11, 0x3fa05985
	s_delay_alu instid0(VALU_DEP_2) | instskip(NEXT) | instid1(VALU_DEP_1)
	v_dual_cndmask_b32 v7, v7, v5 :: v_dual_cndmask_b32 v6, v6, v4
	v_fma_f64 v[8:9], v[6:7], s[10:11], s[8:9]
	s_mov_b32 s8, 0x37024d6a
	s_mov_b32 s9, 0x3f940521
	s_delay_alu instid0(VALU_DEP_1) | instid1(SALU_CYCLE_1)
	v_fma_f64 v[8:9], v[6:7], v[8:9], s[8:9]
	s_mov_b32 s8, 0x98a70509
	s_mov_b32 s9, 0x3f7ab3a0
	s_delay_alu instid0(VALU_DEP_1) | instid1(SALU_CYCLE_1)
	;; [unrolled: 4-line block ×10, first 2 shown]
	v_fma_f64 v[8:9], v[6:7], v[8:9], s[8:9]
	s_delay_alu instid0(VALU_DEP_1) | instskip(NEXT) | instid1(VALU_DEP_1)
	v_mul_f64 v[8:9], v[6:7], v[8:9]
	v_fma_f64 v[6:7], |v[18:19]|, v[8:9], |v[18:19]|
	s_and_saveexec_b32 s1, vcc_lo
	s_cbranch_execz .LBB55_59
; %bb.58:
	v_rsq_f64_e32 v[6:7], v[4:5]
	v_cmp_eq_f64_e32 vcc_lo, 0, v[4:5]
	s_mov_b32 s8, 0x54442d18
	s_mov_b32 s9, 0x3fe921fb
	s_waitcnt_depctr 0xfff
	v_mul_f64 v[10:11], v[4:5], v[6:7]
	v_mul_f64 v[6:7], v[6:7], 0.5
	s_delay_alu instid0(VALU_DEP_1) | instskip(NEXT) | instid1(VALU_DEP_1)
	v_fma_f64 v[12:13], -v[6:7], v[10:11], 0.5
	v_fma_f64 v[10:11], v[10:11], v[12:13], v[10:11]
	v_fma_f64 v[6:7], v[6:7], v[12:13], v[6:7]
	s_delay_alu instid0(VALU_DEP_2) | instskip(NEXT) | instid1(VALU_DEP_1)
	v_fma_f64 v[12:13], -v[10:11], v[10:11], v[4:5]
	v_fma_f64 v[6:7], v[12:13], v[6:7], v[10:11]
	s_delay_alu instid0(VALU_DEP_1) | instskip(NEXT) | instid1(VALU_DEP_1)
	v_dual_cndmask_b32 v7, v7, v5 :: v_dual_cndmask_b32 v6, v6, v4
	v_add_f64 v[10:11], v[6:7], v[6:7]
	v_mul_f64 v[12:13], v[6:7], v[6:7]
	s_delay_alu instid0(VALU_DEP_2) | instskip(NEXT) | instid1(VALU_DEP_1)
	v_rcp_f64_e32 v[16:17], v[10:11]
	v_add_f64 v[20:21], v[4:5], -v[12:13]
	v_fma_f64 v[24:25], v[6:7], v[6:7], -v[12:13]
	s_delay_alu instid0(VALU_DEP_2) | instskip(SKIP_3) | instid1(VALU_DEP_2)
	v_add_f64 v[4:5], v[4:5], -v[20:21]
	s_waitcnt_depctr 0xfff
	v_fma_f64 v[22:23], -v[10:11], v[16:17], 1.0
	v_add_f64 v[4:5], v[4:5], -v[12:13]
	v_fma_f64 v[12:13], v[22:23], v[16:17], v[16:17]
	s_delay_alu instid0(VALU_DEP_2) | instskip(NEXT) | instid1(VALU_DEP_2)
	v_add_f64 v[4:5], v[4:5], -v[24:25]
	v_fma_f64 v[16:17], -v[10:11], v[12:13], 1.0
	s_delay_alu instid0(VALU_DEP_2) | instskip(NEXT) | instid1(VALU_DEP_2)
	v_add_f64 v[4:5], v[20:21], v[4:5]
	v_fma_f64 v[12:13], v[16:17], v[12:13], v[12:13]
	s_delay_alu instid0(VALU_DEP_1) | instskip(NEXT) | instid1(VALU_DEP_1)
	v_mul_f64 v[16:17], v[4:5], v[12:13]
	v_fma_f64 v[4:5], -v[10:11], v[16:17], v[4:5]
	s_delay_alu instid0(VALU_DEP_1) | instskip(NEXT) | instid1(VALU_DEP_1)
	v_fma_f64 v[4:5], v[4:5], v[12:13], v[16:17]
	v_cndmask_b32_e64 v5, v5, 0, vcc_lo
	s_delay_alu instid0(VALU_DEP_2) | instskip(SKIP_1) | instid1(VALU_DEP_2)
	v_cndmask_b32_e64 v4, v4, 0, vcc_lo
	v_cmp_neq_f64_e64 vcc_lo, |v[18:19]|, 1.0
	v_add_f64 v[10:11], v[6:7], v[4:5]
	s_delay_alu instid0(VALU_DEP_1) | instskip(SKIP_1) | instid1(VALU_DEP_2)
	v_add_f64 v[6:7], v[10:11], -v[6:7]
	v_mul_f64 v[12:13], v[8:9], v[10:11]
	v_add_f64 v[4:5], v[4:5], -v[6:7]
	s_delay_alu instid0(VALU_DEP_2) | instskip(NEXT) | instid1(VALU_DEP_1)
	v_fma_f64 v[6:7], v[10:11], v[8:9], -v[12:13]
	v_fma_f64 v[6:7], v[4:5], v[8:9], v[6:7]
	s_delay_alu instid0(VALU_DEP_1) | instskip(NEXT) | instid1(VALU_DEP_1)
	v_add_f64 v[8:9], v[12:13], v[6:7]
	v_add_f64 v[16:17], v[10:11], v[8:9]
	v_add_f64 v[12:13], v[8:9], -v[12:13]
	s_delay_alu instid0(VALU_DEP_2) | instskip(NEXT) | instid1(VALU_DEP_2)
	v_add_f64 v[10:11], v[16:17], -v[10:11]
	v_add_f64 v[6:7], v[6:7], -v[12:13]
	s_delay_alu instid0(VALU_DEP_2) | instskip(NEXT) | instid1(VALU_DEP_2)
	v_add_f64 v[8:9], v[8:9], -v[10:11]
	v_add_f64 v[4:5], v[4:5], v[6:7]
	s_delay_alu instid0(VALU_DEP_1) | instskip(NEXT) | instid1(VALU_DEP_1)
	v_add_f64 v[4:5], v[4:5], v[8:9]
	v_add_f64 v[6:7], v[16:17], v[4:5]
	s_delay_alu instid0(VALU_DEP_1) | instskip(SKIP_1) | instid1(VALU_DEP_2)
	v_add_f64 v[8:9], -v[6:7], s[8:9]
	v_add_f64 v[12:13], v[6:7], -v[16:17]
	v_add_f64 v[10:11], -v[8:9], s[8:9]
	s_mov_b32 s8, 0x33145c07
	s_mov_b32 s9, 0x3c81a626
	s_delay_alu instid0(VALU_DEP_2) | instskip(NEXT) | instid1(VALU_DEP_2)
	v_add_f64 v[4:5], v[12:13], -v[4:5]
	v_add_f64 v[6:7], v[10:11], -v[6:7]
	s_delay_alu instid0(VALU_DEP_1) | instskip(NEXT) | instid1(VALU_DEP_1)
	v_add_f64 v[6:7], v[6:7], s[8:9]
	v_add_f64 v[4:5], v[4:5], v[6:7]
	s_delay_alu instid0(VALU_DEP_1) | instskip(NEXT) | instid1(VALU_DEP_1)
	v_add_f64 v[4:5], v[8:9], v[4:5]
	v_add_f64 v[4:5], v[4:5], v[4:5]
	s_delay_alu instid0(VALU_DEP_1) | instskip(NEXT) | instid1(VALU_DEP_2)
	v_cndmask_b32_e32 v7, 0x3ff921fb, v5, vcc_lo
	v_cndmask_b32_e32 v6, 0x54442d18, v4, vcc_lo
.LBB55_59:
	s_or_b32 exec_lo, exec_lo, s1
	s_delay_alu instid0(VALU_DEP_1)
	v_bfi_b32 v7, 0x7fffffff, v7, v19
                                        ; implicit-def: $vgpr20_vgpr21
                                        ; implicit-def: $vgpr22_vgpr23
.LBB55_60:
	s_and_not1_saveexec_b32 s5, s0
	s_cbranch_execz .LBB55_62
; %bb.61:
	s_delay_alu instid0(VALU_DEP_1) | instskip(NEXT) | instid1(VALU_DEP_3)
	v_max_f64 v[4:5], v[20:21], v[20:21]
	v_max_f64 v[6:7], |v[22:23]|, |v[22:23]|
	s_mov_b32 s0, 0xbd3237f4
	s_mov_b32 s8, 0xb5e68a13
	;; [unrolled: 1-line block ×4, first 2 shown]
	v_cmp_class_f64_e64 s7, v[22:23], 0x204
	v_ashrrev_i32_e32 v2, 31, v23
	s_delay_alu instid0(VALU_DEP_3) | instskip(SKIP_1) | instid1(VALU_DEP_1)
	v_max_f64 v[8:9], v[6:7], v[4:5]
	v_min_f64 v[4:5], v[6:7], v[4:5]
	v_div_scale_f64 v[6:7], null, v[8:9], v[8:9], v[4:5]
	v_div_scale_f64 v[16:17], vcc_lo, v[4:5], v[8:9], v[4:5]
	s_delay_alu instid0(VALU_DEP_2) | instskip(SKIP_2) | instid1(VALU_DEP_1)
	v_rcp_f64_e32 v[10:11], v[6:7]
	s_waitcnt_depctr 0xfff
	v_fma_f64 v[12:13], -v[6:7], v[10:11], 1.0
	v_fma_f64 v[10:11], v[10:11], v[12:13], v[10:11]
	s_delay_alu instid0(VALU_DEP_1) | instskip(NEXT) | instid1(VALU_DEP_1)
	v_fma_f64 v[12:13], -v[6:7], v[10:11], 1.0
	v_fma_f64 v[10:11], v[10:11], v[12:13], v[10:11]
	s_delay_alu instid0(VALU_DEP_1) | instskip(NEXT) | instid1(VALU_DEP_1)
	v_mul_f64 v[12:13], v[16:17], v[10:11]
	v_fma_f64 v[6:7], -v[6:7], v[12:13], v[16:17]
	s_delay_alu instid0(VALU_DEP_1) | instskip(SKIP_1) | instid1(VALU_DEP_2)
	v_div_fmas_f64 v[6:7], v[6:7], v[10:11], v[12:13]
	v_cmp_lt_f64_e64 vcc_lo, |v[22:23]|, v[20:21]
	v_div_fixup_f64 v[4:5], v[6:7], v[8:9], v[4:5]
	s_delay_alu instid0(VALU_DEP_1) | instskip(NEXT) | instid1(VALU_DEP_1)
	v_mul_f64 v[6:7], v[4:5], v[4:5]
	v_fma_f64 v[8:9], v[6:7], s[8:9], s[0:1]
	s_mov_b32 s0, 0x69efb384
	s_mov_b32 s1, 0x3f4b2bb0
	s_delay_alu instid0(VALU_DEP_1) | instid1(SALU_CYCLE_1)
	v_fma_f64 v[8:9], v[6:7], v[8:9], s[0:1]
	s_mov_b32 s0, 0xaf56de9b
	s_mov_b32 s1, 0xbf67952d
	s_delay_alu instid0(VALU_DEP_1) | instid1(SALU_CYCLE_1)
	;; [unrolled: 4-line block ×18, first 2 shown]
	v_fma_f64 v[8:9], v[6:7], v[8:9], s[0:1]
	s_mov_b32 s0, 0x54442d18
	s_mov_b32 s1, 0x3ff921fb
	s_delay_alu instid0(VALU_DEP_1) | instskip(SKIP_2) | instid1(VALU_DEP_3)
	v_mul_f64 v[6:7], v[6:7], v[8:9]
	v_and_b32_e32 v8, 0x54442d18, v2
	v_and_b32_e32 v2, 0x400921fb, v2
	v_fma_f64 v[4:5], v[4:5], v[6:7], v[4:5]
	s_delay_alu instid0(VALU_DEP_1) | instskip(SKIP_1) | instid1(VALU_DEP_1)
	v_add_f64 v[6:7], -v[4:5], s[0:1]
	s_mov_b32 s1, 0x400921fb
	v_dual_cndmask_b32 v5, v5, v7 :: v_dual_cndmask_b32 v4, v4, v6
	v_cmp_gt_i32_e32 vcc_lo, 0, v23
	s_delay_alu instid0(VALU_DEP_2) | instskip(SKIP_2) | instid1(VALU_DEP_3)
	v_add_f64 v[6:7], -v[4:5], s[0:1]
	v_cmp_eq_f64_e64 s0, 0, v[20:21]
	v_cmp_eq_f64_e64 s1, 0x7ff00000, v[20:21]
	v_dual_mov_b32 v0, 0x7f3321d2 :: v_dual_cndmask_b32 v5, v5, v7
	s_delay_alu instid0(VALU_DEP_4) | instskip(SKIP_1) | instid1(VALU_DEP_3)
	v_cndmask_b32_e32 v4, v4, v6, vcc_lo
	v_mov_b32_e32 v6, 0x4002d97c
	v_cndmask_b32_e32 v0, 0x54442d18, v0, vcc_lo
	s_delay_alu instid0(VALU_DEP_4) | instskip(NEXT) | instid1(VALU_DEP_4)
	v_cndmask_b32_e64 v2, v5, v2, s0
	v_cndmask_b32_e64 v4, v4, v8, s0
	v_cmp_o_f64_e64 s0, v[22:23], v[20:21]
	v_cndmask_b32_e32 v6, 0x3fe921fb, v6, vcc_lo
	s_and_b32 vcc_lo, s1, s7
	s_delay_alu instid0(VALU_DEP_3) | instskip(NEXT) | instid1(VALU_DEP_2)
	v_cndmask_b32_e32 v0, v4, v0, vcc_lo
	v_cndmask_b32_e32 v2, v2, v6, vcc_lo
	s_delay_alu instid0(VALU_DEP_1) | instskip(NEXT) | instid1(VALU_DEP_1)
	v_and_b32_e32 v2, 0x7fffffff, v2
	v_cndmask_b32_e64 v7, 0x7ff80000, v2, s0
	s_delay_alu instid0(VALU_DEP_4)
	v_cndmask_b32_e64 v6, 0, v0, s0
.LBB55_62:
	s_or_b32 exec_lo, exec_lo, s5
	s_delay_alu instid0(VALU_DEP_1) | instskip(SKIP_1) | instid1(VALU_DEP_3)
	v_bfi_b32 v7, 0x7fffffff, v7, v1
	v_bfi_b32 v15, 0x7fffffff, v15, v3
	v_mov_b32_e32 v0, v6
	s_delay_alu instid0(VALU_DEP_3) | instskip(NEXT) | instid1(VALU_DEP_3)
	v_dual_mov_b32 v2, v14 :: v_dual_mov_b32 v1, v7
	v_mov_b32_e32 v3, v15
.LBB55_63:
	s_or_b32 exec_lo, exec_lo, s4
.LBB55_64:
	s_delay_alu instid0(SALU_CYCLE_1)
	s_or_b32 exec_lo, exec_lo, s3
                                        ; implicit-def: $vgpr6_vgpr7
                                        ; implicit-def: $vgpr8_vgpr9
                                        ; implicit-def: $vgpr4_vgpr5
.LBB55_65:
	s_and_not1_saveexec_b32 s7, s2
	s_cbranch_execz .LBB55_87
; %bb.66:
	v_and_b32_e32 v16, 0x7fffffff, v1
                                        ; implicit-def: $vgpr10_vgpr11
                                        ; implicit-def: $vgpr12_vgpr13
	s_mov_b32 s0, exec_lo
	v_cmpx_lt_i64_e32 -1, v[2:3]
	s_xor_b32 s8, exec_lo, s0
	s_cbranch_execz .LBB55_76
; %bb.67:
	v_cmp_lt_f64_e64 s0, |v[2:3]|, |v[0:1]|
	v_and_b32_e32 v17, 0x7fffffff, v3
	s_mov_b32 s2, -1
	s_mov_b32 s3, 0x7fdfffff
                                        ; implicit-def: $vgpr12_vgpr13
                                        ; implicit-def: $vgpr10_vgpr11
	s_mov_b32 s1, exec_lo
	s_delay_alu instid0(VALU_DEP_1) | instskip(SKIP_1) | instid1(VALU_DEP_1)
	v_cndmask_b32_e64 v15, v17, v16, s0
	v_cndmask_b32_e64 v14, v2, v0, s0
	v_cmpx_nlt_f64_e32 s[2:3], v[14:15]
	s_xor_b32 s9, exec_lo, s1
	s_cbranch_execz .LBB55_73
; %bb.68:
	v_cndmask_b32_e64 v17, v16, v17, s0
	v_cndmask_b32_e64 v16, v0, v2, s0
	v_cmp_nlt_f64_e32 vcc_lo, 0x20200000, v[14:15]
                                        ; implicit-def: $vgpr12_vgpr13
                                        ; implicit-def: $vgpr10_vgpr11
	s_delay_alu instid0(VALU_DEP_2) | instskip(NEXT) | instid1(VALU_DEP_1)
	v_cmp_ngt_f64_e64 s1, 0x20000000, v[16:17]
	s_and_b32 s1, vcc_lo, s1
	s_delay_alu instid0(SALU_CYCLE_1) | instskip(NEXT) | instid1(SALU_CYCLE_1)
	s_and_saveexec_b32 s2, s1
	s_xor_b32 s4, exec_lo, s2
	s_cbranch_execz .LBB55_70
; %bb.69:
	v_mul_f64 v[10:11], v[16:17], v[16:17]
	s_mov_b32 s3, 0x3fe55555
	s_mov_b32 s2, 0x55555555
	v_min_f64 v[6:7], v[8:9], v[6:7]
	s_mov_b32 s10, 0xbd3237f4
	s_mov_b32 s12, 0xb5e68a13
	s_mov_b32 s11, 0xbf23e260
	s_mov_b32 s13, 0x3eeba404
	v_cmp_class_f64_e64 s5, v[2:3], 0x204
	s_delay_alu instid0(VALU_DEP_3) | instskip(SKIP_2) | instid1(VALU_DEP_4)
	v_fma_f64 v[10:11], v[14:15], v[14:15], v[10:11]
	v_mov_b32_e32 v14, 0
	s_waitcnt lgkmcnt(0)
	v_div_scale_f64 v[30:31], vcc_lo, v[6:7], v[4:5], v[6:7]
	s_delay_alu instid0(VALU_DEP_3) | instskip(NEXT) | instid1(VALU_DEP_1)
	v_frexp_mant_f64_e32 v[12:13], v[10:11]
	v_cmp_gt_f64_e64 s1, s[2:3], v[12:13]
	s_mov_b32 s2, 0x55555780
	s_delay_alu instid0(VALU_DEP_1) | instskip(NEXT) | instid1(VALU_DEP_1)
	v_cndmask_b32_e64 v15, 0x3ff00000, 2.0, s1
	v_mul_f64 v[12:13], v[12:13], v[14:15]
	s_delay_alu instid0(VALU_DEP_1) | instskip(SKIP_1) | instid1(VALU_DEP_2)
	v_add_f64 v[14:15], v[12:13], 1.0
	v_add_f64 v[20:21], v[12:13], -1.0
	v_rcp_f64_e32 v[16:17], v[14:15]
	v_add_f64 v[22:23], v[14:15], -1.0
	s_delay_alu instid0(VALU_DEP_1) | instskip(SKIP_2) | instid1(VALU_DEP_1)
	v_add_f64 v[12:13], v[12:13], -v[22:23]
	s_waitcnt_depctr 0xfff
	v_fma_f64 v[18:19], -v[14:15], v[16:17], 1.0
	v_fma_f64 v[16:17], v[18:19], v[16:17], v[16:17]
	s_delay_alu instid0(VALU_DEP_1) | instskip(NEXT) | instid1(VALU_DEP_1)
	v_fma_f64 v[18:19], -v[14:15], v[16:17], 1.0
	v_fma_f64 v[16:17], v[18:19], v[16:17], v[16:17]
	v_div_scale_f64 v[18:19], null, v[4:5], v[4:5], v[6:7]
	s_delay_alu instid0(VALU_DEP_2) | instskip(NEXT) | instid1(VALU_DEP_2)
	v_mul_f64 v[8:9], v[20:21], v[16:17]
	v_rcp_f64_e32 v[26:27], v[18:19]
	s_delay_alu instid0(VALU_DEP_1) | instskip(SKIP_3) | instid1(VALU_DEP_1)
	v_mul_f64 v[24:25], v[14:15], v[8:9]
	s_waitcnt_depctr 0xfff
	v_fma_f64 v[22:23], -v[18:19], v[26:27], 1.0
	v_fma_f64 v[14:15], v[8:9], v[14:15], -v[24:25]
	v_fma_f64 v[12:13], v[8:9], v[12:13], v[14:15]
	s_delay_alu instid0(VALU_DEP_3) | instskip(NEXT) | instid1(VALU_DEP_2)
	v_fma_f64 v[14:15], v[26:27], v[22:23], v[26:27]
	v_add_f64 v[22:23], v[24:25], v[12:13]
	s_delay_alu instid0(VALU_DEP_2) | instskip(NEXT) | instid1(VALU_DEP_2)
	v_fma_f64 v[26:27], -v[18:19], v[14:15], 1.0
	v_add_f64 v[28:29], v[20:21], -v[22:23]
	s_delay_alu instid0(VALU_DEP_2) | instskip(SKIP_1) | instid1(VALU_DEP_3)
	v_fma_f64 v[14:15], v[14:15], v[26:27], v[14:15]
	v_add_f64 v[24:25], v[22:23], -v[24:25]
	v_add_f64 v[20:21], v[20:21], -v[28:29]
	s_delay_alu instid0(VALU_DEP_3) | instskip(NEXT) | instid1(VALU_DEP_3)
	v_mul_f64 v[26:27], v[30:31], v[14:15]
	v_add_f64 v[12:13], v[24:25], -v[12:13]
	v_frexp_exp_i32_f64_e32 v24, v[10:11]
	s_delay_alu instid0(VALU_DEP_4) | instskip(NEXT) | instid1(VALU_DEP_4)
	v_add_f64 v[20:21], v[20:21], -v[22:23]
	v_fma_f64 v[18:19], -v[18:19], v[26:27], v[30:31]
	s_delay_alu instid0(VALU_DEP_2) | instskip(NEXT) | instid1(VALU_DEP_2)
	v_add_f64 v[12:13], v[12:13], v[20:21]
	v_div_fmas_f64 v[14:15], v[18:19], v[14:15], v[26:27]
	s_delay_alu instid0(VALU_DEP_2) | instskip(NEXT) | instid1(VALU_DEP_2)
	v_add_f64 v[12:13], v[28:29], v[12:13]
	v_div_fixup_f64 v[4:5], v[14:15], v[4:5], v[6:7]
	s_delay_alu instid0(VALU_DEP_2) | instskip(NEXT) | instid1(VALU_DEP_2)
	v_mul_f64 v[6:7], v[16:17], v[12:13]
	v_mul_f64 v[12:13], v[4:5], v[4:5]
	s_delay_alu instid0(VALU_DEP_2) | instskip(NEXT) | instid1(VALU_DEP_2)
	v_add_f64 v[14:15], v[8:9], v[6:7]
	v_fma_f64 v[16:17], v[12:13], s[12:13], s[10:11]
	s_mov_b32 s10, 0x69efb384
	s_mov_b32 s11, 0x3f4b2bb0
	;; [unrolled: 1-line block ×4, first 2 shown]
	s_delay_alu instid0(VALU_DEP_2) | instskip(NEXT) | instid1(VALU_DEP_2)
	v_mul_f64 v[18:19], v[14:15], v[14:15]
	v_fma_f64 v[16:17], v[12:13], v[16:17], s[10:11]
	s_mov_b32 s10, 0x6b47b09a
	s_mov_b32 s11, 0x3fc38538
	v_add_f64 v[8:9], v[14:15], -v[8:9]
	s_delay_alu instid0(VALU_DEP_3) | instskip(SKIP_3) | instid1(VALU_DEP_4)
	v_fma_f64 v[20:21], v[18:19], s[12:13], s[10:11]
	s_mov_b32 s10, 0xaf56de9b
	s_mov_b32 s11, 0xbf67952d
	v_mul_f64 v[22:23], v[14:15], v[18:19]
	v_fma_f64 v[16:17], v[12:13], v[16:17], s[10:11]
	s_mov_b32 s10, 0xd7f4df2e
	s_mov_b32 s11, 0x3fc7474d
	s_delay_alu instid0(VALU_DEP_4) | instskip(NEXT) | instid1(VALU_DEP_4)
	v_add_f64 v[6:7], v[6:7], -v[8:9]
	v_fma_f64 v[20:21], v[18:19], v[20:21], s[10:11]
	s_mov_b32 s10, 0xa595c56f
	s_mov_b32 s11, 0x3f7d6d43
	s_delay_alu instid0(VALU_DEP_3) | instid1(SALU_CYCLE_1)
	v_fma_f64 v[16:17], v[12:13], v[16:17], s[10:11]
	s_mov_b32 s10, 0x16291751
	s_mov_b32 s11, 0x3fcc71c0
	s_delay_alu instid0(VALU_DEP_3) | instskip(NEXT) | instid1(VALU_DEP_3)
	v_ldexp_f64 v[6:7], v[6:7], 1
	v_fma_f64 v[20:21], v[18:19], v[20:21], s[10:11]
	s_mov_b32 s10, 0xa57d9582
	s_mov_b32 s11, 0xbf8c6ea4
	s_delay_alu instid0(VALU_DEP_3) | instid1(SALU_CYCLE_1)
	v_fma_f64 v[16:17], v[12:13], v[16:17], s[10:11]
	s_mov_b32 s10, 0x9b27acf1
	s_mov_b32 s11, 0x3fd24924
	s_delay_alu instid0(VALU_DEP_2) | instid1(SALU_CYCLE_1)
	v_fma_f64 v[20:21], v[18:19], v[20:21], s[10:11]
	s_mov_b32 s10, 0x5f08b19f
	s_mov_b32 s11, 0x3f967e29
	s_delay_alu instid0(VALU_DEP_2) | instid1(SALU_CYCLE_1)
	;; [unrolled: 4-line block ×4, first 2 shown]
	v_fma_f64 v[16:17], v[12:13], v[16:17], s[10:11]
	s_mov_b32 s10, 0x6a214619
	s_mov_b32 s11, 0xbfaae5ce
	s_delay_alu instid0(VALU_DEP_2) | instskip(SKIP_3) | instid1(VALU_DEP_3)
	v_fma_f64 v[18:19], v[18:19], v[20:21], s[2:3]
	s_mov_b32 s2, 0x5711927a
	s_mov_b32 s3, 0x3fa2c15b
	v_ldexp_f64 v[20:21], v[14:15], 1
	v_fma_f64 v[16:17], v[12:13], v[16:17], s[2:3]
	s_mov_b32 s2, 0xe82d3ff0
	s_mov_b32 s3, 0xbfa59976
	s_delay_alu instid0(VALU_DEP_3) | instskip(SKIP_2) | instid1(VALU_DEP_4)
	v_mul_f64 v[18:19], v[22:23], v[18:19]
	v_subrev_co_ci_u32_e64 v22, vcc_lo, 0, v24, s1
	v_cmp_eq_f64_e64 s1, 0, v[0:1]
	v_fma_f64 v[16:17], v[12:13], v[16:17], s[2:3]
	s_mov_b32 s2, 0x6ef28734
	s_delay_alu instid0(VALU_DEP_3) | instskip(SKIP_3) | instid1(VALU_DEP_4)
	v_cvt_f64_i32_e32 v[22:23], v22
	s_mov_b32 s3, 0x3fa82d5d
	v_cmp_gt_i32_e32 vcc_lo, 0, v3
	v_add_f64 v[14:15], v[20:21], v[18:19]
	v_fma_f64 v[16:17], v[12:13], v[16:17], s[2:3]
	s_mov_b32 s2, 0xfefa39ef
	s_mov_b32 s3, 0x3fe62e42
	s_delay_alu instid0(VALU_DEP_4) | instid1(SALU_CYCLE_1)
	v_mul_f64 v[24:25], v[22:23], s[2:3]
	s_delay_alu instid0(VALU_DEP_3) | instskip(NEXT) | instid1(VALU_DEP_3)
	v_add_f64 v[8:9], v[14:15], -v[20:21]
	v_fma_f64 v[16:17], v[12:13], v[16:17], s[10:11]
	s_delay_alu instid0(VALU_DEP_3) | instskip(SKIP_2) | instid1(VALU_DEP_3)
	v_fma_f64 v[20:21], v[22:23], s[2:3], -v[24:25]
	s_mov_b32 s2, 0x8427b883
	s_mov_b32 s3, 0x3fae1bb4
	v_add_f64 v[8:9], v[18:19], -v[8:9]
	s_delay_alu instid0(VALU_DEP_3)
	v_fma_f64 v[16:17], v[12:13], v[16:17], s[2:3]
	s_mov_b32 s2, 0x3b39803f
	s_mov_b32 s3, 0x3c7abc9e
	s_delay_alu instid0(VALU_DEP_3) | instid1(SALU_CYCLE_1)
	v_fma_f64 v[18:19], v[22:23], s[2:3], v[20:21]
	s_mov_b32 s2, 0x8b207f05
	s_mov_b32 s3, 0xbfb110e4
	s_delay_alu instid0(VALU_DEP_3) | instskip(NEXT) | instid1(VALU_DEP_3)
	v_add_f64 v[6:7], v[6:7], v[8:9]
	v_fma_f64 v[8:9], v[12:13], v[16:17], s[2:3]
	s_mov_b32 s2, 0x57b87036
	s_mov_b32 s3, 0x3fb3b136
	s_delay_alu instid0(VALU_DEP_3) | instskip(NEXT) | instid1(VALU_DEP_3)
	v_add_f64 v[16:17], v[24:25], v[18:19]
	v_add_f64 v[20:21], v[14:15], v[6:7]
	s_delay_alu instid0(VALU_DEP_3) | instskip(SKIP_2) | instid1(VALU_DEP_3)
	v_fma_f64 v[8:9], v[12:13], v[8:9], s[2:3]
	s_mov_b32 s2, 0x19378e4f
	s_mov_b32 s3, 0xbfb745d1
	v_add_f64 v[24:25], v[16:17], -v[24:25]
	s_delay_alu instid0(VALU_DEP_3) | instskip(SKIP_1) | instid1(VALU_DEP_4)
	v_add_f64 v[22:23], v[16:17], v[20:21]
	v_add_f64 v[14:15], v[20:21], -v[14:15]
	v_fma_f64 v[8:9], v[12:13], v[8:9], s[2:3]
	s_mov_b32 s2, 0x17e1913c
	s_mov_b32 s3, 0x3fbc71c7
	s_delay_alu instid0(VALU_DEP_4) | instskip(NEXT) | instid1(VALU_DEP_4)
	v_add_f64 v[18:19], v[18:19], -v[24:25]
	v_add_f64 v[26:27], v[22:23], -v[16:17]
	s_delay_alu instid0(VALU_DEP_4) | instskip(NEXT) | instid1(VALU_DEP_4)
	v_add_f64 v[6:7], v[6:7], -v[14:15]
	v_fma_f64 v[8:9], v[12:13], v[8:9], s[2:3]
	s_mov_b32 s2, 0x92376b7d
	s_mov_b32 s3, 0xbfc24924
	s_delay_alu instid0(VALU_DEP_3) | instskip(SKIP_1) | instid1(VALU_DEP_4)
	v_add_f64 v[28:29], v[22:23], -v[26:27]
	v_add_f64 v[14:15], v[20:21], -v[26:27]
	v_add_f64 v[20:21], v[18:19], v[6:7]
	s_delay_alu instid0(VALU_DEP_4) | instskip(SKIP_2) | instid1(VALU_DEP_4)
	v_fma_f64 v[8:9], v[12:13], v[8:9], s[2:3]
	s_mov_b32 s2, 0x999952cc
	s_mov_b32 s3, 0x3fc99999
	v_add_f64 v[16:17], v[16:17], -v[28:29]
	s_delay_alu instid0(VALU_DEP_2) | instskip(SKIP_2) | instid1(VALU_DEP_2)
	v_fma_f64 v[8:9], v[12:13], v[8:9], s[2:3]
	s_mov_b32 s2, 0x55555523
	s_mov_b32 s3, 0xbfd55555
	v_add_f64 v[14:15], v[14:15], v[16:17]
	v_add_f64 v[16:17], v[20:21], -v[18:19]
	s_delay_alu instid0(VALU_DEP_3) | instskip(SKIP_2) | instid1(VALU_DEP_3)
	v_fma_f64 v[8:9], v[12:13], v[8:9], s[2:3]
	s_mov_b32 s2, 0x54442d18
	s_mov_b32 s3, 0x3ff921fb
	v_add_f64 v[14:15], v[20:21], v[14:15]
	s_delay_alu instid0(VALU_DEP_3) | instskip(NEXT) | instid1(VALU_DEP_3)
	v_add_f64 v[6:7], v[6:7], -v[16:17]
	v_mul_f64 v[8:9], v[12:13], v[8:9]
	v_add_f64 v[12:13], v[20:21], -v[16:17]
	s_delay_alu instid0(VALU_DEP_4) | instskip(NEXT) | instid1(VALU_DEP_3)
	v_add_f64 v[20:21], v[22:23], v[14:15]
	v_fma_f64 v[4:5], v[4:5], v[8:9], v[4:5]
	s_delay_alu instid0(VALU_DEP_3) | instskip(NEXT) | instid1(VALU_DEP_3)
	v_add_f64 v[8:9], v[18:19], -v[12:13]
	v_add_f64 v[12:13], v[20:21], -v[22:23]
	s_delay_alu instid0(VALU_DEP_3) | instskip(NEXT) | instid1(VALU_DEP_3)
	v_add_f64 v[16:17], -v[4:5], s[2:3]
	v_add_f64 v[6:7], v[6:7], v[8:9]
	s_mov_b32 s3, 0x400921fb
	s_delay_alu instid0(VALU_DEP_3) | instskip(NEXT) | instid1(VALU_DEP_3)
	v_add_f64 v[8:9], v[14:15], -v[12:13]
	v_cndmask_b32_e64 v5, v5, v17, s0
	s_delay_alu instid0(VALU_DEP_4) | instskip(NEXT) | instid1(VALU_DEP_1)
	v_cndmask_b32_e64 v4, v4, v16, s0
	v_add_f64 v[12:13], -v[4:5], s[2:3]
	v_cmp_class_f64_e64 s2, v[10:11], 0x204
	v_cmp_class_f64_e64 s3, v[0:1], 0x204
	v_add_f64 v[6:7], v[6:7], v[8:9]
	v_ashrrev_i32_e32 v9, 31, v3
	s_delay_alu instid0(VALU_DEP_1) | instskip(SKIP_2) | instid1(VALU_DEP_1)
	v_and_b32_e32 v14, 0x400921fb, v9
	v_and_b32_e32 v9, 0x54442d18, v9
	v_dual_cndmask_b32 v13, v5, v13 :: v_dual_cndmask_b32 v4, v4, v12
	v_cndmask_b32_e64 v12, v13, v14, s1
	s_delay_alu instid0(VALU_DEP_2) | instskip(SKIP_3) | instid1(VALU_DEP_1)
	v_cndmask_b32_e64 v4, v4, v9, s1
	v_cmp_o_f64_e64 s1, v[2:3], v[0:1]
	v_add_f64 v[5:6], v[20:21], v[6:7]
	v_mov_b32_e32 v7, 0x4002d97c
	v_cndmask_b32_e32 v7, 0x3fe921fb, v7, vcc_lo
	s_delay_alu instid0(VALU_DEP_1) | instskip(SKIP_1) | instid1(VALU_DEP_1)
	v_bfi_b32 v7, 0x7fffffff, v7, v1
	v_mov_b32_e32 v8, 0x7f3321d2
	v_cndmask_b32_e32 v8, 0x54442d18, v8, vcc_lo
	s_and_b32 vcc_lo, s3, s5
	s_delay_alu instid0(VALU_DEP_3) | instskip(NEXT) | instid1(VALU_DEP_2)
	v_cndmask_b32_e32 v7, v12, v7, vcc_lo
	v_cndmask_b32_e32 v8, v4, v8, vcc_lo
	v_cmp_neq_f64_e32 vcc_lo, 0, v[10:11]
	v_cndmask_b32_e64 v6, v6, v11, s2
	v_cndmask_b32_e64 v5, v5, v10, s2
	;; [unrolled: 1-line block ×4, first 2 shown]
                                        ; implicit-def: $vgpr8_vgpr9
	s_delay_alu instid0(VALU_DEP_3) | instskip(NEXT) | instid1(VALU_DEP_1)
	v_mul_f64 v[4:5], v[5:6], 0.5
                                        ; implicit-def: $vgpr6_vgpr7
	v_cndmask_b32_e32 v13, 0xfff00000, v5, vcc_lo
	s_delay_alu instid0(VALU_DEP_2)
	v_cndmask_b32_e32 v12, 0, v4, vcc_lo
                                        ; implicit-def: $vgpr4_vgpr5
.LBB55_70:
	s_and_not1_saveexec_b32 s10, s4
	s_cbranch_execz .LBB55_72
; %bb.71:
	s_waitcnt lgkmcnt(0)
	v_frexp_exp_i32_f64_e32 v18, v[4:5]
	v_cmp_o_f64_e64 s1, v[2:3], v[0:1]
	v_cmp_class_f64_e64 s11, v[2:3], 0x204
	v_cmp_class_f64_e64 s13, v[0:1], 0x204
	s_mov_b32 s5, 0x3fe55555
	s_mov_b32 s4, 0x55555555
	v_min_f64 v[6:7], v[8:9], v[6:7]
	s_mov_b32 s14, 0xbd3237f4
	s_mov_b32 s16, 0xb5e68a13
	;; [unrolled: 1-line block ×4, first 2 shown]
	v_sub_nc_u32_e32 v12, 0, v18
	s_delay_alu instid0(VALU_DEP_3) | instskip(NEXT) | instid1(VALU_DEP_1)
	s_or_b32 s12, s13, s11
	v_ldexp_f64 v[10:11], |v[0:1]|, v12
	v_ldexp_f64 v[12:13], |v[2:3]|, v12
	s_delay_alu instid0(VALU_DEP_2) | instskip(NEXT) | instid1(VALU_DEP_1)
	v_mul_f64 v[10:11], v[10:11], v[10:11]
	v_fma_f64 v[10:11], v[12:13], v[12:13], v[10:11]
	s_delay_alu instid0(VALU_DEP_1) | instskip(SKIP_4) | instid1(VALU_DEP_1)
	v_rsq_f64_e32 v[12:13], v[10:11]
	v_cmp_eq_f64_e32 vcc_lo, 0, v[10:11]
	s_waitcnt_depctr 0xfff
	v_mul_f64 v[14:15], v[10:11], v[12:13]
	v_mul_f64 v[12:13], v[12:13], 0.5
	v_fma_f64 v[16:17], -v[12:13], v[14:15], 0.5
	s_delay_alu instid0(VALU_DEP_1) | instskip(SKIP_1) | instid1(VALU_DEP_2)
	v_fma_f64 v[14:15], v[14:15], v[16:17], v[14:15]
	v_fma_f64 v[12:13], v[12:13], v[16:17], v[12:13]
	v_fma_f64 v[16:17], -v[14:15], v[14:15], v[10:11]
	s_delay_alu instid0(VALU_DEP_1) | instskip(SKIP_1) | instid1(VALU_DEP_2)
	v_fma_f64 v[12:13], v[16:17], v[12:13], v[14:15]
	v_mov_b32_e32 v17, 0
	v_dual_cndmask_b32 v11, v13, v11 :: v_dual_cndmask_b32 v10, v12, v10
	v_div_scale_f64 v[33:34], vcc_lo, v[6:7], v[4:5], v[6:7]
	s_delay_alu instid0(VALU_DEP_2) | instskip(NEXT) | instid1(VALU_DEP_1)
	v_ldexp_f64 v[10:11], v[10:11], v18
	v_cndmask_b32_e64 v12, 0, v10, s1
	s_delay_alu instid0(VALU_DEP_2) | instskip(NEXT) | instid1(VALU_DEP_2)
	v_cndmask_b32_e64 v35, 0x7ff80000, v11, s1
	v_cndmask_b32_e64 v13, v12, 0, s12
	s_delay_alu instid0(VALU_DEP_2) | instskip(NEXT) | instid1(VALU_DEP_1)
	v_cndmask_b32_e64 v14, v35, 0x7ff00000, s12
	v_frexp_mant_f64_e32 v[15:16], v[13:14]
	s_delay_alu instid0(VALU_DEP_1) | instskip(SKIP_1) | instid1(VALU_DEP_1)
	v_cmp_gt_f64_e64 s2, s[4:5], v[15:16]
	s_mov_b32 s4, 0x55555780
	v_cndmask_b32_e64 v18, 0x3ff00000, 2.0, s2
	s_delay_alu instid0(VALU_DEP_1) | instskip(NEXT) | instid1(VALU_DEP_1)
	v_mul_f64 v[15:16], v[15:16], v[17:18]
	v_add_f64 v[17:18], v[15:16], 1.0
	v_add_f64 v[23:24], v[15:16], -1.0
	s_delay_alu instid0(VALU_DEP_2) | instskip(SKIP_1) | instid1(VALU_DEP_1)
	v_rcp_f64_e32 v[19:20], v[17:18]
	v_add_f64 v[25:26], v[17:18], -1.0
	v_add_f64 v[15:16], v[15:16], -v[25:26]
	s_waitcnt_depctr 0xfff
	v_fma_f64 v[21:22], -v[17:18], v[19:20], 1.0
	s_delay_alu instid0(VALU_DEP_1) | instskip(NEXT) | instid1(VALU_DEP_1)
	v_fma_f64 v[19:20], v[21:22], v[19:20], v[19:20]
	v_fma_f64 v[21:22], -v[17:18], v[19:20], 1.0
	s_delay_alu instid0(VALU_DEP_1) | instskip(SKIP_1) | instid1(VALU_DEP_2)
	v_fma_f64 v[19:20], v[21:22], v[19:20], v[19:20]
	v_div_scale_f64 v[21:22], null, v[4:5], v[4:5], v[6:7]
	v_mul_f64 v[8:9], v[23:24], v[19:20]
	s_delay_alu instid0(VALU_DEP_2) | instskip(NEXT) | instid1(VALU_DEP_1)
	v_rcp_f64_e32 v[29:30], v[21:22]
	v_mul_f64 v[27:28], v[17:18], v[8:9]
	s_waitcnt_depctr 0xfff
	v_fma_f64 v[25:26], -v[21:22], v[29:30], 1.0
	v_fma_f64 v[17:18], v[8:9], v[17:18], -v[27:28]
	s_delay_alu instid0(VALU_DEP_1) | instskip(NEXT) | instid1(VALU_DEP_3)
	v_fma_f64 v[15:16], v[8:9], v[15:16], v[17:18]
	v_fma_f64 v[17:18], v[29:30], v[25:26], v[29:30]
	s_delay_alu instid0(VALU_DEP_2) | instskip(NEXT) | instid1(VALU_DEP_2)
	v_add_f64 v[25:26], v[27:28], v[15:16]
	v_fma_f64 v[29:30], -v[21:22], v[17:18], 1.0
	s_delay_alu instid0(VALU_DEP_2) | instskip(NEXT) | instid1(VALU_DEP_2)
	v_add_f64 v[31:32], v[23:24], -v[25:26]
	v_fma_f64 v[17:18], v[17:18], v[29:30], v[17:18]
	v_add_f64 v[27:28], v[25:26], -v[27:28]
	s_delay_alu instid0(VALU_DEP_3) | instskip(NEXT) | instid1(VALU_DEP_3)
	v_add_f64 v[23:24], v[23:24], -v[31:32]
	v_mul_f64 v[29:30], v[33:34], v[17:18]
	s_delay_alu instid0(VALU_DEP_3) | instskip(SKIP_1) | instid1(VALU_DEP_4)
	v_add_f64 v[15:16], v[27:28], -v[15:16]
	v_frexp_exp_i32_f64_e32 v27, v[13:14]
	v_add_f64 v[23:24], v[23:24], -v[25:26]
	s_delay_alu instid0(VALU_DEP_4) | instskip(NEXT) | instid1(VALU_DEP_2)
	v_fma_f64 v[21:22], -v[21:22], v[29:30], v[33:34]
	v_add_f64 v[15:16], v[15:16], v[23:24]
	s_delay_alu instid0(VALU_DEP_2) | instskip(NEXT) | instid1(VALU_DEP_2)
	v_div_fmas_f64 v[17:18], v[21:22], v[17:18], v[29:30]
	v_add_f64 v[15:16], v[31:32], v[15:16]
	s_delay_alu instid0(VALU_DEP_2) | instskip(NEXT) | instid1(VALU_DEP_2)
	v_div_fixup_f64 v[4:5], v[17:18], v[4:5], v[6:7]
	v_mul_f64 v[6:7], v[19:20], v[15:16]
	s_delay_alu instid0(VALU_DEP_2) | instskip(NEXT) | instid1(VALU_DEP_2)
	v_mul_f64 v[15:16], v[4:5], v[4:5]
	v_add_f64 v[17:18], v[8:9], v[6:7]
	s_delay_alu instid0(VALU_DEP_2) | instskip(SKIP_4) | instid1(VALU_DEP_2)
	v_fma_f64 v[19:20], v[15:16], s[16:17], s[14:15]
	s_mov_b32 s14, 0x69efb384
	s_mov_b32 s15, 0x3f4b2bb0
	;; [unrolled: 1-line block ×4, first 2 shown]
	v_mul_f64 v[21:22], v[17:18], v[17:18]
	s_delay_alu instid0(VALU_DEP_2) | instskip(SKIP_3) | instid1(VALU_DEP_3)
	v_fma_f64 v[19:20], v[15:16], v[19:20], s[14:15]
	s_mov_b32 s14, 0x6b47b09a
	s_mov_b32 s15, 0x3fc38538
	v_add_f64 v[8:9], v[17:18], -v[8:9]
	v_fma_f64 v[23:24], v[21:22], s[16:17], s[14:15]
	s_mov_b32 s14, 0xaf56de9b
	s_mov_b32 s15, 0xbf67952d
	v_mul_f64 v[25:26], v[17:18], v[21:22]
	s_delay_alu instid0(VALU_DEP_4) | instskip(SKIP_2) | instid1(VALU_DEP_4)
	v_fma_f64 v[19:20], v[15:16], v[19:20], s[14:15]
	s_mov_b32 s14, 0xd7f4df2e
	s_mov_b32 s15, 0x3fc7474d
	v_add_f64 v[6:7], v[6:7], -v[8:9]
	s_delay_alu instid0(VALU_DEP_4)
	v_fma_f64 v[23:24], v[21:22], v[23:24], s[14:15]
	s_mov_b32 s14, 0xa595c56f
	s_mov_b32 s15, 0x3f7d6d43
	s_delay_alu instid0(VALU_DEP_3) | instid1(SALU_CYCLE_1)
	v_fma_f64 v[19:20], v[15:16], v[19:20], s[14:15]
	s_mov_b32 s14, 0x16291751
	s_mov_b32 s15, 0x3fcc71c0
	s_delay_alu instid0(VALU_DEP_3) | instskip(NEXT) | instid1(VALU_DEP_3)
	v_ldexp_f64 v[6:7], v[6:7], 1
	v_fma_f64 v[23:24], v[21:22], v[23:24], s[14:15]
	s_mov_b32 s14, 0xa57d9582
	s_mov_b32 s15, 0xbf8c6ea4
	s_delay_alu instid0(VALU_DEP_3) | instid1(SALU_CYCLE_1)
	v_fma_f64 v[19:20], v[15:16], v[19:20], s[14:15]
	s_mov_b32 s14, 0x9b27acf1
	s_mov_b32 s15, 0x3fd24924
	s_delay_alu instid0(VALU_DEP_2) | instid1(SALU_CYCLE_1)
	v_fma_f64 v[23:24], v[21:22], v[23:24], s[14:15]
	s_mov_b32 s14, 0x5f08b19f
	s_mov_b32 s15, 0x3f967e29
	s_delay_alu instid0(VALU_DEP_2) | instid1(SALU_CYCLE_1)
	;; [unrolled: 4-line block ×4, first 2 shown]
	v_fma_f64 v[19:20], v[15:16], v[19:20], s[14:15]
	s_delay_alu instid0(VALU_DEP_2) | instskip(SKIP_3) | instid1(VALU_DEP_3)
	v_fma_f64 v[21:22], v[21:22], v[23:24], s[4:5]
	s_mov_b32 s4, 0x5711927a
	s_mov_b32 s5, 0x3fa2c15b
	v_ldexp_f64 v[23:24], v[17:18], 1
	v_fma_f64 v[19:20], v[15:16], v[19:20], s[4:5]
	s_mov_b32 s4, 0xe82d3ff0
	s_mov_b32 s5, 0xbfa59976
	s_delay_alu instid0(VALU_DEP_3) | instskip(SKIP_2) | instid1(VALU_DEP_3)
	v_mul_f64 v[21:22], v[25:26], v[21:22]
	v_subrev_co_ci_u32_e64 v25, vcc_lo, 0, v27, s2
	s_mov_b32 s2, 0x6ef28734
	v_fma_f64 v[19:20], v[15:16], v[19:20], s[4:5]
	s_mov_b32 s3, 0x3fa82d5d
	s_delay_alu instid0(VALU_DEP_2) | instskip(SKIP_4) | instid1(VALU_DEP_4)
	v_cvt_f64_i32_e32 v[25:26], v25
	s_mov_b32 s4, 0x6a214619
	s_mov_b32 s5, 0xbfaae5ce
	v_cmp_gt_i32_e32 vcc_lo, 0, v3
	v_add_f64 v[17:18], v[23:24], v[21:22]
	v_fma_f64 v[19:20], v[15:16], v[19:20], s[2:3]
	s_mov_b32 s2, 0xfefa39ef
	s_mov_b32 s3, 0x3fe62e42
	s_delay_alu instid0(VALU_DEP_4) | instid1(SALU_CYCLE_1)
	v_mul_f64 v[27:28], v[25:26], s[2:3]
	s_delay_alu instid0(VALU_DEP_3) | instskip(NEXT) | instid1(VALU_DEP_3)
	v_add_f64 v[8:9], v[17:18], -v[23:24]
	v_fma_f64 v[19:20], v[15:16], v[19:20], s[4:5]
	s_delay_alu instid0(VALU_DEP_3) | instskip(SKIP_2) | instid1(VALU_DEP_3)
	v_fma_f64 v[23:24], v[25:26], s[2:3], -v[27:28]
	s_mov_b32 s2, 0x8427b883
	s_mov_b32 s3, 0x3fae1bb4
	v_add_f64 v[8:9], v[21:22], -v[8:9]
	s_delay_alu instid0(VALU_DEP_3)
	v_fma_f64 v[19:20], v[15:16], v[19:20], s[2:3]
	s_mov_b32 s2, 0x3b39803f
	s_mov_b32 s3, 0x3c7abc9e
	s_delay_alu instid0(VALU_DEP_3) | instid1(SALU_CYCLE_1)
	v_fma_f64 v[21:22], v[25:26], s[2:3], v[23:24]
	s_mov_b32 s2, 0x8b207f05
	s_mov_b32 s3, 0xbfb110e4
	s_delay_alu instid0(VALU_DEP_3) | instskip(NEXT) | instid1(VALU_DEP_3)
	v_add_f64 v[6:7], v[6:7], v[8:9]
	v_fma_f64 v[8:9], v[15:16], v[19:20], s[2:3]
	s_mov_b32 s2, 0x57b87036
	s_mov_b32 s3, 0x3fb3b136
	s_delay_alu instid0(VALU_DEP_3) | instskip(NEXT) | instid1(VALU_DEP_3)
	v_add_f64 v[19:20], v[27:28], v[21:22]
	v_add_f64 v[23:24], v[17:18], v[6:7]
	s_delay_alu instid0(VALU_DEP_3) | instskip(SKIP_2) | instid1(VALU_DEP_3)
	v_fma_f64 v[8:9], v[15:16], v[8:9], s[2:3]
	s_mov_b32 s2, 0x19378e4f
	s_mov_b32 s3, 0xbfb745d1
	v_add_f64 v[27:28], v[19:20], -v[27:28]
	s_delay_alu instid0(VALU_DEP_3) | instskip(SKIP_1) | instid1(VALU_DEP_4)
	v_add_f64 v[25:26], v[19:20], v[23:24]
	v_add_f64 v[17:18], v[23:24], -v[17:18]
	v_fma_f64 v[8:9], v[15:16], v[8:9], s[2:3]
	s_mov_b32 s2, 0x17e1913c
	s_mov_b32 s3, 0x3fbc71c7
	s_delay_alu instid0(VALU_DEP_4) | instskip(NEXT) | instid1(VALU_DEP_4)
	v_add_f64 v[21:22], v[21:22], -v[27:28]
	v_add_f64 v[29:30], v[25:26], -v[19:20]
	s_delay_alu instid0(VALU_DEP_4) | instskip(NEXT) | instid1(VALU_DEP_4)
	v_add_f64 v[6:7], v[6:7], -v[17:18]
	v_fma_f64 v[8:9], v[15:16], v[8:9], s[2:3]
	s_mov_b32 s2, 0x92376b7d
	s_mov_b32 s3, 0xbfc24924
	s_delay_alu instid0(VALU_DEP_3) | instskip(SKIP_1) | instid1(VALU_DEP_4)
	v_add_f64 v[31:32], v[25:26], -v[29:30]
	v_add_f64 v[17:18], v[23:24], -v[29:30]
	v_add_f64 v[23:24], v[21:22], v[6:7]
	s_delay_alu instid0(VALU_DEP_4) | instskip(SKIP_2) | instid1(VALU_DEP_4)
	v_fma_f64 v[8:9], v[15:16], v[8:9], s[2:3]
	s_mov_b32 s2, 0x999952cc
	s_mov_b32 s3, 0x3fc99999
	v_add_f64 v[19:20], v[19:20], -v[31:32]
	s_delay_alu instid0(VALU_DEP_2) | instskip(SKIP_2) | instid1(VALU_DEP_2)
	v_fma_f64 v[8:9], v[15:16], v[8:9], s[2:3]
	s_mov_b32 s2, 0x55555523
	s_mov_b32 s3, 0xbfd55555
	v_add_f64 v[17:18], v[17:18], v[19:20]
	v_add_f64 v[19:20], v[23:24], -v[21:22]
	s_delay_alu instid0(VALU_DEP_3) | instskip(SKIP_2) | instid1(VALU_DEP_3)
	v_fma_f64 v[8:9], v[15:16], v[8:9], s[2:3]
	s_mov_b32 s2, 0x54442d18
	s_mov_b32 s3, 0x3ff921fb
	v_add_f64 v[17:18], v[23:24], v[17:18]
	s_delay_alu instid0(VALU_DEP_3) | instskip(NEXT) | instid1(VALU_DEP_3)
	v_add_f64 v[6:7], v[6:7], -v[19:20]
	v_mul_f64 v[8:9], v[15:16], v[8:9]
	v_add_f64 v[15:16], v[23:24], -v[19:20]
	s_delay_alu instid0(VALU_DEP_4) | instskip(NEXT) | instid1(VALU_DEP_3)
	v_add_f64 v[23:24], v[25:26], v[17:18]
	v_fma_f64 v[4:5], v[4:5], v[8:9], v[4:5]
	s_delay_alu instid0(VALU_DEP_3) | instskip(NEXT) | instid1(VALU_DEP_3)
	v_add_f64 v[8:9], v[21:22], -v[15:16]
	v_add_f64 v[15:16], v[23:24], -v[25:26]
	s_delay_alu instid0(VALU_DEP_3) | instskip(NEXT) | instid1(VALU_DEP_3)
	v_add_f64 v[19:20], -v[4:5], s[2:3]
	v_add_f64 v[6:7], v[6:7], v[8:9]
	s_mov_b32 s3, 0x400921fb
	s_delay_alu instid0(VALU_DEP_3) | instskip(NEXT) | instid1(VALU_DEP_3)
	v_add_f64 v[8:9], v[17:18], -v[15:16]
	v_cndmask_b32_e64 v5, v5, v20, s0
	s_delay_alu instid0(VALU_DEP_4) | instskip(NEXT) | instid1(VALU_DEP_1)
	v_cndmask_b32_e64 v4, v4, v19, s0
	v_add_f64 v[15:16], -v[4:5], s[2:3]
	v_and_b32_e32 v11, 0x7fffffff, v11
	v_cmp_eq_f64_e64 s2, 0, v[0:1]
	v_add_f64 v[6:7], v[6:7], v[8:9]
	v_mov_b32_e32 v8, 0x7f3321d2
	v_ashrrev_i32_e32 v9, 31, v3
	s_delay_alu instid0(VALU_DEP_2) | instskip(NEXT) | instid1(VALU_DEP_2)
	v_cndmask_b32_e32 v8, 0x54442d18, v8, vcc_lo
	v_and_b32_e32 v17, 0x400921fb, v9
	v_dual_cndmask_b32 v4, v4, v15 :: v_dual_and_b32 v9, 0x54442d18, v9
	v_cndmask_b32_e32 v16, v5, v16, vcc_lo
	v_cmp_eq_f64_e64 s3, 0x7ff00000, v[10:11]
	s_delay_alu instid0(VALU_DEP_3) | instskip(NEXT) | instid1(VALU_DEP_3)
	v_cndmask_b32_e64 v4, v4, v9, s2
	v_cndmask_b32_e64 v10, v16, v17, s2
	v_add_f64 v[5:6], v[23:24], v[6:7]
	v_mov_b32_e32 v7, 0x4002d97c
	s_delay_alu instid0(VALU_DEP_1) | instskip(NEXT) | instid1(VALU_DEP_1)
	v_cndmask_b32_e32 v7, 0x3fe921fb, v7, vcc_lo
	v_bfi_b32 v7, 0x7fffffff, v7, v1
	s_and_b32 vcc_lo, s1, s3
	s_delay_alu instid0(VALU_DEP_4) | instskip(SKIP_1) | instid1(VALU_DEP_2)
	v_dual_cndmask_b32 v6, v6, v35 :: v_dual_cndmask_b32 v5, v5, v12
	s_and_b32 vcc_lo, s13, s11
	v_dual_cndmask_b32 v4, v4, v8 :: v_dual_cndmask_b32 v7, v10, v7
	v_cmp_ngt_f64_e32 vcc_lo, 0, v[13:14]
	s_delay_alu instid0(VALU_DEP_3) | instskip(SKIP_1) | instid1(VALU_DEP_4)
	v_cndmask_b32_e64 v6, v6, 0x7ff00000, s12
	v_cndmask_b32_e64 v5, v5, 0, s12
	;; [unrolled: 1-line block ×4, first 2 shown]
	s_delay_alu instid0(VALU_DEP_4) | instskip(SKIP_3) | instid1(VALU_DEP_4)
	v_cndmask_b32_e32 v6, 0x7ff80000, v6, vcc_lo
	v_cmp_nge_f64_e32 vcc_lo, 0, v[13:14]
	v_cndmask_b32_e32 v12, 0, v5, vcc_lo
	v_cmp_neq_f64_e32 vcc_lo, 0, v[13:14]
	v_cndmask_b32_e32 v13, 0xfff00000, v6, vcc_lo
.LBB55_72:
	s_or_b32 exec_lo, exec_lo, s10
                                        ; implicit-def: $vgpr8_vgpr9
                                        ; implicit-def: $vgpr6_vgpr7
                                        ; implicit-def: $vgpr4_vgpr5
.LBB55_73:
	s_and_not1_saveexec_b32 s3, s9
	s_cbranch_execz .LBB55_75
; %bb.74:
	s_mov_b32 s4, 0x8b145769
	s_mov_b32 s5, 0x4005bf0a
	v_min_f64 v[6:7], v[8:9], v[6:7]
	v_div_scale_f64 v[10:11], null, s[4:5], s[4:5], v[2:3]
	v_div_scale_f64 v[12:13], null, s[4:5], s[4:5], v[0:1]
	v_div_scale_f64 v[22:23], vcc_lo, v[2:3], s[4:5], v[2:3]
	s_mov_b32 s10, 0xbd3237f4
	s_mov_b32 s12, 0xb5e68a13
	;; [unrolled: 1-line block ×4, first 2 shown]
	s_waitcnt lgkmcnt(0)
	s_delay_alu instid0(VALU_DEP_4) | instskip(NEXT) | instid1(VALU_DEP_4)
	v_div_scale_f64 v[26:27], null, v[4:5], v[4:5], v[6:7]
	v_rcp_f64_e32 v[14:15], v[10:11]
	s_delay_alu instid0(VALU_DEP_3) | instskip(SKIP_3) | instid1(VALU_DEP_2)
	v_rcp_f64_e32 v[16:17], v[12:13]
	s_waitcnt_depctr 0xfff
	v_fma_f64 v[18:19], -v[10:11], v[14:15], 1.0
	v_fma_f64 v[20:21], -v[12:13], v[16:17], 1.0
	v_fma_f64 v[14:15], v[14:15], v[18:19], v[14:15]
	s_delay_alu instid0(VALU_DEP_2) | instskip(NEXT) | instid1(VALU_DEP_2)
	v_fma_f64 v[16:17], v[16:17], v[20:21], v[16:17]
	v_fma_f64 v[18:19], -v[10:11], v[14:15], 1.0
	s_delay_alu instid0(VALU_DEP_2) | instskip(NEXT) | instid1(VALU_DEP_2)
	v_fma_f64 v[20:21], -v[12:13], v[16:17], 1.0
	v_fma_f64 v[14:15], v[14:15], v[18:19], v[14:15]
	v_div_scale_f64 v[18:19], s1, v[0:1], s[4:5], v[0:1]
	s_delay_alu instid0(VALU_DEP_3) | instskip(NEXT) | instid1(VALU_DEP_3)
	v_fma_f64 v[16:17], v[16:17], v[20:21], v[16:17]
	v_mul_f64 v[20:21], v[22:23], v[14:15]
	s_delay_alu instid0(VALU_DEP_2) | instskip(NEXT) | instid1(VALU_DEP_2)
	v_mul_f64 v[24:25], v[18:19], v[16:17]
	v_fma_f64 v[10:11], -v[10:11], v[20:21], v[22:23]
	s_delay_alu instid0(VALU_DEP_2) | instskip(NEXT) | instid1(VALU_DEP_2)
	v_fma_f64 v[12:13], -v[12:13], v[24:25], v[18:19]
	v_div_fmas_f64 v[10:11], v[10:11], v[14:15], v[20:21]
	s_mov_b32 vcc_lo, s1
	s_delay_alu instid0(VALU_DEP_2) | instskip(NEXT) | instid1(VALU_DEP_2)
	v_div_fmas_f64 v[12:13], v[12:13], v[16:17], v[24:25]
	v_div_fixup_f64 v[10:11], v[10:11], s[4:5], v[2:3]
	s_delay_alu instid0(VALU_DEP_2) | instskip(SKIP_1) | instid1(VALU_DEP_2)
	v_div_fixup_f64 v[12:13], v[12:13], s[4:5], v[0:1]
	s_mov_b32 s5, 0x3fe55555
	v_cmp_class_f64_e64 s2, v[10:11], 0x204
	s_delay_alu instid0(VALU_DEP_2) | instskip(SKIP_2) | instid1(VALU_DEP_3)
	v_max_f64 v[14:15], |v[10:11]|, |v[12:13]|
	v_cmp_o_f64_e64 s1, v[10:11], v[12:13]
	v_cmp_class_f64_e64 s4, v[12:13], 0x204
	v_frexp_exp_i32_f64_e32 v22, v[14:15]
	s_delay_alu instid0(VALU_DEP_2) | instskip(SKIP_1) | instid1(VALU_DEP_1)
	s_or_b32 s9, s4, s2
	s_mov_b32 s4, 0x55555555
	v_sub_nc_u32_e32 v16, 0, v22
	s_delay_alu instid0(VALU_DEP_1) | instskip(SKIP_1) | instid1(VALU_DEP_2)
	v_ldexp_f64 v[14:15], |v[12:13]|, v16
	v_ldexp_f64 v[16:17], |v[10:11]|, v16
	v_mul_f64 v[14:15], v[14:15], v[14:15]
	s_delay_alu instid0(VALU_DEP_1) | instskip(NEXT) | instid1(VALU_DEP_1)
	v_fma_f64 v[14:15], v[16:17], v[16:17], v[14:15]
	v_rsq_f64_e32 v[16:17], v[14:15]
	v_cmp_eq_f64_e32 vcc_lo, 0, v[14:15]
	s_waitcnt_depctr 0xfff
	v_mul_f64 v[18:19], v[14:15], v[16:17]
	v_mul_f64 v[16:17], v[16:17], 0.5
	s_delay_alu instid0(VALU_DEP_1) | instskip(NEXT) | instid1(VALU_DEP_1)
	v_fma_f64 v[20:21], -v[16:17], v[18:19], 0.5
	v_fma_f64 v[18:19], v[18:19], v[20:21], v[18:19]
	v_fma_f64 v[16:17], v[16:17], v[20:21], v[16:17]
	s_delay_alu instid0(VALU_DEP_2) | instskip(NEXT) | instid1(VALU_DEP_1)
	v_fma_f64 v[20:21], -v[18:19], v[18:19], v[14:15]
	v_fma_f64 v[16:17], v[20:21], v[16:17], v[18:19]
	s_delay_alu instid0(VALU_DEP_1) | instskip(SKIP_1) | instid1(VALU_DEP_2)
	v_dual_cndmask_b32 v15, v17, v15 :: v_dual_cndmask_b32 v14, v16, v14
	v_div_scale_f64 v[32:33], vcc_lo, v[6:7], v[4:5], v[6:7]
	v_ldexp_f64 v[14:15], v[14:15], v22
	v_mov_b32_e32 v12, 0
	s_delay_alu instid0(VALU_DEP_2) | instskip(NEXT) | instid1(VALU_DEP_3)
	v_cndmask_b32_e64 v34, 0, v14, s1
	v_cndmask_b32_e64 v35, 0x7ff80000, v15, s1
	v_and_b32_e32 v15, 0x7fffffff, v15
	s_delay_alu instid0(VALU_DEP_3) | instskip(NEXT) | instid1(VALU_DEP_3)
	v_cndmask_b32_e64 v16, v34, 0, s9
	v_cndmask_b32_e64 v17, v35, 0x7ff00000, s9
	s_delay_alu instid0(VALU_DEP_1) | instskip(NEXT) | instid1(VALU_DEP_1)
	v_frexp_mant_f64_e32 v[10:11], v[16:17]
	v_cmp_gt_f64_e64 s2, s[4:5], v[10:11]
	s_mov_b32 s4, 0x55555780
	s_delay_alu instid0(VALU_DEP_1) | instskip(NEXT) | instid1(VALU_DEP_1)
	v_cndmask_b32_e64 v13, 0x3ff00000, 2.0, s2
	v_mul_f64 v[10:11], v[10:11], v[12:13]
	s_delay_alu instid0(VALU_DEP_1) | instskip(SKIP_1) | instid1(VALU_DEP_2)
	v_add_f64 v[12:13], v[10:11], 1.0
	v_add_f64 v[22:23], v[10:11], -1.0
	v_rcp_f64_e32 v[18:19], v[12:13]
	v_add_f64 v[8:9], v[12:13], -1.0
	s_delay_alu instid0(VALU_DEP_1) | instskip(SKIP_2) | instid1(VALU_DEP_1)
	v_add_f64 v[8:9], v[10:11], -v[8:9]
	s_waitcnt_depctr 0xfff
	v_fma_f64 v[20:21], -v[12:13], v[18:19], 1.0
	v_fma_f64 v[18:19], v[20:21], v[18:19], v[18:19]
	s_delay_alu instid0(VALU_DEP_1) | instskip(NEXT) | instid1(VALU_DEP_1)
	v_fma_f64 v[20:21], -v[12:13], v[18:19], 1.0
	v_fma_f64 v[18:19], v[20:21], v[18:19], v[18:19]
	s_delay_alu instid0(VALU_DEP_1) | instskip(NEXT) | instid1(VALU_DEP_1)
	v_mul_f64 v[20:21], v[22:23], v[18:19]
	v_mul_f64 v[24:25], v[12:13], v[20:21]
	s_delay_alu instid0(VALU_DEP_1) | instskip(SKIP_1) | instid1(VALU_DEP_1)
	v_fma_f64 v[10:11], v[20:21], v[12:13], -v[24:25]
	v_rcp_f64_e32 v[12:13], v[26:27]
	v_fma_f64 v[8:9], v[20:21], v[8:9], v[10:11]
	s_waitcnt_depctr 0xfff
	v_fma_f64 v[10:11], -v[26:27], v[12:13], 1.0
	v_add_f64 v[28:29], v[24:25], v[8:9]
	s_delay_alu instid0(VALU_DEP_2) | instskip(NEXT) | instid1(VALU_DEP_2)
	v_fma_f64 v[10:11], v[12:13], v[10:11], v[12:13]
	v_add_f64 v[12:13], v[22:23], -v[28:29]
	v_add_f64 v[24:25], v[28:29], -v[24:25]
	s_delay_alu instid0(VALU_DEP_3) | instskip(NEXT) | instid1(VALU_DEP_3)
	v_fma_f64 v[30:31], -v[26:27], v[10:11], 1.0
	v_add_f64 v[22:23], v[22:23], -v[12:13]
	s_delay_alu instid0(VALU_DEP_3) | instskip(NEXT) | instid1(VALU_DEP_3)
	v_add_f64 v[8:9], v[24:25], -v[8:9]
	v_fma_f64 v[10:11], v[10:11], v[30:31], v[10:11]
	s_delay_alu instid0(VALU_DEP_3) | instskip(NEXT) | instid1(VALU_DEP_2)
	v_add_f64 v[22:23], v[22:23], -v[28:29]
	v_mul_f64 v[24:25], v[32:33], v[10:11]
	s_delay_alu instid0(VALU_DEP_2) | instskip(NEXT) | instid1(VALU_DEP_2)
	v_add_f64 v[8:9], v[8:9], v[22:23]
	v_fma_f64 v[22:23], -v[26:27], v[24:25], v[32:33]
	v_frexp_exp_i32_f64_e32 v26, v[16:17]
	s_delay_alu instid0(VALU_DEP_3) | instskip(NEXT) | instid1(VALU_DEP_3)
	v_add_f64 v[8:9], v[12:13], v[8:9]
	v_div_fmas_f64 v[10:11], v[22:23], v[10:11], v[24:25]
	s_delay_alu instid0(VALU_DEP_2) | instskip(NEXT) | instid1(VALU_DEP_2)
	v_mul_f64 v[8:9], v[18:19], v[8:9]
	v_div_fixup_f64 v[4:5], v[10:11], v[4:5], v[6:7]
	s_delay_alu instid0(VALU_DEP_2) | instskip(NEXT) | instid1(VALU_DEP_2)
	v_add_f64 v[6:7], v[20:21], v[8:9]
	v_mul_f64 v[10:11], v[4:5], v[4:5]
	s_delay_alu instid0(VALU_DEP_2) | instskip(NEXT) | instid1(VALU_DEP_2)
	v_mul_f64 v[12:13], v[6:7], v[6:7]
	v_fma_f64 v[18:19], v[10:11], s[12:13], s[10:11]
	s_mov_b32 s10, 0x6b47b09a
	s_mov_b32 s12, 0xbf559e2b
	;; [unrolled: 1-line block ×4, first 2 shown]
	s_delay_alu instid0(VALU_DEP_2) | instid1(SALU_CYCLE_1)
	v_fma_f64 v[22:23], v[12:13], s[12:13], s[10:11]
	s_mov_b32 s10, 0x69efb384
	s_mov_b32 s11, 0x3f4b2bb0
	v_mul_f64 v[24:25], v[6:7], v[12:13]
	s_delay_alu instid0(VALU_DEP_3)
	v_fma_f64 v[18:19], v[10:11], v[18:19], s[10:11]
	s_mov_b32 s10, 0xd7f4df2e
	s_mov_b32 s11, 0x3fc7474d
	s_delay_alu instid0(VALU_DEP_3) | instid1(SALU_CYCLE_1)
	v_fma_f64 v[22:23], v[12:13], v[22:23], s[10:11]
	s_mov_b32 s10, 0xaf56de9b
	s_mov_b32 s11, 0xbf67952d
	s_delay_alu instid0(VALU_DEP_2) | instid1(SALU_CYCLE_1)
	v_fma_f64 v[18:19], v[10:11], v[18:19], s[10:11]
	s_mov_b32 s10, 0x16291751
	s_mov_b32 s11, 0x3fcc71c0
	s_delay_alu instid0(VALU_DEP_2) | instid1(SALU_CYCLE_1)
	v_fma_f64 v[22:23], v[12:13], v[22:23], s[10:11]
	s_mov_b32 s10, 0xa595c56f
	s_mov_b32 s11, 0x3f7d6d43
	s_delay_alu instid0(VALU_DEP_2) | instid1(SALU_CYCLE_1)
	v_fma_f64 v[18:19], v[10:11], v[18:19], s[10:11]
	s_mov_b32 s10, 0x9b27acf1
	s_mov_b32 s11, 0x3fd24924
	s_delay_alu instid0(VALU_DEP_2) | instid1(SALU_CYCLE_1)
	v_fma_f64 v[22:23], v[12:13], v[22:23], s[10:11]
	s_mov_b32 s10, 0xa57d9582
	s_mov_b32 s11, 0xbf8c6ea4
	s_delay_alu instid0(VALU_DEP_2) | instid1(SALU_CYCLE_1)
	v_fma_f64 v[18:19], v[10:11], v[18:19], s[10:11]
	s_mov_b32 s10, 0x998ef7b6
	s_mov_b32 s11, 0x3fd99999
	s_delay_alu instid0(VALU_DEP_2) | instid1(SALU_CYCLE_1)
	v_fma_f64 v[22:23], v[12:13], v[22:23], s[10:11]
	s_mov_b32 s10, 0x5f08b19f
	s_mov_b32 s11, 0x3f967e29
	s_delay_alu instid0(VALU_DEP_2) | instid1(SALU_CYCLE_1)
	v_fma_f64 v[18:19], v[10:11], v[18:19], s[10:11]
	s_mov_b32 s10, 0x6ef28734
	s_mov_b32 s11, 0x3fa82d5d
	s_delay_alu instid0(VALU_DEP_2) | instskip(SKIP_3) | instid1(VALU_DEP_3)
	v_fma_f64 v[12:13], v[12:13], v[22:23], s[4:5]
	s_mov_b32 s4, 0xfc27006a
	s_mov_b32 s5, 0xbf9e9ae6
	v_ldexp_f64 v[22:23], v[6:7], 1
	v_fma_f64 v[18:19], v[10:11], v[18:19], s[4:5]
	s_mov_b32 s4, 0x5711927a
	s_mov_b32 s5, 0x3fa2c15b
	v_add_f64 v[6:7], v[6:7], -v[20:21]
	s_delay_alu instid0(VALU_DEP_4) | instskip(SKIP_4) | instid1(VALU_DEP_3)
	v_mul_f64 v[12:13], v[24:25], v[12:13]
	v_subrev_co_ci_u32_e64 v24, vcc_lo, 0, v26, s2
	v_cmp_eq_f64_e32 vcc_lo, 0x7ff00000, v[14:15]
	v_fma_f64 v[18:19], v[10:11], v[18:19], s[4:5]
	s_mov_b32 s4, 0xe82d3ff0
	v_cvt_f64_i32_e32 v[24:25], v24
	s_mov_b32 s5, 0xbfa59976
	v_add_f64 v[6:7], v[8:9], -v[6:7]
	v_cmp_eq_f64_e64 s2, 0, v[0:1]
	v_add_f64 v[20:21], v[22:23], v[12:13]
	s_and_b32 vcc_lo, s1, vcc_lo
	v_fma_f64 v[18:19], v[10:11], v[18:19], s[4:5]
	s_mov_b32 s4, 0xfefa39ef
	s_mov_b32 s5, 0x3fe62e42
	s_delay_alu instid0(SALU_CYCLE_1) | instskip(SKIP_1) | instid1(VALU_DEP_4)
	v_mul_f64 v[26:27], v[24:25], s[4:5]
	v_ldexp_f64 v[6:7], v[6:7], 1
	v_add_f64 v[8:9], v[20:21], -v[22:23]
	s_delay_alu instid0(VALU_DEP_4) | instskip(NEXT) | instid1(VALU_DEP_4)
	v_fma_f64 v[18:19], v[10:11], v[18:19], s[10:11]
	v_fma_f64 v[22:23], v[24:25], s[4:5], -v[26:27]
	s_mov_b32 s4, 0x6a214619
	s_mov_b32 s5, 0xbfaae5ce
	s_delay_alu instid0(VALU_DEP_3) | instskip(NEXT) | instid1(VALU_DEP_3)
	v_add_f64 v[8:9], v[12:13], -v[8:9]
	v_fma_f64 v[12:13], v[10:11], v[18:19], s[4:5]
	s_mov_b32 s4, 0x3b39803f
	s_mov_b32 s5, 0x3c7abc9e
	s_delay_alu instid0(VALU_DEP_3) | instid1(SALU_CYCLE_1)
	v_fma_f64 v[18:19], v[24:25], s[4:5], v[22:23]
	s_mov_b32 s4, 0x8427b883
	s_mov_b32 s5, 0x3fae1bb4
	s_delay_alu instid0(VALU_DEP_3) | instskip(NEXT) | instid1(VALU_DEP_3)
	v_add_f64 v[6:7], v[6:7], v[8:9]
	v_fma_f64 v[8:9], v[10:11], v[12:13], s[4:5]
	s_mov_b32 s4, 0x8b207f05
	s_mov_b32 s5, 0xbfb110e4
	s_delay_alu instid0(VALU_DEP_3) | instskip(NEXT) | instid1(VALU_DEP_3)
	v_add_f64 v[12:13], v[26:27], v[18:19]
	v_add_f64 v[22:23], v[20:21], v[6:7]
	s_delay_alu instid0(VALU_DEP_3) | instskip(SKIP_2) | instid1(VALU_DEP_3)
	v_fma_f64 v[8:9], v[10:11], v[8:9], s[4:5]
	s_mov_b32 s4, 0x57b87036
	s_mov_b32 s5, 0x3fb3b136
	v_add_f64 v[26:27], v[12:13], -v[26:27]
	s_delay_alu instid0(VALU_DEP_3) | instskip(SKIP_1) | instid1(VALU_DEP_4)
	v_add_f64 v[24:25], v[12:13], v[22:23]
	v_add_f64 v[20:21], v[22:23], -v[20:21]
	v_fma_f64 v[8:9], v[10:11], v[8:9], s[4:5]
	s_mov_b32 s4, 0x19378e4f
	s_mov_b32 s5, 0xbfb745d1
	s_delay_alu instid0(VALU_DEP_4) | instskip(NEXT) | instid1(VALU_DEP_4)
	v_add_f64 v[18:19], v[18:19], -v[26:27]
	v_add_f64 v[28:29], v[24:25], -v[12:13]
	s_delay_alu instid0(VALU_DEP_4) | instskip(NEXT) | instid1(VALU_DEP_4)
	v_add_f64 v[6:7], v[6:7], -v[20:21]
	v_fma_f64 v[8:9], v[10:11], v[8:9], s[4:5]
	s_mov_b32 s4, 0x17e1913c
	s_mov_b32 s5, 0x3fbc71c7
	s_delay_alu instid0(VALU_DEP_3) | instskip(SKIP_1) | instid1(VALU_DEP_4)
	v_add_f64 v[30:31], v[24:25], -v[28:29]
	v_add_f64 v[20:21], v[22:23], -v[28:29]
	v_add_f64 v[22:23], v[18:19], v[6:7]
	s_delay_alu instid0(VALU_DEP_4) | instskip(SKIP_2) | instid1(VALU_DEP_4)
	v_fma_f64 v[8:9], v[10:11], v[8:9], s[4:5]
	s_mov_b32 s4, 0x92376b7d
	s_mov_b32 s5, 0xbfc24924
	v_add_f64 v[12:13], v[12:13], -v[30:31]
	s_delay_alu instid0(VALU_DEP_2) | instskip(SKIP_2) | instid1(VALU_DEP_2)
	v_fma_f64 v[8:9], v[10:11], v[8:9], s[4:5]
	s_mov_b32 s4, 0x999952cc
	s_mov_b32 s5, 0x3fc99999
	v_add_f64 v[12:13], v[20:21], v[12:13]
	v_add_f64 v[20:21], v[22:23], -v[18:19]
	s_delay_alu instid0(VALU_DEP_3) | instskip(SKIP_2) | instid1(VALU_DEP_3)
	v_fma_f64 v[8:9], v[10:11], v[8:9], s[4:5]
	s_mov_b32 s4, 0x55555523
	s_mov_b32 s5, 0xbfd55555
	v_add_f64 v[12:13], v[22:23], v[12:13]
	s_delay_alu instid0(VALU_DEP_3) | instskip(SKIP_1) | instid1(VALU_DEP_4)
	v_add_f64 v[22:23], v[22:23], -v[20:21]
	v_add_f64 v[6:7], v[6:7], -v[20:21]
	v_fma_f64 v[8:9], v[10:11], v[8:9], s[4:5]
	s_mov_b32 s4, 0x54442d18
	s_mov_b32 s5, 0x3ff921fb
	s_delay_alu instid0(VALU_DEP_4) | instskip(NEXT) | instid1(VALU_DEP_2)
	v_add_f64 v[26:27], v[24:25], v[12:13]
	v_mul_f64 v[8:9], v[10:11], v[8:9]
	v_add_f64 v[10:11], v[18:19], -v[22:23]
	s_delay_alu instid0(VALU_DEP_3) | instskip(NEXT) | instid1(VALU_DEP_3)
	v_add_f64 v[18:19], v[26:27], -v[24:25]
	v_fma_f64 v[4:5], v[4:5], v[8:9], v[4:5]
	s_delay_alu instid0(VALU_DEP_3) | instskip(NEXT) | instid1(VALU_DEP_3)
	v_add_f64 v[6:7], v[6:7], v[10:11]
	v_add_f64 v[8:9], v[12:13], -v[18:19]
	s_delay_alu instid0(VALU_DEP_3) | instskip(SKIP_1) | instid1(VALU_DEP_2)
	v_add_f64 v[10:11], -v[4:5], s[4:5]
	s_mov_b32 s5, 0x400921fb
	v_add_f64 v[6:7], v[6:7], v[8:9]
	s_delay_alu instid0(VALU_DEP_2) | instskip(NEXT) | instid1(VALU_DEP_3)
	v_cndmask_b32_e64 v5, v5, v11, s0
	v_cndmask_b32_e64 v4, v4, v10, s0
	v_cmp_gt_i32_e64 s0, 0, v3
	v_ashrrev_i32_e32 v11, 31, v3
	s_delay_alu instid0(VALU_DEP_3)
	v_add_f64 v[8:9], -v[4:5], s[4:5]
	v_cmp_class_f64_e64 s4, v[0:1], 0x204
	v_cmp_class_f64_e64 s5, v[2:3], 0x204
	v_add_f64 v[6:7], v[26:27], v[6:7]
	v_mov_b32_e32 v10, 0x7f3321d2
	v_cndmask_b32_e64 v9, v5, v9, s0
	v_mov_b32_e32 v5, 0x4002d97c
	v_cndmask_b32_e64 v8, v4, v8, s0
	v_dual_cndmask_b32 v6, v6, v34 :: v_dual_cndmask_b32 v7, v7, v35
	s_delay_alu instid0(VALU_DEP_3)
	v_cndmask_b32_e64 v13, 0x3fe921fb, v5, s0
	v_cndmask_b32_e64 v10, 0x54442d18, v10, s0
	v_cmp_ngt_f64_e64 s0, 0, v[16:17]
	s_and_b32 vcc_lo, s4, s5
	v_add_f64 v[4:5], v[6:7], 1.0
	v_and_b32_e32 v12, 0x400921fb, v11
	v_and_b32_e32 v11, 0x54442d18, v11
	s_delay_alu instid0(VALU_DEP_1) | instskip(SKIP_1) | instid1(VALU_DEP_2)
	v_cndmask_b32_e64 v7, v8, v11, s2
	v_bfi_b32 v8, 0x7fffffff, v13, v1
	v_cndmask_b32_e32 v7, v7, v10, vcc_lo
	v_cndmask_b32_e64 v6, v9, v12, s2
	s_delay_alu instid0(VALU_DEP_1) | instskip(SKIP_3) | instid1(VALU_DEP_2)
	v_cndmask_b32_e32 v6, v6, v8, vcc_lo
	v_cmp_o_f64_e32 vcc_lo, v[2:3], v[0:1]
	v_cndmask_b32_e64 v5, v5, 0x7ff00000, s9
	v_cndmask_b32_e64 v4, v4, 0, s9
	;; [unrolled: 1-line block ×3, first 2 shown]
	v_cmp_nge_f64_e64 s0, 0, v[16:17]
	v_cndmask_b32_e32 v11, 0x7ff80000, v6, vcc_lo
	v_cndmask_b32_e32 v10, 0, v7, vcc_lo
	s_delay_alu instid0(VALU_DEP_3) | instskip(SKIP_1) | instid1(VALU_DEP_1)
	v_cndmask_b32_e64 v12, 0, v4, s0
	v_cmp_neq_f64_e64 s0, 0, v[16:17]
	v_cndmask_b32_e64 v13, 0xfff00000, v5, s0
.LBB55_75:
	s_or_b32 exec_lo, exec_lo, s3
	v_bfi_b32 v11, 0x7fffffff, v11, v1
                                        ; implicit-def: $vgpr6_vgpr7
                                        ; implicit-def: $vgpr16
.LBB55_76:
	s_and_not1_saveexec_b32 s8, s8
	s_cbranch_execz .LBB55_86
; %bb.77:
	v_cmp_gt_f64_e64 s0, |v[0:1]|, -v[2:3]
	v_xor_b32_e32 v5, 0x80000000, v3
	s_waitcnt lgkmcnt(0)
	v_mov_b32_e32 v4, v2
	s_mov_b32 s2, -1
	s_mov_b32 s3, 0x7fdfffff
                                        ; implicit-def: $vgpr12_vgpr13
                                        ; implicit-def: $vgpr10_vgpr11
	s_mov_b32 s1, exec_lo
	s_delay_alu instid0(VALU_DEP_3) | instskip(SKIP_1) | instid1(VALU_DEP_1)
	v_cndmask_b32_e64 v9, v5, v16, s0
	v_cndmask_b32_e64 v8, v4, v0, s0
	v_cmpx_nlt_f64_e32 s[2:3], v[8:9]
	s_xor_b32 s9, exec_lo, s1
	s_cbranch_execz .LBB55_83
; %bb.78:
	v_cndmask_b32_e64 v15, v16, v5, s0
	v_cndmask_b32_e64 v14, v0, v4, s0
	v_cmp_nlt_f64_e32 vcc_lo, 0x20200000, v[8:9]
                                        ; implicit-def: $vgpr12_vgpr13
                                        ; implicit-def: $vgpr10_vgpr11
	s_delay_alu instid0(VALU_DEP_2) | instskip(NEXT) | instid1(VALU_DEP_1)
	v_cmp_ngt_f64_e64 s1, 0x20000000, v[14:15]
	s_and_b32 s1, vcc_lo, s1
	s_delay_alu instid0(SALU_CYCLE_1) | instskip(NEXT) | instid1(SALU_CYCLE_1)
	s_and_saveexec_b32 s2, s1
	s_xor_b32 s4, exec_lo, s2
	s_cbranch_execz .LBB55_80
; %bb.79:
	v_mul_f64 v[10:11], v[14:15], v[14:15]
	s_mov_b32 s3, 0x3fe55555
	s_mov_b32 s2, 0x55555555
	v_mov_b32_e32 v12, 0
	v_max_f64 v[18:19], -v[2:3], -v[2:3]
	s_mov_b32 s10, 0xbd3237f4
	s_mov_b32 s12, 0xb5e68a13
	;; [unrolled: 1-line block ×4, first 2 shown]
	v_cmp_class_f64_e64 s5, v[0:1], 0x204
	s_delay_alu instid0(VALU_DEP_4) | instskip(NEXT) | instid1(VALU_DEP_1)
	v_fma_f64 v[8:9], v[8:9], v[8:9], v[10:11]
	v_frexp_mant_f64_e32 v[10:11], v[8:9]
	v_frexp_exp_i32_f64_e32 v4, v[8:9]
	s_delay_alu instid0(VALU_DEP_2) | instskip(SKIP_1) | instid1(VALU_DEP_1)
	v_cmp_gt_f64_e64 s1, s[2:3], v[10:11]
	s_mov_b32 s2, 0x55555780
	v_cndmask_b32_e64 v13, 0x3ff00000, 2.0, s1
	s_delay_alu instid0(VALU_DEP_1) | instskip(NEXT) | instid1(VALU_DEP_1)
	v_mul_f64 v[10:11], v[10:11], v[12:13]
	v_add_f64 v[12:13], v[10:11], 1.0
	v_add_f64 v[20:21], v[10:11], -1.0
	s_delay_alu instid0(VALU_DEP_2) | instskip(SKIP_1) | instid1(VALU_DEP_1)
	v_rcp_f64_e32 v[14:15], v[12:13]
	v_add_f64 v[24:25], v[12:13], -1.0
	v_add_f64 v[10:11], v[10:11], -v[24:25]
	s_waitcnt_depctr 0xfff
	v_fma_f64 v[16:17], -v[12:13], v[14:15], 1.0
	s_delay_alu instid0(VALU_DEP_1) | instskip(NEXT) | instid1(VALU_DEP_1)
	v_fma_f64 v[14:15], v[16:17], v[14:15], v[14:15]
	v_fma_f64 v[16:17], -v[12:13], v[14:15], 1.0
	s_delay_alu instid0(VALU_DEP_1) | instskip(SKIP_2) | instid1(VALU_DEP_3)
	v_fma_f64 v[14:15], v[16:17], v[14:15], v[14:15]
	v_max_f64 v[16:17], v[18:19], v[6:7]
	v_min_f64 v[6:7], v[18:19], v[6:7]
	v_mul_f64 v[18:19], v[20:21], v[14:15]
	s_delay_alu instid0(VALU_DEP_2) | instskip(SKIP_1) | instid1(VALU_DEP_3)
	v_div_scale_f64 v[22:23], null, v[16:17], v[16:17], v[6:7]
	v_div_scale_f64 v[32:33], vcc_lo, v[6:7], v[16:17], v[6:7]
	v_mul_f64 v[26:27], v[12:13], v[18:19]
	s_delay_alu instid0(VALU_DEP_3) | instskip(NEXT) | instid1(VALU_DEP_1)
	v_rcp_f64_e32 v[28:29], v[22:23]
	v_fma_f64 v[12:13], v[18:19], v[12:13], -v[26:27]
	s_waitcnt_depctr 0xfff
	v_fma_f64 v[24:25], -v[22:23], v[28:29], 1.0
	v_fma_f64 v[10:11], v[18:19], v[10:11], v[12:13]
	s_delay_alu instid0(VALU_DEP_2) | instskip(NEXT) | instid1(VALU_DEP_2)
	v_fma_f64 v[12:13], v[28:29], v[24:25], v[28:29]
	v_add_f64 v[24:25], v[26:27], v[10:11]
	s_delay_alu instid0(VALU_DEP_2) | instskip(NEXT) | instid1(VALU_DEP_2)
	v_fma_f64 v[28:29], -v[22:23], v[12:13], 1.0
	v_add_f64 v[30:31], v[20:21], -v[24:25]
	v_add_f64 v[26:27], v[24:25], -v[26:27]
	s_delay_alu instid0(VALU_DEP_3) | instskip(NEXT) | instid1(VALU_DEP_3)
	v_fma_f64 v[12:13], v[12:13], v[28:29], v[12:13]
	v_add_f64 v[20:21], v[20:21], -v[30:31]
	s_delay_alu instid0(VALU_DEP_3) | instskip(NEXT) | instid1(VALU_DEP_3)
	v_add_f64 v[10:11], v[26:27], -v[10:11]
	v_mul_f64 v[28:29], v[32:33], v[12:13]
	s_delay_alu instid0(VALU_DEP_3) | instskip(NEXT) | instid1(VALU_DEP_2)
	v_add_f64 v[20:21], v[20:21], -v[24:25]
	v_fma_f64 v[22:23], -v[22:23], v[28:29], v[32:33]
	s_delay_alu instid0(VALU_DEP_2) | instskip(NEXT) | instid1(VALU_DEP_2)
	v_add_f64 v[10:11], v[10:11], v[20:21]
	v_div_fmas_f64 v[12:13], v[22:23], v[12:13], v[28:29]
	v_subrev_co_ci_u32_e64 v4, vcc_lo, 0, v4, s1
	v_cmp_gt_i32_e32 vcc_lo, 0, v5
	v_cmp_eq_f64_e64 s1, 0, v[0:1]
	v_add_f64 v[10:11], v[30:31], v[10:11]
	v_div_fixup_f64 v[6:7], v[12:13], v[16:17], v[6:7]
	s_delay_alu instid0(VALU_DEP_2) | instskip(NEXT) | instid1(VALU_DEP_2)
	v_mul_f64 v[10:11], v[14:15], v[10:11]
	v_mul_f64 v[12:13], v[6:7], v[6:7]
	s_delay_alu instid0(VALU_DEP_2) | instskip(NEXT) | instid1(VALU_DEP_2)
	v_add_f64 v[14:15], v[18:19], v[10:11]
	v_fma_f64 v[16:17], v[12:13], s[12:13], s[10:11]
	s_mov_b32 s10, 0x69efb384
	s_mov_b32 s11, 0x3f4b2bb0
	;; [unrolled: 1-line block ×4, first 2 shown]
	s_delay_alu instid0(VALU_DEP_2) | instskip(NEXT) | instid1(VALU_DEP_2)
	v_mul_f64 v[20:21], v[14:15], v[14:15]
	v_fma_f64 v[16:17], v[12:13], v[16:17], s[10:11]
	s_mov_b32 s10, 0x6b47b09a
	s_mov_b32 s11, 0x3fc38538
	s_delay_alu instid0(VALU_DEP_2) | instid1(SALU_CYCLE_1)
	v_fma_f64 v[22:23], v[20:21], s[12:13], s[10:11]
	s_mov_b32 s10, 0xaf56de9b
	s_mov_b32 s11, 0xbf67952d
	v_mul_f64 v[24:25], v[14:15], v[20:21]
	s_delay_alu instid0(VALU_DEP_3)
	v_fma_f64 v[16:17], v[12:13], v[16:17], s[10:11]
	s_mov_b32 s10, 0xd7f4df2e
	s_mov_b32 s11, 0x3fc7474d
	s_delay_alu instid0(VALU_DEP_3) | instid1(SALU_CYCLE_1)
	v_fma_f64 v[22:23], v[20:21], v[22:23], s[10:11]
	s_mov_b32 s10, 0xa595c56f
	s_mov_b32 s11, 0x3f7d6d43
	s_delay_alu instid0(VALU_DEP_2) | instid1(SALU_CYCLE_1)
	v_fma_f64 v[16:17], v[12:13], v[16:17], s[10:11]
	s_mov_b32 s10, 0x16291751
	s_mov_b32 s11, 0x3fcc71c0
	s_delay_alu instid0(VALU_DEP_2) | instid1(SALU_CYCLE_1)
	;; [unrolled: 4-line block ×7, first 2 shown]
	v_fma_f64 v[16:17], v[12:13], v[16:17], s[10:11]
	s_mov_b32 s10, 0x6a214619
	s_mov_b32 s11, 0xbfaae5ce
	s_delay_alu instid0(VALU_DEP_2) | instskip(SKIP_3) | instid1(VALU_DEP_3)
	v_fma_f64 v[20:21], v[20:21], v[22:23], s[2:3]
	s_mov_b32 s2, 0x5711927a
	s_mov_b32 s3, 0x3fa2c15b
	v_ldexp_f64 v[22:23], v[14:15], 1
	v_fma_f64 v[16:17], v[12:13], v[16:17], s[2:3]
	s_mov_b32 s2, 0xe82d3ff0
	s_mov_b32 s3, 0xbfa59976
	v_add_f64 v[14:15], v[14:15], -v[18:19]
	s_delay_alu instid0(VALU_DEP_4) | instskip(SKIP_1) | instid1(VALU_DEP_4)
	v_mul_f64 v[20:21], v[24:25], v[20:21]
	v_cvt_f64_i32_e32 v[24:25], v4
	v_fma_f64 v[16:17], v[12:13], v[16:17], s[2:3]
	s_mov_b32 s2, 0x6ef28734
	s_mov_b32 s3, 0x3fa82d5d
	s_delay_alu instid0(VALU_DEP_4) | instskip(NEXT) | instid1(VALU_DEP_4)
	v_add_f64 v[10:11], v[10:11], -v[14:15]
	v_add_f64 v[18:19], v[22:23], v[20:21]
	s_delay_alu instid0(VALU_DEP_3) | instskip(SKIP_2) | instid1(VALU_DEP_3)
	v_fma_f64 v[16:17], v[12:13], v[16:17], s[2:3]
	s_mov_b32 s2, 0xfefa39ef
	s_mov_b32 s3, 0x3fe62e42
	v_ldexp_f64 v[10:11], v[10:11], 1
	v_mul_f64 v[26:27], v[24:25], s[2:3]
	s_delay_alu instid0(VALU_DEP_4) | instskip(NEXT) | instid1(VALU_DEP_4)
	v_add_f64 v[14:15], v[18:19], -v[22:23]
	v_fma_f64 v[16:17], v[12:13], v[16:17], s[10:11]
	s_delay_alu instid0(VALU_DEP_3) | instskip(SKIP_2) | instid1(VALU_DEP_3)
	v_fma_f64 v[22:23], v[24:25], s[2:3], -v[26:27]
	s_mov_b32 s2, 0x8427b883
	s_mov_b32 s3, 0x3fae1bb4
	v_add_f64 v[14:15], v[20:21], -v[14:15]
	s_delay_alu instid0(VALU_DEP_3)
	v_fma_f64 v[16:17], v[12:13], v[16:17], s[2:3]
	s_mov_b32 s2, 0x3b39803f
	s_mov_b32 s3, 0x3c7abc9e
	s_delay_alu instid0(VALU_DEP_3) | instid1(SALU_CYCLE_1)
	v_fma_f64 v[20:21], v[24:25], s[2:3], v[22:23]
	s_mov_b32 s2, 0x8b207f05
	s_mov_b32 s3, 0xbfb110e4
	s_delay_alu instid0(VALU_DEP_3) | instskip(NEXT) | instid1(VALU_DEP_3)
	v_add_f64 v[10:11], v[10:11], v[14:15]
	v_fma_f64 v[14:15], v[12:13], v[16:17], s[2:3]
	s_mov_b32 s2, 0x57b87036
	s_mov_b32 s3, 0x3fb3b136
	s_delay_alu instid0(VALU_DEP_3) | instskip(NEXT) | instid1(VALU_DEP_3)
	v_add_f64 v[16:17], v[26:27], v[20:21]
	v_add_f64 v[22:23], v[18:19], v[10:11]
	s_delay_alu instid0(VALU_DEP_3) | instskip(SKIP_2) | instid1(VALU_DEP_3)
	v_fma_f64 v[14:15], v[12:13], v[14:15], s[2:3]
	s_mov_b32 s2, 0x19378e4f
	s_mov_b32 s3, 0xbfb745d1
	v_add_f64 v[26:27], v[16:17], -v[26:27]
	s_delay_alu instid0(VALU_DEP_3) | instskip(SKIP_1) | instid1(VALU_DEP_4)
	v_add_f64 v[24:25], v[16:17], v[22:23]
	v_add_f64 v[18:19], v[22:23], -v[18:19]
	v_fma_f64 v[14:15], v[12:13], v[14:15], s[2:3]
	s_mov_b32 s2, 0x17e1913c
	s_mov_b32 s3, 0x3fbc71c7
	s_delay_alu instid0(VALU_DEP_4) | instskip(NEXT) | instid1(VALU_DEP_4)
	v_add_f64 v[20:21], v[20:21], -v[26:27]
	v_add_f64 v[28:29], v[24:25], -v[16:17]
	s_delay_alu instid0(VALU_DEP_4) | instskip(NEXT) | instid1(VALU_DEP_4)
	v_add_f64 v[10:11], v[10:11], -v[18:19]
	v_fma_f64 v[14:15], v[12:13], v[14:15], s[2:3]
	s_mov_b32 s2, 0x92376b7d
	s_mov_b32 s3, 0xbfc24924
	s_delay_alu instid0(VALU_DEP_3) | instskip(SKIP_1) | instid1(VALU_DEP_4)
	v_add_f64 v[30:31], v[24:25], -v[28:29]
	v_add_f64 v[18:19], v[22:23], -v[28:29]
	v_add_f64 v[22:23], v[20:21], v[10:11]
	s_delay_alu instid0(VALU_DEP_4) | instskip(SKIP_2) | instid1(VALU_DEP_4)
	v_fma_f64 v[14:15], v[12:13], v[14:15], s[2:3]
	s_mov_b32 s2, 0x999952cc
	s_mov_b32 s3, 0x3fc99999
	v_add_f64 v[16:17], v[16:17], -v[30:31]
	s_delay_alu instid0(VALU_DEP_2) | instskip(SKIP_2) | instid1(VALU_DEP_2)
	v_fma_f64 v[14:15], v[12:13], v[14:15], s[2:3]
	s_mov_b32 s2, 0x55555523
	s_mov_b32 s3, 0xbfd55555
	v_add_f64 v[16:17], v[18:19], v[16:17]
	v_add_f64 v[18:19], v[22:23], -v[20:21]
	s_delay_alu instid0(VALU_DEP_3) | instskip(SKIP_2) | instid1(VALU_DEP_3)
	v_fma_f64 v[14:15], v[12:13], v[14:15], s[2:3]
	s_mov_b32 s2, 0x54442d18
	s_mov_b32 s3, 0x3ff921fb
	v_add_f64 v[16:17], v[22:23], v[16:17]
	s_delay_alu instid0(VALU_DEP_3) | instskip(NEXT) | instid1(VALU_DEP_3)
	v_add_f64 v[10:11], v[10:11], -v[18:19]
	v_mul_f64 v[12:13], v[12:13], v[14:15]
	v_add_f64 v[14:15], v[22:23], -v[18:19]
	s_delay_alu instid0(VALU_DEP_4) | instskip(NEXT) | instid1(VALU_DEP_3)
	v_add_f64 v[22:23], v[24:25], v[16:17]
	v_fma_f64 v[6:7], v[6:7], v[12:13], v[6:7]
	s_delay_alu instid0(VALU_DEP_3) | instskip(NEXT) | instid1(VALU_DEP_3)
	v_add_f64 v[12:13], v[20:21], -v[14:15]
	v_add_f64 v[14:15], v[22:23], -v[24:25]
	s_delay_alu instid0(VALU_DEP_3) | instskip(NEXT) | instid1(VALU_DEP_3)
	v_add_f64 v[18:19], -v[6:7], s[2:3]
	v_add_f64 v[10:11], v[10:11], v[12:13]
	s_mov_b32 s3, 0x400921fb
	s_delay_alu instid0(VALU_DEP_3) | instskip(NEXT) | instid1(VALU_DEP_3)
	v_add_f64 v[12:13], v[16:17], -v[14:15]
	v_cndmask_b32_e64 v7, v7, v19, s0
	s_delay_alu instid0(VALU_DEP_4) | instskip(NEXT) | instid1(VALU_DEP_1)
	v_cndmask_b32_e64 v6, v6, v18, s0
	v_add_f64 v[14:15], -v[6:7], s[2:3]
	v_mov_b32_e32 v4, 0x7f3321d2
	v_cmp_eq_f64_e64 s3, 0xfff00000, v[2:3]
	v_cmp_class_f64_e64 s2, v[8:9], 0x204
	v_add_f64 v[10:11], v[10:11], v[12:13]
	v_ashrrev_i32_e32 v12, 31, v5
	v_cndmask_b32_e32 v7, v7, v15, vcc_lo
	v_cndmask_b32_e32 v13, 0x54442d18, v4, vcc_lo
	;; [unrolled: 1-line block ×3, first 2 shown]
	v_add_f64 v[4:5], v[22:23], v[10:11]
	v_mov_b32_e32 v10, 0x4002d97c
	v_xor_b32_e32 v11, 0x80000000, v1
	s_delay_alu instid0(VALU_DEP_2) | instskip(SKIP_1) | instid1(VALU_DEP_1)
	v_cndmask_b32_e32 v10, 0x3fe921fb, v10, vcc_lo
	s_and_b32 vcc_lo, s3, s5
	v_bfi_b32 v10, 0x7fffffff, v10, v11
	v_and_b32_e32 v16, 0x400921fb, v12
	v_and_b32_e32 v12, 0x54442d18, v12
	s_delay_alu instid0(VALU_DEP_2) | instskip(NEXT) | instid1(VALU_DEP_2)
	v_cndmask_b32_e64 v7, v7, v16, s1
	v_cndmask_b32_e64 v6, v6, v12, s1
	v_cmp_o_f64_e64 s1, v[2:3], v[0:1]
	s_delay_alu instid0(VALU_DEP_2) | instskip(SKIP_3) | instid1(VALU_DEP_1)
	v_dual_cndmask_b32 v7, v7, v10 :: v_dual_cndmask_b32 v6, v6, v13
	v_cmp_neq_f64_e32 vcc_lo, 0, v[8:9]
	v_cndmask_b32_e64 v5, v5, v9, s2
	v_cndmask_b32_e64 v4, v4, v8, s2
	v_mul_f64 v[4:5], v[4:5], 0.5
	v_cndmask_b32_e64 v11, 0x7ff80000, v7, s1
	v_cndmask_b32_e64 v10, 0, v6, s1
                                        ; implicit-def: $vgpr6_vgpr7
	s_delay_alu instid0(VALU_DEP_3) | instskip(NEXT) | instid1(VALU_DEP_4)
	v_cndmask_b32_e32 v13, 0xfff00000, v5, vcc_lo
	v_cndmask_b32_e32 v12, 0, v4, vcc_lo
                                        ; implicit-def: $vgpr4_vgpr5
.LBB55_80:
	s_and_not1_saveexec_b32 s10, s4
	s_cbranch_execz .LBB55_82
; %bb.81:
	v_max_f64 v[8:9], -v[2:3], -v[2:3]
	v_cmp_o_f64_e64 s1, v[2:3], v[0:1]
	v_cmp_eq_f64_e64 s2, 0xfff00000, v[2:3]
	v_cmp_class_f64_e64 s12, v[0:1], 0x204
	s_mov_b32 s5, 0x3fe55555
	s_mov_b32 s4, 0x55555555
	;; [unrolled: 1-line block ×6, first 2 shown]
	s_delay_alu instid0(VALU_DEP_4) | instskip(SKIP_1) | instid1(VALU_DEP_3)
	v_max_f64 v[10:11], v[8:9], v[6:7]
	v_min_f64 v[6:7], v[8:9], v[6:7]
	s_or_b32 s11, s2, s12
	s_delay_alu instid0(VALU_DEP_2) | instskip(NEXT) | instid1(VALU_DEP_1)
	v_frexp_exp_i32_f64_e32 v4, v[10:11]
	v_sub_nc_u32_e32 v14, 0, v4
	s_delay_alu instid0(VALU_DEP_1) | instskip(SKIP_1) | instid1(VALU_DEP_2)
	v_ldexp_f64 v[12:13], |v[0:1]|, v14
	v_ldexp_f64 v[14:15], -v[2:3], v14
	v_mul_f64 v[12:13], v[12:13], v[12:13]
	s_delay_alu instid0(VALU_DEP_1) | instskip(NEXT) | instid1(VALU_DEP_1)
	v_fma_f64 v[12:13], v[14:15], v[14:15], v[12:13]
	v_rsq_f64_e32 v[14:15], v[12:13]
	v_cmp_eq_f64_e32 vcc_lo, 0, v[12:13]
	s_waitcnt_depctr 0xfff
	v_mul_f64 v[16:17], v[12:13], v[14:15]
	v_mul_f64 v[14:15], v[14:15], 0.5
	s_delay_alu instid0(VALU_DEP_1) | instskip(NEXT) | instid1(VALU_DEP_1)
	v_fma_f64 v[18:19], -v[14:15], v[16:17], 0.5
	v_fma_f64 v[16:17], v[16:17], v[18:19], v[16:17]
	v_fma_f64 v[14:15], v[14:15], v[18:19], v[14:15]
	s_delay_alu instid0(VALU_DEP_2) | instskip(NEXT) | instid1(VALU_DEP_1)
	v_fma_f64 v[18:19], -v[16:17], v[16:17], v[12:13]
	v_fma_f64 v[14:15], v[18:19], v[14:15], v[16:17]
	s_delay_alu instid0(VALU_DEP_1) | instskip(SKIP_1) | instid1(VALU_DEP_2)
	v_dual_cndmask_b32 v13, v15, v13 :: v_dual_cndmask_b32 v12, v14, v12
	v_div_scale_f64 v[34:35], vcc_lo, v[6:7], v[10:11], v[6:7]
	v_ldexp_f64 v[12:13], v[12:13], v4
	v_mov_b32_e32 v18, 0
	s_delay_alu instid0(VALU_DEP_2) | instskip(NEXT) | instid1(VALU_DEP_3)
	v_cndmask_b32_e64 v36, 0, v12, s1
	v_cndmask_b32_e64 v37, 0x7ff80000, v13, s1
	v_and_b32_e32 v13, 0x7fffffff, v13
	s_delay_alu instid0(VALU_DEP_3) | instskip(NEXT) | instid1(VALU_DEP_3)
	v_cndmask_b32_e64 v14, v36, 0, s11
	v_cndmask_b32_e64 v15, v37, 0x7ff00000, s11
	s_delay_alu instid0(VALU_DEP_1) | instskip(SKIP_1) | instid1(VALU_DEP_2)
	v_frexp_mant_f64_e32 v[16:17], v[14:15]
	v_frexp_exp_i32_f64_e32 v4, v[14:15]
	v_cmp_gt_f64_e64 s3, s[4:5], v[16:17]
	s_mov_b32 s4, 0x55555780
	s_delay_alu instid0(VALU_DEP_1) | instskip(NEXT) | instid1(VALU_DEP_1)
	v_cndmask_b32_e64 v19, 0x3ff00000, 2.0, s3
	v_mul_f64 v[16:17], v[16:17], v[18:19]
	s_delay_alu instid0(VALU_DEP_1) | instskip(SKIP_1) | instid1(VALU_DEP_2)
	v_add_f64 v[18:19], v[16:17], 1.0
	v_add_f64 v[24:25], v[16:17], -1.0
	v_rcp_f64_e32 v[20:21], v[18:19]
	v_add_f64 v[26:27], v[18:19], -1.0
	s_delay_alu instid0(VALU_DEP_1) | instskip(SKIP_2) | instid1(VALU_DEP_1)
	v_add_f64 v[16:17], v[16:17], -v[26:27]
	s_waitcnt_depctr 0xfff
	v_fma_f64 v[22:23], -v[18:19], v[20:21], 1.0
	v_fma_f64 v[20:21], v[22:23], v[20:21], v[20:21]
	s_delay_alu instid0(VALU_DEP_1) | instskip(NEXT) | instid1(VALU_DEP_1)
	v_fma_f64 v[22:23], -v[18:19], v[20:21], 1.0
	v_fma_f64 v[20:21], v[22:23], v[20:21], v[20:21]
	v_div_scale_f64 v[22:23], null, v[10:11], v[10:11], v[6:7]
	s_delay_alu instid0(VALU_DEP_2) | instskip(NEXT) | instid1(VALU_DEP_2)
	v_mul_f64 v[8:9], v[24:25], v[20:21]
	v_rcp_f64_e32 v[30:31], v[22:23]
	s_delay_alu instid0(VALU_DEP_1) | instskip(SKIP_3) | instid1(VALU_DEP_1)
	v_mul_f64 v[28:29], v[18:19], v[8:9]
	s_waitcnt_depctr 0xfff
	v_fma_f64 v[26:27], -v[22:23], v[30:31], 1.0
	v_fma_f64 v[18:19], v[8:9], v[18:19], -v[28:29]
	v_fma_f64 v[16:17], v[8:9], v[16:17], v[18:19]
	s_delay_alu instid0(VALU_DEP_3) | instskip(NEXT) | instid1(VALU_DEP_2)
	v_fma_f64 v[18:19], v[30:31], v[26:27], v[30:31]
	v_add_f64 v[26:27], v[28:29], v[16:17]
	s_delay_alu instid0(VALU_DEP_2) | instskip(NEXT) | instid1(VALU_DEP_2)
	v_fma_f64 v[30:31], -v[22:23], v[18:19], 1.0
	v_add_f64 v[32:33], v[24:25], -v[26:27]
	s_delay_alu instid0(VALU_DEP_2) | instskip(SKIP_1) | instid1(VALU_DEP_3)
	v_fma_f64 v[18:19], v[18:19], v[30:31], v[18:19]
	v_add_f64 v[28:29], v[26:27], -v[28:29]
	v_add_f64 v[24:25], v[24:25], -v[32:33]
	s_delay_alu instid0(VALU_DEP_3) | instskip(NEXT) | instid1(VALU_DEP_3)
	v_mul_f64 v[30:31], v[34:35], v[18:19]
	v_add_f64 v[16:17], v[28:29], -v[16:17]
	s_delay_alu instid0(VALU_DEP_3) | instskip(NEXT) | instid1(VALU_DEP_3)
	v_add_f64 v[24:25], v[24:25], -v[26:27]
	v_fma_f64 v[22:23], -v[22:23], v[30:31], v[34:35]
	s_delay_alu instid0(VALU_DEP_2) | instskip(NEXT) | instid1(VALU_DEP_2)
	v_add_f64 v[16:17], v[16:17], v[24:25]
	v_div_fmas_f64 v[18:19], v[22:23], v[18:19], v[30:31]
	v_subrev_co_ci_u32_e64 v4, vcc_lo, 0, v4, s3
	v_cmp_gt_i32_e32 vcc_lo, 0, v5
	v_cmp_eq_f64_e64 s3, 0, v[0:1]
	v_add_f64 v[16:17], v[32:33], v[16:17]
	v_div_fixup_f64 v[6:7], v[18:19], v[10:11], v[6:7]
	s_delay_alu instid0(VALU_DEP_2) | instskip(NEXT) | instid1(VALU_DEP_2)
	v_mul_f64 v[10:11], v[20:21], v[16:17]
	v_mul_f64 v[16:17], v[6:7], v[6:7]
	s_delay_alu instid0(VALU_DEP_2) | instskip(NEXT) | instid1(VALU_DEP_2)
	v_add_f64 v[18:19], v[8:9], v[10:11]
	v_fma_f64 v[20:21], v[16:17], s[16:17], s[14:15]
	s_mov_b32 s14, 0x69efb384
	s_mov_b32 s15, 0x3f4b2bb0
	;; [unrolled: 1-line block ×4, first 2 shown]
	s_delay_alu instid0(VALU_DEP_2) | instskip(NEXT) | instid1(VALU_DEP_2)
	v_mul_f64 v[22:23], v[18:19], v[18:19]
	v_fma_f64 v[20:21], v[16:17], v[20:21], s[14:15]
	s_mov_b32 s14, 0x6b47b09a
	s_mov_b32 s15, 0x3fc38538
	v_add_f64 v[8:9], v[18:19], -v[8:9]
	s_delay_alu instid0(VALU_DEP_3) | instskip(SKIP_3) | instid1(VALU_DEP_4)
	v_fma_f64 v[24:25], v[22:23], s[16:17], s[14:15]
	s_mov_b32 s14, 0xaf56de9b
	s_mov_b32 s15, 0xbf67952d
	v_mul_f64 v[26:27], v[18:19], v[22:23]
	v_fma_f64 v[20:21], v[16:17], v[20:21], s[14:15]
	s_mov_b32 s14, 0xd7f4df2e
	s_mov_b32 s15, 0x3fc7474d
	s_delay_alu instid0(VALU_DEP_4) | instskip(NEXT) | instid1(VALU_DEP_4)
	v_add_f64 v[8:9], v[10:11], -v[8:9]
	v_fma_f64 v[24:25], v[22:23], v[24:25], s[14:15]
	s_mov_b32 s14, 0xa595c56f
	s_mov_b32 s15, 0x3f7d6d43
	s_delay_alu instid0(VALU_DEP_3) | instid1(SALU_CYCLE_1)
	v_fma_f64 v[20:21], v[16:17], v[20:21], s[14:15]
	s_mov_b32 s14, 0x16291751
	s_mov_b32 s15, 0x3fcc71c0
	s_delay_alu instid0(VALU_DEP_3) | instskip(NEXT) | instid1(VALU_DEP_3)
	v_ldexp_f64 v[8:9], v[8:9], 1
	v_fma_f64 v[24:25], v[22:23], v[24:25], s[14:15]
	s_mov_b32 s14, 0xa57d9582
	s_mov_b32 s15, 0xbf8c6ea4
	s_delay_alu instid0(VALU_DEP_3) | instid1(SALU_CYCLE_1)
	v_fma_f64 v[20:21], v[16:17], v[20:21], s[14:15]
	s_mov_b32 s14, 0x9b27acf1
	s_mov_b32 s15, 0x3fd24924
	s_delay_alu instid0(VALU_DEP_2) | instid1(SALU_CYCLE_1)
	v_fma_f64 v[24:25], v[22:23], v[24:25], s[14:15]
	s_mov_b32 s14, 0x5f08b19f
	s_mov_b32 s15, 0x3f967e29
	s_delay_alu instid0(VALU_DEP_2) | instid1(SALU_CYCLE_1)
	;; [unrolled: 4-line block ×4, first 2 shown]
	v_fma_f64 v[20:21], v[16:17], v[20:21], s[14:15]
	s_mov_b32 s14, 0x6a214619
	s_mov_b32 s15, 0xbfaae5ce
	s_delay_alu instid0(VALU_DEP_2) | instskip(SKIP_3) | instid1(VALU_DEP_3)
	v_fma_f64 v[22:23], v[22:23], v[24:25], s[4:5]
	s_mov_b32 s4, 0x5711927a
	s_mov_b32 s5, 0x3fa2c15b
	v_ldexp_f64 v[24:25], v[18:19], 1
	v_fma_f64 v[20:21], v[16:17], v[20:21], s[4:5]
	s_mov_b32 s4, 0xe82d3ff0
	s_mov_b32 s5, 0xbfa59976
	s_delay_alu instid0(VALU_DEP_3) | instskip(SKIP_1) | instid1(VALU_DEP_3)
	v_mul_f64 v[22:23], v[26:27], v[22:23]
	v_cvt_f64_i32_e32 v[26:27], v4
	v_fma_f64 v[20:21], v[16:17], v[20:21], s[4:5]
	s_mov_b32 s4, 0x6ef28734
	s_mov_b32 s5, 0x3fa82d5d
	s_delay_alu instid0(VALU_DEP_3) | instskip(NEXT) | instid1(VALU_DEP_2)
	v_add_f64 v[18:19], v[24:25], v[22:23]
	v_fma_f64 v[20:21], v[16:17], v[20:21], s[4:5]
	s_mov_b32 s4, 0xfefa39ef
	s_mov_b32 s5, 0x3fe62e42
	s_delay_alu instid0(VALU_DEP_4) | instid1(SALU_CYCLE_1)
	v_mul_f64 v[28:29], v[26:27], s[4:5]
	s_delay_alu instid0(VALU_DEP_3) | instskip(NEXT) | instid1(VALU_DEP_3)
	v_add_f64 v[10:11], v[18:19], -v[24:25]
	v_fma_f64 v[20:21], v[16:17], v[20:21], s[14:15]
	s_delay_alu instid0(VALU_DEP_3) | instskip(SKIP_2) | instid1(VALU_DEP_3)
	v_fma_f64 v[24:25], v[26:27], s[4:5], -v[28:29]
	s_mov_b32 s4, 0x8427b883
	s_mov_b32 s5, 0x3fae1bb4
	v_add_f64 v[10:11], v[22:23], -v[10:11]
	s_delay_alu instid0(VALU_DEP_3)
	v_fma_f64 v[20:21], v[16:17], v[20:21], s[4:5]
	s_mov_b32 s4, 0x3b39803f
	s_mov_b32 s5, 0x3c7abc9e
	s_delay_alu instid0(VALU_DEP_3) | instid1(SALU_CYCLE_1)
	v_fma_f64 v[22:23], v[26:27], s[4:5], v[24:25]
	s_mov_b32 s4, 0x8b207f05
	s_mov_b32 s5, 0xbfb110e4
	s_delay_alu instid0(VALU_DEP_3) | instskip(NEXT) | instid1(VALU_DEP_3)
	v_add_f64 v[8:9], v[8:9], v[10:11]
	v_fma_f64 v[10:11], v[16:17], v[20:21], s[4:5]
	s_mov_b32 s4, 0x57b87036
	s_mov_b32 s5, 0x3fb3b136
	s_delay_alu instid0(VALU_DEP_3) | instskip(NEXT) | instid1(VALU_DEP_3)
	v_add_f64 v[20:21], v[28:29], v[22:23]
	v_add_f64 v[24:25], v[18:19], v[8:9]
	s_delay_alu instid0(VALU_DEP_3) | instskip(SKIP_2) | instid1(VALU_DEP_3)
	v_fma_f64 v[10:11], v[16:17], v[10:11], s[4:5]
	s_mov_b32 s4, 0x19378e4f
	s_mov_b32 s5, 0xbfb745d1
	v_add_f64 v[28:29], v[20:21], -v[28:29]
	s_delay_alu instid0(VALU_DEP_3) | instskip(SKIP_1) | instid1(VALU_DEP_4)
	v_add_f64 v[26:27], v[20:21], v[24:25]
	v_add_f64 v[18:19], v[24:25], -v[18:19]
	v_fma_f64 v[10:11], v[16:17], v[10:11], s[4:5]
	s_mov_b32 s4, 0x17e1913c
	s_mov_b32 s5, 0x3fbc71c7
	s_delay_alu instid0(VALU_DEP_4) | instskip(NEXT) | instid1(VALU_DEP_4)
	v_add_f64 v[22:23], v[22:23], -v[28:29]
	v_add_f64 v[30:31], v[26:27], -v[20:21]
	s_delay_alu instid0(VALU_DEP_4) | instskip(NEXT) | instid1(VALU_DEP_4)
	v_add_f64 v[8:9], v[8:9], -v[18:19]
	v_fma_f64 v[10:11], v[16:17], v[10:11], s[4:5]
	s_mov_b32 s4, 0x92376b7d
	s_mov_b32 s5, 0xbfc24924
	s_delay_alu instid0(VALU_DEP_3) | instskip(SKIP_1) | instid1(VALU_DEP_4)
	v_add_f64 v[32:33], v[26:27], -v[30:31]
	v_add_f64 v[18:19], v[24:25], -v[30:31]
	v_add_f64 v[24:25], v[22:23], v[8:9]
	s_delay_alu instid0(VALU_DEP_4) | instskip(SKIP_2) | instid1(VALU_DEP_4)
	v_fma_f64 v[10:11], v[16:17], v[10:11], s[4:5]
	s_mov_b32 s4, 0x999952cc
	s_mov_b32 s5, 0x3fc99999
	v_add_f64 v[20:21], v[20:21], -v[32:33]
	s_delay_alu instid0(VALU_DEP_2) | instskip(SKIP_2) | instid1(VALU_DEP_2)
	v_fma_f64 v[10:11], v[16:17], v[10:11], s[4:5]
	s_mov_b32 s4, 0x55555523
	s_mov_b32 s5, 0xbfd55555
	v_add_f64 v[18:19], v[18:19], v[20:21]
	v_add_f64 v[20:21], v[24:25], -v[22:23]
	s_delay_alu instid0(VALU_DEP_3) | instskip(SKIP_2) | instid1(VALU_DEP_3)
	v_fma_f64 v[10:11], v[16:17], v[10:11], s[4:5]
	s_mov_b32 s4, 0x54442d18
	s_mov_b32 s5, 0x3ff921fb
	v_add_f64 v[18:19], v[24:25], v[18:19]
	s_delay_alu instid0(VALU_DEP_3) | instskip(NEXT) | instid1(VALU_DEP_3)
	v_add_f64 v[8:9], v[8:9], -v[20:21]
	v_mul_f64 v[10:11], v[16:17], v[10:11]
	v_add_f64 v[16:17], v[24:25], -v[20:21]
	s_delay_alu instid0(VALU_DEP_4) | instskip(NEXT) | instid1(VALU_DEP_3)
	v_add_f64 v[24:25], v[26:27], v[18:19]
	v_fma_f64 v[6:7], v[6:7], v[10:11], v[6:7]
	s_delay_alu instid0(VALU_DEP_3) | instskip(NEXT) | instid1(VALU_DEP_3)
	v_add_f64 v[10:11], v[22:23], -v[16:17]
	v_add_f64 v[16:17], v[24:25], -v[26:27]
	s_delay_alu instid0(VALU_DEP_3) | instskip(NEXT) | instid1(VALU_DEP_3)
	v_add_f64 v[20:21], -v[6:7], s[4:5]
	v_add_f64 v[8:9], v[8:9], v[10:11]
	s_mov_b32 s5, 0x400921fb
	s_delay_alu instid0(VALU_DEP_3) | instskip(NEXT) | instid1(VALU_DEP_3)
	v_add_f64 v[10:11], v[18:19], -v[16:17]
	v_cndmask_b32_e64 v7, v7, v21, s0
	s_delay_alu instid0(VALU_DEP_4) | instskip(NEXT) | instid1(VALU_DEP_1)
	v_cndmask_b32_e64 v6, v6, v20, s0
	v_add_f64 v[16:17], -v[6:7], s[4:5]
	v_mov_b32_e32 v4, 0x7f3321d2
	v_cmp_eq_f64_e64 s4, 0x7ff00000, v[12:13]
	v_add_f64 v[8:9], v[8:9], v[10:11]
	v_ashrrev_i32_e32 v10, 31, v5
	v_cndmask_b32_e32 v7, v7, v17, vcc_lo
	v_cndmask_b32_e32 v11, 0x54442d18, v4, vcc_lo
	;; [unrolled: 1-line block ×3, first 2 shown]
	v_add_f64 v[4:5], v[24:25], v[8:9]
	v_mov_b32_e32 v8, 0x4002d97c
	v_and_b32_e32 v9, 0x54442d18, v10
	s_delay_alu instid0(VALU_DEP_2) | instskip(SKIP_4) | instid1(VALU_DEP_2)
	v_cndmask_b32_e32 v8, 0x3fe921fb, v8, vcc_lo
	s_and_b32 vcc_lo, s1, s4
	v_and_b32_e32 v18, 0x400921fb, v10
	v_xor_b32_e32 v10, 0x80000000, v1
	v_cndmask_b32_e64 v6, v6, v9, s3
	v_bfi_b32 v8, 0x7fffffff, v8, v10
	v_cndmask_b32_e32 v5, v5, v37, vcc_lo
	v_cndmask_b32_e64 v7, v7, v18, s3
	v_cndmask_b32_e32 v4, v4, v36, vcc_lo
	s_and_b32 vcc_lo, s2, s12
	s_delay_alu instid0(VALU_DEP_2) | instskip(SKIP_3) | instid1(VALU_DEP_4)
	v_dual_cndmask_b32 v6, v6, v11 :: v_dual_cndmask_b32 v7, v7, v8
	v_cmp_ngt_f64_e32 vcc_lo, 0, v[14:15]
	v_cndmask_b32_e64 v5, v5, 0x7ff00000, s11
	v_cndmask_b32_e64 v4, v4, 0, s11
	;; [unrolled: 1-line block ×4, first 2 shown]
	s_delay_alu instid0(VALU_DEP_4) | instskip(SKIP_3) | instid1(VALU_DEP_4)
	v_cndmask_b32_e32 v5, 0x7ff80000, v5, vcc_lo
	v_cmp_nge_f64_e32 vcc_lo, 0, v[14:15]
	v_cndmask_b32_e32 v12, 0, v4, vcc_lo
	v_cmp_neq_f64_e32 vcc_lo, 0, v[14:15]
	v_cndmask_b32_e32 v13, 0xfff00000, v5, vcc_lo
.LBB55_82:
	s_or_b32 exec_lo, exec_lo, s10
                                        ; implicit-def: $vgpr6_vgpr7
                                        ; implicit-def: $vgpr4_vgpr5
.LBB55_83:
	s_or_saveexec_b32 s9, s9
	v_xor_b32_e32 v4, 0x80000000, v1
	s_xor_b32 exec_lo, exec_lo, s9
	s_cbranch_execz .LBB55_85
; %bb.84:
	s_mov_b32 s2, 0x8b145769
	s_mov_b32 s3, 0xc005bf0a
	s_mov_b32 s5, 0x3fe55555
	v_div_scale_f64 v[8:9], null, s[2:3], s[2:3], v[2:3]
	v_div_scale_f64 v[10:11], null, s[2:3], s[2:3], v[0:1]
	v_div_scale_f64 v[20:21], vcc_lo, v[2:3], s[2:3], v[2:3]
	s_mov_b32 s4, 0x55555555
	s_mov_b32 s12, 0xbd3237f4
	;; [unrolled: 1-line block ×5, first 2 shown]
	s_delay_alu instid0(VALU_DEP_3) | instskip(NEXT) | instid1(VALU_DEP_2)
	v_rcp_f64_e32 v[12:13], v[8:9]
	v_rcp_f64_e32 v[14:15], v[10:11]
	s_waitcnt_depctr 0xfff
	v_fma_f64 v[16:17], -v[8:9], v[12:13], 1.0
	v_fma_f64 v[18:19], -v[10:11], v[14:15], 1.0
	s_delay_alu instid0(VALU_DEP_2) | instskip(NEXT) | instid1(VALU_DEP_2)
	v_fma_f64 v[12:13], v[12:13], v[16:17], v[12:13]
	v_fma_f64 v[14:15], v[14:15], v[18:19], v[14:15]
	s_delay_alu instid0(VALU_DEP_2) | instskip(NEXT) | instid1(VALU_DEP_2)
	v_fma_f64 v[16:17], -v[8:9], v[12:13], 1.0
	v_fma_f64 v[18:19], -v[10:11], v[14:15], 1.0
	s_delay_alu instid0(VALU_DEP_2) | instskip(SKIP_1) | instid1(VALU_DEP_3)
	v_fma_f64 v[12:13], v[12:13], v[16:17], v[12:13]
	v_div_scale_f64 v[16:17], s1, v[0:1], s[2:3], v[0:1]
	v_fma_f64 v[14:15], v[14:15], v[18:19], v[14:15]
	s_delay_alu instid0(VALU_DEP_3) | instskip(NEXT) | instid1(VALU_DEP_2)
	v_mul_f64 v[18:19], v[20:21], v[12:13]
	v_mul_f64 v[22:23], v[16:17], v[14:15]
	s_delay_alu instid0(VALU_DEP_2) | instskip(NEXT) | instid1(VALU_DEP_2)
	v_fma_f64 v[8:9], -v[8:9], v[18:19], v[20:21]
	v_fma_f64 v[10:11], -v[10:11], v[22:23], v[16:17]
	s_delay_alu instid0(VALU_DEP_2) | instskip(SKIP_1) | instid1(VALU_DEP_2)
	v_div_fmas_f64 v[8:9], v[8:9], v[12:13], v[18:19]
	s_mov_b32 vcc_lo, s1
	v_div_fmas_f64 v[10:11], v[10:11], v[14:15], v[22:23]
	s_delay_alu instid0(VALU_DEP_2) | instskip(NEXT) | instid1(VALU_DEP_2)
	v_div_fixup_f64 v[8:9], v[8:9], s[2:3], v[2:3]
	v_div_fixup_f64 v[10:11], v[10:11], s[2:3], v[0:1]
	s_delay_alu instid0(VALU_DEP_2) | instskip(NEXT) | instid1(VALU_DEP_2)
	v_cmp_class_f64_e64 s2, v[8:9], 0x204
	v_max_f64 v[12:13], |v[8:9]|, |v[10:11]|
	v_cmp_o_f64_e64 s1, v[8:9], v[10:11]
	v_cmp_class_f64_e64 s3, v[10:11], 0x204
	s_delay_alu instid0(VALU_DEP_3) | instskip(NEXT) | instid1(VALU_DEP_2)
	v_frexp_exp_i32_f64_e32 v20, v[12:13]
	s_or_b32 s10, s3, s2
	s_delay_alu instid0(VALU_DEP_1) | instskip(NEXT) | instid1(VALU_DEP_1)
	v_sub_nc_u32_e32 v14, 0, v20
	v_ldexp_f64 v[12:13], |v[10:11]|, v14
	v_ldexp_f64 v[14:15], |v[8:9]|, v14
	s_delay_alu instid0(VALU_DEP_2) | instskip(NEXT) | instid1(VALU_DEP_1)
	v_mul_f64 v[12:13], v[12:13], v[12:13]
	v_fma_f64 v[12:13], v[14:15], v[14:15], v[12:13]
	s_delay_alu instid0(VALU_DEP_1) | instskip(SKIP_4) | instid1(VALU_DEP_1)
	v_rsq_f64_e32 v[14:15], v[12:13]
	v_cmp_eq_f64_e32 vcc_lo, 0, v[12:13]
	s_waitcnt_depctr 0xfff
	v_mul_f64 v[16:17], v[12:13], v[14:15]
	v_mul_f64 v[14:15], v[14:15], 0.5
	v_fma_f64 v[18:19], -v[14:15], v[16:17], 0.5
	s_delay_alu instid0(VALU_DEP_1) | instskip(SKIP_1) | instid1(VALU_DEP_2)
	v_fma_f64 v[16:17], v[16:17], v[18:19], v[16:17]
	v_fma_f64 v[14:15], v[14:15], v[18:19], v[14:15]
	v_fma_f64 v[18:19], -v[16:17], v[16:17], v[12:13]
	s_delay_alu instid0(VALU_DEP_1) | instskip(NEXT) | instid1(VALU_DEP_1)
	v_fma_f64 v[14:15], v[18:19], v[14:15], v[16:17]
	v_dual_cndmask_b32 v13, v15, v13 :: v_dual_cndmask_b32 v12, v14, v12
	s_delay_alu instid0(VALU_DEP_1) | instskip(SKIP_1) | instid1(VALU_DEP_2)
	v_ldexp_f64 v[12:13], v[12:13], v20
	v_mov_b32_e32 v14, 0
	v_cndmask_b32_e64 v36, 0, v12, s1
	s_delay_alu instid0(VALU_DEP_3) | instskip(SKIP_1) | instid1(VALU_DEP_3)
	v_cndmask_b32_e64 v37, 0x7ff80000, v13, s1
	v_and_b32_e32 v13, 0x7fffffff, v13
	v_cndmask_b32_e64 v8, v36, 0, s10
	s_delay_alu instid0(VALU_DEP_3) | instskip(NEXT) | instid1(VALU_DEP_1)
	v_cndmask_b32_e64 v9, v37, 0x7ff00000, s10
	v_frexp_mant_f64_e32 v[10:11], v[8:9]
	s_delay_alu instid0(VALU_DEP_1) | instskip(SKIP_1) | instid1(VALU_DEP_1)
	v_cmp_gt_f64_e64 s2, s[4:5], v[10:11]
	s_mov_b32 s4, 0x55555780
	v_cndmask_b32_e64 v15, 0x3ff00000, 2.0, s2
	s_delay_alu instid0(VALU_DEP_1) | instskip(NEXT) | instid1(VALU_DEP_1)
	v_mul_f64 v[10:11], v[10:11], v[14:15]
	v_add_f64 v[14:15], v[10:11], 1.0
	v_add_f64 v[20:21], v[10:11], -1.0
	s_delay_alu instid0(VALU_DEP_2) | instskip(SKIP_2) | instid1(VALU_DEP_1)
	v_rcp_f64_e32 v[16:17], v[14:15]
	s_waitcnt_depctr 0xfff
	v_fma_f64 v[18:19], -v[14:15], v[16:17], 1.0
	v_fma_f64 v[16:17], v[18:19], v[16:17], v[16:17]
	s_delay_alu instid0(VALU_DEP_1) | instskip(NEXT) | instid1(VALU_DEP_1)
	v_fma_f64 v[18:19], -v[14:15], v[16:17], 1.0
	v_fma_f64 v[16:17], v[18:19], v[16:17], v[16:17]
	v_max_f64 v[18:19], -v[2:3], -v[2:3]
	s_delay_alu instid0(VALU_DEP_2) | instskip(NEXT) | instid1(VALU_DEP_2)
	v_mul_f64 v[22:23], v[20:21], v[16:17]
	v_max_f64 v[24:25], v[18:19], v[6:7]
	v_min_f64 v[6:7], v[18:19], v[6:7]
	v_add_f64 v[18:19], v[14:15], -1.0
	s_delay_alu instid0(VALU_DEP_4) | instskip(NEXT) | instid1(VALU_DEP_3)
	v_mul_f64 v[26:27], v[14:15], v[22:23]
	v_div_scale_f64 v[28:29], null, v[24:25], v[24:25], v[6:7]
	s_delay_alu instid0(VALU_DEP_3) | instskip(SKIP_1) | instid1(VALU_DEP_4)
	v_add_f64 v[10:11], v[10:11], -v[18:19]
	v_div_scale_f64 v[34:35], vcc_lo, v[6:7], v[24:25], v[6:7]
	v_fma_f64 v[14:15], v[22:23], v[14:15], -v[26:27]
	s_delay_alu instid0(VALU_DEP_4) | instskip(NEXT) | instid1(VALU_DEP_1)
	v_rcp_f64_e32 v[18:19], v[28:29]
	v_fma_f64 v[10:11], v[22:23], v[10:11], v[14:15]
	s_waitcnt_depctr 0xfff
	v_fma_f64 v[14:15], -v[28:29], v[18:19], 1.0
	v_add_f64 v[30:31], v[26:27], v[10:11]
	s_delay_alu instid0(VALU_DEP_2) | instskip(NEXT) | instid1(VALU_DEP_2)
	v_fma_f64 v[14:15], v[18:19], v[14:15], v[18:19]
	v_add_f64 v[18:19], v[20:21], -v[30:31]
	v_add_f64 v[26:27], v[30:31], -v[26:27]
	s_delay_alu instid0(VALU_DEP_3) | instskip(NEXT) | instid1(VALU_DEP_3)
	v_fma_f64 v[32:33], -v[28:29], v[14:15], 1.0
	v_add_f64 v[20:21], v[20:21], -v[18:19]
	s_delay_alu instid0(VALU_DEP_3) | instskip(NEXT) | instid1(VALU_DEP_3)
	v_add_f64 v[10:11], v[26:27], -v[10:11]
	v_fma_f64 v[14:15], v[14:15], v[32:33], v[14:15]
	s_delay_alu instid0(VALU_DEP_3) | instskip(NEXT) | instid1(VALU_DEP_2)
	v_add_f64 v[20:21], v[20:21], -v[30:31]
	v_mul_f64 v[26:27], v[34:35], v[14:15]
	s_delay_alu instid0(VALU_DEP_2) | instskip(NEXT) | instid1(VALU_DEP_2)
	v_add_f64 v[10:11], v[10:11], v[20:21]
	v_fma_f64 v[20:21], -v[28:29], v[26:27], v[34:35]
	v_frexp_exp_i32_f64_e32 v28, v[8:9]
	s_delay_alu instid0(VALU_DEP_3) | instskip(NEXT) | instid1(VALU_DEP_3)
	v_add_f64 v[10:11], v[18:19], v[10:11]
	v_div_fmas_f64 v[14:15], v[20:21], v[14:15], v[26:27]
	s_delay_alu instid0(VALU_DEP_2) | instskip(NEXT) | instid1(VALU_DEP_2)
	v_mul_f64 v[10:11], v[16:17], v[10:11]
	v_div_fixup_f64 v[6:7], v[14:15], v[24:25], v[6:7]
	s_delay_alu instid0(VALU_DEP_2) | instskip(NEXT) | instid1(VALU_DEP_2)
	v_add_f64 v[14:15], v[22:23], v[10:11]
	v_mul_f64 v[16:17], v[6:7], v[6:7]
	s_delay_alu instid0(VALU_DEP_2) | instskip(NEXT) | instid1(VALU_DEP_2)
	v_mul_f64 v[18:19], v[14:15], v[14:15]
	v_fma_f64 v[20:21], v[16:17], s[14:15], s[12:13]
	s_mov_b32 s12, 0x6b47b09a
	s_mov_b32 s14, 0xbf559e2b
	;; [unrolled: 1-line block ×4, first 2 shown]
	s_delay_alu instid0(VALU_DEP_2) | instid1(SALU_CYCLE_1)
	v_fma_f64 v[24:25], v[18:19], s[14:15], s[12:13]
	s_mov_b32 s12, 0x69efb384
	s_mov_b32 s13, 0x3f4b2bb0
	v_mul_f64 v[26:27], v[14:15], v[18:19]
	s_delay_alu instid0(VALU_DEP_3)
	v_fma_f64 v[20:21], v[16:17], v[20:21], s[12:13]
	s_mov_b32 s12, 0xd7f4df2e
	s_mov_b32 s13, 0x3fc7474d
	s_delay_alu instid0(VALU_DEP_3) | instid1(SALU_CYCLE_1)
	v_fma_f64 v[24:25], v[18:19], v[24:25], s[12:13]
	s_mov_b32 s12, 0xaf56de9b
	s_mov_b32 s13, 0xbf67952d
	s_delay_alu instid0(VALU_DEP_2) | instid1(SALU_CYCLE_1)
	v_fma_f64 v[20:21], v[16:17], v[20:21], s[12:13]
	s_mov_b32 s12, 0x16291751
	s_mov_b32 s13, 0x3fcc71c0
	s_delay_alu instid0(VALU_DEP_2) | instid1(SALU_CYCLE_1)
	;; [unrolled: 4-line block ×7, first 2 shown]
	v_fma_f64 v[20:21], v[16:17], v[20:21], s[12:13]
	s_delay_alu instid0(VALU_DEP_2) | instskip(SKIP_3) | instid1(VALU_DEP_3)
	v_fma_f64 v[18:19], v[18:19], v[24:25], s[4:5]
	s_mov_b32 s4, 0xfc27006a
	s_mov_b32 s5, 0xbf9e9ae6
	v_ldexp_f64 v[24:25], v[14:15], 1
	v_fma_f64 v[20:21], v[16:17], v[20:21], s[4:5]
	s_mov_b32 s4, 0x5711927a
	s_mov_b32 s5, 0x3fa2c15b
	v_add_f64 v[14:15], v[14:15], -v[22:23]
	s_delay_alu instid0(VALU_DEP_4) | instskip(SKIP_2) | instid1(VALU_DEP_4)
	v_mul_f64 v[18:19], v[26:27], v[18:19]
	v_subrev_co_ci_u32_e64 v26, vcc_lo, 0, v28, s2
	s_mov_b32 s2, 0xe82d3ff0
	v_fma_f64 v[20:21], v[16:17], v[20:21], s[4:5]
	s_mov_b32 s3, 0xbfa59976
	s_delay_alu instid0(VALU_DEP_2)
	v_cvt_f64_i32_e32 v[26:27], v26
	v_add_f64 v[10:11], v[10:11], -v[14:15]
	s_mov_b32 s4, 0x6ef28734
	s_mov_b32 s5, 0x3fa82d5d
	v_cmp_eq_f64_e32 vcc_lo, 0x7ff00000, v[12:13]
	v_ashrrev_i32_e32 v13, 31, v5
	v_add_f64 v[22:23], v[24:25], v[18:19]
	v_fma_f64 v[20:21], v[16:17], v[20:21], s[2:3]
	s_mov_b32 s2, 0xfefa39ef
	s_mov_b32 s3, 0x3fe62e42
	v_ldexp_f64 v[10:11], v[10:11], 1
	v_mul_f64 v[28:29], v[26:27], s[2:3]
	s_and_b32 vcc_lo, s1, vcc_lo
	s_delay_alu instid0(VALU_DEP_4) | instskip(NEXT) | instid1(VALU_DEP_4)
	v_add_f64 v[14:15], v[22:23], -v[24:25]
	v_fma_f64 v[20:21], v[16:17], v[20:21], s[4:5]
	v_cmp_class_f64_e64 s4, v[0:1], 0x204
	s_delay_alu instid0(VALU_DEP_4) | instskip(SKIP_2) | instid1(VALU_DEP_4)
	v_fma_f64 v[24:25], v[26:27], s[2:3], -v[28:29]
	s_mov_b32 s2, 0x6a214619
	s_mov_b32 s3, 0xbfaae5ce
	v_add_f64 v[14:15], v[18:19], -v[14:15]
	s_delay_alu instid0(VALU_DEP_4)
	v_fma_f64 v[18:19], v[16:17], v[20:21], s[2:3]
	s_mov_b32 s2, 0x3b39803f
	s_mov_b32 s3, 0x3c7abc9e
	s_delay_alu instid0(VALU_DEP_3) | instid1(SALU_CYCLE_1)
	v_fma_f64 v[20:21], v[26:27], s[2:3], v[24:25]
	s_mov_b32 s2, 0x8427b883
	s_mov_b32 s3, 0x3fae1bb4
	s_delay_alu instid0(VALU_DEP_3) | instskip(NEXT) | instid1(VALU_DEP_3)
	v_add_f64 v[10:11], v[10:11], v[14:15]
	v_fma_f64 v[14:15], v[16:17], v[18:19], s[2:3]
	s_mov_b32 s2, 0x8b207f05
	s_mov_b32 s3, 0xbfb110e4
	s_delay_alu instid0(VALU_DEP_3) | instskip(NEXT) | instid1(VALU_DEP_3)
	v_add_f64 v[18:19], v[28:29], v[20:21]
	v_add_f64 v[24:25], v[22:23], v[10:11]
	s_delay_alu instid0(VALU_DEP_3) | instskip(SKIP_2) | instid1(VALU_DEP_3)
	v_fma_f64 v[14:15], v[16:17], v[14:15], s[2:3]
	s_mov_b32 s2, 0x57b87036
	s_mov_b32 s3, 0x3fb3b136
	v_add_f64 v[28:29], v[18:19], -v[28:29]
	s_delay_alu instid0(VALU_DEP_3) | instskip(SKIP_1) | instid1(VALU_DEP_4)
	v_add_f64 v[26:27], v[18:19], v[24:25]
	v_add_f64 v[22:23], v[24:25], -v[22:23]
	v_fma_f64 v[14:15], v[16:17], v[14:15], s[2:3]
	s_mov_b32 s2, 0x19378e4f
	s_mov_b32 s3, 0xbfb745d1
	s_delay_alu instid0(VALU_DEP_4) | instskip(NEXT) | instid1(VALU_DEP_4)
	v_add_f64 v[20:21], v[20:21], -v[28:29]
	v_add_f64 v[30:31], v[26:27], -v[18:19]
	s_delay_alu instid0(VALU_DEP_4) | instskip(NEXT) | instid1(VALU_DEP_4)
	v_add_f64 v[10:11], v[10:11], -v[22:23]
	v_fma_f64 v[14:15], v[16:17], v[14:15], s[2:3]
	s_mov_b32 s2, 0x17e1913c
	s_mov_b32 s3, 0x3fbc71c7
	s_delay_alu instid0(VALU_DEP_3) | instskip(SKIP_1) | instid1(VALU_DEP_4)
	v_add_f64 v[32:33], v[26:27], -v[30:31]
	v_add_f64 v[22:23], v[24:25], -v[30:31]
	v_add_f64 v[24:25], v[20:21], v[10:11]
	s_delay_alu instid0(VALU_DEP_4) | instskip(SKIP_2) | instid1(VALU_DEP_4)
	v_fma_f64 v[14:15], v[16:17], v[14:15], s[2:3]
	s_mov_b32 s2, 0x92376b7d
	s_mov_b32 s3, 0xbfc24924
	v_add_f64 v[18:19], v[18:19], -v[32:33]
	s_delay_alu instid0(VALU_DEP_2) | instskip(SKIP_2) | instid1(VALU_DEP_2)
	v_fma_f64 v[14:15], v[16:17], v[14:15], s[2:3]
	s_mov_b32 s2, 0x999952cc
	s_mov_b32 s3, 0x3fc99999
	v_add_f64 v[18:19], v[22:23], v[18:19]
	v_add_f64 v[22:23], v[24:25], -v[20:21]
	s_delay_alu instid0(VALU_DEP_3) | instskip(SKIP_2) | instid1(VALU_DEP_3)
	v_fma_f64 v[14:15], v[16:17], v[14:15], s[2:3]
	s_mov_b32 s2, 0x55555523
	s_mov_b32 s3, 0xbfd55555
	v_add_f64 v[18:19], v[24:25], v[18:19]
	s_delay_alu instid0(VALU_DEP_3) | instskip(SKIP_1) | instid1(VALU_DEP_4)
	v_add_f64 v[24:25], v[24:25], -v[22:23]
	v_add_f64 v[10:11], v[10:11], -v[22:23]
	v_fma_f64 v[14:15], v[16:17], v[14:15], s[2:3]
	s_mov_b32 s2, 0x54442d18
	s_mov_b32 s3, 0x3ff921fb
	s_delay_alu instid0(VALU_DEP_4) | instskip(NEXT) | instid1(VALU_DEP_2)
	v_add_f64 v[28:29], v[26:27], v[18:19]
	v_mul_f64 v[14:15], v[16:17], v[14:15]
	v_add_f64 v[16:17], v[20:21], -v[24:25]
	s_delay_alu instid0(VALU_DEP_3) | instskip(NEXT) | instid1(VALU_DEP_3)
	v_add_f64 v[20:21], v[28:29], -v[26:27]
	v_fma_f64 v[6:7], v[6:7], v[14:15], v[6:7]
	s_delay_alu instid0(VALU_DEP_3) | instskip(NEXT) | instid1(VALU_DEP_3)
	v_add_f64 v[10:11], v[10:11], v[16:17]
	v_add_f64 v[14:15], v[18:19], -v[20:21]
	s_delay_alu instid0(VALU_DEP_3) | instskip(SKIP_1) | instid1(VALU_DEP_2)
	v_add_f64 v[16:17], -v[6:7], s[2:3]
	s_mov_b32 s3, 0x400921fb
	v_add_f64 v[10:11], v[10:11], v[14:15]
	s_delay_alu instid0(VALU_DEP_2) | instskip(NEXT) | instid1(VALU_DEP_3)
	v_cndmask_b32_e64 v7, v7, v17, s0
	v_cndmask_b32_e64 v6, v6, v16, s0
	v_cmp_gt_i32_e64 s0, 0, v5
	s_delay_alu instid0(VALU_DEP_2)
	v_add_f64 v[14:15], -v[6:7], s[2:3]
	v_cmp_eq_f64_e64 s3, 0xfff00000, v[2:3]
	v_cmp_eq_f64_e64 s2, 0, v[0:1]
	v_add_f64 v[10:11], v[28:29], v[10:11]
	v_mov_b32_e32 v12, 0x7f3321d2
	v_mov_b32_e32 v5, 0x4002d97c
	v_cndmask_b32_e64 v7, v7, v15, s0
	v_cndmask_b32_e64 v14, v6, v14, s0
	v_dual_cndmask_b32 v10, v10, v36 :: v_dual_cndmask_b32 v11, v11, v37
	s_delay_alu instid0(VALU_DEP_4)
	v_cndmask_b32_e64 v15, 0x3fe921fb, v5, s0
	v_cndmask_b32_e64 v12, 0x54442d18, v12, s0
	v_cmp_ngt_f64_e64 s0, 0, v[8:9]
	s_and_b32 vcc_lo, s3, s4
	v_add_f64 v[5:6], v[10:11], 1.0
	v_bfi_b32 v11, 0x7fffffff, v15, v4
	v_and_b32_e32 v16, 0x400921fb, v13
	v_and_b32_e32 v13, 0x54442d18, v13
	s_delay_alu instid0(VALU_DEP_2) | instskip(NEXT) | instid1(VALU_DEP_2)
	v_cndmask_b32_e64 v7, v7, v16, s2
	v_cndmask_b32_e64 v10, v14, v13, s2
	s_delay_alu instid0(VALU_DEP_1) | instskip(SKIP_3) | instid1(VALU_DEP_2)
	v_dual_cndmask_b32 v7, v7, v11 :: v_dual_cndmask_b32 v10, v10, v12
	v_cmp_o_f64_e32 vcc_lo, v[2:3], v[0:1]
	v_cndmask_b32_e64 v0, v6, 0x7ff00000, s10
	v_cndmask_b32_e64 v2, v5, 0, s10
	;; [unrolled: 1-line block ×3, first 2 shown]
	v_cmp_nge_f64_e64 s0, 0, v[8:9]
	v_cndmask_b32_e32 v11, 0x7ff80000, v7, vcc_lo
	v_cndmask_b32_e32 v10, 0, v10, vcc_lo
	s_delay_alu instid0(VALU_DEP_3) | instskip(SKIP_1) | instid1(VALU_DEP_1)
	v_cndmask_b32_e64 v12, 0, v2, s0
	v_cmp_neq_f64_e64 s0, 0, v[8:9]
	v_cndmask_b32_e64 v13, 0xfff00000, v0, s0
.LBB55_85:
	s_or_b32 exec_lo, exec_lo, s9
	s_delay_alu instid0(VALU_DEP_1)
	v_bfi_b32 v11, 0x7fffffff, v11, v4
.LBB55_86:
	s_or_b32 exec_lo, exec_lo, s8
	s_mov_b32 s0, 0xfefa39ef
	s_mov_b32 s1, 0x3fe62e42
	s_delay_alu instid0(VALU_DEP_1) | instskip(SKIP_2) | instid1(VALU_DEP_2)
	v_bfi_b32 v11, 0x7fffffff, v11, v1
	s_waitcnt lgkmcnt(0)
	v_add_f64 v[4:5], v[12:13], s[0:1]
	v_dual_mov_b32 v0, v10 :: v_dual_mov_b32 v1, v11
	s_delay_alu instid0(VALU_DEP_2) | instskip(NEXT) | instid1(VALU_DEP_1)
	v_bfi_b32 v5, 0x7fffffff, v5, v3
	v_dual_mov_b32 v2, v4 :: v_dual_mov_b32 v3, v5
.LBB55_87:
	s_or_b32 exec_lo, exec_lo, s7
	s_and_not1_saveexec_b32 s0, s6
	s_cbranch_execz .LBB55_2
.LBB55_88:
	s_delay_alu instid0(VALU_DEP_1) | instskip(NEXT) | instid1(VALU_DEP_1)
	v_cmp_neq_f64_e64 s1, 0x7ff00000, |v[2:3]|
                                        ; implicit-def: $vgpr4_vgpr5
                                        ; implicit-def: $vgpr6_vgpr7
	s_and_saveexec_b32 s2, s1
	s_delay_alu instid0(SALU_CYCLE_1)
	s_xor_b32 s1, exec_lo, s2
	s_cbranch_execz .LBB55_98
; %bb.89:
	v_cmp_neq_f64_e64 s2, 0x7ff00000, |v[0:1]|
                                        ; implicit-def: $vgpr4_vgpr5
                                        ; implicit-def: $vgpr6_vgpr7
	s_delay_alu instid0(VALU_DEP_1) | instskip(NEXT) | instid1(SALU_CYCLE_1)
	s_and_saveexec_b32 s3, s2
	s_xor_b32 s2, exec_lo, s3
	s_cbranch_execz .LBB55_95
; %bb.90:
	s_mov_b32 s3, exec_lo
                                        ; implicit-def: $vgpr4_vgpr5
	v_cmpx_neq_f64_e32 0, v[0:1]
	s_xor_b32 s3, exec_lo, s3
	s_cbranch_execz .LBB55_92
; %bb.91:
	v_add_f64 v[2:3], v[2:3], 0
	s_waitcnt lgkmcnt(0)
	s_delay_alu instid0(VALU_DEP_1)
	v_add_f64 v[4:5], v[2:3], v[0:1]
                                        ; implicit-def: $vgpr2_vgpr3
                                        ; implicit-def: $vgpr0_vgpr1
.LBB55_92:
	s_or_saveexec_b32 s3, s3
	s_waitcnt lgkmcnt(0)
	s_delay_alu instid0(VALU_DEP_1)
	v_dual_mov_b32 v7, v5 :: v_dual_mov_b32 v6, v4
	s_xor_b32 exec_lo, exec_lo, s3
; %bb.93:
	v_add_f64 v[6:7], v[2:3], v[2:3]
	v_dual_mov_b32 v5, v1 :: v_dual_mov_b32 v4, v0
; %bb.94:
	s_or_b32 exec_lo, exec_lo, s3
                                        ; implicit-def: $vgpr2_vgpr3
                                        ; implicit-def: $vgpr0_vgpr1
.LBB55_95:
	s_and_not1_saveexec_b32 s2, s2
	s_cbranch_execz .LBB55_97
; %bb.96:
	s_waitcnt lgkmcnt(0)
	v_add_f64 v[4:5], v[2:3], v[2:3]
	v_dual_mov_b32 v7, v1 :: v_dual_mov_b32 v6, v0
.LBB55_97:
	s_or_b32 exec_lo, exec_lo, s2
                                        ; implicit-def: $vgpr0_vgpr1
                                        ; implicit-def: $vgpr2_vgpr3
.LBB55_98:
	s_and_not1_saveexec_b32 s1, s1
	s_cbranch_execz .LBB55_100
; %bb.99:
	s_waitcnt lgkmcnt(0)
	v_add_f64 v[4:5], v[0:1], v[0:1]
	v_dual_mov_b32 v7, v3 :: v_dual_mov_b32 v6, v2
.LBB55_100:
	s_or_b32 exec_lo, exec_lo, s1
	s_delay_alu instid0(VALU_DEP_1) | instskip(SKIP_1) | instid1(VALU_DEP_2)
	v_dual_mov_b32 v2, v6 :: v_dual_mov_b32 v3, v7
	s_waitcnt lgkmcnt(0)
	v_dual_mov_b32 v0, v4 :: v_dual_mov_b32 v1, v5
	s_or_b32 exec_lo, exec_lo, s0
	s_setpc_b64 s[30:31]
.Lfunc_end55:
	.size	_ZNK2at6native4AsinIN3c107complexIdEEEclES4_, .Lfunc_end55-_ZNK2at6native4AsinIN3c107complexIdEEEclES4_
                                        ; -- End function
	.section	.AMDGPU.csdata,"",@progbits
; Function info:
; codeLenInByte = 23044
; NumSgprs: 35
; NumVgprs: 49
; ScratchSize: 12
; MemoryBound: 0
	.section	.text._ZN2at6native12_GLOBAL__N_125multi_tensor_apply_kernelINS1_18TensorListMetadataILi2EEENS1_14UnaryOpFunctorIN3c107complexIdEELi2ELi1ELi1EEEJNS0_4AsinIS8_EEEEEvT_T0_DpT1_,"axG",@progbits,_ZN2at6native12_GLOBAL__N_125multi_tensor_apply_kernelINS1_18TensorListMetadataILi2EEENS1_14UnaryOpFunctorIN3c107complexIdEELi2ELi1ELi1EEEJNS0_4AsinIS8_EEEEEvT_T0_DpT1_,comdat
	.globl	_ZN2at6native12_GLOBAL__N_125multi_tensor_apply_kernelINS1_18TensorListMetadataILi2EEENS1_14UnaryOpFunctorIN3c107complexIdEELi2ELi1ELi1EEEJNS0_4AsinIS8_EEEEEvT_T0_DpT1_ ; -- Begin function _ZN2at6native12_GLOBAL__N_125multi_tensor_apply_kernelINS1_18TensorListMetadataILi2EEENS1_14UnaryOpFunctorIN3c107complexIdEELi2ELi1ELi1EEEJNS0_4AsinIS8_EEEEEvT_T0_DpT1_
	.p2align	8
	.type	_ZN2at6native12_GLOBAL__N_125multi_tensor_apply_kernelINS1_18TensorListMetadataILi2EEENS1_14UnaryOpFunctorIN3c107complexIdEELi2ELi1ELi1EEEJNS0_4AsinIS8_EEEEEvT_T0_DpT1_,@function
_ZN2at6native12_GLOBAL__N_125multi_tensor_apply_kernelINS1_18TensorListMetadataILi2EEENS1_14UnaryOpFunctorIN3c107complexIdEELi2ELi1ELi1EEEJNS0_4AsinIS8_EEEEEvT_T0_DpT1_: ; @_ZN2at6native12_GLOBAL__N_125multi_tensor_apply_kernelINS1_18TensorListMetadataILi2EEENS1_14UnaryOpFunctorIN3c107complexIdEELi2ELi1ELi1EEEJNS0_4AsinIS8_EEEEEvT_T0_DpT1_
; %bb.0:
	v_dual_mov_b32 v57, v0 :: v_dual_mov_b32 v0, s15
	s_mov_b64 s[18:19], s[0:1]
	s_mov_b32 s5, 0
	s_mov_b32 s32, 0
	;; [unrolled: 1-line block ×3, first 2 shown]
	global_load_u8 v0, v0, s[0:1] offset:1536
	s_add_u32 s0, s18, s15
	s_mul_hi_u32 s1, s15, 3
	s_mul_i32 s15, s15, 3
	s_addc_u32 s2, s19, 0
	s_add_u32 s0, s0, s15
	s_addc_u32 s1, s2, s1
	s_mov_b32 s9, s5
	s_load_b32 s0, s[0:1], 0x740
	s_waitcnt vmcnt(0)
	v_readfirstlane_b32 s3, v0
	s_delay_alu instid0(VALU_DEP_1)
	s_lshl_b32 s1, s3, 3
	s_clause 0x2
	s_load_b64 s[34:35], s[18:19], s1 offset:0x0
	s_load_b64 s[20:21], s[18:19], s1 offset:0x200
	s_load_b64 s[2:3], s[18:19], s1 offset:0x400
	s_waitcnt lgkmcnt(0)
	s_ashr_i32 s1, s0, 31
	s_delay_alu instid0(SALU_CYCLE_1) | instskip(NEXT) | instid1(SALU_CYCLE_1)
	s_lshl_b64 s[22:23], s[0:1], 20
	s_add_u32 s28, s34, s22
	s_addc_u32 s29, s35, s23
	s_add_u32 s33, s20, s22
	s_addc_u32 s36, s21, s23
	s_and_b32 s6, s28, 63
	s_and_b32 s8, s2, 3
	s_and_b32 s4, s33, 63
	s_or_b64 s[6:7], s[6:7], s[8:9]
	s_lshl_b64 s[0:1], s[0:1], 16
	s_or_b64 s[4:5], s[4:5], s[6:7]
	s_sub_u32 s24, s2, s0
	s_subb_u32 s25, s3, s1
	s_cmp_eq_u64 s[4:5], 0
	s_mov_b32 s0, -1
	s_cbranch_scc0 .LBB56_5
; %bb.1:
	v_dual_mov_b32 v1, 0 :: v_dual_lshlrev_b32 v0, 2, v57
	s_mov_b32 s37, exec_lo
	s_delay_alu instid0(VALU_DEP_1)
	v_cmpx_gt_i64_e64 s[24:25], v[0:1]
	s_cbranch_execz .LBB56_4
; %bb.2:
	v_mov_b32_e32 v58, v1
	s_add_u32 s26, s18, 0xc50
	s_addc_u32 s27, s19, 0
	s_mov_b32 s38, 0
	s_delay_alu instid0(VALU_DEP_1)
	v_mov_b32_e32 v59, v58
	v_mov_b32_e32 v58, v57
.LBB56_3:                               ; =>This Inner Loop Header: Depth=1
	s_delay_alu instid0(VALU_DEP_1) | instskip(SKIP_3) | instid1(VALU_DEP_1)
	v_lshlrev_b64 v[60:61], 6, v[58:59]
	s_getpc_b64 s[40:41]
	s_add_u32 s40, s40, _ZNK2at6native4AsinIN3c107complexIdEEEclES4_@rel32@lo+4
	s_addc_u32 s41, s41, _ZNK2at6native4AsinIN3c107complexIdEEEclES4_@rel32@hi+12
	v_add_co_u32 v4, vcc_lo, s28, v60
	s_delay_alu instid0(VALU_DEP_2)
	v_add_co_ci_u32_e32 v5, vcc_lo, s29, v61, vcc_lo
	s_clause 0x3
	global_load_b128 v[0:3], v[4:5], off
	global_load_b128 v[40:43], v[4:5], off offset:16
	global_load_b128 v[44:47], v[4:5], off offset:48
	;; [unrolled: 1-line block ×3, first 2 shown]
	s_swappc_b64 s[30:31], s[40:41]
	v_dual_mov_b32 v53, v0 :: v_dual_mov_b32 v54, v1
	v_dual_mov_b32 v55, v2 :: v_dual_mov_b32 v56, v3
	;; [unrolled: 1-line block ×4, first 2 shown]
	s_swappc_b64 s[30:31], s[40:41]
	s_delay_alu instid0(VALU_DEP_2) | instskip(NEXT) | instid1(VALU_DEP_2)
	v_dual_mov_b32 v40, v0 :: v_dual_mov_b32 v41, v1
	v_dual_mov_b32 v42, v2 :: v_dual_mov_b32 v43, v3
	;; [unrolled: 1-line block ×4, first 2 shown]
	s_swappc_b64 s[30:31], s[40:41]
	s_delay_alu instid0(VALU_DEP_2) | instskip(NEXT) | instid1(VALU_DEP_2)
	v_dual_mov_b32 v49, v0 :: v_dual_mov_b32 v50, v1
	v_dual_mov_b32 v51, v2 :: v_dual_mov_b32 v52, v3
	;; [unrolled: 1-line block ×4, first 2 shown]
	s_swappc_b64 s[30:31], s[40:41]
	v_add_co_u32 v4, vcc_lo, s33, v60
	v_add_co_ci_u32_e32 v5, vcc_lo, s36, v61, vcc_lo
	s_clause 0x3
	global_store_b128 v[4:5], v[53:56], off
	global_store_b128 v[4:5], v[40:43], off offset:16
	global_store_b128 v[4:5], v[49:52], off offset:32
	;; [unrolled: 1-line block ×3, first 2 shown]
	s_load_b32 s0, s[26:27], 0xc
	s_waitcnt lgkmcnt(0)
	s_and_b32 s0, s0, 0xffff
	s_delay_alu instid0(SALU_CYCLE_1) | instskip(SKIP_1) | instid1(VALU_DEP_1)
	v_add_co_u32 v58, vcc_lo, v58, s0
	v_add_co_ci_u32_e32 v59, vcc_lo, 0, v59, vcc_lo
	v_lshlrev_b64 v[0:1], 2, v[58:59]
	s_delay_alu instid0(VALU_DEP_1) | instskip(SKIP_1) | instid1(VALU_DEP_1)
	v_cmp_le_i64_e32 vcc_lo, s[24:25], v[0:1]
	v_cmp_lt_u64_e64 s0, 0xffff, v[0:1]
	s_or_b32 s0, vcc_lo, s0
	s_delay_alu instid0(SALU_CYCLE_1) | instskip(NEXT) | instid1(SALU_CYCLE_1)
	s_and_b32 s0, exec_lo, s0
	s_or_b32 s38, s0, s38
	s_delay_alu instid0(SALU_CYCLE_1)
	s_and_not1_b32 exec_lo, exec_lo, s38
	s_cbranch_execnz .LBB56_3
.LBB56_4:
	s_or_b32 exec_lo, exec_lo, s37
	s_mov_b32 s0, 0
.LBB56_5:
	s_delay_alu instid0(SALU_CYCLE_1)
	s_and_not1_b32 vcc_lo, exec_lo, s0
	s_cbranch_vccnz .LBB56_25
; %bb.6:
	v_cmp_lt_i64_e64 s0, s[24:25], 1
	s_delay_alu instid0(VALU_DEP_1)
	s_and_b32 vcc_lo, exec_lo, s0
	s_cbranch_vccnz .LBB56_25
; %bb.7:
	s_load_b32 s0, s[18:19], 0xc5c
	v_mov_b32_e32 v58, 0
	v_lshl_or_b32 v0, v57, 4, 8
	v_cmp_gt_u64_e64 s1, 0x10000, s[24:25]
	s_mov_b32 s27, 0
	s_delay_alu instid0(VALU_DEP_3) | instskip(NEXT) | instid1(VALU_DEP_3)
	v_mov_b32_e32 v1, v58
	v_add_co_u32 v59, s2, s34, v0
	s_delay_alu instid0(VALU_DEP_1) | instskip(SKIP_1) | instid1(VALU_DEP_1)
	v_add_co_ci_u32_e64 v60, null, s35, 0, s2
	v_add_co_u32 v61, s2, s20, v0
	v_add_co_ci_u32_e64 v62, null, s21, 0, s2
	s_waitcnt lgkmcnt(0)
	s_and_b32 s33, s0, 0xffff
	s_and_b32 s0, s1, exec_lo
	v_add_lshl_u32 v4, v57, s33, 4
	v_mad_u64_u32 v[2:3], null, s33, 48, v[0:1]
	s_cselect_b32 s29, s25, 0
	s_cselect_b32 s28, s24, 0x10000
	s_delay_alu instid0(VALU_DEP_2) | instskip(NEXT) | instid1(VALU_DEP_1)
	v_add_co_u32 v63, s0, s20, v4
	v_add_co_ci_u32_e64 v64, null, s21, 0, s0
	v_add_co_u32 v67, s0, s34, v4
	s_delay_alu instid0(VALU_DEP_1)
	v_add_co_ci_u32_e64 v68, null, s35, 0, s0
	s_lshl_b32 s0, s33, 5
	v_add_co_u32 v65, vcc_lo, s34, v2
	v_add_co_u32 v0, s0, v0, s0
	v_add_co_ci_u32_e32 v66, vcc_lo, s35, v3, vcc_lo
	v_add_co_ci_u32_e64 v1, null, 0, 0, s0
	v_add_co_u32 v69, vcc_lo, s20, v2
	v_add_co_ci_u32_e32 v70, vcc_lo, s21, v3, vcc_lo
	v_add_co_u32 v71, vcc_lo, s34, v0
	s_delay_alu instid0(VALU_DEP_4)
	v_add_co_ci_u32_e32 v72, vcc_lo, s35, v1, vcc_lo
	v_add_co_u32 v73, vcc_lo, s20, v0
	v_add_co_ci_u32_e32 v74, vcc_lo, s21, v1, vcc_lo
	s_lshl_b32 s26, s33, 2
	s_lshl_b32 s36, s33, 1
	s_mul_i32 s37, s33, 3
	s_lshl_b32 s38, s33, 6
	s_mov_b64 s[34:35], s[26:27]
	s_branch .LBB56_9
.LBB56_8:                               ;   in Loop: Header=BB56_9 Depth=1
	s_or_b32 exec_lo, exec_lo, s0
	v_add_co_u32 v57, vcc_lo, v57, s26
	v_add_co_ci_u32_e32 v58, vcc_lo, 0, v58, vcc_lo
	v_add_co_u32 v59, vcc_lo, v59, s38
	v_add_co_ci_u32_e32 v60, vcc_lo, 0, v60, vcc_lo
	;; [unrolled: 2-line block ×7, first 2 shown]
	v_cmp_ge_i64_e64 s0, s[34:35], s[24:25]
	v_cmp_lt_u64_e64 s1, 0xffff, s[34:35]
	v_add_co_u32 v71, vcc_lo, v71, s38
	v_add_co_ci_u32_e32 v72, vcc_lo, 0, v72, vcc_lo
	v_add_co_u32 v73, vcc_lo, v73, s38
	v_add_co_ci_u32_e32 v74, vcc_lo, 0, v74, vcc_lo
	s_or_b32 s0, s0, s1
	s_add_u32 s34, s34, s26
	s_addc_u32 s35, s35, 0
	s_and_b32 vcc_lo, exec_lo, s0
	s_cbranch_vccnz .LBB56_25
.LBB56_9:                               ; =>This Inner Loop Header: Depth=1
	v_mov_b32_e32 v42, 0
	v_mov_b32_e32 v43, 0
	v_cmp_gt_u64_e64 s18, s[28:29], v[57:58]
	s_delay_alu instid0(VALU_DEP_3) | instskip(NEXT) | instid1(VALU_DEP_3)
	v_mov_b32_e32 v2, v42
	v_dual_mov_b32 v0, v42 :: v_dual_mov_b32 v1, v43
	v_mov_b32_e32 v3, v43
	s_delay_alu instid0(VALU_DEP_4)
	s_and_saveexec_b32 s0, s18
	s_cbranch_execz .LBB56_11
; %bb.10:                               ;   in Loop: Header=BB56_9 Depth=1
	v_add_co_u32 v0, vcc_lo, v59, s22
	v_add_co_ci_u32_e32 v1, vcc_lo, s23, v60, vcc_lo
	global_load_b128 v[0:3], v[0:1], off offset:-8
.LBB56_11:                              ;   in Loop: Header=BB56_9 Depth=1
	s_or_b32 exec_lo, exec_lo, s0
	v_add_co_u32 v4, vcc_lo, s33, v57
	v_add_co_ci_u32_e32 v5, vcc_lo, 0, v58, vcc_lo
	v_dual_mov_b32 v40, v42 :: v_dual_mov_b32 v41, v43
	s_delay_alu instid0(VALU_DEP_2) | instskip(NEXT) | instid1(VALU_DEP_1)
	v_cmp_gt_u64_e64 s19, s[28:29], v[4:5]
	s_and_saveexec_b32 s0, s19
	s_cbranch_execz .LBB56_13
; %bb.12:                               ;   in Loop: Header=BB56_9 Depth=1
	v_add_co_u32 v4, vcc_lo, v67, s22
	v_add_co_ci_u32_e32 v5, vcc_lo, s23, v68, vcc_lo
	global_load_b128 v[40:43], v[4:5], off
.LBB56_13:                              ;   in Loop: Header=BB56_9 Depth=1
	s_or_b32 exec_lo, exec_lo, s0
	v_add_co_u32 v4, vcc_lo, s36, v57
	v_add_co_ci_u32_e32 v5, vcc_lo, 0, v58, vcc_lo
	v_mov_b32_e32 v46, 0
	v_mov_b32_e32 v47, 0
	s_delay_alu instid0(VALU_DEP_3) | instskip(NEXT) | instid1(VALU_DEP_2)
	v_cmp_gt_u64_e64 s20, s[28:29], v[4:5]
	v_dual_mov_b32 v52, v47 :: v_dual_mov_b32 v51, v46
	v_dual_mov_b32 v50, v47 :: v_dual_mov_b32 v49, v46
	s_delay_alu instid0(VALU_DEP_3)
	s_and_saveexec_b32 s0, s20
	s_cbranch_execz .LBB56_15
; %bb.14:                               ;   in Loop: Header=BB56_9 Depth=1
	v_add_co_u32 v4, vcc_lo, v71, s22
	v_add_co_ci_u32_e32 v5, vcc_lo, s23, v72, vcc_lo
	global_load_b128 v[49:52], v[4:5], off offset:-8
.LBB56_15:                              ;   in Loop: Header=BB56_9 Depth=1
	s_or_b32 exec_lo, exec_lo, s0
	v_add_co_u32 v4, vcc_lo, s37, v57
	v_add_co_ci_u32_e32 v5, vcc_lo, 0, v58, vcc_lo
	v_dual_mov_b32 v44, v46 :: v_dual_mov_b32 v45, v47
	s_delay_alu instid0(VALU_DEP_2) | instskip(NEXT) | instid1(VALU_DEP_1)
	v_cmp_gt_u64_e64 s21, s[28:29], v[4:5]
	s_and_saveexec_b32 s0, s21
	s_cbranch_execz .LBB56_17
; %bb.16:                               ;   in Loop: Header=BB56_9 Depth=1
	v_add_co_u32 v4, vcc_lo, v65, s22
	v_add_co_ci_u32_e32 v5, vcc_lo, s23, v66, vcc_lo
	global_load_b128 v[44:47], v[4:5], off offset:-8
.LBB56_17:                              ;   in Loop: Header=BB56_9 Depth=1
	s_or_b32 exec_lo, exec_lo, s0
	s_getpc_b64 s[40:41]
	s_add_u32 s40, s40, _ZNK2at6native4AsinIN3c107complexIdEEEclES4_@rel32@lo+4
	s_addc_u32 s41, s41, _ZNK2at6native4AsinIN3c107complexIdEEEclES4_@rel32@hi+12
	s_delay_alu instid0(SALU_CYCLE_1)
	s_swappc_b64 s[30:31], s[40:41]
	v_dual_mov_b32 v53, v0 :: v_dual_mov_b32 v54, v1
	v_dual_mov_b32 v55, v2 :: v_dual_mov_b32 v56, v3
	v_dual_mov_b32 v0, v40 :: v_dual_mov_b32 v1, v41
	v_dual_mov_b32 v2, v42 :: v_dual_mov_b32 v3, v43
	s_swappc_b64 s[30:31], s[40:41]
	s_delay_alu instid0(VALU_DEP_2) | instskip(NEXT) | instid1(VALU_DEP_2)
	v_dual_mov_b32 v40, v0 :: v_dual_mov_b32 v41, v1
	v_dual_mov_b32 v42, v2 :: v_dual_mov_b32 v43, v3
	;; [unrolled: 1-line block ×4, first 2 shown]
	s_swappc_b64 s[30:31], s[40:41]
	s_delay_alu instid0(VALU_DEP_2) | instskip(NEXT) | instid1(VALU_DEP_2)
	v_dual_mov_b32 v49, v0 :: v_dual_mov_b32 v50, v1
	v_dual_mov_b32 v51, v2 :: v_dual_mov_b32 v52, v3
	;; [unrolled: 1-line block ×4, first 2 shown]
	s_swappc_b64 s[30:31], s[40:41]
	s_and_saveexec_b32 s0, s18
	s_cbranch_execnz .LBB56_21
; %bb.18:                               ;   in Loop: Header=BB56_9 Depth=1
	s_or_b32 exec_lo, exec_lo, s0
	s_and_saveexec_b32 s0, s19
	s_cbranch_execnz .LBB56_22
.LBB56_19:                              ;   in Loop: Header=BB56_9 Depth=1
	s_or_b32 exec_lo, exec_lo, s0
	s_and_saveexec_b32 s0, s20
	s_cbranch_execnz .LBB56_23
.LBB56_20:                              ;   in Loop: Header=BB56_9 Depth=1
	s_or_b32 exec_lo, exec_lo, s0
	s_and_saveexec_b32 s0, s21
	s_cbranch_execz .LBB56_8
	s_branch .LBB56_24
.LBB56_21:                              ;   in Loop: Header=BB56_9 Depth=1
	v_add_co_u32 v4, vcc_lo, v61, s22
	v_add_co_ci_u32_e32 v5, vcc_lo, s23, v62, vcc_lo
	global_store_b128 v[4:5], v[53:56], off offset:-8
	s_or_b32 exec_lo, exec_lo, s0
	s_and_saveexec_b32 s0, s19
	s_cbranch_execz .LBB56_19
.LBB56_22:                              ;   in Loop: Header=BB56_9 Depth=1
	v_add_co_u32 v4, vcc_lo, v63, s22
	v_add_co_ci_u32_e32 v5, vcc_lo, s23, v64, vcc_lo
	global_store_b128 v[4:5], v[40:43], off
	s_or_b32 exec_lo, exec_lo, s0
	s_and_saveexec_b32 s0, s20
	s_cbranch_execz .LBB56_20
.LBB56_23:                              ;   in Loop: Header=BB56_9 Depth=1
	v_add_co_u32 v4, vcc_lo, v73, s22
	v_add_co_ci_u32_e32 v5, vcc_lo, s23, v74, vcc_lo
	global_store_b128 v[4:5], v[49:52], off offset:-8
	s_or_b32 exec_lo, exec_lo, s0
	s_and_saveexec_b32 s0, s21
	s_cbranch_execz .LBB56_8
.LBB56_24:                              ;   in Loop: Header=BB56_9 Depth=1
	v_add_co_u32 v4, vcc_lo, v69, s22
	v_add_co_ci_u32_e32 v5, vcc_lo, s23, v70, vcc_lo
	global_store_b128 v[4:5], v[0:3], off offset:-8
	s_branch .LBB56_8
.LBB56_25:
	s_endpgm
	.section	.rodata,"a",@progbits
	.p2align	6, 0x0
	.amdhsa_kernel _ZN2at6native12_GLOBAL__N_125multi_tensor_apply_kernelINS1_18TensorListMetadataILi2EEENS1_14UnaryOpFunctorIN3c107complexIdEELi2ELi1ELi1EEEJNS0_4AsinIS8_EEEEEvT_T0_DpT1_
		.amdhsa_group_segment_fixed_size 0
		.amdhsa_private_segment_fixed_size 12
		.amdhsa_kernarg_size 3408
		.amdhsa_user_sgpr_count 15
		.amdhsa_user_sgpr_dispatch_ptr 0
		.amdhsa_user_sgpr_queue_ptr 0
		.amdhsa_user_sgpr_kernarg_segment_ptr 1
		.amdhsa_user_sgpr_dispatch_id 0
		.amdhsa_user_sgpr_private_segment_size 0
		.amdhsa_wavefront_size32 1
		.amdhsa_uses_dynamic_stack 0
		.amdhsa_enable_private_segment 1
		.amdhsa_system_sgpr_workgroup_id_x 1
		.amdhsa_system_sgpr_workgroup_id_y 0
		.amdhsa_system_sgpr_workgroup_id_z 0
		.amdhsa_system_sgpr_workgroup_info 0
		.amdhsa_system_vgpr_workitem_id 0
		.amdhsa_next_free_vgpr 75
		.amdhsa_next_free_sgpr 42
		.amdhsa_reserve_vcc 1
		.amdhsa_float_round_mode_32 0
		.amdhsa_float_round_mode_16_64 0
		.amdhsa_float_denorm_mode_32 3
		.amdhsa_float_denorm_mode_16_64 3
		.amdhsa_dx10_clamp 1
		.amdhsa_ieee_mode 1
		.amdhsa_fp16_overflow 0
		.amdhsa_workgroup_processor_mode 1
		.amdhsa_memory_ordered 1
		.amdhsa_forward_progress 0
		.amdhsa_shared_vgpr_count 0
		.amdhsa_exception_fp_ieee_invalid_op 0
		.amdhsa_exception_fp_denorm_src 0
		.amdhsa_exception_fp_ieee_div_zero 0
		.amdhsa_exception_fp_ieee_overflow 0
		.amdhsa_exception_fp_ieee_underflow 0
		.amdhsa_exception_fp_ieee_inexact 0
		.amdhsa_exception_int_div_zero 0
	.end_amdhsa_kernel
	.section	.text._ZN2at6native12_GLOBAL__N_125multi_tensor_apply_kernelINS1_18TensorListMetadataILi2EEENS1_14UnaryOpFunctorIN3c107complexIdEELi2ELi1ELi1EEEJNS0_4AsinIS8_EEEEEvT_T0_DpT1_,"axG",@progbits,_ZN2at6native12_GLOBAL__N_125multi_tensor_apply_kernelINS1_18TensorListMetadataILi2EEENS1_14UnaryOpFunctorIN3c107complexIdEELi2ELi1ELi1EEEJNS0_4AsinIS8_EEEEEvT_T0_DpT1_,comdat
.Lfunc_end56:
	.size	_ZN2at6native12_GLOBAL__N_125multi_tensor_apply_kernelINS1_18TensorListMetadataILi2EEENS1_14UnaryOpFunctorIN3c107complexIdEELi2ELi1ELi1EEEJNS0_4AsinIS8_EEEEEvT_T0_DpT1_, .Lfunc_end56-_ZN2at6native12_GLOBAL__N_125multi_tensor_apply_kernelINS1_18TensorListMetadataILi2EEENS1_14UnaryOpFunctorIN3c107complexIdEELi2ELi1ELi1EEEJNS0_4AsinIS8_EEEEEvT_T0_DpT1_
                                        ; -- End function
	.section	.AMDGPU.csdata,"",@progbits
; Kernel info:
; codeLenInByte = 1644
; NumSgprs: 44
; NumVgprs: 75
; ScratchSize: 12
; MemoryBound: 1
; FloatMode: 240
; IeeeMode: 1
; LDSByteSize: 0 bytes/workgroup (compile time only)
; SGPRBlocks: 5
; VGPRBlocks: 9
; NumSGPRsForWavesPerEU: 44
; NumVGPRsForWavesPerEU: 75
; Occupancy: 16
; WaveLimiterHint : 0
; COMPUTE_PGM_RSRC2:SCRATCH_EN: 1
; COMPUTE_PGM_RSRC2:USER_SGPR: 15
; COMPUTE_PGM_RSRC2:TRAP_HANDLER: 0
; COMPUTE_PGM_RSRC2:TGID_X_EN: 1
; COMPUTE_PGM_RSRC2:TGID_Y_EN: 0
; COMPUTE_PGM_RSRC2:TGID_Z_EN: 0
; COMPUTE_PGM_RSRC2:TIDIG_COMP_CNT: 0
	.section	.text._ZN2at6native12_GLOBAL__N_125multi_tensor_apply_kernelINS1_18TensorListMetadataILi2EEENS1_14UnaryOpFunctorIN3c107complexIfEELi2ELi1ELi1EEEJNS0_4AsinIS8_EEEEEvT_T0_DpT1_,"axG",@progbits,_ZN2at6native12_GLOBAL__N_125multi_tensor_apply_kernelINS1_18TensorListMetadataILi2EEENS1_14UnaryOpFunctorIN3c107complexIfEELi2ELi1ELi1EEEJNS0_4AsinIS8_EEEEEvT_T0_DpT1_,comdat
	.globl	_ZN2at6native12_GLOBAL__N_125multi_tensor_apply_kernelINS1_18TensorListMetadataILi2EEENS1_14UnaryOpFunctorIN3c107complexIfEELi2ELi1ELi1EEEJNS0_4AsinIS8_EEEEEvT_T0_DpT1_ ; -- Begin function _ZN2at6native12_GLOBAL__N_125multi_tensor_apply_kernelINS1_18TensorListMetadataILi2EEENS1_14UnaryOpFunctorIN3c107complexIfEELi2ELi1ELi1EEEJNS0_4AsinIS8_EEEEEvT_T0_DpT1_
	.p2align	8
	.type	_ZN2at6native12_GLOBAL__N_125multi_tensor_apply_kernelINS1_18TensorListMetadataILi2EEENS1_14UnaryOpFunctorIN3c107complexIfEELi2ELi1ELi1EEEJNS0_4AsinIS8_EEEEEvT_T0_DpT1_,@function
_ZN2at6native12_GLOBAL__N_125multi_tensor_apply_kernelINS1_18TensorListMetadataILi2EEENS1_14UnaryOpFunctorIN3c107complexIfEELi2ELi1ELi1EEEJNS0_4AsinIS8_EEEEEvT_T0_DpT1_: ; @_ZN2at6native12_GLOBAL__N_125multi_tensor_apply_kernelINS1_18TensorListMetadataILi2EEENS1_14UnaryOpFunctorIN3c107complexIfEELi2ELi1ELi1EEEJNS0_4AsinIS8_EEEEEvT_T0_DpT1_
; %bb.0:
	v_mov_b32_e32 v1, s15
	s_add_u32 s2, s0, s15
	s_mul_hi_u32 s3, s15, 3
	s_mul_i32 s15, s15, 3
	s_addc_u32 s4, s1, 0
	global_load_u8 v1, v1, s[0:1] offset:1536
	s_add_u32 s2, s2, s15
	s_addc_u32 s3, s4, s3
	s_mov_b32 s11, 0
	s_load_b32 s2, s[2:3], 0x740
	s_mov_b32 s13, s11
	s_mov_b32 s15, s11
	s_waitcnt vmcnt(0)
	v_readfirstlane_b32 s5, v1
	s_delay_alu instid0(VALU_DEP_1)
	s_lshl_b32 s3, s5, 3
	s_clause 0x2
	s_load_b64 s[18:19], s[0:1], s3 offset:0x0
	s_load_b64 s[4:5], s[0:1], s3 offset:0x200
	;; [unrolled: 1-line block ×3, first 2 shown]
	s_waitcnt lgkmcnt(0)
	s_ashr_i32 s3, s2, 31
	s_delay_alu instid0(SALU_CYCLE_1) | instskip(NEXT) | instid1(SALU_CYCLE_1)
	s_lshl_b64 s[6:7], s[2:3], 19
	s_add_u32 s16, s18, s6
	s_addc_u32 s17, s19, s7
	s_add_u32 s20, s4, s6
	s_addc_u32 s21, s5, s7
	s_and_b32 s12, s16, 31
	s_and_b32 s14, s8, 3
	;; [unrolled: 1-line block ×3, first 2 shown]
	s_or_b64 s[12:13], s[12:13], s[14:15]
	s_lshl_b64 s[2:3], s[2:3], 16
	s_or_b64 s[10:11], s[10:11], s[12:13]
	s_sub_u32 s8, s8, s2
	s_subb_u32 s9, s9, s3
	s_cmp_eq_u64 s[10:11], 0
	s_mov_b32 s2, -1
	s_cbranch_scc0 .LBB57_397
; %bb.1:
	v_dual_mov_b32 v2, 0 :: v_dual_lshlrev_b32 v1, 2, v0
	s_mov_b32 s22, exec_lo
	s_delay_alu instid0(VALU_DEP_1)
	v_cmpx_gt_i64_e64 s[8:9], v[1:2]
	s_cbranch_execz .LBB57_396
; %bb.2:
	v_dual_mov_b32 v1, v2 :: v_dual_mov_b32 v18, 0x4016cbe4
	v_mov_b32_e32 v17, 0xd800000
	s_mov_b64 s[12:13], src_private_base
	s_add_u32 s10, s0, 0xc50
	s_delay_alu instid0(VALU_DEP_2)
	v_dual_mov_b32 v14, v1 :: v_dual_mov_b32 v13, v0
	s_addc_u32 s11, s1, 0
	s_mov_b32 s12, 0
	s_mov_b32 s14, 4
	;; [unrolled: 1-line block ×7, first 2 shown]
	s_branch .LBB57_5
.LBB57_3:                               ;   in Loop: Header=BB57_5 Depth=1
	s_or_b32 exec_lo, exec_lo, s3
.LBB57_4:                               ;   in Loop: Header=BB57_5 Depth=1
	s_delay_alu instid0(SALU_CYCLE_1)
	s_or_b32 exec_lo, exec_lo, s2
	v_add_co_u32 v1, vcc_lo, s20, v15
	s_waitcnt lgkmcnt(0)
	v_add_co_ci_u32_e32 v2, vcc_lo, s21, v16, vcc_lo
	s_clause 0x1
	global_store_b128 v[1:2], v[5:8], off
	global_store_b128 v[1:2], v[9:12], off offset:16
	s_load_b32 s2, s[10:11], 0xc
	s_waitcnt lgkmcnt(0)
	s_and_b32 s2, s2, 0xffff
	s_delay_alu instid0(SALU_CYCLE_1) | instskip(SKIP_1) | instid1(VALU_DEP_1)
	v_add_co_u32 v13, vcc_lo, v13, s2
	v_add_co_ci_u32_e32 v14, vcc_lo, 0, v14, vcc_lo
	v_lshlrev_b64 v[1:2], 2, v[13:14]
	s_delay_alu instid0(VALU_DEP_1) | instskip(SKIP_1) | instid1(VALU_DEP_1)
	v_cmp_le_i64_e32 vcc_lo, s[8:9], v[1:2]
	v_cmp_lt_u64_e64 s2, 0xffff, v[1:2]
	s_or_b32 s2, vcc_lo, s2
	s_delay_alu instid0(SALU_CYCLE_1) | instskip(NEXT) | instid1(SALU_CYCLE_1)
	s_and_b32 s2, exec_lo, s2
	s_or_b32 s23, s2, s23
	s_delay_alu instid0(SALU_CYCLE_1)
	s_and_not1_b32 exec_lo, exec_lo, s23
	s_cbranch_execz .LBB57_396
.LBB57_5:                               ; =>This Inner Loop Header: Depth=1
	v_lshlrev_b64 v[15:16], 5, v[13:14]
                                        ; implicit-def: $vgpr5
	s_delay_alu instid0(VALU_DEP_1) | instskip(NEXT) | instid1(VALU_DEP_2)
	v_add_co_u32 v1, vcc_lo, s16, v15
	v_add_co_ci_u32_e32 v2, vcc_lo, s17, v16, vcc_lo
	s_clause 0x1
	global_load_b128 v[9:12], v[1:2], off
	global_load_b128 v[1:4], v[1:2], off offset:16
	s_waitcnt vmcnt(1)
	v_cmp_o_f32_e32 vcc_lo, v10, v10
	v_cmp_o_f32_e64 s2, v9, v9
	s_delay_alu instid0(VALU_DEP_1) | instskip(NEXT) | instid1(SALU_CYCLE_1)
	s_and_b32 s2, vcc_lo, s2
	s_and_saveexec_b32 s3, s2
	s_delay_alu instid0(SALU_CYCLE_1)
	s_xor_b32 s27, exec_lo, s3
	s_cbranch_execz .LBB57_89
; %bb.6:                                ;   in Loop: Header=BB57_5 Depth=1
	v_max_f32_e64 v8, |v10|, |v10|
	v_max_f32_e64 v19, |v9|, |v9|
                                        ; implicit-def: $vgpr5
	s_mov_b32 s2, exec_lo
	s_delay_alu instid0(VALU_DEP_1) | instskip(NEXT) | instid1(VALU_DEP_1)
	v_max_f32_e32 v7, v19, v8
	v_cmpx_nlt_f32_e32 0x4b000000, v7
	s_xor_b32 s28, exec_lo, s2
	s_cbranch_execz .LBB57_66
; %bb.7:                                ;   in Loop: Header=BB57_5 Depth=1
	v_cmp_neq_f32_e32 vcc_lo, 0, v10
	v_cmp_neq_f32_e64 s2, 0, v9
	v_dual_mov_b32 v5, v9 :: v_dual_mov_b32 v6, v10
	s_delay_alu instid0(VALU_DEP_2) | instskip(NEXT) | instid1(SALU_CYCLE_1)
	s_or_b32 s2, vcc_lo, s2
	s_and_saveexec_b32 s29, s2
	s_cbranch_execz .LBB57_65
; %bb.8:                                ;   in Loop: Header=BB57_5 Depth=1
	v_dual_mov_b32 v5, s12 :: v_dual_mov_b32 v6, s13
	v_cmp_ngt_f32_e64 s2, 0x395db3d7, |v10|
	v_cmp_ngt_f32_e64 s3, 0x395db3d7, |v9|
	flat_store_b32 v[5:6], v17 dlc
	s_waitcnt_vscnt null, 0x0
	flat_load_b32 v5, v[5:6] glc dlc
	s_waitcnt vmcnt(0)
	s_or_b32 s2, s3, s2
	s_waitcnt lgkmcnt(0)
	v_add_f32_e32 v7, 1.0, v5
	v_dual_mov_b32 v5, s14 :: v_dual_mov_b32 v6, s15
	flat_store_b32 v[5:6], v7 dlc
	s_waitcnt_vscnt null, 0x0
	flat_load_b32 v5, v[5:6] glc dlc
	s_waitcnt vmcnt(0) lgkmcnt(0)
	v_dual_mov_b32 v6, v10 :: v_dual_mov_b32 v5, v9
	s_and_saveexec_b32 s30, s2
	s_cbranch_execz .LBB57_64
; %bb.9:                                ;   in Loop: Header=BB57_5 Depth=1
	v_add_f32_e64 v7, |v9|, 1.0
	v_add_f32_e64 v6, |v9|, -1.0
	s_mov_b32 s2, exec_lo
	s_delay_alu instid0(VALU_DEP_2) | instskip(NEXT) | instid1(VALU_DEP_2)
	v_max_f32_e64 v5, v8, |v7|
	v_max_f32_e64 v8, v8, |v6|
	s_delay_alu instid0(VALU_DEP_2) | instskip(NEXT) | instid1(VALU_DEP_2)
	v_cvt_f64_f32_e32 v[19:20], v5
	v_cvt_f64_f32_e32 v[21:22], v8
	v_cmp_neq_f32_e32 vcc_lo, 0x7f800000, v5
	s_delay_alu instid0(VALU_DEP_3) | instskip(NEXT) | instid1(VALU_DEP_3)
	v_frexp_exp_i32_f64_e32 v19, v[19:20]
	v_frexp_exp_i32_f64_e32 v20, v[21:22]
	s_delay_alu instid0(VALU_DEP_2) | instskip(NEXT) | instid1(VALU_DEP_2)
	v_sub_nc_u32_e32 v21, 0, v19
	v_sub_nc_u32_e32 v22, 0, v20
	s_delay_alu instid0(VALU_DEP_2) | instskip(NEXT) | instid1(VALU_DEP_2)
	v_ldexp_f32 v23, |v7|, v21
	v_ldexp_f32 v24, |v6|, v22
	;; [unrolled: 1-line block ×4, first 2 shown]
	s_delay_alu instid0(VALU_DEP_3) | instskip(NEXT) | instid1(VALU_DEP_1)
	v_dual_mul_f32 v23, v23, v23 :: v_dual_mul_f32 v24, v24, v24
	v_dual_fmac_f32 v23, v21, v21 :: v_dual_fmac_f32 v24, v22, v22
	s_delay_alu instid0(VALU_DEP_1) | instskip(NEXT) | instid1(VALU_DEP_1)
	v_sqrt_f32_e32 v21, v23
	v_sqrt_f32_e32 v22, v24
	s_waitcnt_depctr 0xfff
	v_ldexp_f32 v19, v21, v19
	v_ldexp_f32 v21, v22, v20
	s_delay_alu instid0(VALU_DEP_2) | instskip(SKIP_1) | instid1(VALU_DEP_3)
	v_cndmask_b32_e32 v20, 0x7f800000, v19, vcc_lo
	v_cmp_neq_f32_e32 vcc_lo, 0x7f800000, v8
	v_cndmask_b32_e32 v8, 0x7f800000, v21, vcc_lo
                                        ; implicit-def: $vgpr21
	s_delay_alu instid0(VALU_DEP_1) | instskip(NEXT) | instid1(VALU_DEP_1)
	v_add_f32_e32 v5, v20, v8
	v_mul_f32_e32 v5, 0.5, v5
	s_delay_alu instid0(VALU_DEP_1) | instskip(SKIP_1) | instid1(VALU_DEP_1)
	v_cmp_ngt_f32_e32 vcc_lo, 1.0, v5
	v_cndmask_b32_e32 v5, 1.0, v5, vcc_lo
	v_cmpx_ngt_f32_e32 0x41200000, v5
	s_xor_b32 s3, exec_lo, s2
	s_cbranch_execz .LBB57_11
; %bb.10:                               ;   in Loop: Header=BB57_5 Depth=1
	v_fma_f32 v19, v5, v5, -1.0
	s_delay_alu instid0(VALU_DEP_1) | instskip(SKIP_1) | instid1(VALU_DEP_2)
	v_mul_f32_e32 v21, 0x4f800000, v19
	v_cmp_gt_f32_e32 vcc_lo, 0xf800000, v19
	v_cndmask_b32_e32 v19, v19, v21, vcc_lo
	s_delay_alu instid0(VALU_DEP_1) | instskip(SKIP_3) | instid1(VALU_DEP_2)
	v_sqrt_f32_e32 v21, v19
	s_waitcnt_depctr 0xfff
	v_add_nc_u32_e32 v22, -1, v21
	v_add_nc_u32_e32 v23, 1, v21
	v_fma_f32 v24, -v22, v21, v19
	s_delay_alu instid0(VALU_DEP_2) | instskip(NEXT) | instid1(VALU_DEP_2)
	v_fma_f32 v25, -v23, v21, v19
	v_cmp_ge_f32_e64 s2, 0, v24
	s_delay_alu instid0(VALU_DEP_1) | instskip(NEXT) | instid1(VALU_DEP_3)
	v_cndmask_b32_e64 v21, v21, v22, s2
	v_cmp_lt_f32_e64 s2, 0, v25
	s_delay_alu instid0(VALU_DEP_1) | instskip(NEXT) | instid1(VALU_DEP_1)
	v_cndmask_b32_e64 v21, v21, v23, s2
	v_mul_f32_e32 v22, 0x37800000, v21
	s_delay_alu instid0(VALU_DEP_1) | instskip(SKIP_1) | instid1(VALU_DEP_2)
	v_cndmask_b32_e32 v21, v21, v22, vcc_lo
	v_cmp_class_f32_e64 vcc_lo, v19, 0x260
	v_cndmask_b32_e32 v19, v21, v19, vcc_lo
	s_delay_alu instid0(VALU_DEP_1) | instskip(NEXT) | instid1(VALU_DEP_1)
	v_add_f32_e32 v19, v5, v19
	v_cmp_gt_f32_e32 vcc_lo, 0x800000, v19
	s_delay_alu instid0(VALU_DEP_4) | instskip(NEXT) | instid1(VALU_DEP_1)
	v_cndmask_b32_e64 v21, 1.0, 0x4f800000, vcc_lo
	v_mul_f32_e32 v19, v19, v21
	s_delay_alu instid0(VALU_DEP_1) | instskip(SKIP_3) | instid1(VALU_DEP_2)
	v_log_f32_e32 v19, v19
	s_waitcnt_depctr 0xfff
	v_mul_f32_e32 v21, 0x3f317217, v19
	v_cmp_gt_f32_e64 s2, 0x7f800000, |v19|
	v_fma_f32 v22, 0x3f317217, v19, -v21
	s_delay_alu instid0(VALU_DEP_1) | instskip(NEXT) | instid1(VALU_DEP_1)
	v_fmac_f32_e32 v22, 0x3377d1cf, v19
	v_add_f32_e32 v21, v21, v22
	s_delay_alu instid0(VALU_DEP_1) | instskip(SKIP_1) | instid1(VALU_DEP_1)
	v_cndmask_b32_e64 v19, v19, v21, s2
	v_cndmask_b32_e64 v21, 0, 0x41b17218, vcc_lo
	v_sub_f32_e32 v21, v19, v21
.LBB57_11:                              ;   in Loop: Header=BB57_5 Depth=1
	s_or_saveexec_b32 s3, s3
	v_and_b32_e32 v19, 0x7fffffff, v10
	s_xor_b32 exec_lo, exec_lo, s3
	s_cbranch_execz .LBB57_33
; %bb.12:                               ;   in Loop: Header=BB57_5 Depth=1
	v_cmp_neq_f32_e64 s2, |v9|, 1.0
	v_cmp_ngt_f32_e64 s31, 0x25000000, |v10|
                                        ; implicit-def: $vgpr21
	s_delay_alu instid0(VALU_DEP_1) | instskip(NEXT) | instid1(SALU_CYCLE_1)
	s_or_b32 s2, s2, s31
	s_and_saveexec_b32 s31, s2
	s_delay_alu instid0(SALU_CYCLE_1)
	s_xor_b32 s31, exec_lo, s31
	s_cbranch_execz .LBB57_30
; %bb.13:                               ;   in Loop: Header=BB57_5 Depth=1
	v_mul_f32_e64 v21, 0x34000000, |v6|
	s_delay_alu instid0(VALU_DEP_1) | instskip(NEXT) | instid1(VALU_DEP_1)
	v_cmp_le_f32_e64 s2, v21, |v10|
                                        ; implicit-def: $vgpr21
	s_and_saveexec_b32 s33, s2
	s_delay_alu instid0(SALU_CYCLE_1)
	s_xor_b32 s33, exec_lo, s33
	s_cbranch_execz .LBB57_23
; %bb.14:                               ;   in Loop: Header=BB57_5 Depth=1
	v_mov_b32_e32 v21, v19
	s_mov_b32 s2, exec_lo
	v_cmpx_neq_f32_e32 0, v7
	s_cbranch_execz .LBB57_16
; %bb.15:                               ;   in Loop: Header=BB57_5 Depth=1
	v_dual_mul_f32 v21, v10, v10 :: v_dual_add_f32 v22, v7, v20
	s_delay_alu instid0(VALU_DEP_1) | instskip(NEXT) | instid1(VALU_DEP_1)
	v_div_scale_f32 v23, null, v22, v22, v21
	v_rcp_f32_e32 v24, v23
	s_waitcnt_depctr 0xfff
	v_fma_f32 v25, -v23, v24, 1.0
	s_delay_alu instid0(VALU_DEP_1) | instskip(SKIP_1) | instid1(VALU_DEP_1)
	v_fmac_f32_e32 v24, v25, v24
	v_div_scale_f32 v25, vcc_lo, v21, v22, v21
	v_mul_f32_e32 v26, v25, v24
	s_delay_alu instid0(VALU_DEP_1) | instskip(NEXT) | instid1(VALU_DEP_1)
	v_fma_f32 v27, -v23, v26, v25
	v_fmac_f32_e32 v26, v27, v24
	s_delay_alu instid0(VALU_DEP_1) | instskip(NEXT) | instid1(VALU_DEP_1)
	v_fma_f32 v23, -v23, v26, v25
	v_div_fmas_f32 v23, v23, v24, v26
	s_delay_alu instid0(VALU_DEP_1)
	v_div_fixup_f32 v21, v23, v22, v21
.LBB57_16:                              ;   in Loop: Header=BB57_5 Depth=1
	s_or_b32 exec_lo, exec_lo, s2
	v_sub_f32_e64 v23, 1.0, |v9|
	s_mov_b32 s2, exec_lo
                                        ; implicit-def: $vgpr22
	s_delay_alu instid0(VALU_DEP_1)
	v_cmpx_ngt_f32_e32 0, v23
	s_xor_b32 s2, exec_lo, s2
	s_cbranch_execz .LBB57_20
; %bb.17:                               ;   in Loop: Header=BB57_5 Depth=1
	v_mov_b32_e32 v22, v19
	s_mov_b32 s34, exec_lo
	v_cmpx_neq_f32_e32 0, v23
	s_cbranch_execz .LBB57_19
; %bb.18:                               ;   in Loop: Header=BB57_5 Depth=1
	v_dual_mul_f32 v22, v10, v10 :: v_dual_add_f32 v23, v23, v8
	s_delay_alu instid0(VALU_DEP_1) | instskip(NEXT) | instid1(VALU_DEP_1)
	v_div_scale_f32 v24, null, v23, v23, v22
	v_rcp_f32_e32 v25, v24
	s_waitcnt_depctr 0xfff
	v_fma_f32 v26, -v24, v25, 1.0
	s_delay_alu instid0(VALU_DEP_1) | instskip(SKIP_1) | instid1(VALU_DEP_1)
	v_fmac_f32_e32 v25, v26, v25
	v_div_scale_f32 v26, vcc_lo, v22, v23, v22
	v_mul_f32_e32 v27, v26, v25
	s_delay_alu instid0(VALU_DEP_1) | instskip(NEXT) | instid1(VALU_DEP_1)
	v_fma_f32 v28, -v24, v27, v26
	v_fmac_f32_e32 v27, v28, v25
	s_delay_alu instid0(VALU_DEP_1) | instskip(NEXT) | instid1(VALU_DEP_1)
	v_fma_f32 v24, -v24, v27, v26
	v_div_fmas_f32 v24, v24, v25, v27
	s_delay_alu instid0(VALU_DEP_1)
	v_div_fixup_f32 v22, v24, v23, v22
.LBB57_19:                              ;   in Loop: Header=BB57_5 Depth=1
	s_or_b32 exec_lo, exec_lo, s34
                                        ; implicit-def: $vgpr23
.LBB57_20:                              ;   in Loop: Header=BB57_5 Depth=1
	s_and_not1_saveexec_b32 s2, s2
; %bb.21:                               ;   in Loop: Header=BB57_5 Depth=1
	v_sub_f32_e32 v22, v8, v23
; %bb.22:                               ;   in Loop: Header=BB57_5 Depth=1
	s_or_b32 exec_lo, exec_lo, s2
	s_delay_alu instid0(VALU_DEP_1) | instskip(NEXT) | instid1(VALU_DEP_1)
	v_dual_mul_f32 v22, 0.5, v22 :: v_dual_add_f32 v23, 1.0, v5
	v_fmac_f32_e32 v22, 0.5, v21
	s_delay_alu instid0(VALU_DEP_1) | instskip(NEXT) | instid1(VALU_DEP_1)
	v_mul_f32_e32 v21, v23, v22
	v_mul_f32_e32 v23, 0x4f800000, v21
	v_cmp_gt_f32_e32 vcc_lo, 0xf800000, v21
	s_delay_alu instid0(VALU_DEP_2) | instskip(NEXT) | instid1(VALU_DEP_1)
	v_cndmask_b32_e32 v21, v21, v23, vcc_lo
	v_sqrt_f32_e32 v23, v21
	s_waitcnt_depctr 0xfff
	v_add_nc_u32_e32 v24, -1, v23
	v_add_nc_u32_e32 v25, 1, v23
	s_delay_alu instid0(VALU_DEP_2) | instskip(NEXT) | instid1(VALU_DEP_2)
	v_fma_f32 v26, -v24, v23, v21
	v_fma_f32 v27, -v25, v23, v21
	s_delay_alu instid0(VALU_DEP_2) | instskip(NEXT) | instid1(VALU_DEP_1)
	v_cmp_ge_f32_e64 s2, 0, v26
	v_cndmask_b32_e64 v23, v23, v24, s2
	s_delay_alu instid0(VALU_DEP_3) | instskip(NEXT) | instid1(VALU_DEP_1)
	v_cmp_lt_f32_e64 s2, 0, v27
	v_cndmask_b32_e64 v23, v23, v25, s2
	s_delay_alu instid0(VALU_DEP_1) | instskip(NEXT) | instid1(VALU_DEP_1)
	v_mul_f32_e32 v24, 0x37800000, v23
	v_cndmask_b32_e32 v23, v23, v24, vcc_lo
	v_cmp_class_f32_e64 vcc_lo, v21, 0x260
	s_delay_alu instid0(VALU_DEP_2) | instskip(NEXT) | instid1(VALU_DEP_1)
	v_cndmask_b32_e32 v21, v23, v21, vcc_lo
	v_add_f32_e32 v23, v22, v21
	s_delay_alu instid0(VALU_DEP_1) | instskip(NEXT) | instid1(VALU_DEP_1)
	v_add_f32_e32 v24, 1.0, v23
	v_cvt_f64_f32_e32 v[21:22], v24
	s_delay_alu instid0(VALU_DEP_1) | instskip(SKIP_1) | instid1(VALU_DEP_1)
	v_frexp_exp_i32_f64_e32 v21, v[21:22]
	v_frexp_mant_f32_e32 v22, v24
	v_cmp_gt_f32_e32 vcc_lo, 0x3f2aaaab, v22
	v_add_f32_e32 v22, -1.0, v24
	s_delay_alu instid0(VALU_DEP_1) | instskip(NEXT) | instid1(VALU_DEP_1)
	v_sub_f32_e32 v26, v22, v24
	v_add_f32_e32 v26, 1.0, v26
	v_subrev_co_ci_u32_e32 v21, vcc_lo, 0, v21, vcc_lo
	s_delay_alu instid0(VALU_DEP_1) | instskip(SKIP_1) | instid1(VALU_DEP_2)
	v_sub_nc_u32_e32 v25, 0, v21
	v_cvt_f32_i32_e32 v21, v21
	v_ldexp_f32 v24, v24, v25
	s_delay_alu instid0(VALU_DEP_1) | instskip(NEXT) | instid1(VALU_DEP_1)
	v_dual_sub_f32 v22, v23, v22 :: v_dual_add_f32 v27, 1.0, v24
	v_add_f32_e32 v22, v22, v26
	s_delay_alu instid0(VALU_DEP_2) | instskip(NEXT) | instid1(VALU_DEP_2)
	v_add_f32_e32 v26, -1.0, v27
	v_ldexp_f32 v22, v22, v25
	v_add_f32_e32 v25, -1.0, v24
	v_cmp_eq_f32_e32 vcc_lo, 0x7f800000, v23
	s_delay_alu instid0(VALU_DEP_4) | instskip(NEXT) | instid1(VALU_DEP_3)
	v_sub_f32_e32 v26, v24, v26
	v_add_f32_e32 v28, 1.0, v25
	s_delay_alu instid0(VALU_DEP_2) | instskip(NEXT) | instid1(VALU_DEP_2)
	v_add_f32_e32 v26, v22, v26
	v_sub_f32_e32 v24, v24, v28
	s_delay_alu instid0(VALU_DEP_1) | instskip(NEXT) | instid1(VALU_DEP_1)
	v_add_f32_e32 v22, v22, v24
	v_add_f32_e32 v29, v25, v22
	s_delay_alu instid0(VALU_DEP_1) | instskip(NEXT) | instid1(VALU_DEP_1)
	v_dual_add_f32 v28, v27, v26 :: v_dual_sub_f32 v25, v29, v25
	v_rcp_f32_e32 v24, v28
	v_sub_f32_e32 v27, v28, v27
	s_delay_alu instid0(VALU_DEP_1) | instskip(SKIP_2) | instid1(VALU_DEP_1)
	v_sub_f32_e32 v26, v26, v27
	s_waitcnt_depctr 0xfff
	v_mul_f32_e32 v30, v29, v24
	v_mul_f32_e32 v31, v28, v30
	s_delay_alu instid0(VALU_DEP_1) | instskip(NEXT) | instid1(VALU_DEP_1)
	v_fma_f32 v27, v30, v28, -v31
	v_fmac_f32_e32 v27, v30, v26
	v_sub_f32_e32 v22, v22, v25
	s_delay_alu instid0(VALU_DEP_2) | instskip(NEXT) | instid1(VALU_DEP_1)
	v_add_f32_e32 v32, v31, v27
	v_sub_f32_e32 v33, v29, v32
	v_sub_f32_e32 v25, v32, v31
	s_delay_alu instid0(VALU_DEP_2) | instskip(NEXT) | instid1(VALU_DEP_2)
	v_sub_f32_e32 v29, v29, v33
	v_sub_f32_e32 v25, v25, v27
	s_delay_alu instid0(VALU_DEP_2) | instskip(NEXT) | instid1(VALU_DEP_1)
	v_sub_f32_e32 v29, v29, v32
	v_add_f32_e32 v22, v22, v29
	s_delay_alu instid0(VALU_DEP_1) | instskip(NEXT) | instid1(VALU_DEP_1)
	v_add_f32_e32 v22, v25, v22
	v_add_f32_e32 v25, v33, v22
	s_delay_alu instid0(VALU_DEP_1) | instskip(NEXT) | instid1(VALU_DEP_1)
	v_mul_f32_e32 v27, v24, v25
	v_dual_sub_f32 v32, v33, v25 :: v_dual_mul_f32 v29, v28, v27
	s_delay_alu instid0(VALU_DEP_1) | instskip(NEXT) | instid1(VALU_DEP_2)
	v_add_f32_e32 v22, v22, v32
	v_fma_f32 v28, v27, v28, -v29
	s_delay_alu instid0(VALU_DEP_1) | instskip(NEXT) | instid1(VALU_DEP_1)
	v_fmac_f32_e32 v28, v27, v26
	v_add_f32_e32 v26, v29, v28
	s_delay_alu instid0(VALU_DEP_1) | instskip(NEXT) | instid1(VALU_DEP_1)
	v_sub_f32_e32 v31, v25, v26
	v_sub_f32_e32 v25, v25, v31
	s_delay_alu instid0(VALU_DEP_1) | instskip(NEXT) | instid1(VALU_DEP_1)
	v_sub_f32_e32 v25, v25, v26
	v_add_f32_e32 v22, v22, v25
	v_add_f32_e32 v25, v30, v27
	v_sub_f32_e32 v29, v26, v29
	s_delay_alu instid0(VALU_DEP_1) | instskip(NEXT) | instid1(VALU_DEP_1)
	v_sub_f32_e32 v26, v29, v28
	v_add_f32_e32 v22, v26, v22
	s_delay_alu instid0(VALU_DEP_4) | instskip(NEXT) | instid1(VALU_DEP_2)
	v_sub_f32_e32 v26, v25, v30
	v_add_f32_e32 v22, v31, v22
	s_delay_alu instid0(VALU_DEP_2) | instskip(NEXT) | instid1(VALU_DEP_2)
	v_sub_f32_e32 v26, v27, v26
	v_mul_f32_e32 v22, v24, v22
	s_delay_alu instid0(VALU_DEP_1) | instskip(NEXT) | instid1(VALU_DEP_1)
	v_add_f32_e32 v22, v26, v22
	v_add_f32_e32 v24, v25, v22
	s_delay_alu instid0(VALU_DEP_1) | instskip(NEXT) | instid1(VALU_DEP_1)
	v_mul_f32_e32 v26, v24, v24
	v_fmaak_f32 v27, s24, v26, 0x3ecc95a3
	v_mul_f32_e32 v28, v24, v26
	s_delay_alu instid0(VALU_DEP_2) | instskip(SKIP_2) | instid1(VALU_DEP_3)
	v_fmaak_f32 v26, v26, v27, 0x3f2aaada
	v_ldexp_f32 v27, v24, 1
	v_sub_f32_e32 v24, v24, v25
	v_mul_f32_e32 v26, v28, v26
	v_mul_f32_e32 v28, 0x3f317218, v21
	s_delay_alu instid0(VALU_DEP_2) | instskip(NEXT) | instid1(VALU_DEP_1)
	v_dual_sub_f32 v22, v22, v24 :: v_dual_add_f32 v25, v27, v26
	v_ldexp_f32 v22, v22, 1
	s_delay_alu instid0(VALU_DEP_2) | instskip(NEXT) | instid1(VALU_DEP_4)
	v_sub_f32_e32 v24, v25, v27
	v_fma_f32 v27, 0x3f317218, v21, -v28
	s_delay_alu instid0(VALU_DEP_1) | instskip(NEXT) | instid1(VALU_DEP_1)
	v_dual_sub_f32 v24, v26, v24 :: v_dual_fmac_f32 v27, 0xb102e308, v21
	v_dual_add_f32 v21, v22, v24 :: v_dual_add_f32 v22, v28, v27
	s_delay_alu instid0(VALU_DEP_1) | instskip(NEXT) | instid1(VALU_DEP_2)
	v_add_f32_e32 v24, v25, v21
	v_sub_f32_e32 v28, v22, v28
	s_delay_alu instid0(VALU_DEP_2) | instskip(NEXT) | instid1(VALU_DEP_2)
	v_dual_add_f32 v26, v22, v24 :: v_dual_sub_f32 v25, v24, v25
	v_sub_f32_e32 v27, v27, v28
	s_delay_alu instid0(VALU_DEP_2) | instskip(NEXT) | instid1(VALU_DEP_3)
	v_sub_f32_e32 v29, v26, v22
	v_sub_f32_e32 v21, v21, v25
	s_delay_alu instid0(VALU_DEP_2) | instskip(SKIP_1) | instid1(VALU_DEP_2)
	v_sub_f32_e32 v30, v26, v29
	v_sub_f32_e32 v24, v24, v29
	v_dual_add_f32 v25, v27, v21 :: v_dual_sub_f32 v22, v22, v30
	s_delay_alu instid0(VALU_DEP_1) | instskip(NEXT) | instid1(VALU_DEP_2)
	v_add_f32_e32 v22, v24, v22
	v_sub_f32_e32 v24, v25, v27
	s_delay_alu instid0(VALU_DEP_2) | instskip(NEXT) | instid1(VALU_DEP_2)
	v_add_f32_e32 v22, v25, v22
	v_sub_f32_e32 v25, v25, v24
	s_delay_alu instid0(VALU_DEP_2) | instskip(NEXT) | instid1(VALU_DEP_1)
	v_dual_sub_f32 v21, v21, v24 :: v_dual_add_f32 v28, v26, v22
	v_dual_sub_f32 v25, v27, v25 :: v_dual_sub_f32 v24, v28, v26
	s_delay_alu instid0(VALU_DEP_1) | instskip(NEXT) | instid1(VALU_DEP_1)
	v_dual_add_f32 v21, v21, v25 :: v_dual_sub_f32 v22, v22, v24
	v_add_f32_e32 v21, v21, v22
	s_delay_alu instid0(VALU_DEP_1) | instskip(NEXT) | instid1(VALU_DEP_1)
	v_add_f32_e32 v21, v28, v21
	v_cndmask_b32_e32 v21, v21, v23, vcc_lo
	v_cmp_ngt_f32_e32 vcc_lo, -1.0, v23
	s_delay_alu instid0(VALU_DEP_2) | instskip(SKIP_1) | instid1(VALU_DEP_2)
	v_cndmask_b32_e32 v21, 0x7fc00000, v21, vcc_lo
	v_cmp_neq_f32_e32 vcc_lo, -1.0, v23
	v_cndmask_b32_e32 v21, 0xff800000, v21, vcc_lo
	v_cmp_gt_f32_e64 vcc_lo, 0x33800000, |v23|
	s_delay_alu instid0(VALU_DEP_2)
	v_cndmask_b32_e32 v21, v21, v23, vcc_lo
.LBB57_23:                              ;   in Loop: Header=BB57_5 Depth=1
	s_and_not1_saveexec_b32 s33, s33
	s_cbranch_execz .LBB57_29
; %bb.24:                               ;   in Loop: Header=BB57_5 Depth=1
	s_mov_b32 s34, exec_lo
                                        ; implicit-def: $vgpr21
	v_cmpx_nlt_f32_e64 |v9|, 1.0
	s_xor_b32 s34, exec_lo, s34
	s_cbranch_execz .LBB57_26
; %bb.25:                               ;   in Loop: Header=BB57_5 Depth=1
	v_mul_f32_e32 v21, v6, v7
	s_delay_alu instid0(VALU_DEP_1) | instskip(SKIP_1) | instid1(VALU_DEP_2)
	v_mul_f32_e32 v22, 0x4f800000, v21
	v_cmp_gt_f32_e32 vcc_lo, 0xf800000, v21
	v_cndmask_b32_e32 v21, v21, v22, vcc_lo
	s_delay_alu instid0(VALU_DEP_1) | instskip(SKIP_3) | instid1(VALU_DEP_2)
	v_sqrt_f32_e32 v22, v21
	s_waitcnt_depctr 0xfff
	v_add_nc_u32_e32 v23, -1, v22
	v_add_nc_u32_e32 v24, 1, v22
	v_fma_f32 v25, -v23, v22, v21
	s_delay_alu instid0(VALU_DEP_2) | instskip(NEXT) | instid1(VALU_DEP_2)
	v_fma_f32 v26, -v24, v22, v21
	v_cmp_ge_f32_e64 s2, 0, v25
	s_delay_alu instid0(VALU_DEP_1) | instskip(NEXT) | instid1(VALU_DEP_3)
	v_cndmask_b32_e64 v22, v22, v23, s2
	v_cmp_lt_f32_e64 s2, 0, v26
	s_delay_alu instid0(VALU_DEP_1) | instskip(NEXT) | instid1(VALU_DEP_1)
	v_cndmask_b32_e64 v22, v22, v24, s2
	v_mul_f32_e32 v23, 0x37800000, v22
	s_delay_alu instid0(VALU_DEP_1) | instskip(SKIP_1) | instid1(VALU_DEP_2)
	v_cndmask_b32_e32 v22, v22, v23, vcc_lo
	v_cmp_class_f32_e64 vcc_lo, v21, 0x260
	v_cndmask_b32_e32 v21, v22, v21, vcc_lo
	s_delay_alu instid0(VALU_DEP_1) | instskip(NEXT) | instid1(VALU_DEP_1)
	v_add_f32_e32 v23, v6, v21
	v_add_f32_e32 v24, 1.0, v23
	s_delay_alu instid0(VALU_DEP_1) | instskip(NEXT) | instid1(VALU_DEP_1)
	v_cvt_f64_f32_e32 v[21:22], v24
	v_frexp_exp_i32_f64_e32 v21, v[21:22]
	v_frexp_mant_f32_e32 v22, v24
	s_delay_alu instid0(VALU_DEP_1) | instskip(SKIP_1) | instid1(VALU_DEP_1)
	v_cmp_gt_f32_e32 vcc_lo, 0x3f2aaaab, v22
	v_add_f32_e32 v22, -1.0, v24
	v_sub_f32_e32 v26, v22, v24
	s_delay_alu instid0(VALU_DEP_1) | instskip(SKIP_2) | instid1(VALU_DEP_2)
	v_add_f32_e32 v26, 1.0, v26
	v_subrev_co_ci_u32_e32 v21, vcc_lo, 0, v21, vcc_lo
	v_cmp_eq_f32_e32 vcc_lo, 0x7f800000, v23
	v_sub_nc_u32_e32 v25, 0, v21
	v_cvt_f32_i32_e32 v21, v21
	s_delay_alu instid0(VALU_DEP_2) | instskip(NEXT) | instid1(VALU_DEP_1)
	v_ldexp_f32 v24, v24, v25
	v_dual_sub_f32 v22, v23, v22 :: v_dual_add_f32 v27, 1.0, v24
	s_delay_alu instid0(VALU_DEP_1) | instskip(NEXT) | instid1(VALU_DEP_1)
	v_add_f32_e32 v22, v22, v26
	v_ldexp_f32 v22, v22, v25
	s_delay_alu instid0(VALU_DEP_3) | instskip(NEXT) | instid1(VALU_DEP_1)
	v_dual_add_f32 v25, -1.0, v24 :: v_dual_add_f32 v26, -1.0, v27
	v_add_f32_e32 v28, 1.0, v25
	s_delay_alu instid0(VALU_DEP_2) | instskip(NEXT) | instid1(VALU_DEP_2)
	v_sub_f32_e32 v26, v24, v26
	v_sub_f32_e32 v24, v24, v28
	s_delay_alu instid0(VALU_DEP_2) | instskip(NEXT) | instid1(VALU_DEP_2)
	v_add_f32_e32 v26, v22, v26
	v_add_f32_e32 v22, v22, v24
	s_delay_alu instid0(VALU_DEP_1) | instskip(NEXT) | instid1(VALU_DEP_1)
	v_add_f32_e32 v29, v25, v22
	v_dual_sub_f32 v25, v29, v25 :: v_dual_add_f32 v28, v27, v26
	s_delay_alu instid0(VALU_DEP_1) | instskip(SKIP_1) | instid1(VALU_DEP_1)
	v_rcp_f32_e32 v24, v28
	v_sub_f32_e32 v27, v28, v27
	v_sub_f32_e32 v26, v26, v27
	s_waitcnt_depctr 0xfff
	v_mul_f32_e32 v30, v29, v24
	s_delay_alu instid0(VALU_DEP_1) | instskip(NEXT) | instid1(VALU_DEP_1)
	v_mul_f32_e32 v31, v28, v30
	v_fma_f32 v27, v30, v28, -v31
	s_delay_alu instid0(VALU_DEP_1) | instskip(SKIP_1) | instid1(VALU_DEP_2)
	v_fmac_f32_e32 v27, v30, v26
	v_sub_f32_e32 v22, v22, v25
	v_add_f32_e32 v32, v31, v27
	s_delay_alu instid0(VALU_DEP_1) | instskip(SKIP_1) | instid1(VALU_DEP_2)
	v_sub_f32_e32 v33, v29, v32
	v_sub_f32_e32 v25, v32, v31
	;; [unrolled: 1-line block ×3, first 2 shown]
	s_delay_alu instid0(VALU_DEP_2) | instskip(NEXT) | instid1(VALU_DEP_2)
	v_sub_f32_e32 v25, v25, v27
	v_sub_f32_e32 v29, v29, v32
	s_delay_alu instid0(VALU_DEP_1) | instskip(NEXT) | instid1(VALU_DEP_1)
	v_add_f32_e32 v22, v22, v29
	v_add_f32_e32 v22, v25, v22
	s_delay_alu instid0(VALU_DEP_1) | instskip(NEXT) | instid1(VALU_DEP_1)
	v_add_f32_e32 v25, v33, v22
	v_mul_f32_e32 v27, v24, v25
	s_delay_alu instid0(VALU_DEP_1) | instskip(NEXT) | instid1(VALU_DEP_1)
	v_dual_sub_f32 v32, v33, v25 :: v_dual_mul_f32 v29, v28, v27
	v_fma_f32 v28, v27, v28, -v29
	s_delay_alu instid0(VALU_DEP_1) | instskip(NEXT) | instid1(VALU_DEP_1)
	v_fmac_f32_e32 v28, v27, v26
	v_add_f32_e32 v26, v29, v28
	s_delay_alu instid0(VALU_DEP_1) | instskip(SKIP_1) | instid1(VALU_DEP_1)
	v_sub_f32_e32 v29, v26, v29
	v_dual_sub_f32 v31, v25, v26 :: v_dual_add_f32 v22, v22, v32
	v_sub_f32_e32 v25, v25, v31
	s_delay_alu instid0(VALU_DEP_1) | instskip(NEXT) | instid1(VALU_DEP_4)
	v_sub_f32_e32 v25, v25, v26
	v_sub_f32_e32 v26, v29, v28
	s_delay_alu instid0(VALU_DEP_2) | instskip(SKIP_1) | instid1(VALU_DEP_2)
	v_add_f32_e32 v22, v22, v25
	v_add_f32_e32 v25, v30, v27
	;; [unrolled: 1-line block ×3, first 2 shown]
	s_delay_alu instid0(VALU_DEP_2) | instskip(NEXT) | instid1(VALU_DEP_2)
	v_sub_f32_e32 v26, v25, v30
	v_add_f32_e32 v22, v31, v22
	s_delay_alu instid0(VALU_DEP_2) | instskip(NEXT) | instid1(VALU_DEP_2)
	v_sub_f32_e32 v26, v27, v26
	v_mul_f32_e32 v22, v24, v22
	s_delay_alu instid0(VALU_DEP_1) | instskip(NEXT) | instid1(VALU_DEP_1)
	v_add_f32_e32 v22, v26, v22
	v_add_f32_e32 v24, v25, v22
	s_delay_alu instid0(VALU_DEP_1) | instskip(NEXT) | instid1(VALU_DEP_1)
	v_mul_f32_e32 v26, v24, v24
	v_fmaak_f32 v27, s24, v26, 0x3ecc95a3
	v_mul_f32_e32 v28, v24, v26
	s_delay_alu instid0(VALU_DEP_2) | instskip(SKIP_2) | instid1(VALU_DEP_3)
	v_fmaak_f32 v26, v26, v27, 0x3f2aaada
	v_ldexp_f32 v27, v24, 1
	v_sub_f32_e32 v24, v24, v25
	v_mul_f32_e32 v26, v28, v26
	v_mul_f32_e32 v28, 0x3f317218, v21
	s_delay_alu instid0(VALU_DEP_2) | instskip(NEXT) | instid1(VALU_DEP_1)
	v_dual_sub_f32 v22, v22, v24 :: v_dual_add_f32 v25, v27, v26
	v_ldexp_f32 v22, v22, 1
	s_delay_alu instid0(VALU_DEP_2) | instskip(NEXT) | instid1(VALU_DEP_4)
	v_sub_f32_e32 v24, v25, v27
	v_fma_f32 v27, 0x3f317218, v21, -v28
	s_delay_alu instid0(VALU_DEP_1) | instskip(NEXT) | instid1(VALU_DEP_1)
	v_dual_sub_f32 v24, v26, v24 :: v_dual_fmac_f32 v27, 0xb102e308, v21
	v_dual_add_f32 v21, v22, v24 :: v_dual_add_f32 v22, v28, v27
	s_delay_alu instid0(VALU_DEP_1) | instskip(NEXT) | instid1(VALU_DEP_2)
	v_add_f32_e32 v24, v25, v21
	v_sub_f32_e32 v28, v22, v28
	s_delay_alu instid0(VALU_DEP_2) | instskip(NEXT) | instid1(VALU_DEP_2)
	v_dual_add_f32 v26, v22, v24 :: v_dual_sub_f32 v25, v24, v25
	v_sub_f32_e32 v27, v27, v28
	s_delay_alu instid0(VALU_DEP_2) | instskip(NEXT) | instid1(VALU_DEP_3)
	v_sub_f32_e32 v29, v26, v22
	v_sub_f32_e32 v21, v21, v25
	s_delay_alu instid0(VALU_DEP_2) | instskip(SKIP_1) | instid1(VALU_DEP_2)
	v_sub_f32_e32 v30, v26, v29
	v_sub_f32_e32 v24, v24, v29
	v_dual_add_f32 v25, v27, v21 :: v_dual_sub_f32 v22, v22, v30
	s_delay_alu instid0(VALU_DEP_1) | instskip(NEXT) | instid1(VALU_DEP_2)
	v_add_f32_e32 v22, v24, v22
	v_sub_f32_e32 v24, v25, v27
	s_delay_alu instid0(VALU_DEP_2) | instskip(NEXT) | instid1(VALU_DEP_2)
	v_add_f32_e32 v22, v25, v22
	v_sub_f32_e32 v25, v25, v24
	s_delay_alu instid0(VALU_DEP_2) | instskip(NEXT) | instid1(VALU_DEP_1)
	v_dual_sub_f32 v21, v21, v24 :: v_dual_add_f32 v28, v26, v22
	v_dual_sub_f32 v25, v27, v25 :: v_dual_sub_f32 v24, v28, v26
	s_delay_alu instid0(VALU_DEP_1) | instskip(NEXT) | instid1(VALU_DEP_1)
	v_dual_add_f32 v21, v21, v25 :: v_dual_sub_f32 v22, v22, v24
	v_add_f32_e32 v21, v21, v22
	s_delay_alu instid0(VALU_DEP_1) | instskip(NEXT) | instid1(VALU_DEP_1)
	v_add_f32_e32 v21, v28, v21
	v_cndmask_b32_e32 v21, v21, v23, vcc_lo
	v_cmp_ngt_f32_e32 vcc_lo, -1.0, v23
	s_delay_alu instid0(VALU_DEP_2) | instskip(SKIP_1) | instid1(VALU_DEP_2)
	v_cndmask_b32_e32 v21, 0x7fc00000, v21, vcc_lo
	v_cmp_neq_f32_e32 vcc_lo, -1.0, v23
	v_cndmask_b32_e32 v21, 0xff800000, v21, vcc_lo
	v_cmp_gt_f32_e64 vcc_lo, 0x33800000, |v23|
	s_delay_alu instid0(VALU_DEP_2)
	v_cndmask_b32_e32 v21, v21, v23, vcc_lo
.LBB57_26:                              ;   in Loop: Header=BB57_5 Depth=1
	s_and_not1_saveexec_b32 s34, s34
	s_cbranch_execz .LBB57_28
; %bb.27:                               ;   in Loop: Header=BB57_5 Depth=1
	v_sub_f32_e64 v21, 1.0, |v9|
	s_delay_alu instid0(VALU_DEP_1) | instskip(NEXT) | instid1(VALU_DEP_1)
	v_mul_f32_e32 v21, v21, v7
	v_mul_f32_e32 v22, 0x4f800000, v21
	v_cmp_gt_f32_e32 vcc_lo, 0xf800000, v21
	s_delay_alu instid0(VALU_DEP_2) | instskip(NEXT) | instid1(VALU_DEP_1)
	v_cndmask_b32_e32 v21, v21, v22, vcc_lo
	v_sqrt_f32_e32 v22, v21
	s_waitcnt_depctr 0xfff
	v_add_nc_u32_e32 v23, -1, v22
	v_add_nc_u32_e32 v24, 1, v22
	s_delay_alu instid0(VALU_DEP_2) | instskip(NEXT) | instid1(VALU_DEP_2)
	v_fma_f32 v25, -v23, v22, v21
	v_fma_f32 v26, -v24, v22, v21
	s_delay_alu instid0(VALU_DEP_2) | instskip(NEXT) | instid1(VALU_DEP_1)
	v_cmp_ge_f32_e64 s2, 0, v25
	v_cndmask_b32_e64 v22, v22, v23, s2
	s_delay_alu instid0(VALU_DEP_3) | instskip(NEXT) | instid1(VALU_DEP_1)
	v_cmp_lt_f32_e64 s2, 0, v26
	v_cndmask_b32_e64 v22, v22, v24, s2
	s_delay_alu instid0(VALU_DEP_1) | instskip(NEXT) | instid1(VALU_DEP_1)
	v_mul_f32_e32 v23, 0x37800000, v22
	v_cndmask_b32_e32 v22, v22, v23, vcc_lo
	v_cmp_class_f32_e64 vcc_lo, v21, 0x260
	v_and_b32_e32 v23, 0x7fffffff, v10
	s_delay_alu instid0(VALU_DEP_3) | instskip(NEXT) | instid1(VALU_DEP_1)
	v_cndmask_b32_e32 v21, v22, v21, vcc_lo
	v_div_scale_f32 v22, null, v21, v21, v23
	v_div_scale_f32 v23, vcc_lo, v23, v21, v23
	s_delay_alu instid0(VALU_DEP_2) | instskip(SKIP_2) | instid1(VALU_DEP_1)
	v_rcp_f32_e32 v24, v22
	s_waitcnt_depctr 0xfff
	v_fma_f32 v25, -v22, v24, 1.0
	v_fmac_f32_e32 v24, v25, v24
	s_delay_alu instid0(VALU_DEP_1) | instskip(NEXT) | instid1(VALU_DEP_1)
	v_mul_f32_e32 v25, v23, v24
	v_fma_f32 v26, -v22, v25, v23
	s_delay_alu instid0(VALU_DEP_1) | instskip(NEXT) | instid1(VALU_DEP_1)
	v_fmac_f32_e32 v25, v26, v24
	v_fma_f32 v22, -v22, v25, v23
	s_delay_alu instid0(VALU_DEP_1) | instskip(NEXT) | instid1(VALU_DEP_1)
	v_div_fmas_f32 v22, v22, v24, v25
	v_div_fixup_f32 v21, v22, v21, |v10|
.LBB57_28:                              ;   in Loop: Header=BB57_5 Depth=1
	s_or_b32 exec_lo, exec_lo, s34
.LBB57_29:                              ;   in Loop: Header=BB57_5 Depth=1
	s_delay_alu instid0(SALU_CYCLE_1)
	s_or_b32 exec_lo, exec_lo, s33
.LBB57_30:                              ;   in Loop: Header=BB57_5 Depth=1
	s_and_not1_saveexec_b32 s31, s31
	s_cbranch_execz .LBB57_32
; %bb.31:                               ;   in Loop: Header=BB57_5 Depth=1
	v_mul_f32_e64 v21, 0x4f800000, |v10|
	v_cmp_gt_f32_e64 vcc_lo, 0xf800000, |v10|
	s_delay_alu instid0(VALU_DEP_1) | instskip(NEXT) | instid1(VALU_DEP_1)
	v_cndmask_b32_e64 v21, |v10|, v21, vcc_lo
	v_sqrt_f32_e32 v22, v21
	s_waitcnt_depctr 0xfff
	v_add_nc_u32_e32 v23, -1, v22
	v_add_nc_u32_e32 v24, 1, v22
	s_delay_alu instid0(VALU_DEP_2) | instskip(NEXT) | instid1(VALU_DEP_2)
	v_fma_f32 v25, -v23, v22, v21
	v_fma_f32 v26, -v24, v22, v21
	s_delay_alu instid0(VALU_DEP_2) | instskip(NEXT) | instid1(VALU_DEP_1)
	v_cmp_ge_f32_e64 s2, 0, v25
	v_cndmask_b32_e64 v22, v22, v23, s2
	s_delay_alu instid0(VALU_DEP_3) | instskip(NEXT) | instid1(VALU_DEP_1)
	v_cmp_lt_f32_e64 s2, 0, v26
	v_cndmask_b32_e64 v22, v22, v24, s2
	s_delay_alu instid0(VALU_DEP_1) | instskip(NEXT) | instid1(VALU_DEP_1)
	v_mul_f32_e32 v23, 0x37800000, v22
	v_cndmask_b32_e32 v22, v22, v23, vcc_lo
	v_cmp_class_f32_e64 vcc_lo, v21, 0x260
	s_delay_alu instid0(VALU_DEP_2)
	v_cndmask_b32_e32 v21, v22, v21, vcc_lo
.LBB57_32:                              ;   in Loop: Header=BB57_5 Depth=1
	s_or_b32 exec_lo, exec_lo, s31
.LBB57_33:                              ;   in Loop: Header=BB57_5 Depth=1
	s_delay_alu instid0(SALU_CYCLE_1) | instskip(NEXT) | instid1(SALU_CYCLE_1)
	s_or_b32 exec_lo, exec_lo, s3
	s_mov_b32 s31, exec_lo
                                        ; implicit-def: $sgpr2
                                        ; implicit-def: $vgpr22
                                        ; implicit-def: $vgpr24
                                        ; implicit-def: $vgpr23
	v_cmpx_ngt_f32_e64 0x21000000, |v9|
	s_xor_b32 s31, exec_lo, s31
	s_cbranch_execz .LBB57_57
; %bb.34:                               ;   in Loop: Header=BB57_5 Depth=1
	v_and_b32_e32 v23, 0x7fffffff, v9
	s_mov_b32 s2, 0
	s_mov_b32 s33, exec_lo
	s_delay_alu instid0(VALU_DEP_1) | instskip(NEXT) | instid1(VALU_DEP_1)
	v_div_scale_f32 v22, null, v5, v5, v23
	v_rcp_f32_e32 v24, v22
	s_waitcnt_depctr 0xfff
	v_fma_f32 v25, -v22, v24, 1.0
	s_delay_alu instid0(VALU_DEP_1) | instskip(SKIP_1) | instid1(VALU_DEP_1)
	v_fmac_f32_e32 v24, v25, v24
	v_div_scale_f32 v25, vcc_lo, v23, v5, v23
	v_mul_f32_e32 v26, v25, v24
	s_delay_alu instid0(VALU_DEP_1) | instskip(NEXT) | instid1(VALU_DEP_1)
	v_fma_f32 v27, -v22, v26, v25
	v_fmac_f32_e32 v26, v27, v24
	s_delay_alu instid0(VALU_DEP_1) | instskip(NEXT) | instid1(VALU_DEP_1)
	v_fma_f32 v22, -v22, v26, v25
	v_div_fmas_f32 v22, v22, v24, v26
                                        ; implicit-def: $vgpr24
	s_delay_alu instid0(VALU_DEP_1) | instskip(NEXT) | instid1(VALU_DEP_1)
	v_div_fixup_f32 v22, v22, v5, |v9|
	v_cmpx_lt_f32_e32 0x3f244674, v22
	s_cbranch_execz .LBB57_56
; %bb.35:                               ;   in Loop: Header=BB57_5 Depth=1
	v_cmp_neq_f32_e64 s2, |v9|, 1.0
	v_cmp_ngt_f32_e64 s3, 0x30800000, |v10|
                                        ; implicit-def: $sgpr34
                                        ; implicit-def: $vgpr24
	s_delay_alu instid0(VALU_DEP_1) | instskip(NEXT) | instid1(SALU_CYCLE_1)
	s_or_b32 s2, s2, s3
	s_and_saveexec_b32 s3, s2
	s_delay_alu instid0(SALU_CYCLE_1)
	s_xor_b32 s3, exec_lo, s3
	s_cbranch_execz .LBB57_53
; %bb.36:                               ;   in Loop: Header=BB57_5 Depth=1
	v_mul_f32_e64 v24, 0x34000000, |v6|
                                        ; implicit-def: $sgpr34
	s_delay_alu instid0(VALU_DEP_1) | instskip(NEXT) | instid1(VALU_DEP_1)
	v_cmp_le_f32_e64 s2, v24, |v10|
                                        ; implicit-def: $vgpr24
	s_and_saveexec_b32 s35, s2
	s_delay_alu instid0(SALU_CYCLE_1)
	s_xor_b32 s35, exec_lo, s35
	s_cbranch_execz .LBB57_46
; %bb.37:                               ;   in Loop: Header=BB57_5 Depth=1
	v_mov_b32_e32 v24, v19
	s_mov_b32 s2, exec_lo
	v_cmpx_neq_f32_e32 0, v7
	s_cbranch_execz .LBB57_39
; %bb.38:                               ;   in Loop: Header=BB57_5 Depth=1
	v_dual_mul_f32 v24, v10, v10 :: v_dual_add_f32 v7, v7, v20
	s_delay_alu instid0(VALU_DEP_1) | instskip(NEXT) | instid1(VALU_DEP_1)
	v_div_scale_f32 v20, null, v7, v7, v24
	v_rcp_f32_e32 v25, v20
	s_waitcnt_depctr 0xfff
	v_fma_f32 v26, -v20, v25, 1.0
	s_delay_alu instid0(VALU_DEP_1) | instskip(SKIP_1) | instid1(VALU_DEP_1)
	v_fmac_f32_e32 v25, v26, v25
	v_div_scale_f32 v26, vcc_lo, v24, v7, v24
	v_mul_f32_e32 v27, v26, v25
	s_delay_alu instid0(VALU_DEP_1) | instskip(NEXT) | instid1(VALU_DEP_1)
	v_fma_f32 v28, -v20, v27, v26
	v_fmac_f32_e32 v27, v28, v25
	s_delay_alu instid0(VALU_DEP_1) | instskip(NEXT) | instid1(VALU_DEP_1)
	v_fma_f32 v20, -v20, v27, v26
	v_div_fmas_f32 v20, v20, v25, v27
	s_delay_alu instid0(VALU_DEP_1)
	v_div_fixup_f32 v24, v20, v7, v24
.LBB57_39:                              ;   in Loop: Header=BB57_5 Depth=1
	s_or_b32 exec_lo, exec_lo, s2
	s_delay_alu instid0(SALU_CYCLE_1)
	s_mov_b32 s2, exec_lo
	v_cmpx_ngt_f32_e32 0, v6
	s_xor_b32 s2, exec_lo, s2
	s_cbranch_execz .LBB57_43
; %bb.40:                               ;   in Loop: Header=BB57_5 Depth=1
	s_mov_b32 s34, exec_lo
	v_cmpx_neq_f32_e32 0, v6
	s_cbranch_execz .LBB57_42
; %bb.41:                               ;   in Loop: Header=BB57_5 Depth=1
	v_mul_f32_e32 v7, v10, v10
	v_add_f32_e32 v6, v6, v8
	s_delay_alu instid0(VALU_DEP_1) | instskip(NEXT) | instid1(VALU_DEP_1)
	v_div_scale_f32 v8, null, v6, v6, v7
	v_rcp_f32_e32 v19, v8
	s_waitcnt_depctr 0xfff
	v_fma_f32 v20, -v8, v19, 1.0
	s_delay_alu instid0(VALU_DEP_1) | instskip(SKIP_1) | instid1(VALU_DEP_1)
	v_fmac_f32_e32 v19, v20, v19
	v_div_scale_f32 v20, vcc_lo, v7, v6, v7
	v_mul_f32_e32 v25, v20, v19
	s_delay_alu instid0(VALU_DEP_1) | instskip(NEXT) | instid1(VALU_DEP_1)
	v_fma_f32 v26, -v8, v25, v20
	v_fmac_f32_e32 v25, v26, v19
	s_delay_alu instid0(VALU_DEP_1) | instskip(NEXT) | instid1(VALU_DEP_1)
	v_fma_f32 v8, -v8, v25, v20
	v_div_fmas_f32 v8, v8, v19, v25
	s_delay_alu instid0(VALU_DEP_1)
	v_div_fixup_f32 v19, v8, v6, v7
.LBB57_42:                              ;   in Loop: Header=BB57_5 Depth=1
	s_or_b32 exec_lo, exec_lo, s34
                                        ; implicit-def: $vgpr8
                                        ; implicit-def: $vgpr6
.LBB57_43:                              ;   in Loop: Header=BB57_5 Depth=1
	s_and_not1_saveexec_b32 s2, s2
; %bb.44:                               ;   in Loop: Header=BB57_5 Depth=1
	v_sub_f32_e32 v19, v8, v6
; %bb.45:                               ;   in Loop: Header=BB57_5 Depth=1
	s_or_b32 exec_lo, exec_lo, s2
	s_delay_alu instid0(VALU_DEP_1) | instskip(SKIP_2) | instid1(VALU_DEP_2)
	v_mul_f32_e32 v6, 0.5, v19
	v_add_f32_e64 v5, |v9|, v5
	s_mov_b32 s34, -1
	v_fmac_f32_e32 v6, 0.5, v24
	s_delay_alu instid0(VALU_DEP_1) | instskip(NEXT) | instid1(VALU_DEP_1)
	v_mul_f32_e32 v5, v5, v6
	v_mul_f32_e32 v6, 0x4f800000, v5
	v_cmp_gt_f32_e32 vcc_lo, 0xf800000, v5
	s_delay_alu instid0(VALU_DEP_2) | instskip(NEXT) | instid1(VALU_DEP_1)
	v_cndmask_b32_e32 v5, v5, v6, vcc_lo
	v_sqrt_f32_e32 v6, v5
	s_waitcnt_depctr 0xfff
	v_add_nc_u32_e32 v7, -1, v6
	v_add_nc_u32_e32 v8, 1, v6
	s_delay_alu instid0(VALU_DEP_2) | instskip(NEXT) | instid1(VALU_DEP_2)
	v_fma_f32 v19, -v7, v6, v5
	v_fma_f32 v20, -v8, v6, v5
	s_delay_alu instid0(VALU_DEP_2) | instskip(NEXT) | instid1(VALU_DEP_1)
	v_cmp_ge_f32_e64 s2, 0, v19
	v_cndmask_b32_e64 v6, v6, v7, s2
	s_delay_alu instid0(VALU_DEP_3) | instskip(NEXT) | instid1(VALU_DEP_1)
	v_cmp_lt_f32_e64 s2, 0, v20
	v_cndmask_b32_e64 v6, v6, v8, s2
	s_delay_alu instid0(VALU_DEP_1) | instskip(NEXT) | instid1(VALU_DEP_1)
	v_mul_f32_e32 v7, 0x37800000, v6
	v_cndmask_b32_e32 v6, v6, v7, vcc_lo
	v_cmp_class_f32_e64 vcc_lo, v5, 0x260
                                        ; implicit-def: $vgpr7
	s_delay_alu instid0(VALU_DEP_2)
	v_cndmask_b32_e32 v24, v6, v5, vcc_lo
                                        ; implicit-def: $vgpr6
.LBB57_46:                              ;   in Loop: Header=BB57_5 Depth=1
	s_and_not1_saveexec_b32 s35, s35
	s_cbranch_execz .LBB57_52
; %bb.47:                               ;   in Loop: Header=BB57_5 Depth=1
	s_mov_b32 s37, exec_lo
                                        ; implicit-def: $vgpr24
                                        ; implicit-def: $sgpr36
	v_cmpx_ngt_f32_e64 |v9|, 1.0
	s_xor_b32 s37, exec_lo, s37
	s_cbranch_execz .LBB57_49
; %bb.48:                               ;   in Loop: Header=BB57_5 Depth=1
	v_sub_f32_e64 v5, 1.0, |v9|
	s_mov_b32 s36, -1
	s_delay_alu instid0(VALU_DEP_1) | instskip(NEXT) | instid1(VALU_DEP_1)
	v_mul_f32_e32 v5, v5, v7
	v_mul_f32_e32 v6, 0x4f800000, v5
	v_cmp_gt_f32_e32 vcc_lo, 0xf800000, v5
	s_delay_alu instid0(VALU_DEP_2) | instskip(NEXT) | instid1(VALU_DEP_1)
	v_cndmask_b32_e32 v5, v5, v6, vcc_lo
	v_sqrt_f32_e32 v6, v5
	s_waitcnt_depctr 0xfff
	v_add_nc_u32_e32 v7, -1, v6
	v_add_nc_u32_e32 v8, 1, v6
	s_delay_alu instid0(VALU_DEP_2) | instskip(NEXT) | instid1(VALU_DEP_2)
	v_fma_f32 v19, -v7, v6, v5
	v_fma_f32 v20, -v8, v6, v5
	s_delay_alu instid0(VALU_DEP_2) | instskip(NEXT) | instid1(VALU_DEP_1)
	v_cmp_ge_f32_e64 s2, 0, v19
	v_cndmask_b32_e64 v6, v6, v7, s2
	s_delay_alu instid0(VALU_DEP_3) | instskip(NEXT) | instid1(VALU_DEP_1)
	v_cmp_lt_f32_e64 s2, 0, v20
	v_cndmask_b32_e64 v6, v6, v8, s2
	s_delay_alu instid0(VALU_DEP_1) | instskip(NEXT) | instid1(VALU_DEP_1)
	v_mul_f32_e32 v7, 0x37800000, v6
	v_cndmask_b32_e32 v6, v6, v7, vcc_lo
	v_cmp_class_f32_e64 vcc_lo, v5, 0x260
                                        ; implicit-def: $vgpr7
	s_delay_alu instid0(VALU_DEP_2)
	v_cndmask_b32_e32 v24, v6, v5, vcc_lo
                                        ; implicit-def: $vgpr6
.LBB57_49:                              ;   in Loop: Header=BB57_5 Depth=1
	s_and_not1_saveexec_b32 s37, s37
	s_cbranch_execz .LBB57_51
; %bb.50:                               ;   in Loop: Header=BB57_5 Depth=1
	v_mul_f32_e32 v5, v7, v6
	s_or_b32 s36, s36, exec_lo
	s_delay_alu instid0(VALU_DEP_1) | instskip(SKIP_1) | instid1(VALU_DEP_2)
	v_mul_f32_e32 v6, 0x4f800000, v5
	v_cmp_gt_f32_e32 vcc_lo, 0xf800000, v5
	v_cndmask_b32_e32 v5, v5, v6, vcc_lo
	s_delay_alu instid0(VALU_DEP_1) | instskip(SKIP_3) | instid1(VALU_DEP_2)
	v_sqrt_f32_e32 v6, v5
	s_waitcnt_depctr 0xfff
	v_add_nc_u32_e32 v7, -1, v6
	v_add_nc_u32_e32 v8, 1, v6
	v_fma_f32 v19, -v7, v6, v5
	s_delay_alu instid0(VALU_DEP_2) | instskip(NEXT) | instid1(VALU_DEP_2)
	v_fma_f32 v20, -v8, v6, v5
	v_cmp_ge_f32_e64 s2, 0, v19
	s_delay_alu instid0(VALU_DEP_1) | instskip(NEXT) | instid1(VALU_DEP_3)
	v_cndmask_b32_e64 v6, v6, v7, s2
	v_cmp_lt_f32_e64 s2, 0, v20
	s_delay_alu instid0(VALU_DEP_1) | instskip(SKIP_1) | instid1(VALU_DEP_2)
	v_cndmask_b32_e64 v6, v6, v8, s2
	v_mul_f32_e64 v8, 0x57800000, |v10|
	v_mul_f32_e32 v7, 0x37800000, v6
	s_delay_alu instid0(VALU_DEP_1) | instskip(SKIP_1) | instid1(VALU_DEP_4)
	v_cndmask_b32_e32 v6, v6, v7, vcc_lo
	v_cmp_class_f32_e64 vcc_lo, v5, 0x260
	v_mul_f32_e64 v7, |v9|, v8
	s_delay_alu instid0(VALU_DEP_3) | instskip(NEXT) | instid1(VALU_DEP_1)
	v_cndmask_b32_e32 v5, v6, v5, vcc_lo
	v_div_scale_f32 v6, null, v5, v5, v7
	v_div_scale_f32 v20, vcc_lo, v7, v5, v7
	s_delay_alu instid0(VALU_DEP_2) | instskip(SKIP_2) | instid1(VALU_DEP_1)
	v_rcp_f32_e32 v8, v6
	s_waitcnt_depctr 0xfff
	v_fma_f32 v19, -v6, v8, 1.0
	v_fmac_f32_e32 v8, v19, v8
	s_delay_alu instid0(VALU_DEP_1) | instskip(NEXT) | instid1(VALU_DEP_1)
	v_mul_f32_e32 v19, v20, v8
	v_fma_f32 v23, -v6, v19, v20
	s_delay_alu instid0(VALU_DEP_1) | instskip(SKIP_1) | instid1(VALU_DEP_2)
	v_fmac_f32_e32 v19, v23, v8
	v_mul_f32_e64 v23, 0x57800000, |v9|
	v_fma_f32 v6, -v6, v19, v20
	s_delay_alu instid0(VALU_DEP_1) | instskip(NEXT) | instid1(VALU_DEP_1)
	v_div_fmas_f32 v6, v6, v8, v19
	v_div_fixup_f32 v24, v6, v5, v7
.LBB57_51:                              ;   in Loop: Header=BB57_5 Depth=1
	s_or_b32 exec_lo, exec_lo, s37
	s_delay_alu instid0(SALU_CYCLE_1) | instskip(SKIP_1) | instid1(SALU_CYCLE_1)
	s_and_not1_b32 s2, s34, exec_lo
	s_and_b32 s34, s36, exec_lo
	s_or_b32 s34, s2, s34
.LBB57_52:                              ;   in Loop: Header=BB57_5 Depth=1
	s_or_b32 exec_lo, exec_lo, s35
	s_delay_alu instid0(SALU_CYCLE_1)
	s_and_b32 s34, s34, exec_lo
                                        ; implicit-def: $vgpr5
.LBB57_53:                              ;   in Loop: Header=BB57_5 Depth=1
	s_and_not1_saveexec_b32 s35, s3
	s_cbranch_execz .LBB57_55
; %bb.54:                               ;   in Loop: Header=BB57_5 Depth=1
	v_add_f32_e32 v5, 1.0, v5
	v_mul_f32_e64 v6, 0x4f800000, |v10|
	v_cmp_gt_f32_e64 vcc_lo, 0xf800000, |v10|
	s_or_b32 s34, s34, exec_lo
	s_delay_alu instid0(VALU_DEP_3) | instskip(NEXT) | instid1(VALU_DEP_2)
	v_mul_f32_e32 v5, 0.5, v5
	v_cndmask_b32_e64 v6, |v10|, v6, vcc_lo
	s_delay_alu instid0(VALU_DEP_2) | instskip(SKIP_1) | instid1(VALU_DEP_1)
	v_mul_f32_e32 v7, 0x4f800000, v5
	v_cmp_gt_f32_e64 s2, 0xf800000, v5
	v_cndmask_b32_e64 v5, v5, v7, s2
	s_delay_alu instid0(VALU_DEP_4) | instskip(NEXT) | instid1(VALU_DEP_1)
	v_sqrt_f32_e32 v7, v6
	v_sqrt_f32_e32 v8, v5
	s_waitcnt_depctr 0xfff
	v_add_nc_u32_e32 v19, -1, v7
	v_add_nc_u32_e32 v23, 1, v7
	v_add_nc_u32_e32 v20, -1, v8
	s_delay_alu instid0(VALU_DEP_3) | instskip(SKIP_1) | instid1(VALU_DEP_4)
	v_fma_f32 v24, -v19, v7, v6
	v_add_nc_u32_e32 v25, 1, v8
	v_fma_f32 v27, -v23, v7, v6
	s_delay_alu instid0(VALU_DEP_4) | instskip(NEXT) | instid1(VALU_DEP_4)
	v_fma_f32 v26, -v20, v8, v5
	v_cmp_ge_f32_e64 s3, 0, v24
	s_delay_alu instid0(VALU_DEP_1) | instskip(NEXT) | instid1(VALU_DEP_3)
	v_cndmask_b32_e64 v7, v7, v19, s3
	v_cmp_ge_f32_e64 s3, 0, v26
	v_fma_f32 v19, -v25, v8, v5
	s_delay_alu instid0(VALU_DEP_2) | instskip(SKIP_1) | instid1(VALU_DEP_1)
	v_cndmask_b32_e64 v8, v8, v20, s3
	v_cmp_lt_f32_e64 s3, 0, v27
	v_cndmask_b32_e64 v7, v7, v23, s3
	s_delay_alu instid0(VALU_DEP_4) | instskip(SKIP_1) | instid1(VALU_DEP_3)
	v_cmp_lt_f32_e64 s3, 0, v19
	v_mov_b32_e32 v23, 1.0
	v_mul_f32_e32 v19, 0x37800000, v7
	s_delay_alu instid0(VALU_DEP_3) | instskip(NEXT) | instid1(VALU_DEP_1)
	v_cndmask_b32_e64 v8, v8, v25, s3
	v_dual_cndmask_b32 v7, v7, v19 :: v_dual_mul_f32 v20, 0x37800000, v8
	v_cmp_class_f32_e64 vcc_lo, v6, 0x260
	s_delay_alu instid0(VALU_DEP_2) | instskip(NEXT) | instid1(VALU_DEP_3)
	v_cndmask_b32_e64 v8, v8, v20, s2
	v_cndmask_b32_e32 v6, v7, v6, vcc_lo
	v_cmp_class_f32_e64 vcc_lo, v5, 0x260
	s_delay_alu instid0(VALU_DEP_3) | instskip(NEXT) | instid1(VALU_DEP_1)
	v_cndmask_b32_e32 v5, v8, v5, vcc_lo
	v_mul_f32_e32 v24, v6, v5
.LBB57_55:                              ;   in Loop: Header=BB57_5 Depth=1
	s_or_b32 exec_lo, exec_lo, s35
	s_delay_alu instid0(SALU_CYCLE_1)
	s_and_b32 s2, s34, exec_lo
.LBB57_56:                              ;   in Loop: Header=BB57_5 Depth=1
	s_or_b32 exec_lo, exec_lo, s33
	s_delay_alu instid0(SALU_CYCLE_1)
	s_and_b32 s2, s2, exec_lo
                                        ; implicit-def: $vgpr5
.LBB57_57:                              ;   in Loop: Header=BB57_5 Depth=1
	s_and_not1_saveexec_b32 s3, s31
; %bb.58:                               ;   in Loop: Header=BB57_5 Depth=1
	v_mul_f32_e32 v24, 0x4b800000, v5
	v_mul_f32_e64 v23, 0x4b800000, |v9|
	s_or_b32 s2, s2, exec_lo
                                        ; implicit-def: $vgpr22
; %bb.59:                               ;   in Loop: Header=BB57_5 Depth=1
	s_or_b32 exec_lo, exec_lo, s3
	s_xor_b32 s2, s2, -1
                                        ; implicit-def: $vgpr5
	s_delay_alu instid0(SALU_CYCLE_1) | instskip(NEXT) | instid1(SALU_CYCLE_1)
	s_and_saveexec_b32 s3, s2
	s_xor_b32 s2, exec_lo, s3
	s_cbranch_execz .LBB57_61
; %bb.60:                               ;   in Loop: Header=BB57_5 Depth=1
	v_fma_f32 v5, |v22|, -0.5, 0.5
	v_mul_f32_e32 v6, v22, v22
	v_cmp_ge_f32_e64 vcc_lo, |v22|, 0.5
                                        ; implicit-def: $vgpr23
                                        ; implicit-def: $vgpr24
	s_delay_alu instid0(VALU_DEP_2) | instskip(SKIP_1) | instid1(VALU_DEP_2)
	v_cndmask_b32_e32 v5, v6, v5, vcc_lo
	v_cmp_lt_f32_e64 vcc_lo, |v22|, 0.5
	v_fmaak_f32 v6, s25, v5, 0x3c5fc5da
	v_sqrt_f32_e32 v7, v5
	s_delay_alu instid0(VALU_DEP_1) | instskip(NEXT) | instid1(VALU_DEP_1)
	v_fmaak_f32 v6, v5, v6, 0x3d034c3c
	v_fmaak_f32 v6, v5, v6, 0x3d3641b1
	s_delay_alu instid0(VALU_DEP_1) | instskip(NEXT) | instid1(VALU_DEP_1)
	v_fmaak_f32 v6, v5, v6, 0x3d999bc8
	v_fmaak_f32 v6, v5, v6, 0x3e2aaaac
	s_delay_alu instid0(VALU_DEP_1) | instskip(SKIP_3) | instid1(VALU_DEP_2)
	v_mul_f32_e32 v5, v5, v6
	s_waitcnt_depctr 0xfff
	v_fmac_f32_e32 v7, v7, v5
	v_fma_f32 v5, |v22|, v5, |v22|
	v_add_f32_e32 v6, v7, v7
	s_delay_alu instid0(VALU_DEP_1) | instskip(NEXT) | instid1(VALU_DEP_1)
	v_sub_f32_e32 v6, 0x3fc90fdb, v6
	v_cndmask_b32_e32 v5, v6, v5, vcc_lo
	s_delay_alu instid0(VALU_DEP_1)
	v_bfi_b32 v5, 0x7fffffff, v5, v22
.LBB57_61:                              ;   in Loop: Header=BB57_5 Depth=1
	s_and_not1_saveexec_b32 s31, s2
	s_cbranch_execz .LBB57_63
; %bb.62:                               ;   in Loop: Header=BB57_5 Depth=1
	v_max_f32_e32 v5, v23, v23
	v_max_f32_e64 v6, |v24|, |v24|
	v_cmp_gt_f32_e64 vcc_lo, v23, |v24|
	v_cmp_eq_f32_e64 s3, 0, v23
	v_cmp_class_f32_e64 s33, v24, 0x204
	v_cmp_eq_f32_e64 s2, 0x7f800000, v23
	v_max_f32_e32 v7, v6, v5
	v_min_f32_e32 v5, v6, v5
	s_delay_alu instid0(VALU_DEP_2) | instskip(SKIP_1) | instid1(VALU_DEP_2)
	v_frexp_mant_f32_e32 v8, v7
	v_frexp_exp_i32_f32_e32 v7, v7
	v_rcp_f32_e32 v6, v8
	s_delay_alu instid0(VALU_DEP_3) | instskip(SKIP_1) | instid1(VALU_DEP_2)
	v_frexp_exp_i32_f32_e32 v8, v5
	v_frexp_mant_f32_e32 v5, v5
	v_sub_nc_u32_e32 v7, v8, v7
	s_waitcnt_depctr 0xfff
	v_mul_f32_e32 v5, v5, v6
	s_delay_alu instid0(VALU_DEP_1) | instskip(NEXT) | instid1(VALU_DEP_1)
	v_ldexp_f32 v5, v5, v7
	v_mul_f32_e32 v6, v5, v5
	s_delay_alu instid0(VALU_DEP_1) | instskip(NEXT) | instid1(VALU_DEP_1)
	v_fmaak_f32 v7, s26, v6, 0xbc7a590c
	v_fmaak_f32 v7, v6, v7, 0x3d29fb3f
	s_delay_alu instid0(VALU_DEP_1) | instskip(NEXT) | instid1(VALU_DEP_1)
	v_fmaak_f32 v7, v6, v7, 0xbd97d4d7
	v_fmaak_f32 v7, v6, v7, 0x3dd931b2
	s_delay_alu instid0(VALU_DEP_1) | instskip(NEXT) | instid1(VALU_DEP_1)
	v_fmaak_f32 v7, v6, v7, 0xbe1160e6
	v_fmaak_f32 v7, v6, v7, 0x3e4cb8bf
	s_delay_alu instid0(VALU_DEP_1) | instskip(NEXT) | instid1(VALU_DEP_1)
	v_fmaak_f32 v7, v6, v7, 0xbeaaaa62
	v_mul_f32_e32 v6, v6, v7
	s_delay_alu instid0(VALU_DEP_1) | instskip(NEXT) | instid1(VALU_DEP_1)
	v_fmac_f32_e32 v5, v5, v6
	v_sub_f32_e32 v6, 0x3fc90fdb, v5
	s_delay_alu instid0(VALU_DEP_1) | instskip(SKIP_1) | instid1(VALU_DEP_2)
	v_cndmask_b32_e32 v5, v5, v6, vcc_lo
	v_cmp_gt_i32_e32 vcc_lo, 0, v24
	v_sub_f32_e32 v6, 0x40490fdb, v5
	v_cndmask_b32_e64 v7, 0, 0x40490fdb, vcc_lo
	v_cmp_gt_f32_e32 vcc_lo, 0, v24
	s_delay_alu instid0(VALU_DEP_3) | instskip(SKIP_2) | instid1(VALU_DEP_2)
	v_cndmask_b32_e32 v5, v5, v6, vcc_lo
	v_cndmask_b32_e32 v6, 0x3f490fdb, v18, vcc_lo
	s_and_b32 vcc_lo, s2, s33
	v_cndmask_b32_e64 v5, v5, v7, s3
	s_delay_alu instid0(VALU_DEP_1) | instskip(SKIP_1) | instid1(VALU_DEP_2)
	v_cndmask_b32_e32 v5, v5, v6, vcc_lo
	v_cmp_o_f32_e32 vcc_lo, v24, v23
	v_cndmask_b32_e64 v5, 0x7fc00000, |v5|, vcc_lo
.LBB57_63:                              ;   in Loop: Header=BB57_5 Depth=1
	s_or_b32 exec_lo, exec_lo, s31
	v_bfi_b32 v6, 0x7fffffff, v21, v10
	s_delay_alu instid0(VALU_DEP_2)
	v_bfi_b32 v5, 0x7fffffff, v5, v9
.LBB57_64:                              ;   in Loop: Header=BB57_5 Depth=1
	s_or_b32 exec_lo, exec_lo, s30
.LBB57_65:                              ;   in Loop: Header=BB57_5 Depth=1
	s_delay_alu instid0(SALU_CYCLE_1)
	s_or_b32 exec_lo, exec_lo, s29
                                        ; implicit-def: $vgpr8
                                        ; implicit-def: $vgpr19
                                        ; implicit-def: $vgpr7
.LBB57_66:                              ;   in Loop: Header=BB57_5 Depth=1
	s_and_not1_saveexec_b32 s28, s28
	s_cbranch_execz .LBB57_88
; %bb.67:                               ;   in Loop: Header=BB57_5 Depth=1
                                        ; implicit-def: $vgpr5
                                        ; implicit-def: $vgpr6
	s_mov_b32 s2, exec_lo
	v_cmpx_lt_i32_e32 -1, v10
	s_xor_b32 s29, exec_lo, s2
	s_cbranch_execz .LBB57_77
; %bb.68:                               ;   in Loop: Header=BB57_5 Depth=1
	v_cmp_lt_f32_e64 s2, |v10|, |v9|
                                        ; implicit-def: $vgpr5
                                        ; implicit-def: $vgpr6
	s_mov_b32 s3, exec_lo
	s_delay_alu instid0(VALU_DEP_1) | instskip(NEXT) | instid1(VALU_DEP_1)
	v_cndmask_b32_e64 v20, |v10|, |v9|, s2
	v_cmpx_nlt_f32_e32 0x7effffff, v20
	s_xor_b32 s30, exec_lo, s3
	s_cbranch_execz .LBB57_74
; %bb.69:                               ;   in Loop: Header=BB57_5 Depth=1
	v_cndmask_b32_e64 v21, |v9|, |v10|, s2
	v_cmp_nlt_f32_e32 vcc_lo, 0x5e000000, v20
                                        ; implicit-def: $vgpr5
                                        ; implicit-def: $vgpr6
	s_delay_alu instid0(VALU_DEP_2) | instskip(NEXT) | instid1(VALU_DEP_1)
	v_cmp_ngt_f32_e64 s3, 0x20000000, v21
	s_and_b32 s3, vcc_lo, s3
	s_delay_alu instid0(SALU_CYCLE_1) | instskip(NEXT) | instid1(SALU_CYCLE_1)
	s_and_saveexec_b32 s31, s3
	s_xor_b32 s31, exec_lo, s31
	s_cbranch_execz .LBB57_71
; %bb.70:                               ;   in Loop: Header=BB57_5 Depth=1
	v_frexp_mant_f32_e32 v5, v7
	v_frexp_exp_i32_f32_e32 v7, v7
	s_delay_alu instid0(VALU_DEP_2) | instskip(SKIP_1) | instid1(VALU_DEP_1)
	v_rcp_f32_e32 v5, v5
	v_min_f32_e32 v6, v8, v19
	v_frexp_mant_f32_e32 v19, v6
	s_waitcnt_depctr 0xfff
	v_mul_f32_e32 v5, v19, v5
	v_frexp_exp_i32_f32_e32 v6, v6
	s_delay_alu instid0(VALU_DEP_1) | instskip(NEXT) | instid1(VALU_DEP_1)
	v_sub_nc_u32_e32 v6, v6, v7
	v_ldexp_f32 v6, v5, v6
	v_mul_f32_e32 v8, v21, v21
	s_delay_alu instid0(VALU_DEP_1) | instskip(NEXT) | instid1(VALU_DEP_1)
	v_fmac_f32_e32 v8, v20, v20
	v_cmp_gt_f32_e32 vcc_lo, 0x800000, v8
	v_cndmask_b32_e64 v7, 1.0, 0x4f800000, vcc_lo
	s_delay_alu instid0(VALU_DEP_1) | instskip(SKIP_1) | instid1(VALU_DEP_1)
	v_mul_f32_e32 v5, v8, v7
	v_mul_f32_e32 v7, v6, v6
	v_fmaak_f32 v8, s26, v7, 0xbc7a590c
	s_delay_alu instid0(VALU_DEP_1) | instskip(NEXT) | instid1(VALU_DEP_4)
	v_fmaak_f32 v8, v7, v8, 0x3d29fb3f
	v_log_f32_e32 v5, v5
	s_waitcnt_depctr 0xfff
	v_mul_f32_e32 v19, 0x3f317217, v5
	v_cmp_gt_f32_e64 s3, 0x7f800000, |v5|
	s_delay_alu instid0(VALU_DEP_2) | instskip(NEXT) | instid1(VALU_DEP_1)
	v_fma_f32 v20, 0x3f317217, v5, -v19
	v_fmac_f32_e32 v20, 0x3377d1cf, v5
	s_delay_alu instid0(VALU_DEP_1) | instskip(NEXT) | instid1(VALU_DEP_1)
	v_add_f32_e32 v19, v19, v20
	v_cndmask_b32_e64 v5, v5, v19, s3
	v_cndmask_b32_e64 v19, 0, 0x41b17218, vcc_lo
	s_delay_alu instid0(VALU_DEP_1) | instskip(NEXT) | instid1(VALU_DEP_1)
	v_dual_fmaak_f32 v8, v7, v8, 0xbd97d4d7 :: v_dual_sub_f32 v5, v5, v19
	v_fmaak_f32 v8, v7, v8, 0x3dd931b2
                                        ; implicit-def: $vgpr19
	s_delay_alu instid0(VALU_DEP_1) | instskip(NEXT) | instid1(VALU_DEP_1)
	v_dual_mul_f32 v5, 0.5, v5 :: v_dual_fmaak_f32 v8, v7, v8, 0xbe1160e6
	v_fmaak_f32 v8, v7, v8, 0x3e4cb8bf
	s_delay_alu instid0(VALU_DEP_1) | instskip(NEXT) | instid1(VALU_DEP_1)
	v_fmaak_f32 v8, v7, v8, 0xbeaaaa62
	v_mul_f32_e32 v7, v7, v8
                                        ; implicit-def: $vgpr8
	s_delay_alu instid0(VALU_DEP_1)
	v_fmac_f32_e32 v6, v6, v7
                                        ; implicit-def: $vgpr7
.LBB57_71:                              ;   in Loop: Header=BB57_5 Depth=1
	s_and_not1_saveexec_b32 s3, s31
	s_cbranch_execz .LBB57_73
; %bb.72:                               ;   in Loop: Header=BB57_5 Depth=1
	v_cvt_f64_f32_e32 v[5:6], v7
	v_cmp_neq_f32_e32 vcc_lo, 0x7f800000, v7
	v_min_f32_e32 v8, v8, v19
	v_frexp_exp_i32_f32_e32 v19, v7
	s_delay_alu instid0(VALU_DEP_2) | instskip(SKIP_1) | instid1(VALU_DEP_2)
	v_frexp_exp_i32_f32_e32 v21, v8
	v_frexp_mant_f32_e32 v8, v8
	v_sub_nc_u32_e32 v19, v21, v19
	v_frexp_exp_i32_f64_e32 v5, v[5:6]
	s_delay_alu instid0(VALU_DEP_1) | instskip(NEXT) | instid1(VALU_DEP_1)
	v_sub_nc_u32_e32 v6, 0, v5
	v_ldexp_f32 v20, |v9|, v6
	v_ldexp_f32 v6, |v10|, v6
	s_delay_alu instid0(VALU_DEP_2) | instskip(NEXT) | instid1(VALU_DEP_1)
	v_mul_f32_e32 v20, v20, v20
	v_fmac_f32_e32 v20, v6, v6
	v_frexp_mant_f32_e32 v6, v7
	s_delay_alu instid0(VALU_DEP_2) | instskip(NEXT) | instid1(VALU_DEP_1)
	v_sqrt_f32_e32 v20, v20
	v_rcp_f32_e32 v6, v6
	s_waitcnt_depctr 0xfff
	v_ldexp_f32 v5, v20, v5
	s_delay_alu instid0(VALU_DEP_1) | instskip(NEXT) | instid1(VALU_DEP_1)
	v_dual_mul_f32 v6, v8, v6 :: v_dual_cndmask_b32 v5, 0x7f800000, v5
	v_ldexp_f32 v6, v6, v19
	s_delay_alu instid0(VALU_DEP_2) | instskip(SKIP_1) | instid1(VALU_DEP_1)
	v_cmp_gt_f32_e32 vcc_lo, 0x800000, v5
	v_cndmask_b32_e64 v7, 1.0, 0x4f800000, vcc_lo
	v_mul_f32_e32 v5, v5, v7
	s_delay_alu instid0(VALU_DEP_1) | instskip(SKIP_2) | instid1(VALU_DEP_1)
	v_log_f32_e32 v5, v5
	s_waitcnt_depctr 0xfff
	v_mul_f32_e32 v19, 0x3f317217, v5
	v_fma_f32 v20, 0x3f317217, v5, -v19
	s_delay_alu instid0(VALU_DEP_1) | instskip(NEXT) | instid1(VALU_DEP_1)
	v_fmac_f32_e32 v20, 0x3377d1cf, v5
	v_dual_mul_f32 v8, v6, v6 :: v_dual_add_f32 v19, v19, v20
	s_delay_alu instid0(VALU_DEP_1) | instskip(SKIP_2) | instid1(VALU_DEP_3)
	v_fmaak_f32 v7, s26, v8, 0xbc7a590c
	v_cndmask_b32_e64 v20, 0, 0x41b17218, vcc_lo
	v_cmp_gt_f32_e64 vcc_lo, 0x7f800000, |v5|
	v_fmaak_f32 v7, v8, v7, 0x3d29fb3f
	v_cndmask_b32_e32 v5, v5, v19, vcc_lo
	s_delay_alu instid0(VALU_DEP_2) | instskip(NEXT) | instid1(VALU_DEP_1)
	v_fmaak_f32 v7, v8, v7, 0xbd97d4d7
	v_fmaak_f32 v7, v8, v7, 0x3dd931b2
	s_delay_alu instid0(VALU_DEP_1) | instskip(NEXT) | instid1(VALU_DEP_1)
	v_fmaak_f32 v7, v8, v7, 0xbe1160e6
	v_fmaak_f32 v7, v8, v7, 0x3e4cb8bf
	s_delay_alu instid0(VALU_DEP_1) | instskip(NEXT) | instid1(VALU_DEP_1)
	v_fmaak_f32 v7, v8, v7, 0xbeaaaa62
	v_mul_f32_e32 v7, v8, v7
	s_delay_alu instid0(VALU_DEP_1)
	v_dual_sub_f32 v5, v5, v20 :: v_dual_fmac_f32 v6, v6, v7
.LBB57_73:                              ;   in Loop: Header=BB57_5 Depth=1
	s_or_b32 exec_lo, exec_lo, s3
                                        ; implicit-def: $vgpr8
                                        ; implicit-def: $vgpr19
                                        ; implicit-def: $vgpr7
.LBB57_74:                              ;   in Loop: Header=BB57_5 Depth=1
	s_and_not1_saveexec_b32 s30, s30
	s_cbranch_execz .LBB57_76
; %bb.75:                               ;   in Loop: Header=BB57_5 Depth=1
	v_div_scale_f32 v5, null, 0x402df854, 0x402df854, v10
	v_div_scale_f32 v6, null, 0x402df854, 0x402df854, v9
	v_div_scale_f32 v24, vcc_lo, v10, 0x402df854, v10
	s_delay_alu instid0(VALU_DEP_3) | instskip(NEXT) | instid1(VALU_DEP_2)
	v_rcp_f32_e32 v20, v5
	v_rcp_f32_e32 v21, v6
	v_min_f32_e32 v8, v8, v19
	s_waitcnt_depctr 0xfff
	v_fma_f32 v22, -v5, v20, 1.0
	v_fma_f32 v23, -v6, v21, 1.0
	s_delay_alu instid0(VALU_DEP_1) | instskip(SKIP_1) | instid1(VALU_DEP_2)
	v_dual_fmac_f32 v20, v22, v20 :: v_dual_fmac_f32 v21, v23, v21
	v_div_scale_f32 v22, s3, v9, 0x402df854, v9
	v_mul_f32_e32 v23, v24, v20
	s_delay_alu instid0(VALU_DEP_2) | instskip(NEXT) | instid1(VALU_DEP_2)
	v_mul_f32_e32 v25, v22, v21
	v_fma_f32 v26, -v5, v23, v24
	s_delay_alu instid0(VALU_DEP_2) | instskip(NEXT) | instid1(VALU_DEP_2)
	v_fma_f32 v27, -v6, v25, v22
	v_fmac_f32_e32 v23, v26, v20
	s_delay_alu instid0(VALU_DEP_2) | instskip(NEXT) | instid1(VALU_DEP_2)
	v_fmac_f32_e32 v25, v27, v21
	v_fma_f32 v5, -v5, v23, v24
	s_delay_alu instid0(VALU_DEP_2) | instskip(NEXT) | instid1(VALU_DEP_2)
	v_fma_f32 v6, -v6, v25, v22
	v_div_fmas_f32 v5, v5, v20, v23
	s_mov_b32 vcc_lo, s3
	s_delay_alu instid0(VALU_DEP_2) | instskip(NEXT) | instid1(VALU_DEP_2)
	v_div_fmas_f32 v6, v6, v21, v25
	v_div_fixup_f32 v20, v5, 0x402df854, v10
	s_delay_alu instid0(VALU_DEP_2) | instskip(NEXT) | instid1(VALU_DEP_1)
	v_div_fixup_f32 v21, v6, 0x402df854, v9
	v_max_f32_e64 v22, |v20|, |v21|
	s_delay_alu instid0(VALU_DEP_1) | instskip(SKIP_1) | instid1(VALU_DEP_2)
	v_cvt_f64_f32_e32 v[5:6], v22
	v_cmp_neq_f32_e32 vcc_lo, 0x7f800000, v22
	v_frexp_exp_i32_f64_e32 v5, v[5:6]
	s_delay_alu instid0(VALU_DEP_1) | instskip(NEXT) | instid1(VALU_DEP_1)
	v_sub_nc_u32_e32 v6, 0, v5
	v_ldexp_f32 v21, |v21|, v6
	v_ldexp_f32 v6, |v20|, v6
	s_delay_alu instid0(VALU_DEP_2) | instskip(NEXT) | instid1(VALU_DEP_1)
	v_mul_f32_e32 v20, v21, v21
	v_fmac_f32_e32 v20, v6, v6
	s_delay_alu instid0(VALU_DEP_1) | instskip(SKIP_2) | instid1(VALU_DEP_2)
	v_sqrt_f32_e32 v6, v20
	v_frexp_mant_f32_e32 v20, v7
	v_frexp_exp_i32_f32_e32 v7, v7
	v_rcp_f32_e32 v19, v20
	s_waitcnt_depctr 0xfff
	v_ldexp_f32 v5, v6, v5
	v_frexp_exp_i32_f32_e32 v6, v8
	v_frexp_mant_f32_e32 v8, v8
	s_delay_alu instid0(VALU_DEP_2) | instskip(NEXT) | instid1(VALU_DEP_2)
	v_sub_nc_u32_e32 v6, v6, v7
	v_mul_f32_e32 v7, v8, v19
	s_delay_alu instid0(VALU_DEP_1) | instskip(SKIP_1) | instid1(VALU_DEP_2)
	v_ldexp_f32 v6, v7, v6
	v_cndmask_b32_e32 v5, 0x7f800000, v5, vcc_lo
	v_mul_f32_e32 v7, v6, v6
	s_delay_alu instid0(VALU_DEP_2) | instskip(SKIP_1) | instid1(VALU_DEP_1)
	v_cmp_gt_f32_e32 vcc_lo, 0x800000, v5
	v_cndmask_b32_e64 v8, 1.0, 0x4f800000, vcc_lo
	v_dual_mul_f32 v5, v5, v8 :: v_dual_fmaak_f32 v8, s26, v7, 0xbc7a590c
	s_delay_alu instid0(VALU_DEP_1) | instskip(SKIP_2) | instid1(VALU_DEP_1)
	v_log_f32_e32 v5, v5
	s_waitcnt_depctr 0xfff
	v_mul_f32_e32 v19, 0x3f317217, v5
	v_fma_f32 v20, 0x3f317217, v5, -v19
	s_delay_alu instid0(VALU_DEP_1) | instskip(NEXT) | instid1(VALU_DEP_1)
	v_fmac_f32_e32 v20, 0x3377d1cf, v5
	v_add_f32_e32 v19, v19, v20
	v_cndmask_b32_e64 v20, 0, 0x41b17218, vcc_lo
	v_cmp_gt_f32_e64 vcc_lo, 0x7f800000, |v5|
	s_delay_alu instid0(VALU_DEP_3) | instskip(NEXT) | instid1(VALU_DEP_1)
	v_dual_fmaak_f32 v8, v7, v8, 0x3d29fb3f :: v_dual_cndmask_b32 v5, v5, v19
	v_sub_f32_e32 v5, v5, v20
	s_delay_alu instid0(VALU_DEP_1) | instskip(NEXT) | instid1(VALU_DEP_1)
	v_dual_fmaak_f32 v8, v7, v8, 0xbd97d4d7 :: v_dual_add_f32 v5, 1.0, v5
	v_fmaak_f32 v8, v7, v8, 0x3dd931b2
	s_delay_alu instid0(VALU_DEP_1) | instskip(NEXT) | instid1(VALU_DEP_1)
	v_fmaak_f32 v8, v7, v8, 0xbe1160e6
	v_fmaak_f32 v8, v7, v8, 0x3e4cb8bf
	s_delay_alu instid0(VALU_DEP_1) | instskip(NEXT) | instid1(VALU_DEP_1)
	v_fmaak_f32 v8, v7, v8, 0xbeaaaa62
	v_mul_f32_e32 v7, v7, v8
	s_delay_alu instid0(VALU_DEP_1)
	v_fmac_f32_e32 v6, v6, v7
.LBB57_76:                              ;   in Loop: Header=BB57_5 Depth=1
	s_or_b32 exec_lo, exec_lo, s30
	s_delay_alu instid0(VALU_DEP_1) | instskip(NEXT) | instid1(VALU_DEP_1)
	v_sub_f32_e32 v7, 0x3fc90fdb, v6
                                        ; implicit-def: $vgpr8
                                        ; implicit-def: $vgpr19
	v_cndmask_b32_e64 v6, v6, v7, s2
                                        ; implicit-def: $vgpr7
.LBB57_77:                              ;   in Loop: Header=BB57_5 Depth=1
	s_and_not1_saveexec_b32 s29, s29
	s_cbranch_execz .LBB57_87
; %bb.78:                               ;   in Loop: Header=BB57_5 Depth=1
	v_cmp_lt_f32_e64 s2, |v10|, |v9|
                                        ; implicit-def: $vgpr5
                                        ; implicit-def: $vgpr6
	s_mov_b32 s3, exec_lo
	s_delay_alu instid0(VALU_DEP_1) | instskip(NEXT) | instid1(VALU_DEP_1)
	v_cndmask_b32_e64 v20, |v10|, |v9|, s2
	v_cmpx_nlt_f32_e32 0x7effffff, v20
	s_xor_b32 s30, exec_lo, s3
	s_cbranch_execz .LBB57_84
; %bb.79:                               ;   in Loop: Header=BB57_5 Depth=1
	v_cndmask_b32_e64 v21, |v9|, |v10|, s2
	v_cmp_nlt_f32_e32 vcc_lo, 0x5e000000, v20
                                        ; implicit-def: $vgpr5
                                        ; implicit-def: $vgpr6
	s_delay_alu instid0(VALU_DEP_2) | instskip(NEXT) | instid1(VALU_DEP_1)
	v_cmp_ngt_f32_e64 s3, 0x20000000, v21
	s_and_b32 s3, vcc_lo, s3
	s_delay_alu instid0(SALU_CYCLE_1) | instskip(NEXT) | instid1(SALU_CYCLE_1)
	s_and_saveexec_b32 s31, s3
	s_xor_b32 s31, exec_lo, s31
	s_cbranch_execz .LBB57_81
; %bb.80:                               ;   in Loop: Header=BB57_5 Depth=1
	v_frexp_mant_f32_e32 v5, v7
	v_frexp_exp_i32_f32_e32 v7, v7
	s_delay_alu instid0(VALU_DEP_2) | instskip(SKIP_1) | instid1(VALU_DEP_1)
	v_rcp_f32_e32 v5, v5
	v_min_f32_e32 v6, v8, v19
	v_frexp_mant_f32_e32 v19, v6
	s_waitcnt_depctr 0xfff
	v_mul_f32_e32 v5, v19, v5
	v_frexp_exp_i32_f32_e32 v6, v6
	s_delay_alu instid0(VALU_DEP_1) | instskip(NEXT) | instid1(VALU_DEP_1)
	v_sub_nc_u32_e32 v6, v6, v7
	v_ldexp_f32 v6, v5, v6
	v_mul_f32_e32 v8, v21, v21
	s_delay_alu instid0(VALU_DEP_1) | instskip(NEXT) | instid1(VALU_DEP_1)
	v_fmac_f32_e32 v8, v20, v20
	v_cmp_gt_f32_e32 vcc_lo, 0x800000, v8
	v_cndmask_b32_e64 v7, 1.0, 0x4f800000, vcc_lo
	s_delay_alu instid0(VALU_DEP_1) | instskip(SKIP_1) | instid1(VALU_DEP_1)
	v_mul_f32_e32 v5, v8, v7
	v_mul_f32_e32 v7, v6, v6
	v_fmaak_f32 v8, s26, v7, 0xbc7a590c
	s_delay_alu instid0(VALU_DEP_1) | instskip(NEXT) | instid1(VALU_DEP_4)
	v_fmaak_f32 v8, v7, v8, 0x3d29fb3f
	v_log_f32_e32 v5, v5
	s_waitcnt_depctr 0xfff
	v_mul_f32_e32 v19, 0x3f317217, v5
	v_cmp_gt_f32_e64 s3, 0x7f800000, |v5|
	s_delay_alu instid0(VALU_DEP_2) | instskip(NEXT) | instid1(VALU_DEP_1)
	v_fma_f32 v20, 0x3f317217, v5, -v19
	v_fmac_f32_e32 v20, 0x3377d1cf, v5
	s_delay_alu instid0(VALU_DEP_1) | instskip(NEXT) | instid1(VALU_DEP_1)
	v_add_f32_e32 v19, v19, v20
	v_cndmask_b32_e64 v5, v5, v19, s3
	v_cndmask_b32_e64 v19, 0, 0x41b17218, vcc_lo
	s_delay_alu instid0(VALU_DEP_1) | instskip(NEXT) | instid1(VALU_DEP_1)
	v_dual_fmaak_f32 v8, v7, v8, 0xbd97d4d7 :: v_dual_sub_f32 v5, v5, v19
	v_fmaak_f32 v8, v7, v8, 0x3dd931b2
                                        ; implicit-def: $vgpr19
	s_delay_alu instid0(VALU_DEP_1) | instskip(NEXT) | instid1(VALU_DEP_1)
	v_dual_mul_f32 v5, 0.5, v5 :: v_dual_fmaak_f32 v8, v7, v8, 0xbe1160e6
	v_fmaak_f32 v8, v7, v8, 0x3e4cb8bf
	s_delay_alu instid0(VALU_DEP_1) | instskip(NEXT) | instid1(VALU_DEP_1)
	v_fmaak_f32 v8, v7, v8, 0xbeaaaa62
	v_mul_f32_e32 v7, v7, v8
                                        ; implicit-def: $vgpr8
	s_delay_alu instid0(VALU_DEP_1)
	v_fmac_f32_e32 v6, v6, v7
                                        ; implicit-def: $vgpr7
.LBB57_81:                              ;   in Loop: Header=BB57_5 Depth=1
	s_and_not1_saveexec_b32 s3, s31
	s_cbranch_execz .LBB57_83
; %bb.82:                               ;   in Loop: Header=BB57_5 Depth=1
	v_cvt_f64_f32_e32 v[5:6], v7
	v_cmp_neq_f32_e32 vcc_lo, 0x7f800000, v7
	v_min_f32_e32 v8, v8, v19
	v_frexp_exp_i32_f32_e32 v19, v7
	s_delay_alu instid0(VALU_DEP_2) | instskip(SKIP_1) | instid1(VALU_DEP_2)
	v_frexp_exp_i32_f32_e32 v21, v8
	v_frexp_mant_f32_e32 v8, v8
	v_sub_nc_u32_e32 v19, v21, v19
	v_frexp_exp_i32_f64_e32 v5, v[5:6]
	s_delay_alu instid0(VALU_DEP_1) | instskip(NEXT) | instid1(VALU_DEP_1)
	v_sub_nc_u32_e32 v6, 0, v5
	v_ldexp_f32 v20, |v9|, v6
	v_ldexp_f32 v6, |v10|, v6
	s_delay_alu instid0(VALU_DEP_2) | instskip(NEXT) | instid1(VALU_DEP_1)
	v_mul_f32_e32 v20, v20, v20
	v_fmac_f32_e32 v20, v6, v6
	v_frexp_mant_f32_e32 v6, v7
	s_delay_alu instid0(VALU_DEP_2) | instskip(NEXT) | instid1(VALU_DEP_1)
	v_sqrt_f32_e32 v20, v20
	v_rcp_f32_e32 v6, v6
	s_waitcnt_depctr 0xfff
	v_ldexp_f32 v5, v20, v5
	s_delay_alu instid0(VALU_DEP_1) | instskip(NEXT) | instid1(VALU_DEP_1)
	v_dual_mul_f32 v6, v8, v6 :: v_dual_cndmask_b32 v5, 0x7f800000, v5
	v_ldexp_f32 v6, v6, v19
	s_delay_alu instid0(VALU_DEP_2) | instskip(SKIP_1) | instid1(VALU_DEP_1)
	v_cmp_gt_f32_e32 vcc_lo, 0x800000, v5
	v_cndmask_b32_e64 v7, 1.0, 0x4f800000, vcc_lo
	v_mul_f32_e32 v5, v5, v7
	s_delay_alu instid0(VALU_DEP_1) | instskip(SKIP_2) | instid1(VALU_DEP_1)
	v_log_f32_e32 v5, v5
	s_waitcnt_depctr 0xfff
	v_mul_f32_e32 v19, 0x3f317217, v5
	v_fma_f32 v20, 0x3f317217, v5, -v19
	s_delay_alu instid0(VALU_DEP_1) | instskip(NEXT) | instid1(VALU_DEP_1)
	v_fmac_f32_e32 v20, 0x3377d1cf, v5
	v_dual_mul_f32 v8, v6, v6 :: v_dual_add_f32 v19, v19, v20
	s_delay_alu instid0(VALU_DEP_1) | instskip(SKIP_2) | instid1(VALU_DEP_3)
	v_fmaak_f32 v7, s26, v8, 0xbc7a590c
	v_cndmask_b32_e64 v20, 0, 0x41b17218, vcc_lo
	v_cmp_gt_f32_e64 vcc_lo, 0x7f800000, |v5|
	v_fmaak_f32 v7, v8, v7, 0x3d29fb3f
	v_cndmask_b32_e32 v5, v5, v19, vcc_lo
	s_delay_alu instid0(VALU_DEP_2) | instskip(NEXT) | instid1(VALU_DEP_1)
	v_fmaak_f32 v7, v8, v7, 0xbd97d4d7
	v_fmaak_f32 v7, v8, v7, 0x3dd931b2
	s_delay_alu instid0(VALU_DEP_1) | instskip(NEXT) | instid1(VALU_DEP_1)
	v_fmaak_f32 v7, v8, v7, 0xbe1160e6
	v_fmaak_f32 v7, v8, v7, 0x3e4cb8bf
	s_delay_alu instid0(VALU_DEP_1) | instskip(NEXT) | instid1(VALU_DEP_1)
	v_fmaak_f32 v7, v8, v7, 0xbeaaaa62
	v_mul_f32_e32 v7, v8, v7
	s_delay_alu instid0(VALU_DEP_1)
	v_dual_sub_f32 v5, v5, v20 :: v_dual_fmac_f32 v6, v6, v7
.LBB57_83:                              ;   in Loop: Header=BB57_5 Depth=1
	s_or_b32 exec_lo, exec_lo, s3
                                        ; implicit-def: $vgpr8
                                        ; implicit-def: $vgpr19
                                        ; implicit-def: $vgpr7
.LBB57_84:                              ;   in Loop: Header=BB57_5 Depth=1
	s_and_not1_saveexec_b32 s30, s30
	s_cbranch_execz .LBB57_86
; %bb.85:                               ;   in Loop: Header=BB57_5 Depth=1
	v_div_scale_f32 v5, null, 0xc02df854, 0xc02df854, v10
	v_div_scale_f32 v6, null, 0xc02df854, 0xc02df854, v9
	v_div_scale_f32 v24, vcc_lo, v10, 0xc02df854, v10
	s_delay_alu instid0(VALU_DEP_3) | instskip(NEXT) | instid1(VALU_DEP_2)
	v_rcp_f32_e32 v20, v5
	v_rcp_f32_e32 v21, v6
	v_min_f32_e32 v8, v8, v19
	s_waitcnt_depctr 0xfff
	v_fma_f32 v22, -v5, v20, 1.0
	v_fma_f32 v23, -v6, v21, 1.0
	s_delay_alu instid0(VALU_DEP_1) | instskip(SKIP_1) | instid1(VALU_DEP_2)
	v_dual_fmac_f32 v20, v22, v20 :: v_dual_fmac_f32 v21, v23, v21
	v_div_scale_f32 v22, s3, v9, 0xc02df854, v9
	v_mul_f32_e32 v23, v24, v20
	s_delay_alu instid0(VALU_DEP_2) | instskip(NEXT) | instid1(VALU_DEP_2)
	v_mul_f32_e32 v25, v22, v21
	v_fma_f32 v26, -v5, v23, v24
	s_delay_alu instid0(VALU_DEP_2) | instskip(NEXT) | instid1(VALU_DEP_2)
	v_fma_f32 v27, -v6, v25, v22
	v_fmac_f32_e32 v23, v26, v20
	s_delay_alu instid0(VALU_DEP_2) | instskip(NEXT) | instid1(VALU_DEP_2)
	v_fmac_f32_e32 v25, v27, v21
	v_fma_f32 v5, -v5, v23, v24
	s_delay_alu instid0(VALU_DEP_2) | instskip(NEXT) | instid1(VALU_DEP_2)
	v_fma_f32 v6, -v6, v25, v22
	v_div_fmas_f32 v5, v5, v20, v23
	s_mov_b32 vcc_lo, s3
	s_delay_alu instid0(VALU_DEP_2) | instskip(NEXT) | instid1(VALU_DEP_2)
	v_div_fmas_f32 v6, v6, v21, v25
	v_div_fixup_f32 v20, v5, 0xc02df854, v10
	s_delay_alu instid0(VALU_DEP_2) | instskip(NEXT) | instid1(VALU_DEP_1)
	v_div_fixup_f32 v21, v6, 0xc02df854, v9
	v_max_f32_e64 v22, |v20|, |v21|
	s_delay_alu instid0(VALU_DEP_1) | instskip(SKIP_1) | instid1(VALU_DEP_2)
	v_cvt_f64_f32_e32 v[5:6], v22
	v_cmp_neq_f32_e32 vcc_lo, 0x7f800000, v22
	v_frexp_exp_i32_f64_e32 v5, v[5:6]
	s_delay_alu instid0(VALU_DEP_1) | instskip(NEXT) | instid1(VALU_DEP_1)
	v_sub_nc_u32_e32 v6, 0, v5
	v_ldexp_f32 v21, |v21|, v6
	v_ldexp_f32 v6, |v20|, v6
	s_delay_alu instid0(VALU_DEP_2) | instskip(NEXT) | instid1(VALU_DEP_1)
	v_mul_f32_e32 v20, v21, v21
	v_fmac_f32_e32 v20, v6, v6
	s_delay_alu instid0(VALU_DEP_1) | instskip(SKIP_2) | instid1(VALU_DEP_2)
	v_sqrt_f32_e32 v6, v20
	v_frexp_mant_f32_e32 v20, v7
	v_frexp_exp_i32_f32_e32 v7, v7
	v_rcp_f32_e32 v19, v20
	s_waitcnt_depctr 0xfff
	v_ldexp_f32 v5, v6, v5
	v_frexp_exp_i32_f32_e32 v6, v8
	v_frexp_mant_f32_e32 v8, v8
	s_delay_alu instid0(VALU_DEP_2) | instskip(NEXT) | instid1(VALU_DEP_2)
	v_sub_nc_u32_e32 v6, v6, v7
	v_mul_f32_e32 v7, v8, v19
	s_delay_alu instid0(VALU_DEP_1) | instskip(SKIP_1) | instid1(VALU_DEP_2)
	v_ldexp_f32 v6, v7, v6
	v_cndmask_b32_e32 v5, 0x7f800000, v5, vcc_lo
	v_mul_f32_e32 v7, v6, v6
	s_delay_alu instid0(VALU_DEP_2) | instskip(SKIP_1) | instid1(VALU_DEP_1)
	v_cmp_gt_f32_e32 vcc_lo, 0x800000, v5
	v_cndmask_b32_e64 v8, 1.0, 0x4f800000, vcc_lo
	v_dual_mul_f32 v5, v5, v8 :: v_dual_fmaak_f32 v8, s26, v7, 0xbc7a590c
	s_delay_alu instid0(VALU_DEP_1) | instskip(SKIP_2) | instid1(VALU_DEP_1)
	v_log_f32_e32 v5, v5
	s_waitcnt_depctr 0xfff
	v_mul_f32_e32 v19, 0x3f317217, v5
	v_fma_f32 v20, 0x3f317217, v5, -v19
	s_delay_alu instid0(VALU_DEP_1) | instskip(NEXT) | instid1(VALU_DEP_1)
	v_fmac_f32_e32 v20, 0x3377d1cf, v5
	v_add_f32_e32 v19, v19, v20
	v_cndmask_b32_e64 v20, 0, 0x41b17218, vcc_lo
	v_cmp_gt_f32_e64 vcc_lo, 0x7f800000, |v5|
	s_delay_alu instid0(VALU_DEP_3) | instskip(NEXT) | instid1(VALU_DEP_1)
	v_dual_fmaak_f32 v8, v7, v8, 0x3d29fb3f :: v_dual_cndmask_b32 v5, v5, v19
	v_sub_f32_e32 v5, v5, v20
	s_delay_alu instid0(VALU_DEP_1) | instskip(NEXT) | instid1(VALU_DEP_1)
	v_dual_fmaak_f32 v8, v7, v8, 0xbd97d4d7 :: v_dual_add_f32 v5, 1.0, v5
	v_fmaak_f32 v8, v7, v8, 0x3dd931b2
	s_delay_alu instid0(VALU_DEP_1) | instskip(NEXT) | instid1(VALU_DEP_1)
	v_fmaak_f32 v8, v7, v8, 0xbe1160e6
	v_fmaak_f32 v8, v7, v8, 0x3e4cb8bf
	s_delay_alu instid0(VALU_DEP_1) | instskip(NEXT) | instid1(VALU_DEP_1)
	v_fmaak_f32 v8, v7, v8, 0xbeaaaa62
	v_mul_f32_e32 v7, v7, v8
	s_delay_alu instid0(VALU_DEP_1)
	v_fmac_f32_e32 v6, v6, v7
.LBB57_86:                              ;   in Loop: Header=BB57_5 Depth=1
	s_or_b32 exec_lo, exec_lo, s30
	s_delay_alu instid0(VALU_DEP_1) | instskip(NEXT) | instid1(VALU_DEP_1)
	v_sub_f32_e32 v7, 0x3fc90fdb, v6
	v_cndmask_b32_e64 v6, v6, v7, s2
.LBB57_87:                              ;   in Loop: Header=BB57_5 Depth=1
	s_or_b32 exec_lo, exec_lo, s29
	v_cmp_neq_f32_e32 vcc_lo, 0, v9
	v_cmp_class_f32_e64 s2, v10, 0x204
	v_cmp_class_f32_e64 s3, v9, 0x204
	v_dual_add_f32 v5, 0x3f317218, v5 :: v_dual_cndmask_b32 v6, 0, v6
	v_cmp_o_f32_e32 vcc_lo, v9, v10
	s_delay_alu instid0(VALU_DEP_3)
	s_and_b32 s2, s3, s2
	s_delay_alu instid0(VALU_DEP_2) | instid1(SALU_CYCLE_1)
	v_cndmask_b32_e64 v6, v6, 0x3f490fdb, s2
	s_delay_alu instid0(VALU_DEP_1) | instskip(SKIP_1) | instid1(VALU_DEP_2)
	v_cndmask_b32_e32 v7, 0x7fc00000, v6, vcc_lo
	v_bfi_b32 v6, 0x7fffffff, v5, v10
	v_bfi_b32 v5, 0x7fffffff, v7, v9
.LBB57_88:                              ;   in Loop: Header=BB57_5 Depth=1
	s_or_b32 exec_lo, exec_lo, s28
.LBB57_89:                              ;   in Loop: Header=BB57_5 Depth=1
	s_and_not1_saveexec_b32 s2, s27
	s_cbranch_execz .LBB57_103
; %bb.90:                               ;   in Loop: Header=BB57_5 Depth=1
	v_cmp_neq_f32_e64 s3, 0x7f800000, |v10|
                                        ; implicit-def: $vgpr5
	s_delay_alu instid0(VALU_DEP_1) | instskip(NEXT) | instid1(SALU_CYCLE_1)
	s_and_saveexec_b32 s27, s3
	s_xor_b32 s3, exec_lo, s27
	s_cbranch_execz .LBB57_100
; %bb.91:                               ;   in Loop: Header=BB57_5 Depth=1
	v_cmp_neq_f32_e64 s27, 0x7f800000, |v9|
                                        ; implicit-def: $vgpr5
	s_delay_alu instid0(VALU_DEP_1) | instskip(NEXT) | instid1(SALU_CYCLE_1)
	s_and_saveexec_b32 s28, s27
	s_xor_b32 s27, exec_lo, s28
	s_cbranch_execz .LBB57_97
; %bb.92:                               ;   in Loop: Header=BB57_5 Depth=1
	s_mov_b32 s28, exec_lo
                                        ; implicit-def: $vgpr5
	v_cmpx_neq_f32_e32 0, v9
	s_xor_b32 s28, exec_lo, s28
; %bb.93:                               ;   in Loop: Header=BB57_5 Depth=1
	v_add_f32_e32 v5, 0, v10
	s_delay_alu instid0(VALU_DEP_1)
	v_add_f32_e32 v5, v9, v5
; %bb.94:                               ;   in Loop: Header=BB57_5 Depth=1
	s_or_saveexec_b32 s28, s28
	s_delay_alu instid0(VALU_DEP_1)
	v_mov_b32_e32 v6, v5
	s_xor_b32 exec_lo, exec_lo, s28
; %bb.95:                               ;   in Loop: Header=BB57_5 Depth=1
	v_dual_add_f32 v6, v10, v10 :: v_dual_mov_b32 v5, v9
; %bb.96:                               ;   in Loop: Header=BB57_5 Depth=1
	s_or_b32 exec_lo, exec_lo, s28
.LBB57_97:                              ;   in Loop: Header=BB57_5 Depth=1
	s_and_not1_saveexec_b32 s27, s27
; %bb.98:                               ;   in Loop: Header=BB57_5 Depth=1
	v_dual_add_f32 v5, v10, v10 :: v_dual_mov_b32 v6, v9
; %bb.99:                               ;   in Loop: Header=BB57_5 Depth=1
	s_or_b32 exec_lo, exec_lo, s27
.LBB57_100:                             ;   in Loop: Header=BB57_5 Depth=1
	s_and_not1_saveexec_b32 s3, s3
; %bb.101:                              ;   in Loop: Header=BB57_5 Depth=1
	v_dual_add_f32 v5, v9, v9 :: v_dual_mov_b32 v6, v10
; %bb.102:                              ;   in Loop: Header=BB57_5 Depth=1
	s_or_b32 exec_lo, exec_lo, s3
.LBB57_103:                             ;   in Loop: Header=BB57_5 Depth=1
	s_delay_alu instid0(SALU_CYCLE_1) | instskip(SKIP_2) | instid1(VALU_DEP_1)
	s_or_b32 exec_lo, exec_lo, s2
	v_cmp_o_f32_e32 vcc_lo, v12, v12
	v_cmp_o_f32_e64 s2, v11, v11
	s_and_b32 s2, vcc_lo, s2
	s_delay_alu instid0(SALU_CYCLE_1) | instskip(NEXT) | instid1(SALU_CYCLE_1)
	s_and_saveexec_b32 s3, s2
	s_xor_b32 s27, exec_lo, s3
	s_cbranch_execz .LBB57_187
; %bb.104:                              ;   in Loop: Header=BB57_5 Depth=1
	v_max_f32_e64 v10, |v12|, |v12|
	v_max_f32_e64 v19, |v11|, |v11|
	s_mov_b32 s2, exec_lo
	s_delay_alu instid0(VALU_DEP_1) | instskip(NEXT) | instid1(VALU_DEP_1)
	v_max_f32_e32 v9, v19, v10
	v_cmpx_nlt_f32_e32 0x4b000000, v9
	s_xor_b32 s28, exec_lo, s2
	s_cbranch_execz .LBB57_164
; %bb.105:                              ;   in Loop: Header=BB57_5 Depth=1
	v_cmp_neq_f32_e32 vcc_lo, 0, v12
	v_cmp_neq_f32_e64 s2, 0, v11
	s_delay_alu instid0(VALU_DEP_1) | instskip(NEXT) | instid1(SALU_CYCLE_1)
	s_or_b32 s2, vcc_lo, s2
	s_and_saveexec_b32 s29, s2
	s_cbranch_execz .LBB57_163
; %bb.106:                              ;   in Loop: Header=BB57_5 Depth=1
	v_dual_mov_b32 v7, s12 :: v_dual_mov_b32 v8, s13
	v_cmp_ngt_f32_e64 s2, 0x395db3d7, |v12|
	v_cmp_ngt_f32_e64 s3, 0x395db3d7, |v11|
	flat_store_b32 v[7:8], v17 dlc
	s_waitcnt_vscnt null, 0x0
	flat_load_b32 v7, v[7:8] glc dlc
	s_waitcnt vmcnt(0)
	s_or_b32 s2, s3, s2
	s_waitcnt lgkmcnt(0)
	v_add_f32_e32 v9, 1.0, v7
	v_dual_mov_b32 v7, s14 :: v_dual_mov_b32 v8, s15
	flat_store_b32 v[7:8], v9 dlc
	s_waitcnt_vscnt null, 0x0
	flat_load_b32 v7, v[7:8] glc dlc
	s_waitcnt vmcnt(0)
	s_and_saveexec_b32 s30, s2
	s_cbranch_execz .LBB57_162
; %bb.107:                              ;   in Loop: Header=BB57_5 Depth=1
	v_add_f32_e64 v9, |v11|, 1.0
	v_add_f32_e64 v8, |v11|, -1.0
	s_mov_b32 s2, exec_lo
	s_waitcnt lgkmcnt(0)
	s_delay_alu instid0(VALU_DEP_2) | instskip(NEXT) | instid1(VALU_DEP_2)
	v_max_f32_e64 v7, v10, |v9|
	v_max_f32_e64 v10, v10, |v8|
	s_delay_alu instid0(VALU_DEP_2) | instskip(NEXT) | instid1(VALU_DEP_2)
	v_cvt_f64_f32_e32 v[19:20], v7
	v_cvt_f64_f32_e32 v[21:22], v10
	v_cmp_neq_f32_e32 vcc_lo, 0x7f800000, v7
	s_delay_alu instid0(VALU_DEP_3) | instskip(NEXT) | instid1(VALU_DEP_3)
	v_frexp_exp_i32_f64_e32 v19, v[19:20]
	v_frexp_exp_i32_f64_e32 v20, v[21:22]
	s_delay_alu instid0(VALU_DEP_2) | instskip(NEXT) | instid1(VALU_DEP_2)
	v_sub_nc_u32_e32 v21, 0, v19
	v_sub_nc_u32_e32 v22, 0, v20
	s_delay_alu instid0(VALU_DEP_2) | instskip(NEXT) | instid1(VALU_DEP_2)
	v_ldexp_f32 v23, |v9|, v21
	v_ldexp_f32 v24, |v8|, v22
	;; [unrolled: 1-line block ×4, first 2 shown]
	s_delay_alu instid0(VALU_DEP_3) | instskip(NEXT) | instid1(VALU_DEP_1)
	v_dual_mul_f32 v23, v23, v23 :: v_dual_mul_f32 v24, v24, v24
	v_dual_fmac_f32 v23, v21, v21 :: v_dual_fmac_f32 v24, v22, v22
	s_delay_alu instid0(VALU_DEP_1) | instskip(NEXT) | instid1(VALU_DEP_1)
	v_sqrt_f32_e32 v21, v23
	v_sqrt_f32_e32 v22, v24
	s_waitcnt_depctr 0xfff
	v_ldexp_f32 v19, v21, v19
	v_ldexp_f32 v21, v22, v20
	s_delay_alu instid0(VALU_DEP_2) | instskip(SKIP_1) | instid1(VALU_DEP_3)
	v_cndmask_b32_e32 v20, 0x7f800000, v19, vcc_lo
	v_cmp_neq_f32_e32 vcc_lo, 0x7f800000, v10
	v_cndmask_b32_e32 v10, 0x7f800000, v21, vcc_lo
                                        ; implicit-def: $vgpr21
	s_delay_alu instid0(VALU_DEP_1) | instskip(NEXT) | instid1(VALU_DEP_1)
	v_add_f32_e32 v7, v20, v10
	v_mul_f32_e32 v7, 0.5, v7
	s_delay_alu instid0(VALU_DEP_1) | instskip(SKIP_1) | instid1(VALU_DEP_1)
	v_cmp_ngt_f32_e32 vcc_lo, 1.0, v7
	v_cndmask_b32_e32 v7, 1.0, v7, vcc_lo
	v_cmpx_ngt_f32_e32 0x41200000, v7
	s_xor_b32 s3, exec_lo, s2
	s_cbranch_execz .LBB57_109
; %bb.108:                              ;   in Loop: Header=BB57_5 Depth=1
	v_fma_f32 v19, v7, v7, -1.0
	s_delay_alu instid0(VALU_DEP_1) | instskip(SKIP_1) | instid1(VALU_DEP_2)
	v_mul_f32_e32 v21, 0x4f800000, v19
	v_cmp_gt_f32_e32 vcc_lo, 0xf800000, v19
	v_cndmask_b32_e32 v19, v19, v21, vcc_lo
	s_delay_alu instid0(VALU_DEP_1) | instskip(SKIP_3) | instid1(VALU_DEP_2)
	v_sqrt_f32_e32 v21, v19
	s_waitcnt_depctr 0xfff
	v_add_nc_u32_e32 v22, -1, v21
	v_add_nc_u32_e32 v23, 1, v21
	v_fma_f32 v24, -v22, v21, v19
	s_delay_alu instid0(VALU_DEP_2) | instskip(NEXT) | instid1(VALU_DEP_2)
	v_fma_f32 v25, -v23, v21, v19
	v_cmp_ge_f32_e64 s2, 0, v24
	s_delay_alu instid0(VALU_DEP_1) | instskip(NEXT) | instid1(VALU_DEP_3)
	v_cndmask_b32_e64 v21, v21, v22, s2
	v_cmp_lt_f32_e64 s2, 0, v25
	s_delay_alu instid0(VALU_DEP_1) | instskip(NEXT) | instid1(VALU_DEP_1)
	v_cndmask_b32_e64 v21, v21, v23, s2
	v_mul_f32_e32 v22, 0x37800000, v21
	s_delay_alu instid0(VALU_DEP_1) | instskip(SKIP_1) | instid1(VALU_DEP_2)
	v_cndmask_b32_e32 v21, v21, v22, vcc_lo
	v_cmp_class_f32_e64 vcc_lo, v19, 0x260
	v_cndmask_b32_e32 v19, v21, v19, vcc_lo
	s_delay_alu instid0(VALU_DEP_1) | instskip(NEXT) | instid1(VALU_DEP_1)
	v_add_f32_e32 v19, v7, v19
	v_cmp_gt_f32_e32 vcc_lo, 0x800000, v19
	s_delay_alu instid0(VALU_DEP_4) | instskip(NEXT) | instid1(VALU_DEP_1)
	v_cndmask_b32_e64 v21, 1.0, 0x4f800000, vcc_lo
	v_mul_f32_e32 v19, v19, v21
	s_delay_alu instid0(VALU_DEP_1) | instskip(SKIP_3) | instid1(VALU_DEP_2)
	v_log_f32_e32 v19, v19
	s_waitcnt_depctr 0xfff
	v_mul_f32_e32 v21, 0x3f317217, v19
	v_cmp_gt_f32_e64 s2, 0x7f800000, |v19|
	v_fma_f32 v22, 0x3f317217, v19, -v21
	s_delay_alu instid0(VALU_DEP_1) | instskip(NEXT) | instid1(VALU_DEP_1)
	v_fmac_f32_e32 v22, 0x3377d1cf, v19
	v_add_f32_e32 v21, v21, v22
	s_delay_alu instid0(VALU_DEP_1) | instskip(SKIP_1) | instid1(VALU_DEP_1)
	v_cndmask_b32_e64 v19, v19, v21, s2
	v_cndmask_b32_e64 v21, 0, 0x41b17218, vcc_lo
	v_sub_f32_e32 v21, v19, v21
.LBB57_109:                             ;   in Loop: Header=BB57_5 Depth=1
	s_or_saveexec_b32 s3, s3
	v_and_b32_e32 v19, 0x7fffffff, v12
	s_xor_b32 exec_lo, exec_lo, s3
	s_cbranch_execz .LBB57_131
; %bb.110:                              ;   in Loop: Header=BB57_5 Depth=1
	v_cmp_neq_f32_e64 s2, |v11|, 1.0
	v_cmp_ngt_f32_e64 s31, 0x25000000, |v12|
                                        ; implicit-def: $vgpr21
	s_delay_alu instid0(VALU_DEP_1) | instskip(NEXT) | instid1(SALU_CYCLE_1)
	s_or_b32 s2, s2, s31
	s_and_saveexec_b32 s31, s2
	s_delay_alu instid0(SALU_CYCLE_1)
	s_xor_b32 s31, exec_lo, s31
	s_cbranch_execz .LBB57_128
; %bb.111:                              ;   in Loop: Header=BB57_5 Depth=1
	v_mul_f32_e64 v21, 0x34000000, |v8|
	s_delay_alu instid0(VALU_DEP_1) | instskip(NEXT) | instid1(VALU_DEP_1)
	v_cmp_le_f32_e64 s2, v21, |v12|
                                        ; implicit-def: $vgpr21
	s_and_saveexec_b32 s33, s2
	s_delay_alu instid0(SALU_CYCLE_1)
	s_xor_b32 s33, exec_lo, s33
	s_cbranch_execz .LBB57_121
; %bb.112:                              ;   in Loop: Header=BB57_5 Depth=1
	v_mov_b32_e32 v21, v19
	s_mov_b32 s2, exec_lo
	v_cmpx_neq_f32_e32 0, v9
	s_cbranch_execz .LBB57_114
; %bb.113:                              ;   in Loop: Header=BB57_5 Depth=1
	v_mul_f32_e32 v21, v12, v12
	v_add_f32_e32 v22, v9, v20
	s_delay_alu instid0(VALU_DEP_1) | instskip(NEXT) | instid1(VALU_DEP_1)
	v_div_scale_f32 v23, null, v22, v22, v21
	v_rcp_f32_e32 v24, v23
	s_waitcnt_depctr 0xfff
	v_fma_f32 v25, -v23, v24, 1.0
	s_delay_alu instid0(VALU_DEP_1) | instskip(SKIP_1) | instid1(VALU_DEP_1)
	v_fmac_f32_e32 v24, v25, v24
	v_div_scale_f32 v25, vcc_lo, v21, v22, v21
	v_mul_f32_e32 v26, v25, v24
	s_delay_alu instid0(VALU_DEP_1) | instskip(NEXT) | instid1(VALU_DEP_1)
	v_fma_f32 v27, -v23, v26, v25
	v_fmac_f32_e32 v26, v27, v24
	s_delay_alu instid0(VALU_DEP_1) | instskip(NEXT) | instid1(VALU_DEP_1)
	v_fma_f32 v23, -v23, v26, v25
	v_div_fmas_f32 v23, v23, v24, v26
	s_delay_alu instid0(VALU_DEP_1)
	v_div_fixup_f32 v21, v23, v22, v21
.LBB57_114:                             ;   in Loop: Header=BB57_5 Depth=1
	s_or_b32 exec_lo, exec_lo, s2
	v_sub_f32_e64 v23, 1.0, |v11|
	s_mov_b32 s2, exec_lo
                                        ; implicit-def: $vgpr22
	s_delay_alu instid0(VALU_DEP_1)
	v_cmpx_ngt_f32_e32 0, v23
	s_xor_b32 s2, exec_lo, s2
	s_cbranch_execz .LBB57_118
; %bb.115:                              ;   in Loop: Header=BB57_5 Depth=1
	v_mov_b32_e32 v22, v19
	s_mov_b32 s34, exec_lo
	v_cmpx_neq_f32_e32 0, v23
	s_cbranch_execz .LBB57_117
; %bb.116:                              ;   in Loop: Header=BB57_5 Depth=1
	v_dual_mul_f32 v22, v12, v12 :: v_dual_add_f32 v23, v23, v10
	s_delay_alu instid0(VALU_DEP_1) | instskip(NEXT) | instid1(VALU_DEP_1)
	v_div_scale_f32 v24, null, v23, v23, v22
	v_rcp_f32_e32 v25, v24
	s_waitcnt_depctr 0xfff
	v_fma_f32 v26, -v24, v25, 1.0
	s_delay_alu instid0(VALU_DEP_1) | instskip(SKIP_1) | instid1(VALU_DEP_1)
	v_fmac_f32_e32 v25, v26, v25
	v_div_scale_f32 v26, vcc_lo, v22, v23, v22
	v_mul_f32_e32 v27, v26, v25
	s_delay_alu instid0(VALU_DEP_1) | instskip(NEXT) | instid1(VALU_DEP_1)
	v_fma_f32 v28, -v24, v27, v26
	v_fmac_f32_e32 v27, v28, v25
	s_delay_alu instid0(VALU_DEP_1) | instskip(NEXT) | instid1(VALU_DEP_1)
	v_fma_f32 v24, -v24, v27, v26
	v_div_fmas_f32 v24, v24, v25, v27
	s_delay_alu instid0(VALU_DEP_1)
	v_div_fixup_f32 v22, v24, v23, v22
.LBB57_117:                             ;   in Loop: Header=BB57_5 Depth=1
	s_or_b32 exec_lo, exec_lo, s34
                                        ; implicit-def: $vgpr23
.LBB57_118:                             ;   in Loop: Header=BB57_5 Depth=1
	s_and_not1_saveexec_b32 s2, s2
; %bb.119:                              ;   in Loop: Header=BB57_5 Depth=1
	v_sub_f32_e32 v22, v10, v23
; %bb.120:                              ;   in Loop: Header=BB57_5 Depth=1
	s_or_b32 exec_lo, exec_lo, s2
	s_delay_alu instid0(VALU_DEP_1) | instskip(NEXT) | instid1(VALU_DEP_1)
	v_dual_mul_f32 v22, 0.5, v22 :: v_dual_add_f32 v23, 1.0, v7
	v_fmac_f32_e32 v22, 0.5, v21
	s_delay_alu instid0(VALU_DEP_1) | instskip(NEXT) | instid1(VALU_DEP_1)
	v_mul_f32_e32 v21, v23, v22
	v_mul_f32_e32 v23, 0x4f800000, v21
	v_cmp_gt_f32_e32 vcc_lo, 0xf800000, v21
	s_delay_alu instid0(VALU_DEP_2) | instskip(NEXT) | instid1(VALU_DEP_1)
	v_cndmask_b32_e32 v21, v21, v23, vcc_lo
	v_sqrt_f32_e32 v23, v21
	s_waitcnt_depctr 0xfff
	v_add_nc_u32_e32 v24, -1, v23
	v_add_nc_u32_e32 v25, 1, v23
	s_delay_alu instid0(VALU_DEP_2) | instskip(NEXT) | instid1(VALU_DEP_2)
	v_fma_f32 v26, -v24, v23, v21
	v_fma_f32 v27, -v25, v23, v21
	s_delay_alu instid0(VALU_DEP_2) | instskip(NEXT) | instid1(VALU_DEP_1)
	v_cmp_ge_f32_e64 s2, 0, v26
	v_cndmask_b32_e64 v23, v23, v24, s2
	s_delay_alu instid0(VALU_DEP_3) | instskip(NEXT) | instid1(VALU_DEP_1)
	v_cmp_lt_f32_e64 s2, 0, v27
	v_cndmask_b32_e64 v23, v23, v25, s2
	s_delay_alu instid0(VALU_DEP_1) | instskip(NEXT) | instid1(VALU_DEP_1)
	v_mul_f32_e32 v24, 0x37800000, v23
	v_cndmask_b32_e32 v23, v23, v24, vcc_lo
	v_cmp_class_f32_e64 vcc_lo, v21, 0x260
	s_delay_alu instid0(VALU_DEP_2) | instskip(NEXT) | instid1(VALU_DEP_1)
	v_cndmask_b32_e32 v21, v23, v21, vcc_lo
	v_add_f32_e32 v23, v22, v21
	s_delay_alu instid0(VALU_DEP_1) | instskip(NEXT) | instid1(VALU_DEP_1)
	v_add_f32_e32 v24, 1.0, v23
	v_cvt_f64_f32_e32 v[21:22], v24
	s_delay_alu instid0(VALU_DEP_1) | instskip(SKIP_1) | instid1(VALU_DEP_1)
	v_frexp_exp_i32_f64_e32 v21, v[21:22]
	v_frexp_mant_f32_e32 v22, v24
	v_cmp_gt_f32_e32 vcc_lo, 0x3f2aaaab, v22
	v_add_f32_e32 v22, -1.0, v24
	s_delay_alu instid0(VALU_DEP_1) | instskip(NEXT) | instid1(VALU_DEP_1)
	v_sub_f32_e32 v26, v22, v24
	v_add_f32_e32 v26, 1.0, v26
	v_subrev_co_ci_u32_e32 v21, vcc_lo, 0, v21, vcc_lo
	s_delay_alu instid0(VALU_DEP_1) | instskip(SKIP_1) | instid1(VALU_DEP_2)
	v_sub_nc_u32_e32 v25, 0, v21
	v_cvt_f32_i32_e32 v21, v21
	v_ldexp_f32 v24, v24, v25
	s_delay_alu instid0(VALU_DEP_1) | instskip(NEXT) | instid1(VALU_DEP_1)
	v_dual_sub_f32 v22, v23, v22 :: v_dual_add_f32 v27, 1.0, v24
	v_add_f32_e32 v22, v22, v26
	s_delay_alu instid0(VALU_DEP_2) | instskip(NEXT) | instid1(VALU_DEP_2)
	v_add_f32_e32 v26, -1.0, v27
	v_ldexp_f32 v22, v22, v25
	v_add_f32_e32 v25, -1.0, v24
	v_cmp_eq_f32_e32 vcc_lo, 0x7f800000, v23
	s_delay_alu instid0(VALU_DEP_4) | instskip(NEXT) | instid1(VALU_DEP_3)
	v_sub_f32_e32 v26, v24, v26
	v_add_f32_e32 v28, 1.0, v25
	s_delay_alu instid0(VALU_DEP_2) | instskip(NEXT) | instid1(VALU_DEP_2)
	v_add_f32_e32 v26, v22, v26
	v_sub_f32_e32 v24, v24, v28
	s_delay_alu instid0(VALU_DEP_1) | instskip(NEXT) | instid1(VALU_DEP_1)
	v_add_f32_e32 v22, v22, v24
	v_add_f32_e32 v29, v25, v22
	s_delay_alu instid0(VALU_DEP_1) | instskip(NEXT) | instid1(VALU_DEP_1)
	v_dual_add_f32 v28, v27, v26 :: v_dual_sub_f32 v25, v29, v25
	v_rcp_f32_e32 v24, v28
	v_sub_f32_e32 v27, v28, v27
	s_delay_alu instid0(VALU_DEP_1) | instskip(SKIP_2) | instid1(VALU_DEP_1)
	v_sub_f32_e32 v26, v26, v27
	s_waitcnt_depctr 0xfff
	v_mul_f32_e32 v30, v29, v24
	v_mul_f32_e32 v31, v28, v30
	s_delay_alu instid0(VALU_DEP_1) | instskip(NEXT) | instid1(VALU_DEP_1)
	v_fma_f32 v27, v30, v28, -v31
	v_fmac_f32_e32 v27, v30, v26
	v_sub_f32_e32 v22, v22, v25
	s_delay_alu instid0(VALU_DEP_2) | instskip(NEXT) | instid1(VALU_DEP_1)
	v_add_f32_e32 v32, v31, v27
	v_sub_f32_e32 v33, v29, v32
	v_sub_f32_e32 v25, v32, v31
	s_delay_alu instid0(VALU_DEP_2) | instskip(NEXT) | instid1(VALU_DEP_2)
	v_sub_f32_e32 v29, v29, v33
	v_sub_f32_e32 v25, v25, v27
	s_delay_alu instid0(VALU_DEP_2) | instskip(NEXT) | instid1(VALU_DEP_1)
	v_sub_f32_e32 v29, v29, v32
	v_add_f32_e32 v22, v22, v29
	s_delay_alu instid0(VALU_DEP_1) | instskip(NEXT) | instid1(VALU_DEP_1)
	v_add_f32_e32 v22, v25, v22
	v_add_f32_e32 v25, v33, v22
	s_delay_alu instid0(VALU_DEP_1) | instskip(NEXT) | instid1(VALU_DEP_1)
	v_mul_f32_e32 v27, v24, v25
	v_dual_sub_f32 v32, v33, v25 :: v_dual_mul_f32 v29, v28, v27
	s_delay_alu instid0(VALU_DEP_1) | instskip(NEXT) | instid1(VALU_DEP_2)
	v_add_f32_e32 v22, v22, v32
	v_fma_f32 v28, v27, v28, -v29
	s_delay_alu instid0(VALU_DEP_1) | instskip(NEXT) | instid1(VALU_DEP_1)
	v_fmac_f32_e32 v28, v27, v26
	v_add_f32_e32 v26, v29, v28
	s_delay_alu instid0(VALU_DEP_1) | instskip(NEXT) | instid1(VALU_DEP_1)
	v_sub_f32_e32 v31, v25, v26
	v_sub_f32_e32 v25, v25, v31
	s_delay_alu instid0(VALU_DEP_1) | instskip(NEXT) | instid1(VALU_DEP_1)
	v_sub_f32_e32 v25, v25, v26
	v_add_f32_e32 v22, v22, v25
	v_add_f32_e32 v25, v30, v27
	v_sub_f32_e32 v29, v26, v29
	s_delay_alu instid0(VALU_DEP_1) | instskip(NEXT) | instid1(VALU_DEP_1)
	v_sub_f32_e32 v26, v29, v28
	v_add_f32_e32 v22, v26, v22
	s_delay_alu instid0(VALU_DEP_4) | instskip(NEXT) | instid1(VALU_DEP_2)
	v_sub_f32_e32 v26, v25, v30
	v_add_f32_e32 v22, v31, v22
	s_delay_alu instid0(VALU_DEP_2) | instskip(NEXT) | instid1(VALU_DEP_2)
	v_sub_f32_e32 v26, v27, v26
	v_mul_f32_e32 v22, v24, v22
	s_delay_alu instid0(VALU_DEP_1) | instskip(NEXT) | instid1(VALU_DEP_1)
	v_add_f32_e32 v22, v26, v22
	v_add_f32_e32 v24, v25, v22
	s_delay_alu instid0(VALU_DEP_1) | instskip(NEXT) | instid1(VALU_DEP_1)
	v_mul_f32_e32 v26, v24, v24
	v_fmaak_f32 v27, s24, v26, 0x3ecc95a3
	v_mul_f32_e32 v28, v24, v26
	s_delay_alu instid0(VALU_DEP_2) | instskip(SKIP_2) | instid1(VALU_DEP_3)
	v_fmaak_f32 v26, v26, v27, 0x3f2aaada
	v_ldexp_f32 v27, v24, 1
	v_sub_f32_e32 v24, v24, v25
	v_mul_f32_e32 v26, v28, v26
	v_mul_f32_e32 v28, 0x3f317218, v21
	s_delay_alu instid0(VALU_DEP_2) | instskip(NEXT) | instid1(VALU_DEP_1)
	v_dual_sub_f32 v22, v22, v24 :: v_dual_add_f32 v25, v27, v26
	v_ldexp_f32 v22, v22, 1
	s_delay_alu instid0(VALU_DEP_2) | instskip(NEXT) | instid1(VALU_DEP_4)
	v_sub_f32_e32 v24, v25, v27
	v_fma_f32 v27, 0x3f317218, v21, -v28
	s_delay_alu instid0(VALU_DEP_1) | instskip(NEXT) | instid1(VALU_DEP_1)
	v_dual_sub_f32 v24, v26, v24 :: v_dual_fmac_f32 v27, 0xb102e308, v21
	v_dual_add_f32 v21, v22, v24 :: v_dual_add_f32 v22, v28, v27
	s_delay_alu instid0(VALU_DEP_1) | instskip(NEXT) | instid1(VALU_DEP_2)
	v_add_f32_e32 v24, v25, v21
	v_sub_f32_e32 v28, v22, v28
	s_delay_alu instid0(VALU_DEP_2) | instskip(NEXT) | instid1(VALU_DEP_2)
	v_dual_add_f32 v26, v22, v24 :: v_dual_sub_f32 v25, v24, v25
	v_sub_f32_e32 v27, v27, v28
	s_delay_alu instid0(VALU_DEP_2) | instskip(NEXT) | instid1(VALU_DEP_3)
	v_sub_f32_e32 v29, v26, v22
	v_sub_f32_e32 v21, v21, v25
	s_delay_alu instid0(VALU_DEP_2) | instskip(SKIP_1) | instid1(VALU_DEP_2)
	v_sub_f32_e32 v30, v26, v29
	v_sub_f32_e32 v24, v24, v29
	v_dual_add_f32 v25, v27, v21 :: v_dual_sub_f32 v22, v22, v30
	s_delay_alu instid0(VALU_DEP_1) | instskip(NEXT) | instid1(VALU_DEP_2)
	v_add_f32_e32 v22, v24, v22
	v_sub_f32_e32 v24, v25, v27
	s_delay_alu instid0(VALU_DEP_2) | instskip(NEXT) | instid1(VALU_DEP_2)
	v_add_f32_e32 v22, v25, v22
	v_sub_f32_e32 v25, v25, v24
	s_delay_alu instid0(VALU_DEP_2) | instskip(NEXT) | instid1(VALU_DEP_1)
	v_dual_sub_f32 v21, v21, v24 :: v_dual_add_f32 v28, v26, v22
	v_dual_sub_f32 v25, v27, v25 :: v_dual_sub_f32 v24, v28, v26
	s_delay_alu instid0(VALU_DEP_1) | instskip(NEXT) | instid1(VALU_DEP_1)
	v_dual_add_f32 v21, v21, v25 :: v_dual_sub_f32 v22, v22, v24
	v_add_f32_e32 v21, v21, v22
	s_delay_alu instid0(VALU_DEP_1) | instskip(NEXT) | instid1(VALU_DEP_1)
	v_add_f32_e32 v21, v28, v21
	v_cndmask_b32_e32 v21, v21, v23, vcc_lo
	v_cmp_ngt_f32_e32 vcc_lo, -1.0, v23
	s_delay_alu instid0(VALU_DEP_2) | instskip(SKIP_1) | instid1(VALU_DEP_2)
	v_cndmask_b32_e32 v21, 0x7fc00000, v21, vcc_lo
	v_cmp_neq_f32_e32 vcc_lo, -1.0, v23
	v_cndmask_b32_e32 v21, 0xff800000, v21, vcc_lo
	v_cmp_gt_f32_e64 vcc_lo, 0x33800000, |v23|
	s_delay_alu instid0(VALU_DEP_2)
	v_cndmask_b32_e32 v21, v21, v23, vcc_lo
.LBB57_121:                             ;   in Loop: Header=BB57_5 Depth=1
	s_and_not1_saveexec_b32 s33, s33
	s_cbranch_execz .LBB57_127
; %bb.122:                              ;   in Loop: Header=BB57_5 Depth=1
	s_mov_b32 s34, exec_lo
                                        ; implicit-def: $vgpr21
	v_cmpx_nlt_f32_e64 |v11|, 1.0
	s_xor_b32 s34, exec_lo, s34
	s_cbranch_execz .LBB57_124
; %bb.123:                              ;   in Loop: Header=BB57_5 Depth=1
	v_mul_f32_e32 v21, v8, v9
	s_delay_alu instid0(VALU_DEP_1) | instskip(SKIP_1) | instid1(VALU_DEP_2)
	v_mul_f32_e32 v22, 0x4f800000, v21
	v_cmp_gt_f32_e32 vcc_lo, 0xf800000, v21
	v_cndmask_b32_e32 v21, v21, v22, vcc_lo
	s_delay_alu instid0(VALU_DEP_1) | instskip(SKIP_3) | instid1(VALU_DEP_2)
	v_sqrt_f32_e32 v22, v21
	s_waitcnt_depctr 0xfff
	v_add_nc_u32_e32 v23, -1, v22
	v_add_nc_u32_e32 v24, 1, v22
	v_fma_f32 v25, -v23, v22, v21
	s_delay_alu instid0(VALU_DEP_2) | instskip(NEXT) | instid1(VALU_DEP_2)
	v_fma_f32 v26, -v24, v22, v21
	v_cmp_ge_f32_e64 s2, 0, v25
	s_delay_alu instid0(VALU_DEP_1) | instskip(NEXT) | instid1(VALU_DEP_3)
	v_cndmask_b32_e64 v22, v22, v23, s2
	v_cmp_lt_f32_e64 s2, 0, v26
	s_delay_alu instid0(VALU_DEP_1) | instskip(NEXT) | instid1(VALU_DEP_1)
	v_cndmask_b32_e64 v22, v22, v24, s2
	v_mul_f32_e32 v23, 0x37800000, v22
	s_delay_alu instid0(VALU_DEP_1) | instskip(SKIP_1) | instid1(VALU_DEP_2)
	v_cndmask_b32_e32 v22, v22, v23, vcc_lo
	v_cmp_class_f32_e64 vcc_lo, v21, 0x260
	v_cndmask_b32_e32 v21, v22, v21, vcc_lo
	s_delay_alu instid0(VALU_DEP_1) | instskip(NEXT) | instid1(VALU_DEP_1)
	v_add_f32_e32 v23, v8, v21
	v_add_f32_e32 v24, 1.0, v23
	s_delay_alu instid0(VALU_DEP_1) | instskip(NEXT) | instid1(VALU_DEP_1)
	v_cvt_f64_f32_e32 v[21:22], v24
	v_frexp_exp_i32_f64_e32 v21, v[21:22]
	v_frexp_mant_f32_e32 v22, v24
	s_delay_alu instid0(VALU_DEP_1) | instskip(SKIP_1) | instid1(VALU_DEP_1)
	v_cmp_gt_f32_e32 vcc_lo, 0x3f2aaaab, v22
	v_add_f32_e32 v22, -1.0, v24
	v_sub_f32_e32 v26, v22, v24
	s_delay_alu instid0(VALU_DEP_1) | instskip(SKIP_2) | instid1(VALU_DEP_2)
	v_add_f32_e32 v26, 1.0, v26
	v_subrev_co_ci_u32_e32 v21, vcc_lo, 0, v21, vcc_lo
	v_cmp_eq_f32_e32 vcc_lo, 0x7f800000, v23
	v_sub_nc_u32_e32 v25, 0, v21
	v_cvt_f32_i32_e32 v21, v21
	s_delay_alu instid0(VALU_DEP_2) | instskip(NEXT) | instid1(VALU_DEP_1)
	v_ldexp_f32 v24, v24, v25
	v_dual_sub_f32 v22, v23, v22 :: v_dual_add_f32 v27, 1.0, v24
	s_delay_alu instid0(VALU_DEP_1) | instskip(NEXT) | instid1(VALU_DEP_1)
	v_add_f32_e32 v22, v22, v26
	v_ldexp_f32 v22, v22, v25
	s_delay_alu instid0(VALU_DEP_3) | instskip(NEXT) | instid1(VALU_DEP_1)
	v_dual_add_f32 v25, -1.0, v24 :: v_dual_add_f32 v26, -1.0, v27
	v_add_f32_e32 v28, 1.0, v25
	s_delay_alu instid0(VALU_DEP_2) | instskip(NEXT) | instid1(VALU_DEP_2)
	v_sub_f32_e32 v26, v24, v26
	v_sub_f32_e32 v24, v24, v28
	s_delay_alu instid0(VALU_DEP_2) | instskip(NEXT) | instid1(VALU_DEP_2)
	v_add_f32_e32 v26, v22, v26
	v_add_f32_e32 v22, v22, v24
	s_delay_alu instid0(VALU_DEP_1) | instskip(NEXT) | instid1(VALU_DEP_1)
	v_add_f32_e32 v29, v25, v22
	v_dual_sub_f32 v25, v29, v25 :: v_dual_add_f32 v28, v27, v26
	s_delay_alu instid0(VALU_DEP_1) | instskip(SKIP_1) | instid1(VALU_DEP_1)
	v_rcp_f32_e32 v24, v28
	v_sub_f32_e32 v27, v28, v27
	v_sub_f32_e32 v26, v26, v27
	s_waitcnt_depctr 0xfff
	v_mul_f32_e32 v30, v29, v24
	s_delay_alu instid0(VALU_DEP_1) | instskip(NEXT) | instid1(VALU_DEP_1)
	v_mul_f32_e32 v31, v28, v30
	v_fma_f32 v27, v30, v28, -v31
	s_delay_alu instid0(VALU_DEP_1) | instskip(SKIP_1) | instid1(VALU_DEP_2)
	v_fmac_f32_e32 v27, v30, v26
	v_sub_f32_e32 v22, v22, v25
	v_add_f32_e32 v32, v31, v27
	s_delay_alu instid0(VALU_DEP_1) | instskip(SKIP_1) | instid1(VALU_DEP_2)
	v_sub_f32_e32 v33, v29, v32
	v_sub_f32_e32 v25, v32, v31
	;; [unrolled: 1-line block ×3, first 2 shown]
	s_delay_alu instid0(VALU_DEP_2) | instskip(NEXT) | instid1(VALU_DEP_2)
	v_sub_f32_e32 v25, v25, v27
	v_sub_f32_e32 v29, v29, v32
	s_delay_alu instid0(VALU_DEP_1) | instskip(NEXT) | instid1(VALU_DEP_1)
	v_add_f32_e32 v22, v22, v29
	v_add_f32_e32 v22, v25, v22
	s_delay_alu instid0(VALU_DEP_1) | instskip(NEXT) | instid1(VALU_DEP_1)
	v_add_f32_e32 v25, v33, v22
	v_mul_f32_e32 v27, v24, v25
	s_delay_alu instid0(VALU_DEP_1) | instskip(NEXT) | instid1(VALU_DEP_1)
	v_dual_sub_f32 v32, v33, v25 :: v_dual_mul_f32 v29, v28, v27
	v_fma_f32 v28, v27, v28, -v29
	s_delay_alu instid0(VALU_DEP_1) | instskip(NEXT) | instid1(VALU_DEP_1)
	v_fmac_f32_e32 v28, v27, v26
	v_add_f32_e32 v26, v29, v28
	s_delay_alu instid0(VALU_DEP_1) | instskip(SKIP_1) | instid1(VALU_DEP_1)
	v_sub_f32_e32 v29, v26, v29
	v_dual_sub_f32 v31, v25, v26 :: v_dual_add_f32 v22, v22, v32
	v_sub_f32_e32 v25, v25, v31
	s_delay_alu instid0(VALU_DEP_1) | instskip(NEXT) | instid1(VALU_DEP_4)
	v_sub_f32_e32 v25, v25, v26
	v_sub_f32_e32 v26, v29, v28
	s_delay_alu instid0(VALU_DEP_2) | instskip(SKIP_1) | instid1(VALU_DEP_2)
	v_add_f32_e32 v22, v22, v25
	v_add_f32_e32 v25, v30, v27
	;; [unrolled: 1-line block ×3, first 2 shown]
	s_delay_alu instid0(VALU_DEP_2) | instskip(NEXT) | instid1(VALU_DEP_2)
	v_sub_f32_e32 v26, v25, v30
	v_add_f32_e32 v22, v31, v22
	s_delay_alu instid0(VALU_DEP_2) | instskip(NEXT) | instid1(VALU_DEP_2)
	v_sub_f32_e32 v26, v27, v26
	v_mul_f32_e32 v22, v24, v22
	s_delay_alu instid0(VALU_DEP_1) | instskip(NEXT) | instid1(VALU_DEP_1)
	v_add_f32_e32 v22, v26, v22
	v_add_f32_e32 v24, v25, v22
	s_delay_alu instid0(VALU_DEP_1) | instskip(NEXT) | instid1(VALU_DEP_1)
	v_mul_f32_e32 v26, v24, v24
	v_fmaak_f32 v27, s24, v26, 0x3ecc95a3
	v_mul_f32_e32 v28, v24, v26
	s_delay_alu instid0(VALU_DEP_2) | instskip(SKIP_2) | instid1(VALU_DEP_3)
	v_fmaak_f32 v26, v26, v27, 0x3f2aaada
	v_ldexp_f32 v27, v24, 1
	v_sub_f32_e32 v24, v24, v25
	v_mul_f32_e32 v26, v28, v26
	v_mul_f32_e32 v28, 0x3f317218, v21
	s_delay_alu instid0(VALU_DEP_2) | instskip(NEXT) | instid1(VALU_DEP_1)
	v_dual_sub_f32 v22, v22, v24 :: v_dual_add_f32 v25, v27, v26
	v_ldexp_f32 v22, v22, 1
	s_delay_alu instid0(VALU_DEP_2) | instskip(NEXT) | instid1(VALU_DEP_4)
	v_sub_f32_e32 v24, v25, v27
	v_fma_f32 v27, 0x3f317218, v21, -v28
	s_delay_alu instid0(VALU_DEP_1) | instskip(NEXT) | instid1(VALU_DEP_1)
	v_dual_sub_f32 v24, v26, v24 :: v_dual_fmac_f32 v27, 0xb102e308, v21
	v_dual_add_f32 v21, v22, v24 :: v_dual_add_f32 v22, v28, v27
	s_delay_alu instid0(VALU_DEP_1) | instskip(NEXT) | instid1(VALU_DEP_2)
	v_add_f32_e32 v24, v25, v21
	v_sub_f32_e32 v28, v22, v28
	s_delay_alu instid0(VALU_DEP_2) | instskip(NEXT) | instid1(VALU_DEP_2)
	v_dual_add_f32 v26, v22, v24 :: v_dual_sub_f32 v25, v24, v25
	v_sub_f32_e32 v27, v27, v28
	s_delay_alu instid0(VALU_DEP_2) | instskip(NEXT) | instid1(VALU_DEP_3)
	v_sub_f32_e32 v29, v26, v22
	v_sub_f32_e32 v21, v21, v25
	s_delay_alu instid0(VALU_DEP_2) | instskip(SKIP_1) | instid1(VALU_DEP_2)
	v_sub_f32_e32 v30, v26, v29
	v_sub_f32_e32 v24, v24, v29
	v_dual_add_f32 v25, v27, v21 :: v_dual_sub_f32 v22, v22, v30
	s_delay_alu instid0(VALU_DEP_1) | instskip(NEXT) | instid1(VALU_DEP_2)
	v_add_f32_e32 v22, v24, v22
	v_sub_f32_e32 v24, v25, v27
	s_delay_alu instid0(VALU_DEP_2) | instskip(NEXT) | instid1(VALU_DEP_2)
	v_add_f32_e32 v22, v25, v22
	v_sub_f32_e32 v25, v25, v24
	s_delay_alu instid0(VALU_DEP_2) | instskip(NEXT) | instid1(VALU_DEP_1)
	v_dual_sub_f32 v21, v21, v24 :: v_dual_add_f32 v28, v26, v22
	v_dual_sub_f32 v25, v27, v25 :: v_dual_sub_f32 v24, v28, v26
	s_delay_alu instid0(VALU_DEP_1) | instskip(NEXT) | instid1(VALU_DEP_1)
	v_dual_add_f32 v21, v21, v25 :: v_dual_sub_f32 v22, v22, v24
	v_add_f32_e32 v21, v21, v22
	s_delay_alu instid0(VALU_DEP_1) | instskip(NEXT) | instid1(VALU_DEP_1)
	v_add_f32_e32 v21, v28, v21
	v_cndmask_b32_e32 v21, v21, v23, vcc_lo
	v_cmp_ngt_f32_e32 vcc_lo, -1.0, v23
	s_delay_alu instid0(VALU_DEP_2) | instskip(SKIP_1) | instid1(VALU_DEP_2)
	v_cndmask_b32_e32 v21, 0x7fc00000, v21, vcc_lo
	v_cmp_neq_f32_e32 vcc_lo, -1.0, v23
	v_cndmask_b32_e32 v21, 0xff800000, v21, vcc_lo
	v_cmp_gt_f32_e64 vcc_lo, 0x33800000, |v23|
	s_delay_alu instid0(VALU_DEP_2)
	v_cndmask_b32_e32 v21, v21, v23, vcc_lo
.LBB57_124:                             ;   in Loop: Header=BB57_5 Depth=1
	s_and_not1_saveexec_b32 s34, s34
	s_cbranch_execz .LBB57_126
; %bb.125:                              ;   in Loop: Header=BB57_5 Depth=1
	v_sub_f32_e64 v21, 1.0, |v11|
	s_delay_alu instid0(VALU_DEP_1) | instskip(NEXT) | instid1(VALU_DEP_1)
	v_mul_f32_e32 v21, v21, v9
	v_mul_f32_e32 v22, 0x4f800000, v21
	v_cmp_gt_f32_e32 vcc_lo, 0xf800000, v21
	s_delay_alu instid0(VALU_DEP_2) | instskip(NEXT) | instid1(VALU_DEP_1)
	v_cndmask_b32_e32 v21, v21, v22, vcc_lo
	v_sqrt_f32_e32 v22, v21
	s_waitcnt_depctr 0xfff
	v_add_nc_u32_e32 v23, -1, v22
	v_add_nc_u32_e32 v24, 1, v22
	s_delay_alu instid0(VALU_DEP_2) | instskip(NEXT) | instid1(VALU_DEP_2)
	v_fma_f32 v25, -v23, v22, v21
	v_fma_f32 v26, -v24, v22, v21
	s_delay_alu instid0(VALU_DEP_2) | instskip(NEXT) | instid1(VALU_DEP_1)
	v_cmp_ge_f32_e64 s2, 0, v25
	v_cndmask_b32_e64 v22, v22, v23, s2
	s_delay_alu instid0(VALU_DEP_3) | instskip(NEXT) | instid1(VALU_DEP_1)
	v_cmp_lt_f32_e64 s2, 0, v26
	v_cndmask_b32_e64 v22, v22, v24, s2
	s_delay_alu instid0(VALU_DEP_1) | instskip(NEXT) | instid1(VALU_DEP_1)
	v_mul_f32_e32 v23, 0x37800000, v22
	v_cndmask_b32_e32 v22, v22, v23, vcc_lo
	v_cmp_class_f32_e64 vcc_lo, v21, 0x260
	v_and_b32_e32 v23, 0x7fffffff, v12
	s_delay_alu instid0(VALU_DEP_3) | instskip(NEXT) | instid1(VALU_DEP_1)
	v_cndmask_b32_e32 v21, v22, v21, vcc_lo
	v_div_scale_f32 v22, null, v21, v21, v23
	v_div_scale_f32 v23, vcc_lo, v23, v21, v23
	s_delay_alu instid0(VALU_DEP_2) | instskip(SKIP_2) | instid1(VALU_DEP_1)
	v_rcp_f32_e32 v24, v22
	s_waitcnt_depctr 0xfff
	v_fma_f32 v25, -v22, v24, 1.0
	v_fmac_f32_e32 v24, v25, v24
	s_delay_alu instid0(VALU_DEP_1) | instskip(NEXT) | instid1(VALU_DEP_1)
	v_mul_f32_e32 v25, v23, v24
	v_fma_f32 v26, -v22, v25, v23
	s_delay_alu instid0(VALU_DEP_1) | instskip(NEXT) | instid1(VALU_DEP_1)
	v_fmac_f32_e32 v25, v26, v24
	v_fma_f32 v22, -v22, v25, v23
	s_delay_alu instid0(VALU_DEP_1) | instskip(NEXT) | instid1(VALU_DEP_1)
	v_div_fmas_f32 v22, v22, v24, v25
	v_div_fixup_f32 v21, v22, v21, |v12|
.LBB57_126:                             ;   in Loop: Header=BB57_5 Depth=1
	s_or_b32 exec_lo, exec_lo, s34
.LBB57_127:                             ;   in Loop: Header=BB57_5 Depth=1
	s_delay_alu instid0(SALU_CYCLE_1)
	s_or_b32 exec_lo, exec_lo, s33
.LBB57_128:                             ;   in Loop: Header=BB57_5 Depth=1
	s_and_not1_saveexec_b32 s31, s31
	s_cbranch_execz .LBB57_130
; %bb.129:                              ;   in Loop: Header=BB57_5 Depth=1
	v_mul_f32_e64 v21, 0x4f800000, |v12|
	v_cmp_gt_f32_e64 vcc_lo, 0xf800000, |v12|
	s_delay_alu instid0(VALU_DEP_1) | instskip(NEXT) | instid1(VALU_DEP_1)
	v_cndmask_b32_e64 v21, |v12|, v21, vcc_lo
	v_sqrt_f32_e32 v22, v21
	s_waitcnt_depctr 0xfff
	v_add_nc_u32_e32 v23, -1, v22
	v_add_nc_u32_e32 v24, 1, v22
	s_delay_alu instid0(VALU_DEP_2) | instskip(NEXT) | instid1(VALU_DEP_2)
	v_fma_f32 v25, -v23, v22, v21
	v_fma_f32 v26, -v24, v22, v21
	s_delay_alu instid0(VALU_DEP_2) | instskip(NEXT) | instid1(VALU_DEP_1)
	v_cmp_ge_f32_e64 s2, 0, v25
	v_cndmask_b32_e64 v22, v22, v23, s2
	s_delay_alu instid0(VALU_DEP_3) | instskip(NEXT) | instid1(VALU_DEP_1)
	v_cmp_lt_f32_e64 s2, 0, v26
	v_cndmask_b32_e64 v22, v22, v24, s2
	s_delay_alu instid0(VALU_DEP_1) | instskip(NEXT) | instid1(VALU_DEP_1)
	v_mul_f32_e32 v23, 0x37800000, v22
	v_cndmask_b32_e32 v22, v22, v23, vcc_lo
	v_cmp_class_f32_e64 vcc_lo, v21, 0x260
	s_delay_alu instid0(VALU_DEP_2)
	v_cndmask_b32_e32 v21, v22, v21, vcc_lo
.LBB57_130:                             ;   in Loop: Header=BB57_5 Depth=1
	s_or_b32 exec_lo, exec_lo, s31
.LBB57_131:                             ;   in Loop: Header=BB57_5 Depth=1
	s_delay_alu instid0(SALU_CYCLE_1) | instskip(NEXT) | instid1(SALU_CYCLE_1)
	s_or_b32 exec_lo, exec_lo, s3
	s_mov_b32 s31, exec_lo
                                        ; implicit-def: $sgpr2
                                        ; implicit-def: $vgpr22
                                        ; implicit-def: $vgpr24
                                        ; implicit-def: $vgpr23
	v_cmpx_ngt_f32_e64 0x21000000, |v11|
	s_xor_b32 s31, exec_lo, s31
	s_cbranch_execz .LBB57_155
; %bb.132:                              ;   in Loop: Header=BB57_5 Depth=1
	v_and_b32_e32 v23, 0x7fffffff, v11
	s_mov_b32 s2, 0
	s_mov_b32 s33, exec_lo
	s_delay_alu instid0(VALU_DEP_1) | instskip(NEXT) | instid1(VALU_DEP_1)
	v_div_scale_f32 v22, null, v7, v7, v23
	v_rcp_f32_e32 v24, v22
	s_waitcnt_depctr 0xfff
	v_fma_f32 v25, -v22, v24, 1.0
	s_delay_alu instid0(VALU_DEP_1) | instskip(SKIP_1) | instid1(VALU_DEP_1)
	v_fmac_f32_e32 v24, v25, v24
	v_div_scale_f32 v25, vcc_lo, v23, v7, v23
	v_mul_f32_e32 v26, v25, v24
	s_delay_alu instid0(VALU_DEP_1) | instskip(NEXT) | instid1(VALU_DEP_1)
	v_fma_f32 v27, -v22, v26, v25
	v_fmac_f32_e32 v26, v27, v24
	s_delay_alu instid0(VALU_DEP_1) | instskip(NEXT) | instid1(VALU_DEP_1)
	v_fma_f32 v22, -v22, v26, v25
	v_div_fmas_f32 v22, v22, v24, v26
                                        ; implicit-def: $vgpr24
	s_delay_alu instid0(VALU_DEP_1) | instskip(NEXT) | instid1(VALU_DEP_1)
	v_div_fixup_f32 v22, v22, v7, |v11|
	v_cmpx_lt_f32_e32 0x3f244674, v22
	s_cbranch_execz .LBB57_154
; %bb.133:                              ;   in Loop: Header=BB57_5 Depth=1
	v_cmp_neq_f32_e64 s2, |v11|, 1.0
	v_cmp_ngt_f32_e64 s3, 0x30800000, |v12|
                                        ; implicit-def: $sgpr34
                                        ; implicit-def: $vgpr24
	s_delay_alu instid0(VALU_DEP_1) | instskip(NEXT) | instid1(SALU_CYCLE_1)
	s_or_b32 s2, s2, s3
	s_and_saveexec_b32 s3, s2
	s_delay_alu instid0(SALU_CYCLE_1)
	s_xor_b32 s3, exec_lo, s3
	s_cbranch_execz .LBB57_151
; %bb.134:                              ;   in Loop: Header=BB57_5 Depth=1
	v_mul_f32_e64 v24, 0x34000000, |v8|
                                        ; implicit-def: $sgpr34
	s_delay_alu instid0(VALU_DEP_1) | instskip(NEXT) | instid1(VALU_DEP_1)
	v_cmp_le_f32_e64 s2, v24, |v12|
                                        ; implicit-def: $vgpr24
	s_and_saveexec_b32 s35, s2
	s_delay_alu instid0(SALU_CYCLE_1)
	s_xor_b32 s35, exec_lo, s35
	s_cbranch_execz .LBB57_144
; %bb.135:                              ;   in Loop: Header=BB57_5 Depth=1
	v_mov_b32_e32 v24, v19
	s_mov_b32 s2, exec_lo
	v_cmpx_neq_f32_e32 0, v9
	s_cbranch_execz .LBB57_137
; %bb.136:                              ;   in Loop: Header=BB57_5 Depth=1
	v_mul_f32_e32 v24, v12, v12
	v_add_f32_e32 v9, v9, v20
	s_delay_alu instid0(VALU_DEP_1) | instskip(NEXT) | instid1(VALU_DEP_1)
	v_div_scale_f32 v20, null, v9, v9, v24
	v_rcp_f32_e32 v25, v20
	s_waitcnt_depctr 0xfff
	v_fma_f32 v26, -v20, v25, 1.0
	s_delay_alu instid0(VALU_DEP_1) | instskip(SKIP_1) | instid1(VALU_DEP_1)
	v_fmac_f32_e32 v25, v26, v25
	v_div_scale_f32 v26, vcc_lo, v24, v9, v24
	v_mul_f32_e32 v27, v26, v25
	s_delay_alu instid0(VALU_DEP_1) | instskip(NEXT) | instid1(VALU_DEP_1)
	v_fma_f32 v28, -v20, v27, v26
	v_fmac_f32_e32 v27, v28, v25
	s_delay_alu instid0(VALU_DEP_1) | instskip(NEXT) | instid1(VALU_DEP_1)
	v_fma_f32 v20, -v20, v27, v26
	v_div_fmas_f32 v20, v20, v25, v27
	s_delay_alu instid0(VALU_DEP_1)
	v_div_fixup_f32 v24, v20, v9, v24
.LBB57_137:                             ;   in Loop: Header=BB57_5 Depth=1
	s_or_b32 exec_lo, exec_lo, s2
	s_delay_alu instid0(SALU_CYCLE_1)
	s_mov_b32 s2, exec_lo
	v_cmpx_ngt_f32_e32 0, v8
	s_xor_b32 s2, exec_lo, s2
	s_cbranch_execz .LBB57_141
; %bb.138:                              ;   in Loop: Header=BB57_5 Depth=1
	s_mov_b32 s34, exec_lo
	v_cmpx_neq_f32_e32 0, v8
	s_cbranch_execz .LBB57_140
; %bb.139:                              ;   in Loop: Header=BB57_5 Depth=1
	v_mul_f32_e32 v9, v12, v12
	v_add_f32_e32 v8, v8, v10
	s_delay_alu instid0(VALU_DEP_1) | instskip(NEXT) | instid1(VALU_DEP_1)
	v_div_scale_f32 v10, null, v8, v8, v9
	v_rcp_f32_e32 v19, v10
	s_waitcnt_depctr 0xfff
	v_fma_f32 v20, -v10, v19, 1.0
	s_delay_alu instid0(VALU_DEP_1) | instskip(SKIP_1) | instid1(VALU_DEP_1)
	v_fmac_f32_e32 v19, v20, v19
	v_div_scale_f32 v20, vcc_lo, v9, v8, v9
	v_mul_f32_e32 v25, v20, v19
	s_delay_alu instid0(VALU_DEP_1) | instskip(NEXT) | instid1(VALU_DEP_1)
	v_fma_f32 v26, -v10, v25, v20
	v_fmac_f32_e32 v25, v26, v19
	s_delay_alu instid0(VALU_DEP_1) | instskip(NEXT) | instid1(VALU_DEP_1)
	v_fma_f32 v10, -v10, v25, v20
	v_div_fmas_f32 v10, v10, v19, v25
	s_delay_alu instid0(VALU_DEP_1)
	v_div_fixup_f32 v19, v10, v8, v9
.LBB57_140:                             ;   in Loop: Header=BB57_5 Depth=1
	s_or_b32 exec_lo, exec_lo, s34
                                        ; implicit-def: $vgpr10
                                        ; implicit-def: $vgpr8
.LBB57_141:                             ;   in Loop: Header=BB57_5 Depth=1
	s_and_not1_saveexec_b32 s2, s2
; %bb.142:                              ;   in Loop: Header=BB57_5 Depth=1
	v_sub_f32_e32 v19, v10, v8
; %bb.143:                              ;   in Loop: Header=BB57_5 Depth=1
	s_or_b32 exec_lo, exec_lo, s2
	s_delay_alu instid0(VALU_DEP_1) | instskip(SKIP_2) | instid1(VALU_DEP_2)
	v_mul_f32_e32 v8, 0.5, v19
	v_add_f32_e64 v7, |v11|, v7
	s_mov_b32 s34, -1
	v_fmac_f32_e32 v8, 0.5, v24
	s_delay_alu instid0(VALU_DEP_1) | instskip(NEXT) | instid1(VALU_DEP_1)
	v_mul_f32_e32 v7, v7, v8
	v_mul_f32_e32 v8, 0x4f800000, v7
	v_cmp_gt_f32_e32 vcc_lo, 0xf800000, v7
	s_delay_alu instid0(VALU_DEP_2) | instskip(NEXT) | instid1(VALU_DEP_1)
	v_cndmask_b32_e32 v7, v7, v8, vcc_lo
	v_sqrt_f32_e32 v8, v7
	s_waitcnt_depctr 0xfff
	v_add_nc_u32_e32 v9, -1, v8
	v_add_nc_u32_e32 v10, 1, v8
	s_delay_alu instid0(VALU_DEP_2) | instskip(NEXT) | instid1(VALU_DEP_2)
	v_fma_f32 v19, -v9, v8, v7
	v_fma_f32 v20, -v10, v8, v7
	s_delay_alu instid0(VALU_DEP_2) | instskip(NEXT) | instid1(VALU_DEP_1)
	v_cmp_ge_f32_e64 s2, 0, v19
	v_cndmask_b32_e64 v8, v8, v9, s2
	s_delay_alu instid0(VALU_DEP_3) | instskip(NEXT) | instid1(VALU_DEP_1)
	v_cmp_lt_f32_e64 s2, 0, v20
	v_cndmask_b32_e64 v8, v8, v10, s2
	s_delay_alu instid0(VALU_DEP_1) | instskip(NEXT) | instid1(VALU_DEP_1)
	v_mul_f32_e32 v9, 0x37800000, v8
	v_cndmask_b32_e32 v8, v8, v9, vcc_lo
	v_cmp_class_f32_e64 vcc_lo, v7, 0x260
                                        ; implicit-def: $vgpr9
	s_delay_alu instid0(VALU_DEP_2)
	v_cndmask_b32_e32 v24, v8, v7, vcc_lo
                                        ; implicit-def: $vgpr8
.LBB57_144:                             ;   in Loop: Header=BB57_5 Depth=1
	s_and_not1_saveexec_b32 s35, s35
	s_cbranch_execz .LBB57_150
; %bb.145:                              ;   in Loop: Header=BB57_5 Depth=1
	s_mov_b32 s37, exec_lo
                                        ; implicit-def: $vgpr24
                                        ; implicit-def: $sgpr36
	v_cmpx_ngt_f32_e64 |v11|, 1.0
	s_xor_b32 s37, exec_lo, s37
	s_cbranch_execz .LBB57_147
; %bb.146:                              ;   in Loop: Header=BB57_5 Depth=1
	v_sub_f32_e64 v7, 1.0, |v11|
	s_mov_b32 s36, -1
	s_delay_alu instid0(VALU_DEP_1) | instskip(NEXT) | instid1(VALU_DEP_1)
	v_mul_f32_e32 v7, v7, v9
	v_mul_f32_e32 v8, 0x4f800000, v7
	v_cmp_gt_f32_e32 vcc_lo, 0xf800000, v7
	s_delay_alu instid0(VALU_DEP_2) | instskip(NEXT) | instid1(VALU_DEP_1)
	v_cndmask_b32_e32 v7, v7, v8, vcc_lo
	v_sqrt_f32_e32 v8, v7
	s_waitcnt_depctr 0xfff
	v_add_nc_u32_e32 v9, -1, v8
	v_add_nc_u32_e32 v10, 1, v8
	s_delay_alu instid0(VALU_DEP_2) | instskip(NEXT) | instid1(VALU_DEP_2)
	v_fma_f32 v19, -v9, v8, v7
	v_fma_f32 v20, -v10, v8, v7
	s_delay_alu instid0(VALU_DEP_2) | instskip(NEXT) | instid1(VALU_DEP_1)
	v_cmp_ge_f32_e64 s2, 0, v19
	v_cndmask_b32_e64 v8, v8, v9, s2
	s_delay_alu instid0(VALU_DEP_3) | instskip(NEXT) | instid1(VALU_DEP_1)
	v_cmp_lt_f32_e64 s2, 0, v20
	v_cndmask_b32_e64 v8, v8, v10, s2
	s_delay_alu instid0(VALU_DEP_1) | instskip(NEXT) | instid1(VALU_DEP_1)
	v_mul_f32_e32 v9, 0x37800000, v8
	v_cndmask_b32_e32 v8, v8, v9, vcc_lo
	v_cmp_class_f32_e64 vcc_lo, v7, 0x260
                                        ; implicit-def: $vgpr9
	s_delay_alu instid0(VALU_DEP_2)
	v_cndmask_b32_e32 v24, v8, v7, vcc_lo
                                        ; implicit-def: $vgpr8
.LBB57_147:                             ;   in Loop: Header=BB57_5 Depth=1
	s_and_not1_saveexec_b32 s37, s37
	s_cbranch_execz .LBB57_149
; %bb.148:                              ;   in Loop: Header=BB57_5 Depth=1
	v_mul_f32_e32 v7, v9, v8
	s_or_b32 s36, s36, exec_lo
	s_delay_alu instid0(VALU_DEP_1) | instskip(SKIP_1) | instid1(VALU_DEP_2)
	v_mul_f32_e32 v8, 0x4f800000, v7
	v_cmp_gt_f32_e32 vcc_lo, 0xf800000, v7
	v_cndmask_b32_e32 v7, v7, v8, vcc_lo
	s_delay_alu instid0(VALU_DEP_1) | instskip(SKIP_3) | instid1(VALU_DEP_2)
	v_sqrt_f32_e32 v8, v7
	s_waitcnt_depctr 0xfff
	v_add_nc_u32_e32 v9, -1, v8
	v_add_nc_u32_e32 v10, 1, v8
	v_fma_f32 v19, -v9, v8, v7
	s_delay_alu instid0(VALU_DEP_2) | instskip(NEXT) | instid1(VALU_DEP_2)
	v_fma_f32 v20, -v10, v8, v7
	v_cmp_ge_f32_e64 s2, 0, v19
	s_delay_alu instid0(VALU_DEP_1) | instskip(NEXT) | instid1(VALU_DEP_3)
	v_cndmask_b32_e64 v8, v8, v9, s2
	v_cmp_lt_f32_e64 s2, 0, v20
	s_delay_alu instid0(VALU_DEP_1) | instskip(SKIP_1) | instid1(VALU_DEP_2)
	v_cndmask_b32_e64 v8, v8, v10, s2
	v_mul_f32_e64 v10, 0x57800000, |v12|
	v_mul_f32_e32 v9, 0x37800000, v8
	s_delay_alu instid0(VALU_DEP_1) | instskip(SKIP_1) | instid1(VALU_DEP_4)
	v_cndmask_b32_e32 v8, v8, v9, vcc_lo
	v_cmp_class_f32_e64 vcc_lo, v7, 0x260
	v_mul_f32_e64 v9, |v11|, v10
	s_delay_alu instid0(VALU_DEP_3) | instskip(NEXT) | instid1(VALU_DEP_1)
	v_cndmask_b32_e32 v7, v8, v7, vcc_lo
	v_div_scale_f32 v8, null, v7, v7, v9
	v_div_scale_f32 v20, vcc_lo, v9, v7, v9
	s_delay_alu instid0(VALU_DEP_2) | instskip(SKIP_2) | instid1(VALU_DEP_1)
	v_rcp_f32_e32 v10, v8
	s_waitcnt_depctr 0xfff
	v_fma_f32 v19, -v8, v10, 1.0
	v_fmac_f32_e32 v10, v19, v10
	s_delay_alu instid0(VALU_DEP_1) | instskip(NEXT) | instid1(VALU_DEP_1)
	v_mul_f32_e32 v19, v20, v10
	v_fma_f32 v23, -v8, v19, v20
	s_delay_alu instid0(VALU_DEP_1) | instskip(SKIP_1) | instid1(VALU_DEP_2)
	v_fmac_f32_e32 v19, v23, v10
	v_mul_f32_e64 v23, 0x57800000, |v11|
	v_fma_f32 v8, -v8, v19, v20
	s_delay_alu instid0(VALU_DEP_1) | instskip(NEXT) | instid1(VALU_DEP_1)
	v_div_fmas_f32 v8, v8, v10, v19
	v_div_fixup_f32 v24, v8, v7, v9
.LBB57_149:                             ;   in Loop: Header=BB57_5 Depth=1
	s_or_b32 exec_lo, exec_lo, s37
	s_delay_alu instid0(SALU_CYCLE_1) | instskip(SKIP_1) | instid1(SALU_CYCLE_1)
	s_and_not1_b32 s2, s34, exec_lo
	s_and_b32 s34, s36, exec_lo
	s_or_b32 s34, s2, s34
.LBB57_150:                             ;   in Loop: Header=BB57_5 Depth=1
	s_or_b32 exec_lo, exec_lo, s35
	s_delay_alu instid0(SALU_CYCLE_1)
	s_and_b32 s34, s34, exec_lo
                                        ; implicit-def: $vgpr7
.LBB57_151:                             ;   in Loop: Header=BB57_5 Depth=1
	s_and_not1_saveexec_b32 s35, s3
	s_cbranch_execz .LBB57_153
; %bb.152:                              ;   in Loop: Header=BB57_5 Depth=1
	v_add_f32_e32 v7, 1.0, v7
	v_mul_f32_e64 v8, 0x4f800000, |v12|
	v_cmp_gt_f32_e64 vcc_lo, 0xf800000, |v12|
	s_or_b32 s34, s34, exec_lo
	s_delay_alu instid0(VALU_DEP_3) | instskip(NEXT) | instid1(VALU_DEP_2)
	v_mul_f32_e32 v7, 0.5, v7
	v_cndmask_b32_e64 v8, |v12|, v8, vcc_lo
	s_delay_alu instid0(VALU_DEP_2) | instskip(SKIP_1) | instid1(VALU_DEP_1)
	v_mul_f32_e32 v9, 0x4f800000, v7
	v_cmp_gt_f32_e64 s2, 0xf800000, v7
	v_cndmask_b32_e64 v7, v7, v9, s2
	s_delay_alu instid0(VALU_DEP_4) | instskip(NEXT) | instid1(VALU_DEP_1)
	v_sqrt_f32_e32 v9, v8
	v_sqrt_f32_e32 v10, v7
	s_waitcnt_depctr 0xfff
	v_add_nc_u32_e32 v19, -1, v9
	v_add_nc_u32_e32 v23, 1, v9
	v_add_nc_u32_e32 v20, -1, v10
	s_delay_alu instid0(VALU_DEP_3) | instskip(SKIP_1) | instid1(VALU_DEP_4)
	v_fma_f32 v24, -v19, v9, v8
	v_add_nc_u32_e32 v25, 1, v10
	v_fma_f32 v27, -v23, v9, v8
	s_delay_alu instid0(VALU_DEP_4) | instskip(NEXT) | instid1(VALU_DEP_4)
	v_fma_f32 v26, -v20, v10, v7
	v_cmp_ge_f32_e64 s3, 0, v24
	s_delay_alu instid0(VALU_DEP_1) | instskip(NEXT) | instid1(VALU_DEP_3)
	v_cndmask_b32_e64 v9, v9, v19, s3
	v_cmp_ge_f32_e64 s3, 0, v26
	v_fma_f32 v19, -v25, v10, v7
	s_delay_alu instid0(VALU_DEP_2) | instskip(SKIP_1) | instid1(VALU_DEP_1)
	v_cndmask_b32_e64 v10, v10, v20, s3
	v_cmp_lt_f32_e64 s3, 0, v27
	v_cndmask_b32_e64 v9, v9, v23, s3
	s_delay_alu instid0(VALU_DEP_4) | instskip(SKIP_1) | instid1(VALU_DEP_3)
	v_cmp_lt_f32_e64 s3, 0, v19
	v_mov_b32_e32 v23, 1.0
	v_mul_f32_e32 v19, 0x37800000, v9
	s_delay_alu instid0(VALU_DEP_3) | instskip(NEXT) | instid1(VALU_DEP_1)
	v_cndmask_b32_e64 v10, v10, v25, s3
	v_dual_cndmask_b32 v9, v9, v19 :: v_dual_mul_f32 v20, 0x37800000, v10
	v_cmp_class_f32_e64 vcc_lo, v8, 0x260
	s_delay_alu instid0(VALU_DEP_2) | instskip(NEXT) | instid1(VALU_DEP_3)
	v_cndmask_b32_e64 v10, v10, v20, s2
	v_cndmask_b32_e32 v8, v9, v8, vcc_lo
	v_cmp_class_f32_e64 vcc_lo, v7, 0x260
	s_delay_alu instid0(VALU_DEP_3) | instskip(NEXT) | instid1(VALU_DEP_1)
	v_cndmask_b32_e32 v7, v10, v7, vcc_lo
	v_mul_f32_e32 v24, v8, v7
.LBB57_153:                             ;   in Loop: Header=BB57_5 Depth=1
	s_or_b32 exec_lo, exec_lo, s35
	s_delay_alu instid0(SALU_CYCLE_1)
	s_and_b32 s2, s34, exec_lo
.LBB57_154:                             ;   in Loop: Header=BB57_5 Depth=1
	s_or_b32 exec_lo, exec_lo, s33
	s_delay_alu instid0(SALU_CYCLE_1)
	s_and_b32 s2, s2, exec_lo
                                        ; implicit-def: $vgpr7
.LBB57_155:                             ;   in Loop: Header=BB57_5 Depth=1
	s_and_not1_saveexec_b32 s3, s31
; %bb.156:                              ;   in Loop: Header=BB57_5 Depth=1
	v_mul_f32_e32 v24, 0x4b800000, v7
	v_mul_f32_e64 v23, 0x4b800000, |v11|
	s_or_b32 s2, s2, exec_lo
                                        ; implicit-def: $vgpr22
; %bb.157:                              ;   in Loop: Header=BB57_5 Depth=1
	s_or_b32 exec_lo, exec_lo, s3
	s_xor_b32 s2, s2, -1
                                        ; implicit-def: $vgpr7
	s_delay_alu instid0(SALU_CYCLE_1) | instskip(NEXT) | instid1(SALU_CYCLE_1)
	s_and_saveexec_b32 s3, s2
	s_xor_b32 s2, exec_lo, s3
	s_cbranch_execz .LBB57_159
; %bb.158:                              ;   in Loop: Header=BB57_5 Depth=1
	v_fma_f32 v7, |v22|, -0.5, 0.5
	v_mul_f32_e32 v8, v22, v22
	v_cmp_ge_f32_e64 vcc_lo, |v22|, 0.5
                                        ; implicit-def: $vgpr23
                                        ; implicit-def: $vgpr24
	s_delay_alu instid0(VALU_DEP_2) | instskip(SKIP_1) | instid1(VALU_DEP_2)
	v_cndmask_b32_e32 v7, v8, v7, vcc_lo
	v_cmp_lt_f32_e64 vcc_lo, |v22|, 0.5
	v_fmaak_f32 v8, s25, v7, 0x3c5fc5da
	v_sqrt_f32_e32 v9, v7
	s_delay_alu instid0(VALU_DEP_1) | instskip(NEXT) | instid1(VALU_DEP_1)
	v_fmaak_f32 v8, v7, v8, 0x3d034c3c
	v_fmaak_f32 v8, v7, v8, 0x3d3641b1
	s_delay_alu instid0(VALU_DEP_1) | instskip(NEXT) | instid1(VALU_DEP_1)
	v_fmaak_f32 v8, v7, v8, 0x3d999bc8
	v_fmaak_f32 v8, v7, v8, 0x3e2aaaac
	s_delay_alu instid0(VALU_DEP_1) | instskip(SKIP_3) | instid1(VALU_DEP_2)
	v_mul_f32_e32 v7, v7, v8
	s_waitcnt_depctr 0xfff
	v_fmac_f32_e32 v9, v9, v7
	v_fma_f32 v7, |v22|, v7, |v22|
	v_add_f32_e32 v8, v9, v9
	s_delay_alu instid0(VALU_DEP_1) | instskip(NEXT) | instid1(VALU_DEP_1)
	v_sub_f32_e32 v8, 0x3fc90fdb, v8
	v_cndmask_b32_e32 v7, v8, v7, vcc_lo
	s_delay_alu instid0(VALU_DEP_1)
	v_bfi_b32 v7, 0x7fffffff, v7, v22
.LBB57_159:                             ;   in Loop: Header=BB57_5 Depth=1
	s_and_not1_saveexec_b32 s31, s2
	s_cbranch_execz .LBB57_161
; %bb.160:                              ;   in Loop: Header=BB57_5 Depth=1
	v_max_f32_e32 v7, v23, v23
	v_max_f32_e64 v8, |v24|, |v24|
	v_cmp_gt_f32_e64 vcc_lo, v23, |v24|
	v_cmp_eq_f32_e64 s3, 0, v23
	v_cmp_class_f32_e64 s33, v24, 0x204
	v_cmp_eq_f32_e64 s2, 0x7f800000, v23
	v_max_f32_e32 v9, v8, v7
	v_min_f32_e32 v7, v8, v7
	s_delay_alu instid0(VALU_DEP_2) | instskip(SKIP_1) | instid1(VALU_DEP_2)
	v_frexp_mant_f32_e32 v10, v9
	v_frexp_exp_i32_f32_e32 v9, v9
	v_rcp_f32_e32 v8, v10
	s_delay_alu instid0(VALU_DEP_3) | instskip(SKIP_1) | instid1(VALU_DEP_2)
	v_frexp_exp_i32_f32_e32 v10, v7
	v_frexp_mant_f32_e32 v7, v7
	v_sub_nc_u32_e32 v9, v10, v9
	s_waitcnt_depctr 0xfff
	v_mul_f32_e32 v7, v7, v8
	s_delay_alu instid0(VALU_DEP_1) | instskip(NEXT) | instid1(VALU_DEP_1)
	v_ldexp_f32 v7, v7, v9
	v_mul_f32_e32 v8, v7, v7
	s_delay_alu instid0(VALU_DEP_1) | instskip(NEXT) | instid1(VALU_DEP_1)
	v_fmaak_f32 v9, s26, v8, 0xbc7a590c
	v_fmaak_f32 v9, v8, v9, 0x3d29fb3f
	s_delay_alu instid0(VALU_DEP_1) | instskip(NEXT) | instid1(VALU_DEP_1)
	v_fmaak_f32 v9, v8, v9, 0xbd97d4d7
	v_fmaak_f32 v9, v8, v9, 0x3dd931b2
	s_delay_alu instid0(VALU_DEP_1) | instskip(NEXT) | instid1(VALU_DEP_1)
	v_fmaak_f32 v9, v8, v9, 0xbe1160e6
	v_fmaak_f32 v9, v8, v9, 0x3e4cb8bf
	s_delay_alu instid0(VALU_DEP_1) | instskip(NEXT) | instid1(VALU_DEP_1)
	v_fmaak_f32 v9, v8, v9, 0xbeaaaa62
	v_mul_f32_e32 v8, v8, v9
	s_delay_alu instid0(VALU_DEP_1) | instskip(NEXT) | instid1(VALU_DEP_1)
	v_fmac_f32_e32 v7, v7, v8
	v_sub_f32_e32 v8, 0x3fc90fdb, v7
	s_delay_alu instid0(VALU_DEP_1) | instskip(SKIP_1) | instid1(VALU_DEP_2)
	v_cndmask_b32_e32 v7, v7, v8, vcc_lo
	v_cmp_gt_i32_e32 vcc_lo, 0, v24
	v_sub_f32_e32 v8, 0x40490fdb, v7
	v_cndmask_b32_e64 v9, 0, 0x40490fdb, vcc_lo
	v_cmp_gt_f32_e32 vcc_lo, 0, v24
	s_delay_alu instid0(VALU_DEP_3) | instskip(SKIP_2) | instid1(VALU_DEP_2)
	v_cndmask_b32_e32 v7, v7, v8, vcc_lo
	v_cndmask_b32_e32 v8, 0x3f490fdb, v18, vcc_lo
	s_and_b32 vcc_lo, s2, s33
	v_cndmask_b32_e64 v7, v7, v9, s3
	s_delay_alu instid0(VALU_DEP_1) | instskip(SKIP_1) | instid1(VALU_DEP_2)
	v_cndmask_b32_e32 v7, v7, v8, vcc_lo
	v_cmp_o_f32_e32 vcc_lo, v24, v23
	v_cndmask_b32_e64 v7, 0x7fc00000, |v7|, vcc_lo
.LBB57_161:                             ;   in Loop: Header=BB57_5 Depth=1
	s_or_b32 exec_lo, exec_lo, s31
	v_bfi_b32 v12, 0x7fffffff, v21, v12
	s_delay_alu instid0(VALU_DEP_2)
	v_bfi_b32 v11, 0x7fffffff, v7, v11
.LBB57_162:                             ;   in Loop: Header=BB57_5 Depth=1
	s_or_b32 exec_lo, exec_lo, s30
.LBB57_163:                             ;   in Loop: Header=BB57_5 Depth=1
	s_delay_alu instid0(SALU_CYCLE_1) | instskip(SKIP_1) | instid1(VALU_DEP_1)
	s_or_b32 exec_lo, exec_lo, s29
	s_waitcnt lgkmcnt(0)
	v_dual_mov_b32 v7, v11 :: v_dual_mov_b32 v8, v12
                                        ; implicit-def: $vgpr9_vgpr10_vgpr11_vgpr12
                                        ; implicit-def: $vgpr10
                                        ; implicit-def: $vgpr19
                                        ; implicit-def: $vgpr9
.LBB57_164:                             ;   in Loop: Header=BB57_5 Depth=1
	s_and_not1_saveexec_b32 s28, s28
	s_cbranch_execz .LBB57_186
; %bb.165:                              ;   in Loop: Header=BB57_5 Depth=1
                                        ; implicit-def: $vgpr7
                                        ; implicit-def: $vgpr8
	s_mov_b32 s2, exec_lo
	v_cmpx_lt_i32_e32 -1, v12
	s_xor_b32 s29, exec_lo, s2
	s_cbranch_execz .LBB57_175
; %bb.166:                              ;   in Loop: Header=BB57_5 Depth=1
	v_cmp_lt_f32_e64 s2, |v12|, |v11|
                                        ; implicit-def: $vgpr7
                                        ; implicit-def: $vgpr8
	s_mov_b32 s3, exec_lo
	s_delay_alu instid0(VALU_DEP_1) | instskip(NEXT) | instid1(VALU_DEP_1)
	v_cndmask_b32_e64 v20, |v12|, |v11|, s2
	v_cmpx_nlt_f32_e32 0x7effffff, v20
	s_xor_b32 s30, exec_lo, s3
	s_cbranch_execz .LBB57_172
; %bb.167:                              ;   in Loop: Header=BB57_5 Depth=1
	v_cndmask_b32_e64 v21, |v11|, |v12|, s2
	v_cmp_nlt_f32_e32 vcc_lo, 0x5e000000, v20
                                        ; implicit-def: $vgpr7
                                        ; implicit-def: $vgpr8
	s_delay_alu instid0(VALU_DEP_2) | instskip(NEXT) | instid1(VALU_DEP_1)
	v_cmp_ngt_f32_e64 s3, 0x20000000, v21
	s_and_b32 s3, vcc_lo, s3
	s_delay_alu instid0(SALU_CYCLE_1) | instskip(NEXT) | instid1(SALU_CYCLE_1)
	s_and_saveexec_b32 s31, s3
	s_xor_b32 s31, exec_lo, s31
	s_cbranch_execz .LBB57_169
; %bb.168:                              ;   in Loop: Header=BB57_5 Depth=1
	v_frexp_mant_f32_e32 v7, v9
	v_min_f32_e32 v8, v10, v19
	v_frexp_exp_i32_f32_e32 v9, v9
	s_delay_alu instid0(VALU_DEP_3) | instskip(NEXT) | instid1(VALU_DEP_2)
	v_rcp_f32_e32 v7, v7
	v_frexp_mant_f32_e32 v19, v8
	v_mul_f32_e32 v10, v21, v21
	v_frexp_exp_i32_f32_e32 v8, v8
	s_delay_alu instid0(VALU_DEP_1) | instskip(SKIP_2) | instid1(VALU_DEP_1)
	v_sub_nc_u32_e32 v8, v8, v9
	s_waitcnt_depctr 0xfff
	v_dual_mul_f32 v7, v19, v7 :: v_dual_fmac_f32 v10, v20, v20
	v_ldexp_f32 v8, v7, v8
	s_delay_alu instid0(VALU_DEP_2) | instskip(SKIP_1) | instid1(VALU_DEP_1)
	v_cmp_gt_f32_e32 vcc_lo, 0x800000, v10
	v_cndmask_b32_e64 v9, 1.0, 0x4f800000, vcc_lo
	v_mul_f32_e32 v7, v10, v9
	s_delay_alu instid0(VALU_DEP_4) | instskip(NEXT) | instid1(VALU_DEP_1)
	v_mul_f32_e32 v9, v8, v8
	v_fmaak_f32 v10, s26, v9, 0xbc7a590c
	s_delay_alu instid0(VALU_DEP_1) | instskip(NEXT) | instid1(VALU_DEP_4)
	v_fmaak_f32 v10, v9, v10, 0x3d29fb3f
	v_log_f32_e32 v7, v7
	s_waitcnt_depctr 0xfff
	v_mul_f32_e32 v19, 0x3f317217, v7
	v_cmp_gt_f32_e64 s3, 0x7f800000, |v7|
	s_delay_alu instid0(VALU_DEP_2) | instskip(NEXT) | instid1(VALU_DEP_1)
	v_fma_f32 v20, 0x3f317217, v7, -v19
	v_fmac_f32_e32 v20, 0x3377d1cf, v7
	s_delay_alu instid0(VALU_DEP_1) | instskip(NEXT) | instid1(VALU_DEP_1)
	v_add_f32_e32 v19, v19, v20
	v_cndmask_b32_e64 v7, v7, v19, s3
	v_cndmask_b32_e64 v19, 0, 0x41b17218, vcc_lo
	s_delay_alu instid0(VALU_DEP_1) | instskip(NEXT) | instid1(VALU_DEP_1)
	v_dual_sub_f32 v7, v7, v19 :: v_dual_fmaak_f32 v10, v9, v10, 0xbd97d4d7
                                        ; implicit-def: $vgpr19
	v_dual_mul_f32 v7, 0.5, v7 :: v_dual_fmaak_f32 v10, v9, v10, 0x3dd931b2
	s_delay_alu instid0(VALU_DEP_1) | instskip(NEXT) | instid1(VALU_DEP_1)
	v_fmaak_f32 v10, v9, v10, 0xbe1160e6
	v_fmaak_f32 v10, v9, v10, 0x3e4cb8bf
	s_delay_alu instid0(VALU_DEP_1) | instskip(NEXT) | instid1(VALU_DEP_1)
	v_fmaak_f32 v10, v9, v10, 0xbeaaaa62
	v_mul_f32_e32 v9, v9, v10
                                        ; implicit-def: $vgpr10
	s_delay_alu instid0(VALU_DEP_1)
	v_fmac_f32_e32 v8, v8, v9
                                        ; implicit-def: $vgpr9
.LBB57_169:                             ;   in Loop: Header=BB57_5 Depth=1
	s_and_not1_saveexec_b32 s3, s31
	s_cbranch_execz .LBB57_171
; %bb.170:                              ;   in Loop: Header=BB57_5 Depth=1
	v_cvt_f64_f32_e32 v[7:8], v9
	v_cmp_neq_f32_e32 vcc_lo, 0x7f800000, v9
	v_min_f32_e32 v10, v10, v19
	v_frexp_exp_i32_f32_e32 v19, v9
	s_delay_alu instid0(VALU_DEP_2) | instskip(SKIP_1) | instid1(VALU_DEP_2)
	v_frexp_exp_i32_f32_e32 v21, v10
	v_frexp_mant_f32_e32 v10, v10
	v_sub_nc_u32_e32 v19, v21, v19
	v_frexp_exp_i32_f64_e32 v7, v[7:8]
	s_delay_alu instid0(VALU_DEP_1) | instskip(NEXT) | instid1(VALU_DEP_1)
	v_sub_nc_u32_e32 v8, 0, v7
	v_ldexp_f32 v20, |v11|, v8
	v_ldexp_f32 v8, |v12|, v8
	s_delay_alu instid0(VALU_DEP_2) | instskip(NEXT) | instid1(VALU_DEP_1)
	v_mul_f32_e32 v20, v20, v20
	v_fmac_f32_e32 v20, v8, v8
	v_frexp_mant_f32_e32 v8, v9
	s_delay_alu instid0(VALU_DEP_2) | instskip(NEXT) | instid1(VALU_DEP_1)
	v_sqrt_f32_e32 v20, v20
	v_rcp_f32_e32 v8, v8
	s_waitcnt_depctr 0xfff
	v_ldexp_f32 v7, v20, v7
	s_delay_alu instid0(VALU_DEP_1) | instskip(NEXT) | instid1(VALU_DEP_1)
	v_dual_mul_f32 v8, v10, v8 :: v_dual_cndmask_b32 v7, 0x7f800000, v7
	v_ldexp_f32 v8, v8, v19
	s_delay_alu instid0(VALU_DEP_2) | instskip(SKIP_1) | instid1(VALU_DEP_1)
	v_cmp_gt_f32_e32 vcc_lo, 0x800000, v7
	v_cndmask_b32_e64 v9, 1.0, 0x4f800000, vcc_lo
	v_mul_f32_e32 v7, v7, v9
	s_delay_alu instid0(VALU_DEP_1) | instskip(SKIP_2) | instid1(VALU_DEP_1)
	v_log_f32_e32 v7, v7
	s_waitcnt_depctr 0xfff
	v_dual_mul_f32 v10, v8, v8 :: v_dual_mul_f32 v19, 0x3f317217, v7
	v_fmaak_f32 v9, s26, v10, 0xbc7a590c
	s_delay_alu instid0(VALU_DEP_2) | instskip(NEXT) | instid1(VALU_DEP_2)
	v_fma_f32 v20, 0x3f317217, v7, -v19
	v_fmaak_f32 v9, v10, v9, 0x3d29fb3f
	s_delay_alu instid0(VALU_DEP_1) | instskip(NEXT) | instid1(VALU_DEP_1)
	v_fmaak_f32 v9, v10, v9, 0xbd97d4d7
	v_fmaak_f32 v9, v10, v9, 0x3dd931b2
	s_delay_alu instid0(VALU_DEP_1) | instskip(NEXT) | instid1(VALU_DEP_1)
	v_fmaak_f32 v9, v10, v9, 0xbe1160e6
	;; [unrolled: 3-line block ×3, first 2 shown]
	v_dual_fmac_f32 v20, 0x3377d1cf, v7 :: v_dual_mul_f32 v9, v10, v9
	s_delay_alu instid0(VALU_DEP_1) | instskip(SKIP_2) | instid1(VALU_DEP_3)
	v_add_f32_e32 v19, v19, v20
	v_cndmask_b32_e64 v20, 0, 0x41b17218, vcc_lo
	v_cmp_gt_f32_e64 vcc_lo, 0x7f800000, |v7|
	v_dual_fmac_f32 v8, v8, v9 :: v_dual_cndmask_b32 v7, v7, v19
	s_delay_alu instid0(VALU_DEP_1)
	v_sub_f32_e32 v7, v7, v20
.LBB57_171:                             ;   in Loop: Header=BB57_5 Depth=1
	s_or_b32 exec_lo, exec_lo, s3
                                        ; implicit-def: $vgpr10
                                        ; implicit-def: $vgpr19
                                        ; implicit-def: $vgpr9
.LBB57_172:                             ;   in Loop: Header=BB57_5 Depth=1
	s_and_not1_saveexec_b32 s30, s30
	s_cbranch_execz .LBB57_174
; %bb.173:                              ;   in Loop: Header=BB57_5 Depth=1
	v_div_scale_f32 v7, null, 0x402df854, 0x402df854, v12
	v_div_scale_f32 v8, null, 0x402df854, 0x402df854, v11
	v_div_scale_f32 v24, vcc_lo, v12, 0x402df854, v12
	s_delay_alu instid0(VALU_DEP_3) | instskip(NEXT) | instid1(VALU_DEP_2)
	v_rcp_f32_e32 v20, v7
	v_rcp_f32_e32 v21, v8
	v_min_f32_e32 v10, v10, v19
	s_waitcnt_depctr 0xfff
	v_fma_f32 v22, -v7, v20, 1.0
	v_fma_f32 v23, -v8, v21, 1.0
	s_delay_alu instid0(VALU_DEP_1) | instskip(SKIP_1) | instid1(VALU_DEP_2)
	v_dual_fmac_f32 v20, v22, v20 :: v_dual_fmac_f32 v21, v23, v21
	v_div_scale_f32 v22, s3, v11, 0x402df854, v11
	v_mul_f32_e32 v23, v24, v20
	s_delay_alu instid0(VALU_DEP_2) | instskip(NEXT) | instid1(VALU_DEP_2)
	v_mul_f32_e32 v25, v22, v21
	v_fma_f32 v26, -v7, v23, v24
	s_delay_alu instid0(VALU_DEP_2) | instskip(NEXT) | instid1(VALU_DEP_2)
	v_fma_f32 v27, -v8, v25, v22
	v_fmac_f32_e32 v23, v26, v20
	s_delay_alu instid0(VALU_DEP_2) | instskip(NEXT) | instid1(VALU_DEP_2)
	v_fmac_f32_e32 v25, v27, v21
	v_fma_f32 v7, -v7, v23, v24
	s_delay_alu instid0(VALU_DEP_2) | instskip(NEXT) | instid1(VALU_DEP_2)
	v_fma_f32 v8, -v8, v25, v22
	v_div_fmas_f32 v7, v7, v20, v23
	s_mov_b32 vcc_lo, s3
	s_delay_alu instid0(VALU_DEP_2) | instskip(NEXT) | instid1(VALU_DEP_2)
	v_div_fmas_f32 v8, v8, v21, v25
	v_div_fixup_f32 v20, v7, 0x402df854, v12
	s_delay_alu instid0(VALU_DEP_2) | instskip(NEXT) | instid1(VALU_DEP_1)
	v_div_fixup_f32 v21, v8, 0x402df854, v11
	v_max_f32_e64 v22, |v20|, |v21|
	s_delay_alu instid0(VALU_DEP_1) | instskip(SKIP_1) | instid1(VALU_DEP_2)
	v_cvt_f64_f32_e32 v[7:8], v22
	v_cmp_neq_f32_e32 vcc_lo, 0x7f800000, v22
	v_frexp_exp_i32_f64_e32 v7, v[7:8]
	s_delay_alu instid0(VALU_DEP_1) | instskip(NEXT) | instid1(VALU_DEP_1)
	v_sub_nc_u32_e32 v8, 0, v7
	v_ldexp_f32 v21, |v21|, v8
	v_ldexp_f32 v8, |v20|, v8
	s_delay_alu instid0(VALU_DEP_2) | instskip(NEXT) | instid1(VALU_DEP_1)
	v_mul_f32_e32 v20, v21, v21
	v_fmac_f32_e32 v20, v8, v8
	s_delay_alu instid0(VALU_DEP_1) | instskip(SKIP_2) | instid1(VALU_DEP_2)
	v_sqrt_f32_e32 v8, v20
	v_frexp_mant_f32_e32 v20, v9
	v_frexp_exp_i32_f32_e32 v9, v9
	v_rcp_f32_e32 v19, v20
	s_waitcnt_depctr 0xfff
	v_ldexp_f32 v7, v8, v7
	v_frexp_exp_i32_f32_e32 v8, v10
	v_frexp_mant_f32_e32 v10, v10
	s_delay_alu instid0(VALU_DEP_2) | instskip(NEXT) | instid1(VALU_DEP_2)
	v_sub_nc_u32_e32 v8, v8, v9
	v_mul_f32_e32 v9, v10, v19
	s_delay_alu instid0(VALU_DEP_1) | instskip(SKIP_1) | instid1(VALU_DEP_1)
	v_ldexp_f32 v8, v9, v8
	v_cndmask_b32_e32 v7, 0x7f800000, v7, vcc_lo
	v_cmp_gt_f32_e32 vcc_lo, 0x800000, v7
	v_cndmask_b32_e64 v10, 1.0, 0x4f800000, vcc_lo
	s_delay_alu instid0(VALU_DEP_1) | instskip(NEXT) | instid1(VALU_DEP_1)
	v_mul_f32_e32 v7, v7, v10
	v_log_f32_e32 v7, v7
	s_waitcnt_depctr 0xfff
	v_mul_f32_e32 v19, 0x3f317217, v7
	s_delay_alu instid0(VALU_DEP_1) | instskip(NEXT) | instid1(VALU_DEP_1)
	v_fma_f32 v20, 0x3f317217, v7, -v19
	v_dual_mul_f32 v9, v8, v8 :: v_dual_fmac_f32 v20, 0x3377d1cf, v7
	s_delay_alu instid0(VALU_DEP_1) | instskip(NEXT) | instid1(VALU_DEP_1)
	v_dual_fmaak_f32 v10, s26, v9, 0xbc7a590c :: v_dual_add_f32 v19, v19, v20
	v_fmaak_f32 v10, v9, v10, 0x3d29fb3f
	v_cndmask_b32_e64 v20, 0, 0x41b17218, vcc_lo
	v_cmp_gt_f32_e64 vcc_lo, 0x7f800000, |v7|
	s_delay_alu instid0(VALU_DEP_3) | instskip(NEXT) | instid1(VALU_DEP_1)
	v_dual_fmaak_f32 v10, v9, v10, 0xbd97d4d7 :: v_dual_cndmask_b32 v7, v7, v19
	v_dual_fmaak_f32 v10, v9, v10, 0x3dd931b2 :: v_dual_sub_f32 v7, v7, v20
	s_delay_alu instid0(VALU_DEP_1) | instskip(NEXT) | instid1(VALU_DEP_1)
	v_dual_fmaak_f32 v10, v9, v10, 0xbe1160e6 :: v_dual_add_f32 v7, 1.0, v7
	v_fmaak_f32 v10, v9, v10, 0x3e4cb8bf
	s_delay_alu instid0(VALU_DEP_1) | instskip(NEXT) | instid1(VALU_DEP_1)
	v_fmaak_f32 v10, v9, v10, 0xbeaaaa62
	v_mul_f32_e32 v9, v9, v10
	s_delay_alu instid0(VALU_DEP_1)
	v_fmac_f32_e32 v8, v8, v9
.LBB57_174:                             ;   in Loop: Header=BB57_5 Depth=1
	s_or_b32 exec_lo, exec_lo, s30
	s_delay_alu instid0(VALU_DEP_1) | instskip(NEXT) | instid1(VALU_DEP_1)
	v_sub_f32_e32 v9, 0x3fc90fdb, v8
                                        ; implicit-def: $vgpr10
                                        ; implicit-def: $vgpr19
	v_cndmask_b32_e64 v8, v8, v9, s2
                                        ; implicit-def: $vgpr9
.LBB57_175:                             ;   in Loop: Header=BB57_5 Depth=1
	s_and_not1_saveexec_b32 s29, s29
	s_cbranch_execz .LBB57_185
; %bb.176:                              ;   in Loop: Header=BB57_5 Depth=1
	v_cmp_lt_f32_e64 s2, |v12|, |v11|
                                        ; implicit-def: $vgpr7
                                        ; implicit-def: $vgpr8
	s_mov_b32 s3, exec_lo
	s_delay_alu instid0(VALU_DEP_1) | instskip(NEXT) | instid1(VALU_DEP_1)
	v_cndmask_b32_e64 v20, |v12|, |v11|, s2
	v_cmpx_nlt_f32_e32 0x7effffff, v20
	s_xor_b32 s30, exec_lo, s3
	s_cbranch_execz .LBB57_182
; %bb.177:                              ;   in Loop: Header=BB57_5 Depth=1
	v_cndmask_b32_e64 v21, |v11|, |v12|, s2
	v_cmp_nlt_f32_e32 vcc_lo, 0x5e000000, v20
                                        ; implicit-def: $vgpr7
                                        ; implicit-def: $vgpr8
	s_delay_alu instid0(VALU_DEP_2) | instskip(NEXT) | instid1(VALU_DEP_1)
	v_cmp_ngt_f32_e64 s3, 0x20000000, v21
	s_and_b32 s3, vcc_lo, s3
	s_delay_alu instid0(SALU_CYCLE_1) | instskip(NEXT) | instid1(SALU_CYCLE_1)
	s_and_saveexec_b32 s31, s3
	s_xor_b32 s31, exec_lo, s31
	s_cbranch_execz .LBB57_179
; %bb.178:                              ;   in Loop: Header=BB57_5 Depth=1
	v_frexp_mant_f32_e32 v7, v9
	v_min_f32_e32 v8, v10, v19
	v_frexp_exp_i32_f32_e32 v9, v9
	s_delay_alu instid0(VALU_DEP_3) | instskip(NEXT) | instid1(VALU_DEP_2)
	v_rcp_f32_e32 v7, v7
	v_frexp_mant_f32_e32 v19, v8
	v_mul_f32_e32 v10, v21, v21
	v_frexp_exp_i32_f32_e32 v8, v8
	s_delay_alu instid0(VALU_DEP_1) | instskip(SKIP_2) | instid1(VALU_DEP_1)
	v_sub_nc_u32_e32 v8, v8, v9
	s_waitcnt_depctr 0xfff
	v_dual_mul_f32 v7, v19, v7 :: v_dual_fmac_f32 v10, v20, v20
	v_ldexp_f32 v8, v7, v8
	s_delay_alu instid0(VALU_DEP_2) | instskip(SKIP_1) | instid1(VALU_DEP_1)
	v_cmp_gt_f32_e32 vcc_lo, 0x800000, v10
	v_cndmask_b32_e64 v9, 1.0, 0x4f800000, vcc_lo
	v_mul_f32_e32 v7, v10, v9
	s_delay_alu instid0(VALU_DEP_4) | instskip(NEXT) | instid1(VALU_DEP_1)
	v_mul_f32_e32 v9, v8, v8
	v_fmaak_f32 v10, s26, v9, 0xbc7a590c
	s_delay_alu instid0(VALU_DEP_1) | instskip(NEXT) | instid1(VALU_DEP_4)
	v_fmaak_f32 v10, v9, v10, 0x3d29fb3f
	v_log_f32_e32 v7, v7
	s_waitcnt_depctr 0xfff
	v_mul_f32_e32 v19, 0x3f317217, v7
	v_cmp_gt_f32_e64 s3, 0x7f800000, |v7|
	s_delay_alu instid0(VALU_DEP_2) | instskip(NEXT) | instid1(VALU_DEP_1)
	v_fma_f32 v20, 0x3f317217, v7, -v19
	v_fmac_f32_e32 v20, 0x3377d1cf, v7
	s_delay_alu instid0(VALU_DEP_1) | instskip(NEXT) | instid1(VALU_DEP_1)
	v_add_f32_e32 v19, v19, v20
	v_cndmask_b32_e64 v7, v7, v19, s3
	v_cndmask_b32_e64 v19, 0, 0x41b17218, vcc_lo
	s_delay_alu instid0(VALU_DEP_1) | instskip(NEXT) | instid1(VALU_DEP_1)
	v_dual_sub_f32 v7, v7, v19 :: v_dual_fmaak_f32 v10, v9, v10, 0xbd97d4d7
                                        ; implicit-def: $vgpr19
	v_dual_mul_f32 v7, 0.5, v7 :: v_dual_fmaak_f32 v10, v9, v10, 0x3dd931b2
	s_delay_alu instid0(VALU_DEP_1) | instskip(NEXT) | instid1(VALU_DEP_1)
	v_fmaak_f32 v10, v9, v10, 0xbe1160e6
	v_fmaak_f32 v10, v9, v10, 0x3e4cb8bf
	s_delay_alu instid0(VALU_DEP_1) | instskip(NEXT) | instid1(VALU_DEP_1)
	v_fmaak_f32 v10, v9, v10, 0xbeaaaa62
	v_mul_f32_e32 v9, v9, v10
                                        ; implicit-def: $vgpr10
	s_delay_alu instid0(VALU_DEP_1)
	v_fmac_f32_e32 v8, v8, v9
                                        ; implicit-def: $vgpr9
.LBB57_179:                             ;   in Loop: Header=BB57_5 Depth=1
	s_and_not1_saveexec_b32 s3, s31
	s_cbranch_execz .LBB57_181
; %bb.180:                              ;   in Loop: Header=BB57_5 Depth=1
	v_cvt_f64_f32_e32 v[7:8], v9
	v_cmp_neq_f32_e32 vcc_lo, 0x7f800000, v9
	v_min_f32_e32 v10, v10, v19
	v_frexp_exp_i32_f32_e32 v19, v9
	s_delay_alu instid0(VALU_DEP_2) | instskip(SKIP_1) | instid1(VALU_DEP_2)
	v_frexp_exp_i32_f32_e32 v21, v10
	v_frexp_mant_f32_e32 v10, v10
	v_sub_nc_u32_e32 v19, v21, v19
	v_frexp_exp_i32_f64_e32 v7, v[7:8]
	s_delay_alu instid0(VALU_DEP_1) | instskip(NEXT) | instid1(VALU_DEP_1)
	v_sub_nc_u32_e32 v8, 0, v7
	v_ldexp_f32 v20, |v11|, v8
	v_ldexp_f32 v8, |v12|, v8
	s_delay_alu instid0(VALU_DEP_2) | instskip(NEXT) | instid1(VALU_DEP_1)
	v_mul_f32_e32 v20, v20, v20
	v_fmac_f32_e32 v20, v8, v8
	v_frexp_mant_f32_e32 v8, v9
	s_delay_alu instid0(VALU_DEP_2) | instskip(NEXT) | instid1(VALU_DEP_1)
	v_sqrt_f32_e32 v20, v20
	v_rcp_f32_e32 v8, v8
	s_waitcnt_depctr 0xfff
	v_ldexp_f32 v7, v20, v7
	s_delay_alu instid0(VALU_DEP_1) | instskip(NEXT) | instid1(VALU_DEP_1)
	v_dual_mul_f32 v8, v10, v8 :: v_dual_cndmask_b32 v7, 0x7f800000, v7
	v_ldexp_f32 v8, v8, v19
	s_delay_alu instid0(VALU_DEP_2) | instskip(SKIP_1) | instid1(VALU_DEP_1)
	v_cmp_gt_f32_e32 vcc_lo, 0x800000, v7
	v_cndmask_b32_e64 v9, 1.0, 0x4f800000, vcc_lo
	v_mul_f32_e32 v7, v7, v9
	s_delay_alu instid0(VALU_DEP_1) | instskip(SKIP_2) | instid1(VALU_DEP_1)
	v_log_f32_e32 v7, v7
	s_waitcnt_depctr 0xfff
	v_dual_mul_f32 v10, v8, v8 :: v_dual_mul_f32 v19, 0x3f317217, v7
	v_fmaak_f32 v9, s26, v10, 0xbc7a590c
	s_delay_alu instid0(VALU_DEP_2) | instskip(NEXT) | instid1(VALU_DEP_2)
	v_fma_f32 v20, 0x3f317217, v7, -v19
	v_fmaak_f32 v9, v10, v9, 0x3d29fb3f
	s_delay_alu instid0(VALU_DEP_1) | instskip(NEXT) | instid1(VALU_DEP_1)
	v_fmaak_f32 v9, v10, v9, 0xbd97d4d7
	v_fmaak_f32 v9, v10, v9, 0x3dd931b2
	s_delay_alu instid0(VALU_DEP_1) | instskip(NEXT) | instid1(VALU_DEP_1)
	v_fmaak_f32 v9, v10, v9, 0xbe1160e6
	;; [unrolled: 3-line block ×3, first 2 shown]
	v_dual_fmac_f32 v20, 0x3377d1cf, v7 :: v_dual_mul_f32 v9, v10, v9
	s_delay_alu instid0(VALU_DEP_1) | instskip(SKIP_2) | instid1(VALU_DEP_3)
	v_add_f32_e32 v19, v19, v20
	v_cndmask_b32_e64 v20, 0, 0x41b17218, vcc_lo
	v_cmp_gt_f32_e64 vcc_lo, 0x7f800000, |v7|
	v_dual_fmac_f32 v8, v8, v9 :: v_dual_cndmask_b32 v7, v7, v19
	s_delay_alu instid0(VALU_DEP_1)
	v_sub_f32_e32 v7, v7, v20
.LBB57_181:                             ;   in Loop: Header=BB57_5 Depth=1
	s_or_b32 exec_lo, exec_lo, s3
                                        ; implicit-def: $vgpr10
                                        ; implicit-def: $vgpr19
                                        ; implicit-def: $vgpr9
.LBB57_182:                             ;   in Loop: Header=BB57_5 Depth=1
	s_and_not1_saveexec_b32 s30, s30
	s_cbranch_execz .LBB57_184
; %bb.183:                              ;   in Loop: Header=BB57_5 Depth=1
	v_div_scale_f32 v7, null, 0xc02df854, 0xc02df854, v12
	v_div_scale_f32 v8, null, 0xc02df854, 0xc02df854, v11
	v_div_scale_f32 v24, vcc_lo, v12, 0xc02df854, v12
	s_delay_alu instid0(VALU_DEP_3) | instskip(NEXT) | instid1(VALU_DEP_2)
	v_rcp_f32_e32 v20, v7
	v_rcp_f32_e32 v21, v8
	v_min_f32_e32 v10, v10, v19
	s_waitcnt_depctr 0xfff
	v_fma_f32 v22, -v7, v20, 1.0
	v_fma_f32 v23, -v8, v21, 1.0
	s_delay_alu instid0(VALU_DEP_1) | instskip(SKIP_1) | instid1(VALU_DEP_2)
	v_dual_fmac_f32 v20, v22, v20 :: v_dual_fmac_f32 v21, v23, v21
	v_div_scale_f32 v22, s3, v11, 0xc02df854, v11
	v_mul_f32_e32 v23, v24, v20
	s_delay_alu instid0(VALU_DEP_2) | instskip(NEXT) | instid1(VALU_DEP_2)
	v_mul_f32_e32 v25, v22, v21
	v_fma_f32 v26, -v7, v23, v24
	s_delay_alu instid0(VALU_DEP_2) | instskip(NEXT) | instid1(VALU_DEP_2)
	v_fma_f32 v27, -v8, v25, v22
	v_fmac_f32_e32 v23, v26, v20
	s_delay_alu instid0(VALU_DEP_2) | instskip(NEXT) | instid1(VALU_DEP_2)
	v_fmac_f32_e32 v25, v27, v21
	v_fma_f32 v7, -v7, v23, v24
	s_delay_alu instid0(VALU_DEP_2) | instskip(NEXT) | instid1(VALU_DEP_2)
	v_fma_f32 v8, -v8, v25, v22
	v_div_fmas_f32 v7, v7, v20, v23
	s_mov_b32 vcc_lo, s3
	s_delay_alu instid0(VALU_DEP_2) | instskip(NEXT) | instid1(VALU_DEP_2)
	v_div_fmas_f32 v8, v8, v21, v25
	v_div_fixup_f32 v20, v7, 0xc02df854, v12
	s_delay_alu instid0(VALU_DEP_2) | instskip(NEXT) | instid1(VALU_DEP_1)
	v_div_fixup_f32 v21, v8, 0xc02df854, v11
	v_max_f32_e64 v22, |v20|, |v21|
	s_delay_alu instid0(VALU_DEP_1) | instskip(SKIP_1) | instid1(VALU_DEP_2)
	v_cvt_f64_f32_e32 v[7:8], v22
	v_cmp_neq_f32_e32 vcc_lo, 0x7f800000, v22
	v_frexp_exp_i32_f64_e32 v7, v[7:8]
	s_delay_alu instid0(VALU_DEP_1) | instskip(NEXT) | instid1(VALU_DEP_1)
	v_sub_nc_u32_e32 v8, 0, v7
	v_ldexp_f32 v21, |v21|, v8
	v_ldexp_f32 v8, |v20|, v8
	s_delay_alu instid0(VALU_DEP_2) | instskip(NEXT) | instid1(VALU_DEP_1)
	v_mul_f32_e32 v20, v21, v21
	v_fmac_f32_e32 v20, v8, v8
	s_delay_alu instid0(VALU_DEP_1) | instskip(SKIP_2) | instid1(VALU_DEP_2)
	v_sqrt_f32_e32 v8, v20
	v_frexp_mant_f32_e32 v20, v9
	v_frexp_exp_i32_f32_e32 v9, v9
	v_rcp_f32_e32 v19, v20
	s_waitcnt_depctr 0xfff
	v_ldexp_f32 v7, v8, v7
	v_frexp_exp_i32_f32_e32 v8, v10
	v_frexp_mant_f32_e32 v10, v10
	s_delay_alu instid0(VALU_DEP_2) | instskip(NEXT) | instid1(VALU_DEP_2)
	v_sub_nc_u32_e32 v8, v8, v9
	v_mul_f32_e32 v9, v10, v19
	s_delay_alu instid0(VALU_DEP_1) | instskip(SKIP_1) | instid1(VALU_DEP_1)
	v_ldexp_f32 v8, v9, v8
	v_cndmask_b32_e32 v7, 0x7f800000, v7, vcc_lo
	v_cmp_gt_f32_e32 vcc_lo, 0x800000, v7
	v_cndmask_b32_e64 v10, 1.0, 0x4f800000, vcc_lo
	s_delay_alu instid0(VALU_DEP_1) | instskip(NEXT) | instid1(VALU_DEP_1)
	v_mul_f32_e32 v7, v7, v10
	v_log_f32_e32 v7, v7
	s_waitcnt_depctr 0xfff
	v_mul_f32_e32 v19, 0x3f317217, v7
	s_delay_alu instid0(VALU_DEP_1) | instskip(NEXT) | instid1(VALU_DEP_1)
	v_fma_f32 v20, 0x3f317217, v7, -v19
	v_dual_mul_f32 v9, v8, v8 :: v_dual_fmac_f32 v20, 0x3377d1cf, v7
	s_delay_alu instid0(VALU_DEP_1) | instskip(NEXT) | instid1(VALU_DEP_1)
	v_dual_fmaak_f32 v10, s26, v9, 0xbc7a590c :: v_dual_add_f32 v19, v19, v20
	v_fmaak_f32 v10, v9, v10, 0x3d29fb3f
	v_cndmask_b32_e64 v20, 0, 0x41b17218, vcc_lo
	v_cmp_gt_f32_e64 vcc_lo, 0x7f800000, |v7|
	s_delay_alu instid0(VALU_DEP_3) | instskip(NEXT) | instid1(VALU_DEP_1)
	v_dual_fmaak_f32 v10, v9, v10, 0xbd97d4d7 :: v_dual_cndmask_b32 v7, v7, v19
	v_dual_fmaak_f32 v10, v9, v10, 0x3dd931b2 :: v_dual_sub_f32 v7, v7, v20
	s_delay_alu instid0(VALU_DEP_1) | instskip(NEXT) | instid1(VALU_DEP_1)
	v_dual_fmaak_f32 v10, v9, v10, 0xbe1160e6 :: v_dual_add_f32 v7, 1.0, v7
	v_fmaak_f32 v10, v9, v10, 0x3e4cb8bf
	s_delay_alu instid0(VALU_DEP_1) | instskip(NEXT) | instid1(VALU_DEP_1)
	v_fmaak_f32 v10, v9, v10, 0xbeaaaa62
	v_mul_f32_e32 v9, v9, v10
	s_delay_alu instid0(VALU_DEP_1)
	v_fmac_f32_e32 v8, v8, v9
.LBB57_184:                             ;   in Loop: Header=BB57_5 Depth=1
	s_or_b32 exec_lo, exec_lo, s30
	s_delay_alu instid0(VALU_DEP_1) | instskip(NEXT) | instid1(VALU_DEP_1)
	v_sub_f32_e32 v9, 0x3fc90fdb, v8
	v_cndmask_b32_e64 v8, v8, v9, s2
.LBB57_185:                             ;   in Loop: Header=BB57_5 Depth=1
	s_or_b32 exec_lo, exec_lo, s29
	v_cmp_neq_f32_e32 vcc_lo, 0, v11
	v_cmp_class_f32_e64 s2, v12, 0x204
	v_cmp_class_f32_e64 s3, v11, 0x204
	v_dual_add_f32 v7, 0x3f317218, v7 :: v_dual_cndmask_b32 v8, 0, v8
	v_cmp_o_f32_e32 vcc_lo, v11, v12
	s_delay_alu instid0(VALU_DEP_3)
	s_and_b32 s2, s3, s2
	s_delay_alu instid0(VALU_DEP_2) | instid1(SALU_CYCLE_1)
	v_cndmask_b32_e64 v8, v8, 0x3f490fdb, s2
	s_delay_alu instid0(VALU_DEP_1) | instskip(SKIP_1) | instid1(VALU_DEP_2)
	v_cndmask_b32_e32 v9, 0x7fc00000, v8, vcc_lo
	v_bfi_b32 v8, 0x7fffffff, v7, v12
	v_bfi_b32 v7, 0x7fffffff, v9, v11
.LBB57_186:                             ;   in Loop: Header=BB57_5 Depth=1
	s_or_b32 exec_lo, exec_lo, s28
                                        ; implicit-def: $vgpr12
.LBB57_187:                             ;   in Loop: Header=BB57_5 Depth=1
	s_and_not1_saveexec_b32 s2, s27
	s_cbranch_execz .LBB57_201
; %bb.188:                              ;   in Loop: Header=BB57_5 Depth=1
	v_cmp_neq_f32_e64 s3, 0x7f800000, |v12|
	s_delay_alu instid0(VALU_DEP_1) | instskip(NEXT) | instid1(SALU_CYCLE_1)
	s_and_saveexec_b32 s27, s3
	s_xor_b32 s3, exec_lo, s27
	s_cbranch_execz .LBB57_198
; %bb.189:                              ;   in Loop: Header=BB57_5 Depth=1
	v_cmp_neq_f32_e64 s27, 0x7f800000, |v11|
	s_delay_alu instid0(VALU_DEP_1) | instskip(NEXT) | instid1(SALU_CYCLE_1)
	s_and_saveexec_b32 s28, s27
	s_xor_b32 s27, exec_lo, s28
	s_cbranch_execz .LBB57_195
; %bb.190:                              ;   in Loop: Header=BB57_5 Depth=1
	s_mov_b32 s28, exec_lo
	v_cmpx_neq_f32_e32 0, v11
	s_xor_b32 s28, exec_lo, s28
; %bb.191:                              ;   in Loop: Header=BB57_5 Depth=1
	v_add_f32_e32 v7, 0, v12
	s_delay_alu instid0(VALU_DEP_1)
	v_add_f32_e32 v7, v11, v7
                                        ; implicit-def: $vgpr9_vgpr10_vgpr11_vgpr12
; %bb.192:                              ;   in Loop: Header=BB57_5 Depth=1
	s_or_saveexec_b32 s28, s28
	s_delay_alu instid0(VALU_DEP_1)
	v_mov_b32_e32 v8, v7
	s_xor_b32 exec_lo, exec_lo, s28
; %bb.193:                              ;   in Loop: Header=BB57_5 Depth=1
	v_dual_add_f32 v8, v12, v12 :: v_dual_mov_b32 v7, v11
; %bb.194:                              ;   in Loop: Header=BB57_5 Depth=1
	s_or_b32 exec_lo, exec_lo, s28
                                        ; implicit-def: $vgpr9_vgpr10_vgpr11_vgpr12
.LBB57_195:                             ;   in Loop: Header=BB57_5 Depth=1
	s_and_not1_saveexec_b32 s27, s27
; %bb.196:                              ;   in Loop: Header=BB57_5 Depth=1
	v_dual_add_f32 v7, v12, v12 :: v_dual_mov_b32 v8, v11
; %bb.197:                              ;   in Loop: Header=BB57_5 Depth=1
	s_or_b32 exec_lo, exec_lo, s27
                                        ; implicit-def: $vgpr9_vgpr10_vgpr11_vgpr12
.LBB57_198:                             ;   in Loop: Header=BB57_5 Depth=1
	s_and_not1_saveexec_b32 s3, s3
; %bb.199:                              ;   in Loop: Header=BB57_5 Depth=1
	v_dual_add_f32 v7, v11, v11 :: v_dual_mov_b32 v8, v12
; %bb.200:                              ;   in Loop: Header=BB57_5 Depth=1
	s_or_b32 exec_lo, exec_lo, s3
.LBB57_201:                             ;   in Loop: Header=BB57_5 Depth=1
	s_delay_alu instid0(SALU_CYCLE_1) | instskip(SKIP_3) | instid1(VALU_DEP_1)
	s_or_b32 exec_lo, exec_lo, s2
	s_waitcnt vmcnt(0)
	v_cmp_o_f32_e32 vcc_lo, v2, v2
	v_cmp_o_f32_e64 s2, v1, v1
                                        ; implicit-def: $vgpr9
	s_and_b32 s2, vcc_lo, s2
	s_delay_alu instid0(SALU_CYCLE_1) | instskip(NEXT) | instid1(SALU_CYCLE_1)
	s_and_saveexec_b32 s3, s2
	s_xor_b32 s27, exec_lo, s3
	s_cbranch_execz .LBB57_285
; %bb.202:                              ;   in Loop: Header=BB57_5 Depth=1
	v_max_f32_e64 v12, |v2|, |v2|
	v_max_f32_e64 v19, |v1|, |v1|
                                        ; implicit-def: $vgpr9
	s_mov_b32 s2, exec_lo
	s_delay_alu instid0(VALU_DEP_1) | instskip(NEXT) | instid1(VALU_DEP_1)
	v_max_f32_e32 v11, v19, v12
	v_cmpx_nlt_f32_e32 0x4b000000, v11
	s_xor_b32 s28, exec_lo, s2
	s_cbranch_execz .LBB57_262
; %bb.203:                              ;   in Loop: Header=BB57_5 Depth=1
	v_cmp_neq_f32_e32 vcc_lo, 0, v2
	v_cmp_neq_f32_e64 s2, 0, v1
	v_dual_mov_b32 v9, v1 :: v_dual_mov_b32 v10, v2
	s_delay_alu instid0(VALU_DEP_2) | instskip(NEXT) | instid1(SALU_CYCLE_1)
	s_or_b32 s2, vcc_lo, s2
	s_and_saveexec_b32 s29, s2
	s_cbranch_execz .LBB57_261
; %bb.204:                              ;   in Loop: Header=BB57_5 Depth=1
	v_dual_mov_b32 v9, s12 :: v_dual_mov_b32 v10, s13
	v_cmp_ngt_f32_e64 s2, 0x395db3d7, |v2|
	v_cmp_ngt_f32_e64 s3, 0x395db3d7, |v1|
	flat_store_b32 v[9:10], v17 dlc
	s_waitcnt_vscnt null, 0x0
	flat_load_b32 v9, v[9:10] glc dlc
	s_waitcnt vmcnt(0)
	s_or_b32 s2, s3, s2
	s_waitcnt lgkmcnt(0)
	v_add_f32_e32 v11, 1.0, v9
	v_dual_mov_b32 v9, s14 :: v_dual_mov_b32 v10, s15
	flat_store_b32 v[9:10], v11 dlc
	s_waitcnt_vscnt null, 0x0
	flat_load_b32 v9, v[9:10] glc dlc
	s_waitcnt vmcnt(0) lgkmcnt(0)
	v_dual_mov_b32 v10, v2 :: v_dual_mov_b32 v9, v1
	s_and_saveexec_b32 s30, s2
	s_cbranch_execz .LBB57_260
; %bb.205:                              ;   in Loop: Header=BB57_5 Depth=1
	v_add_f32_e64 v11, |v1|, 1.0
	v_add_f32_e64 v10, |v1|, -1.0
	s_mov_b32 s2, exec_lo
	s_delay_alu instid0(VALU_DEP_2) | instskip(NEXT) | instid1(VALU_DEP_2)
	v_max_f32_e64 v9, v12, |v11|
	v_max_f32_e64 v12, v12, |v10|
	s_delay_alu instid0(VALU_DEP_2) | instskip(NEXT) | instid1(VALU_DEP_2)
	v_cvt_f64_f32_e32 v[19:20], v9
	v_cvt_f64_f32_e32 v[21:22], v12
	v_cmp_neq_f32_e32 vcc_lo, 0x7f800000, v9
	s_delay_alu instid0(VALU_DEP_3) | instskip(NEXT) | instid1(VALU_DEP_3)
	v_frexp_exp_i32_f64_e32 v19, v[19:20]
	v_frexp_exp_i32_f64_e32 v20, v[21:22]
	s_delay_alu instid0(VALU_DEP_2) | instskip(NEXT) | instid1(VALU_DEP_2)
	v_sub_nc_u32_e32 v21, 0, v19
	v_sub_nc_u32_e32 v22, 0, v20
	s_delay_alu instid0(VALU_DEP_2) | instskip(NEXT) | instid1(VALU_DEP_2)
	v_ldexp_f32 v23, |v11|, v21
	v_ldexp_f32 v24, |v10|, v22
	;; [unrolled: 1-line block ×4, first 2 shown]
	s_delay_alu instid0(VALU_DEP_3) | instskip(NEXT) | instid1(VALU_DEP_1)
	v_dual_mul_f32 v23, v23, v23 :: v_dual_mul_f32 v24, v24, v24
	v_dual_fmac_f32 v23, v21, v21 :: v_dual_fmac_f32 v24, v22, v22
	s_delay_alu instid0(VALU_DEP_1) | instskip(NEXT) | instid1(VALU_DEP_1)
	v_sqrt_f32_e32 v21, v23
	v_sqrt_f32_e32 v22, v24
	s_waitcnt_depctr 0xfff
	v_ldexp_f32 v19, v21, v19
	v_ldexp_f32 v21, v22, v20
	s_delay_alu instid0(VALU_DEP_2) | instskip(SKIP_1) | instid1(VALU_DEP_3)
	v_cndmask_b32_e32 v20, 0x7f800000, v19, vcc_lo
	v_cmp_neq_f32_e32 vcc_lo, 0x7f800000, v12
	v_cndmask_b32_e32 v12, 0x7f800000, v21, vcc_lo
                                        ; implicit-def: $vgpr21
	s_delay_alu instid0(VALU_DEP_1) | instskip(NEXT) | instid1(VALU_DEP_1)
	v_add_f32_e32 v9, v20, v12
	v_mul_f32_e32 v9, 0.5, v9
	s_delay_alu instid0(VALU_DEP_1) | instskip(SKIP_1) | instid1(VALU_DEP_1)
	v_cmp_ngt_f32_e32 vcc_lo, 1.0, v9
	v_cndmask_b32_e32 v9, 1.0, v9, vcc_lo
	v_cmpx_ngt_f32_e32 0x41200000, v9
	s_xor_b32 s3, exec_lo, s2
	s_cbranch_execz .LBB57_207
; %bb.206:                              ;   in Loop: Header=BB57_5 Depth=1
	v_fma_f32 v19, v9, v9, -1.0
	s_delay_alu instid0(VALU_DEP_1) | instskip(SKIP_1) | instid1(VALU_DEP_2)
	v_mul_f32_e32 v21, 0x4f800000, v19
	v_cmp_gt_f32_e32 vcc_lo, 0xf800000, v19
	v_cndmask_b32_e32 v19, v19, v21, vcc_lo
	s_delay_alu instid0(VALU_DEP_1) | instskip(SKIP_3) | instid1(VALU_DEP_2)
	v_sqrt_f32_e32 v21, v19
	s_waitcnt_depctr 0xfff
	v_add_nc_u32_e32 v22, -1, v21
	v_add_nc_u32_e32 v23, 1, v21
	v_fma_f32 v24, -v22, v21, v19
	s_delay_alu instid0(VALU_DEP_2) | instskip(NEXT) | instid1(VALU_DEP_2)
	v_fma_f32 v25, -v23, v21, v19
	v_cmp_ge_f32_e64 s2, 0, v24
	s_delay_alu instid0(VALU_DEP_1) | instskip(NEXT) | instid1(VALU_DEP_3)
	v_cndmask_b32_e64 v21, v21, v22, s2
	v_cmp_lt_f32_e64 s2, 0, v25
	s_delay_alu instid0(VALU_DEP_1) | instskip(NEXT) | instid1(VALU_DEP_1)
	v_cndmask_b32_e64 v21, v21, v23, s2
	v_mul_f32_e32 v22, 0x37800000, v21
	s_delay_alu instid0(VALU_DEP_1) | instskip(SKIP_1) | instid1(VALU_DEP_2)
	v_cndmask_b32_e32 v21, v21, v22, vcc_lo
	v_cmp_class_f32_e64 vcc_lo, v19, 0x260
	v_cndmask_b32_e32 v19, v21, v19, vcc_lo
	s_delay_alu instid0(VALU_DEP_1) | instskip(NEXT) | instid1(VALU_DEP_1)
	v_add_f32_e32 v19, v9, v19
	v_cmp_gt_f32_e32 vcc_lo, 0x800000, v19
	s_delay_alu instid0(VALU_DEP_4) | instskip(NEXT) | instid1(VALU_DEP_1)
	v_cndmask_b32_e64 v21, 1.0, 0x4f800000, vcc_lo
	v_mul_f32_e32 v19, v19, v21
	s_delay_alu instid0(VALU_DEP_1) | instskip(SKIP_3) | instid1(VALU_DEP_2)
	v_log_f32_e32 v19, v19
	s_waitcnt_depctr 0xfff
	v_mul_f32_e32 v21, 0x3f317217, v19
	v_cmp_gt_f32_e64 s2, 0x7f800000, |v19|
	v_fma_f32 v22, 0x3f317217, v19, -v21
	s_delay_alu instid0(VALU_DEP_1) | instskip(NEXT) | instid1(VALU_DEP_1)
	v_fmac_f32_e32 v22, 0x3377d1cf, v19
	v_add_f32_e32 v21, v21, v22
	s_delay_alu instid0(VALU_DEP_1) | instskip(SKIP_1) | instid1(VALU_DEP_1)
	v_cndmask_b32_e64 v19, v19, v21, s2
	v_cndmask_b32_e64 v21, 0, 0x41b17218, vcc_lo
	v_sub_f32_e32 v21, v19, v21
.LBB57_207:                             ;   in Loop: Header=BB57_5 Depth=1
	s_or_saveexec_b32 s3, s3
	v_and_b32_e32 v19, 0x7fffffff, v2
	s_xor_b32 exec_lo, exec_lo, s3
	s_cbranch_execz .LBB57_229
; %bb.208:                              ;   in Loop: Header=BB57_5 Depth=1
	v_cmp_neq_f32_e64 s2, |v1|, 1.0
	v_cmp_ngt_f32_e64 s31, 0x25000000, |v2|
                                        ; implicit-def: $vgpr21
	s_delay_alu instid0(VALU_DEP_1) | instskip(NEXT) | instid1(SALU_CYCLE_1)
	s_or_b32 s2, s2, s31
	s_and_saveexec_b32 s31, s2
	s_delay_alu instid0(SALU_CYCLE_1)
	s_xor_b32 s31, exec_lo, s31
	s_cbranch_execz .LBB57_226
; %bb.209:                              ;   in Loop: Header=BB57_5 Depth=1
	v_mul_f32_e64 v21, 0x34000000, |v10|
	s_delay_alu instid0(VALU_DEP_1) | instskip(NEXT) | instid1(VALU_DEP_1)
	v_cmp_le_f32_e64 s2, v21, |v2|
                                        ; implicit-def: $vgpr21
	s_and_saveexec_b32 s33, s2
	s_delay_alu instid0(SALU_CYCLE_1)
	s_xor_b32 s33, exec_lo, s33
	s_cbranch_execz .LBB57_219
; %bb.210:                              ;   in Loop: Header=BB57_5 Depth=1
	v_mov_b32_e32 v21, v19
	s_mov_b32 s2, exec_lo
	v_cmpx_neq_f32_e32 0, v11
	s_cbranch_execz .LBB57_212
; %bb.211:                              ;   in Loop: Header=BB57_5 Depth=1
	v_dual_mul_f32 v21, v2, v2 :: v_dual_add_f32 v22, v11, v20
	s_delay_alu instid0(VALU_DEP_1) | instskip(NEXT) | instid1(VALU_DEP_1)
	v_div_scale_f32 v23, null, v22, v22, v21
	v_rcp_f32_e32 v24, v23
	s_waitcnt_depctr 0xfff
	v_fma_f32 v25, -v23, v24, 1.0
	s_delay_alu instid0(VALU_DEP_1) | instskip(SKIP_1) | instid1(VALU_DEP_1)
	v_fmac_f32_e32 v24, v25, v24
	v_div_scale_f32 v25, vcc_lo, v21, v22, v21
	v_mul_f32_e32 v26, v25, v24
	s_delay_alu instid0(VALU_DEP_1) | instskip(NEXT) | instid1(VALU_DEP_1)
	v_fma_f32 v27, -v23, v26, v25
	v_fmac_f32_e32 v26, v27, v24
	s_delay_alu instid0(VALU_DEP_1) | instskip(NEXT) | instid1(VALU_DEP_1)
	v_fma_f32 v23, -v23, v26, v25
	v_div_fmas_f32 v23, v23, v24, v26
	s_delay_alu instid0(VALU_DEP_1)
	v_div_fixup_f32 v21, v23, v22, v21
.LBB57_212:                             ;   in Loop: Header=BB57_5 Depth=1
	s_or_b32 exec_lo, exec_lo, s2
	v_sub_f32_e64 v23, 1.0, |v1|
	s_mov_b32 s2, exec_lo
                                        ; implicit-def: $vgpr22
	s_delay_alu instid0(VALU_DEP_1)
	v_cmpx_ngt_f32_e32 0, v23
	s_xor_b32 s2, exec_lo, s2
	s_cbranch_execz .LBB57_216
; %bb.213:                              ;   in Loop: Header=BB57_5 Depth=1
	v_mov_b32_e32 v22, v19
	s_mov_b32 s34, exec_lo
	v_cmpx_neq_f32_e32 0, v23
	s_cbranch_execz .LBB57_215
; %bb.214:                              ;   in Loop: Header=BB57_5 Depth=1
	v_dual_mul_f32 v22, v2, v2 :: v_dual_add_f32 v23, v23, v12
	s_delay_alu instid0(VALU_DEP_1) | instskip(NEXT) | instid1(VALU_DEP_1)
	v_div_scale_f32 v24, null, v23, v23, v22
	v_rcp_f32_e32 v25, v24
	s_waitcnt_depctr 0xfff
	v_fma_f32 v26, -v24, v25, 1.0
	s_delay_alu instid0(VALU_DEP_1) | instskip(SKIP_1) | instid1(VALU_DEP_1)
	v_fmac_f32_e32 v25, v26, v25
	v_div_scale_f32 v26, vcc_lo, v22, v23, v22
	v_mul_f32_e32 v27, v26, v25
	s_delay_alu instid0(VALU_DEP_1) | instskip(NEXT) | instid1(VALU_DEP_1)
	v_fma_f32 v28, -v24, v27, v26
	v_fmac_f32_e32 v27, v28, v25
	s_delay_alu instid0(VALU_DEP_1) | instskip(NEXT) | instid1(VALU_DEP_1)
	v_fma_f32 v24, -v24, v27, v26
	v_div_fmas_f32 v24, v24, v25, v27
	s_delay_alu instid0(VALU_DEP_1)
	v_div_fixup_f32 v22, v24, v23, v22
.LBB57_215:                             ;   in Loop: Header=BB57_5 Depth=1
	s_or_b32 exec_lo, exec_lo, s34
                                        ; implicit-def: $vgpr23
.LBB57_216:                             ;   in Loop: Header=BB57_5 Depth=1
	s_and_not1_saveexec_b32 s2, s2
; %bb.217:                              ;   in Loop: Header=BB57_5 Depth=1
	v_sub_f32_e32 v22, v12, v23
; %bb.218:                              ;   in Loop: Header=BB57_5 Depth=1
	s_or_b32 exec_lo, exec_lo, s2
	s_delay_alu instid0(VALU_DEP_1) | instskip(NEXT) | instid1(VALU_DEP_1)
	v_dual_mul_f32 v22, 0.5, v22 :: v_dual_add_f32 v23, 1.0, v9
	v_fmac_f32_e32 v22, 0.5, v21
	s_delay_alu instid0(VALU_DEP_1) | instskip(NEXT) | instid1(VALU_DEP_1)
	v_mul_f32_e32 v21, v23, v22
	v_mul_f32_e32 v23, 0x4f800000, v21
	v_cmp_gt_f32_e32 vcc_lo, 0xf800000, v21
	s_delay_alu instid0(VALU_DEP_2) | instskip(NEXT) | instid1(VALU_DEP_1)
	v_cndmask_b32_e32 v21, v21, v23, vcc_lo
	v_sqrt_f32_e32 v23, v21
	s_waitcnt_depctr 0xfff
	v_add_nc_u32_e32 v24, -1, v23
	v_add_nc_u32_e32 v25, 1, v23
	s_delay_alu instid0(VALU_DEP_2) | instskip(NEXT) | instid1(VALU_DEP_2)
	v_fma_f32 v26, -v24, v23, v21
	v_fma_f32 v27, -v25, v23, v21
	s_delay_alu instid0(VALU_DEP_2) | instskip(NEXT) | instid1(VALU_DEP_1)
	v_cmp_ge_f32_e64 s2, 0, v26
	v_cndmask_b32_e64 v23, v23, v24, s2
	s_delay_alu instid0(VALU_DEP_3) | instskip(NEXT) | instid1(VALU_DEP_1)
	v_cmp_lt_f32_e64 s2, 0, v27
	v_cndmask_b32_e64 v23, v23, v25, s2
	s_delay_alu instid0(VALU_DEP_1) | instskip(NEXT) | instid1(VALU_DEP_1)
	v_mul_f32_e32 v24, 0x37800000, v23
	v_cndmask_b32_e32 v23, v23, v24, vcc_lo
	v_cmp_class_f32_e64 vcc_lo, v21, 0x260
	s_delay_alu instid0(VALU_DEP_2) | instskip(NEXT) | instid1(VALU_DEP_1)
	v_cndmask_b32_e32 v21, v23, v21, vcc_lo
	v_add_f32_e32 v23, v22, v21
	s_delay_alu instid0(VALU_DEP_1) | instskip(NEXT) | instid1(VALU_DEP_1)
	v_add_f32_e32 v24, 1.0, v23
	v_cvt_f64_f32_e32 v[21:22], v24
	s_delay_alu instid0(VALU_DEP_1) | instskip(SKIP_1) | instid1(VALU_DEP_1)
	v_frexp_exp_i32_f64_e32 v21, v[21:22]
	v_frexp_mant_f32_e32 v22, v24
	v_cmp_gt_f32_e32 vcc_lo, 0x3f2aaaab, v22
	v_add_f32_e32 v22, -1.0, v24
	s_delay_alu instid0(VALU_DEP_1) | instskip(NEXT) | instid1(VALU_DEP_1)
	v_sub_f32_e32 v26, v22, v24
	v_add_f32_e32 v26, 1.0, v26
	v_subrev_co_ci_u32_e32 v21, vcc_lo, 0, v21, vcc_lo
	s_delay_alu instid0(VALU_DEP_1) | instskip(SKIP_1) | instid1(VALU_DEP_2)
	v_sub_nc_u32_e32 v25, 0, v21
	v_cvt_f32_i32_e32 v21, v21
	v_ldexp_f32 v24, v24, v25
	s_delay_alu instid0(VALU_DEP_1) | instskip(NEXT) | instid1(VALU_DEP_1)
	v_dual_sub_f32 v22, v23, v22 :: v_dual_add_f32 v27, 1.0, v24
	v_add_f32_e32 v22, v22, v26
	s_delay_alu instid0(VALU_DEP_2) | instskip(NEXT) | instid1(VALU_DEP_2)
	v_add_f32_e32 v26, -1.0, v27
	v_ldexp_f32 v22, v22, v25
	v_add_f32_e32 v25, -1.0, v24
	v_cmp_eq_f32_e32 vcc_lo, 0x7f800000, v23
	s_delay_alu instid0(VALU_DEP_4) | instskip(NEXT) | instid1(VALU_DEP_3)
	v_sub_f32_e32 v26, v24, v26
	v_add_f32_e32 v28, 1.0, v25
	s_delay_alu instid0(VALU_DEP_2) | instskip(NEXT) | instid1(VALU_DEP_2)
	v_add_f32_e32 v26, v22, v26
	v_sub_f32_e32 v24, v24, v28
	s_delay_alu instid0(VALU_DEP_1) | instskip(NEXT) | instid1(VALU_DEP_1)
	v_add_f32_e32 v22, v22, v24
	v_add_f32_e32 v29, v25, v22
	s_delay_alu instid0(VALU_DEP_1) | instskip(NEXT) | instid1(VALU_DEP_1)
	v_dual_add_f32 v28, v27, v26 :: v_dual_sub_f32 v25, v29, v25
	v_rcp_f32_e32 v24, v28
	v_sub_f32_e32 v27, v28, v27
	s_delay_alu instid0(VALU_DEP_1) | instskip(SKIP_2) | instid1(VALU_DEP_1)
	v_sub_f32_e32 v26, v26, v27
	s_waitcnt_depctr 0xfff
	v_mul_f32_e32 v30, v29, v24
	v_mul_f32_e32 v31, v28, v30
	s_delay_alu instid0(VALU_DEP_1) | instskip(NEXT) | instid1(VALU_DEP_1)
	v_fma_f32 v27, v30, v28, -v31
	v_fmac_f32_e32 v27, v30, v26
	v_sub_f32_e32 v22, v22, v25
	s_delay_alu instid0(VALU_DEP_2) | instskip(NEXT) | instid1(VALU_DEP_1)
	v_add_f32_e32 v32, v31, v27
	v_sub_f32_e32 v33, v29, v32
	v_sub_f32_e32 v25, v32, v31
	s_delay_alu instid0(VALU_DEP_2) | instskip(NEXT) | instid1(VALU_DEP_2)
	v_sub_f32_e32 v29, v29, v33
	v_sub_f32_e32 v25, v25, v27
	s_delay_alu instid0(VALU_DEP_2) | instskip(NEXT) | instid1(VALU_DEP_1)
	v_sub_f32_e32 v29, v29, v32
	v_add_f32_e32 v22, v22, v29
	s_delay_alu instid0(VALU_DEP_1) | instskip(NEXT) | instid1(VALU_DEP_1)
	v_add_f32_e32 v22, v25, v22
	v_add_f32_e32 v25, v33, v22
	s_delay_alu instid0(VALU_DEP_1) | instskip(NEXT) | instid1(VALU_DEP_1)
	v_mul_f32_e32 v27, v24, v25
	v_dual_sub_f32 v32, v33, v25 :: v_dual_mul_f32 v29, v28, v27
	s_delay_alu instid0(VALU_DEP_1) | instskip(NEXT) | instid1(VALU_DEP_2)
	v_add_f32_e32 v22, v22, v32
	v_fma_f32 v28, v27, v28, -v29
	s_delay_alu instid0(VALU_DEP_1) | instskip(NEXT) | instid1(VALU_DEP_1)
	v_fmac_f32_e32 v28, v27, v26
	v_add_f32_e32 v26, v29, v28
	s_delay_alu instid0(VALU_DEP_1) | instskip(NEXT) | instid1(VALU_DEP_1)
	v_sub_f32_e32 v31, v25, v26
	v_sub_f32_e32 v25, v25, v31
	s_delay_alu instid0(VALU_DEP_1) | instskip(NEXT) | instid1(VALU_DEP_1)
	v_sub_f32_e32 v25, v25, v26
	v_add_f32_e32 v22, v22, v25
	v_add_f32_e32 v25, v30, v27
	v_sub_f32_e32 v29, v26, v29
	s_delay_alu instid0(VALU_DEP_1) | instskip(NEXT) | instid1(VALU_DEP_1)
	v_sub_f32_e32 v26, v29, v28
	v_add_f32_e32 v22, v26, v22
	s_delay_alu instid0(VALU_DEP_4) | instskip(NEXT) | instid1(VALU_DEP_2)
	v_sub_f32_e32 v26, v25, v30
	v_add_f32_e32 v22, v31, v22
	s_delay_alu instid0(VALU_DEP_2) | instskip(NEXT) | instid1(VALU_DEP_2)
	v_sub_f32_e32 v26, v27, v26
	v_mul_f32_e32 v22, v24, v22
	s_delay_alu instid0(VALU_DEP_1) | instskip(NEXT) | instid1(VALU_DEP_1)
	v_add_f32_e32 v22, v26, v22
	v_add_f32_e32 v24, v25, v22
	s_delay_alu instid0(VALU_DEP_1) | instskip(NEXT) | instid1(VALU_DEP_1)
	v_mul_f32_e32 v26, v24, v24
	v_fmaak_f32 v27, s24, v26, 0x3ecc95a3
	v_mul_f32_e32 v28, v24, v26
	s_delay_alu instid0(VALU_DEP_2) | instskip(SKIP_2) | instid1(VALU_DEP_3)
	v_fmaak_f32 v26, v26, v27, 0x3f2aaada
	v_ldexp_f32 v27, v24, 1
	v_sub_f32_e32 v24, v24, v25
	v_mul_f32_e32 v26, v28, v26
	v_mul_f32_e32 v28, 0x3f317218, v21
	s_delay_alu instid0(VALU_DEP_2) | instskip(NEXT) | instid1(VALU_DEP_1)
	v_dual_sub_f32 v22, v22, v24 :: v_dual_add_f32 v25, v27, v26
	v_ldexp_f32 v22, v22, 1
	s_delay_alu instid0(VALU_DEP_2) | instskip(NEXT) | instid1(VALU_DEP_4)
	v_sub_f32_e32 v24, v25, v27
	v_fma_f32 v27, 0x3f317218, v21, -v28
	s_delay_alu instid0(VALU_DEP_1) | instskip(NEXT) | instid1(VALU_DEP_1)
	v_dual_sub_f32 v24, v26, v24 :: v_dual_fmac_f32 v27, 0xb102e308, v21
	v_dual_add_f32 v21, v22, v24 :: v_dual_add_f32 v22, v28, v27
	s_delay_alu instid0(VALU_DEP_1) | instskip(NEXT) | instid1(VALU_DEP_2)
	v_add_f32_e32 v24, v25, v21
	v_sub_f32_e32 v28, v22, v28
	s_delay_alu instid0(VALU_DEP_2) | instskip(NEXT) | instid1(VALU_DEP_2)
	v_dual_add_f32 v26, v22, v24 :: v_dual_sub_f32 v25, v24, v25
	v_sub_f32_e32 v27, v27, v28
	s_delay_alu instid0(VALU_DEP_2) | instskip(NEXT) | instid1(VALU_DEP_3)
	v_sub_f32_e32 v29, v26, v22
	v_sub_f32_e32 v21, v21, v25
	s_delay_alu instid0(VALU_DEP_2) | instskip(SKIP_1) | instid1(VALU_DEP_2)
	v_sub_f32_e32 v30, v26, v29
	v_sub_f32_e32 v24, v24, v29
	v_dual_add_f32 v25, v27, v21 :: v_dual_sub_f32 v22, v22, v30
	s_delay_alu instid0(VALU_DEP_1) | instskip(NEXT) | instid1(VALU_DEP_2)
	v_add_f32_e32 v22, v24, v22
	v_sub_f32_e32 v24, v25, v27
	s_delay_alu instid0(VALU_DEP_2) | instskip(NEXT) | instid1(VALU_DEP_2)
	v_add_f32_e32 v22, v25, v22
	v_sub_f32_e32 v25, v25, v24
	s_delay_alu instid0(VALU_DEP_2) | instskip(NEXT) | instid1(VALU_DEP_1)
	v_dual_sub_f32 v21, v21, v24 :: v_dual_add_f32 v28, v26, v22
	v_dual_sub_f32 v25, v27, v25 :: v_dual_sub_f32 v24, v28, v26
	s_delay_alu instid0(VALU_DEP_1) | instskip(NEXT) | instid1(VALU_DEP_1)
	v_dual_add_f32 v21, v21, v25 :: v_dual_sub_f32 v22, v22, v24
	v_add_f32_e32 v21, v21, v22
	s_delay_alu instid0(VALU_DEP_1) | instskip(NEXT) | instid1(VALU_DEP_1)
	v_add_f32_e32 v21, v28, v21
	v_cndmask_b32_e32 v21, v21, v23, vcc_lo
	v_cmp_ngt_f32_e32 vcc_lo, -1.0, v23
	s_delay_alu instid0(VALU_DEP_2) | instskip(SKIP_1) | instid1(VALU_DEP_2)
	v_cndmask_b32_e32 v21, 0x7fc00000, v21, vcc_lo
	v_cmp_neq_f32_e32 vcc_lo, -1.0, v23
	v_cndmask_b32_e32 v21, 0xff800000, v21, vcc_lo
	v_cmp_gt_f32_e64 vcc_lo, 0x33800000, |v23|
	s_delay_alu instid0(VALU_DEP_2)
	v_cndmask_b32_e32 v21, v21, v23, vcc_lo
.LBB57_219:                             ;   in Loop: Header=BB57_5 Depth=1
	s_and_not1_saveexec_b32 s33, s33
	s_cbranch_execz .LBB57_225
; %bb.220:                              ;   in Loop: Header=BB57_5 Depth=1
	s_mov_b32 s34, exec_lo
                                        ; implicit-def: $vgpr21
	v_cmpx_nlt_f32_e64 |v1|, 1.0
	s_xor_b32 s34, exec_lo, s34
	s_cbranch_execz .LBB57_222
; %bb.221:                              ;   in Loop: Header=BB57_5 Depth=1
	v_mul_f32_e32 v21, v10, v11
	s_delay_alu instid0(VALU_DEP_1) | instskip(SKIP_1) | instid1(VALU_DEP_2)
	v_mul_f32_e32 v22, 0x4f800000, v21
	v_cmp_gt_f32_e32 vcc_lo, 0xf800000, v21
	v_cndmask_b32_e32 v21, v21, v22, vcc_lo
	s_delay_alu instid0(VALU_DEP_1) | instskip(SKIP_3) | instid1(VALU_DEP_2)
	v_sqrt_f32_e32 v22, v21
	s_waitcnt_depctr 0xfff
	v_add_nc_u32_e32 v23, -1, v22
	v_add_nc_u32_e32 v24, 1, v22
	v_fma_f32 v25, -v23, v22, v21
	s_delay_alu instid0(VALU_DEP_2) | instskip(NEXT) | instid1(VALU_DEP_2)
	v_fma_f32 v26, -v24, v22, v21
	v_cmp_ge_f32_e64 s2, 0, v25
	s_delay_alu instid0(VALU_DEP_1) | instskip(NEXT) | instid1(VALU_DEP_3)
	v_cndmask_b32_e64 v22, v22, v23, s2
	v_cmp_lt_f32_e64 s2, 0, v26
	s_delay_alu instid0(VALU_DEP_1) | instskip(NEXT) | instid1(VALU_DEP_1)
	v_cndmask_b32_e64 v22, v22, v24, s2
	v_mul_f32_e32 v23, 0x37800000, v22
	s_delay_alu instid0(VALU_DEP_1) | instskip(SKIP_1) | instid1(VALU_DEP_2)
	v_cndmask_b32_e32 v22, v22, v23, vcc_lo
	v_cmp_class_f32_e64 vcc_lo, v21, 0x260
	v_cndmask_b32_e32 v21, v22, v21, vcc_lo
	s_delay_alu instid0(VALU_DEP_1) | instskip(NEXT) | instid1(VALU_DEP_1)
	v_add_f32_e32 v23, v10, v21
	v_add_f32_e32 v24, 1.0, v23
	s_delay_alu instid0(VALU_DEP_1) | instskip(NEXT) | instid1(VALU_DEP_1)
	v_cvt_f64_f32_e32 v[21:22], v24
	v_frexp_exp_i32_f64_e32 v21, v[21:22]
	v_frexp_mant_f32_e32 v22, v24
	s_delay_alu instid0(VALU_DEP_1) | instskip(SKIP_1) | instid1(VALU_DEP_1)
	v_cmp_gt_f32_e32 vcc_lo, 0x3f2aaaab, v22
	v_add_f32_e32 v22, -1.0, v24
	v_sub_f32_e32 v26, v22, v24
	s_delay_alu instid0(VALU_DEP_1) | instskip(SKIP_2) | instid1(VALU_DEP_2)
	v_add_f32_e32 v26, 1.0, v26
	v_subrev_co_ci_u32_e32 v21, vcc_lo, 0, v21, vcc_lo
	v_cmp_eq_f32_e32 vcc_lo, 0x7f800000, v23
	v_sub_nc_u32_e32 v25, 0, v21
	v_cvt_f32_i32_e32 v21, v21
	s_delay_alu instid0(VALU_DEP_2) | instskip(NEXT) | instid1(VALU_DEP_1)
	v_ldexp_f32 v24, v24, v25
	v_dual_sub_f32 v22, v23, v22 :: v_dual_add_f32 v27, 1.0, v24
	s_delay_alu instid0(VALU_DEP_1) | instskip(NEXT) | instid1(VALU_DEP_1)
	v_add_f32_e32 v22, v22, v26
	v_ldexp_f32 v22, v22, v25
	s_delay_alu instid0(VALU_DEP_3) | instskip(NEXT) | instid1(VALU_DEP_1)
	v_dual_add_f32 v25, -1.0, v24 :: v_dual_add_f32 v26, -1.0, v27
	v_add_f32_e32 v28, 1.0, v25
	s_delay_alu instid0(VALU_DEP_2) | instskip(NEXT) | instid1(VALU_DEP_2)
	v_sub_f32_e32 v26, v24, v26
	v_sub_f32_e32 v24, v24, v28
	s_delay_alu instid0(VALU_DEP_2) | instskip(NEXT) | instid1(VALU_DEP_2)
	v_add_f32_e32 v26, v22, v26
	v_add_f32_e32 v22, v22, v24
	s_delay_alu instid0(VALU_DEP_1) | instskip(NEXT) | instid1(VALU_DEP_1)
	v_add_f32_e32 v29, v25, v22
	v_dual_sub_f32 v25, v29, v25 :: v_dual_add_f32 v28, v27, v26
	s_delay_alu instid0(VALU_DEP_1) | instskip(SKIP_1) | instid1(VALU_DEP_1)
	v_rcp_f32_e32 v24, v28
	v_sub_f32_e32 v27, v28, v27
	v_sub_f32_e32 v26, v26, v27
	s_waitcnt_depctr 0xfff
	v_mul_f32_e32 v30, v29, v24
	s_delay_alu instid0(VALU_DEP_1) | instskip(NEXT) | instid1(VALU_DEP_1)
	v_mul_f32_e32 v31, v28, v30
	v_fma_f32 v27, v30, v28, -v31
	s_delay_alu instid0(VALU_DEP_1) | instskip(SKIP_1) | instid1(VALU_DEP_2)
	v_fmac_f32_e32 v27, v30, v26
	v_sub_f32_e32 v22, v22, v25
	v_add_f32_e32 v32, v31, v27
	s_delay_alu instid0(VALU_DEP_1) | instskip(SKIP_1) | instid1(VALU_DEP_2)
	v_sub_f32_e32 v33, v29, v32
	v_sub_f32_e32 v25, v32, v31
	v_sub_f32_e32 v29, v29, v33
	s_delay_alu instid0(VALU_DEP_2) | instskip(NEXT) | instid1(VALU_DEP_2)
	v_sub_f32_e32 v25, v25, v27
	v_sub_f32_e32 v29, v29, v32
	s_delay_alu instid0(VALU_DEP_1) | instskip(NEXT) | instid1(VALU_DEP_1)
	v_add_f32_e32 v22, v22, v29
	v_add_f32_e32 v22, v25, v22
	s_delay_alu instid0(VALU_DEP_1) | instskip(NEXT) | instid1(VALU_DEP_1)
	v_add_f32_e32 v25, v33, v22
	v_mul_f32_e32 v27, v24, v25
	s_delay_alu instid0(VALU_DEP_1) | instskip(NEXT) | instid1(VALU_DEP_1)
	v_dual_sub_f32 v32, v33, v25 :: v_dual_mul_f32 v29, v28, v27
	v_fma_f32 v28, v27, v28, -v29
	s_delay_alu instid0(VALU_DEP_1) | instskip(NEXT) | instid1(VALU_DEP_1)
	v_fmac_f32_e32 v28, v27, v26
	v_add_f32_e32 v26, v29, v28
	s_delay_alu instid0(VALU_DEP_1) | instskip(SKIP_1) | instid1(VALU_DEP_1)
	v_sub_f32_e32 v29, v26, v29
	v_dual_sub_f32 v31, v25, v26 :: v_dual_add_f32 v22, v22, v32
	v_sub_f32_e32 v25, v25, v31
	s_delay_alu instid0(VALU_DEP_1) | instskip(NEXT) | instid1(VALU_DEP_4)
	v_sub_f32_e32 v25, v25, v26
	v_sub_f32_e32 v26, v29, v28
	s_delay_alu instid0(VALU_DEP_2) | instskip(SKIP_1) | instid1(VALU_DEP_2)
	v_add_f32_e32 v22, v22, v25
	v_add_f32_e32 v25, v30, v27
	;; [unrolled: 1-line block ×3, first 2 shown]
	s_delay_alu instid0(VALU_DEP_2) | instskip(NEXT) | instid1(VALU_DEP_2)
	v_sub_f32_e32 v26, v25, v30
	v_add_f32_e32 v22, v31, v22
	s_delay_alu instid0(VALU_DEP_2) | instskip(NEXT) | instid1(VALU_DEP_2)
	v_sub_f32_e32 v26, v27, v26
	v_mul_f32_e32 v22, v24, v22
	s_delay_alu instid0(VALU_DEP_1) | instskip(NEXT) | instid1(VALU_DEP_1)
	v_add_f32_e32 v22, v26, v22
	v_add_f32_e32 v24, v25, v22
	s_delay_alu instid0(VALU_DEP_1) | instskip(NEXT) | instid1(VALU_DEP_1)
	v_mul_f32_e32 v26, v24, v24
	v_fmaak_f32 v27, s24, v26, 0x3ecc95a3
	v_mul_f32_e32 v28, v24, v26
	s_delay_alu instid0(VALU_DEP_2) | instskip(SKIP_2) | instid1(VALU_DEP_3)
	v_fmaak_f32 v26, v26, v27, 0x3f2aaada
	v_ldexp_f32 v27, v24, 1
	v_sub_f32_e32 v24, v24, v25
	v_mul_f32_e32 v26, v28, v26
	v_mul_f32_e32 v28, 0x3f317218, v21
	s_delay_alu instid0(VALU_DEP_2) | instskip(NEXT) | instid1(VALU_DEP_1)
	v_dual_sub_f32 v22, v22, v24 :: v_dual_add_f32 v25, v27, v26
	v_ldexp_f32 v22, v22, 1
	s_delay_alu instid0(VALU_DEP_2) | instskip(NEXT) | instid1(VALU_DEP_4)
	v_sub_f32_e32 v24, v25, v27
	v_fma_f32 v27, 0x3f317218, v21, -v28
	s_delay_alu instid0(VALU_DEP_1) | instskip(NEXT) | instid1(VALU_DEP_1)
	v_dual_sub_f32 v24, v26, v24 :: v_dual_fmac_f32 v27, 0xb102e308, v21
	v_dual_add_f32 v21, v22, v24 :: v_dual_add_f32 v22, v28, v27
	s_delay_alu instid0(VALU_DEP_1) | instskip(NEXT) | instid1(VALU_DEP_2)
	v_add_f32_e32 v24, v25, v21
	v_sub_f32_e32 v28, v22, v28
	s_delay_alu instid0(VALU_DEP_2) | instskip(NEXT) | instid1(VALU_DEP_2)
	v_dual_add_f32 v26, v22, v24 :: v_dual_sub_f32 v25, v24, v25
	v_sub_f32_e32 v27, v27, v28
	s_delay_alu instid0(VALU_DEP_2) | instskip(NEXT) | instid1(VALU_DEP_3)
	v_sub_f32_e32 v29, v26, v22
	v_sub_f32_e32 v21, v21, v25
	s_delay_alu instid0(VALU_DEP_2) | instskip(SKIP_1) | instid1(VALU_DEP_2)
	v_sub_f32_e32 v30, v26, v29
	v_sub_f32_e32 v24, v24, v29
	v_dual_add_f32 v25, v27, v21 :: v_dual_sub_f32 v22, v22, v30
	s_delay_alu instid0(VALU_DEP_1) | instskip(NEXT) | instid1(VALU_DEP_2)
	v_add_f32_e32 v22, v24, v22
	v_sub_f32_e32 v24, v25, v27
	s_delay_alu instid0(VALU_DEP_2) | instskip(NEXT) | instid1(VALU_DEP_2)
	v_add_f32_e32 v22, v25, v22
	v_sub_f32_e32 v25, v25, v24
	s_delay_alu instid0(VALU_DEP_2) | instskip(NEXT) | instid1(VALU_DEP_1)
	v_dual_sub_f32 v21, v21, v24 :: v_dual_add_f32 v28, v26, v22
	v_dual_sub_f32 v25, v27, v25 :: v_dual_sub_f32 v24, v28, v26
	s_delay_alu instid0(VALU_DEP_1) | instskip(NEXT) | instid1(VALU_DEP_1)
	v_dual_add_f32 v21, v21, v25 :: v_dual_sub_f32 v22, v22, v24
	v_add_f32_e32 v21, v21, v22
	s_delay_alu instid0(VALU_DEP_1) | instskip(NEXT) | instid1(VALU_DEP_1)
	v_add_f32_e32 v21, v28, v21
	v_cndmask_b32_e32 v21, v21, v23, vcc_lo
	v_cmp_ngt_f32_e32 vcc_lo, -1.0, v23
	s_delay_alu instid0(VALU_DEP_2) | instskip(SKIP_1) | instid1(VALU_DEP_2)
	v_cndmask_b32_e32 v21, 0x7fc00000, v21, vcc_lo
	v_cmp_neq_f32_e32 vcc_lo, -1.0, v23
	v_cndmask_b32_e32 v21, 0xff800000, v21, vcc_lo
	v_cmp_gt_f32_e64 vcc_lo, 0x33800000, |v23|
	s_delay_alu instid0(VALU_DEP_2)
	v_cndmask_b32_e32 v21, v21, v23, vcc_lo
.LBB57_222:                             ;   in Loop: Header=BB57_5 Depth=1
	s_and_not1_saveexec_b32 s34, s34
	s_cbranch_execz .LBB57_224
; %bb.223:                              ;   in Loop: Header=BB57_5 Depth=1
	v_sub_f32_e64 v21, 1.0, |v1|
	s_delay_alu instid0(VALU_DEP_1) | instskip(NEXT) | instid1(VALU_DEP_1)
	v_mul_f32_e32 v21, v21, v11
	v_mul_f32_e32 v22, 0x4f800000, v21
	v_cmp_gt_f32_e32 vcc_lo, 0xf800000, v21
	s_delay_alu instid0(VALU_DEP_2) | instskip(NEXT) | instid1(VALU_DEP_1)
	v_cndmask_b32_e32 v21, v21, v22, vcc_lo
	v_sqrt_f32_e32 v22, v21
	s_waitcnt_depctr 0xfff
	v_add_nc_u32_e32 v23, -1, v22
	v_add_nc_u32_e32 v24, 1, v22
	s_delay_alu instid0(VALU_DEP_2) | instskip(NEXT) | instid1(VALU_DEP_2)
	v_fma_f32 v25, -v23, v22, v21
	v_fma_f32 v26, -v24, v22, v21
	s_delay_alu instid0(VALU_DEP_2) | instskip(NEXT) | instid1(VALU_DEP_1)
	v_cmp_ge_f32_e64 s2, 0, v25
	v_cndmask_b32_e64 v22, v22, v23, s2
	s_delay_alu instid0(VALU_DEP_3) | instskip(NEXT) | instid1(VALU_DEP_1)
	v_cmp_lt_f32_e64 s2, 0, v26
	v_cndmask_b32_e64 v22, v22, v24, s2
	s_delay_alu instid0(VALU_DEP_1) | instskip(NEXT) | instid1(VALU_DEP_1)
	v_mul_f32_e32 v23, 0x37800000, v22
	v_cndmask_b32_e32 v22, v22, v23, vcc_lo
	v_cmp_class_f32_e64 vcc_lo, v21, 0x260
	v_and_b32_e32 v23, 0x7fffffff, v2
	s_delay_alu instid0(VALU_DEP_3) | instskip(NEXT) | instid1(VALU_DEP_1)
	v_cndmask_b32_e32 v21, v22, v21, vcc_lo
	v_div_scale_f32 v22, null, v21, v21, v23
	v_div_scale_f32 v23, vcc_lo, v23, v21, v23
	s_delay_alu instid0(VALU_DEP_2) | instskip(SKIP_2) | instid1(VALU_DEP_1)
	v_rcp_f32_e32 v24, v22
	s_waitcnt_depctr 0xfff
	v_fma_f32 v25, -v22, v24, 1.0
	v_fmac_f32_e32 v24, v25, v24
	s_delay_alu instid0(VALU_DEP_1) | instskip(NEXT) | instid1(VALU_DEP_1)
	v_mul_f32_e32 v25, v23, v24
	v_fma_f32 v26, -v22, v25, v23
	s_delay_alu instid0(VALU_DEP_1) | instskip(NEXT) | instid1(VALU_DEP_1)
	v_fmac_f32_e32 v25, v26, v24
	v_fma_f32 v22, -v22, v25, v23
	s_delay_alu instid0(VALU_DEP_1) | instskip(NEXT) | instid1(VALU_DEP_1)
	v_div_fmas_f32 v22, v22, v24, v25
	v_div_fixup_f32 v21, v22, v21, |v2|
.LBB57_224:                             ;   in Loop: Header=BB57_5 Depth=1
	s_or_b32 exec_lo, exec_lo, s34
.LBB57_225:                             ;   in Loop: Header=BB57_5 Depth=1
	s_delay_alu instid0(SALU_CYCLE_1)
	s_or_b32 exec_lo, exec_lo, s33
.LBB57_226:                             ;   in Loop: Header=BB57_5 Depth=1
	s_and_not1_saveexec_b32 s31, s31
	s_cbranch_execz .LBB57_228
; %bb.227:                              ;   in Loop: Header=BB57_5 Depth=1
	v_mul_f32_e64 v21, 0x4f800000, |v2|
	v_cmp_gt_f32_e64 vcc_lo, 0xf800000, |v2|
	s_delay_alu instid0(VALU_DEP_1) | instskip(NEXT) | instid1(VALU_DEP_1)
	v_cndmask_b32_e64 v21, |v2|, v21, vcc_lo
	v_sqrt_f32_e32 v22, v21
	s_waitcnt_depctr 0xfff
	v_add_nc_u32_e32 v23, -1, v22
	v_add_nc_u32_e32 v24, 1, v22
	s_delay_alu instid0(VALU_DEP_2) | instskip(NEXT) | instid1(VALU_DEP_2)
	v_fma_f32 v25, -v23, v22, v21
	v_fma_f32 v26, -v24, v22, v21
	s_delay_alu instid0(VALU_DEP_2) | instskip(NEXT) | instid1(VALU_DEP_1)
	v_cmp_ge_f32_e64 s2, 0, v25
	v_cndmask_b32_e64 v22, v22, v23, s2
	s_delay_alu instid0(VALU_DEP_3) | instskip(NEXT) | instid1(VALU_DEP_1)
	v_cmp_lt_f32_e64 s2, 0, v26
	v_cndmask_b32_e64 v22, v22, v24, s2
	s_delay_alu instid0(VALU_DEP_1) | instskip(NEXT) | instid1(VALU_DEP_1)
	v_mul_f32_e32 v23, 0x37800000, v22
	v_cndmask_b32_e32 v22, v22, v23, vcc_lo
	v_cmp_class_f32_e64 vcc_lo, v21, 0x260
	s_delay_alu instid0(VALU_DEP_2)
	v_cndmask_b32_e32 v21, v22, v21, vcc_lo
.LBB57_228:                             ;   in Loop: Header=BB57_5 Depth=1
	s_or_b32 exec_lo, exec_lo, s31
.LBB57_229:                             ;   in Loop: Header=BB57_5 Depth=1
	s_delay_alu instid0(SALU_CYCLE_1) | instskip(NEXT) | instid1(SALU_CYCLE_1)
	s_or_b32 exec_lo, exec_lo, s3
	s_mov_b32 s31, exec_lo
                                        ; implicit-def: $sgpr2
                                        ; implicit-def: $vgpr22
                                        ; implicit-def: $vgpr24
                                        ; implicit-def: $vgpr23
	v_cmpx_ngt_f32_e64 0x21000000, |v1|
	s_xor_b32 s31, exec_lo, s31
	s_cbranch_execz .LBB57_253
; %bb.230:                              ;   in Loop: Header=BB57_5 Depth=1
	v_and_b32_e32 v23, 0x7fffffff, v1
	s_mov_b32 s2, 0
	s_mov_b32 s33, exec_lo
	s_delay_alu instid0(VALU_DEP_1) | instskip(NEXT) | instid1(VALU_DEP_1)
	v_div_scale_f32 v22, null, v9, v9, v23
	v_rcp_f32_e32 v24, v22
	s_waitcnt_depctr 0xfff
	v_fma_f32 v25, -v22, v24, 1.0
	s_delay_alu instid0(VALU_DEP_1) | instskip(SKIP_1) | instid1(VALU_DEP_1)
	v_fmac_f32_e32 v24, v25, v24
	v_div_scale_f32 v25, vcc_lo, v23, v9, v23
	v_mul_f32_e32 v26, v25, v24
	s_delay_alu instid0(VALU_DEP_1) | instskip(NEXT) | instid1(VALU_DEP_1)
	v_fma_f32 v27, -v22, v26, v25
	v_fmac_f32_e32 v26, v27, v24
	s_delay_alu instid0(VALU_DEP_1) | instskip(NEXT) | instid1(VALU_DEP_1)
	v_fma_f32 v22, -v22, v26, v25
	v_div_fmas_f32 v22, v22, v24, v26
                                        ; implicit-def: $vgpr24
	s_delay_alu instid0(VALU_DEP_1) | instskip(NEXT) | instid1(VALU_DEP_1)
	v_div_fixup_f32 v22, v22, v9, |v1|
	v_cmpx_lt_f32_e32 0x3f244674, v22
	s_cbranch_execz .LBB57_252
; %bb.231:                              ;   in Loop: Header=BB57_5 Depth=1
	v_cmp_neq_f32_e64 s2, |v1|, 1.0
	v_cmp_ngt_f32_e64 s3, 0x30800000, |v2|
                                        ; implicit-def: $sgpr34
                                        ; implicit-def: $vgpr24
	s_delay_alu instid0(VALU_DEP_1) | instskip(NEXT) | instid1(SALU_CYCLE_1)
	s_or_b32 s2, s2, s3
	s_and_saveexec_b32 s3, s2
	s_delay_alu instid0(SALU_CYCLE_1)
	s_xor_b32 s3, exec_lo, s3
	s_cbranch_execz .LBB57_249
; %bb.232:                              ;   in Loop: Header=BB57_5 Depth=1
	v_mul_f32_e64 v24, 0x34000000, |v10|
                                        ; implicit-def: $sgpr34
	s_delay_alu instid0(VALU_DEP_1) | instskip(NEXT) | instid1(VALU_DEP_1)
	v_cmp_le_f32_e64 s2, v24, |v2|
                                        ; implicit-def: $vgpr24
	s_and_saveexec_b32 s35, s2
	s_delay_alu instid0(SALU_CYCLE_1)
	s_xor_b32 s35, exec_lo, s35
	s_cbranch_execz .LBB57_242
; %bb.233:                              ;   in Loop: Header=BB57_5 Depth=1
	v_mov_b32_e32 v24, v19
	s_mov_b32 s2, exec_lo
	v_cmpx_neq_f32_e32 0, v11
	s_cbranch_execz .LBB57_235
; %bb.234:                              ;   in Loop: Header=BB57_5 Depth=1
	v_dual_mul_f32 v24, v2, v2 :: v_dual_add_f32 v11, v11, v20
	s_delay_alu instid0(VALU_DEP_1) | instskip(NEXT) | instid1(VALU_DEP_1)
	v_div_scale_f32 v20, null, v11, v11, v24
	v_rcp_f32_e32 v25, v20
	s_waitcnt_depctr 0xfff
	v_fma_f32 v26, -v20, v25, 1.0
	s_delay_alu instid0(VALU_DEP_1) | instskip(SKIP_1) | instid1(VALU_DEP_1)
	v_fmac_f32_e32 v25, v26, v25
	v_div_scale_f32 v26, vcc_lo, v24, v11, v24
	v_mul_f32_e32 v27, v26, v25
	s_delay_alu instid0(VALU_DEP_1) | instskip(NEXT) | instid1(VALU_DEP_1)
	v_fma_f32 v28, -v20, v27, v26
	v_fmac_f32_e32 v27, v28, v25
	s_delay_alu instid0(VALU_DEP_1) | instskip(NEXT) | instid1(VALU_DEP_1)
	v_fma_f32 v20, -v20, v27, v26
	v_div_fmas_f32 v20, v20, v25, v27
	s_delay_alu instid0(VALU_DEP_1)
	v_div_fixup_f32 v24, v20, v11, v24
.LBB57_235:                             ;   in Loop: Header=BB57_5 Depth=1
	s_or_b32 exec_lo, exec_lo, s2
	s_delay_alu instid0(SALU_CYCLE_1)
	s_mov_b32 s2, exec_lo
	v_cmpx_ngt_f32_e32 0, v10
	s_xor_b32 s2, exec_lo, s2
	s_cbranch_execz .LBB57_239
; %bb.236:                              ;   in Loop: Header=BB57_5 Depth=1
	s_mov_b32 s34, exec_lo
	v_cmpx_neq_f32_e32 0, v10
	s_cbranch_execz .LBB57_238
; %bb.237:                              ;   in Loop: Header=BB57_5 Depth=1
	v_mul_f32_e32 v11, v2, v2
	v_add_f32_e32 v10, v10, v12
	s_delay_alu instid0(VALU_DEP_1) | instskip(NEXT) | instid1(VALU_DEP_1)
	v_div_scale_f32 v12, null, v10, v10, v11
	v_rcp_f32_e32 v19, v12
	s_waitcnt_depctr 0xfff
	v_fma_f32 v20, -v12, v19, 1.0
	s_delay_alu instid0(VALU_DEP_1) | instskip(SKIP_1) | instid1(VALU_DEP_1)
	v_fmac_f32_e32 v19, v20, v19
	v_div_scale_f32 v20, vcc_lo, v11, v10, v11
	v_mul_f32_e32 v25, v20, v19
	s_delay_alu instid0(VALU_DEP_1) | instskip(NEXT) | instid1(VALU_DEP_1)
	v_fma_f32 v26, -v12, v25, v20
	v_fmac_f32_e32 v25, v26, v19
	s_delay_alu instid0(VALU_DEP_1) | instskip(NEXT) | instid1(VALU_DEP_1)
	v_fma_f32 v12, -v12, v25, v20
	v_div_fmas_f32 v12, v12, v19, v25
	s_delay_alu instid0(VALU_DEP_1)
	v_div_fixup_f32 v19, v12, v10, v11
.LBB57_238:                             ;   in Loop: Header=BB57_5 Depth=1
	s_or_b32 exec_lo, exec_lo, s34
                                        ; implicit-def: $vgpr12
                                        ; implicit-def: $vgpr10
.LBB57_239:                             ;   in Loop: Header=BB57_5 Depth=1
	s_and_not1_saveexec_b32 s2, s2
; %bb.240:                              ;   in Loop: Header=BB57_5 Depth=1
	v_sub_f32_e32 v19, v12, v10
; %bb.241:                              ;   in Loop: Header=BB57_5 Depth=1
	s_or_b32 exec_lo, exec_lo, s2
	s_delay_alu instid0(VALU_DEP_1) | instskip(SKIP_2) | instid1(VALU_DEP_2)
	v_mul_f32_e32 v10, 0.5, v19
	v_add_f32_e64 v9, |v1|, v9
	s_mov_b32 s34, -1
	v_fmac_f32_e32 v10, 0.5, v24
	s_delay_alu instid0(VALU_DEP_1) | instskip(NEXT) | instid1(VALU_DEP_1)
	v_mul_f32_e32 v9, v9, v10
	v_mul_f32_e32 v10, 0x4f800000, v9
	v_cmp_gt_f32_e32 vcc_lo, 0xf800000, v9
	s_delay_alu instid0(VALU_DEP_2) | instskip(NEXT) | instid1(VALU_DEP_1)
	v_cndmask_b32_e32 v9, v9, v10, vcc_lo
	v_sqrt_f32_e32 v10, v9
	s_waitcnt_depctr 0xfff
	v_add_nc_u32_e32 v11, -1, v10
	v_add_nc_u32_e32 v12, 1, v10
	s_delay_alu instid0(VALU_DEP_2) | instskip(NEXT) | instid1(VALU_DEP_2)
	v_fma_f32 v19, -v11, v10, v9
	v_fma_f32 v20, -v12, v10, v9
	s_delay_alu instid0(VALU_DEP_2) | instskip(NEXT) | instid1(VALU_DEP_1)
	v_cmp_ge_f32_e64 s2, 0, v19
	v_cndmask_b32_e64 v10, v10, v11, s2
	s_delay_alu instid0(VALU_DEP_3) | instskip(NEXT) | instid1(VALU_DEP_1)
	v_cmp_lt_f32_e64 s2, 0, v20
	v_cndmask_b32_e64 v10, v10, v12, s2
	s_delay_alu instid0(VALU_DEP_1) | instskip(NEXT) | instid1(VALU_DEP_1)
	v_mul_f32_e32 v11, 0x37800000, v10
	v_cndmask_b32_e32 v10, v10, v11, vcc_lo
	v_cmp_class_f32_e64 vcc_lo, v9, 0x260
                                        ; implicit-def: $vgpr11
	s_delay_alu instid0(VALU_DEP_2)
	v_cndmask_b32_e32 v24, v10, v9, vcc_lo
                                        ; implicit-def: $vgpr10
.LBB57_242:                             ;   in Loop: Header=BB57_5 Depth=1
	s_and_not1_saveexec_b32 s35, s35
	s_cbranch_execz .LBB57_248
; %bb.243:                              ;   in Loop: Header=BB57_5 Depth=1
	s_mov_b32 s37, exec_lo
                                        ; implicit-def: $vgpr24
                                        ; implicit-def: $sgpr36
	v_cmpx_ngt_f32_e64 |v1|, 1.0
	s_xor_b32 s37, exec_lo, s37
	s_cbranch_execz .LBB57_245
; %bb.244:                              ;   in Loop: Header=BB57_5 Depth=1
	v_sub_f32_e64 v9, 1.0, |v1|
	s_mov_b32 s36, -1
	s_delay_alu instid0(VALU_DEP_1) | instskip(NEXT) | instid1(VALU_DEP_1)
	v_mul_f32_e32 v9, v9, v11
	v_mul_f32_e32 v10, 0x4f800000, v9
	v_cmp_gt_f32_e32 vcc_lo, 0xf800000, v9
	s_delay_alu instid0(VALU_DEP_2) | instskip(NEXT) | instid1(VALU_DEP_1)
	v_cndmask_b32_e32 v9, v9, v10, vcc_lo
	v_sqrt_f32_e32 v10, v9
	s_waitcnt_depctr 0xfff
	v_add_nc_u32_e32 v11, -1, v10
	v_add_nc_u32_e32 v12, 1, v10
	s_delay_alu instid0(VALU_DEP_2) | instskip(NEXT) | instid1(VALU_DEP_2)
	v_fma_f32 v19, -v11, v10, v9
	v_fma_f32 v20, -v12, v10, v9
	s_delay_alu instid0(VALU_DEP_2) | instskip(NEXT) | instid1(VALU_DEP_1)
	v_cmp_ge_f32_e64 s2, 0, v19
	v_cndmask_b32_e64 v10, v10, v11, s2
	s_delay_alu instid0(VALU_DEP_3) | instskip(NEXT) | instid1(VALU_DEP_1)
	v_cmp_lt_f32_e64 s2, 0, v20
	v_cndmask_b32_e64 v10, v10, v12, s2
	s_delay_alu instid0(VALU_DEP_1) | instskip(NEXT) | instid1(VALU_DEP_1)
	v_mul_f32_e32 v11, 0x37800000, v10
	v_cndmask_b32_e32 v10, v10, v11, vcc_lo
	v_cmp_class_f32_e64 vcc_lo, v9, 0x260
                                        ; implicit-def: $vgpr11
	s_delay_alu instid0(VALU_DEP_2)
	v_cndmask_b32_e32 v24, v10, v9, vcc_lo
                                        ; implicit-def: $vgpr10
.LBB57_245:                             ;   in Loop: Header=BB57_5 Depth=1
	s_and_not1_saveexec_b32 s37, s37
	s_cbranch_execz .LBB57_247
; %bb.246:                              ;   in Loop: Header=BB57_5 Depth=1
	v_mul_f32_e32 v9, v11, v10
	s_or_b32 s36, s36, exec_lo
	s_delay_alu instid0(VALU_DEP_1) | instskip(SKIP_1) | instid1(VALU_DEP_2)
	v_mul_f32_e32 v10, 0x4f800000, v9
	v_cmp_gt_f32_e32 vcc_lo, 0xf800000, v9
	v_cndmask_b32_e32 v9, v9, v10, vcc_lo
	s_delay_alu instid0(VALU_DEP_1) | instskip(SKIP_3) | instid1(VALU_DEP_2)
	v_sqrt_f32_e32 v10, v9
	s_waitcnt_depctr 0xfff
	v_add_nc_u32_e32 v11, -1, v10
	v_add_nc_u32_e32 v12, 1, v10
	v_fma_f32 v19, -v11, v10, v9
	s_delay_alu instid0(VALU_DEP_2) | instskip(NEXT) | instid1(VALU_DEP_2)
	v_fma_f32 v20, -v12, v10, v9
	v_cmp_ge_f32_e64 s2, 0, v19
	s_delay_alu instid0(VALU_DEP_1) | instskip(NEXT) | instid1(VALU_DEP_3)
	v_cndmask_b32_e64 v10, v10, v11, s2
	v_cmp_lt_f32_e64 s2, 0, v20
	s_delay_alu instid0(VALU_DEP_1) | instskip(SKIP_1) | instid1(VALU_DEP_2)
	v_cndmask_b32_e64 v10, v10, v12, s2
	v_mul_f32_e64 v12, 0x57800000, |v2|
	v_mul_f32_e32 v11, 0x37800000, v10
	s_delay_alu instid0(VALU_DEP_1) | instskip(SKIP_1) | instid1(VALU_DEP_4)
	v_cndmask_b32_e32 v10, v10, v11, vcc_lo
	v_cmp_class_f32_e64 vcc_lo, v9, 0x260
	v_mul_f32_e64 v11, |v1|, v12
	s_delay_alu instid0(VALU_DEP_3) | instskip(NEXT) | instid1(VALU_DEP_1)
	v_cndmask_b32_e32 v9, v10, v9, vcc_lo
	v_div_scale_f32 v10, null, v9, v9, v11
	v_div_scale_f32 v20, vcc_lo, v11, v9, v11
	s_delay_alu instid0(VALU_DEP_2) | instskip(SKIP_2) | instid1(VALU_DEP_1)
	v_rcp_f32_e32 v12, v10
	s_waitcnt_depctr 0xfff
	v_fma_f32 v19, -v10, v12, 1.0
	v_fmac_f32_e32 v12, v19, v12
	s_delay_alu instid0(VALU_DEP_1) | instskip(NEXT) | instid1(VALU_DEP_1)
	v_mul_f32_e32 v19, v20, v12
	v_fma_f32 v23, -v10, v19, v20
	s_delay_alu instid0(VALU_DEP_1) | instskip(SKIP_1) | instid1(VALU_DEP_2)
	v_fmac_f32_e32 v19, v23, v12
	v_mul_f32_e64 v23, 0x57800000, |v1|
	v_fma_f32 v10, -v10, v19, v20
	s_delay_alu instid0(VALU_DEP_1) | instskip(NEXT) | instid1(VALU_DEP_1)
	v_div_fmas_f32 v10, v10, v12, v19
	v_div_fixup_f32 v24, v10, v9, v11
.LBB57_247:                             ;   in Loop: Header=BB57_5 Depth=1
	s_or_b32 exec_lo, exec_lo, s37
	s_delay_alu instid0(SALU_CYCLE_1) | instskip(SKIP_1) | instid1(SALU_CYCLE_1)
	s_and_not1_b32 s2, s34, exec_lo
	s_and_b32 s34, s36, exec_lo
	s_or_b32 s34, s2, s34
.LBB57_248:                             ;   in Loop: Header=BB57_5 Depth=1
	s_or_b32 exec_lo, exec_lo, s35
	s_delay_alu instid0(SALU_CYCLE_1)
	s_and_b32 s34, s34, exec_lo
                                        ; implicit-def: $vgpr9
.LBB57_249:                             ;   in Loop: Header=BB57_5 Depth=1
	s_and_not1_saveexec_b32 s35, s3
	s_cbranch_execz .LBB57_251
; %bb.250:                              ;   in Loop: Header=BB57_5 Depth=1
	v_add_f32_e32 v9, 1.0, v9
	v_mul_f32_e64 v10, 0x4f800000, |v2|
	v_cmp_gt_f32_e64 vcc_lo, 0xf800000, |v2|
	s_or_b32 s34, s34, exec_lo
	s_delay_alu instid0(VALU_DEP_3) | instskip(NEXT) | instid1(VALU_DEP_2)
	v_mul_f32_e32 v9, 0.5, v9
	v_cndmask_b32_e64 v10, |v2|, v10, vcc_lo
	s_delay_alu instid0(VALU_DEP_2) | instskip(SKIP_1) | instid1(VALU_DEP_1)
	v_mul_f32_e32 v11, 0x4f800000, v9
	v_cmp_gt_f32_e64 s2, 0xf800000, v9
	v_cndmask_b32_e64 v9, v9, v11, s2
	s_delay_alu instid0(VALU_DEP_4) | instskip(NEXT) | instid1(VALU_DEP_1)
	v_sqrt_f32_e32 v11, v10
	v_sqrt_f32_e32 v12, v9
	s_waitcnt_depctr 0xfff
	v_add_nc_u32_e32 v19, -1, v11
	v_add_nc_u32_e32 v23, 1, v11
	v_add_nc_u32_e32 v20, -1, v12
	s_delay_alu instid0(VALU_DEP_3) | instskip(SKIP_1) | instid1(VALU_DEP_4)
	v_fma_f32 v24, -v19, v11, v10
	v_add_nc_u32_e32 v25, 1, v12
	v_fma_f32 v27, -v23, v11, v10
	s_delay_alu instid0(VALU_DEP_4) | instskip(NEXT) | instid1(VALU_DEP_4)
	v_fma_f32 v26, -v20, v12, v9
	v_cmp_ge_f32_e64 s3, 0, v24
	s_delay_alu instid0(VALU_DEP_1) | instskip(NEXT) | instid1(VALU_DEP_3)
	v_cndmask_b32_e64 v11, v11, v19, s3
	v_cmp_ge_f32_e64 s3, 0, v26
	v_fma_f32 v19, -v25, v12, v9
	s_delay_alu instid0(VALU_DEP_2) | instskip(SKIP_1) | instid1(VALU_DEP_1)
	v_cndmask_b32_e64 v12, v12, v20, s3
	v_cmp_lt_f32_e64 s3, 0, v27
	v_cndmask_b32_e64 v11, v11, v23, s3
	s_delay_alu instid0(VALU_DEP_4) | instskip(SKIP_1) | instid1(VALU_DEP_3)
	v_cmp_lt_f32_e64 s3, 0, v19
	v_mov_b32_e32 v23, 1.0
	v_mul_f32_e32 v19, 0x37800000, v11
	s_delay_alu instid0(VALU_DEP_3) | instskip(NEXT) | instid1(VALU_DEP_1)
	v_cndmask_b32_e64 v12, v12, v25, s3
	v_dual_cndmask_b32 v11, v11, v19 :: v_dual_mul_f32 v20, 0x37800000, v12
	v_cmp_class_f32_e64 vcc_lo, v10, 0x260
	s_delay_alu instid0(VALU_DEP_2) | instskip(NEXT) | instid1(VALU_DEP_3)
	v_cndmask_b32_e64 v12, v12, v20, s2
	v_cndmask_b32_e32 v10, v11, v10, vcc_lo
	v_cmp_class_f32_e64 vcc_lo, v9, 0x260
	s_delay_alu instid0(VALU_DEP_3) | instskip(NEXT) | instid1(VALU_DEP_1)
	v_cndmask_b32_e32 v9, v12, v9, vcc_lo
	v_mul_f32_e32 v24, v10, v9
.LBB57_251:                             ;   in Loop: Header=BB57_5 Depth=1
	s_or_b32 exec_lo, exec_lo, s35
	s_delay_alu instid0(SALU_CYCLE_1)
	s_and_b32 s2, s34, exec_lo
.LBB57_252:                             ;   in Loop: Header=BB57_5 Depth=1
	s_or_b32 exec_lo, exec_lo, s33
	s_delay_alu instid0(SALU_CYCLE_1)
	s_and_b32 s2, s2, exec_lo
                                        ; implicit-def: $vgpr9
.LBB57_253:                             ;   in Loop: Header=BB57_5 Depth=1
	s_and_not1_saveexec_b32 s3, s31
; %bb.254:                              ;   in Loop: Header=BB57_5 Depth=1
	v_mul_f32_e32 v24, 0x4b800000, v9
	v_mul_f32_e64 v23, 0x4b800000, |v1|
	s_or_b32 s2, s2, exec_lo
                                        ; implicit-def: $vgpr22
; %bb.255:                              ;   in Loop: Header=BB57_5 Depth=1
	s_or_b32 exec_lo, exec_lo, s3
	s_xor_b32 s2, s2, -1
                                        ; implicit-def: $vgpr9
	s_delay_alu instid0(SALU_CYCLE_1) | instskip(NEXT) | instid1(SALU_CYCLE_1)
	s_and_saveexec_b32 s3, s2
	s_xor_b32 s2, exec_lo, s3
	s_cbranch_execz .LBB57_257
; %bb.256:                              ;   in Loop: Header=BB57_5 Depth=1
	v_fma_f32 v9, |v22|, -0.5, 0.5
	v_mul_f32_e32 v10, v22, v22
	v_cmp_ge_f32_e64 vcc_lo, |v22|, 0.5
                                        ; implicit-def: $vgpr23
                                        ; implicit-def: $vgpr24
	s_delay_alu instid0(VALU_DEP_2) | instskip(SKIP_1) | instid1(VALU_DEP_2)
	v_cndmask_b32_e32 v9, v10, v9, vcc_lo
	v_cmp_lt_f32_e64 vcc_lo, |v22|, 0.5
	v_fmaak_f32 v10, s25, v9, 0x3c5fc5da
	v_sqrt_f32_e32 v11, v9
	s_delay_alu instid0(VALU_DEP_1) | instskip(NEXT) | instid1(VALU_DEP_1)
	v_fmaak_f32 v10, v9, v10, 0x3d034c3c
	v_fmaak_f32 v10, v9, v10, 0x3d3641b1
	s_delay_alu instid0(VALU_DEP_1) | instskip(NEXT) | instid1(VALU_DEP_1)
	v_fmaak_f32 v10, v9, v10, 0x3d999bc8
	v_fmaak_f32 v10, v9, v10, 0x3e2aaaac
	s_delay_alu instid0(VALU_DEP_1) | instskip(SKIP_3) | instid1(VALU_DEP_2)
	v_mul_f32_e32 v9, v9, v10
	s_waitcnt_depctr 0xfff
	v_fmac_f32_e32 v11, v11, v9
	v_fma_f32 v9, |v22|, v9, |v22|
	v_add_f32_e32 v10, v11, v11
	s_delay_alu instid0(VALU_DEP_1) | instskip(NEXT) | instid1(VALU_DEP_1)
	v_sub_f32_e32 v10, 0x3fc90fdb, v10
	v_cndmask_b32_e32 v9, v10, v9, vcc_lo
	s_delay_alu instid0(VALU_DEP_1)
	v_bfi_b32 v9, 0x7fffffff, v9, v22
.LBB57_257:                             ;   in Loop: Header=BB57_5 Depth=1
	s_and_not1_saveexec_b32 s31, s2
	s_cbranch_execz .LBB57_259
; %bb.258:                              ;   in Loop: Header=BB57_5 Depth=1
	v_max_f32_e32 v9, v23, v23
	v_max_f32_e64 v10, |v24|, |v24|
	v_cmp_gt_f32_e64 vcc_lo, v23, |v24|
	v_cmp_eq_f32_e64 s3, 0, v23
	v_cmp_class_f32_e64 s33, v24, 0x204
	v_cmp_eq_f32_e64 s2, 0x7f800000, v23
	v_max_f32_e32 v11, v10, v9
	v_min_f32_e32 v9, v10, v9
	s_delay_alu instid0(VALU_DEP_2) | instskip(SKIP_1) | instid1(VALU_DEP_2)
	v_frexp_mant_f32_e32 v12, v11
	v_frexp_exp_i32_f32_e32 v11, v11
	v_rcp_f32_e32 v10, v12
	s_delay_alu instid0(VALU_DEP_3) | instskip(SKIP_1) | instid1(VALU_DEP_2)
	v_frexp_exp_i32_f32_e32 v12, v9
	v_frexp_mant_f32_e32 v9, v9
	v_sub_nc_u32_e32 v11, v12, v11
	s_waitcnt_depctr 0xfff
	v_mul_f32_e32 v9, v9, v10
	s_delay_alu instid0(VALU_DEP_1) | instskip(NEXT) | instid1(VALU_DEP_1)
	v_ldexp_f32 v9, v9, v11
	v_mul_f32_e32 v10, v9, v9
	s_delay_alu instid0(VALU_DEP_1) | instskip(NEXT) | instid1(VALU_DEP_1)
	v_fmaak_f32 v11, s26, v10, 0xbc7a590c
	v_fmaak_f32 v11, v10, v11, 0x3d29fb3f
	s_delay_alu instid0(VALU_DEP_1) | instskip(NEXT) | instid1(VALU_DEP_1)
	v_fmaak_f32 v11, v10, v11, 0xbd97d4d7
	v_fmaak_f32 v11, v10, v11, 0x3dd931b2
	;; [unrolled: 3-line block ×3, first 2 shown]
	s_delay_alu instid0(VALU_DEP_1) | instskip(NEXT) | instid1(VALU_DEP_1)
	v_fmaak_f32 v11, v10, v11, 0xbeaaaa62
	v_mul_f32_e32 v10, v10, v11
	s_delay_alu instid0(VALU_DEP_1) | instskip(NEXT) | instid1(VALU_DEP_1)
	v_fmac_f32_e32 v9, v9, v10
	v_sub_f32_e32 v10, 0x3fc90fdb, v9
	s_delay_alu instid0(VALU_DEP_1) | instskip(SKIP_1) | instid1(VALU_DEP_2)
	v_cndmask_b32_e32 v9, v9, v10, vcc_lo
	v_cmp_gt_i32_e32 vcc_lo, 0, v24
	v_sub_f32_e32 v10, 0x40490fdb, v9
	v_cndmask_b32_e64 v11, 0, 0x40490fdb, vcc_lo
	v_cmp_gt_f32_e32 vcc_lo, 0, v24
	s_delay_alu instid0(VALU_DEP_3) | instskip(SKIP_2) | instid1(VALU_DEP_2)
	v_cndmask_b32_e32 v9, v9, v10, vcc_lo
	v_cndmask_b32_e32 v10, 0x3f490fdb, v18, vcc_lo
	s_and_b32 vcc_lo, s2, s33
	v_cndmask_b32_e64 v9, v9, v11, s3
	s_delay_alu instid0(VALU_DEP_1) | instskip(SKIP_1) | instid1(VALU_DEP_2)
	v_cndmask_b32_e32 v9, v9, v10, vcc_lo
	v_cmp_o_f32_e32 vcc_lo, v24, v23
	v_cndmask_b32_e64 v9, 0x7fc00000, |v9|, vcc_lo
.LBB57_259:                             ;   in Loop: Header=BB57_5 Depth=1
	s_or_b32 exec_lo, exec_lo, s31
	v_bfi_b32 v10, 0x7fffffff, v21, v2
	s_delay_alu instid0(VALU_DEP_2)
	v_bfi_b32 v9, 0x7fffffff, v9, v1
.LBB57_260:                             ;   in Loop: Header=BB57_5 Depth=1
	s_or_b32 exec_lo, exec_lo, s30
.LBB57_261:                             ;   in Loop: Header=BB57_5 Depth=1
	s_delay_alu instid0(SALU_CYCLE_1)
	s_or_b32 exec_lo, exec_lo, s29
                                        ; implicit-def: $vgpr12
                                        ; implicit-def: $vgpr19
                                        ; implicit-def: $vgpr11
.LBB57_262:                             ;   in Loop: Header=BB57_5 Depth=1
	s_and_not1_saveexec_b32 s28, s28
	s_cbranch_execz .LBB57_284
; %bb.263:                              ;   in Loop: Header=BB57_5 Depth=1
                                        ; implicit-def: $vgpr9
                                        ; implicit-def: $vgpr10
	s_mov_b32 s2, exec_lo
	v_cmpx_lt_i32_e32 -1, v2
	s_xor_b32 s29, exec_lo, s2
	s_cbranch_execz .LBB57_273
; %bb.264:                              ;   in Loop: Header=BB57_5 Depth=1
	v_cmp_lt_f32_e64 s2, |v2|, |v1|
                                        ; implicit-def: $vgpr9
                                        ; implicit-def: $vgpr10
	s_mov_b32 s3, exec_lo
	s_delay_alu instid0(VALU_DEP_1) | instskip(NEXT) | instid1(VALU_DEP_1)
	v_cndmask_b32_e64 v20, |v2|, |v1|, s2
	v_cmpx_nlt_f32_e32 0x7effffff, v20
	s_xor_b32 s30, exec_lo, s3
	s_cbranch_execz .LBB57_270
; %bb.265:                              ;   in Loop: Header=BB57_5 Depth=1
	v_cndmask_b32_e64 v21, |v1|, |v2|, s2
	v_cmp_nlt_f32_e32 vcc_lo, 0x5e000000, v20
                                        ; implicit-def: $vgpr9
                                        ; implicit-def: $vgpr10
	s_delay_alu instid0(VALU_DEP_2) | instskip(NEXT) | instid1(VALU_DEP_1)
	v_cmp_ngt_f32_e64 s3, 0x20000000, v21
	s_and_b32 s3, vcc_lo, s3
	s_delay_alu instid0(SALU_CYCLE_1) | instskip(NEXT) | instid1(SALU_CYCLE_1)
	s_and_saveexec_b32 s31, s3
	s_xor_b32 s31, exec_lo, s31
	s_cbranch_execz .LBB57_267
; %bb.266:                              ;   in Loop: Header=BB57_5 Depth=1
	v_frexp_mant_f32_e32 v9, v11
	v_frexp_exp_i32_f32_e32 v11, v11
	s_delay_alu instid0(VALU_DEP_2) | instskip(SKIP_1) | instid1(VALU_DEP_1)
	v_rcp_f32_e32 v9, v9
	v_min_f32_e32 v10, v12, v19
	v_frexp_mant_f32_e32 v19, v10
	s_waitcnt_depctr 0xfff
	v_mul_f32_e32 v9, v19, v9
	v_frexp_exp_i32_f32_e32 v10, v10
	s_delay_alu instid0(VALU_DEP_1) | instskip(NEXT) | instid1(VALU_DEP_1)
	v_sub_nc_u32_e32 v10, v10, v11
	v_ldexp_f32 v10, v9, v10
	v_mul_f32_e32 v12, v21, v21
	s_delay_alu instid0(VALU_DEP_1) | instskip(NEXT) | instid1(VALU_DEP_1)
	v_fmac_f32_e32 v12, v20, v20
	v_cmp_gt_f32_e32 vcc_lo, 0x800000, v12
	v_cndmask_b32_e64 v11, 1.0, 0x4f800000, vcc_lo
	s_delay_alu instid0(VALU_DEP_1) | instskip(SKIP_1) | instid1(VALU_DEP_1)
	v_mul_f32_e32 v9, v12, v11
	v_mul_f32_e32 v11, v10, v10
	v_fmaak_f32 v12, s26, v11, 0xbc7a590c
	s_delay_alu instid0(VALU_DEP_1) | instskip(NEXT) | instid1(VALU_DEP_4)
	v_fmaak_f32 v12, v11, v12, 0x3d29fb3f
	v_log_f32_e32 v9, v9
	s_waitcnt_depctr 0xfff
	v_mul_f32_e32 v19, 0x3f317217, v9
	v_cmp_gt_f32_e64 s3, 0x7f800000, |v9|
	s_delay_alu instid0(VALU_DEP_2) | instskip(NEXT) | instid1(VALU_DEP_1)
	v_fma_f32 v20, 0x3f317217, v9, -v19
	v_fmac_f32_e32 v20, 0x3377d1cf, v9
	s_delay_alu instid0(VALU_DEP_1) | instskip(NEXT) | instid1(VALU_DEP_1)
	v_add_f32_e32 v19, v19, v20
	v_cndmask_b32_e64 v9, v9, v19, s3
	v_cndmask_b32_e64 v19, 0, 0x41b17218, vcc_lo
	s_delay_alu instid0(VALU_DEP_1) | instskip(NEXT) | instid1(VALU_DEP_1)
	v_dual_fmaak_f32 v12, v11, v12, 0xbd97d4d7 :: v_dual_sub_f32 v9, v9, v19
	v_fmaak_f32 v12, v11, v12, 0x3dd931b2
                                        ; implicit-def: $vgpr19
	s_delay_alu instid0(VALU_DEP_1) | instskip(NEXT) | instid1(VALU_DEP_1)
	v_dual_mul_f32 v9, 0.5, v9 :: v_dual_fmaak_f32 v12, v11, v12, 0xbe1160e6
	v_fmaak_f32 v12, v11, v12, 0x3e4cb8bf
	s_delay_alu instid0(VALU_DEP_1) | instskip(NEXT) | instid1(VALU_DEP_1)
	v_fmaak_f32 v12, v11, v12, 0xbeaaaa62
	v_mul_f32_e32 v11, v11, v12
                                        ; implicit-def: $vgpr12
	s_delay_alu instid0(VALU_DEP_1)
	v_fmac_f32_e32 v10, v10, v11
                                        ; implicit-def: $vgpr11
.LBB57_267:                             ;   in Loop: Header=BB57_5 Depth=1
	s_and_not1_saveexec_b32 s3, s31
	s_cbranch_execz .LBB57_269
; %bb.268:                              ;   in Loop: Header=BB57_5 Depth=1
	v_cvt_f64_f32_e32 v[9:10], v11
	v_cmp_neq_f32_e32 vcc_lo, 0x7f800000, v11
	v_min_f32_e32 v12, v12, v19
	v_frexp_exp_i32_f32_e32 v19, v11
	s_delay_alu instid0(VALU_DEP_2) | instskip(SKIP_1) | instid1(VALU_DEP_2)
	v_frexp_exp_i32_f32_e32 v21, v12
	v_frexp_mant_f32_e32 v12, v12
	v_sub_nc_u32_e32 v19, v21, v19
	v_frexp_exp_i32_f64_e32 v9, v[9:10]
	s_delay_alu instid0(VALU_DEP_1) | instskip(NEXT) | instid1(VALU_DEP_1)
	v_sub_nc_u32_e32 v10, 0, v9
	v_ldexp_f32 v20, |v1|, v10
	v_ldexp_f32 v10, |v2|, v10
	s_delay_alu instid0(VALU_DEP_2) | instskip(NEXT) | instid1(VALU_DEP_1)
	v_mul_f32_e32 v20, v20, v20
	v_fmac_f32_e32 v20, v10, v10
	v_frexp_mant_f32_e32 v10, v11
	s_delay_alu instid0(VALU_DEP_2) | instskip(NEXT) | instid1(VALU_DEP_1)
	v_sqrt_f32_e32 v20, v20
	v_rcp_f32_e32 v10, v10
	s_waitcnt_depctr 0xfff
	v_ldexp_f32 v9, v20, v9
	s_delay_alu instid0(VALU_DEP_1) | instskip(NEXT) | instid1(VALU_DEP_1)
	v_dual_mul_f32 v10, v12, v10 :: v_dual_cndmask_b32 v9, 0x7f800000, v9
	v_ldexp_f32 v10, v10, v19
	s_delay_alu instid0(VALU_DEP_2) | instskip(SKIP_1) | instid1(VALU_DEP_1)
	v_cmp_gt_f32_e32 vcc_lo, 0x800000, v9
	v_cndmask_b32_e64 v11, 1.0, 0x4f800000, vcc_lo
	v_mul_f32_e32 v9, v9, v11
	s_delay_alu instid0(VALU_DEP_1) | instskip(SKIP_2) | instid1(VALU_DEP_1)
	v_log_f32_e32 v9, v9
	s_waitcnt_depctr 0xfff
	v_mul_f32_e32 v19, 0x3f317217, v9
	v_fma_f32 v20, 0x3f317217, v9, -v19
	s_delay_alu instid0(VALU_DEP_1) | instskip(NEXT) | instid1(VALU_DEP_1)
	v_fmac_f32_e32 v20, 0x3377d1cf, v9
	v_dual_mul_f32 v12, v10, v10 :: v_dual_add_f32 v19, v19, v20
	s_delay_alu instid0(VALU_DEP_1) | instskip(SKIP_2) | instid1(VALU_DEP_3)
	v_fmaak_f32 v11, s26, v12, 0xbc7a590c
	v_cndmask_b32_e64 v20, 0, 0x41b17218, vcc_lo
	v_cmp_gt_f32_e64 vcc_lo, 0x7f800000, |v9|
	v_fmaak_f32 v11, v12, v11, 0x3d29fb3f
	v_cndmask_b32_e32 v9, v9, v19, vcc_lo
	s_delay_alu instid0(VALU_DEP_2) | instskip(NEXT) | instid1(VALU_DEP_1)
	v_fmaak_f32 v11, v12, v11, 0xbd97d4d7
	v_fmaak_f32 v11, v12, v11, 0x3dd931b2
	s_delay_alu instid0(VALU_DEP_1) | instskip(NEXT) | instid1(VALU_DEP_1)
	v_fmaak_f32 v11, v12, v11, 0xbe1160e6
	v_fmaak_f32 v11, v12, v11, 0x3e4cb8bf
	s_delay_alu instid0(VALU_DEP_1) | instskip(NEXT) | instid1(VALU_DEP_1)
	v_fmaak_f32 v11, v12, v11, 0xbeaaaa62
	v_mul_f32_e32 v11, v12, v11
	s_delay_alu instid0(VALU_DEP_1)
	v_dual_sub_f32 v9, v9, v20 :: v_dual_fmac_f32 v10, v10, v11
.LBB57_269:                             ;   in Loop: Header=BB57_5 Depth=1
	s_or_b32 exec_lo, exec_lo, s3
                                        ; implicit-def: $vgpr12
                                        ; implicit-def: $vgpr19
                                        ; implicit-def: $vgpr11
.LBB57_270:                             ;   in Loop: Header=BB57_5 Depth=1
	s_and_not1_saveexec_b32 s30, s30
	s_cbranch_execz .LBB57_272
; %bb.271:                              ;   in Loop: Header=BB57_5 Depth=1
	v_div_scale_f32 v9, null, 0x402df854, 0x402df854, v2
	v_div_scale_f32 v10, null, 0x402df854, 0x402df854, v1
	v_div_scale_f32 v24, vcc_lo, v2, 0x402df854, v2
	s_delay_alu instid0(VALU_DEP_3) | instskip(NEXT) | instid1(VALU_DEP_2)
	v_rcp_f32_e32 v20, v9
	v_rcp_f32_e32 v21, v10
	v_min_f32_e32 v12, v12, v19
	s_waitcnt_depctr 0xfff
	v_fma_f32 v22, -v9, v20, 1.0
	v_fma_f32 v23, -v10, v21, 1.0
	s_delay_alu instid0(VALU_DEP_1) | instskip(SKIP_1) | instid1(VALU_DEP_2)
	v_dual_fmac_f32 v20, v22, v20 :: v_dual_fmac_f32 v21, v23, v21
	v_div_scale_f32 v22, s3, v1, 0x402df854, v1
	v_mul_f32_e32 v23, v24, v20
	s_delay_alu instid0(VALU_DEP_2) | instskip(NEXT) | instid1(VALU_DEP_2)
	v_mul_f32_e32 v25, v22, v21
	v_fma_f32 v26, -v9, v23, v24
	s_delay_alu instid0(VALU_DEP_2) | instskip(NEXT) | instid1(VALU_DEP_2)
	v_fma_f32 v27, -v10, v25, v22
	v_fmac_f32_e32 v23, v26, v20
	s_delay_alu instid0(VALU_DEP_2) | instskip(NEXT) | instid1(VALU_DEP_2)
	v_fmac_f32_e32 v25, v27, v21
	v_fma_f32 v9, -v9, v23, v24
	s_delay_alu instid0(VALU_DEP_2) | instskip(NEXT) | instid1(VALU_DEP_2)
	v_fma_f32 v10, -v10, v25, v22
	v_div_fmas_f32 v9, v9, v20, v23
	s_mov_b32 vcc_lo, s3
	s_delay_alu instid0(VALU_DEP_2) | instskip(NEXT) | instid1(VALU_DEP_2)
	v_div_fmas_f32 v10, v10, v21, v25
	v_div_fixup_f32 v20, v9, 0x402df854, v2
	s_delay_alu instid0(VALU_DEP_2) | instskip(NEXT) | instid1(VALU_DEP_1)
	v_div_fixup_f32 v21, v10, 0x402df854, v1
	v_max_f32_e64 v22, |v20|, |v21|
	s_delay_alu instid0(VALU_DEP_1) | instskip(SKIP_1) | instid1(VALU_DEP_2)
	v_cvt_f64_f32_e32 v[9:10], v22
	v_cmp_neq_f32_e32 vcc_lo, 0x7f800000, v22
	v_frexp_exp_i32_f64_e32 v9, v[9:10]
	s_delay_alu instid0(VALU_DEP_1) | instskip(NEXT) | instid1(VALU_DEP_1)
	v_sub_nc_u32_e32 v10, 0, v9
	v_ldexp_f32 v21, |v21|, v10
	v_ldexp_f32 v10, |v20|, v10
	s_delay_alu instid0(VALU_DEP_2) | instskip(NEXT) | instid1(VALU_DEP_1)
	v_mul_f32_e32 v20, v21, v21
	v_fmac_f32_e32 v20, v10, v10
	s_delay_alu instid0(VALU_DEP_1) | instskip(SKIP_2) | instid1(VALU_DEP_2)
	v_sqrt_f32_e32 v10, v20
	v_frexp_mant_f32_e32 v20, v11
	v_frexp_exp_i32_f32_e32 v11, v11
	v_rcp_f32_e32 v19, v20
	s_waitcnt_depctr 0xfff
	v_ldexp_f32 v9, v10, v9
	v_frexp_exp_i32_f32_e32 v10, v12
	v_frexp_mant_f32_e32 v12, v12
	s_delay_alu instid0(VALU_DEP_2) | instskip(NEXT) | instid1(VALU_DEP_2)
	v_sub_nc_u32_e32 v10, v10, v11
	v_mul_f32_e32 v11, v12, v19
	s_delay_alu instid0(VALU_DEP_1) | instskip(SKIP_1) | instid1(VALU_DEP_2)
	v_ldexp_f32 v10, v11, v10
	v_cndmask_b32_e32 v9, 0x7f800000, v9, vcc_lo
	v_mul_f32_e32 v11, v10, v10
	s_delay_alu instid0(VALU_DEP_2) | instskip(SKIP_1) | instid1(VALU_DEP_1)
	v_cmp_gt_f32_e32 vcc_lo, 0x800000, v9
	v_cndmask_b32_e64 v12, 1.0, 0x4f800000, vcc_lo
	v_dual_mul_f32 v9, v9, v12 :: v_dual_fmaak_f32 v12, s26, v11, 0xbc7a590c
	s_delay_alu instid0(VALU_DEP_1) | instskip(SKIP_2) | instid1(VALU_DEP_1)
	v_log_f32_e32 v9, v9
	s_waitcnt_depctr 0xfff
	v_mul_f32_e32 v19, 0x3f317217, v9
	v_fma_f32 v20, 0x3f317217, v9, -v19
	s_delay_alu instid0(VALU_DEP_1) | instskip(NEXT) | instid1(VALU_DEP_1)
	v_fmac_f32_e32 v20, 0x3377d1cf, v9
	v_add_f32_e32 v19, v19, v20
	v_cndmask_b32_e64 v20, 0, 0x41b17218, vcc_lo
	v_cmp_gt_f32_e64 vcc_lo, 0x7f800000, |v9|
	s_delay_alu instid0(VALU_DEP_3) | instskip(NEXT) | instid1(VALU_DEP_1)
	v_dual_fmaak_f32 v12, v11, v12, 0x3d29fb3f :: v_dual_cndmask_b32 v9, v9, v19
	v_sub_f32_e32 v9, v9, v20
	s_delay_alu instid0(VALU_DEP_1) | instskip(NEXT) | instid1(VALU_DEP_1)
	v_dual_fmaak_f32 v12, v11, v12, 0xbd97d4d7 :: v_dual_add_f32 v9, 1.0, v9
	v_fmaak_f32 v12, v11, v12, 0x3dd931b2
	s_delay_alu instid0(VALU_DEP_1) | instskip(NEXT) | instid1(VALU_DEP_1)
	v_fmaak_f32 v12, v11, v12, 0xbe1160e6
	v_fmaak_f32 v12, v11, v12, 0x3e4cb8bf
	s_delay_alu instid0(VALU_DEP_1) | instskip(NEXT) | instid1(VALU_DEP_1)
	v_fmaak_f32 v12, v11, v12, 0xbeaaaa62
	v_mul_f32_e32 v11, v11, v12
	s_delay_alu instid0(VALU_DEP_1)
	v_fmac_f32_e32 v10, v10, v11
.LBB57_272:                             ;   in Loop: Header=BB57_5 Depth=1
	s_or_b32 exec_lo, exec_lo, s30
	s_delay_alu instid0(VALU_DEP_1) | instskip(NEXT) | instid1(VALU_DEP_1)
	v_sub_f32_e32 v11, 0x3fc90fdb, v10
                                        ; implicit-def: $vgpr12
                                        ; implicit-def: $vgpr19
	v_cndmask_b32_e64 v10, v10, v11, s2
                                        ; implicit-def: $vgpr11
.LBB57_273:                             ;   in Loop: Header=BB57_5 Depth=1
	s_and_not1_saveexec_b32 s29, s29
	s_cbranch_execz .LBB57_283
; %bb.274:                              ;   in Loop: Header=BB57_5 Depth=1
	v_cmp_lt_f32_e64 s2, |v2|, |v1|
                                        ; implicit-def: $vgpr9
                                        ; implicit-def: $vgpr10
	s_mov_b32 s3, exec_lo
	s_delay_alu instid0(VALU_DEP_1) | instskip(NEXT) | instid1(VALU_DEP_1)
	v_cndmask_b32_e64 v20, |v2|, |v1|, s2
	v_cmpx_nlt_f32_e32 0x7effffff, v20
	s_xor_b32 s30, exec_lo, s3
	s_cbranch_execz .LBB57_280
; %bb.275:                              ;   in Loop: Header=BB57_5 Depth=1
	v_cndmask_b32_e64 v21, |v1|, |v2|, s2
	v_cmp_nlt_f32_e32 vcc_lo, 0x5e000000, v20
                                        ; implicit-def: $vgpr9
                                        ; implicit-def: $vgpr10
	s_delay_alu instid0(VALU_DEP_2) | instskip(NEXT) | instid1(VALU_DEP_1)
	v_cmp_ngt_f32_e64 s3, 0x20000000, v21
	s_and_b32 s3, vcc_lo, s3
	s_delay_alu instid0(SALU_CYCLE_1) | instskip(NEXT) | instid1(SALU_CYCLE_1)
	s_and_saveexec_b32 s31, s3
	s_xor_b32 s31, exec_lo, s31
	s_cbranch_execz .LBB57_277
; %bb.276:                              ;   in Loop: Header=BB57_5 Depth=1
	v_frexp_mant_f32_e32 v9, v11
	v_frexp_exp_i32_f32_e32 v11, v11
	s_delay_alu instid0(VALU_DEP_2) | instskip(SKIP_1) | instid1(VALU_DEP_1)
	v_rcp_f32_e32 v9, v9
	v_min_f32_e32 v10, v12, v19
	v_frexp_mant_f32_e32 v19, v10
	s_waitcnt_depctr 0xfff
	v_mul_f32_e32 v9, v19, v9
	v_frexp_exp_i32_f32_e32 v10, v10
	s_delay_alu instid0(VALU_DEP_1) | instskip(NEXT) | instid1(VALU_DEP_1)
	v_sub_nc_u32_e32 v10, v10, v11
	v_ldexp_f32 v10, v9, v10
	v_mul_f32_e32 v12, v21, v21
	s_delay_alu instid0(VALU_DEP_1) | instskip(NEXT) | instid1(VALU_DEP_1)
	v_fmac_f32_e32 v12, v20, v20
	v_cmp_gt_f32_e32 vcc_lo, 0x800000, v12
	v_cndmask_b32_e64 v11, 1.0, 0x4f800000, vcc_lo
	s_delay_alu instid0(VALU_DEP_1) | instskip(SKIP_1) | instid1(VALU_DEP_1)
	v_mul_f32_e32 v9, v12, v11
	v_mul_f32_e32 v11, v10, v10
	v_fmaak_f32 v12, s26, v11, 0xbc7a590c
	s_delay_alu instid0(VALU_DEP_1) | instskip(NEXT) | instid1(VALU_DEP_4)
	v_fmaak_f32 v12, v11, v12, 0x3d29fb3f
	v_log_f32_e32 v9, v9
	s_waitcnt_depctr 0xfff
	v_mul_f32_e32 v19, 0x3f317217, v9
	v_cmp_gt_f32_e64 s3, 0x7f800000, |v9|
	s_delay_alu instid0(VALU_DEP_2) | instskip(NEXT) | instid1(VALU_DEP_1)
	v_fma_f32 v20, 0x3f317217, v9, -v19
	v_fmac_f32_e32 v20, 0x3377d1cf, v9
	s_delay_alu instid0(VALU_DEP_1) | instskip(NEXT) | instid1(VALU_DEP_1)
	v_add_f32_e32 v19, v19, v20
	v_cndmask_b32_e64 v9, v9, v19, s3
	v_cndmask_b32_e64 v19, 0, 0x41b17218, vcc_lo
	s_delay_alu instid0(VALU_DEP_1) | instskip(NEXT) | instid1(VALU_DEP_1)
	v_dual_fmaak_f32 v12, v11, v12, 0xbd97d4d7 :: v_dual_sub_f32 v9, v9, v19
	v_fmaak_f32 v12, v11, v12, 0x3dd931b2
                                        ; implicit-def: $vgpr19
	s_delay_alu instid0(VALU_DEP_1) | instskip(NEXT) | instid1(VALU_DEP_1)
	v_dual_mul_f32 v9, 0.5, v9 :: v_dual_fmaak_f32 v12, v11, v12, 0xbe1160e6
	v_fmaak_f32 v12, v11, v12, 0x3e4cb8bf
	s_delay_alu instid0(VALU_DEP_1) | instskip(NEXT) | instid1(VALU_DEP_1)
	v_fmaak_f32 v12, v11, v12, 0xbeaaaa62
	v_mul_f32_e32 v11, v11, v12
                                        ; implicit-def: $vgpr12
	s_delay_alu instid0(VALU_DEP_1)
	v_fmac_f32_e32 v10, v10, v11
                                        ; implicit-def: $vgpr11
.LBB57_277:                             ;   in Loop: Header=BB57_5 Depth=1
	s_and_not1_saveexec_b32 s3, s31
	s_cbranch_execz .LBB57_279
; %bb.278:                              ;   in Loop: Header=BB57_5 Depth=1
	v_cvt_f64_f32_e32 v[9:10], v11
	v_cmp_neq_f32_e32 vcc_lo, 0x7f800000, v11
	v_min_f32_e32 v12, v12, v19
	v_frexp_exp_i32_f32_e32 v19, v11
	s_delay_alu instid0(VALU_DEP_2) | instskip(SKIP_1) | instid1(VALU_DEP_2)
	v_frexp_exp_i32_f32_e32 v21, v12
	v_frexp_mant_f32_e32 v12, v12
	v_sub_nc_u32_e32 v19, v21, v19
	v_frexp_exp_i32_f64_e32 v9, v[9:10]
	s_delay_alu instid0(VALU_DEP_1) | instskip(NEXT) | instid1(VALU_DEP_1)
	v_sub_nc_u32_e32 v10, 0, v9
	v_ldexp_f32 v20, |v1|, v10
	v_ldexp_f32 v10, |v2|, v10
	s_delay_alu instid0(VALU_DEP_2) | instskip(NEXT) | instid1(VALU_DEP_1)
	v_mul_f32_e32 v20, v20, v20
	v_fmac_f32_e32 v20, v10, v10
	v_frexp_mant_f32_e32 v10, v11
	s_delay_alu instid0(VALU_DEP_2) | instskip(NEXT) | instid1(VALU_DEP_1)
	v_sqrt_f32_e32 v20, v20
	v_rcp_f32_e32 v10, v10
	s_waitcnt_depctr 0xfff
	v_ldexp_f32 v9, v20, v9
	s_delay_alu instid0(VALU_DEP_1) | instskip(NEXT) | instid1(VALU_DEP_1)
	v_dual_mul_f32 v10, v12, v10 :: v_dual_cndmask_b32 v9, 0x7f800000, v9
	v_ldexp_f32 v10, v10, v19
	s_delay_alu instid0(VALU_DEP_2) | instskip(SKIP_1) | instid1(VALU_DEP_1)
	v_cmp_gt_f32_e32 vcc_lo, 0x800000, v9
	v_cndmask_b32_e64 v11, 1.0, 0x4f800000, vcc_lo
	v_mul_f32_e32 v9, v9, v11
	s_delay_alu instid0(VALU_DEP_1) | instskip(SKIP_2) | instid1(VALU_DEP_1)
	v_log_f32_e32 v9, v9
	s_waitcnt_depctr 0xfff
	v_mul_f32_e32 v19, 0x3f317217, v9
	v_fma_f32 v20, 0x3f317217, v9, -v19
	s_delay_alu instid0(VALU_DEP_1) | instskip(NEXT) | instid1(VALU_DEP_1)
	v_fmac_f32_e32 v20, 0x3377d1cf, v9
	v_dual_mul_f32 v12, v10, v10 :: v_dual_add_f32 v19, v19, v20
	s_delay_alu instid0(VALU_DEP_1) | instskip(SKIP_2) | instid1(VALU_DEP_3)
	v_fmaak_f32 v11, s26, v12, 0xbc7a590c
	v_cndmask_b32_e64 v20, 0, 0x41b17218, vcc_lo
	v_cmp_gt_f32_e64 vcc_lo, 0x7f800000, |v9|
	v_fmaak_f32 v11, v12, v11, 0x3d29fb3f
	v_cndmask_b32_e32 v9, v9, v19, vcc_lo
	s_delay_alu instid0(VALU_DEP_2) | instskip(NEXT) | instid1(VALU_DEP_1)
	v_fmaak_f32 v11, v12, v11, 0xbd97d4d7
	v_fmaak_f32 v11, v12, v11, 0x3dd931b2
	s_delay_alu instid0(VALU_DEP_1) | instskip(NEXT) | instid1(VALU_DEP_1)
	v_fmaak_f32 v11, v12, v11, 0xbe1160e6
	v_fmaak_f32 v11, v12, v11, 0x3e4cb8bf
	s_delay_alu instid0(VALU_DEP_1) | instskip(NEXT) | instid1(VALU_DEP_1)
	v_fmaak_f32 v11, v12, v11, 0xbeaaaa62
	v_mul_f32_e32 v11, v12, v11
	s_delay_alu instid0(VALU_DEP_1)
	v_dual_sub_f32 v9, v9, v20 :: v_dual_fmac_f32 v10, v10, v11
.LBB57_279:                             ;   in Loop: Header=BB57_5 Depth=1
	s_or_b32 exec_lo, exec_lo, s3
                                        ; implicit-def: $vgpr12
                                        ; implicit-def: $vgpr19
                                        ; implicit-def: $vgpr11
.LBB57_280:                             ;   in Loop: Header=BB57_5 Depth=1
	s_and_not1_saveexec_b32 s30, s30
	s_cbranch_execz .LBB57_282
; %bb.281:                              ;   in Loop: Header=BB57_5 Depth=1
	v_div_scale_f32 v9, null, 0xc02df854, 0xc02df854, v2
	v_div_scale_f32 v10, null, 0xc02df854, 0xc02df854, v1
	v_div_scale_f32 v24, vcc_lo, v2, 0xc02df854, v2
	s_delay_alu instid0(VALU_DEP_3) | instskip(NEXT) | instid1(VALU_DEP_2)
	v_rcp_f32_e32 v20, v9
	v_rcp_f32_e32 v21, v10
	v_min_f32_e32 v12, v12, v19
	s_waitcnt_depctr 0xfff
	v_fma_f32 v22, -v9, v20, 1.0
	v_fma_f32 v23, -v10, v21, 1.0
	s_delay_alu instid0(VALU_DEP_1) | instskip(SKIP_1) | instid1(VALU_DEP_2)
	v_dual_fmac_f32 v20, v22, v20 :: v_dual_fmac_f32 v21, v23, v21
	v_div_scale_f32 v22, s3, v1, 0xc02df854, v1
	v_mul_f32_e32 v23, v24, v20
	s_delay_alu instid0(VALU_DEP_2) | instskip(NEXT) | instid1(VALU_DEP_2)
	v_mul_f32_e32 v25, v22, v21
	v_fma_f32 v26, -v9, v23, v24
	s_delay_alu instid0(VALU_DEP_2) | instskip(NEXT) | instid1(VALU_DEP_2)
	v_fma_f32 v27, -v10, v25, v22
	v_fmac_f32_e32 v23, v26, v20
	s_delay_alu instid0(VALU_DEP_2) | instskip(NEXT) | instid1(VALU_DEP_2)
	v_fmac_f32_e32 v25, v27, v21
	v_fma_f32 v9, -v9, v23, v24
	s_delay_alu instid0(VALU_DEP_2) | instskip(NEXT) | instid1(VALU_DEP_2)
	v_fma_f32 v10, -v10, v25, v22
	v_div_fmas_f32 v9, v9, v20, v23
	s_mov_b32 vcc_lo, s3
	s_delay_alu instid0(VALU_DEP_2) | instskip(NEXT) | instid1(VALU_DEP_2)
	v_div_fmas_f32 v10, v10, v21, v25
	v_div_fixup_f32 v20, v9, 0xc02df854, v2
	s_delay_alu instid0(VALU_DEP_2) | instskip(NEXT) | instid1(VALU_DEP_1)
	v_div_fixup_f32 v21, v10, 0xc02df854, v1
	v_max_f32_e64 v22, |v20|, |v21|
	s_delay_alu instid0(VALU_DEP_1) | instskip(SKIP_1) | instid1(VALU_DEP_2)
	v_cvt_f64_f32_e32 v[9:10], v22
	v_cmp_neq_f32_e32 vcc_lo, 0x7f800000, v22
	v_frexp_exp_i32_f64_e32 v9, v[9:10]
	s_delay_alu instid0(VALU_DEP_1) | instskip(NEXT) | instid1(VALU_DEP_1)
	v_sub_nc_u32_e32 v10, 0, v9
	v_ldexp_f32 v21, |v21|, v10
	v_ldexp_f32 v10, |v20|, v10
	s_delay_alu instid0(VALU_DEP_2) | instskip(NEXT) | instid1(VALU_DEP_1)
	v_mul_f32_e32 v20, v21, v21
	v_fmac_f32_e32 v20, v10, v10
	s_delay_alu instid0(VALU_DEP_1) | instskip(SKIP_2) | instid1(VALU_DEP_2)
	v_sqrt_f32_e32 v10, v20
	v_frexp_mant_f32_e32 v20, v11
	v_frexp_exp_i32_f32_e32 v11, v11
	v_rcp_f32_e32 v19, v20
	s_waitcnt_depctr 0xfff
	v_ldexp_f32 v9, v10, v9
	v_frexp_exp_i32_f32_e32 v10, v12
	v_frexp_mant_f32_e32 v12, v12
	s_delay_alu instid0(VALU_DEP_2) | instskip(NEXT) | instid1(VALU_DEP_2)
	v_sub_nc_u32_e32 v10, v10, v11
	v_mul_f32_e32 v11, v12, v19
	s_delay_alu instid0(VALU_DEP_1) | instskip(SKIP_1) | instid1(VALU_DEP_2)
	v_ldexp_f32 v10, v11, v10
	v_cndmask_b32_e32 v9, 0x7f800000, v9, vcc_lo
	v_mul_f32_e32 v11, v10, v10
	s_delay_alu instid0(VALU_DEP_2) | instskip(SKIP_1) | instid1(VALU_DEP_1)
	v_cmp_gt_f32_e32 vcc_lo, 0x800000, v9
	v_cndmask_b32_e64 v12, 1.0, 0x4f800000, vcc_lo
	v_dual_mul_f32 v9, v9, v12 :: v_dual_fmaak_f32 v12, s26, v11, 0xbc7a590c
	s_delay_alu instid0(VALU_DEP_1) | instskip(SKIP_2) | instid1(VALU_DEP_1)
	v_log_f32_e32 v9, v9
	s_waitcnt_depctr 0xfff
	v_mul_f32_e32 v19, 0x3f317217, v9
	v_fma_f32 v20, 0x3f317217, v9, -v19
	s_delay_alu instid0(VALU_DEP_1) | instskip(NEXT) | instid1(VALU_DEP_1)
	v_fmac_f32_e32 v20, 0x3377d1cf, v9
	v_add_f32_e32 v19, v19, v20
	v_cndmask_b32_e64 v20, 0, 0x41b17218, vcc_lo
	v_cmp_gt_f32_e64 vcc_lo, 0x7f800000, |v9|
	s_delay_alu instid0(VALU_DEP_3) | instskip(NEXT) | instid1(VALU_DEP_1)
	v_dual_fmaak_f32 v12, v11, v12, 0x3d29fb3f :: v_dual_cndmask_b32 v9, v9, v19
	v_sub_f32_e32 v9, v9, v20
	s_delay_alu instid0(VALU_DEP_1) | instskip(NEXT) | instid1(VALU_DEP_1)
	v_dual_fmaak_f32 v12, v11, v12, 0xbd97d4d7 :: v_dual_add_f32 v9, 1.0, v9
	v_fmaak_f32 v12, v11, v12, 0x3dd931b2
	s_delay_alu instid0(VALU_DEP_1) | instskip(NEXT) | instid1(VALU_DEP_1)
	v_fmaak_f32 v12, v11, v12, 0xbe1160e6
	v_fmaak_f32 v12, v11, v12, 0x3e4cb8bf
	s_delay_alu instid0(VALU_DEP_1) | instskip(NEXT) | instid1(VALU_DEP_1)
	v_fmaak_f32 v12, v11, v12, 0xbeaaaa62
	v_mul_f32_e32 v11, v11, v12
	s_delay_alu instid0(VALU_DEP_1)
	v_fmac_f32_e32 v10, v10, v11
.LBB57_282:                             ;   in Loop: Header=BB57_5 Depth=1
	s_or_b32 exec_lo, exec_lo, s30
	s_delay_alu instid0(VALU_DEP_1) | instskip(NEXT) | instid1(VALU_DEP_1)
	v_sub_f32_e32 v11, 0x3fc90fdb, v10
	v_cndmask_b32_e64 v10, v10, v11, s2
.LBB57_283:                             ;   in Loop: Header=BB57_5 Depth=1
	s_or_b32 exec_lo, exec_lo, s29
	v_cmp_neq_f32_e32 vcc_lo, 0, v1
	v_cmp_class_f32_e64 s2, v2, 0x204
	v_cmp_class_f32_e64 s3, v1, 0x204
	v_dual_add_f32 v9, 0x3f317218, v9 :: v_dual_cndmask_b32 v10, 0, v10
	v_cmp_o_f32_e32 vcc_lo, v1, v2
	s_delay_alu instid0(VALU_DEP_3)
	s_and_b32 s2, s3, s2
	s_delay_alu instid0(VALU_DEP_2) | instid1(SALU_CYCLE_1)
	v_cndmask_b32_e64 v10, v10, 0x3f490fdb, s2
	s_delay_alu instid0(VALU_DEP_1) | instskip(SKIP_1) | instid1(VALU_DEP_2)
	v_cndmask_b32_e32 v11, 0x7fc00000, v10, vcc_lo
	v_bfi_b32 v10, 0x7fffffff, v9, v2
	v_bfi_b32 v9, 0x7fffffff, v11, v1
.LBB57_284:                             ;   in Loop: Header=BB57_5 Depth=1
	s_or_b32 exec_lo, exec_lo, s28
.LBB57_285:                             ;   in Loop: Header=BB57_5 Depth=1
	s_and_not1_saveexec_b32 s2, s27
	s_cbranch_execz .LBB57_299
; %bb.286:                              ;   in Loop: Header=BB57_5 Depth=1
	v_cmp_neq_f32_e64 s3, 0x7f800000, |v2|
                                        ; implicit-def: $vgpr9
	s_delay_alu instid0(VALU_DEP_1) | instskip(NEXT) | instid1(SALU_CYCLE_1)
	s_and_saveexec_b32 s27, s3
	s_xor_b32 s3, exec_lo, s27
	s_cbranch_execz .LBB57_296
; %bb.287:                              ;   in Loop: Header=BB57_5 Depth=1
	v_cmp_neq_f32_e64 s27, 0x7f800000, |v1|
                                        ; implicit-def: $vgpr9
	s_delay_alu instid0(VALU_DEP_1) | instskip(NEXT) | instid1(SALU_CYCLE_1)
	s_and_saveexec_b32 s28, s27
	s_xor_b32 s27, exec_lo, s28
	s_cbranch_execz .LBB57_293
; %bb.288:                              ;   in Loop: Header=BB57_5 Depth=1
	s_mov_b32 s28, exec_lo
                                        ; implicit-def: $vgpr9
	v_cmpx_neq_f32_e32 0, v1
	s_xor_b32 s28, exec_lo, s28
; %bb.289:                              ;   in Loop: Header=BB57_5 Depth=1
	v_add_f32_e32 v9, 0, v2
	s_delay_alu instid0(VALU_DEP_1)
	v_add_f32_e32 v9, v1, v9
; %bb.290:                              ;   in Loop: Header=BB57_5 Depth=1
	s_or_saveexec_b32 s28, s28
	s_delay_alu instid0(VALU_DEP_1)
	v_mov_b32_e32 v10, v9
	s_xor_b32 exec_lo, exec_lo, s28
; %bb.291:                              ;   in Loop: Header=BB57_5 Depth=1
	v_dual_add_f32 v10, v2, v2 :: v_dual_mov_b32 v9, v1
; %bb.292:                              ;   in Loop: Header=BB57_5 Depth=1
	s_or_b32 exec_lo, exec_lo, s28
.LBB57_293:                             ;   in Loop: Header=BB57_5 Depth=1
	s_and_not1_saveexec_b32 s27, s27
; %bb.294:                              ;   in Loop: Header=BB57_5 Depth=1
	v_dual_add_f32 v9, v2, v2 :: v_dual_mov_b32 v10, v1
; %bb.295:                              ;   in Loop: Header=BB57_5 Depth=1
	s_or_b32 exec_lo, exec_lo, s27
.LBB57_296:                             ;   in Loop: Header=BB57_5 Depth=1
	s_and_not1_saveexec_b32 s3, s3
; %bb.297:                              ;   in Loop: Header=BB57_5 Depth=1
	v_dual_add_f32 v9, v1, v1 :: v_dual_mov_b32 v10, v2
; %bb.298:                              ;   in Loop: Header=BB57_5 Depth=1
	s_or_b32 exec_lo, exec_lo, s3
.LBB57_299:                             ;   in Loop: Header=BB57_5 Depth=1
	s_delay_alu instid0(SALU_CYCLE_1) | instskip(SKIP_2) | instid1(VALU_DEP_1)
	s_or_b32 exec_lo, exec_lo, s2
	v_cmp_o_f32_e32 vcc_lo, v4, v4
	v_cmp_o_f32_e64 s2, v3, v3
	s_and_b32 s2, vcc_lo, s2
	s_delay_alu instid0(SALU_CYCLE_1) | instskip(NEXT) | instid1(SALU_CYCLE_1)
	s_and_saveexec_b32 s3, s2
	s_xor_b32 s27, exec_lo, s3
	s_cbranch_execz .LBB57_383
; %bb.300:                              ;   in Loop: Header=BB57_5 Depth=1
	v_max_f32_e64 v1, |v4|, |v4|
	v_max_f32_e64 v19, |v3|, |v3|
	s_mov_b32 s2, exec_lo
	s_delay_alu instid0(VALU_DEP_1) | instskip(NEXT) | instid1(VALU_DEP_1)
	v_max_f32_e32 v2, v19, v1
	v_cmpx_nlt_f32_e32 0x4b000000, v2
	s_xor_b32 s28, exec_lo, s2
	s_cbranch_execz .LBB57_360
; %bb.301:                              ;   in Loop: Header=BB57_5 Depth=1
	v_cmp_neq_f32_e32 vcc_lo, 0, v4
	v_cmp_neq_f32_e64 s2, 0, v3
	s_delay_alu instid0(VALU_DEP_1) | instskip(NEXT) | instid1(SALU_CYCLE_1)
	s_or_b32 s2, vcc_lo, s2
	s_and_saveexec_b32 s29, s2
	s_cbranch_execz .LBB57_359
; %bb.302:                              ;   in Loop: Header=BB57_5 Depth=1
	v_dual_mov_b32 v11, s12 :: v_dual_mov_b32 v12, s13
	v_cmp_ngt_f32_e64 s2, 0x395db3d7, |v4|
	v_cmp_ngt_f32_e64 s3, 0x395db3d7, |v3|
	flat_store_b32 v[11:12], v17 dlc
	s_waitcnt_vscnt null, 0x0
	flat_load_b32 v2, v[11:12] glc dlc
	s_waitcnt vmcnt(0)
	s_or_b32 s2, s3, s2
	v_dual_mov_b32 v11, s14 :: v_dual_mov_b32 v12, s15
	s_waitcnt lgkmcnt(0)
	v_add_f32_e32 v2, 1.0, v2
	flat_store_b32 v[11:12], v2 dlc
	s_waitcnt_vscnt null, 0x0
	flat_load_b32 v2, v[11:12] glc dlc
	s_waitcnt vmcnt(0)
	s_and_saveexec_b32 s30, s2
	s_cbranch_execz .LBB57_358
; %bb.303:                              ;   in Loop: Header=BB57_5 Depth=1
	v_add_f32_e64 v11, |v3|, 1.0
	s_waitcnt lgkmcnt(0)
	v_add_f32_e64 v2, |v3|, -1.0
	s_mov_b32 s2, exec_lo
	s_delay_alu instid0(VALU_DEP_2) | instskip(NEXT) | instid1(VALU_DEP_2)
	v_max_f32_e64 v12, v1, |v11|
	v_max_f32_e64 v1, v1, |v2|
	s_delay_alu instid0(VALU_DEP_2) | instskip(NEXT) | instid1(VALU_DEP_2)
	v_cvt_f64_f32_e32 v[19:20], v12
	v_cvt_f64_f32_e32 v[21:22], v1
	v_cmp_neq_f32_e32 vcc_lo, 0x7f800000, v12
	s_delay_alu instid0(VALU_DEP_3) | instskip(NEXT) | instid1(VALU_DEP_3)
	v_frexp_exp_i32_f64_e32 v19, v[19:20]
	v_frexp_exp_i32_f64_e32 v20, v[21:22]
	s_delay_alu instid0(VALU_DEP_2) | instskip(NEXT) | instid1(VALU_DEP_2)
	v_sub_nc_u32_e32 v21, 0, v19
	v_sub_nc_u32_e32 v22, 0, v20
	s_delay_alu instid0(VALU_DEP_2) | instskip(NEXT) | instid1(VALU_DEP_2)
	v_ldexp_f32 v23, |v11|, v21
	v_ldexp_f32 v24, |v2|, v22
	;; [unrolled: 1-line block ×4, first 2 shown]
	s_delay_alu instid0(VALU_DEP_3) | instskip(NEXT) | instid1(VALU_DEP_1)
	v_dual_mul_f32 v23, v23, v23 :: v_dual_mul_f32 v24, v24, v24
	v_dual_fmac_f32 v23, v21, v21 :: v_dual_fmac_f32 v24, v22, v22
	s_delay_alu instid0(VALU_DEP_1) | instskip(NEXT) | instid1(VALU_DEP_1)
	v_sqrt_f32_e32 v21, v23
	v_sqrt_f32_e32 v22, v24
	s_waitcnt_depctr 0xfff
	v_ldexp_f32 v19, v21, v19
	v_ldexp_f32 v21, v22, v20
	s_delay_alu instid0(VALU_DEP_2) | instskip(SKIP_1) | instid1(VALU_DEP_3)
	v_cndmask_b32_e32 v20, 0x7f800000, v19, vcc_lo
	v_cmp_neq_f32_e32 vcc_lo, 0x7f800000, v1
	v_cndmask_b32_e32 v12, 0x7f800000, v21, vcc_lo
                                        ; implicit-def: $vgpr21
	s_delay_alu instid0(VALU_DEP_1) | instskip(NEXT) | instid1(VALU_DEP_1)
	v_add_f32_e32 v1, v20, v12
	v_mul_f32_e32 v1, 0.5, v1
	s_delay_alu instid0(VALU_DEP_1) | instskip(SKIP_1) | instid1(VALU_DEP_1)
	v_cmp_ngt_f32_e32 vcc_lo, 1.0, v1
	v_cndmask_b32_e32 v1, 1.0, v1, vcc_lo
	v_cmpx_ngt_f32_e32 0x41200000, v1
	s_xor_b32 s3, exec_lo, s2
	s_cbranch_execz .LBB57_305
; %bb.304:                              ;   in Loop: Header=BB57_5 Depth=1
	v_fma_f32 v19, v1, v1, -1.0
	s_delay_alu instid0(VALU_DEP_1) | instskip(SKIP_1) | instid1(VALU_DEP_2)
	v_mul_f32_e32 v21, 0x4f800000, v19
	v_cmp_gt_f32_e32 vcc_lo, 0xf800000, v19
	v_cndmask_b32_e32 v19, v19, v21, vcc_lo
	s_delay_alu instid0(VALU_DEP_1) | instskip(SKIP_3) | instid1(VALU_DEP_2)
	v_sqrt_f32_e32 v21, v19
	s_waitcnt_depctr 0xfff
	v_add_nc_u32_e32 v22, -1, v21
	v_add_nc_u32_e32 v23, 1, v21
	v_fma_f32 v24, -v22, v21, v19
	s_delay_alu instid0(VALU_DEP_2) | instskip(NEXT) | instid1(VALU_DEP_2)
	v_fma_f32 v25, -v23, v21, v19
	v_cmp_ge_f32_e64 s2, 0, v24
	s_delay_alu instid0(VALU_DEP_1) | instskip(NEXT) | instid1(VALU_DEP_3)
	v_cndmask_b32_e64 v21, v21, v22, s2
	v_cmp_lt_f32_e64 s2, 0, v25
	s_delay_alu instid0(VALU_DEP_1) | instskip(NEXT) | instid1(VALU_DEP_1)
	v_cndmask_b32_e64 v21, v21, v23, s2
	v_mul_f32_e32 v22, 0x37800000, v21
	s_delay_alu instid0(VALU_DEP_1) | instskip(SKIP_1) | instid1(VALU_DEP_2)
	v_cndmask_b32_e32 v21, v21, v22, vcc_lo
	v_cmp_class_f32_e64 vcc_lo, v19, 0x260
	v_cndmask_b32_e32 v19, v21, v19, vcc_lo
	s_delay_alu instid0(VALU_DEP_1) | instskip(NEXT) | instid1(VALU_DEP_1)
	v_add_f32_e32 v19, v1, v19
	v_cmp_gt_f32_e32 vcc_lo, 0x800000, v19
	s_delay_alu instid0(VALU_DEP_4) | instskip(NEXT) | instid1(VALU_DEP_1)
	v_cndmask_b32_e64 v21, 1.0, 0x4f800000, vcc_lo
	v_mul_f32_e32 v19, v19, v21
	s_delay_alu instid0(VALU_DEP_1) | instskip(SKIP_3) | instid1(VALU_DEP_2)
	v_log_f32_e32 v19, v19
	s_waitcnt_depctr 0xfff
	v_mul_f32_e32 v21, 0x3f317217, v19
	v_cmp_gt_f32_e64 s2, 0x7f800000, |v19|
	v_fma_f32 v22, 0x3f317217, v19, -v21
	s_delay_alu instid0(VALU_DEP_1) | instskip(NEXT) | instid1(VALU_DEP_1)
	v_fmac_f32_e32 v22, 0x3377d1cf, v19
	v_add_f32_e32 v21, v21, v22
	s_delay_alu instid0(VALU_DEP_1) | instskip(SKIP_1) | instid1(VALU_DEP_1)
	v_cndmask_b32_e64 v19, v19, v21, s2
	v_cndmask_b32_e64 v21, 0, 0x41b17218, vcc_lo
	v_sub_f32_e32 v21, v19, v21
.LBB57_305:                             ;   in Loop: Header=BB57_5 Depth=1
	s_or_saveexec_b32 s3, s3
	v_and_b32_e32 v19, 0x7fffffff, v4
	s_xor_b32 exec_lo, exec_lo, s3
	s_cbranch_execz .LBB57_327
; %bb.306:                              ;   in Loop: Header=BB57_5 Depth=1
	v_cmp_neq_f32_e64 s2, |v3|, 1.0
	v_cmp_ngt_f32_e64 s31, 0x25000000, |v4|
                                        ; implicit-def: $vgpr21
	s_delay_alu instid0(VALU_DEP_1) | instskip(NEXT) | instid1(SALU_CYCLE_1)
	s_or_b32 s2, s2, s31
	s_and_saveexec_b32 s31, s2
	s_delay_alu instid0(SALU_CYCLE_1)
	s_xor_b32 s31, exec_lo, s31
	s_cbranch_execz .LBB57_324
; %bb.307:                              ;   in Loop: Header=BB57_5 Depth=1
	v_mul_f32_e64 v21, 0x34000000, |v2|
	s_delay_alu instid0(VALU_DEP_1) | instskip(NEXT) | instid1(VALU_DEP_1)
	v_cmp_le_f32_e64 s2, v21, |v4|
                                        ; implicit-def: $vgpr21
	s_and_saveexec_b32 s33, s2
	s_delay_alu instid0(SALU_CYCLE_1)
	s_xor_b32 s33, exec_lo, s33
	s_cbranch_execz .LBB57_317
; %bb.308:                              ;   in Loop: Header=BB57_5 Depth=1
	v_mov_b32_e32 v21, v19
	s_mov_b32 s2, exec_lo
	v_cmpx_neq_f32_e32 0, v11
	s_cbranch_execz .LBB57_310
; %bb.309:                              ;   in Loop: Header=BB57_5 Depth=1
	v_mul_f32_e32 v21, v4, v4
	v_add_f32_e32 v22, v11, v20
	s_delay_alu instid0(VALU_DEP_1) | instskip(NEXT) | instid1(VALU_DEP_1)
	v_div_scale_f32 v23, null, v22, v22, v21
	v_rcp_f32_e32 v24, v23
	s_waitcnt_depctr 0xfff
	v_fma_f32 v25, -v23, v24, 1.0
	s_delay_alu instid0(VALU_DEP_1) | instskip(SKIP_1) | instid1(VALU_DEP_1)
	v_fmac_f32_e32 v24, v25, v24
	v_div_scale_f32 v25, vcc_lo, v21, v22, v21
	v_mul_f32_e32 v26, v25, v24
	s_delay_alu instid0(VALU_DEP_1) | instskip(NEXT) | instid1(VALU_DEP_1)
	v_fma_f32 v27, -v23, v26, v25
	v_fmac_f32_e32 v26, v27, v24
	s_delay_alu instid0(VALU_DEP_1) | instskip(NEXT) | instid1(VALU_DEP_1)
	v_fma_f32 v23, -v23, v26, v25
	v_div_fmas_f32 v23, v23, v24, v26
	s_delay_alu instid0(VALU_DEP_1)
	v_div_fixup_f32 v21, v23, v22, v21
.LBB57_310:                             ;   in Loop: Header=BB57_5 Depth=1
	s_or_b32 exec_lo, exec_lo, s2
	v_sub_f32_e64 v23, 1.0, |v3|
	s_mov_b32 s2, exec_lo
                                        ; implicit-def: $vgpr22
	s_delay_alu instid0(VALU_DEP_1)
	v_cmpx_ngt_f32_e32 0, v23
	s_xor_b32 s2, exec_lo, s2
	s_cbranch_execz .LBB57_314
; %bb.311:                              ;   in Loop: Header=BB57_5 Depth=1
	v_mov_b32_e32 v22, v19
	s_mov_b32 s34, exec_lo
	v_cmpx_neq_f32_e32 0, v23
	s_cbranch_execz .LBB57_313
; %bb.312:                              ;   in Loop: Header=BB57_5 Depth=1
	v_mul_f32_e32 v22, v4, v4
	v_add_f32_e32 v23, v23, v12
	s_delay_alu instid0(VALU_DEP_1) | instskip(NEXT) | instid1(VALU_DEP_1)
	v_div_scale_f32 v24, null, v23, v23, v22
	v_rcp_f32_e32 v25, v24
	s_waitcnt_depctr 0xfff
	v_fma_f32 v26, -v24, v25, 1.0
	s_delay_alu instid0(VALU_DEP_1) | instskip(SKIP_1) | instid1(VALU_DEP_1)
	v_fmac_f32_e32 v25, v26, v25
	v_div_scale_f32 v26, vcc_lo, v22, v23, v22
	v_mul_f32_e32 v27, v26, v25
	s_delay_alu instid0(VALU_DEP_1) | instskip(NEXT) | instid1(VALU_DEP_1)
	v_fma_f32 v28, -v24, v27, v26
	v_fmac_f32_e32 v27, v28, v25
	s_delay_alu instid0(VALU_DEP_1) | instskip(NEXT) | instid1(VALU_DEP_1)
	v_fma_f32 v24, -v24, v27, v26
	v_div_fmas_f32 v24, v24, v25, v27
	s_delay_alu instid0(VALU_DEP_1)
	v_div_fixup_f32 v22, v24, v23, v22
.LBB57_313:                             ;   in Loop: Header=BB57_5 Depth=1
	s_or_b32 exec_lo, exec_lo, s34
                                        ; implicit-def: $vgpr23
.LBB57_314:                             ;   in Loop: Header=BB57_5 Depth=1
	s_and_not1_saveexec_b32 s2, s2
; %bb.315:                              ;   in Loop: Header=BB57_5 Depth=1
	v_sub_f32_e32 v22, v12, v23
; %bb.316:                              ;   in Loop: Header=BB57_5 Depth=1
	s_or_b32 exec_lo, exec_lo, s2
	s_delay_alu instid0(VALU_DEP_1) | instskip(NEXT) | instid1(VALU_DEP_1)
	v_dual_mul_f32 v22, 0.5, v22 :: v_dual_add_f32 v23, 1.0, v1
	v_fmac_f32_e32 v22, 0.5, v21
	s_delay_alu instid0(VALU_DEP_1) | instskip(NEXT) | instid1(VALU_DEP_1)
	v_mul_f32_e32 v21, v23, v22
	v_mul_f32_e32 v23, 0x4f800000, v21
	v_cmp_gt_f32_e32 vcc_lo, 0xf800000, v21
	s_delay_alu instid0(VALU_DEP_2) | instskip(NEXT) | instid1(VALU_DEP_1)
	v_cndmask_b32_e32 v21, v21, v23, vcc_lo
	v_sqrt_f32_e32 v23, v21
	s_waitcnt_depctr 0xfff
	v_add_nc_u32_e32 v24, -1, v23
	v_add_nc_u32_e32 v25, 1, v23
	s_delay_alu instid0(VALU_DEP_2) | instskip(NEXT) | instid1(VALU_DEP_2)
	v_fma_f32 v26, -v24, v23, v21
	v_fma_f32 v27, -v25, v23, v21
	s_delay_alu instid0(VALU_DEP_2) | instskip(NEXT) | instid1(VALU_DEP_1)
	v_cmp_ge_f32_e64 s2, 0, v26
	v_cndmask_b32_e64 v23, v23, v24, s2
	s_delay_alu instid0(VALU_DEP_3) | instskip(NEXT) | instid1(VALU_DEP_1)
	v_cmp_lt_f32_e64 s2, 0, v27
	v_cndmask_b32_e64 v23, v23, v25, s2
	s_delay_alu instid0(VALU_DEP_1) | instskip(NEXT) | instid1(VALU_DEP_1)
	v_mul_f32_e32 v24, 0x37800000, v23
	v_cndmask_b32_e32 v23, v23, v24, vcc_lo
	v_cmp_class_f32_e64 vcc_lo, v21, 0x260
	s_delay_alu instid0(VALU_DEP_2) | instskip(NEXT) | instid1(VALU_DEP_1)
	v_cndmask_b32_e32 v21, v23, v21, vcc_lo
	v_add_f32_e32 v23, v22, v21
	s_delay_alu instid0(VALU_DEP_1) | instskip(NEXT) | instid1(VALU_DEP_1)
	v_add_f32_e32 v24, 1.0, v23
	v_cvt_f64_f32_e32 v[21:22], v24
	s_delay_alu instid0(VALU_DEP_1) | instskip(SKIP_1) | instid1(VALU_DEP_1)
	v_frexp_exp_i32_f64_e32 v21, v[21:22]
	v_frexp_mant_f32_e32 v22, v24
	v_cmp_gt_f32_e32 vcc_lo, 0x3f2aaaab, v22
	v_add_f32_e32 v22, -1.0, v24
	s_delay_alu instid0(VALU_DEP_1) | instskip(NEXT) | instid1(VALU_DEP_1)
	v_sub_f32_e32 v26, v22, v24
	v_add_f32_e32 v26, 1.0, v26
	v_subrev_co_ci_u32_e32 v21, vcc_lo, 0, v21, vcc_lo
	s_delay_alu instid0(VALU_DEP_1) | instskip(SKIP_1) | instid1(VALU_DEP_2)
	v_sub_nc_u32_e32 v25, 0, v21
	v_cvt_f32_i32_e32 v21, v21
	v_ldexp_f32 v24, v24, v25
	s_delay_alu instid0(VALU_DEP_1) | instskip(NEXT) | instid1(VALU_DEP_1)
	v_dual_sub_f32 v22, v23, v22 :: v_dual_add_f32 v27, 1.0, v24
	v_add_f32_e32 v22, v22, v26
	s_delay_alu instid0(VALU_DEP_2) | instskip(NEXT) | instid1(VALU_DEP_2)
	v_add_f32_e32 v26, -1.0, v27
	v_ldexp_f32 v22, v22, v25
	v_add_f32_e32 v25, -1.0, v24
	v_cmp_eq_f32_e32 vcc_lo, 0x7f800000, v23
	s_delay_alu instid0(VALU_DEP_4) | instskip(NEXT) | instid1(VALU_DEP_3)
	v_sub_f32_e32 v26, v24, v26
	v_add_f32_e32 v28, 1.0, v25
	s_delay_alu instid0(VALU_DEP_2) | instskip(NEXT) | instid1(VALU_DEP_2)
	v_add_f32_e32 v26, v22, v26
	v_sub_f32_e32 v24, v24, v28
	s_delay_alu instid0(VALU_DEP_1) | instskip(NEXT) | instid1(VALU_DEP_1)
	v_add_f32_e32 v22, v22, v24
	v_add_f32_e32 v29, v25, v22
	s_delay_alu instid0(VALU_DEP_1) | instskip(NEXT) | instid1(VALU_DEP_1)
	v_dual_add_f32 v28, v27, v26 :: v_dual_sub_f32 v25, v29, v25
	v_rcp_f32_e32 v24, v28
	v_sub_f32_e32 v27, v28, v27
	s_delay_alu instid0(VALU_DEP_1) | instskip(SKIP_2) | instid1(VALU_DEP_1)
	v_sub_f32_e32 v26, v26, v27
	s_waitcnt_depctr 0xfff
	v_mul_f32_e32 v30, v29, v24
	v_mul_f32_e32 v31, v28, v30
	s_delay_alu instid0(VALU_DEP_1) | instskip(NEXT) | instid1(VALU_DEP_1)
	v_fma_f32 v27, v30, v28, -v31
	v_fmac_f32_e32 v27, v30, v26
	v_sub_f32_e32 v22, v22, v25
	s_delay_alu instid0(VALU_DEP_2) | instskip(NEXT) | instid1(VALU_DEP_1)
	v_add_f32_e32 v32, v31, v27
	v_sub_f32_e32 v33, v29, v32
	v_sub_f32_e32 v25, v32, v31
	s_delay_alu instid0(VALU_DEP_2) | instskip(NEXT) | instid1(VALU_DEP_2)
	v_sub_f32_e32 v29, v29, v33
	v_sub_f32_e32 v25, v25, v27
	s_delay_alu instid0(VALU_DEP_2) | instskip(NEXT) | instid1(VALU_DEP_1)
	v_sub_f32_e32 v29, v29, v32
	v_add_f32_e32 v22, v22, v29
	s_delay_alu instid0(VALU_DEP_1) | instskip(NEXT) | instid1(VALU_DEP_1)
	v_add_f32_e32 v22, v25, v22
	v_add_f32_e32 v25, v33, v22
	s_delay_alu instid0(VALU_DEP_1) | instskip(NEXT) | instid1(VALU_DEP_1)
	v_mul_f32_e32 v27, v24, v25
	v_dual_sub_f32 v32, v33, v25 :: v_dual_mul_f32 v29, v28, v27
	s_delay_alu instid0(VALU_DEP_1) | instskip(NEXT) | instid1(VALU_DEP_2)
	v_add_f32_e32 v22, v22, v32
	v_fma_f32 v28, v27, v28, -v29
	s_delay_alu instid0(VALU_DEP_1) | instskip(NEXT) | instid1(VALU_DEP_1)
	v_fmac_f32_e32 v28, v27, v26
	v_add_f32_e32 v26, v29, v28
	s_delay_alu instid0(VALU_DEP_1) | instskip(NEXT) | instid1(VALU_DEP_1)
	v_sub_f32_e32 v31, v25, v26
	v_sub_f32_e32 v25, v25, v31
	s_delay_alu instid0(VALU_DEP_1) | instskip(NEXT) | instid1(VALU_DEP_1)
	v_sub_f32_e32 v25, v25, v26
	v_add_f32_e32 v22, v22, v25
	v_add_f32_e32 v25, v30, v27
	v_sub_f32_e32 v29, v26, v29
	s_delay_alu instid0(VALU_DEP_1) | instskip(NEXT) | instid1(VALU_DEP_1)
	v_sub_f32_e32 v26, v29, v28
	v_add_f32_e32 v22, v26, v22
	s_delay_alu instid0(VALU_DEP_4) | instskip(NEXT) | instid1(VALU_DEP_2)
	v_sub_f32_e32 v26, v25, v30
	v_add_f32_e32 v22, v31, v22
	s_delay_alu instid0(VALU_DEP_2) | instskip(NEXT) | instid1(VALU_DEP_2)
	v_sub_f32_e32 v26, v27, v26
	v_mul_f32_e32 v22, v24, v22
	s_delay_alu instid0(VALU_DEP_1) | instskip(NEXT) | instid1(VALU_DEP_1)
	v_add_f32_e32 v22, v26, v22
	v_add_f32_e32 v24, v25, v22
	s_delay_alu instid0(VALU_DEP_1) | instskip(NEXT) | instid1(VALU_DEP_1)
	v_mul_f32_e32 v26, v24, v24
	v_fmaak_f32 v27, s24, v26, 0x3ecc95a3
	v_mul_f32_e32 v28, v24, v26
	s_delay_alu instid0(VALU_DEP_2) | instskip(SKIP_2) | instid1(VALU_DEP_3)
	v_fmaak_f32 v26, v26, v27, 0x3f2aaada
	v_ldexp_f32 v27, v24, 1
	v_sub_f32_e32 v24, v24, v25
	v_mul_f32_e32 v26, v28, v26
	v_mul_f32_e32 v28, 0x3f317218, v21
	s_delay_alu instid0(VALU_DEP_2) | instskip(NEXT) | instid1(VALU_DEP_1)
	v_dual_sub_f32 v22, v22, v24 :: v_dual_add_f32 v25, v27, v26
	v_ldexp_f32 v22, v22, 1
	s_delay_alu instid0(VALU_DEP_2) | instskip(NEXT) | instid1(VALU_DEP_4)
	v_sub_f32_e32 v24, v25, v27
	v_fma_f32 v27, 0x3f317218, v21, -v28
	s_delay_alu instid0(VALU_DEP_1) | instskip(NEXT) | instid1(VALU_DEP_1)
	v_dual_sub_f32 v24, v26, v24 :: v_dual_fmac_f32 v27, 0xb102e308, v21
	v_dual_add_f32 v21, v22, v24 :: v_dual_add_f32 v22, v28, v27
	s_delay_alu instid0(VALU_DEP_1) | instskip(NEXT) | instid1(VALU_DEP_2)
	v_add_f32_e32 v24, v25, v21
	v_sub_f32_e32 v28, v22, v28
	s_delay_alu instid0(VALU_DEP_2) | instskip(NEXT) | instid1(VALU_DEP_2)
	v_dual_add_f32 v26, v22, v24 :: v_dual_sub_f32 v25, v24, v25
	v_sub_f32_e32 v27, v27, v28
	s_delay_alu instid0(VALU_DEP_2) | instskip(NEXT) | instid1(VALU_DEP_3)
	v_sub_f32_e32 v29, v26, v22
	v_sub_f32_e32 v21, v21, v25
	s_delay_alu instid0(VALU_DEP_2) | instskip(SKIP_1) | instid1(VALU_DEP_2)
	v_sub_f32_e32 v30, v26, v29
	v_sub_f32_e32 v24, v24, v29
	v_dual_add_f32 v25, v27, v21 :: v_dual_sub_f32 v22, v22, v30
	s_delay_alu instid0(VALU_DEP_1) | instskip(NEXT) | instid1(VALU_DEP_2)
	v_add_f32_e32 v22, v24, v22
	v_sub_f32_e32 v24, v25, v27
	s_delay_alu instid0(VALU_DEP_2) | instskip(NEXT) | instid1(VALU_DEP_2)
	v_add_f32_e32 v22, v25, v22
	v_sub_f32_e32 v25, v25, v24
	s_delay_alu instid0(VALU_DEP_2) | instskip(NEXT) | instid1(VALU_DEP_1)
	v_dual_sub_f32 v21, v21, v24 :: v_dual_add_f32 v28, v26, v22
	v_dual_sub_f32 v25, v27, v25 :: v_dual_sub_f32 v24, v28, v26
	s_delay_alu instid0(VALU_DEP_1) | instskip(NEXT) | instid1(VALU_DEP_1)
	v_dual_add_f32 v21, v21, v25 :: v_dual_sub_f32 v22, v22, v24
	v_add_f32_e32 v21, v21, v22
	s_delay_alu instid0(VALU_DEP_1) | instskip(NEXT) | instid1(VALU_DEP_1)
	v_add_f32_e32 v21, v28, v21
	v_cndmask_b32_e32 v21, v21, v23, vcc_lo
	v_cmp_ngt_f32_e32 vcc_lo, -1.0, v23
	s_delay_alu instid0(VALU_DEP_2) | instskip(SKIP_1) | instid1(VALU_DEP_2)
	v_cndmask_b32_e32 v21, 0x7fc00000, v21, vcc_lo
	v_cmp_neq_f32_e32 vcc_lo, -1.0, v23
	v_cndmask_b32_e32 v21, 0xff800000, v21, vcc_lo
	v_cmp_gt_f32_e64 vcc_lo, 0x33800000, |v23|
	s_delay_alu instid0(VALU_DEP_2)
	v_cndmask_b32_e32 v21, v21, v23, vcc_lo
.LBB57_317:                             ;   in Loop: Header=BB57_5 Depth=1
	s_and_not1_saveexec_b32 s33, s33
	s_cbranch_execz .LBB57_323
; %bb.318:                              ;   in Loop: Header=BB57_5 Depth=1
	s_mov_b32 s34, exec_lo
                                        ; implicit-def: $vgpr21
	v_cmpx_nlt_f32_e64 |v3|, 1.0
	s_xor_b32 s34, exec_lo, s34
	s_cbranch_execz .LBB57_320
; %bb.319:                              ;   in Loop: Header=BB57_5 Depth=1
	v_mul_f32_e32 v21, v2, v11
	s_delay_alu instid0(VALU_DEP_1) | instskip(SKIP_1) | instid1(VALU_DEP_2)
	v_mul_f32_e32 v22, 0x4f800000, v21
	v_cmp_gt_f32_e32 vcc_lo, 0xf800000, v21
	v_cndmask_b32_e32 v21, v21, v22, vcc_lo
	s_delay_alu instid0(VALU_DEP_1) | instskip(SKIP_3) | instid1(VALU_DEP_2)
	v_sqrt_f32_e32 v22, v21
	s_waitcnt_depctr 0xfff
	v_add_nc_u32_e32 v23, -1, v22
	v_add_nc_u32_e32 v24, 1, v22
	v_fma_f32 v25, -v23, v22, v21
	s_delay_alu instid0(VALU_DEP_2) | instskip(NEXT) | instid1(VALU_DEP_2)
	v_fma_f32 v26, -v24, v22, v21
	v_cmp_ge_f32_e64 s2, 0, v25
	s_delay_alu instid0(VALU_DEP_1) | instskip(NEXT) | instid1(VALU_DEP_3)
	v_cndmask_b32_e64 v22, v22, v23, s2
	v_cmp_lt_f32_e64 s2, 0, v26
	s_delay_alu instid0(VALU_DEP_1) | instskip(NEXT) | instid1(VALU_DEP_1)
	v_cndmask_b32_e64 v22, v22, v24, s2
	v_mul_f32_e32 v23, 0x37800000, v22
	s_delay_alu instid0(VALU_DEP_1) | instskip(SKIP_1) | instid1(VALU_DEP_2)
	v_cndmask_b32_e32 v22, v22, v23, vcc_lo
	v_cmp_class_f32_e64 vcc_lo, v21, 0x260
	v_cndmask_b32_e32 v21, v22, v21, vcc_lo
	s_delay_alu instid0(VALU_DEP_1) | instskip(NEXT) | instid1(VALU_DEP_1)
	v_add_f32_e32 v23, v2, v21
	v_add_f32_e32 v24, 1.0, v23
	s_delay_alu instid0(VALU_DEP_1) | instskip(NEXT) | instid1(VALU_DEP_1)
	v_cvt_f64_f32_e32 v[21:22], v24
	v_frexp_exp_i32_f64_e32 v21, v[21:22]
	v_frexp_mant_f32_e32 v22, v24
	s_delay_alu instid0(VALU_DEP_1) | instskip(SKIP_1) | instid1(VALU_DEP_1)
	v_cmp_gt_f32_e32 vcc_lo, 0x3f2aaaab, v22
	v_add_f32_e32 v22, -1.0, v24
	v_sub_f32_e32 v26, v22, v24
	s_delay_alu instid0(VALU_DEP_1) | instskip(SKIP_2) | instid1(VALU_DEP_2)
	v_add_f32_e32 v26, 1.0, v26
	v_subrev_co_ci_u32_e32 v21, vcc_lo, 0, v21, vcc_lo
	v_cmp_eq_f32_e32 vcc_lo, 0x7f800000, v23
	v_sub_nc_u32_e32 v25, 0, v21
	v_cvt_f32_i32_e32 v21, v21
	s_delay_alu instid0(VALU_DEP_2) | instskip(NEXT) | instid1(VALU_DEP_1)
	v_ldexp_f32 v24, v24, v25
	v_dual_sub_f32 v22, v23, v22 :: v_dual_add_f32 v27, 1.0, v24
	s_delay_alu instid0(VALU_DEP_1) | instskip(NEXT) | instid1(VALU_DEP_1)
	v_add_f32_e32 v22, v22, v26
	v_ldexp_f32 v22, v22, v25
	s_delay_alu instid0(VALU_DEP_3) | instskip(NEXT) | instid1(VALU_DEP_1)
	v_dual_add_f32 v25, -1.0, v24 :: v_dual_add_f32 v26, -1.0, v27
	v_add_f32_e32 v28, 1.0, v25
	s_delay_alu instid0(VALU_DEP_2) | instskip(NEXT) | instid1(VALU_DEP_2)
	v_sub_f32_e32 v26, v24, v26
	v_sub_f32_e32 v24, v24, v28
	s_delay_alu instid0(VALU_DEP_2) | instskip(NEXT) | instid1(VALU_DEP_2)
	v_add_f32_e32 v26, v22, v26
	v_add_f32_e32 v22, v22, v24
	s_delay_alu instid0(VALU_DEP_1) | instskip(NEXT) | instid1(VALU_DEP_1)
	v_add_f32_e32 v29, v25, v22
	v_dual_sub_f32 v25, v29, v25 :: v_dual_add_f32 v28, v27, v26
	s_delay_alu instid0(VALU_DEP_1) | instskip(SKIP_1) | instid1(VALU_DEP_1)
	v_rcp_f32_e32 v24, v28
	v_sub_f32_e32 v27, v28, v27
	v_sub_f32_e32 v26, v26, v27
	s_waitcnt_depctr 0xfff
	v_mul_f32_e32 v30, v29, v24
	s_delay_alu instid0(VALU_DEP_1) | instskip(NEXT) | instid1(VALU_DEP_1)
	v_mul_f32_e32 v31, v28, v30
	v_fma_f32 v27, v30, v28, -v31
	s_delay_alu instid0(VALU_DEP_1) | instskip(SKIP_1) | instid1(VALU_DEP_2)
	v_fmac_f32_e32 v27, v30, v26
	v_sub_f32_e32 v22, v22, v25
	v_add_f32_e32 v32, v31, v27
	s_delay_alu instid0(VALU_DEP_1) | instskip(SKIP_1) | instid1(VALU_DEP_2)
	v_sub_f32_e32 v33, v29, v32
	v_sub_f32_e32 v25, v32, v31
	;; [unrolled: 1-line block ×3, first 2 shown]
	s_delay_alu instid0(VALU_DEP_2) | instskip(NEXT) | instid1(VALU_DEP_2)
	v_sub_f32_e32 v25, v25, v27
	v_sub_f32_e32 v29, v29, v32
	s_delay_alu instid0(VALU_DEP_1) | instskip(NEXT) | instid1(VALU_DEP_1)
	v_add_f32_e32 v22, v22, v29
	v_add_f32_e32 v22, v25, v22
	s_delay_alu instid0(VALU_DEP_1) | instskip(NEXT) | instid1(VALU_DEP_1)
	v_add_f32_e32 v25, v33, v22
	v_mul_f32_e32 v27, v24, v25
	s_delay_alu instid0(VALU_DEP_1) | instskip(NEXT) | instid1(VALU_DEP_1)
	v_dual_sub_f32 v32, v33, v25 :: v_dual_mul_f32 v29, v28, v27
	v_fma_f32 v28, v27, v28, -v29
	s_delay_alu instid0(VALU_DEP_1) | instskip(NEXT) | instid1(VALU_DEP_1)
	v_fmac_f32_e32 v28, v27, v26
	v_add_f32_e32 v26, v29, v28
	s_delay_alu instid0(VALU_DEP_1) | instskip(SKIP_1) | instid1(VALU_DEP_1)
	v_sub_f32_e32 v29, v26, v29
	v_dual_sub_f32 v31, v25, v26 :: v_dual_add_f32 v22, v22, v32
	v_sub_f32_e32 v25, v25, v31
	s_delay_alu instid0(VALU_DEP_1) | instskip(NEXT) | instid1(VALU_DEP_4)
	v_sub_f32_e32 v25, v25, v26
	v_sub_f32_e32 v26, v29, v28
	s_delay_alu instid0(VALU_DEP_2) | instskip(SKIP_1) | instid1(VALU_DEP_2)
	v_add_f32_e32 v22, v22, v25
	v_add_f32_e32 v25, v30, v27
	;; [unrolled: 1-line block ×3, first 2 shown]
	s_delay_alu instid0(VALU_DEP_2) | instskip(NEXT) | instid1(VALU_DEP_2)
	v_sub_f32_e32 v26, v25, v30
	v_add_f32_e32 v22, v31, v22
	s_delay_alu instid0(VALU_DEP_2) | instskip(NEXT) | instid1(VALU_DEP_2)
	v_sub_f32_e32 v26, v27, v26
	v_mul_f32_e32 v22, v24, v22
	s_delay_alu instid0(VALU_DEP_1) | instskip(NEXT) | instid1(VALU_DEP_1)
	v_add_f32_e32 v22, v26, v22
	v_add_f32_e32 v24, v25, v22
	s_delay_alu instid0(VALU_DEP_1) | instskip(NEXT) | instid1(VALU_DEP_1)
	v_mul_f32_e32 v26, v24, v24
	v_fmaak_f32 v27, s24, v26, 0x3ecc95a3
	v_mul_f32_e32 v28, v24, v26
	s_delay_alu instid0(VALU_DEP_2) | instskip(SKIP_2) | instid1(VALU_DEP_3)
	v_fmaak_f32 v26, v26, v27, 0x3f2aaada
	v_ldexp_f32 v27, v24, 1
	v_sub_f32_e32 v24, v24, v25
	v_mul_f32_e32 v26, v28, v26
	v_mul_f32_e32 v28, 0x3f317218, v21
	s_delay_alu instid0(VALU_DEP_2) | instskip(NEXT) | instid1(VALU_DEP_1)
	v_dual_sub_f32 v22, v22, v24 :: v_dual_add_f32 v25, v27, v26
	v_ldexp_f32 v22, v22, 1
	s_delay_alu instid0(VALU_DEP_2) | instskip(NEXT) | instid1(VALU_DEP_4)
	v_sub_f32_e32 v24, v25, v27
	v_fma_f32 v27, 0x3f317218, v21, -v28
	s_delay_alu instid0(VALU_DEP_1) | instskip(NEXT) | instid1(VALU_DEP_1)
	v_dual_sub_f32 v24, v26, v24 :: v_dual_fmac_f32 v27, 0xb102e308, v21
	v_dual_add_f32 v21, v22, v24 :: v_dual_add_f32 v22, v28, v27
	s_delay_alu instid0(VALU_DEP_1) | instskip(NEXT) | instid1(VALU_DEP_2)
	v_add_f32_e32 v24, v25, v21
	v_sub_f32_e32 v28, v22, v28
	s_delay_alu instid0(VALU_DEP_2) | instskip(NEXT) | instid1(VALU_DEP_2)
	v_dual_add_f32 v26, v22, v24 :: v_dual_sub_f32 v25, v24, v25
	v_sub_f32_e32 v27, v27, v28
	s_delay_alu instid0(VALU_DEP_2) | instskip(NEXT) | instid1(VALU_DEP_3)
	v_sub_f32_e32 v29, v26, v22
	v_sub_f32_e32 v21, v21, v25
	s_delay_alu instid0(VALU_DEP_2) | instskip(SKIP_1) | instid1(VALU_DEP_2)
	v_sub_f32_e32 v30, v26, v29
	v_sub_f32_e32 v24, v24, v29
	v_dual_add_f32 v25, v27, v21 :: v_dual_sub_f32 v22, v22, v30
	s_delay_alu instid0(VALU_DEP_1) | instskip(NEXT) | instid1(VALU_DEP_2)
	v_add_f32_e32 v22, v24, v22
	v_sub_f32_e32 v24, v25, v27
	s_delay_alu instid0(VALU_DEP_2) | instskip(NEXT) | instid1(VALU_DEP_2)
	v_add_f32_e32 v22, v25, v22
	v_sub_f32_e32 v25, v25, v24
	s_delay_alu instid0(VALU_DEP_2) | instskip(NEXT) | instid1(VALU_DEP_1)
	v_dual_sub_f32 v21, v21, v24 :: v_dual_add_f32 v28, v26, v22
	v_dual_sub_f32 v25, v27, v25 :: v_dual_sub_f32 v24, v28, v26
	s_delay_alu instid0(VALU_DEP_1) | instskip(NEXT) | instid1(VALU_DEP_1)
	v_dual_add_f32 v21, v21, v25 :: v_dual_sub_f32 v22, v22, v24
	v_add_f32_e32 v21, v21, v22
	s_delay_alu instid0(VALU_DEP_1) | instskip(NEXT) | instid1(VALU_DEP_1)
	v_add_f32_e32 v21, v28, v21
	v_cndmask_b32_e32 v21, v21, v23, vcc_lo
	v_cmp_ngt_f32_e32 vcc_lo, -1.0, v23
	s_delay_alu instid0(VALU_DEP_2) | instskip(SKIP_1) | instid1(VALU_DEP_2)
	v_cndmask_b32_e32 v21, 0x7fc00000, v21, vcc_lo
	v_cmp_neq_f32_e32 vcc_lo, -1.0, v23
	v_cndmask_b32_e32 v21, 0xff800000, v21, vcc_lo
	v_cmp_gt_f32_e64 vcc_lo, 0x33800000, |v23|
	s_delay_alu instid0(VALU_DEP_2)
	v_cndmask_b32_e32 v21, v21, v23, vcc_lo
.LBB57_320:                             ;   in Loop: Header=BB57_5 Depth=1
	s_and_not1_saveexec_b32 s34, s34
	s_cbranch_execz .LBB57_322
; %bb.321:                              ;   in Loop: Header=BB57_5 Depth=1
	v_sub_f32_e64 v21, 1.0, |v3|
	s_delay_alu instid0(VALU_DEP_1) | instskip(NEXT) | instid1(VALU_DEP_1)
	v_mul_f32_e32 v21, v21, v11
	v_mul_f32_e32 v22, 0x4f800000, v21
	v_cmp_gt_f32_e32 vcc_lo, 0xf800000, v21
	s_delay_alu instid0(VALU_DEP_2) | instskip(NEXT) | instid1(VALU_DEP_1)
	v_cndmask_b32_e32 v21, v21, v22, vcc_lo
	v_sqrt_f32_e32 v22, v21
	s_waitcnt_depctr 0xfff
	v_add_nc_u32_e32 v23, -1, v22
	v_add_nc_u32_e32 v24, 1, v22
	s_delay_alu instid0(VALU_DEP_2) | instskip(NEXT) | instid1(VALU_DEP_2)
	v_fma_f32 v25, -v23, v22, v21
	v_fma_f32 v26, -v24, v22, v21
	s_delay_alu instid0(VALU_DEP_2) | instskip(NEXT) | instid1(VALU_DEP_1)
	v_cmp_ge_f32_e64 s2, 0, v25
	v_cndmask_b32_e64 v22, v22, v23, s2
	s_delay_alu instid0(VALU_DEP_3) | instskip(NEXT) | instid1(VALU_DEP_1)
	v_cmp_lt_f32_e64 s2, 0, v26
	v_cndmask_b32_e64 v22, v22, v24, s2
	s_delay_alu instid0(VALU_DEP_1) | instskip(NEXT) | instid1(VALU_DEP_1)
	v_mul_f32_e32 v23, 0x37800000, v22
	v_cndmask_b32_e32 v22, v22, v23, vcc_lo
	v_cmp_class_f32_e64 vcc_lo, v21, 0x260
	v_and_b32_e32 v23, 0x7fffffff, v4
	s_delay_alu instid0(VALU_DEP_3) | instskip(NEXT) | instid1(VALU_DEP_1)
	v_cndmask_b32_e32 v21, v22, v21, vcc_lo
	v_div_scale_f32 v22, null, v21, v21, v23
	v_div_scale_f32 v23, vcc_lo, v23, v21, v23
	s_delay_alu instid0(VALU_DEP_2) | instskip(SKIP_2) | instid1(VALU_DEP_1)
	v_rcp_f32_e32 v24, v22
	s_waitcnt_depctr 0xfff
	v_fma_f32 v25, -v22, v24, 1.0
	v_fmac_f32_e32 v24, v25, v24
	s_delay_alu instid0(VALU_DEP_1) | instskip(NEXT) | instid1(VALU_DEP_1)
	v_mul_f32_e32 v25, v23, v24
	v_fma_f32 v26, -v22, v25, v23
	s_delay_alu instid0(VALU_DEP_1) | instskip(NEXT) | instid1(VALU_DEP_1)
	v_fmac_f32_e32 v25, v26, v24
	v_fma_f32 v22, -v22, v25, v23
	s_delay_alu instid0(VALU_DEP_1) | instskip(NEXT) | instid1(VALU_DEP_1)
	v_div_fmas_f32 v22, v22, v24, v25
	v_div_fixup_f32 v21, v22, v21, |v4|
.LBB57_322:                             ;   in Loop: Header=BB57_5 Depth=1
	s_or_b32 exec_lo, exec_lo, s34
.LBB57_323:                             ;   in Loop: Header=BB57_5 Depth=1
	s_delay_alu instid0(SALU_CYCLE_1)
	s_or_b32 exec_lo, exec_lo, s33
.LBB57_324:                             ;   in Loop: Header=BB57_5 Depth=1
	s_and_not1_saveexec_b32 s31, s31
	s_cbranch_execz .LBB57_326
; %bb.325:                              ;   in Loop: Header=BB57_5 Depth=1
	v_mul_f32_e64 v21, 0x4f800000, |v4|
	v_cmp_gt_f32_e64 vcc_lo, 0xf800000, |v4|
	s_delay_alu instid0(VALU_DEP_1) | instskip(NEXT) | instid1(VALU_DEP_1)
	v_cndmask_b32_e64 v21, |v4|, v21, vcc_lo
	v_sqrt_f32_e32 v22, v21
	s_waitcnt_depctr 0xfff
	v_add_nc_u32_e32 v23, -1, v22
	v_add_nc_u32_e32 v24, 1, v22
	s_delay_alu instid0(VALU_DEP_2) | instskip(NEXT) | instid1(VALU_DEP_2)
	v_fma_f32 v25, -v23, v22, v21
	v_fma_f32 v26, -v24, v22, v21
	s_delay_alu instid0(VALU_DEP_2) | instskip(NEXT) | instid1(VALU_DEP_1)
	v_cmp_ge_f32_e64 s2, 0, v25
	v_cndmask_b32_e64 v22, v22, v23, s2
	s_delay_alu instid0(VALU_DEP_3) | instskip(NEXT) | instid1(VALU_DEP_1)
	v_cmp_lt_f32_e64 s2, 0, v26
	v_cndmask_b32_e64 v22, v22, v24, s2
	s_delay_alu instid0(VALU_DEP_1) | instskip(NEXT) | instid1(VALU_DEP_1)
	v_mul_f32_e32 v23, 0x37800000, v22
	v_cndmask_b32_e32 v22, v22, v23, vcc_lo
	v_cmp_class_f32_e64 vcc_lo, v21, 0x260
	s_delay_alu instid0(VALU_DEP_2)
	v_cndmask_b32_e32 v21, v22, v21, vcc_lo
.LBB57_326:                             ;   in Loop: Header=BB57_5 Depth=1
	s_or_b32 exec_lo, exec_lo, s31
.LBB57_327:                             ;   in Loop: Header=BB57_5 Depth=1
	s_delay_alu instid0(SALU_CYCLE_1) | instskip(NEXT) | instid1(SALU_CYCLE_1)
	s_or_b32 exec_lo, exec_lo, s3
	s_mov_b32 s31, exec_lo
                                        ; implicit-def: $sgpr2
                                        ; implicit-def: $vgpr22
                                        ; implicit-def: $vgpr24
                                        ; implicit-def: $vgpr23
	v_cmpx_ngt_f32_e64 0x21000000, |v3|
	s_xor_b32 s31, exec_lo, s31
	s_cbranch_execz .LBB57_351
; %bb.328:                              ;   in Loop: Header=BB57_5 Depth=1
	v_and_b32_e32 v23, 0x7fffffff, v3
	s_mov_b32 s2, 0
	s_mov_b32 s33, exec_lo
	s_delay_alu instid0(VALU_DEP_1) | instskip(NEXT) | instid1(VALU_DEP_1)
	v_div_scale_f32 v22, null, v1, v1, v23
	v_rcp_f32_e32 v24, v22
	s_waitcnt_depctr 0xfff
	v_fma_f32 v25, -v22, v24, 1.0
	s_delay_alu instid0(VALU_DEP_1) | instskip(SKIP_1) | instid1(VALU_DEP_1)
	v_fmac_f32_e32 v24, v25, v24
	v_div_scale_f32 v25, vcc_lo, v23, v1, v23
	v_mul_f32_e32 v26, v25, v24
	s_delay_alu instid0(VALU_DEP_1) | instskip(NEXT) | instid1(VALU_DEP_1)
	v_fma_f32 v27, -v22, v26, v25
	v_fmac_f32_e32 v26, v27, v24
	s_delay_alu instid0(VALU_DEP_1) | instskip(NEXT) | instid1(VALU_DEP_1)
	v_fma_f32 v22, -v22, v26, v25
	v_div_fmas_f32 v22, v22, v24, v26
                                        ; implicit-def: $vgpr24
	s_delay_alu instid0(VALU_DEP_1) | instskip(NEXT) | instid1(VALU_DEP_1)
	v_div_fixup_f32 v22, v22, v1, |v3|
	v_cmpx_lt_f32_e32 0x3f244674, v22
	s_cbranch_execz .LBB57_350
; %bb.329:                              ;   in Loop: Header=BB57_5 Depth=1
	v_cmp_neq_f32_e64 s2, |v3|, 1.0
	v_cmp_ngt_f32_e64 s3, 0x30800000, |v4|
                                        ; implicit-def: $sgpr34
                                        ; implicit-def: $vgpr24
	s_delay_alu instid0(VALU_DEP_1) | instskip(NEXT) | instid1(SALU_CYCLE_1)
	s_or_b32 s2, s2, s3
	s_and_saveexec_b32 s3, s2
	s_delay_alu instid0(SALU_CYCLE_1)
	s_xor_b32 s3, exec_lo, s3
	s_cbranch_execz .LBB57_347
; %bb.330:                              ;   in Loop: Header=BB57_5 Depth=1
	v_mul_f32_e64 v24, 0x34000000, |v2|
                                        ; implicit-def: $sgpr34
	s_delay_alu instid0(VALU_DEP_1) | instskip(NEXT) | instid1(VALU_DEP_1)
	v_cmp_le_f32_e64 s2, v24, |v4|
                                        ; implicit-def: $vgpr24
	s_and_saveexec_b32 s35, s2
	s_delay_alu instid0(SALU_CYCLE_1)
	s_xor_b32 s35, exec_lo, s35
	s_cbranch_execz .LBB57_340
; %bb.331:                              ;   in Loop: Header=BB57_5 Depth=1
	v_mov_b32_e32 v24, v19
	s_mov_b32 s2, exec_lo
	v_cmpx_neq_f32_e32 0, v11
	s_cbranch_execz .LBB57_333
; %bb.332:                              ;   in Loop: Header=BB57_5 Depth=1
	v_mul_f32_e32 v24, v4, v4
	v_add_f32_e32 v11, v11, v20
	s_delay_alu instid0(VALU_DEP_1) | instskip(NEXT) | instid1(VALU_DEP_1)
	v_div_scale_f32 v20, null, v11, v11, v24
	v_rcp_f32_e32 v25, v20
	s_waitcnt_depctr 0xfff
	v_fma_f32 v26, -v20, v25, 1.0
	s_delay_alu instid0(VALU_DEP_1) | instskip(SKIP_1) | instid1(VALU_DEP_1)
	v_fmac_f32_e32 v25, v26, v25
	v_div_scale_f32 v26, vcc_lo, v24, v11, v24
	v_mul_f32_e32 v27, v26, v25
	s_delay_alu instid0(VALU_DEP_1) | instskip(NEXT) | instid1(VALU_DEP_1)
	v_fma_f32 v28, -v20, v27, v26
	v_fmac_f32_e32 v27, v28, v25
	s_delay_alu instid0(VALU_DEP_1) | instskip(NEXT) | instid1(VALU_DEP_1)
	v_fma_f32 v20, -v20, v27, v26
	v_div_fmas_f32 v20, v20, v25, v27
	s_delay_alu instid0(VALU_DEP_1)
	v_div_fixup_f32 v24, v20, v11, v24
.LBB57_333:                             ;   in Loop: Header=BB57_5 Depth=1
	s_or_b32 exec_lo, exec_lo, s2
	s_delay_alu instid0(SALU_CYCLE_1)
	s_mov_b32 s2, exec_lo
	v_cmpx_ngt_f32_e32 0, v2
	s_xor_b32 s2, exec_lo, s2
	s_cbranch_execz .LBB57_337
; %bb.334:                              ;   in Loop: Header=BB57_5 Depth=1
	s_mov_b32 s34, exec_lo
	v_cmpx_neq_f32_e32 0, v2
	s_cbranch_execz .LBB57_336
; %bb.335:                              ;   in Loop: Header=BB57_5 Depth=1
	v_mul_f32_e32 v11, v4, v4
	v_add_f32_e32 v2, v2, v12
	s_delay_alu instid0(VALU_DEP_1) | instskip(NEXT) | instid1(VALU_DEP_1)
	v_div_scale_f32 v12, null, v2, v2, v11
	v_rcp_f32_e32 v19, v12
	s_waitcnt_depctr 0xfff
	v_fma_f32 v20, -v12, v19, 1.0
	s_delay_alu instid0(VALU_DEP_1) | instskip(SKIP_1) | instid1(VALU_DEP_1)
	v_fmac_f32_e32 v19, v20, v19
	v_div_scale_f32 v20, vcc_lo, v11, v2, v11
	v_mul_f32_e32 v25, v20, v19
	s_delay_alu instid0(VALU_DEP_1) | instskip(NEXT) | instid1(VALU_DEP_1)
	v_fma_f32 v26, -v12, v25, v20
	v_fmac_f32_e32 v25, v26, v19
	s_delay_alu instid0(VALU_DEP_1) | instskip(NEXT) | instid1(VALU_DEP_1)
	v_fma_f32 v12, -v12, v25, v20
	v_div_fmas_f32 v12, v12, v19, v25
	s_delay_alu instid0(VALU_DEP_1)
	v_div_fixup_f32 v19, v12, v2, v11
.LBB57_336:                             ;   in Loop: Header=BB57_5 Depth=1
	s_or_b32 exec_lo, exec_lo, s34
                                        ; implicit-def: $vgpr12
                                        ; implicit-def: $vgpr2
.LBB57_337:                             ;   in Loop: Header=BB57_5 Depth=1
	s_and_not1_saveexec_b32 s2, s2
; %bb.338:                              ;   in Loop: Header=BB57_5 Depth=1
	v_sub_f32_e32 v19, v12, v2
; %bb.339:                              ;   in Loop: Header=BB57_5 Depth=1
	s_or_b32 exec_lo, exec_lo, s2
	s_delay_alu instid0(VALU_DEP_1) | instskip(SKIP_2) | instid1(VALU_DEP_2)
	v_mul_f32_e32 v2, 0.5, v19
	v_add_f32_e64 v1, |v3|, v1
	s_mov_b32 s34, -1
	v_fmac_f32_e32 v2, 0.5, v24
	s_delay_alu instid0(VALU_DEP_1) | instskip(NEXT) | instid1(VALU_DEP_1)
	v_mul_f32_e32 v1, v1, v2
	v_mul_f32_e32 v2, 0x4f800000, v1
	v_cmp_gt_f32_e32 vcc_lo, 0xf800000, v1
	s_delay_alu instid0(VALU_DEP_2) | instskip(NEXT) | instid1(VALU_DEP_1)
	v_cndmask_b32_e32 v1, v1, v2, vcc_lo
	v_sqrt_f32_e32 v2, v1
	s_waitcnt_depctr 0xfff
	v_add_nc_u32_e32 v11, -1, v2
	v_add_nc_u32_e32 v12, 1, v2
	s_delay_alu instid0(VALU_DEP_2) | instskip(NEXT) | instid1(VALU_DEP_2)
	v_fma_f32 v19, -v11, v2, v1
	v_fma_f32 v20, -v12, v2, v1
	s_delay_alu instid0(VALU_DEP_2) | instskip(NEXT) | instid1(VALU_DEP_1)
	v_cmp_ge_f32_e64 s2, 0, v19
	v_cndmask_b32_e64 v2, v2, v11, s2
	s_delay_alu instid0(VALU_DEP_3) | instskip(NEXT) | instid1(VALU_DEP_1)
	v_cmp_lt_f32_e64 s2, 0, v20
	v_cndmask_b32_e64 v2, v2, v12, s2
	s_delay_alu instid0(VALU_DEP_1) | instskip(NEXT) | instid1(VALU_DEP_1)
	v_mul_f32_e32 v11, 0x37800000, v2
	v_cndmask_b32_e32 v2, v2, v11, vcc_lo
	v_cmp_class_f32_e64 vcc_lo, v1, 0x260
                                        ; implicit-def: $vgpr11
	s_delay_alu instid0(VALU_DEP_2)
	v_cndmask_b32_e32 v24, v2, v1, vcc_lo
                                        ; implicit-def: $vgpr2
.LBB57_340:                             ;   in Loop: Header=BB57_5 Depth=1
	s_and_not1_saveexec_b32 s35, s35
	s_cbranch_execz .LBB57_346
; %bb.341:                              ;   in Loop: Header=BB57_5 Depth=1
	s_mov_b32 s37, exec_lo
                                        ; implicit-def: $vgpr24
                                        ; implicit-def: $sgpr36
	v_cmpx_ngt_f32_e64 |v3|, 1.0
	s_xor_b32 s37, exec_lo, s37
	s_cbranch_execz .LBB57_343
; %bb.342:                              ;   in Loop: Header=BB57_5 Depth=1
	v_sub_f32_e64 v1, 1.0, |v3|
	s_mov_b32 s36, -1
	s_delay_alu instid0(VALU_DEP_1) | instskip(NEXT) | instid1(VALU_DEP_1)
	v_mul_f32_e32 v1, v1, v11
	v_mul_f32_e32 v2, 0x4f800000, v1
	v_cmp_gt_f32_e32 vcc_lo, 0xf800000, v1
	s_delay_alu instid0(VALU_DEP_2) | instskip(NEXT) | instid1(VALU_DEP_1)
	v_cndmask_b32_e32 v1, v1, v2, vcc_lo
	v_sqrt_f32_e32 v2, v1
	s_waitcnt_depctr 0xfff
	v_add_nc_u32_e32 v11, -1, v2
	v_add_nc_u32_e32 v12, 1, v2
	s_delay_alu instid0(VALU_DEP_2) | instskip(NEXT) | instid1(VALU_DEP_2)
	v_fma_f32 v19, -v11, v2, v1
	v_fma_f32 v20, -v12, v2, v1
	s_delay_alu instid0(VALU_DEP_2) | instskip(NEXT) | instid1(VALU_DEP_1)
	v_cmp_ge_f32_e64 s2, 0, v19
	v_cndmask_b32_e64 v2, v2, v11, s2
	s_delay_alu instid0(VALU_DEP_3) | instskip(NEXT) | instid1(VALU_DEP_1)
	v_cmp_lt_f32_e64 s2, 0, v20
	v_cndmask_b32_e64 v2, v2, v12, s2
	s_delay_alu instid0(VALU_DEP_1) | instskip(NEXT) | instid1(VALU_DEP_1)
	v_mul_f32_e32 v11, 0x37800000, v2
	v_cndmask_b32_e32 v2, v2, v11, vcc_lo
	v_cmp_class_f32_e64 vcc_lo, v1, 0x260
                                        ; implicit-def: $vgpr11
	s_delay_alu instid0(VALU_DEP_2)
	v_cndmask_b32_e32 v24, v2, v1, vcc_lo
                                        ; implicit-def: $vgpr2
.LBB57_343:                             ;   in Loop: Header=BB57_5 Depth=1
	s_and_not1_saveexec_b32 s37, s37
	s_cbranch_execz .LBB57_345
; %bb.344:                              ;   in Loop: Header=BB57_5 Depth=1
	v_mul_f32_e32 v1, v11, v2
	s_or_b32 s36, s36, exec_lo
	s_delay_alu instid0(VALU_DEP_1) | instskip(SKIP_1) | instid1(VALU_DEP_2)
	v_mul_f32_e32 v2, 0x4f800000, v1
	v_cmp_gt_f32_e32 vcc_lo, 0xf800000, v1
	v_cndmask_b32_e32 v1, v1, v2, vcc_lo
	s_delay_alu instid0(VALU_DEP_1) | instskip(SKIP_3) | instid1(VALU_DEP_2)
	v_sqrt_f32_e32 v2, v1
	s_waitcnt_depctr 0xfff
	v_add_nc_u32_e32 v11, -1, v2
	v_add_nc_u32_e32 v12, 1, v2
	v_fma_f32 v19, -v11, v2, v1
	s_delay_alu instid0(VALU_DEP_2) | instskip(NEXT) | instid1(VALU_DEP_2)
	v_fma_f32 v20, -v12, v2, v1
	v_cmp_ge_f32_e64 s2, 0, v19
	s_delay_alu instid0(VALU_DEP_1) | instskip(NEXT) | instid1(VALU_DEP_3)
	v_cndmask_b32_e64 v2, v2, v11, s2
	v_cmp_lt_f32_e64 s2, 0, v20
	s_delay_alu instid0(VALU_DEP_1) | instskip(SKIP_1) | instid1(VALU_DEP_2)
	v_cndmask_b32_e64 v2, v2, v12, s2
	v_mul_f32_e64 v12, 0x57800000, |v4|
	v_mul_f32_e32 v11, 0x37800000, v2
	s_delay_alu instid0(VALU_DEP_1) | instskip(SKIP_1) | instid1(VALU_DEP_4)
	v_cndmask_b32_e32 v2, v2, v11, vcc_lo
	v_cmp_class_f32_e64 vcc_lo, v1, 0x260
	v_mul_f32_e64 v11, |v3|, v12
	s_delay_alu instid0(VALU_DEP_3) | instskip(NEXT) | instid1(VALU_DEP_1)
	v_cndmask_b32_e32 v1, v2, v1, vcc_lo
	v_div_scale_f32 v2, null, v1, v1, v11
	v_div_scale_f32 v20, vcc_lo, v11, v1, v11
	s_delay_alu instid0(VALU_DEP_2) | instskip(SKIP_2) | instid1(VALU_DEP_1)
	v_rcp_f32_e32 v12, v2
	s_waitcnt_depctr 0xfff
	v_fma_f32 v19, -v2, v12, 1.0
	v_fmac_f32_e32 v12, v19, v12
	s_delay_alu instid0(VALU_DEP_1) | instskip(NEXT) | instid1(VALU_DEP_1)
	v_mul_f32_e32 v19, v20, v12
	v_fma_f32 v23, -v2, v19, v20
	s_delay_alu instid0(VALU_DEP_1) | instskip(SKIP_1) | instid1(VALU_DEP_2)
	v_fmac_f32_e32 v19, v23, v12
	v_mul_f32_e64 v23, 0x57800000, |v3|
	v_fma_f32 v2, -v2, v19, v20
	s_delay_alu instid0(VALU_DEP_1) | instskip(NEXT) | instid1(VALU_DEP_1)
	v_div_fmas_f32 v2, v2, v12, v19
	v_div_fixup_f32 v24, v2, v1, v11
.LBB57_345:                             ;   in Loop: Header=BB57_5 Depth=1
	s_or_b32 exec_lo, exec_lo, s37
	s_delay_alu instid0(SALU_CYCLE_1) | instskip(SKIP_1) | instid1(SALU_CYCLE_1)
	s_and_not1_b32 s2, s34, exec_lo
	s_and_b32 s34, s36, exec_lo
	s_or_b32 s34, s2, s34
.LBB57_346:                             ;   in Loop: Header=BB57_5 Depth=1
	s_or_b32 exec_lo, exec_lo, s35
	s_delay_alu instid0(SALU_CYCLE_1)
	s_and_b32 s34, s34, exec_lo
                                        ; implicit-def: $vgpr1
.LBB57_347:                             ;   in Loop: Header=BB57_5 Depth=1
	s_and_not1_saveexec_b32 s35, s3
	s_cbranch_execz .LBB57_349
; %bb.348:                              ;   in Loop: Header=BB57_5 Depth=1
	v_add_f32_e32 v1, 1.0, v1
	v_mul_f32_e64 v2, 0x4f800000, |v4|
	v_cmp_gt_f32_e64 vcc_lo, 0xf800000, |v4|
	s_or_b32 s34, s34, exec_lo
	s_delay_alu instid0(VALU_DEP_3) | instskip(NEXT) | instid1(VALU_DEP_2)
	v_mul_f32_e32 v1, 0.5, v1
	v_cndmask_b32_e64 v2, |v4|, v2, vcc_lo
	s_delay_alu instid0(VALU_DEP_2) | instskip(SKIP_1) | instid1(VALU_DEP_1)
	v_mul_f32_e32 v11, 0x4f800000, v1
	v_cmp_gt_f32_e64 s2, 0xf800000, v1
	v_cndmask_b32_e64 v1, v1, v11, s2
	s_delay_alu instid0(VALU_DEP_4) | instskip(NEXT) | instid1(VALU_DEP_1)
	v_sqrt_f32_e32 v11, v2
	v_sqrt_f32_e32 v12, v1
	s_waitcnt_depctr 0xfff
	v_add_nc_u32_e32 v19, -1, v11
	v_add_nc_u32_e32 v23, 1, v11
	v_add_nc_u32_e32 v20, -1, v12
	s_delay_alu instid0(VALU_DEP_3) | instskip(SKIP_1) | instid1(VALU_DEP_4)
	v_fma_f32 v24, -v19, v11, v2
	v_add_nc_u32_e32 v25, 1, v12
	v_fma_f32 v27, -v23, v11, v2
	s_delay_alu instid0(VALU_DEP_4) | instskip(NEXT) | instid1(VALU_DEP_4)
	v_fma_f32 v26, -v20, v12, v1
	v_cmp_ge_f32_e64 s3, 0, v24
	s_delay_alu instid0(VALU_DEP_1) | instskip(NEXT) | instid1(VALU_DEP_3)
	v_cndmask_b32_e64 v11, v11, v19, s3
	v_cmp_ge_f32_e64 s3, 0, v26
	v_fma_f32 v19, -v25, v12, v1
	s_delay_alu instid0(VALU_DEP_2) | instskip(SKIP_1) | instid1(VALU_DEP_1)
	v_cndmask_b32_e64 v12, v12, v20, s3
	v_cmp_lt_f32_e64 s3, 0, v27
	v_cndmask_b32_e64 v11, v11, v23, s3
	s_delay_alu instid0(VALU_DEP_4) | instskip(SKIP_1) | instid1(VALU_DEP_3)
	v_cmp_lt_f32_e64 s3, 0, v19
	v_mov_b32_e32 v23, 1.0
	v_mul_f32_e32 v19, 0x37800000, v11
	s_delay_alu instid0(VALU_DEP_3) | instskip(NEXT) | instid1(VALU_DEP_1)
	v_cndmask_b32_e64 v12, v12, v25, s3
	v_dual_cndmask_b32 v11, v11, v19 :: v_dual_mul_f32 v20, 0x37800000, v12
	v_cmp_class_f32_e64 vcc_lo, v2, 0x260
	s_delay_alu instid0(VALU_DEP_2) | instskip(NEXT) | instid1(VALU_DEP_3)
	v_cndmask_b32_e64 v12, v12, v20, s2
	v_cndmask_b32_e32 v2, v11, v2, vcc_lo
	v_cmp_class_f32_e64 vcc_lo, v1, 0x260
	s_delay_alu instid0(VALU_DEP_3) | instskip(NEXT) | instid1(VALU_DEP_1)
	v_cndmask_b32_e32 v1, v12, v1, vcc_lo
	v_mul_f32_e32 v24, v2, v1
.LBB57_349:                             ;   in Loop: Header=BB57_5 Depth=1
	s_or_b32 exec_lo, exec_lo, s35
	s_delay_alu instid0(SALU_CYCLE_1)
	s_and_b32 s2, s34, exec_lo
.LBB57_350:                             ;   in Loop: Header=BB57_5 Depth=1
	s_or_b32 exec_lo, exec_lo, s33
	s_delay_alu instid0(SALU_CYCLE_1)
	s_and_b32 s2, s2, exec_lo
                                        ; implicit-def: $vgpr1
.LBB57_351:                             ;   in Loop: Header=BB57_5 Depth=1
	s_and_not1_saveexec_b32 s3, s31
; %bb.352:                              ;   in Loop: Header=BB57_5 Depth=1
	v_mul_f32_e32 v24, 0x4b800000, v1
	v_mul_f32_e64 v23, 0x4b800000, |v3|
	s_or_b32 s2, s2, exec_lo
                                        ; implicit-def: $vgpr22
; %bb.353:                              ;   in Loop: Header=BB57_5 Depth=1
	s_or_b32 exec_lo, exec_lo, s3
	s_xor_b32 s2, s2, -1
                                        ; implicit-def: $vgpr1
	s_delay_alu instid0(SALU_CYCLE_1) | instskip(NEXT) | instid1(SALU_CYCLE_1)
	s_and_saveexec_b32 s3, s2
	s_xor_b32 s2, exec_lo, s3
	s_cbranch_execz .LBB57_355
; %bb.354:                              ;   in Loop: Header=BB57_5 Depth=1
	v_fma_f32 v1, |v22|, -0.5, 0.5
	v_mul_f32_e32 v2, v22, v22
	v_cmp_ge_f32_e64 vcc_lo, |v22|, 0.5
                                        ; implicit-def: $vgpr23
                                        ; implicit-def: $vgpr24
	s_delay_alu instid0(VALU_DEP_2) | instskip(SKIP_1) | instid1(VALU_DEP_2)
	v_cndmask_b32_e32 v1, v2, v1, vcc_lo
	v_cmp_lt_f32_e64 vcc_lo, |v22|, 0.5
	v_fmaak_f32 v2, s25, v1, 0x3c5fc5da
	v_sqrt_f32_e32 v11, v1
	s_delay_alu instid0(VALU_DEP_1) | instskip(NEXT) | instid1(VALU_DEP_1)
	v_fmaak_f32 v2, v1, v2, 0x3d034c3c
	v_fmaak_f32 v2, v1, v2, 0x3d3641b1
	s_delay_alu instid0(VALU_DEP_1) | instskip(NEXT) | instid1(VALU_DEP_1)
	v_fmaak_f32 v2, v1, v2, 0x3d999bc8
	v_fmaak_f32 v2, v1, v2, 0x3e2aaaac
	s_delay_alu instid0(VALU_DEP_1) | instskip(SKIP_3) | instid1(VALU_DEP_2)
	v_mul_f32_e32 v1, v1, v2
	s_waitcnt_depctr 0xfff
	v_fmac_f32_e32 v11, v11, v1
	v_fma_f32 v1, |v22|, v1, |v22|
	v_add_f32_e32 v2, v11, v11
	s_delay_alu instid0(VALU_DEP_1) | instskip(NEXT) | instid1(VALU_DEP_1)
	v_sub_f32_e32 v2, 0x3fc90fdb, v2
	v_cndmask_b32_e32 v1, v2, v1, vcc_lo
	s_delay_alu instid0(VALU_DEP_1)
	v_bfi_b32 v1, 0x7fffffff, v1, v22
.LBB57_355:                             ;   in Loop: Header=BB57_5 Depth=1
	s_and_not1_saveexec_b32 s31, s2
	s_cbranch_execz .LBB57_357
; %bb.356:                              ;   in Loop: Header=BB57_5 Depth=1
	v_max_f32_e32 v1, v23, v23
	v_max_f32_e64 v2, |v24|, |v24|
	v_cmp_gt_f32_e64 vcc_lo, v23, |v24|
	v_cmp_eq_f32_e64 s3, 0, v23
	v_cmp_class_f32_e64 s33, v24, 0x204
	v_cmp_eq_f32_e64 s2, 0x7f800000, v23
	v_max_f32_e32 v11, v2, v1
	v_min_f32_e32 v1, v2, v1
	s_delay_alu instid0(VALU_DEP_2) | instskip(SKIP_1) | instid1(VALU_DEP_2)
	v_frexp_mant_f32_e32 v12, v11
	v_frexp_exp_i32_f32_e32 v11, v11
	v_rcp_f32_e32 v2, v12
	s_delay_alu instid0(VALU_DEP_3) | instskip(SKIP_1) | instid1(VALU_DEP_2)
	v_frexp_exp_i32_f32_e32 v12, v1
	v_frexp_mant_f32_e32 v1, v1
	v_sub_nc_u32_e32 v11, v12, v11
	s_waitcnt_depctr 0xfff
	v_mul_f32_e32 v1, v1, v2
	s_delay_alu instid0(VALU_DEP_1) | instskip(NEXT) | instid1(VALU_DEP_1)
	v_ldexp_f32 v1, v1, v11
	v_mul_f32_e32 v2, v1, v1
	s_delay_alu instid0(VALU_DEP_1) | instskip(NEXT) | instid1(VALU_DEP_1)
	v_fmaak_f32 v11, s26, v2, 0xbc7a590c
	v_fmaak_f32 v11, v2, v11, 0x3d29fb3f
	s_delay_alu instid0(VALU_DEP_1) | instskip(NEXT) | instid1(VALU_DEP_1)
	v_fmaak_f32 v11, v2, v11, 0xbd97d4d7
	v_fmaak_f32 v11, v2, v11, 0x3dd931b2
	;; [unrolled: 3-line block ×3, first 2 shown]
	s_delay_alu instid0(VALU_DEP_1) | instskip(NEXT) | instid1(VALU_DEP_1)
	v_fmaak_f32 v11, v2, v11, 0xbeaaaa62
	v_mul_f32_e32 v2, v2, v11
	s_delay_alu instid0(VALU_DEP_1) | instskip(NEXT) | instid1(VALU_DEP_1)
	v_fmac_f32_e32 v1, v1, v2
	v_sub_f32_e32 v2, 0x3fc90fdb, v1
	s_delay_alu instid0(VALU_DEP_1) | instskip(SKIP_1) | instid1(VALU_DEP_2)
	v_cndmask_b32_e32 v1, v1, v2, vcc_lo
	v_cmp_gt_i32_e32 vcc_lo, 0, v24
	v_sub_f32_e32 v2, 0x40490fdb, v1
	v_cndmask_b32_e64 v11, 0, 0x40490fdb, vcc_lo
	v_cmp_gt_f32_e32 vcc_lo, 0, v24
	s_delay_alu instid0(VALU_DEP_3) | instskip(SKIP_2) | instid1(VALU_DEP_2)
	v_cndmask_b32_e32 v1, v1, v2, vcc_lo
	v_cndmask_b32_e32 v2, 0x3f490fdb, v18, vcc_lo
	s_and_b32 vcc_lo, s2, s33
	v_cndmask_b32_e64 v1, v1, v11, s3
	s_delay_alu instid0(VALU_DEP_1) | instskip(SKIP_1) | instid1(VALU_DEP_2)
	v_cndmask_b32_e32 v1, v1, v2, vcc_lo
	v_cmp_o_f32_e32 vcc_lo, v24, v23
	v_cndmask_b32_e64 v1, 0x7fc00000, |v1|, vcc_lo
.LBB57_357:                             ;   in Loop: Header=BB57_5 Depth=1
	s_or_b32 exec_lo, exec_lo, s31
	v_bfi_b32 v4, 0x7fffffff, v21, v4
	s_delay_alu instid0(VALU_DEP_2)
	v_bfi_b32 v3, 0x7fffffff, v1, v3
.LBB57_358:                             ;   in Loop: Header=BB57_5 Depth=1
	s_or_b32 exec_lo, exec_lo, s30
.LBB57_359:                             ;   in Loop: Header=BB57_5 Depth=1
	s_delay_alu instid0(SALU_CYCLE_1) | instskip(NEXT) | instid1(VALU_DEP_1)
	s_or_b32 exec_lo, exec_lo, s29
	v_dual_mov_b32 v11, v3 :: v_dual_mov_b32 v12, v4
                                        ; implicit-def: $vgpr1_vgpr2_vgpr3_vgpr4
                                        ; implicit-def: $vgpr1
                                        ; implicit-def: $vgpr19
                                        ; implicit-def: $vgpr2
.LBB57_360:                             ;   in Loop: Header=BB57_5 Depth=1
	s_and_not1_saveexec_b32 s28, s28
	s_cbranch_execz .LBB57_382
; %bb.361:                              ;   in Loop: Header=BB57_5 Depth=1
                                        ; implicit-def: $vgpr11
                                        ; implicit-def: $vgpr12
	s_mov_b32 s2, exec_lo
	v_cmpx_lt_i32_e32 -1, v4
	s_xor_b32 s29, exec_lo, s2
	s_cbranch_execz .LBB57_371
; %bb.362:                              ;   in Loop: Header=BB57_5 Depth=1
	v_cmp_lt_f32_e64 s2, |v4|, |v3|
                                        ; implicit-def: $vgpr11
                                        ; implicit-def: $vgpr12
	s_mov_b32 s3, exec_lo
	s_delay_alu instid0(VALU_DEP_1) | instskip(NEXT) | instid1(VALU_DEP_1)
	v_cndmask_b32_e64 v20, |v4|, |v3|, s2
	v_cmpx_nlt_f32_e32 0x7effffff, v20
	s_xor_b32 s30, exec_lo, s3
	s_cbranch_execz .LBB57_368
; %bb.363:                              ;   in Loop: Header=BB57_5 Depth=1
	v_cndmask_b32_e64 v21, |v3|, |v4|, s2
	v_cmp_nlt_f32_e32 vcc_lo, 0x5e000000, v20
                                        ; implicit-def: $vgpr11
                                        ; implicit-def: $vgpr12
	s_delay_alu instid0(VALU_DEP_2) | instskip(NEXT) | instid1(VALU_DEP_1)
	v_cmp_ngt_f32_e64 s3, 0x20000000, v21
	s_and_b32 s3, vcc_lo, s3
	s_delay_alu instid0(SALU_CYCLE_1) | instskip(NEXT) | instid1(SALU_CYCLE_1)
	s_and_saveexec_b32 s31, s3
	s_xor_b32 s31, exec_lo, s31
	s_cbranch_execz .LBB57_365
; %bb.364:                              ;   in Loop: Header=BB57_5 Depth=1
	s_waitcnt lgkmcnt(0)
	v_frexp_mant_f32_e32 v11, v2
	v_min_f32_e32 v1, v1, v19
	v_mul_f32_e32 v19, v21, v21
	v_frexp_exp_i32_f32_e32 v2, v2
	s_delay_alu instid0(VALU_DEP_4) | instskip(NEXT) | instid1(VALU_DEP_3)
	v_rcp_f32_e32 v11, v11
	v_frexp_mant_f32_e32 v12, v1
	v_frexp_exp_i32_f32_e32 v1, v1
	v_fmac_f32_e32 v19, v20, v20
	s_delay_alu instid0(VALU_DEP_2) | instskip(NEXT) | instid1(VALU_DEP_2)
	v_sub_nc_u32_e32 v1, v1, v2
	v_cmp_gt_f32_e32 vcc_lo, 0x800000, v19
	s_waitcnt_depctr 0xfff
	v_mul_f32_e32 v11, v12, v11
	v_cndmask_b32_e64 v2, 1.0, 0x4f800000, vcc_lo
	s_delay_alu instid0(VALU_DEP_2) | instskip(NEXT) | instid1(VALU_DEP_1)
	v_ldexp_f32 v12, v11, v1
	v_dual_mul_f32 v1, v19, v2 :: v_dual_mul_f32 v2, v12, v12
	s_delay_alu instid0(VALU_DEP_1) | instskip(NEXT) | instid1(VALU_DEP_1)
	v_log_f32_e32 v1, v1
	v_fmaak_f32 v11, s26, v2, 0xbc7a590c
	s_delay_alu instid0(VALU_DEP_1) | instskip(SKIP_4) | instid1(VALU_DEP_3)
	v_fmaak_f32 v11, v2, v11, 0x3d29fb3f
	s_waitcnt_depctr 0xfff
	v_mul_f32_e32 v19, 0x3f317217, v1
	v_cmp_gt_f32_e64 s3, 0x7f800000, |v1|
	v_fmaak_f32 v11, v2, v11, 0xbd97d4d7
	v_fma_f32 v20, 0x3f317217, v1, -v19
	s_delay_alu instid0(VALU_DEP_2) | instskip(NEXT) | instid1(VALU_DEP_2)
	v_fmaak_f32 v11, v2, v11, 0x3dd931b2
	v_fmac_f32_e32 v20, 0x3377d1cf, v1
	s_delay_alu instid0(VALU_DEP_2) | instskip(NEXT) | instid1(VALU_DEP_2)
	v_fmaak_f32 v11, v2, v11, 0xbe1160e6
	v_add_f32_e32 v19, v19, v20
	s_delay_alu instid0(VALU_DEP_2) | instskip(NEXT) | instid1(VALU_DEP_2)
	v_fmaak_f32 v11, v2, v11, 0x3e4cb8bf
	v_cndmask_b32_e64 v1, v1, v19, s3
	v_cndmask_b32_e64 v19, 0, 0x41b17218, vcc_lo
	s_delay_alu instid0(VALU_DEP_3) | instskip(NEXT) | instid1(VALU_DEP_2)
	v_fmaak_f32 v11, v2, v11, 0xbeaaaa62
	v_sub_f32_e32 v1, v1, v19
	s_delay_alu instid0(VALU_DEP_2) | instskip(NEXT) | instid1(VALU_DEP_1)
	v_mul_f32_e32 v2, v2, v11
                                        ; implicit-def: $vgpr19
	v_dual_mul_f32 v11, 0.5, v1 :: v_dual_fmac_f32 v12, v12, v2
                                        ; implicit-def: $vgpr2
                                        ; implicit-def: $vgpr1
.LBB57_365:                             ;   in Loop: Header=BB57_5 Depth=1
	s_and_not1_saveexec_b32 s3, s31
	s_cbranch_execz .LBB57_367
; %bb.366:                              ;   in Loop: Header=BB57_5 Depth=1
	s_waitcnt lgkmcnt(0)
	v_cvt_f64_f32_e32 v[11:12], v2
	v_cmp_neq_f32_e32 vcc_lo, 0x7f800000, v2
	v_min_f32_e32 v1, v1, v19
	v_frexp_exp_i32_f32_e32 v19, v2
	s_delay_alu instid0(VALU_DEP_2) | instskip(SKIP_1) | instid1(VALU_DEP_2)
	v_frexp_exp_i32_f32_e32 v21, v1
	v_frexp_mant_f32_e32 v1, v1
	v_sub_nc_u32_e32 v19, v21, v19
	v_frexp_exp_i32_f64_e32 v11, v[11:12]
	s_delay_alu instid0(VALU_DEP_1) | instskip(NEXT) | instid1(VALU_DEP_1)
	v_sub_nc_u32_e32 v12, 0, v11
	v_ldexp_f32 v20, |v3|, v12
	v_ldexp_f32 v12, |v4|, v12
	s_delay_alu instid0(VALU_DEP_2) | instskip(NEXT) | instid1(VALU_DEP_1)
	v_mul_f32_e32 v20, v20, v20
	v_fmac_f32_e32 v20, v12, v12
	v_frexp_mant_f32_e32 v12, v2
	s_delay_alu instid0(VALU_DEP_2) | instskip(NEXT) | instid1(VALU_DEP_1)
	v_sqrt_f32_e32 v20, v20
	v_rcp_f32_e32 v12, v12
	s_waitcnt_depctr 0xfff
	v_ldexp_f32 v11, v20, v11
	s_delay_alu instid0(VALU_DEP_1) | instskip(NEXT) | instid1(VALU_DEP_1)
	v_dual_mul_f32 v1, v1, v12 :: v_dual_cndmask_b32 v2, 0x7f800000, v11
	v_ldexp_f32 v12, v1, v19
	s_delay_alu instid0(VALU_DEP_2) | instskip(SKIP_1) | instid1(VALU_DEP_1)
	v_cmp_gt_f32_e32 vcc_lo, 0x800000, v2
	v_cndmask_b32_e64 v1, 1.0, 0x4f800000, vcc_lo
	v_mul_f32_e32 v1, v2, v1
	s_delay_alu instid0(VALU_DEP_1) | instskip(SKIP_2) | instid1(VALU_DEP_1)
	v_log_f32_e32 v1, v1
	s_waitcnt_depctr 0xfff
	v_mul_f32_e32 v19, 0x3f317217, v1
	v_fma_f32 v20, 0x3f317217, v1, -v19
	s_delay_alu instid0(VALU_DEP_1) | instskip(NEXT) | instid1(VALU_DEP_1)
	v_dual_mul_f32 v11, v12, v12 :: v_dual_fmac_f32 v20, 0x3377d1cf, v1
	v_dual_fmaak_f32 v2, s26, v11, 0xbc7a590c :: v_dual_add_f32 v19, v19, v20
	v_cndmask_b32_e64 v20, 0, 0x41b17218, vcc_lo
	v_cmp_gt_f32_e64 vcc_lo, 0x7f800000, |v1|
	s_delay_alu instid0(VALU_DEP_3) | instskip(NEXT) | instid1(VALU_DEP_1)
	v_dual_fmaak_f32 v2, v11, v2, 0x3d29fb3f :: v_dual_cndmask_b32 v1, v1, v19
	v_fmaak_f32 v2, v11, v2, 0xbd97d4d7
	s_delay_alu instid0(VALU_DEP_1) | instskip(NEXT) | instid1(VALU_DEP_1)
	v_fmaak_f32 v2, v11, v2, 0x3dd931b2
	v_fmaak_f32 v2, v11, v2, 0xbe1160e6
	s_delay_alu instid0(VALU_DEP_1) | instskip(NEXT) | instid1(VALU_DEP_1)
	v_fmaak_f32 v2, v11, v2, 0x3e4cb8bf
	v_fmaak_f32 v2, v11, v2, 0xbeaaaa62
	s_delay_alu instid0(VALU_DEP_1) | instskip(NEXT) | instid1(VALU_DEP_1)
	v_dual_mul_f32 v2, v11, v2 :: v_dual_sub_f32 v11, v1, v20
	v_fmac_f32_e32 v12, v12, v2
.LBB57_367:                             ;   in Loop: Header=BB57_5 Depth=1
	s_or_b32 exec_lo, exec_lo, s3
                                        ; implicit-def: $vgpr1
                                        ; implicit-def: $vgpr19
                                        ; implicit-def: $vgpr2
.LBB57_368:                             ;   in Loop: Header=BB57_5 Depth=1
	s_and_not1_saveexec_b32 s30, s30
	s_cbranch_execz .LBB57_370
; %bb.369:                              ;   in Loop: Header=BB57_5 Depth=1
	v_div_scale_f32 v11, null, 0x402df854, 0x402df854, v4
	v_div_scale_f32 v12, null, 0x402df854, 0x402df854, v3
	v_div_scale_f32 v24, vcc_lo, v4, 0x402df854, v4
	s_delay_alu instid0(VALU_DEP_3) | instskip(NEXT) | instid1(VALU_DEP_2)
	v_rcp_f32_e32 v20, v11
	v_rcp_f32_e32 v21, v12
	v_min_f32_e32 v1, v1, v19
	s_waitcnt_depctr 0xfff
	v_fma_f32 v22, -v11, v20, 1.0
	v_fma_f32 v23, -v12, v21, 1.0
	s_delay_alu instid0(VALU_DEP_1) | instskip(SKIP_1) | instid1(VALU_DEP_2)
	v_dual_fmac_f32 v20, v22, v20 :: v_dual_fmac_f32 v21, v23, v21
	v_div_scale_f32 v22, s3, v3, 0x402df854, v3
	v_mul_f32_e32 v23, v24, v20
	s_delay_alu instid0(VALU_DEP_2) | instskip(NEXT) | instid1(VALU_DEP_2)
	v_mul_f32_e32 v25, v22, v21
	v_fma_f32 v26, -v11, v23, v24
	s_delay_alu instid0(VALU_DEP_2) | instskip(NEXT) | instid1(VALU_DEP_2)
	v_fma_f32 v27, -v12, v25, v22
	v_fmac_f32_e32 v23, v26, v20
	s_delay_alu instid0(VALU_DEP_2) | instskip(NEXT) | instid1(VALU_DEP_2)
	v_fmac_f32_e32 v25, v27, v21
	v_fma_f32 v11, -v11, v23, v24
	s_delay_alu instid0(VALU_DEP_2) | instskip(NEXT) | instid1(VALU_DEP_2)
	v_fma_f32 v12, -v12, v25, v22
	v_div_fmas_f32 v11, v11, v20, v23
	s_mov_b32 vcc_lo, s3
	s_delay_alu instid0(VALU_DEP_2) | instskip(NEXT) | instid1(VALU_DEP_2)
	v_div_fmas_f32 v12, v12, v21, v25
	v_div_fixup_f32 v20, v11, 0x402df854, v4
	s_delay_alu instid0(VALU_DEP_2) | instskip(NEXT) | instid1(VALU_DEP_1)
	v_div_fixup_f32 v21, v12, 0x402df854, v3
	v_max_f32_e64 v22, |v20|, |v21|
	s_delay_alu instid0(VALU_DEP_1) | instskip(SKIP_1) | instid1(VALU_DEP_2)
	v_cvt_f64_f32_e32 v[11:12], v22
	v_cmp_neq_f32_e32 vcc_lo, 0x7f800000, v22
	v_frexp_exp_i32_f64_e32 v11, v[11:12]
	s_delay_alu instid0(VALU_DEP_1) | instskip(NEXT) | instid1(VALU_DEP_1)
	v_sub_nc_u32_e32 v12, 0, v11
	v_ldexp_f32 v21, |v21|, v12
	v_ldexp_f32 v12, |v20|, v12
	s_delay_alu instid0(VALU_DEP_2) | instskip(NEXT) | instid1(VALU_DEP_1)
	v_mul_f32_e32 v20, v21, v21
	v_fmac_f32_e32 v20, v12, v12
	s_delay_alu instid0(VALU_DEP_1) | instskip(SKIP_3) | instid1(VALU_DEP_2)
	v_sqrt_f32_e32 v12, v20
	s_waitcnt lgkmcnt(0)
	v_frexp_mant_f32_e32 v20, v2
	v_frexp_exp_i32_f32_e32 v2, v2
	v_rcp_f32_e32 v19, v20
	s_waitcnt_depctr 0xfff
	v_ldexp_f32 v11, v12, v11
	v_frexp_exp_i32_f32_e32 v12, v1
	v_frexp_mant_f32_e32 v1, v1
	s_delay_alu instid0(VALU_DEP_3) | instskip(NEXT) | instid1(VALU_DEP_3)
	v_cndmask_b32_e32 v11, 0x7f800000, v11, vcc_lo
	v_sub_nc_u32_e32 v2, v12, v2
	s_delay_alu instid0(VALU_DEP_3) | instskip(NEXT) | instid1(VALU_DEP_3)
	v_mul_f32_e32 v1, v1, v19
	v_cmp_gt_f32_e32 vcc_lo, 0x800000, v11
	s_delay_alu instid0(VALU_DEP_2) | instskip(SKIP_1) | instid1(VALU_DEP_1)
	v_ldexp_f32 v12, v1, v2
	v_cndmask_b32_e64 v19, 1.0, 0x4f800000, vcc_lo
	v_dual_mul_f32 v2, v12, v12 :: v_dual_mul_f32 v1, v11, v19
	s_delay_alu instid0(VALU_DEP_1) | instskip(NEXT) | instid1(VALU_DEP_2)
	v_fmaak_f32 v11, s26, v2, 0xbc7a590c
	v_log_f32_e32 v1, v1
	s_delay_alu instid0(VALU_DEP_1) | instskip(NEXT) | instid1(VALU_DEP_1)
	v_fmaak_f32 v11, v2, v11, 0x3d29fb3f
	v_fmaak_f32 v11, v2, v11, 0xbd97d4d7
	s_delay_alu instid0(VALU_DEP_1) | instskip(NEXT) | instid1(VALU_DEP_1)
	v_fmaak_f32 v11, v2, v11, 0x3dd931b2
	v_fmaak_f32 v11, v2, v11, 0xbe1160e6
	;; [unrolled: 3-line block ×3, first 2 shown]
	s_delay_alu instid0(TRANS32_DEP_1) | instid1(VALU_DEP_1)
	v_dual_mul_f32 v19, 0x3f317217, v1 :: v_dual_mul_f32 v2, v2, v11
	s_delay_alu instid0(VALU_DEP_1) | instskip(NEXT) | instid1(VALU_DEP_2)
	v_fma_f32 v20, 0x3f317217, v1, -v19
	v_fmac_f32_e32 v12, v12, v2
	s_delay_alu instid0(VALU_DEP_2) | instskip(NEXT) | instid1(VALU_DEP_1)
	v_fmac_f32_e32 v20, 0x3377d1cf, v1
	v_add_f32_e32 v19, v19, v20
	v_cndmask_b32_e64 v20, 0, 0x41b17218, vcc_lo
	v_cmp_gt_f32_e64 vcc_lo, 0x7f800000, |v1|
	s_delay_alu instid0(VALU_DEP_3) | instskip(NEXT) | instid1(VALU_DEP_1)
	v_cndmask_b32_e32 v1, v1, v19, vcc_lo
	v_sub_f32_e32 v1, v1, v20
	s_delay_alu instid0(VALU_DEP_1)
	v_add_f32_e32 v11, 1.0, v1
.LBB57_370:                             ;   in Loop: Header=BB57_5 Depth=1
	s_or_b32 exec_lo, exec_lo, s30
	v_sub_f32_e32 v1, 0x3fc90fdb, v12
                                        ; implicit-def: $vgpr19
                                        ; implicit-def: $vgpr2
	s_delay_alu instid0(VALU_DEP_1)
	v_cndmask_b32_e64 v12, v12, v1, s2
                                        ; implicit-def: $vgpr1
.LBB57_371:                             ;   in Loop: Header=BB57_5 Depth=1
	s_and_not1_saveexec_b32 s29, s29
	s_cbranch_execz .LBB57_381
; %bb.372:                              ;   in Loop: Header=BB57_5 Depth=1
	v_cmp_lt_f32_e64 s2, |v4|, |v3|
                                        ; implicit-def: $vgpr11
                                        ; implicit-def: $vgpr12
	s_mov_b32 s3, exec_lo
	s_delay_alu instid0(VALU_DEP_1) | instskip(NEXT) | instid1(VALU_DEP_1)
	v_cndmask_b32_e64 v20, |v4|, |v3|, s2
	v_cmpx_nlt_f32_e32 0x7effffff, v20
	s_xor_b32 s30, exec_lo, s3
	s_cbranch_execz .LBB57_378
; %bb.373:                              ;   in Loop: Header=BB57_5 Depth=1
	v_cndmask_b32_e64 v21, |v3|, |v4|, s2
	v_cmp_nlt_f32_e32 vcc_lo, 0x5e000000, v20
                                        ; implicit-def: $vgpr11
                                        ; implicit-def: $vgpr12
	s_delay_alu instid0(VALU_DEP_2) | instskip(NEXT) | instid1(VALU_DEP_1)
	v_cmp_ngt_f32_e64 s3, 0x20000000, v21
	s_and_b32 s3, vcc_lo, s3
	s_delay_alu instid0(SALU_CYCLE_1) | instskip(NEXT) | instid1(SALU_CYCLE_1)
	s_and_saveexec_b32 s31, s3
	s_xor_b32 s31, exec_lo, s31
	s_cbranch_execz .LBB57_375
; %bb.374:                              ;   in Loop: Header=BB57_5 Depth=1
	s_waitcnt lgkmcnt(0)
	v_frexp_mant_f32_e32 v11, v2
	v_min_f32_e32 v1, v1, v19
	v_mul_f32_e32 v19, v21, v21
	v_frexp_exp_i32_f32_e32 v2, v2
	s_delay_alu instid0(VALU_DEP_4) | instskip(NEXT) | instid1(VALU_DEP_3)
	v_rcp_f32_e32 v11, v11
	v_frexp_mant_f32_e32 v12, v1
	v_frexp_exp_i32_f32_e32 v1, v1
	v_fmac_f32_e32 v19, v20, v20
	s_delay_alu instid0(VALU_DEP_2) | instskip(NEXT) | instid1(VALU_DEP_2)
	v_sub_nc_u32_e32 v1, v1, v2
	v_cmp_gt_f32_e32 vcc_lo, 0x800000, v19
	s_waitcnt_depctr 0xfff
	v_mul_f32_e32 v11, v12, v11
	v_cndmask_b32_e64 v2, 1.0, 0x4f800000, vcc_lo
	s_delay_alu instid0(VALU_DEP_2) | instskip(NEXT) | instid1(VALU_DEP_1)
	v_ldexp_f32 v12, v11, v1
	v_dual_mul_f32 v1, v19, v2 :: v_dual_mul_f32 v2, v12, v12
	s_delay_alu instid0(VALU_DEP_1) | instskip(NEXT) | instid1(VALU_DEP_1)
	v_log_f32_e32 v1, v1
	v_fmaak_f32 v11, s26, v2, 0xbc7a590c
	s_delay_alu instid0(VALU_DEP_1) | instskip(SKIP_4) | instid1(VALU_DEP_3)
	v_fmaak_f32 v11, v2, v11, 0x3d29fb3f
	s_waitcnt_depctr 0xfff
	v_mul_f32_e32 v19, 0x3f317217, v1
	v_cmp_gt_f32_e64 s3, 0x7f800000, |v1|
	v_fmaak_f32 v11, v2, v11, 0xbd97d4d7
	v_fma_f32 v20, 0x3f317217, v1, -v19
	s_delay_alu instid0(VALU_DEP_2) | instskip(NEXT) | instid1(VALU_DEP_2)
	v_fmaak_f32 v11, v2, v11, 0x3dd931b2
	v_fmac_f32_e32 v20, 0x3377d1cf, v1
	s_delay_alu instid0(VALU_DEP_2) | instskip(NEXT) | instid1(VALU_DEP_2)
	v_fmaak_f32 v11, v2, v11, 0xbe1160e6
	v_add_f32_e32 v19, v19, v20
	s_delay_alu instid0(VALU_DEP_2) | instskip(NEXT) | instid1(VALU_DEP_2)
	v_fmaak_f32 v11, v2, v11, 0x3e4cb8bf
	v_cndmask_b32_e64 v1, v1, v19, s3
	v_cndmask_b32_e64 v19, 0, 0x41b17218, vcc_lo
	s_delay_alu instid0(VALU_DEP_3) | instskip(NEXT) | instid1(VALU_DEP_2)
	v_fmaak_f32 v11, v2, v11, 0xbeaaaa62
	v_sub_f32_e32 v1, v1, v19
	s_delay_alu instid0(VALU_DEP_2) | instskip(NEXT) | instid1(VALU_DEP_1)
	v_mul_f32_e32 v2, v2, v11
                                        ; implicit-def: $vgpr19
	v_dual_mul_f32 v11, 0.5, v1 :: v_dual_fmac_f32 v12, v12, v2
                                        ; implicit-def: $vgpr2
                                        ; implicit-def: $vgpr1
.LBB57_375:                             ;   in Loop: Header=BB57_5 Depth=1
	s_and_not1_saveexec_b32 s3, s31
	s_cbranch_execz .LBB57_377
; %bb.376:                              ;   in Loop: Header=BB57_5 Depth=1
	s_waitcnt lgkmcnt(0)
	v_cvt_f64_f32_e32 v[11:12], v2
	v_cmp_neq_f32_e32 vcc_lo, 0x7f800000, v2
	v_min_f32_e32 v1, v1, v19
	v_frexp_exp_i32_f32_e32 v19, v2
	s_delay_alu instid0(VALU_DEP_2) | instskip(SKIP_1) | instid1(VALU_DEP_2)
	v_frexp_exp_i32_f32_e32 v21, v1
	v_frexp_mant_f32_e32 v1, v1
	v_sub_nc_u32_e32 v19, v21, v19
	v_frexp_exp_i32_f64_e32 v11, v[11:12]
	s_delay_alu instid0(VALU_DEP_1) | instskip(NEXT) | instid1(VALU_DEP_1)
	v_sub_nc_u32_e32 v12, 0, v11
	v_ldexp_f32 v20, |v3|, v12
	v_ldexp_f32 v12, |v4|, v12
	s_delay_alu instid0(VALU_DEP_2) | instskip(NEXT) | instid1(VALU_DEP_1)
	v_mul_f32_e32 v20, v20, v20
	v_fmac_f32_e32 v20, v12, v12
	v_frexp_mant_f32_e32 v12, v2
	s_delay_alu instid0(VALU_DEP_2) | instskip(NEXT) | instid1(VALU_DEP_1)
	v_sqrt_f32_e32 v20, v20
	v_rcp_f32_e32 v12, v12
	s_waitcnt_depctr 0xfff
	v_ldexp_f32 v11, v20, v11
	s_delay_alu instid0(VALU_DEP_1) | instskip(NEXT) | instid1(VALU_DEP_1)
	v_dual_mul_f32 v1, v1, v12 :: v_dual_cndmask_b32 v2, 0x7f800000, v11
	v_ldexp_f32 v12, v1, v19
	s_delay_alu instid0(VALU_DEP_2) | instskip(SKIP_1) | instid1(VALU_DEP_1)
	v_cmp_gt_f32_e32 vcc_lo, 0x800000, v2
	v_cndmask_b32_e64 v1, 1.0, 0x4f800000, vcc_lo
	v_mul_f32_e32 v1, v2, v1
	s_delay_alu instid0(VALU_DEP_1) | instskip(SKIP_2) | instid1(VALU_DEP_1)
	v_log_f32_e32 v1, v1
	s_waitcnt_depctr 0xfff
	v_mul_f32_e32 v19, 0x3f317217, v1
	v_fma_f32 v20, 0x3f317217, v1, -v19
	s_delay_alu instid0(VALU_DEP_1) | instskip(NEXT) | instid1(VALU_DEP_1)
	v_dual_mul_f32 v11, v12, v12 :: v_dual_fmac_f32 v20, 0x3377d1cf, v1
	v_dual_fmaak_f32 v2, s26, v11, 0xbc7a590c :: v_dual_add_f32 v19, v19, v20
	v_cndmask_b32_e64 v20, 0, 0x41b17218, vcc_lo
	v_cmp_gt_f32_e64 vcc_lo, 0x7f800000, |v1|
	s_delay_alu instid0(VALU_DEP_3) | instskip(NEXT) | instid1(VALU_DEP_1)
	v_dual_fmaak_f32 v2, v11, v2, 0x3d29fb3f :: v_dual_cndmask_b32 v1, v1, v19
	v_fmaak_f32 v2, v11, v2, 0xbd97d4d7
	s_delay_alu instid0(VALU_DEP_1) | instskip(NEXT) | instid1(VALU_DEP_1)
	v_fmaak_f32 v2, v11, v2, 0x3dd931b2
	v_fmaak_f32 v2, v11, v2, 0xbe1160e6
	s_delay_alu instid0(VALU_DEP_1) | instskip(NEXT) | instid1(VALU_DEP_1)
	v_fmaak_f32 v2, v11, v2, 0x3e4cb8bf
	v_fmaak_f32 v2, v11, v2, 0xbeaaaa62
	s_delay_alu instid0(VALU_DEP_1) | instskip(NEXT) | instid1(VALU_DEP_1)
	v_dual_mul_f32 v2, v11, v2 :: v_dual_sub_f32 v11, v1, v20
	v_fmac_f32_e32 v12, v12, v2
.LBB57_377:                             ;   in Loop: Header=BB57_5 Depth=1
	s_or_b32 exec_lo, exec_lo, s3
                                        ; implicit-def: $vgpr1
                                        ; implicit-def: $vgpr19
                                        ; implicit-def: $vgpr2
.LBB57_378:                             ;   in Loop: Header=BB57_5 Depth=1
	s_and_not1_saveexec_b32 s30, s30
	s_cbranch_execz .LBB57_380
; %bb.379:                              ;   in Loop: Header=BB57_5 Depth=1
	v_div_scale_f32 v11, null, 0xc02df854, 0xc02df854, v4
	v_div_scale_f32 v12, null, 0xc02df854, 0xc02df854, v3
	v_div_scale_f32 v24, vcc_lo, v4, 0xc02df854, v4
	s_delay_alu instid0(VALU_DEP_3) | instskip(NEXT) | instid1(VALU_DEP_2)
	v_rcp_f32_e32 v20, v11
	v_rcp_f32_e32 v21, v12
	v_min_f32_e32 v1, v1, v19
	s_waitcnt_depctr 0xfff
	v_fma_f32 v22, -v11, v20, 1.0
	v_fma_f32 v23, -v12, v21, 1.0
	s_delay_alu instid0(VALU_DEP_1) | instskip(SKIP_1) | instid1(VALU_DEP_2)
	v_dual_fmac_f32 v20, v22, v20 :: v_dual_fmac_f32 v21, v23, v21
	v_div_scale_f32 v22, s3, v3, 0xc02df854, v3
	v_mul_f32_e32 v23, v24, v20
	s_delay_alu instid0(VALU_DEP_2) | instskip(NEXT) | instid1(VALU_DEP_2)
	v_mul_f32_e32 v25, v22, v21
	v_fma_f32 v26, -v11, v23, v24
	s_delay_alu instid0(VALU_DEP_2) | instskip(NEXT) | instid1(VALU_DEP_2)
	v_fma_f32 v27, -v12, v25, v22
	v_fmac_f32_e32 v23, v26, v20
	s_delay_alu instid0(VALU_DEP_2) | instskip(NEXT) | instid1(VALU_DEP_2)
	v_fmac_f32_e32 v25, v27, v21
	v_fma_f32 v11, -v11, v23, v24
	s_delay_alu instid0(VALU_DEP_2) | instskip(NEXT) | instid1(VALU_DEP_2)
	v_fma_f32 v12, -v12, v25, v22
	v_div_fmas_f32 v11, v11, v20, v23
	s_mov_b32 vcc_lo, s3
	s_delay_alu instid0(VALU_DEP_2) | instskip(NEXT) | instid1(VALU_DEP_2)
	v_div_fmas_f32 v12, v12, v21, v25
	v_div_fixup_f32 v20, v11, 0xc02df854, v4
	s_delay_alu instid0(VALU_DEP_2) | instskip(NEXT) | instid1(VALU_DEP_1)
	v_div_fixup_f32 v21, v12, 0xc02df854, v3
	v_max_f32_e64 v22, |v20|, |v21|
	s_delay_alu instid0(VALU_DEP_1) | instskip(SKIP_1) | instid1(VALU_DEP_2)
	v_cvt_f64_f32_e32 v[11:12], v22
	v_cmp_neq_f32_e32 vcc_lo, 0x7f800000, v22
	v_frexp_exp_i32_f64_e32 v11, v[11:12]
	s_delay_alu instid0(VALU_DEP_1) | instskip(NEXT) | instid1(VALU_DEP_1)
	v_sub_nc_u32_e32 v12, 0, v11
	v_ldexp_f32 v21, |v21|, v12
	v_ldexp_f32 v12, |v20|, v12
	s_delay_alu instid0(VALU_DEP_2) | instskip(NEXT) | instid1(VALU_DEP_1)
	v_mul_f32_e32 v20, v21, v21
	v_fmac_f32_e32 v20, v12, v12
	s_delay_alu instid0(VALU_DEP_1) | instskip(SKIP_3) | instid1(VALU_DEP_2)
	v_sqrt_f32_e32 v12, v20
	s_waitcnt lgkmcnt(0)
	v_frexp_mant_f32_e32 v20, v2
	v_frexp_exp_i32_f32_e32 v2, v2
	v_rcp_f32_e32 v19, v20
	s_waitcnt_depctr 0xfff
	v_ldexp_f32 v11, v12, v11
	v_frexp_exp_i32_f32_e32 v12, v1
	v_frexp_mant_f32_e32 v1, v1
	s_delay_alu instid0(VALU_DEP_3) | instskip(NEXT) | instid1(VALU_DEP_3)
	v_cndmask_b32_e32 v11, 0x7f800000, v11, vcc_lo
	v_sub_nc_u32_e32 v2, v12, v2
	s_delay_alu instid0(VALU_DEP_3) | instskip(NEXT) | instid1(VALU_DEP_3)
	v_mul_f32_e32 v1, v1, v19
	v_cmp_gt_f32_e32 vcc_lo, 0x800000, v11
	s_delay_alu instid0(VALU_DEP_2) | instskip(SKIP_1) | instid1(VALU_DEP_1)
	v_ldexp_f32 v12, v1, v2
	v_cndmask_b32_e64 v19, 1.0, 0x4f800000, vcc_lo
	v_dual_mul_f32 v2, v12, v12 :: v_dual_mul_f32 v1, v11, v19
	s_delay_alu instid0(VALU_DEP_1) | instskip(NEXT) | instid1(VALU_DEP_2)
	v_fmaak_f32 v11, s26, v2, 0xbc7a590c
	v_log_f32_e32 v1, v1
	s_delay_alu instid0(VALU_DEP_1) | instskip(NEXT) | instid1(VALU_DEP_1)
	v_fmaak_f32 v11, v2, v11, 0x3d29fb3f
	v_fmaak_f32 v11, v2, v11, 0xbd97d4d7
	s_delay_alu instid0(VALU_DEP_1) | instskip(NEXT) | instid1(VALU_DEP_1)
	v_fmaak_f32 v11, v2, v11, 0x3dd931b2
	v_fmaak_f32 v11, v2, v11, 0xbe1160e6
	;; [unrolled: 3-line block ×3, first 2 shown]
	s_delay_alu instid0(TRANS32_DEP_1) | instid1(VALU_DEP_1)
	v_dual_mul_f32 v19, 0x3f317217, v1 :: v_dual_mul_f32 v2, v2, v11
	s_delay_alu instid0(VALU_DEP_1) | instskip(NEXT) | instid1(VALU_DEP_2)
	v_fma_f32 v20, 0x3f317217, v1, -v19
	v_fmac_f32_e32 v12, v12, v2
	s_delay_alu instid0(VALU_DEP_2) | instskip(NEXT) | instid1(VALU_DEP_1)
	v_fmac_f32_e32 v20, 0x3377d1cf, v1
	v_add_f32_e32 v19, v19, v20
	v_cndmask_b32_e64 v20, 0, 0x41b17218, vcc_lo
	v_cmp_gt_f32_e64 vcc_lo, 0x7f800000, |v1|
	s_delay_alu instid0(VALU_DEP_3) | instskip(NEXT) | instid1(VALU_DEP_1)
	v_cndmask_b32_e32 v1, v1, v19, vcc_lo
	v_sub_f32_e32 v1, v1, v20
	s_delay_alu instid0(VALU_DEP_1)
	v_add_f32_e32 v11, 1.0, v1
.LBB57_380:                             ;   in Loop: Header=BB57_5 Depth=1
	s_or_b32 exec_lo, exec_lo, s30
	v_sub_f32_e32 v1, 0x3fc90fdb, v12
	s_delay_alu instid0(VALU_DEP_1)
	v_cndmask_b32_e64 v12, v12, v1, s2
.LBB57_381:                             ;   in Loop: Header=BB57_5 Depth=1
	s_or_b32 exec_lo, exec_lo, s29
	v_cmp_neq_f32_e32 vcc_lo, 0, v3
	v_cmp_class_f32_e64 s2, v4, 0x204
	v_cmp_class_f32_e64 s3, v3, 0x204
	s_waitcnt lgkmcnt(0)
	v_dual_add_f32 v2, 0x3f317218, v11 :: v_dual_cndmask_b32 v1, 0, v12
	v_cmp_o_f32_e32 vcc_lo, v3, v4
	s_delay_alu instid0(VALU_DEP_3) | instskip(NEXT) | instid1(VALU_DEP_2)
	s_and_b32 s2, s3, s2
	v_bfi_b32 v12, 0x7fffffff, v2, v4
	s_delay_alu instid0(VALU_DEP_3) | instskip(NEXT) | instid1(VALU_DEP_1)
	v_cndmask_b32_e64 v1, v1, 0x3f490fdb, s2
	v_cndmask_b32_e32 v1, 0x7fc00000, v1, vcc_lo
	s_delay_alu instid0(VALU_DEP_1)
	v_bfi_b32 v11, 0x7fffffff, v1, v3
.LBB57_382:                             ;   in Loop: Header=BB57_5 Depth=1
	s_or_b32 exec_lo, exec_lo, s28
                                        ; implicit-def: $vgpr4
.LBB57_383:                             ;   in Loop: Header=BB57_5 Depth=1
	s_and_not1_saveexec_b32 s2, s27
	s_cbranch_execz .LBB57_4
; %bb.384:                              ;   in Loop: Header=BB57_5 Depth=1
	v_cmp_neq_f32_e64 s3, 0x7f800000, |v4|
	s_delay_alu instid0(VALU_DEP_1) | instskip(NEXT) | instid1(SALU_CYCLE_1)
	s_and_saveexec_b32 s27, s3
	s_xor_b32 s3, exec_lo, s27
	s_cbranch_execz .LBB57_394
; %bb.385:                              ;   in Loop: Header=BB57_5 Depth=1
	v_cmp_neq_f32_e64 s27, 0x7f800000, |v3|
	s_delay_alu instid0(VALU_DEP_1) | instskip(NEXT) | instid1(SALU_CYCLE_1)
	s_and_saveexec_b32 s28, s27
	s_xor_b32 s27, exec_lo, s28
	s_cbranch_execz .LBB57_391
; %bb.386:                              ;   in Loop: Header=BB57_5 Depth=1
	s_mov_b32 s28, exec_lo
	v_cmpx_neq_f32_e32 0, v3
	s_xor_b32 s28, exec_lo, s28
; %bb.387:                              ;   in Loop: Header=BB57_5 Depth=1
	v_add_f32_e32 v1, 0, v4
	s_delay_alu instid0(VALU_DEP_1)
	v_add_f32_e32 v11, v3, v1
                                        ; implicit-def: $vgpr1_vgpr2_vgpr3_vgpr4
; %bb.388:                              ;   in Loop: Header=BB57_5 Depth=1
	s_or_saveexec_b32 s28, s28
	s_delay_alu instid0(VALU_DEP_1)
	v_mov_b32_e32 v12, v11
	s_xor_b32 exec_lo, exec_lo, s28
; %bb.389:                              ;   in Loop: Header=BB57_5 Depth=1
	v_dual_add_f32 v12, v4, v4 :: v_dual_mov_b32 v11, v3
; %bb.390:                              ;   in Loop: Header=BB57_5 Depth=1
	s_or_b32 exec_lo, exec_lo, s28
                                        ; implicit-def: $vgpr1_vgpr2_vgpr3_vgpr4
.LBB57_391:                             ;   in Loop: Header=BB57_5 Depth=1
	s_and_not1_saveexec_b32 s27, s27
; %bb.392:                              ;   in Loop: Header=BB57_5 Depth=1
	v_dual_add_f32 v11, v4, v4 :: v_dual_mov_b32 v12, v3
; %bb.393:                              ;   in Loop: Header=BB57_5 Depth=1
	s_or_b32 exec_lo, exec_lo, s27
                                        ; implicit-def: $vgpr1_vgpr2_vgpr3_vgpr4
.LBB57_394:                             ;   in Loop: Header=BB57_5 Depth=1
	s_and_not1_saveexec_b32 s3, s3
	s_cbranch_execz .LBB57_3
; %bb.395:                              ;   in Loop: Header=BB57_5 Depth=1
	v_dual_add_f32 v11, v3, v3 :: v_dual_mov_b32 v12, v4
	s_branch .LBB57_3
.LBB57_396:
	s_or_b32 exec_lo, exec_lo, s22
	s_mov_b32 s2, 0
.LBB57_397:
	s_delay_alu instid0(SALU_CYCLE_1)
	s_and_not1_b32 vcc_lo, exec_lo, s2
	s_cbranch_vccnz .LBB57_809
; %bb.398:
	v_cmp_lt_i64_e64 s2, s[8:9], 1
	s_delay_alu instid0(VALU_DEP_1)
	s_and_b32 vcc_lo, exec_lo, s2
	s_cbranch_vccnz .LBB57_809
; %bb.399:
	s_load_b32 s0, s[0:1], 0xc5c
	v_dual_mov_b32 v1, 0 :: v_dual_mov_b32 v26, 0xd800000
	v_cmp_gt_u64_e64 s1, 0x10000, s[8:9]
	v_lshl_or_b32 v2, v0, 3, 4
	v_mov_b32_e32 v27, 0x4016cbe4
	s_delay_alu instid0(VALU_DEP_4) | instskip(SKIP_3) | instid1(VALU_DEP_1)
	v_mov_b32_e32 v3, v1
	s_mov_b32 s11, 0
	s_mov_b64 s[12:13], src_private_base
	v_add_co_u32 v10, s2, s18, v2
	v_add_co_ci_u32_e64 v11, null, s19, 0, s2
	s_mov_b32 s14, 4
	s_mov_b32 s12, 0
	;; [unrolled: 1-line block ×6, first 2 shown]
	s_waitcnt lgkmcnt(0)
	s_and_b32 s20, s0, 0xffff
	s_and_b32 s0, s1, exec_lo
	v_add_lshl_u32 v6, v0, s20, 3
	v_mad_u64_u32 v[4:5], null, s20, 24, v[2:3]
	v_add_co_u32 v12, s0, s4, v2
	s_delay_alu instid0(VALU_DEP_1) | instskip(NEXT) | instid1(VALU_DEP_4)
	v_add_co_ci_u32_e64 v13, null, s5, 0, s0
	v_add_co_u32 v14, s0, s4, v6
	s_delay_alu instid0(VALU_DEP_1)
	v_add_co_ci_u32_e64 v15, null, s5, 0, s0
	v_add_co_u32 v18, s0, s18, v6
	s_cselect_b32 s17, s9, 0
	s_cselect_b32 s16, s8, 0x10000
	v_add_co_ci_u32_e64 v19, null, s19, 0, s0
	s_lshl_b32 s0, s20, 4
	v_add_co_u32 v16, vcc_lo, s18, v4
	v_add_co_u32 v2, s0, v2, s0
	v_add_co_ci_u32_e32 v17, vcc_lo, s19, v5, vcc_lo
	v_add_co_ci_u32_e64 v3, null, 0, 0, s0
	v_add_co_u32 v20, vcc_lo, s4, v4
	v_add_co_ci_u32_e32 v21, vcc_lo, s5, v5, vcc_lo
	v_add_co_u32 v22, vcc_lo, s18, v2
	s_delay_alu instid0(VALU_DEP_4)
	v_add_co_ci_u32_e32 v23, vcc_lo, s19, v3, vcc_lo
	v_add_co_u32 v24, vcc_lo, s4, v2
	v_add_co_ci_u32_e32 v25, vcc_lo, s5, v3, vcc_lo
	s_lshl_b32 s10, s20, 2
	s_lshl_b32 s21, s20, 1
	s_mul_i32 s22, s20, 3
	s_lshl_b32 s23, s20, 5
	s_mov_b64 s[18:19], s[10:11]
	s_branch .LBB57_401
.LBB57_400:                             ;   in Loop: Header=BB57_401 Depth=1
	s_or_b32 exec_lo, exec_lo, s0
	v_add_co_u32 v0, vcc_lo, v0, s10
	v_add_co_ci_u32_e32 v1, vcc_lo, 0, v1, vcc_lo
	v_add_co_u32 v10, vcc_lo, v10, s23
	v_add_co_ci_u32_e32 v11, vcc_lo, 0, v11, vcc_lo
	;; [unrolled: 2-line block ×7, first 2 shown]
	v_cmp_ge_i64_e64 s0, s[18:19], s[8:9]
	v_cmp_lt_u64_e64 s1, 0xffff, s[18:19]
	v_add_co_u32 v22, vcc_lo, v22, s23
	v_add_co_ci_u32_e32 v23, vcc_lo, 0, v23, vcc_lo
	v_add_co_u32 v24, vcc_lo, v24, s23
	v_add_co_ci_u32_e32 v25, vcc_lo, 0, v25, vcc_lo
	s_or_b32 s0, s0, s1
	s_add_u32 s18, s18, s10
	s_addc_u32 s19, s19, 0
	s_and_b32 vcc_lo, exec_lo, s0
	s_cbranch_vccnz .LBB57_809
.LBB57_401:                             ; =>This Inner Loop Header: Depth=1
	v_cmp_gt_u64_e64 s0, s[16:17], v[0:1]
	v_dual_mov_b32 v5, 0 :: v_dual_mov_b32 v4, 0
	s_delay_alu instid0(VALU_DEP_2)
	s_and_saveexec_b32 s1, s0
	s_cbranch_execz .LBB57_403
; %bb.402:                              ;   in Loop: Header=BB57_401 Depth=1
	v_add_co_u32 v2, vcc_lo, v10, s6
	v_add_co_ci_u32_e32 v3, vcc_lo, s7, v11, vcc_lo
	global_load_b64 v[4:5], v[2:3], off offset:-4
.LBB57_403:                             ;   in Loop: Header=BB57_401 Depth=1
	s_or_b32 exec_lo, exec_lo, s1
	v_add_co_u32 v6, vcc_lo, s20, v0
	v_add_co_ci_u32_e32 v7, vcc_lo, 0, v1, vcc_lo
	v_mov_b32_e32 v3, 0
	s_delay_alu instid0(VALU_DEP_2) | instskip(SKIP_1) | instid1(VALU_DEP_2)
	v_cmp_gt_u64_e64 s1, s[16:17], v[6:7]
	v_dual_mov_b32 v6, 0 :: v_dual_mov_b32 v7, 0
	s_and_saveexec_b32 s2, s1
	s_cbranch_execz .LBB57_405
; %bb.404:                              ;   in Loop: Header=BB57_401 Depth=1
	v_add_co_u32 v6, vcc_lo, v18, s6
	v_add_co_ci_u32_e32 v7, vcc_lo, s7, v19, vcc_lo
	global_load_b64 v[6:7], v[6:7], off
.LBB57_405:                             ;   in Loop: Header=BB57_401 Depth=1
	s_or_b32 exec_lo, exec_lo, s2
	v_add_co_u32 v8, vcc_lo, s21, v0
	v_add_co_ci_u32_e32 v9, vcc_lo, 0, v1, vcc_lo
	v_mov_b32_e32 v2, 0
	s_delay_alu instid0(VALU_DEP_2) | instskip(NEXT) | instid1(VALU_DEP_1)
	v_cmp_gt_u64_e64 s2, s[16:17], v[8:9]
	s_and_saveexec_b32 s3, s2
	s_cbranch_execz .LBB57_407
; %bb.406:                              ;   in Loop: Header=BB57_401 Depth=1
	v_add_co_u32 v2, vcc_lo, v22, s6
	v_add_co_ci_u32_e32 v3, vcc_lo, s7, v23, vcc_lo
	global_load_b64 v[2:3], v[2:3], off offset:-4
.LBB57_407:                             ;   in Loop: Header=BB57_401 Depth=1
	s_or_b32 exec_lo, exec_lo, s3
	v_add_co_u32 v8, vcc_lo, s22, v0
	v_add_co_ci_u32_e32 v9, vcc_lo, 0, v1, vcc_lo
	s_delay_alu instid0(VALU_DEP_1) | instskip(SKIP_1) | instid1(VALU_DEP_2)
	v_cmp_gt_u64_e64 s3, s[16:17], v[8:9]
	v_dual_mov_b32 v9, 0 :: v_dual_mov_b32 v8, 0
	s_and_saveexec_b32 s4, s3
	s_cbranch_execz .LBB57_409
; %bb.408:                              ;   in Loop: Header=BB57_401 Depth=1
	v_add_co_u32 v8, vcc_lo, v16, s6
	v_add_co_ci_u32_e32 v9, vcc_lo, s7, v17, vcc_lo
	global_load_b64 v[8:9], v[8:9], off offset:-4
.LBB57_409:                             ;   in Loop: Header=BB57_401 Depth=1
	s_or_b32 exec_lo, exec_lo, s4
	s_waitcnt vmcnt(0)
	v_cmp_o_f32_e32 vcc_lo, v5, v5
	v_cmp_o_f32_e64 s4, v4, v4
	s_delay_alu instid0(VALU_DEP_1) | instskip(NEXT) | instid1(SALU_CYCLE_1)
	s_and_b32 s4, vcc_lo, s4
	s_and_saveexec_b32 s5, s4
	s_delay_alu instid0(SALU_CYCLE_1)
	s_xor_b32 s11, exec_lo, s5
	s_cbranch_execz .LBB57_493
; %bb.410:                              ;   in Loop: Header=BB57_401 Depth=1
	v_max_f32_e64 v30, |v4|, |v4|
	v_max_f32_e64 v28, |v5|, |v5|
	s_mov_b32 s4, exec_lo
	s_waitcnt lgkmcnt(0)
	s_delay_alu instid0(VALU_DEP_1) | instskip(NEXT) | instid1(VALU_DEP_1)
	v_max_f32_e32 v29, v28, v30
	v_cmpx_nlt_f32_e32 0x4b000000, v29
	s_xor_b32 s27, exec_lo, s4
	s_cbranch_execz .LBB57_470
; %bb.411:                              ;   in Loop: Header=BB57_401 Depth=1
	v_cmp_neq_f32_e32 vcc_lo, 0, v5
	v_cmp_neq_f32_e64 s4, 0, v4
	s_delay_alu instid0(VALU_DEP_1) | instskip(NEXT) | instid1(SALU_CYCLE_1)
	s_or_b32 s4, vcc_lo, s4
	s_and_saveexec_b32 s28, s4
	s_cbranch_execz .LBB57_469
; %bb.412:                              ;   in Loop: Header=BB57_401 Depth=1
	v_dual_mov_b32 v30, s13 :: v_dual_mov_b32 v29, s12
	v_cmp_ngt_f32_e64 s4, 0x395db3d7, |v5|
	v_cmp_ngt_f32_e64 s5, 0x395db3d7, |v4|
	flat_store_b32 v[29:30], v26 dlc
	s_waitcnt_vscnt null, 0x0
	flat_load_b32 v29, v[29:30] glc dlc
	s_waitcnt vmcnt(0)
	s_or_b32 s4, s4, s5
	s_waitcnt lgkmcnt(0)
	v_dual_add_f32 v31, 1.0, v29 :: v_dual_mov_b32 v30, s15
	v_mov_b32_e32 v29, s14
	flat_store_b32 v[29:30], v31 dlc
	s_waitcnt_vscnt null, 0x0
	flat_load_b32 v29, v[29:30] glc dlc
	s_waitcnt vmcnt(0)
	s_and_saveexec_b32 s29, s4
	s_cbranch_execz .LBB57_468
; %bb.413:                              ;   in Loop: Header=BB57_401 Depth=1
	v_add_f32_e64 v30, |v4|, 1.0
	s_waitcnt lgkmcnt(0)
	v_add_f32_e64 v29, |v4|, -1.0
	s_mov_b32 s4, exec_lo
	s_delay_alu instid0(VALU_DEP_2) | instskip(NEXT) | instid1(VALU_DEP_2)
	v_max_f32_e64 v35, v28, |v30|
	v_max_f32_e64 v28, v28, |v29|
	s_delay_alu instid0(VALU_DEP_2) | instskip(NEXT) | instid1(VALU_DEP_2)
	v_cvt_f64_f32_e32 v[31:32], v35
	v_cvt_f64_f32_e32 v[33:34], v28
	v_cmp_neq_f32_e32 vcc_lo, 0x7f800000, v35
	s_delay_alu instid0(VALU_DEP_3) | instskip(NEXT) | instid1(VALU_DEP_3)
	v_frexp_exp_i32_f64_e32 v31, v[31:32]
	v_frexp_exp_i32_f64_e32 v32, v[33:34]
	s_delay_alu instid0(VALU_DEP_2) | instskip(NEXT) | instid1(VALU_DEP_2)
	v_sub_nc_u32_e32 v33, 0, v31
	v_sub_nc_u32_e32 v34, 0, v32
	s_delay_alu instid0(VALU_DEP_2) | instskip(NEXT) | instid1(VALU_DEP_2)
	v_ldexp_f32 v36, |v30|, v33
	v_ldexp_f32 v37, |v29|, v34
	v_ldexp_f32 v33, |v5|, v33
	v_ldexp_f32 v34, |v5|, v34
	s_delay_alu instid0(VALU_DEP_3) | instskip(NEXT) | instid1(VALU_DEP_1)
	v_dual_mul_f32 v36, v36, v36 :: v_dual_mul_f32 v37, v37, v37
	v_dual_fmac_f32 v36, v33, v33 :: v_dual_fmac_f32 v37, v34, v34
	s_delay_alu instid0(VALU_DEP_1) | instskip(NEXT) | instid1(VALU_DEP_1)
	v_sqrt_f32_e32 v33, v36
	v_sqrt_f32_e32 v34, v37
	s_waitcnt_depctr 0xfff
	v_ldexp_f32 v31, v33, v31
	v_ldexp_f32 v32, v34, v32
                                        ; implicit-def: $vgpr34
	s_delay_alu instid0(VALU_DEP_2) | instskip(SKIP_1) | instid1(VALU_DEP_3)
	v_cndmask_b32_e32 v33, 0x7f800000, v31, vcc_lo
	v_cmp_neq_f32_e32 vcc_lo, 0x7f800000, v28
	v_cndmask_b32_e32 v31, 0x7f800000, v32, vcc_lo
	s_delay_alu instid0(VALU_DEP_1) | instskip(NEXT) | instid1(VALU_DEP_1)
	v_add_f32_e32 v28, v33, v31
	v_mul_f32_e32 v28, 0.5, v28
	s_delay_alu instid0(VALU_DEP_1) | instskip(SKIP_1) | instid1(VALU_DEP_1)
	v_cmp_ngt_f32_e32 vcc_lo, 1.0, v28
	v_cndmask_b32_e32 v28, 1.0, v28, vcc_lo
	v_cmpx_ngt_f32_e32 0x41200000, v28
	s_xor_b32 s5, exec_lo, s4
	s_cbranch_execz .LBB57_415
; %bb.414:                              ;   in Loop: Header=BB57_401 Depth=1
	v_fma_f32 v32, v28, v28, -1.0
	s_delay_alu instid0(VALU_DEP_1) | instskip(SKIP_1) | instid1(VALU_DEP_2)
	v_mul_f32_e32 v34, 0x4f800000, v32
	v_cmp_gt_f32_e32 vcc_lo, 0xf800000, v32
	v_cndmask_b32_e32 v32, v32, v34, vcc_lo
	s_delay_alu instid0(VALU_DEP_1) | instskip(SKIP_3) | instid1(VALU_DEP_2)
	v_sqrt_f32_e32 v34, v32
	s_waitcnt_depctr 0xfff
	v_add_nc_u32_e32 v35, -1, v34
	v_add_nc_u32_e32 v36, 1, v34
	v_fma_f32 v37, -v35, v34, v32
	s_delay_alu instid0(VALU_DEP_2) | instskip(NEXT) | instid1(VALU_DEP_2)
	v_fma_f32 v38, -v36, v34, v32
	v_cmp_ge_f32_e64 s4, 0, v37
	s_delay_alu instid0(VALU_DEP_1) | instskip(NEXT) | instid1(VALU_DEP_3)
	v_cndmask_b32_e64 v34, v34, v35, s4
	v_cmp_lt_f32_e64 s4, 0, v38
	s_delay_alu instid0(VALU_DEP_1) | instskip(NEXT) | instid1(VALU_DEP_1)
	v_cndmask_b32_e64 v34, v34, v36, s4
	v_mul_f32_e32 v35, 0x37800000, v34
	s_delay_alu instid0(VALU_DEP_1) | instskip(SKIP_1) | instid1(VALU_DEP_2)
	v_cndmask_b32_e32 v34, v34, v35, vcc_lo
	v_cmp_class_f32_e64 vcc_lo, v32, 0x260
	v_cndmask_b32_e32 v32, v34, v32, vcc_lo
	s_delay_alu instid0(VALU_DEP_1) | instskip(NEXT) | instid1(VALU_DEP_1)
	v_add_f32_e32 v32, v28, v32
	v_cmp_gt_f32_e32 vcc_lo, 0x800000, v32
	s_delay_alu instid0(VALU_DEP_4) | instskip(NEXT) | instid1(VALU_DEP_1)
	v_cndmask_b32_e64 v34, 1.0, 0x4f800000, vcc_lo
	v_mul_f32_e32 v32, v32, v34
	s_delay_alu instid0(VALU_DEP_1) | instskip(SKIP_3) | instid1(VALU_DEP_2)
	v_log_f32_e32 v32, v32
	s_waitcnt_depctr 0xfff
	v_mul_f32_e32 v34, 0x3f317217, v32
	v_cmp_gt_f32_e64 s4, 0x7f800000, |v32|
	v_fma_f32 v35, 0x3f317217, v32, -v34
	s_delay_alu instid0(VALU_DEP_1) | instskip(NEXT) | instid1(VALU_DEP_1)
	v_fmac_f32_e32 v35, 0x3377d1cf, v32
	v_add_f32_e32 v34, v34, v35
	s_delay_alu instid0(VALU_DEP_1) | instskip(SKIP_1) | instid1(VALU_DEP_1)
	v_cndmask_b32_e64 v32, v32, v34, s4
	v_cndmask_b32_e64 v34, 0, 0x41b17218, vcc_lo
	v_sub_f32_e32 v34, v32, v34
.LBB57_415:                             ;   in Loop: Header=BB57_401 Depth=1
	s_or_saveexec_b32 s5, s5
	v_and_b32_e32 v32, 0x7fffffff, v5
	s_xor_b32 exec_lo, exec_lo, s5
	s_cbranch_execz .LBB57_437
; %bb.416:                              ;   in Loop: Header=BB57_401 Depth=1
	v_cmp_neq_f32_e64 s4, |v4|, 1.0
	v_cmp_ngt_f32_e64 s30, 0x25000000, |v5|
                                        ; implicit-def: $vgpr34
	s_delay_alu instid0(VALU_DEP_1) | instskip(NEXT) | instid1(SALU_CYCLE_1)
	s_or_b32 s4, s30, s4
	s_and_saveexec_b32 s30, s4
	s_delay_alu instid0(SALU_CYCLE_1)
	s_xor_b32 s30, exec_lo, s30
	s_cbranch_execz .LBB57_434
; %bb.417:                              ;   in Loop: Header=BB57_401 Depth=1
	v_mul_f32_e64 v34, 0x34000000, |v29|
	s_delay_alu instid0(VALU_DEP_1) | instskip(NEXT) | instid1(VALU_DEP_1)
	v_cmp_le_f32_e64 s4, v34, |v5|
                                        ; implicit-def: $vgpr34
	s_and_saveexec_b32 s31, s4
	s_delay_alu instid0(SALU_CYCLE_1)
	s_xor_b32 s31, exec_lo, s31
	s_cbranch_execz .LBB57_427
; %bb.418:                              ;   in Loop: Header=BB57_401 Depth=1
	v_mov_b32_e32 v34, v32
	s_mov_b32 s4, exec_lo
	v_cmpx_neq_f32_e32 0, v30
	s_cbranch_execz .LBB57_420
; %bb.419:                              ;   in Loop: Header=BB57_401 Depth=1
	v_mul_f32_e32 v34, v5, v5
	v_add_f32_e32 v35, v30, v33
	s_delay_alu instid0(VALU_DEP_1) | instskip(NEXT) | instid1(VALU_DEP_1)
	v_div_scale_f32 v36, null, v35, v35, v34
	v_rcp_f32_e32 v37, v36
	s_waitcnt_depctr 0xfff
	v_fma_f32 v38, -v36, v37, 1.0
	s_delay_alu instid0(VALU_DEP_1) | instskip(SKIP_1) | instid1(VALU_DEP_1)
	v_fmac_f32_e32 v37, v38, v37
	v_div_scale_f32 v38, vcc_lo, v34, v35, v34
	v_mul_f32_e32 v39, v38, v37
	s_delay_alu instid0(VALU_DEP_1) | instskip(NEXT) | instid1(VALU_DEP_1)
	v_fma_f32 v40, -v36, v39, v38
	v_fmac_f32_e32 v39, v40, v37
	s_delay_alu instid0(VALU_DEP_1) | instskip(NEXT) | instid1(VALU_DEP_1)
	v_fma_f32 v36, -v36, v39, v38
	v_div_fmas_f32 v36, v36, v37, v39
	s_delay_alu instid0(VALU_DEP_1)
	v_div_fixup_f32 v34, v36, v35, v34
.LBB57_420:                             ;   in Loop: Header=BB57_401 Depth=1
	s_or_b32 exec_lo, exec_lo, s4
	v_sub_f32_e64 v36, 1.0, |v4|
	s_mov_b32 s4, exec_lo
                                        ; implicit-def: $vgpr35
	s_delay_alu instid0(VALU_DEP_1)
	v_cmpx_ngt_f32_e32 0, v36
	s_xor_b32 s4, exec_lo, s4
	s_cbranch_execz .LBB57_424
; %bb.421:                              ;   in Loop: Header=BB57_401 Depth=1
	v_mov_b32_e32 v35, v32
	s_mov_b32 s33, exec_lo
	v_cmpx_neq_f32_e32 0, v36
	s_cbranch_execz .LBB57_423
; %bb.422:                              ;   in Loop: Header=BB57_401 Depth=1
	v_dual_mul_f32 v35, v5, v5 :: v_dual_add_f32 v36, v36, v31
	s_delay_alu instid0(VALU_DEP_1) | instskip(NEXT) | instid1(VALU_DEP_1)
	v_div_scale_f32 v37, null, v36, v36, v35
	v_rcp_f32_e32 v38, v37
	s_waitcnt_depctr 0xfff
	v_fma_f32 v39, -v37, v38, 1.0
	s_delay_alu instid0(VALU_DEP_1) | instskip(SKIP_1) | instid1(VALU_DEP_1)
	v_fmac_f32_e32 v38, v39, v38
	v_div_scale_f32 v39, vcc_lo, v35, v36, v35
	v_mul_f32_e32 v40, v39, v38
	s_delay_alu instid0(VALU_DEP_1) | instskip(NEXT) | instid1(VALU_DEP_1)
	v_fma_f32 v41, -v37, v40, v39
	v_fmac_f32_e32 v40, v41, v38
	s_delay_alu instid0(VALU_DEP_1) | instskip(NEXT) | instid1(VALU_DEP_1)
	v_fma_f32 v37, -v37, v40, v39
	v_div_fmas_f32 v37, v37, v38, v40
	s_delay_alu instid0(VALU_DEP_1)
	v_div_fixup_f32 v35, v37, v36, v35
.LBB57_423:                             ;   in Loop: Header=BB57_401 Depth=1
	s_or_b32 exec_lo, exec_lo, s33
                                        ; implicit-def: $vgpr36
.LBB57_424:                             ;   in Loop: Header=BB57_401 Depth=1
	s_and_not1_saveexec_b32 s4, s4
; %bb.425:                              ;   in Loop: Header=BB57_401 Depth=1
	v_sub_f32_e32 v35, v31, v36
; %bb.426:                              ;   in Loop: Header=BB57_401 Depth=1
	s_or_b32 exec_lo, exec_lo, s4
	s_delay_alu instid0(VALU_DEP_1) | instskip(NEXT) | instid1(VALU_DEP_1)
	v_dual_mul_f32 v35, 0.5, v35 :: v_dual_add_f32 v36, 1.0, v28
	v_fmac_f32_e32 v35, 0.5, v34
	s_delay_alu instid0(VALU_DEP_1) | instskip(NEXT) | instid1(VALU_DEP_1)
	v_mul_f32_e32 v34, v36, v35
	v_mul_f32_e32 v36, 0x4f800000, v34
	v_cmp_gt_f32_e32 vcc_lo, 0xf800000, v34
	s_delay_alu instid0(VALU_DEP_2) | instskip(NEXT) | instid1(VALU_DEP_1)
	v_cndmask_b32_e32 v34, v34, v36, vcc_lo
	v_sqrt_f32_e32 v36, v34
	s_waitcnt_depctr 0xfff
	v_add_nc_u32_e32 v37, -1, v36
	v_add_nc_u32_e32 v38, 1, v36
	s_delay_alu instid0(VALU_DEP_2) | instskip(NEXT) | instid1(VALU_DEP_2)
	v_fma_f32 v39, -v37, v36, v34
	v_fma_f32 v40, -v38, v36, v34
	s_delay_alu instid0(VALU_DEP_2) | instskip(NEXT) | instid1(VALU_DEP_1)
	v_cmp_ge_f32_e64 s4, 0, v39
	v_cndmask_b32_e64 v36, v36, v37, s4
	s_delay_alu instid0(VALU_DEP_3) | instskip(NEXT) | instid1(VALU_DEP_1)
	v_cmp_lt_f32_e64 s4, 0, v40
	v_cndmask_b32_e64 v36, v36, v38, s4
	s_delay_alu instid0(VALU_DEP_1) | instskip(NEXT) | instid1(VALU_DEP_1)
	v_mul_f32_e32 v37, 0x37800000, v36
	v_cndmask_b32_e32 v36, v36, v37, vcc_lo
	v_cmp_class_f32_e64 vcc_lo, v34, 0x260
	s_delay_alu instid0(VALU_DEP_2) | instskip(NEXT) | instid1(VALU_DEP_1)
	v_cndmask_b32_e32 v34, v36, v34, vcc_lo
	v_add_f32_e32 v36, v35, v34
	s_delay_alu instid0(VALU_DEP_1) | instskip(NEXT) | instid1(VALU_DEP_1)
	v_add_f32_e32 v37, 1.0, v36
	v_cvt_f64_f32_e32 v[34:35], v37
	s_delay_alu instid0(VALU_DEP_1) | instskip(SKIP_1) | instid1(VALU_DEP_1)
	v_frexp_exp_i32_f64_e32 v34, v[34:35]
	v_frexp_mant_f32_e32 v35, v37
	v_cmp_gt_f32_e32 vcc_lo, 0x3f2aaaab, v35
	v_add_f32_e32 v35, -1.0, v37
	s_delay_alu instid0(VALU_DEP_1) | instskip(NEXT) | instid1(VALU_DEP_1)
	v_sub_f32_e32 v39, v35, v37
	v_add_f32_e32 v39, 1.0, v39
	v_subrev_co_ci_u32_e32 v34, vcc_lo, 0, v34, vcc_lo
	s_delay_alu instid0(VALU_DEP_1) | instskip(SKIP_1) | instid1(VALU_DEP_2)
	v_sub_nc_u32_e32 v38, 0, v34
	v_cvt_f32_i32_e32 v34, v34
	v_ldexp_f32 v37, v37, v38
	s_delay_alu instid0(VALU_DEP_1) | instskip(NEXT) | instid1(VALU_DEP_1)
	v_dual_sub_f32 v35, v36, v35 :: v_dual_add_f32 v40, 1.0, v37
	v_add_f32_e32 v35, v35, v39
	s_delay_alu instid0(VALU_DEP_2) | instskip(NEXT) | instid1(VALU_DEP_2)
	v_add_f32_e32 v39, -1.0, v40
	v_ldexp_f32 v35, v35, v38
	v_add_f32_e32 v38, -1.0, v37
	v_cmp_eq_f32_e32 vcc_lo, 0x7f800000, v36
	s_delay_alu instid0(VALU_DEP_4) | instskip(NEXT) | instid1(VALU_DEP_3)
	v_sub_f32_e32 v39, v37, v39
	v_add_f32_e32 v41, 1.0, v38
	s_delay_alu instid0(VALU_DEP_2) | instskip(NEXT) | instid1(VALU_DEP_2)
	v_add_f32_e32 v39, v35, v39
	v_sub_f32_e32 v37, v37, v41
	s_delay_alu instid0(VALU_DEP_1) | instskip(NEXT) | instid1(VALU_DEP_1)
	v_add_f32_e32 v35, v35, v37
	v_add_f32_e32 v42, v38, v35
	s_delay_alu instid0(VALU_DEP_1) | instskip(NEXT) | instid1(VALU_DEP_1)
	v_dual_add_f32 v41, v40, v39 :: v_dual_sub_f32 v38, v42, v38
	v_rcp_f32_e32 v37, v41
	v_sub_f32_e32 v40, v41, v40
	s_delay_alu instid0(VALU_DEP_1) | instskip(SKIP_2) | instid1(VALU_DEP_1)
	v_sub_f32_e32 v39, v39, v40
	s_waitcnt_depctr 0xfff
	v_mul_f32_e32 v43, v42, v37
	v_mul_f32_e32 v44, v41, v43
	s_delay_alu instid0(VALU_DEP_1) | instskip(NEXT) | instid1(VALU_DEP_1)
	v_fma_f32 v40, v43, v41, -v44
	v_fmac_f32_e32 v40, v43, v39
	v_sub_f32_e32 v35, v35, v38
	s_delay_alu instid0(VALU_DEP_2) | instskip(NEXT) | instid1(VALU_DEP_1)
	v_add_f32_e32 v45, v44, v40
	v_sub_f32_e32 v46, v42, v45
	v_sub_f32_e32 v38, v45, v44
	s_delay_alu instid0(VALU_DEP_2) | instskip(NEXT) | instid1(VALU_DEP_2)
	v_sub_f32_e32 v42, v42, v46
	v_sub_f32_e32 v38, v38, v40
	s_delay_alu instid0(VALU_DEP_2) | instskip(NEXT) | instid1(VALU_DEP_1)
	v_sub_f32_e32 v42, v42, v45
	v_add_f32_e32 v35, v35, v42
	s_delay_alu instid0(VALU_DEP_1) | instskip(NEXT) | instid1(VALU_DEP_1)
	v_add_f32_e32 v35, v38, v35
	v_add_f32_e32 v38, v46, v35
	s_delay_alu instid0(VALU_DEP_1) | instskip(NEXT) | instid1(VALU_DEP_1)
	v_mul_f32_e32 v40, v37, v38
	v_dual_sub_f32 v45, v46, v38 :: v_dual_mul_f32 v42, v41, v40
	s_delay_alu instid0(VALU_DEP_1) | instskip(NEXT) | instid1(VALU_DEP_2)
	v_add_f32_e32 v35, v35, v45
	v_fma_f32 v41, v40, v41, -v42
	s_delay_alu instid0(VALU_DEP_1) | instskip(NEXT) | instid1(VALU_DEP_1)
	v_fmac_f32_e32 v41, v40, v39
	v_add_f32_e32 v39, v42, v41
	s_delay_alu instid0(VALU_DEP_1) | instskip(NEXT) | instid1(VALU_DEP_1)
	v_sub_f32_e32 v44, v38, v39
	v_sub_f32_e32 v38, v38, v44
	s_delay_alu instid0(VALU_DEP_1) | instskip(NEXT) | instid1(VALU_DEP_1)
	v_sub_f32_e32 v38, v38, v39
	v_add_f32_e32 v35, v35, v38
	v_add_f32_e32 v38, v43, v40
	v_sub_f32_e32 v42, v39, v42
	s_delay_alu instid0(VALU_DEP_1) | instskip(NEXT) | instid1(VALU_DEP_1)
	v_sub_f32_e32 v39, v42, v41
	v_add_f32_e32 v35, v39, v35
	s_delay_alu instid0(VALU_DEP_4) | instskip(NEXT) | instid1(VALU_DEP_2)
	v_sub_f32_e32 v39, v38, v43
	v_add_f32_e32 v35, v44, v35
	s_delay_alu instid0(VALU_DEP_2) | instskip(NEXT) | instid1(VALU_DEP_2)
	v_sub_f32_e32 v39, v40, v39
	v_mul_f32_e32 v35, v37, v35
	s_delay_alu instid0(VALU_DEP_1) | instskip(NEXT) | instid1(VALU_DEP_1)
	v_add_f32_e32 v35, v39, v35
	v_add_f32_e32 v37, v38, v35
	s_delay_alu instid0(VALU_DEP_1) | instskip(NEXT) | instid1(VALU_DEP_1)
	v_mul_f32_e32 v39, v37, v37
	v_fmaak_f32 v40, s24, v39, 0x3ecc95a3
	v_mul_f32_e32 v41, v37, v39
	s_delay_alu instid0(VALU_DEP_2) | instskip(SKIP_2) | instid1(VALU_DEP_3)
	v_fmaak_f32 v39, v39, v40, 0x3f2aaada
	v_ldexp_f32 v40, v37, 1
	v_sub_f32_e32 v37, v37, v38
	v_mul_f32_e32 v39, v41, v39
	v_mul_f32_e32 v41, 0x3f317218, v34
	s_delay_alu instid0(VALU_DEP_2) | instskip(NEXT) | instid1(VALU_DEP_1)
	v_dual_sub_f32 v35, v35, v37 :: v_dual_add_f32 v38, v40, v39
	v_ldexp_f32 v35, v35, 1
	s_delay_alu instid0(VALU_DEP_2) | instskip(NEXT) | instid1(VALU_DEP_4)
	v_sub_f32_e32 v37, v38, v40
	v_fma_f32 v40, 0x3f317218, v34, -v41
	s_delay_alu instid0(VALU_DEP_1) | instskip(NEXT) | instid1(VALU_DEP_1)
	v_dual_sub_f32 v37, v39, v37 :: v_dual_fmac_f32 v40, 0xb102e308, v34
	v_dual_add_f32 v34, v35, v37 :: v_dual_add_f32 v35, v41, v40
	s_delay_alu instid0(VALU_DEP_1) | instskip(NEXT) | instid1(VALU_DEP_2)
	v_add_f32_e32 v37, v38, v34
	v_sub_f32_e32 v41, v35, v41
	s_delay_alu instid0(VALU_DEP_2) | instskip(NEXT) | instid1(VALU_DEP_2)
	v_dual_add_f32 v39, v35, v37 :: v_dual_sub_f32 v38, v37, v38
	v_sub_f32_e32 v40, v40, v41
	s_delay_alu instid0(VALU_DEP_2) | instskip(NEXT) | instid1(VALU_DEP_3)
	v_sub_f32_e32 v42, v39, v35
	v_sub_f32_e32 v34, v34, v38
	s_delay_alu instid0(VALU_DEP_2) | instskip(SKIP_1) | instid1(VALU_DEP_2)
	v_sub_f32_e32 v43, v39, v42
	v_sub_f32_e32 v37, v37, v42
	v_dual_add_f32 v38, v40, v34 :: v_dual_sub_f32 v35, v35, v43
	s_delay_alu instid0(VALU_DEP_1) | instskip(NEXT) | instid1(VALU_DEP_2)
	v_add_f32_e32 v35, v37, v35
	v_sub_f32_e32 v37, v38, v40
	s_delay_alu instid0(VALU_DEP_2) | instskip(NEXT) | instid1(VALU_DEP_2)
	v_add_f32_e32 v35, v38, v35
	v_sub_f32_e32 v38, v38, v37
	s_delay_alu instid0(VALU_DEP_2) | instskip(NEXT) | instid1(VALU_DEP_1)
	v_dual_sub_f32 v34, v34, v37 :: v_dual_add_f32 v41, v39, v35
	v_dual_sub_f32 v38, v40, v38 :: v_dual_sub_f32 v37, v41, v39
	s_delay_alu instid0(VALU_DEP_1) | instskip(NEXT) | instid1(VALU_DEP_1)
	v_dual_add_f32 v34, v34, v38 :: v_dual_sub_f32 v35, v35, v37
	v_add_f32_e32 v34, v34, v35
	s_delay_alu instid0(VALU_DEP_1) | instskip(NEXT) | instid1(VALU_DEP_1)
	v_add_f32_e32 v34, v41, v34
	v_cndmask_b32_e32 v34, v34, v36, vcc_lo
	v_cmp_ngt_f32_e32 vcc_lo, -1.0, v36
	s_delay_alu instid0(VALU_DEP_2) | instskip(SKIP_1) | instid1(VALU_DEP_2)
	v_cndmask_b32_e32 v34, 0x7fc00000, v34, vcc_lo
	v_cmp_neq_f32_e32 vcc_lo, -1.0, v36
	v_cndmask_b32_e32 v34, 0xff800000, v34, vcc_lo
	v_cmp_gt_f32_e64 vcc_lo, 0x33800000, |v36|
	s_delay_alu instid0(VALU_DEP_2)
	v_cndmask_b32_e32 v34, v34, v36, vcc_lo
.LBB57_427:                             ;   in Loop: Header=BB57_401 Depth=1
	s_and_not1_saveexec_b32 s31, s31
	s_cbranch_execz .LBB57_433
; %bb.428:                              ;   in Loop: Header=BB57_401 Depth=1
	s_mov_b32 s33, exec_lo
                                        ; implicit-def: $vgpr34
	v_cmpx_nlt_f32_e64 |v4|, 1.0
	s_xor_b32 s33, exec_lo, s33
	s_cbranch_execz .LBB57_430
; %bb.429:                              ;   in Loop: Header=BB57_401 Depth=1
	v_mul_f32_e32 v34, v29, v30
	s_delay_alu instid0(VALU_DEP_1) | instskip(SKIP_1) | instid1(VALU_DEP_2)
	v_mul_f32_e32 v35, 0x4f800000, v34
	v_cmp_gt_f32_e32 vcc_lo, 0xf800000, v34
	v_cndmask_b32_e32 v34, v34, v35, vcc_lo
	s_delay_alu instid0(VALU_DEP_1) | instskip(SKIP_3) | instid1(VALU_DEP_2)
	v_sqrt_f32_e32 v35, v34
	s_waitcnt_depctr 0xfff
	v_add_nc_u32_e32 v36, -1, v35
	v_add_nc_u32_e32 v37, 1, v35
	v_fma_f32 v38, -v36, v35, v34
	s_delay_alu instid0(VALU_DEP_2) | instskip(NEXT) | instid1(VALU_DEP_2)
	v_fma_f32 v39, -v37, v35, v34
	v_cmp_ge_f32_e64 s4, 0, v38
	s_delay_alu instid0(VALU_DEP_1) | instskip(NEXT) | instid1(VALU_DEP_3)
	v_cndmask_b32_e64 v35, v35, v36, s4
	v_cmp_lt_f32_e64 s4, 0, v39
	s_delay_alu instid0(VALU_DEP_1) | instskip(NEXT) | instid1(VALU_DEP_1)
	v_cndmask_b32_e64 v35, v35, v37, s4
	v_mul_f32_e32 v36, 0x37800000, v35
	s_delay_alu instid0(VALU_DEP_1) | instskip(SKIP_1) | instid1(VALU_DEP_2)
	v_cndmask_b32_e32 v35, v35, v36, vcc_lo
	v_cmp_class_f32_e64 vcc_lo, v34, 0x260
	v_cndmask_b32_e32 v34, v35, v34, vcc_lo
	s_delay_alu instid0(VALU_DEP_1) | instskip(NEXT) | instid1(VALU_DEP_1)
	v_add_f32_e32 v36, v29, v34
	v_add_f32_e32 v37, 1.0, v36
	s_delay_alu instid0(VALU_DEP_1) | instskip(NEXT) | instid1(VALU_DEP_1)
	v_cvt_f64_f32_e32 v[34:35], v37
	v_frexp_exp_i32_f64_e32 v34, v[34:35]
	v_frexp_mant_f32_e32 v35, v37
	s_delay_alu instid0(VALU_DEP_1) | instskip(SKIP_1) | instid1(VALU_DEP_1)
	v_cmp_gt_f32_e32 vcc_lo, 0x3f2aaaab, v35
	v_add_f32_e32 v35, -1.0, v37
	v_sub_f32_e32 v39, v35, v37
	s_delay_alu instid0(VALU_DEP_1) | instskip(SKIP_2) | instid1(VALU_DEP_2)
	v_add_f32_e32 v39, 1.0, v39
	v_subrev_co_ci_u32_e32 v34, vcc_lo, 0, v34, vcc_lo
	v_cmp_eq_f32_e32 vcc_lo, 0x7f800000, v36
	v_sub_nc_u32_e32 v38, 0, v34
	v_cvt_f32_i32_e32 v34, v34
	s_delay_alu instid0(VALU_DEP_2) | instskip(NEXT) | instid1(VALU_DEP_1)
	v_ldexp_f32 v37, v37, v38
	v_dual_sub_f32 v35, v36, v35 :: v_dual_add_f32 v40, 1.0, v37
	s_delay_alu instid0(VALU_DEP_1) | instskip(NEXT) | instid1(VALU_DEP_1)
	v_add_f32_e32 v35, v35, v39
	v_ldexp_f32 v35, v35, v38
	s_delay_alu instid0(VALU_DEP_3) | instskip(NEXT) | instid1(VALU_DEP_1)
	v_dual_add_f32 v38, -1.0, v37 :: v_dual_add_f32 v39, -1.0, v40
	v_add_f32_e32 v41, 1.0, v38
	s_delay_alu instid0(VALU_DEP_2) | instskip(NEXT) | instid1(VALU_DEP_2)
	v_sub_f32_e32 v39, v37, v39
	v_sub_f32_e32 v37, v37, v41
	s_delay_alu instid0(VALU_DEP_2) | instskip(NEXT) | instid1(VALU_DEP_2)
	v_add_f32_e32 v39, v35, v39
	v_add_f32_e32 v35, v35, v37
	s_delay_alu instid0(VALU_DEP_1) | instskip(NEXT) | instid1(VALU_DEP_1)
	v_add_f32_e32 v42, v38, v35
	v_dual_sub_f32 v38, v42, v38 :: v_dual_add_f32 v41, v40, v39
	s_delay_alu instid0(VALU_DEP_1) | instskip(SKIP_1) | instid1(VALU_DEP_1)
	v_rcp_f32_e32 v37, v41
	v_sub_f32_e32 v40, v41, v40
	v_sub_f32_e32 v39, v39, v40
	s_waitcnt_depctr 0xfff
	v_mul_f32_e32 v43, v42, v37
	s_delay_alu instid0(VALU_DEP_1) | instskip(NEXT) | instid1(VALU_DEP_1)
	v_mul_f32_e32 v44, v41, v43
	v_fma_f32 v40, v43, v41, -v44
	s_delay_alu instid0(VALU_DEP_1) | instskip(SKIP_1) | instid1(VALU_DEP_2)
	v_fmac_f32_e32 v40, v43, v39
	v_sub_f32_e32 v35, v35, v38
	v_add_f32_e32 v45, v44, v40
	s_delay_alu instid0(VALU_DEP_1) | instskip(SKIP_1) | instid1(VALU_DEP_2)
	v_sub_f32_e32 v46, v42, v45
	v_sub_f32_e32 v38, v45, v44
	;; [unrolled: 1-line block ×3, first 2 shown]
	s_delay_alu instid0(VALU_DEP_2) | instskip(NEXT) | instid1(VALU_DEP_2)
	v_sub_f32_e32 v38, v38, v40
	v_sub_f32_e32 v42, v42, v45
	s_delay_alu instid0(VALU_DEP_1) | instskip(NEXT) | instid1(VALU_DEP_1)
	v_add_f32_e32 v35, v35, v42
	v_add_f32_e32 v35, v38, v35
	s_delay_alu instid0(VALU_DEP_1) | instskip(NEXT) | instid1(VALU_DEP_1)
	v_add_f32_e32 v38, v46, v35
	v_mul_f32_e32 v40, v37, v38
	s_delay_alu instid0(VALU_DEP_1) | instskip(NEXT) | instid1(VALU_DEP_1)
	v_dual_sub_f32 v45, v46, v38 :: v_dual_mul_f32 v42, v41, v40
	v_fma_f32 v41, v40, v41, -v42
	s_delay_alu instid0(VALU_DEP_1) | instskip(NEXT) | instid1(VALU_DEP_1)
	v_fmac_f32_e32 v41, v40, v39
	v_add_f32_e32 v39, v42, v41
	s_delay_alu instid0(VALU_DEP_1) | instskip(SKIP_1) | instid1(VALU_DEP_1)
	v_sub_f32_e32 v42, v39, v42
	v_dual_sub_f32 v44, v38, v39 :: v_dual_add_f32 v35, v35, v45
	v_sub_f32_e32 v38, v38, v44
	s_delay_alu instid0(VALU_DEP_1) | instskip(NEXT) | instid1(VALU_DEP_4)
	v_sub_f32_e32 v38, v38, v39
	v_sub_f32_e32 v39, v42, v41
	s_delay_alu instid0(VALU_DEP_2) | instskip(SKIP_1) | instid1(VALU_DEP_2)
	v_add_f32_e32 v35, v35, v38
	v_add_f32_e32 v38, v43, v40
	;; [unrolled: 1-line block ×3, first 2 shown]
	s_delay_alu instid0(VALU_DEP_2) | instskip(NEXT) | instid1(VALU_DEP_2)
	v_sub_f32_e32 v39, v38, v43
	v_add_f32_e32 v35, v44, v35
	s_delay_alu instid0(VALU_DEP_2) | instskip(NEXT) | instid1(VALU_DEP_2)
	v_sub_f32_e32 v39, v40, v39
	v_mul_f32_e32 v35, v37, v35
	s_delay_alu instid0(VALU_DEP_1) | instskip(NEXT) | instid1(VALU_DEP_1)
	v_add_f32_e32 v35, v39, v35
	v_add_f32_e32 v37, v38, v35
	s_delay_alu instid0(VALU_DEP_1) | instskip(NEXT) | instid1(VALU_DEP_1)
	v_mul_f32_e32 v39, v37, v37
	v_fmaak_f32 v40, s24, v39, 0x3ecc95a3
	v_mul_f32_e32 v41, v37, v39
	s_delay_alu instid0(VALU_DEP_2) | instskip(SKIP_2) | instid1(VALU_DEP_3)
	v_fmaak_f32 v39, v39, v40, 0x3f2aaada
	v_ldexp_f32 v40, v37, 1
	v_sub_f32_e32 v37, v37, v38
	v_mul_f32_e32 v39, v41, v39
	v_mul_f32_e32 v41, 0x3f317218, v34
	s_delay_alu instid0(VALU_DEP_2) | instskip(NEXT) | instid1(VALU_DEP_1)
	v_dual_sub_f32 v35, v35, v37 :: v_dual_add_f32 v38, v40, v39
	v_ldexp_f32 v35, v35, 1
	s_delay_alu instid0(VALU_DEP_2) | instskip(NEXT) | instid1(VALU_DEP_4)
	v_sub_f32_e32 v37, v38, v40
	v_fma_f32 v40, 0x3f317218, v34, -v41
	s_delay_alu instid0(VALU_DEP_1) | instskip(NEXT) | instid1(VALU_DEP_1)
	v_dual_sub_f32 v37, v39, v37 :: v_dual_fmac_f32 v40, 0xb102e308, v34
	v_dual_add_f32 v34, v35, v37 :: v_dual_add_f32 v35, v41, v40
	s_delay_alu instid0(VALU_DEP_1) | instskip(NEXT) | instid1(VALU_DEP_2)
	v_add_f32_e32 v37, v38, v34
	v_sub_f32_e32 v41, v35, v41
	s_delay_alu instid0(VALU_DEP_2) | instskip(NEXT) | instid1(VALU_DEP_2)
	v_dual_add_f32 v39, v35, v37 :: v_dual_sub_f32 v38, v37, v38
	v_sub_f32_e32 v40, v40, v41
	s_delay_alu instid0(VALU_DEP_2) | instskip(NEXT) | instid1(VALU_DEP_3)
	v_sub_f32_e32 v42, v39, v35
	v_sub_f32_e32 v34, v34, v38
	s_delay_alu instid0(VALU_DEP_2) | instskip(SKIP_1) | instid1(VALU_DEP_2)
	v_sub_f32_e32 v43, v39, v42
	v_sub_f32_e32 v37, v37, v42
	v_dual_add_f32 v38, v40, v34 :: v_dual_sub_f32 v35, v35, v43
	s_delay_alu instid0(VALU_DEP_1) | instskip(NEXT) | instid1(VALU_DEP_2)
	v_add_f32_e32 v35, v37, v35
	v_sub_f32_e32 v37, v38, v40
	s_delay_alu instid0(VALU_DEP_2) | instskip(NEXT) | instid1(VALU_DEP_2)
	v_add_f32_e32 v35, v38, v35
	v_sub_f32_e32 v38, v38, v37
	s_delay_alu instid0(VALU_DEP_2) | instskip(NEXT) | instid1(VALU_DEP_1)
	v_dual_sub_f32 v34, v34, v37 :: v_dual_add_f32 v41, v39, v35
	v_dual_sub_f32 v38, v40, v38 :: v_dual_sub_f32 v37, v41, v39
	s_delay_alu instid0(VALU_DEP_1) | instskip(NEXT) | instid1(VALU_DEP_1)
	v_dual_add_f32 v34, v34, v38 :: v_dual_sub_f32 v35, v35, v37
	v_add_f32_e32 v34, v34, v35
	s_delay_alu instid0(VALU_DEP_1) | instskip(NEXT) | instid1(VALU_DEP_1)
	v_add_f32_e32 v34, v41, v34
	v_cndmask_b32_e32 v34, v34, v36, vcc_lo
	v_cmp_ngt_f32_e32 vcc_lo, -1.0, v36
	s_delay_alu instid0(VALU_DEP_2) | instskip(SKIP_1) | instid1(VALU_DEP_2)
	v_cndmask_b32_e32 v34, 0x7fc00000, v34, vcc_lo
	v_cmp_neq_f32_e32 vcc_lo, -1.0, v36
	v_cndmask_b32_e32 v34, 0xff800000, v34, vcc_lo
	v_cmp_gt_f32_e64 vcc_lo, 0x33800000, |v36|
	s_delay_alu instid0(VALU_DEP_2)
	v_cndmask_b32_e32 v34, v34, v36, vcc_lo
.LBB57_430:                             ;   in Loop: Header=BB57_401 Depth=1
	s_and_not1_saveexec_b32 s33, s33
	s_cbranch_execz .LBB57_432
; %bb.431:                              ;   in Loop: Header=BB57_401 Depth=1
	v_sub_f32_e64 v34, 1.0, |v4|
	s_delay_alu instid0(VALU_DEP_1) | instskip(NEXT) | instid1(VALU_DEP_1)
	v_mul_f32_e32 v34, v34, v30
	v_mul_f32_e32 v35, 0x4f800000, v34
	v_cmp_gt_f32_e32 vcc_lo, 0xf800000, v34
	s_delay_alu instid0(VALU_DEP_2) | instskip(NEXT) | instid1(VALU_DEP_1)
	v_cndmask_b32_e32 v34, v34, v35, vcc_lo
	v_sqrt_f32_e32 v35, v34
	s_waitcnt_depctr 0xfff
	v_add_nc_u32_e32 v36, -1, v35
	v_add_nc_u32_e32 v37, 1, v35
	s_delay_alu instid0(VALU_DEP_2) | instskip(NEXT) | instid1(VALU_DEP_2)
	v_fma_f32 v38, -v36, v35, v34
	v_fma_f32 v39, -v37, v35, v34
	s_delay_alu instid0(VALU_DEP_2) | instskip(NEXT) | instid1(VALU_DEP_1)
	v_cmp_ge_f32_e64 s4, 0, v38
	v_cndmask_b32_e64 v35, v35, v36, s4
	s_delay_alu instid0(VALU_DEP_3) | instskip(NEXT) | instid1(VALU_DEP_1)
	v_cmp_lt_f32_e64 s4, 0, v39
	v_cndmask_b32_e64 v35, v35, v37, s4
	s_delay_alu instid0(VALU_DEP_1) | instskip(NEXT) | instid1(VALU_DEP_1)
	v_mul_f32_e32 v36, 0x37800000, v35
	v_cndmask_b32_e32 v35, v35, v36, vcc_lo
	v_cmp_class_f32_e64 vcc_lo, v34, 0x260
	v_and_b32_e32 v36, 0x7fffffff, v5
	s_delay_alu instid0(VALU_DEP_3) | instskip(NEXT) | instid1(VALU_DEP_1)
	v_cndmask_b32_e32 v34, v35, v34, vcc_lo
	v_div_scale_f32 v35, null, v34, v34, v36
	v_div_scale_f32 v36, vcc_lo, v36, v34, v36
	s_delay_alu instid0(VALU_DEP_2) | instskip(SKIP_2) | instid1(VALU_DEP_1)
	v_rcp_f32_e32 v37, v35
	s_waitcnt_depctr 0xfff
	v_fma_f32 v38, -v35, v37, 1.0
	v_fmac_f32_e32 v37, v38, v37
	s_delay_alu instid0(VALU_DEP_1) | instskip(NEXT) | instid1(VALU_DEP_1)
	v_mul_f32_e32 v38, v36, v37
	v_fma_f32 v39, -v35, v38, v36
	s_delay_alu instid0(VALU_DEP_1) | instskip(NEXT) | instid1(VALU_DEP_1)
	v_fmac_f32_e32 v38, v39, v37
	v_fma_f32 v35, -v35, v38, v36
	s_delay_alu instid0(VALU_DEP_1) | instskip(NEXT) | instid1(VALU_DEP_1)
	v_div_fmas_f32 v35, v35, v37, v38
	v_div_fixup_f32 v34, v35, v34, |v5|
.LBB57_432:                             ;   in Loop: Header=BB57_401 Depth=1
	s_or_b32 exec_lo, exec_lo, s33
.LBB57_433:                             ;   in Loop: Header=BB57_401 Depth=1
	s_delay_alu instid0(SALU_CYCLE_1)
	s_or_b32 exec_lo, exec_lo, s31
.LBB57_434:                             ;   in Loop: Header=BB57_401 Depth=1
	s_and_not1_saveexec_b32 s30, s30
	s_cbranch_execz .LBB57_436
; %bb.435:                              ;   in Loop: Header=BB57_401 Depth=1
	v_mul_f32_e64 v34, 0x4f800000, |v5|
	v_cmp_gt_f32_e64 vcc_lo, 0xf800000, |v5|
	s_delay_alu instid0(VALU_DEP_1) | instskip(NEXT) | instid1(VALU_DEP_1)
	v_cndmask_b32_e64 v34, |v5|, v34, vcc_lo
	v_sqrt_f32_e32 v35, v34
	s_waitcnt_depctr 0xfff
	v_add_nc_u32_e32 v36, -1, v35
	v_add_nc_u32_e32 v37, 1, v35
	s_delay_alu instid0(VALU_DEP_2) | instskip(NEXT) | instid1(VALU_DEP_2)
	v_fma_f32 v38, -v36, v35, v34
	v_fma_f32 v39, -v37, v35, v34
	s_delay_alu instid0(VALU_DEP_2) | instskip(NEXT) | instid1(VALU_DEP_1)
	v_cmp_ge_f32_e64 s4, 0, v38
	v_cndmask_b32_e64 v35, v35, v36, s4
	s_delay_alu instid0(VALU_DEP_3) | instskip(NEXT) | instid1(VALU_DEP_1)
	v_cmp_lt_f32_e64 s4, 0, v39
	v_cndmask_b32_e64 v35, v35, v37, s4
	s_delay_alu instid0(VALU_DEP_1) | instskip(NEXT) | instid1(VALU_DEP_1)
	v_mul_f32_e32 v36, 0x37800000, v35
	v_cndmask_b32_e32 v35, v35, v36, vcc_lo
	v_cmp_class_f32_e64 vcc_lo, v34, 0x260
	s_delay_alu instid0(VALU_DEP_2)
	v_cndmask_b32_e32 v34, v35, v34, vcc_lo
.LBB57_436:                             ;   in Loop: Header=BB57_401 Depth=1
	s_or_b32 exec_lo, exec_lo, s30
.LBB57_437:                             ;   in Loop: Header=BB57_401 Depth=1
	s_delay_alu instid0(SALU_CYCLE_1) | instskip(NEXT) | instid1(SALU_CYCLE_1)
	s_or_b32 exec_lo, exec_lo, s5
	s_mov_b32 s30, exec_lo
                                        ; implicit-def: $sgpr4
                                        ; implicit-def: $vgpr35
                                        ; implicit-def: $vgpr37
                                        ; implicit-def: $vgpr36
	v_cmpx_ngt_f32_e64 0x21000000, |v4|
	s_xor_b32 s30, exec_lo, s30
	s_cbranch_execz .LBB57_461
; %bb.438:                              ;   in Loop: Header=BB57_401 Depth=1
	v_and_b32_e32 v36, 0x7fffffff, v4
	s_mov_b32 s4, 0
	s_mov_b32 s31, exec_lo
	s_delay_alu instid0(VALU_DEP_1) | instskip(NEXT) | instid1(VALU_DEP_1)
	v_div_scale_f32 v35, null, v28, v28, v36
	v_rcp_f32_e32 v37, v35
	s_waitcnt_depctr 0xfff
	v_fma_f32 v38, -v35, v37, 1.0
	s_delay_alu instid0(VALU_DEP_1) | instskip(SKIP_1) | instid1(VALU_DEP_1)
	v_fmac_f32_e32 v37, v38, v37
	v_div_scale_f32 v38, vcc_lo, v36, v28, v36
	v_mul_f32_e32 v39, v38, v37
	s_delay_alu instid0(VALU_DEP_1) | instskip(NEXT) | instid1(VALU_DEP_1)
	v_fma_f32 v40, -v35, v39, v38
	v_fmac_f32_e32 v39, v40, v37
	s_delay_alu instid0(VALU_DEP_1) | instskip(NEXT) | instid1(VALU_DEP_1)
	v_fma_f32 v35, -v35, v39, v38
	v_div_fmas_f32 v35, v35, v37, v39
                                        ; implicit-def: $vgpr37
	s_delay_alu instid0(VALU_DEP_1) | instskip(NEXT) | instid1(VALU_DEP_1)
	v_div_fixup_f32 v35, v35, v28, |v4|
	v_cmpx_lt_f32_e32 0x3f244674, v35
	s_cbranch_execz .LBB57_460
; %bb.439:                              ;   in Loop: Header=BB57_401 Depth=1
	v_cmp_neq_f32_e64 s4, |v4|, 1.0
	v_cmp_ngt_f32_e64 s5, 0x30800000, |v5|
                                        ; implicit-def: $sgpr33
                                        ; implicit-def: $vgpr37
	s_delay_alu instid0(VALU_DEP_1) | instskip(NEXT) | instid1(SALU_CYCLE_1)
	s_or_b32 s4, s5, s4
	s_and_saveexec_b32 s5, s4
	s_delay_alu instid0(SALU_CYCLE_1)
	s_xor_b32 s5, exec_lo, s5
	s_cbranch_execz .LBB57_457
; %bb.440:                              ;   in Loop: Header=BB57_401 Depth=1
	v_mul_f32_e64 v37, 0x34000000, |v29|
                                        ; implicit-def: $sgpr33
	s_delay_alu instid0(VALU_DEP_1) | instskip(NEXT) | instid1(VALU_DEP_1)
	v_cmp_le_f32_e64 s4, v37, |v5|
                                        ; implicit-def: $vgpr37
	s_and_saveexec_b32 s34, s4
	s_delay_alu instid0(SALU_CYCLE_1)
	s_xor_b32 s34, exec_lo, s34
	s_cbranch_execz .LBB57_450
; %bb.441:                              ;   in Loop: Header=BB57_401 Depth=1
	v_mov_b32_e32 v37, v32
	s_mov_b32 s4, exec_lo
	v_cmpx_neq_f32_e32 0, v30
	s_cbranch_execz .LBB57_443
; %bb.442:                              ;   in Loop: Header=BB57_401 Depth=1
	v_mul_f32_e32 v37, v5, v5
	v_add_f32_e32 v30, v30, v33
	s_delay_alu instid0(VALU_DEP_1) | instskip(NEXT) | instid1(VALU_DEP_1)
	v_div_scale_f32 v33, null, v30, v30, v37
	v_rcp_f32_e32 v38, v33
	s_waitcnt_depctr 0xfff
	v_fma_f32 v39, -v33, v38, 1.0
	s_delay_alu instid0(VALU_DEP_1) | instskip(SKIP_1) | instid1(VALU_DEP_1)
	v_fmac_f32_e32 v38, v39, v38
	v_div_scale_f32 v39, vcc_lo, v37, v30, v37
	v_mul_f32_e32 v40, v39, v38
	s_delay_alu instid0(VALU_DEP_1) | instskip(NEXT) | instid1(VALU_DEP_1)
	v_fma_f32 v41, -v33, v40, v39
	v_fmac_f32_e32 v40, v41, v38
	s_delay_alu instid0(VALU_DEP_1) | instskip(NEXT) | instid1(VALU_DEP_1)
	v_fma_f32 v33, -v33, v40, v39
	v_div_fmas_f32 v33, v33, v38, v40
	s_delay_alu instid0(VALU_DEP_1)
	v_div_fixup_f32 v37, v33, v30, v37
.LBB57_443:                             ;   in Loop: Header=BB57_401 Depth=1
	s_or_b32 exec_lo, exec_lo, s4
	s_delay_alu instid0(SALU_CYCLE_1)
	s_mov_b32 s4, exec_lo
	v_cmpx_ngt_f32_e32 0, v29
	s_xor_b32 s4, exec_lo, s4
	s_cbranch_execz .LBB57_447
; %bb.444:                              ;   in Loop: Header=BB57_401 Depth=1
	s_mov_b32 s33, exec_lo
	v_cmpx_neq_f32_e32 0, v29
	s_cbranch_execz .LBB57_446
; %bb.445:                              ;   in Loop: Header=BB57_401 Depth=1
	v_mul_f32_e32 v30, v5, v5
	v_add_f32_e32 v29, v29, v31
	s_delay_alu instid0(VALU_DEP_1) | instskip(NEXT) | instid1(VALU_DEP_1)
	v_div_scale_f32 v31, null, v29, v29, v30
	v_rcp_f32_e32 v32, v31
	s_waitcnt_depctr 0xfff
	v_fma_f32 v33, -v31, v32, 1.0
	s_delay_alu instid0(VALU_DEP_1) | instskip(SKIP_1) | instid1(VALU_DEP_1)
	v_fmac_f32_e32 v32, v33, v32
	v_div_scale_f32 v33, vcc_lo, v30, v29, v30
	v_mul_f32_e32 v38, v33, v32
	s_delay_alu instid0(VALU_DEP_1) | instskip(NEXT) | instid1(VALU_DEP_1)
	v_fma_f32 v39, -v31, v38, v33
	v_fmac_f32_e32 v38, v39, v32
	s_delay_alu instid0(VALU_DEP_1) | instskip(NEXT) | instid1(VALU_DEP_1)
	v_fma_f32 v31, -v31, v38, v33
	v_div_fmas_f32 v31, v31, v32, v38
	s_delay_alu instid0(VALU_DEP_1)
	v_div_fixup_f32 v32, v31, v29, v30
.LBB57_446:                             ;   in Loop: Header=BB57_401 Depth=1
	s_or_b32 exec_lo, exec_lo, s33
                                        ; implicit-def: $vgpr31
                                        ; implicit-def: $vgpr29
.LBB57_447:                             ;   in Loop: Header=BB57_401 Depth=1
	s_and_not1_saveexec_b32 s4, s4
; %bb.448:                              ;   in Loop: Header=BB57_401 Depth=1
	v_sub_f32_e32 v32, v31, v29
; %bb.449:                              ;   in Loop: Header=BB57_401 Depth=1
	s_or_b32 exec_lo, exec_lo, s4
	s_delay_alu instid0(VALU_DEP_1) | instskip(SKIP_2) | instid1(VALU_DEP_2)
	v_mul_f32_e32 v29, 0.5, v32
	v_add_f32_e64 v28, |v4|, v28
	s_mov_b32 s33, -1
	v_fmac_f32_e32 v29, 0.5, v37
	s_delay_alu instid0(VALU_DEP_1) | instskip(NEXT) | instid1(VALU_DEP_1)
	v_mul_f32_e32 v28, v28, v29
	v_mul_f32_e32 v29, 0x4f800000, v28
	v_cmp_gt_f32_e32 vcc_lo, 0xf800000, v28
	s_delay_alu instid0(VALU_DEP_2) | instskip(NEXT) | instid1(VALU_DEP_1)
	v_cndmask_b32_e32 v28, v28, v29, vcc_lo
	v_sqrt_f32_e32 v29, v28
	s_waitcnt_depctr 0xfff
	v_add_nc_u32_e32 v30, -1, v29
	v_add_nc_u32_e32 v31, 1, v29
	s_delay_alu instid0(VALU_DEP_2) | instskip(NEXT) | instid1(VALU_DEP_2)
	v_fma_f32 v32, -v30, v29, v28
	v_fma_f32 v33, -v31, v29, v28
	s_delay_alu instid0(VALU_DEP_2) | instskip(NEXT) | instid1(VALU_DEP_1)
	v_cmp_ge_f32_e64 s4, 0, v32
	v_cndmask_b32_e64 v29, v29, v30, s4
	s_delay_alu instid0(VALU_DEP_3) | instskip(NEXT) | instid1(VALU_DEP_1)
	v_cmp_lt_f32_e64 s4, 0, v33
	v_cndmask_b32_e64 v29, v29, v31, s4
	s_delay_alu instid0(VALU_DEP_1) | instskip(NEXT) | instid1(VALU_DEP_1)
	v_mul_f32_e32 v30, 0x37800000, v29
	v_cndmask_b32_e32 v29, v29, v30, vcc_lo
	v_cmp_class_f32_e64 vcc_lo, v28, 0x260
                                        ; implicit-def: $vgpr30
	s_delay_alu instid0(VALU_DEP_2)
	v_cndmask_b32_e32 v37, v29, v28, vcc_lo
                                        ; implicit-def: $vgpr29
.LBB57_450:                             ;   in Loop: Header=BB57_401 Depth=1
	s_and_not1_saveexec_b32 s34, s34
	s_cbranch_execz .LBB57_456
; %bb.451:                              ;   in Loop: Header=BB57_401 Depth=1
	s_mov_b32 s36, exec_lo
                                        ; implicit-def: $vgpr37
                                        ; implicit-def: $sgpr35
	v_cmpx_ngt_f32_e64 |v4|, 1.0
	s_xor_b32 s36, exec_lo, s36
	s_cbranch_execz .LBB57_453
; %bb.452:                              ;   in Loop: Header=BB57_401 Depth=1
	v_sub_f32_e64 v28, 1.0, |v4|
	s_mov_b32 s35, -1
	s_delay_alu instid0(VALU_DEP_1) | instskip(NEXT) | instid1(VALU_DEP_1)
	v_mul_f32_e32 v28, v28, v30
	v_mul_f32_e32 v29, 0x4f800000, v28
	v_cmp_gt_f32_e32 vcc_lo, 0xf800000, v28
	s_delay_alu instid0(VALU_DEP_2) | instskip(NEXT) | instid1(VALU_DEP_1)
	v_cndmask_b32_e32 v28, v28, v29, vcc_lo
	v_sqrt_f32_e32 v29, v28
	s_waitcnt_depctr 0xfff
	v_add_nc_u32_e32 v30, -1, v29
	v_add_nc_u32_e32 v31, 1, v29
	s_delay_alu instid0(VALU_DEP_2) | instskip(NEXT) | instid1(VALU_DEP_2)
	v_fma_f32 v32, -v30, v29, v28
	v_fma_f32 v33, -v31, v29, v28
	s_delay_alu instid0(VALU_DEP_2) | instskip(NEXT) | instid1(VALU_DEP_1)
	v_cmp_ge_f32_e64 s4, 0, v32
	v_cndmask_b32_e64 v29, v29, v30, s4
	s_delay_alu instid0(VALU_DEP_3) | instskip(NEXT) | instid1(VALU_DEP_1)
	v_cmp_lt_f32_e64 s4, 0, v33
	v_cndmask_b32_e64 v29, v29, v31, s4
	s_delay_alu instid0(VALU_DEP_1) | instskip(NEXT) | instid1(VALU_DEP_1)
	v_mul_f32_e32 v30, 0x37800000, v29
	v_cndmask_b32_e32 v29, v29, v30, vcc_lo
	v_cmp_class_f32_e64 vcc_lo, v28, 0x260
                                        ; implicit-def: $vgpr30
	s_delay_alu instid0(VALU_DEP_2)
	v_cndmask_b32_e32 v37, v29, v28, vcc_lo
                                        ; implicit-def: $vgpr29
.LBB57_453:                             ;   in Loop: Header=BB57_401 Depth=1
	s_and_not1_saveexec_b32 s36, s36
	s_cbranch_execz .LBB57_455
; %bb.454:                              ;   in Loop: Header=BB57_401 Depth=1
	v_mul_f32_e32 v28, v30, v29
	s_or_b32 s35, s35, exec_lo
	s_delay_alu instid0(VALU_DEP_1) | instskip(SKIP_1) | instid1(VALU_DEP_2)
	v_mul_f32_e32 v29, 0x4f800000, v28
	v_cmp_gt_f32_e32 vcc_lo, 0xf800000, v28
	v_cndmask_b32_e32 v28, v28, v29, vcc_lo
	s_delay_alu instid0(VALU_DEP_1) | instskip(SKIP_3) | instid1(VALU_DEP_2)
	v_sqrt_f32_e32 v29, v28
	s_waitcnt_depctr 0xfff
	v_add_nc_u32_e32 v30, -1, v29
	v_add_nc_u32_e32 v31, 1, v29
	v_fma_f32 v32, -v30, v29, v28
	s_delay_alu instid0(VALU_DEP_2) | instskip(NEXT) | instid1(VALU_DEP_2)
	v_fma_f32 v33, -v31, v29, v28
	v_cmp_ge_f32_e64 s4, 0, v32
	s_delay_alu instid0(VALU_DEP_1) | instskip(NEXT) | instid1(VALU_DEP_3)
	v_cndmask_b32_e64 v29, v29, v30, s4
	v_cmp_lt_f32_e64 s4, 0, v33
	s_delay_alu instid0(VALU_DEP_1) | instskip(SKIP_1) | instid1(VALU_DEP_2)
	v_cndmask_b32_e64 v29, v29, v31, s4
	v_mul_f32_e64 v31, 0x57800000, |v5|
	v_mul_f32_e32 v30, 0x37800000, v29
	s_delay_alu instid0(VALU_DEP_1) | instskip(SKIP_1) | instid1(VALU_DEP_4)
	v_cndmask_b32_e32 v29, v29, v30, vcc_lo
	v_cmp_class_f32_e64 vcc_lo, v28, 0x260
	v_mul_f32_e64 v30, |v4|, v31
	s_delay_alu instid0(VALU_DEP_3) | instskip(NEXT) | instid1(VALU_DEP_1)
	v_cndmask_b32_e32 v28, v29, v28, vcc_lo
	v_div_scale_f32 v29, null, v28, v28, v30
	v_div_scale_f32 v33, vcc_lo, v30, v28, v30
	s_delay_alu instid0(VALU_DEP_2) | instskip(SKIP_2) | instid1(VALU_DEP_1)
	v_rcp_f32_e32 v31, v29
	s_waitcnt_depctr 0xfff
	v_fma_f32 v32, -v29, v31, 1.0
	v_fmac_f32_e32 v31, v32, v31
	s_delay_alu instid0(VALU_DEP_1) | instskip(NEXT) | instid1(VALU_DEP_1)
	v_mul_f32_e32 v32, v33, v31
	v_fma_f32 v36, -v29, v32, v33
	s_delay_alu instid0(VALU_DEP_1) | instskip(SKIP_1) | instid1(VALU_DEP_2)
	v_fmac_f32_e32 v32, v36, v31
	v_mul_f32_e64 v36, 0x57800000, |v4|
	v_fma_f32 v29, -v29, v32, v33
	s_delay_alu instid0(VALU_DEP_1) | instskip(NEXT) | instid1(VALU_DEP_1)
	v_div_fmas_f32 v29, v29, v31, v32
	v_div_fixup_f32 v37, v29, v28, v30
.LBB57_455:                             ;   in Loop: Header=BB57_401 Depth=1
	s_or_b32 exec_lo, exec_lo, s36
	s_delay_alu instid0(SALU_CYCLE_1) | instskip(SKIP_1) | instid1(SALU_CYCLE_1)
	s_and_not1_b32 s4, s33, exec_lo
	s_and_b32 s33, s35, exec_lo
	s_or_b32 s33, s4, s33
.LBB57_456:                             ;   in Loop: Header=BB57_401 Depth=1
	s_or_b32 exec_lo, exec_lo, s34
	s_delay_alu instid0(SALU_CYCLE_1)
	s_and_b32 s33, s33, exec_lo
                                        ; implicit-def: $vgpr28
.LBB57_457:                             ;   in Loop: Header=BB57_401 Depth=1
	s_and_not1_saveexec_b32 s34, s5
	s_cbranch_execz .LBB57_459
; %bb.458:                              ;   in Loop: Header=BB57_401 Depth=1
	v_add_f32_e32 v28, 1.0, v28
	v_mul_f32_e64 v29, 0x4f800000, |v5|
	v_cmp_gt_f32_e64 vcc_lo, 0xf800000, |v5|
	s_or_b32 s33, s33, exec_lo
	s_delay_alu instid0(VALU_DEP_3) | instskip(NEXT) | instid1(VALU_DEP_2)
	v_mul_f32_e32 v28, 0.5, v28
	v_cndmask_b32_e64 v29, |v5|, v29, vcc_lo
	s_delay_alu instid0(VALU_DEP_2) | instskip(SKIP_1) | instid1(VALU_DEP_1)
	v_mul_f32_e32 v30, 0x4f800000, v28
	v_cmp_gt_f32_e64 s4, 0xf800000, v28
	v_cndmask_b32_e64 v28, v28, v30, s4
	s_delay_alu instid0(VALU_DEP_4) | instskip(NEXT) | instid1(VALU_DEP_1)
	v_sqrt_f32_e32 v30, v29
	v_sqrt_f32_e32 v31, v28
	s_waitcnt_depctr 0xfff
	v_add_nc_u32_e32 v32, -1, v30
	v_add_nc_u32_e32 v36, 1, v30
	v_add_nc_u32_e32 v33, -1, v31
	s_delay_alu instid0(VALU_DEP_3) | instskip(SKIP_1) | instid1(VALU_DEP_4)
	v_fma_f32 v37, -v32, v30, v29
	v_add_nc_u32_e32 v38, 1, v31
	v_fma_f32 v40, -v36, v30, v29
	s_delay_alu instid0(VALU_DEP_4) | instskip(NEXT) | instid1(VALU_DEP_4)
	v_fma_f32 v39, -v33, v31, v28
	v_cmp_ge_f32_e64 s5, 0, v37
	s_delay_alu instid0(VALU_DEP_1) | instskip(NEXT) | instid1(VALU_DEP_3)
	v_cndmask_b32_e64 v30, v30, v32, s5
	v_cmp_ge_f32_e64 s5, 0, v39
	v_fma_f32 v32, -v38, v31, v28
	s_delay_alu instid0(VALU_DEP_2) | instskip(SKIP_1) | instid1(VALU_DEP_1)
	v_cndmask_b32_e64 v31, v31, v33, s5
	v_cmp_lt_f32_e64 s5, 0, v40
	v_cndmask_b32_e64 v30, v30, v36, s5
	s_delay_alu instid0(VALU_DEP_4) | instskip(SKIP_1) | instid1(VALU_DEP_3)
	v_cmp_lt_f32_e64 s5, 0, v32
	v_mov_b32_e32 v36, 1.0
	v_mul_f32_e32 v32, 0x37800000, v30
	s_delay_alu instid0(VALU_DEP_3) | instskip(NEXT) | instid1(VALU_DEP_1)
	v_cndmask_b32_e64 v31, v31, v38, s5
	v_dual_cndmask_b32 v30, v30, v32 :: v_dual_mul_f32 v33, 0x37800000, v31
	v_cmp_class_f32_e64 vcc_lo, v29, 0x260
	s_delay_alu instid0(VALU_DEP_2) | instskip(NEXT) | instid1(VALU_DEP_3)
	v_cndmask_b32_e64 v31, v31, v33, s4
	v_cndmask_b32_e32 v29, v30, v29, vcc_lo
	v_cmp_class_f32_e64 vcc_lo, v28, 0x260
	s_delay_alu instid0(VALU_DEP_3) | instskip(NEXT) | instid1(VALU_DEP_1)
	v_cndmask_b32_e32 v28, v31, v28, vcc_lo
	v_mul_f32_e32 v37, v29, v28
.LBB57_459:                             ;   in Loop: Header=BB57_401 Depth=1
	s_or_b32 exec_lo, exec_lo, s34
	s_delay_alu instid0(SALU_CYCLE_1)
	s_and_b32 s4, s33, exec_lo
.LBB57_460:                             ;   in Loop: Header=BB57_401 Depth=1
	s_or_b32 exec_lo, exec_lo, s31
	s_delay_alu instid0(SALU_CYCLE_1)
	s_and_b32 s4, s4, exec_lo
                                        ; implicit-def: $vgpr28
.LBB57_461:                             ;   in Loop: Header=BB57_401 Depth=1
	s_and_not1_saveexec_b32 s5, s30
; %bb.462:                              ;   in Loop: Header=BB57_401 Depth=1
	v_mul_f32_e32 v37, 0x4b800000, v28
	v_mul_f32_e64 v36, 0x4b800000, |v4|
	s_or_b32 s4, s4, exec_lo
                                        ; implicit-def: $vgpr35
; %bb.463:                              ;   in Loop: Header=BB57_401 Depth=1
	s_or_b32 exec_lo, exec_lo, s5
	s_xor_b32 s4, s4, -1
                                        ; implicit-def: $vgpr28
	s_delay_alu instid0(SALU_CYCLE_1) | instskip(NEXT) | instid1(SALU_CYCLE_1)
	s_and_saveexec_b32 s5, s4
	s_xor_b32 s4, exec_lo, s5
	s_cbranch_execz .LBB57_465
; %bb.464:                              ;   in Loop: Header=BB57_401 Depth=1
	v_fma_f32 v28, |v35|, -0.5, 0.5
	v_mul_f32_e32 v29, v35, v35
	v_cmp_ge_f32_e64 vcc_lo, |v35|, 0.5
                                        ; implicit-def: $vgpr36
                                        ; implicit-def: $vgpr37
	s_delay_alu instid0(VALU_DEP_2) | instskip(SKIP_1) | instid1(VALU_DEP_2)
	v_cndmask_b32_e32 v28, v29, v28, vcc_lo
	v_cmp_lt_f32_e64 vcc_lo, |v35|, 0.5
	v_fmaak_f32 v29, s25, v28, 0x3c5fc5da
	v_sqrt_f32_e32 v30, v28
	s_delay_alu instid0(VALU_DEP_1) | instskip(NEXT) | instid1(VALU_DEP_1)
	v_fmaak_f32 v29, v28, v29, 0x3d034c3c
	v_fmaak_f32 v29, v28, v29, 0x3d3641b1
	s_delay_alu instid0(VALU_DEP_1) | instskip(NEXT) | instid1(VALU_DEP_1)
	v_fmaak_f32 v29, v28, v29, 0x3d999bc8
	v_fmaak_f32 v29, v28, v29, 0x3e2aaaac
	s_delay_alu instid0(VALU_DEP_1) | instskip(SKIP_3) | instid1(VALU_DEP_2)
	v_mul_f32_e32 v28, v28, v29
	s_waitcnt_depctr 0xfff
	v_fmac_f32_e32 v30, v30, v28
	v_fma_f32 v28, |v35|, v28, |v35|
	v_add_f32_e32 v29, v30, v30
	s_delay_alu instid0(VALU_DEP_1) | instskip(NEXT) | instid1(VALU_DEP_1)
	v_sub_f32_e32 v29, 0x3fc90fdb, v29
	v_cndmask_b32_e32 v28, v29, v28, vcc_lo
	s_delay_alu instid0(VALU_DEP_1)
	v_bfi_b32 v28, 0x7fffffff, v28, v35
.LBB57_465:                             ;   in Loop: Header=BB57_401 Depth=1
	s_and_not1_saveexec_b32 s30, s4
	s_cbranch_execz .LBB57_467
; %bb.466:                              ;   in Loop: Header=BB57_401 Depth=1
	v_max_f32_e32 v28, v36, v36
	v_max_f32_e64 v29, |v37|, |v37|
	v_cmp_gt_f32_e64 vcc_lo, v36, |v37|
	v_cmp_eq_f32_e64 s5, 0, v36
	v_cmp_class_f32_e64 s31, v37, 0x204
	v_cmp_eq_f32_e64 s4, 0x7f800000, v36
	v_max_f32_e32 v30, v29, v28
	v_min_f32_e32 v28, v29, v28
	s_delay_alu instid0(VALU_DEP_2) | instskip(SKIP_1) | instid1(VALU_DEP_2)
	v_frexp_mant_f32_e32 v31, v30
	v_frexp_exp_i32_f32_e32 v30, v30
	v_rcp_f32_e32 v29, v31
	s_delay_alu instid0(VALU_DEP_3) | instskip(SKIP_1) | instid1(VALU_DEP_2)
	v_frexp_exp_i32_f32_e32 v31, v28
	v_frexp_mant_f32_e32 v28, v28
	v_sub_nc_u32_e32 v30, v31, v30
	s_waitcnt_depctr 0xfff
	v_mul_f32_e32 v28, v28, v29
	s_delay_alu instid0(VALU_DEP_1) | instskip(NEXT) | instid1(VALU_DEP_1)
	v_ldexp_f32 v28, v28, v30
	v_mul_f32_e32 v29, v28, v28
	s_delay_alu instid0(VALU_DEP_1) | instskip(NEXT) | instid1(VALU_DEP_1)
	v_fmaak_f32 v30, s26, v29, 0xbc7a590c
	v_fmaak_f32 v30, v29, v30, 0x3d29fb3f
	s_delay_alu instid0(VALU_DEP_1) | instskip(NEXT) | instid1(VALU_DEP_1)
	v_fmaak_f32 v30, v29, v30, 0xbd97d4d7
	v_fmaak_f32 v30, v29, v30, 0x3dd931b2
	;; [unrolled: 3-line block ×3, first 2 shown]
	s_delay_alu instid0(VALU_DEP_1) | instskip(NEXT) | instid1(VALU_DEP_1)
	v_fmaak_f32 v30, v29, v30, 0xbeaaaa62
	v_mul_f32_e32 v29, v29, v30
	s_delay_alu instid0(VALU_DEP_1) | instskip(NEXT) | instid1(VALU_DEP_1)
	v_fmac_f32_e32 v28, v28, v29
	v_sub_f32_e32 v29, 0x3fc90fdb, v28
	s_delay_alu instid0(VALU_DEP_1) | instskip(SKIP_1) | instid1(VALU_DEP_2)
	v_cndmask_b32_e32 v28, v28, v29, vcc_lo
	v_cmp_gt_i32_e32 vcc_lo, 0, v37
	v_sub_f32_e32 v29, 0x40490fdb, v28
	v_cndmask_b32_e64 v30, 0, 0x40490fdb, vcc_lo
	v_cmp_gt_f32_e32 vcc_lo, 0, v37
	s_delay_alu instid0(VALU_DEP_3) | instskip(SKIP_2) | instid1(VALU_DEP_2)
	v_cndmask_b32_e32 v28, v28, v29, vcc_lo
	v_cndmask_b32_e32 v29, 0x3f490fdb, v27, vcc_lo
	s_and_b32 vcc_lo, s4, s31
	v_cndmask_b32_e64 v28, v28, v30, s5
	s_delay_alu instid0(VALU_DEP_1) | instskip(SKIP_1) | instid1(VALU_DEP_2)
	v_cndmask_b32_e32 v28, v28, v29, vcc_lo
	v_cmp_o_f32_e32 vcc_lo, v37, v36
	v_cndmask_b32_e64 v28, 0x7fc00000, |v28|, vcc_lo
.LBB57_467:                             ;   in Loop: Header=BB57_401 Depth=1
	s_or_b32 exec_lo, exec_lo, s30
	v_bfi_b32 v5, 0x7fffffff, v34, v5
	s_delay_alu instid0(VALU_DEP_2)
	v_bfi_b32 v4, 0x7fffffff, v28, v4
.LBB57_468:                             ;   in Loop: Header=BB57_401 Depth=1
	s_or_b32 exec_lo, exec_lo, s29
.LBB57_469:                             ;   in Loop: Header=BB57_401 Depth=1
	s_delay_alu instid0(SALU_CYCLE_1)
	s_or_b32 exec_lo, exec_lo, s28
                                        ; implicit-def: $vgpr28
                                        ; implicit-def: $vgpr30
                                        ; implicit-def: $vgpr29
.LBB57_470:                             ;   in Loop: Header=BB57_401 Depth=1
	s_and_not1_saveexec_b32 s27, s27
	s_cbranch_execz .LBB57_492
; %bb.471:                              ;   in Loop: Header=BB57_401 Depth=1
                                        ; implicit-def: $vgpr31
                                        ; implicit-def: $vgpr32
	s_mov_b32 s4, exec_lo
	v_cmpx_lt_i32_e32 -1, v5
	s_xor_b32 s28, exec_lo, s4
	s_cbranch_execz .LBB57_481
; %bb.472:                              ;   in Loop: Header=BB57_401 Depth=1
	v_cmp_lt_f32_e64 s4, |v5|, |v4|
                                        ; implicit-def: $vgpr31
                                        ; implicit-def: $vgpr32
	s_mov_b32 s5, exec_lo
	s_delay_alu instid0(VALU_DEP_1) | instskip(NEXT) | instid1(VALU_DEP_1)
	v_cndmask_b32_e64 v33, |v5|, |v4|, s4
	v_cmpx_nlt_f32_e32 0x7effffff, v33
	s_xor_b32 s29, exec_lo, s5
	s_cbranch_execz .LBB57_478
; %bb.473:                              ;   in Loop: Header=BB57_401 Depth=1
	v_cndmask_b32_e64 v34, |v4|, |v5|, s4
	v_cmp_nlt_f32_e32 vcc_lo, 0x5e000000, v33
                                        ; implicit-def: $vgpr31
                                        ; implicit-def: $vgpr32
	s_delay_alu instid0(VALU_DEP_2) | instskip(NEXT) | instid1(VALU_DEP_1)
	v_cmp_ngt_f32_e64 s5, 0x20000000, v34
	s_and_b32 s5, vcc_lo, s5
	s_delay_alu instid0(SALU_CYCLE_1) | instskip(NEXT) | instid1(SALU_CYCLE_1)
	s_and_saveexec_b32 s30, s5
	s_xor_b32 s30, exec_lo, s30
	s_cbranch_execz .LBB57_475
; %bb.474:                              ;   in Loop: Header=BB57_401 Depth=1
	s_waitcnt lgkmcnt(0)
	v_frexp_mant_f32_e32 v31, v29
	v_min_f32_e32 v28, v28, v30
	v_frexp_exp_i32_f32_e32 v29, v29
	s_delay_alu instid0(VALU_DEP_3) | instskip(SKIP_1) | instid1(VALU_DEP_1)
	v_rcp_f32_e32 v30, v31
	v_mul_f32_e32 v31, v34, v34
	v_fmac_f32_e32 v31, v33, v33
	v_frexp_mant_f32_e32 v32, v28
	v_frexp_exp_i32_f32_e32 v28, v28
	s_delay_alu instid0(VALU_DEP_3) | instskip(SKIP_4) | instid1(VALU_DEP_2)
	v_cmp_gt_f32_e32 vcc_lo, 0x800000, v31
	s_waitcnt_depctr 0xfff
	v_mul_f32_e32 v30, v32, v30
	v_sub_nc_u32_e32 v28, v28, v29
	v_cndmask_b32_e64 v29, 1.0, 0x4f800000, vcc_lo
	v_ldexp_f32 v32, v30, v28
	s_delay_alu instid0(VALU_DEP_1) | instskip(NEXT) | instid1(VALU_DEP_1)
	v_dual_mul_f32 v28, v31, v29 :: v_dual_mul_f32 v29, v32, v32
	v_log_f32_e32 v28, v28
	s_delay_alu instid0(VALU_DEP_1) | instskip(SKIP_3) | instid1(VALU_DEP_2)
	v_fmaak_f32 v30, s26, v29, 0xbc7a590c
	s_waitcnt_depctr 0xfff
	v_mul_f32_e32 v31, 0x3f317217, v28
	v_cmp_gt_f32_e64 s5, 0x7f800000, |v28|
	v_fma_f32 v33, 0x3f317217, v28, -v31
	s_delay_alu instid0(VALU_DEP_1) | instskip(NEXT) | instid1(VALU_DEP_1)
	v_fmac_f32_e32 v33, 0x3377d1cf, v28
	v_dual_fmaak_f32 v30, v29, v30, 0x3d29fb3f :: v_dual_add_f32 v31, v31, v33
	s_delay_alu instid0(VALU_DEP_1) | instskip(SKIP_1) | instid1(VALU_DEP_1)
	v_cndmask_b32_e64 v28, v28, v31, s5
	v_cndmask_b32_e64 v31, 0, 0x41b17218, vcc_lo
	v_sub_f32_e32 v28, v28, v31
	s_delay_alu instid0(VALU_DEP_1) | instskip(NEXT) | instid1(VALU_DEP_1)
	v_dual_fmaak_f32 v30, v29, v30, 0xbd97d4d7 :: v_dual_mul_f32 v31, 0.5, v28
	v_fmaak_f32 v30, v29, v30, 0x3dd931b2
                                        ; implicit-def: $vgpr28
	s_delay_alu instid0(VALU_DEP_1) | instskip(NEXT) | instid1(VALU_DEP_1)
	v_fmaak_f32 v30, v29, v30, 0xbe1160e6
	v_fmaak_f32 v30, v29, v30, 0x3e4cb8bf
	s_delay_alu instid0(VALU_DEP_1) | instskip(NEXT) | instid1(VALU_DEP_1)
	v_fmaak_f32 v30, v29, v30, 0xbeaaaa62
	v_mul_f32_e32 v29, v29, v30
                                        ; implicit-def: $vgpr30
	s_delay_alu instid0(VALU_DEP_1)
	v_fmac_f32_e32 v32, v32, v29
                                        ; implicit-def: $vgpr29
.LBB57_475:                             ;   in Loop: Header=BB57_401 Depth=1
	s_and_not1_saveexec_b32 s5, s30
	s_cbranch_execz .LBB57_477
; %bb.476:                              ;   in Loop: Header=BB57_401 Depth=1
	s_waitcnt lgkmcnt(0)
	v_cvt_f64_f32_e32 v[31:32], v29
	v_cmp_neq_f32_e32 vcc_lo, 0x7f800000, v29
	v_min_f32_e32 v28, v28, v30
	s_delay_alu instid0(VALU_DEP_1) | instskip(SKIP_2) | instid1(VALU_DEP_1)
	v_frexp_exp_i32_f32_e32 v34, v28
	v_frexp_mant_f32_e32 v28, v28
	v_frexp_exp_i32_f64_e32 v31, v[31:32]
	v_sub_nc_u32_e32 v32, 0, v31
	s_delay_alu instid0(VALU_DEP_1) | instskip(SKIP_1) | instid1(VALU_DEP_2)
	v_ldexp_f32 v33, |v4|, v32
	v_ldexp_f32 v32, |v5|, v32
	v_mul_f32_e32 v33, v33, v33
	s_delay_alu instid0(VALU_DEP_1) | instskip(SKIP_1) | instid1(VALU_DEP_2)
	v_fmac_f32_e32 v33, v32, v32
	v_frexp_mant_f32_e32 v32, v29
	v_sqrt_f32_e32 v33, v33
	s_delay_alu instid0(VALU_DEP_1) | instskip(SKIP_1) | instid1(VALU_DEP_1)
	v_rcp_f32_e32 v30, v32
	v_frexp_exp_i32_f32_e32 v32, v29
	v_sub_nc_u32_e32 v32, v34, v32
	s_waitcnt_depctr 0xfff
	v_ldexp_f32 v31, v33, v31
	s_delay_alu instid0(VALU_DEP_1) | instskip(NEXT) | instid1(VALU_DEP_1)
	v_dual_mul_f32 v28, v28, v30 :: v_dual_cndmask_b32 v29, 0x7f800000, v31
	v_ldexp_f32 v32, v28, v32
	s_delay_alu instid0(VALU_DEP_2) | instskip(SKIP_1) | instid1(VALU_DEP_1)
	v_cmp_gt_f32_e32 vcc_lo, 0x800000, v29
	v_cndmask_b32_e64 v28, 1.0, 0x4f800000, vcc_lo
	v_mul_f32_e32 v28, v29, v28
	s_delay_alu instid0(VALU_DEP_1) | instskip(SKIP_2) | instid1(VALU_DEP_1)
	v_log_f32_e32 v28, v28
	s_waitcnt_depctr 0xfff
	v_mul_f32_e32 v31, 0x3f317217, v28
	v_fma_f32 v33, 0x3f317217, v28, -v31
	s_delay_alu instid0(VALU_DEP_1) | instskip(NEXT) | instid1(VALU_DEP_1)
	v_fmac_f32_e32 v33, 0x3377d1cf, v28
	v_dual_mul_f32 v30, v32, v32 :: v_dual_add_f32 v31, v31, v33
	s_delay_alu instid0(VALU_DEP_1) | instskip(SKIP_2) | instid1(VALU_DEP_3)
	v_fmaak_f32 v29, s26, v30, 0xbc7a590c
	v_cndmask_b32_e64 v33, 0, 0x41b17218, vcc_lo
	v_cmp_gt_f32_e64 vcc_lo, 0x7f800000, |v28|
	v_dual_fmaak_f32 v29, v30, v29, 0x3d29fb3f :: v_dual_cndmask_b32 v28, v28, v31
	s_delay_alu instid0(VALU_DEP_1) | instskip(NEXT) | instid1(VALU_DEP_2)
	v_fmaak_f32 v29, v30, v29, 0xbd97d4d7
	v_sub_f32_e32 v31, v28, v33
	s_delay_alu instid0(VALU_DEP_2) | instskip(NEXT) | instid1(VALU_DEP_1)
	v_fmaak_f32 v29, v30, v29, 0x3dd931b2
	v_fmaak_f32 v29, v30, v29, 0xbe1160e6
	s_delay_alu instid0(VALU_DEP_1) | instskip(NEXT) | instid1(VALU_DEP_1)
	v_fmaak_f32 v29, v30, v29, 0x3e4cb8bf
	v_fmaak_f32 v29, v30, v29, 0xbeaaaa62
	s_delay_alu instid0(VALU_DEP_1) | instskip(NEXT) | instid1(VALU_DEP_1)
	v_mul_f32_e32 v29, v30, v29
	v_fmac_f32_e32 v32, v32, v29
.LBB57_477:                             ;   in Loop: Header=BB57_401 Depth=1
	s_or_b32 exec_lo, exec_lo, s5
                                        ; implicit-def: $vgpr28
                                        ; implicit-def: $vgpr30
                                        ; implicit-def: $vgpr29
.LBB57_478:                             ;   in Loop: Header=BB57_401 Depth=1
	s_and_not1_saveexec_b32 s29, s29
	s_cbranch_execz .LBB57_480
; %bb.479:                              ;   in Loop: Header=BB57_401 Depth=1
	v_div_scale_f32 v31, null, 0x402df854, 0x402df854, v5
	v_div_scale_f32 v32, null, 0x402df854, 0x402df854, v4
	v_div_scale_f32 v37, vcc_lo, v5, 0x402df854, v5
	s_delay_alu instid0(VALU_DEP_3) | instskip(NEXT) | instid1(VALU_DEP_2)
	v_rcp_f32_e32 v33, v31
	v_rcp_f32_e32 v34, v32
	v_min_f32_e32 v28, v28, v30
	s_waitcnt_depctr 0xfff
	v_fma_f32 v35, -v31, v33, 1.0
	v_fma_f32 v36, -v32, v34, 1.0
	s_delay_alu instid0(VALU_DEP_1) | instskip(SKIP_1) | instid1(VALU_DEP_2)
	v_dual_fmac_f32 v33, v35, v33 :: v_dual_fmac_f32 v34, v36, v34
	v_div_scale_f32 v35, s5, v4, 0x402df854, v4
	v_mul_f32_e32 v36, v37, v33
	s_delay_alu instid0(VALU_DEP_2) | instskip(NEXT) | instid1(VALU_DEP_2)
	v_mul_f32_e32 v38, v35, v34
	v_fma_f32 v39, -v31, v36, v37
	s_delay_alu instid0(VALU_DEP_2) | instskip(NEXT) | instid1(VALU_DEP_2)
	v_fma_f32 v40, -v32, v38, v35
	v_fmac_f32_e32 v36, v39, v33
	s_delay_alu instid0(VALU_DEP_2) | instskip(NEXT) | instid1(VALU_DEP_2)
	v_fmac_f32_e32 v38, v40, v34
	v_fma_f32 v31, -v31, v36, v37
	s_delay_alu instid0(VALU_DEP_2) | instskip(NEXT) | instid1(VALU_DEP_2)
	v_fma_f32 v32, -v32, v38, v35
	v_div_fmas_f32 v31, v31, v33, v36
	s_mov_b32 vcc_lo, s5
	s_delay_alu instid0(VALU_DEP_2) | instskip(NEXT) | instid1(VALU_DEP_2)
	v_div_fmas_f32 v32, v32, v34, v38
	v_div_fixup_f32 v33, v31, 0x402df854, v5
	s_delay_alu instid0(VALU_DEP_2) | instskip(NEXT) | instid1(VALU_DEP_1)
	v_div_fixup_f32 v34, v32, 0x402df854, v4
	v_max_f32_e64 v35, |v33|, |v34|
	s_delay_alu instid0(VALU_DEP_1) | instskip(SKIP_1) | instid1(VALU_DEP_2)
	v_cvt_f64_f32_e32 v[31:32], v35
	v_cmp_neq_f32_e32 vcc_lo, 0x7f800000, v35
	v_frexp_exp_i32_f64_e32 v31, v[31:32]
	s_delay_alu instid0(VALU_DEP_1) | instskip(NEXT) | instid1(VALU_DEP_1)
	v_sub_nc_u32_e32 v32, 0, v31
	v_ldexp_f32 v34, |v34|, v32
	v_ldexp_f32 v32, |v33|, v32
	s_delay_alu instid0(VALU_DEP_2) | instskip(NEXT) | instid1(VALU_DEP_1)
	v_mul_f32_e32 v33, v34, v34
	v_fmac_f32_e32 v33, v32, v32
	s_delay_alu instid0(VALU_DEP_1) | instskip(SKIP_3) | instid1(VALU_DEP_2)
	v_sqrt_f32_e32 v32, v33
	s_waitcnt lgkmcnt(0)
	v_frexp_mant_f32_e32 v33, v29
	v_frexp_exp_i32_f32_e32 v29, v29
	v_rcp_f32_e32 v30, v33
	s_waitcnt_depctr 0xfff
	v_ldexp_f32 v31, v32, v31
	v_frexp_exp_i32_f32_e32 v32, v28
	v_frexp_mant_f32_e32 v28, v28
	s_delay_alu instid0(VALU_DEP_3) | instskip(NEXT) | instid1(VALU_DEP_3)
	v_cndmask_b32_e32 v31, 0x7f800000, v31, vcc_lo
	v_sub_nc_u32_e32 v29, v32, v29
	s_delay_alu instid0(VALU_DEP_3) | instskip(NEXT) | instid1(VALU_DEP_3)
	v_mul_f32_e32 v28, v28, v30
	v_cmp_gt_f32_e32 vcc_lo, 0x800000, v31
	s_delay_alu instid0(VALU_DEP_2) | instskip(SKIP_1) | instid1(VALU_DEP_1)
	v_ldexp_f32 v32, v28, v29
	v_cndmask_b32_e64 v30, 1.0, 0x4f800000, vcc_lo
	v_dual_mul_f32 v29, v32, v32 :: v_dual_mul_f32 v28, v31, v30
	s_delay_alu instid0(VALU_DEP_1) | instskip(SKIP_2) | instid1(VALU_DEP_1)
	v_log_f32_e32 v28, v28
	s_waitcnt_depctr 0xfff
	v_mul_f32_e32 v31, 0x3f317217, v28
	v_fma_f32 v33, 0x3f317217, v28, -v31
	s_delay_alu instid0(VALU_DEP_1) | instskip(NEXT) | instid1(VALU_DEP_1)
	v_fmac_f32_e32 v33, 0x3377d1cf, v28
	v_add_f32_e32 v31, v31, v33
	v_cndmask_b32_e64 v33, 0, 0x41b17218, vcc_lo
	v_cmp_gt_f32_e64 vcc_lo, 0x7f800000, |v28|
	s_delay_alu instid0(VALU_DEP_3) | instskip(NEXT) | instid1(VALU_DEP_1)
	v_cndmask_b32_e32 v28, v28, v31, vcc_lo
	v_sub_f32_e32 v28, v28, v33
	s_delay_alu instid0(VALU_DEP_1) | instskip(NEXT) | instid1(VALU_DEP_1)
	v_dual_fmaak_f32 v30, s26, v29, 0xbc7a590c :: v_dual_add_f32 v31, 1.0, v28
	v_fmaak_f32 v30, v29, v30, 0x3d29fb3f
	s_delay_alu instid0(VALU_DEP_1) | instskip(NEXT) | instid1(VALU_DEP_1)
	v_fmaak_f32 v30, v29, v30, 0xbd97d4d7
	v_fmaak_f32 v30, v29, v30, 0x3dd931b2
	s_delay_alu instid0(VALU_DEP_1) | instskip(NEXT) | instid1(VALU_DEP_1)
	v_fmaak_f32 v30, v29, v30, 0xbe1160e6
	;; [unrolled: 3-line block ×3, first 2 shown]
	v_mul_f32_e32 v29, v29, v30
	s_delay_alu instid0(VALU_DEP_1)
	v_fmac_f32_e32 v32, v32, v29
.LBB57_480:                             ;   in Loop: Header=BB57_401 Depth=1
	s_or_b32 exec_lo, exec_lo, s29
	s_delay_alu instid0(VALU_DEP_1) | instskip(NEXT) | instid1(VALU_DEP_1)
	v_sub_f32_e32 v28, 0x3fc90fdb, v32
                                        ; implicit-def: $vgpr30
                                        ; implicit-def: $vgpr29
	v_cndmask_b32_e64 v32, v32, v28, s4
                                        ; implicit-def: $vgpr28
.LBB57_481:                             ;   in Loop: Header=BB57_401 Depth=1
	s_and_not1_saveexec_b32 s28, s28
	s_cbranch_execz .LBB57_491
; %bb.482:                              ;   in Loop: Header=BB57_401 Depth=1
	v_cmp_lt_f32_e64 s4, |v5|, |v4|
                                        ; implicit-def: $vgpr31
                                        ; implicit-def: $vgpr32
	s_mov_b32 s5, exec_lo
	s_delay_alu instid0(VALU_DEP_1) | instskip(NEXT) | instid1(VALU_DEP_1)
	v_cndmask_b32_e64 v33, |v5|, |v4|, s4
	v_cmpx_nlt_f32_e32 0x7effffff, v33
	s_xor_b32 s29, exec_lo, s5
	s_cbranch_execz .LBB57_488
; %bb.483:                              ;   in Loop: Header=BB57_401 Depth=1
	v_cndmask_b32_e64 v34, |v4|, |v5|, s4
	v_cmp_nlt_f32_e32 vcc_lo, 0x5e000000, v33
                                        ; implicit-def: $vgpr31
                                        ; implicit-def: $vgpr32
	s_delay_alu instid0(VALU_DEP_2) | instskip(NEXT) | instid1(VALU_DEP_1)
	v_cmp_ngt_f32_e64 s5, 0x20000000, v34
	s_and_b32 s5, vcc_lo, s5
	s_delay_alu instid0(SALU_CYCLE_1) | instskip(NEXT) | instid1(SALU_CYCLE_1)
	s_and_saveexec_b32 s30, s5
	s_xor_b32 s30, exec_lo, s30
	s_cbranch_execz .LBB57_485
; %bb.484:                              ;   in Loop: Header=BB57_401 Depth=1
	s_waitcnt lgkmcnt(0)
	v_frexp_mant_f32_e32 v31, v29
	v_min_f32_e32 v28, v28, v30
	v_frexp_exp_i32_f32_e32 v29, v29
	s_delay_alu instid0(VALU_DEP_3) | instskip(SKIP_1) | instid1(VALU_DEP_1)
	v_rcp_f32_e32 v30, v31
	v_mul_f32_e32 v31, v34, v34
	v_fmac_f32_e32 v31, v33, v33
	v_frexp_mant_f32_e32 v32, v28
	v_frexp_exp_i32_f32_e32 v28, v28
	s_delay_alu instid0(VALU_DEP_3) | instskip(SKIP_4) | instid1(VALU_DEP_2)
	v_cmp_gt_f32_e32 vcc_lo, 0x800000, v31
	s_waitcnt_depctr 0xfff
	v_mul_f32_e32 v30, v32, v30
	v_sub_nc_u32_e32 v28, v28, v29
	v_cndmask_b32_e64 v29, 1.0, 0x4f800000, vcc_lo
	v_ldexp_f32 v32, v30, v28
	s_delay_alu instid0(VALU_DEP_1) | instskip(NEXT) | instid1(VALU_DEP_1)
	v_dual_mul_f32 v28, v31, v29 :: v_dual_mul_f32 v29, v32, v32
	v_log_f32_e32 v28, v28
	s_delay_alu instid0(VALU_DEP_1) | instskip(SKIP_3) | instid1(VALU_DEP_2)
	v_fmaak_f32 v30, s26, v29, 0xbc7a590c
	s_waitcnt_depctr 0xfff
	v_mul_f32_e32 v31, 0x3f317217, v28
	v_cmp_gt_f32_e64 s5, 0x7f800000, |v28|
	v_fma_f32 v33, 0x3f317217, v28, -v31
	s_delay_alu instid0(VALU_DEP_1) | instskip(NEXT) | instid1(VALU_DEP_1)
	v_fmac_f32_e32 v33, 0x3377d1cf, v28
	v_dual_fmaak_f32 v30, v29, v30, 0x3d29fb3f :: v_dual_add_f32 v31, v31, v33
	s_delay_alu instid0(VALU_DEP_1) | instskip(SKIP_1) | instid1(VALU_DEP_1)
	v_cndmask_b32_e64 v28, v28, v31, s5
	v_cndmask_b32_e64 v31, 0, 0x41b17218, vcc_lo
	v_sub_f32_e32 v28, v28, v31
	s_delay_alu instid0(VALU_DEP_1) | instskip(NEXT) | instid1(VALU_DEP_1)
	v_dual_fmaak_f32 v30, v29, v30, 0xbd97d4d7 :: v_dual_mul_f32 v31, 0.5, v28
	v_fmaak_f32 v30, v29, v30, 0x3dd931b2
                                        ; implicit-def: $vgpr28
	s_delay_alu instid0(VALU_DEP_1) | instskip(NEXT) | instid1(VALU_DEP_1)
	v_fmaak_f32 v30, v29, v30, 0xbe1160e6
	v_fmaak_f32 v30, v29, v30, 0x3e4cb8bf
	s_delay_alu instid0(VALU_DEP_1) | instskip(NEXT) | instid1(VALU_DEP_1)
	v_fmaak_f32 v30, v29, v30, 0xbeaaaa62
	v_mul_f32_e32 v29, v29, v30
                                        ; implicit-def: $vgpr30
	s_delay_alu instid0(VALU_DEP_1)
	v_fmac_f32_e32 v32, v32, v29
                                        ; implicit-def: $vgpr29
.LBB57_485:                             ;   in Loop: Header=BB57_401 Depth=1
	s_and_not1_saveexec_b32 s5, s30
	s_cbranch_execz .LBB57_487
; %bb.486:                              ;   in Loop: Header=BB57_401 Depth=1
	s_waitcnt lgkmcnt(0)
	v_cvt_f64_f32_e32 v[31:32], v29
	v_cmp_neq_f32_e32 vcc_lo, 0x7f800000, v29
	v_min_f32_e32 v28, v28, v30
	s_delay_alu instid0(VALU_DEP_1) | instskip(SKIP_2) | instid1(VALU_DEP_1)
	v_frexp_exp_i32_f32_e32 v34, v28
	v_frexp_mant_f32_e32 v28, v28
	v_frexp_exp_i32_f64_e32 v31, v[31:32]
	v_sub_nc_u32_e32 v32, 0, v31
	s_delay_alu instid0(VALU_DEP_1) | instskip(SKIP_1) | instid1(VALU_DEP_2)
	v_ldexp_f32 v33, |v4|, v32
	v_ldexp_f32 v32, |v5|, v32
	v_mul_f32_e32 v33, v33, v33
	s_delay_alu instid0(VALU_DEP_1) | instskip(SKIP_1) | instid1(VALU_DEP_2)
	v_fmac_f32_e32 v33, v32, v32
	v_frexp_mant_f32_e32 v32, v29
	v_sqrt_f32_e32 v33, v33
	s_delay_alu instid0(VALU_DEP_1) | instskip(SKIP_1) | instid1(VALU_DEP_1)
	v_rcp_f32_e32 v30, v32
	v_frexp_exp_i32_f32_e32 v32, v29
	v_sub_nc_u32_e32 v32, v34, v32
	s_waitcnt_depctr 0xfff
	v_ldexp_f32 v31, v33, v31
	s_delay_alu instid0(VALU_DEP_1) | instskip(NEXT) | instid1(VALU_DEP_1)
	v_dual_mul_f32 v28, v28, v30 :: v_dual_cndmask_b32 v29, 0x7f800000, v31
	v_ldexp_f32 v32, v28, v32
	s_delay_alu instid0(VALU_DEP_2) | instskip(SKIP_1) | instid1(VALU_DEP_1)
	v_cmp_gt_f32_e32 vcc_lo, 0x800000, v29
	v_cndmask_b32_e64 v28, 1.0, 0x4f800000, vcc_lo
	v_mul_f32_e32 v28, v29, v28
	s_delay_alu instid0(VALU_DEP_1) | instskip(SKIP_2) | instid1(VALU_DEP_1)
	v_log_f32_e32 v28, v28
	s_waitcnt_depctr 0xfff
	v_mul_f32_e32 v31, 0x3f317217, v28
	v_fma_f32 v33, 0x3f317217, v28, -v31
	s_delay_alu instid0(VALU_DEP_1) | instskip(NEXT) | instid1(VALU_DEP_1)
	v_fmac_f32_e32 v33, 0x3377d1cf, v28
	v_dual_mul_f32 v30, v32, v32 :: v_dual_add_f32 v31, v31, v33
	s_delay_alu instid0(VALU_DEP_1) | instskip(SKIP_2) | instid1(VALU_DEP_3)
	v_fmaak_f32 v29, s26, v30, 0xbc7a590c
	v_cndmask_b32_e64 v33, 0, 0x41b17218, vcc_lo
	v_cmp_gt_f32_e64 vcc_lo, 0x7f800000, |v28|
	v_dual_fmaak_f32 v29, v30, v29, 0x3d29fb3f :: v_dual_cndmask_b32 v28, v28, v31
	s_delay_alu instid0(VALU_DEP_1) | instskip(NEXT) | instid1(VALU_DEP_2)
	v_fmaak_f32 v29, v30, v29, 0xbd97d4d7
	v_sub_f32_e32 v31, v28, v33
	s_delay_alu instid0(VALU_DEP_2) | instskip(NEXT) | instid1(VALU_DEP_1)
	v_fmaak_f32 v29, v30, v29, 0x3dd931b2
	v_fmaak_f32 v29, v30, v29, 0xbe1160e6
	s_delay_alu instid0(VALU_DEP_1) | instskip(NEXT) | instid1(VALU_DEP_1)
	v_fmaak_f32 v29, v30, v29, 0x3e4cb8bf
	v_fmaak_f32 v29, v30, v29, 0xbeaaaa62
	s_delay_alu instid0(VALU_DEP_1) | instskip(NEXT) | instid1(VALU_DEP_1)
	v_mul_f32_e32 v29, v30, v29
	v_fmac_f32_e32 v32, v32, v29
.LBB57_487:                             ;   in Loop: Header=BB57_401 Depth=1
	s_or_b32 exec_lo, exec_lo, s5
                                        ; implicit-def: $vgpr28
                                        ; implicit-def: $vgpr30
                                        ; implicit-def: $vgpr29
.LBB57_488:                             ;   in Loop: Header=BB57_401 Depth=1
	s_and_not1_saveexec_b32 s29, s29
	s_cbranch_execz .LBB57_490
; %bb.489:                              ;   in Loop: Header=BB57_401 Depth=1
	v_div_scale_f32 v31, null, 0xc02df854, 0xc02df854, v5
	v_div_scale_f32 v32, null, 0xc02df854, 0xc02df854, v4
	v_div_scale_f32 v37, vcc_lo, v5, 0xc02df854, v5
	s_delay_alu instid0(VALU_DEP_3) | instskip(NEXT) | instid1(VALU_DEP_2)
	v_rcp_f32_e32 v33, v31
	v_rcp_f32_e32 v34, v32
	v_min_f32_e32 v28, v28, v30
	s_waitcnt_depctr 0xfff
	v_fma_f32 v35, -v31, v33, 1.0
	v_fma_f32 v36, -v32, v34, 1.0
	s_delay_alu instid0(VALU_DEP_1) | instskip(SKIP_1) | instid1(VALU_DEP_2)
	v_dual_fmac_f32 v33, v35, v33 :: v_dual_fmac_f32 v34, v36, v34
	v_div_scale_f32 v35, s5, v4, 0xc02df854, v4
	v_mul_f32_e32 v36, v37, v33
	s_delay_alu instid0(VALU_DEP_2) | instskip(NEXT) | instid1(VALU_DEP_2)
	v_mul_f32_e32 v38, v35, v34
	v_fma_f32 v39, -v31, v36, v37
	s_delay_alu instid0(VALU_DEP_2) | instskip(NEXT) | instid1(VALU_DEP_2)
	v_fma_f32 v40, -v32, v38, v35
	v_fmac_f32_e32 v36, v39, v33
	s_delay_alu instid0(VALU_DEP_2) | instskip(NEXT) | instid1(VALU_DEP_2)
	v_fmac_f32_e32 v38, v40, v34
	v_fma_f32 v31, -v31, v36, v37
	s_delay_alu instid0(VALU_DEP_2) | instskip(NEXT) | instid1(VALU_DEP_2)
	v_fma_f32 v32, -v32, v38, v35
	v_div_fmas_f32 v31, v31, v33, v36
	s_mov_b32 vcc_lo, s5
	s_delay_alu instid0(VALU_DEP_2) | instskip(NEXT) | instid1(VALU_DEP_2)
	v_div_fmas_f32 v32, v32, v34, v38
	v_div_fixup_f32 v33, v31, 0xc02df854, v5
	s_delay_alu instid0(VALU_DEP_2) | instskip(NEXT) | instid1(VALU_DEP_1)
	v_div_fixup_f32 v34, v32, 0xc02df854, v4
	v_max_f32_e64 v35, |v33|, |v34|
	s_delay_alu instid0(VALU_DEP_1) | instskip(SKIP_1) | instid1(VALU_DEP_2)
	v_cvt_f64_f32_e32 v[31:32], v35
	v_cmp_neq_f32_e32 vcc_lo, 0x7f800000, v35
	v_frexp_exp_i32_f64_e32 v31, v[31:32]
	s_delay_alu instid0(VALU_DEP_1) | instskip(NEXT) | instid1(VALU_DEP_1)
	v_sub_nc_u32_e32 v32, 0, v31
	v_ldexp_f32 v34, |v34|, v32
	v_ldexp_f32 v32, |v33|, v32
	s_delay_alu instid0(VALU_DEP_2) | instskip(NEXT) | instid1(VALU_DEP_1)
	v_mul_f32_e32 v33, v34, v34
	v_fmac_f32_e32 v33, v32, v32
	s_delay_alu instid0(VALU_DEP_1) | instskip(SKIP_3) | instid1(VALU_DEP_2)
	v_sqrt_f32_e32 v32, v33
	s_waitcnt lgkmcnt(0)
	v_frexp_mant_f32_e32 v33, v29
	v_frexp_exp_i32_f32_e32 v29, v29
	v_rcp_f32_e32 v30, v33
	s_waitcnt_depctr 0xfff
	v_ldexp_f32 v31, v32, v31
	v_frexp_exp_i32_f32_e32 v32, v28
	v_frexp_mant_f32_e32 v28, v28
	s_delay_alu instid0(VALU_DEP_3) | instskip(NEXT) | instid1(VALU_DEP_3)
	v_cndmask_b32_e32 v31, 0x7f800000, v31, vcc_lo
	v_sub_nc_u32_e32 v29, v32, v29
	s_delay_alu instid0(VALU_DEP_3) | instskip(NEXT) | instid1(VALU_DEP_3)
	v_mul_f32_e32 v28, v28, v30
	v_cmp_gt_f32_e32 vcc_lo, 0x800000, v31
	s_delay_alu instid0(VALU_DEP_2) | instskip(SKIP_1) | instid1(VALU_DEP_1)
	v_ldexp_f32 v32, v28, v29
	v_cndmask_b32_e64 v30, 1.0, 0x4f800000, vcc_lo
	v_dual_mul_f32 v29, v32, v32 :: v_dual_mul_f32 v28, v31, v30
	s_delay_alu instid0(VALU_DEP_1) | instskip(SKIP_2) | instid1(VALU_DEP_1)
	v_log_f32_e32 v28, v28
	s_waitcnt_depctr 0xfff
	v_mul_f32_e32 v31, 0x3f317217, v28
	v_fma_f32 v33, 0x3f317217, v28, -v31
	s_delay_alu instid0(VALU_DEP_1) | instskip(NEXT) | instid1(VALU_DEP_1)
	v_fmac_f32_e32 v33, 0x3377d1cf, v28
	v_add_f32_e32 v31, v31, v33
	v_cndmask_b32_e64 v33, 0, 0x41b17218, vcc_lo
	v_cmp_gt_f32_e64 vcc_lo, 0x7f800000, |v28|
	s_delay_alu instid0(VALU_DEP_3) | instskip(NEXT) | instid1(VALU_DEP_1)
	v_cndmask_b32_e32 v28, v28, v31, vcc_lo
	v_sub_f32_e32 v28, v28, v33
	s_delay_alu instid0(VALU_DEP_1) | instskip(NEXT) | instid1(VALU_DEP_1)
	v_dual_fmaak_f32 v30, s26, v29, 0xbc7a590c :: v_dual_add_f32 v31, 1.0, v28
	v_fmaak_f32 v30, v29, v30, 0x3d29fb3f
	s_delay_alu instid0(VALU_DEP_1) | instskip(NEXT) | instid1(VALU_DEP_1)
	v_fmaak_f32 v30, v29, v30, 0xbd97d4d7
	v_fmaak_f32 v30, v29, v30, 0x3dd931b2
	s_delay_alu instid0(VALU_DEP_1) | instskip(NEXT) | instid1(VALU_DEP_1)
	v_fmaak_f32 v30, v29, v30, 0xbe1160e6
	v_fmaak_f32 v30, v29, v30, 0x3e4cb8bf
	s_delay_alu instid0(VALU_DEP_1) | instskip(NEXT) | instid1(VALU_DEP_1)
	v_fmaak_f32 v30, v29, v30, 0xbeaaaa62
	v_mul_f32_e32 v29, v29, v30
	s_delay_alu instid0(VALU_DEP_1)
	v_fmac_f32_e32 v32, v32, v29
.LBB57_490:                             ;   in Loop: Header=BB57_401 Depth=1
	s_or_b32 exec_lo, exec_lo, s29
	s_delay_alu instid0(VALU_DEP_1) | instskip(NEXT) | instid1(VALU_DEP_1)
	v_sub_f32_e32 v28, 0x3fc90fdb, v32
	v_cndmask_b32_e64 v32, v32, v28, s4
.LBB57_491:                             ;   in Loop: Header=BB57_401 Depth=1
	s_or_b32 exec_lo, exec_lo, s28
	v_cmp_neq_f32_e32 vcc_lo, 0, v4
	v_cmp_class_f32_e64 s4, v5, 0x204
	v_cmp_class_f32_e64 s5, v4, 0x204
	s_waitcnt lgkmcnt(0)
	v_dual_add_f32 v29, 0x3f317218, v31 :: v_dual_cndmask_b32 v28, 0, v32
	v_cmp_o_f32_e32 vcc_lo, v4, v5
	s_delay_alu instid0(VALU_DEP_3) | instskip(NEXT) | instid1(VALU_DEP_2)
	s_and_b32 s4, s4, s5
	v_bfi_b32 v5, 0x7fffffff, v29, v5
	s_delay_alu instid0(VALU_DEP_3) | instskip(NEXT) | instid1(VALU_DEP_1)
	v_cndmask_b32_e64 v28, v28, 0x3f490fdb, s4
	v_cndmask_b32_e32 v28, 0x7fc00000, v28, vcc_lo
	s_delay_alu instid0(VALU_DEP_1)
	v_bfi_b32 v4, 0x7fffffff, v28, v4
.LBB57_492:                             ;   in Loop: Header=BB57_401 Depth=1
	s_or_b32 exec_lo, exec_lo, s27
.LBB57_493:                             ;   in Loop: Header=BB57_401 Depth=1
	s_and_not1_saveexec_b32 s4, s11
	s_cbranch_execz .LBB57_507
; %bb.494:                              ;   in Loop: Header=BB57_401 Depth=1
	v_cmp_neq_f32_e64 s5, 0x7f800000, |v5|
                                        ; implicit-def: $vgpr28
                                        ; implicit-def: $vgpr29
	s_delay_alu instid0(VALU_DEP_1) | instskip(NEXT) | instid1(SALU_CYCLE_1)
	s_and_saveexec_b32 s11, s5
	s_xor_b32 s5, exec_lo, s11
	s_cbranch_execz .LBB57_504
; %bb.495:                              ;   in Loop: Header=BB57_401 Depth=1
	v_cmp_neq_f32_e64 s11, 0x7f800000, |v4|
                                        ; implicit-def: $vgpr28
                                        ; implicit-def: $vgpr29
	s_delay_alu instid0(VALU_DEP_1) | instskip(NEXT) | instid1(SALU_CYCLE_1)
	s_and_saveexec_b32 s27, s11
	s_xor_b32 s11, exec_lo, s27
	s_cbranch_execz .LBB57_501
; %bb.496:                              ;   in Loop: Header=BB57_401 Depth=1
	s_mov_b32 s27, exec_lo
                                        ; implicit-def: $vgpr28
	v_cmpx_neq_f32_e32 0, v4
	s_xor_b32 s27, exec_lo, s27
; %bb.497:                              ;   in Loop: Header=BB57_401 Depth=1
	v_add_f32_e32 v5, 0, v5
	s_delay_alu instid0(VALU_DEP_1)
	v_add_f32_e32 v28, v4, v5
                                        ; implicit-def: $vgpr5
; %bb.498:                              ;   in Loop: Header=BB57_401 Depth=1
	s_or_saveexec_b32 s27, s27
	s_waitcnt lgkmcnt(0)
	s_delay_alu instid0(VALU_DEP_1)
	v_mov_b32_e32 v29, v28
	s_xor_b32 exec_lo, exec_lo, s27
; %bb.499:                              ;   in Loop: Header=BB57_401 Depth=1
	v_dual_add_f32 v29, v5, v5 :: v_dual_mov_b32 v28, v4
; %bb.500:                              ;   in Loop: Header=BB57_401 Depth=1
	s_or_b32 exec_lo, exec_lo, s27
                                        ; implicit-def: $vgpr5
.LBB57_501:                             ;   in Loop: Header=BB57_401 Depth=1
	s_and_not1_saveexec_b32 s11, s11
	s_cbranch_execz .LBB57_503
; %bb.502:                              ;   in Loop: Header=BB57_401 Depth=1
	s_waitcnt lgkmcnt(0)
	v_dual_add_f32 v28, v5, v5 :: v_dual_mov_b32 v29, v4
.LBB57_503:                             ;   in Loop: Header=BB57_401 Depth=1
	s_or_b32 exec_lo, exec_lo, s11
                                        ; implicit-def: $vgpr4
.LBB57_504:                             ;   in Loop: Header=BB57_401 Depth=1
	s_and_not1_saveexec_b32 s5, s5
	s_cbranch_execz .LBB57_506
; %bb.505:                              ;   in Loop: Header=BB57_401 Depth=1
	s_waitcnt lgkmcnt(0)
	v_dual_add_f32 v28, v4, v4 :: v_dual_mov_b32 v29, v5
.LBB57_506:                             ;   in Loop: Header=BB57_401 Depth=1
	s_or_b32 exec_lo, exec_lo, s5
	s_waitcnt lgkmcnt(0)
	s_delay_alu instid0(VALU_DEP_1)
	v_dual_mov_b32 v5, v29 :: v_dual_mov_b32 v4, v28
.LBB57_507:                             ;   in Loop: Header=BB57_401 Depth=1
	s_or_b32 exec_lo, exec_lo, s4
	v_cmp_o_f32_e32 vcc_lo, v7, v7
	v_cmp_o_f32_e64 s4, v6, v6
	s_delay_alu instid0(VALU_DEP_1) | instskip(NEXT) | instid1(SALU_CYCLE_1)
	s_and_b32 s4, vcc_lo, s4
	s_and_saveexec_b32 s5, s4
	s_delay_alu instid0(SALU_CYCLE_1)
	s_xor_b32 s11, exec_lo, s5
	s_cbranch_execz .LBB57_591
; %bb.508:                              ;   in Loop: Header=BB57_401 Depth=1
	v_max_f32_e64 v30, |v6|, |v6|
	v_max_f32_e64 v28, |v7|, |v7|
	s_mov_b32 s4, exec_lo
	s_waitcnt lgkmcnt(0)
	s_delay_alu instid0(VALU_DEP_1) | instskip(NEXT) | instid1(VALU_DEP_1)
	v_max_f32_e32 v29, v28, v30
	v_cmpx_nlt_f32_e32 0x4b000000, v29
	s_xor_b32 s27, exec_lo, s4
	s_cbranch_execz .LBB57_568
; %bb.509:                              ;   in Loop: Header=BB57_401 Depth=1
	v_cmp_neq_f32_e32 vcc_lo, 0, v7
	v_cmp_neq_f32_e64 s4, 0, v6
	s_delay_alu instid0(VALU_DEP_1) | instskip(NEXT) | instid1(SALU_CYCLE_1)
	s_or_b32 s4, vcc_lo, s4
	s_and_saveexec_b32 s28, s4
	s_cbranch_execz .LBB57_567
; %bb.510:                              ;   in Loop: Header=BB57_401 Depth=1
	v_dual_mov_b32 v30, s13 :: v_dual_mov_b32 v29, s12
	v_cmp_ngt_f32_e64 s4, 0x395db3d7, |v7|
	v_cmp_ngt_f32_e64 s5, 0x395db3d7, |v6|
	flat_store_b32 v[29:30], v26 dlc
	s_waitcnt_vscnt null, 0x0
	flat_load_b32 v29, v[29:30] glc dlc
	s_waitcnt vmcnt(0)
	s_or_b32 s4, s4, s5
	s_waitcnt lgkmcnt(0)
	v_dual_add_f32 v31, 1.0, v29 :: v_dual_mov_b32 v30, s15
	v_mov_b32_e32 v29, s14
	flat_store_b32 v[29:30], v31 dlc
	s_waitcnt_vscnt null, 0x0
	flat_load_b32 v29, v[29:30] glc dlc
	s_waitcnt vmcnt(0)
	s_and_saveexec_b32 s29, s4
	s_cbranch_execz .LBB57_566
; %bb.511:                              ;   in Loop: Header=BB57_401 Depth=1
	v_add_f32_e64 v30, |v6|, 1.0
	s_waitcnt lgkmcnt(0)
	v_add_f32_e64 v29, |v6|, -1.0
	s_mov_b32 s4, exec_lo
	s_delay_alu instid0(VALU_DEP_2) | instskip(NEXT) | instid1(VALU_DEP_2)
	v_max_f32_e64 v35, v28, |v30|
	v_max_f32_e64 v28, v28, |v29|
	s_delay_alu instid0(VALU_DEP_2) | instskip(NEXT) | instid1(VALU_DEP_2)
	v_cvt_f64_f32_e32 v[31:32], v35
	v_cvt_f64_f32_e32 v[33:34], v28
	v_cmp_neq_f32_e32 vcc_lo, 0x7f800000, v35
	s_delay_alu instid0(VALU_DEP_3) | instskip(NEXT) | instid1(VALU_DEP_3)
	v_frexp_exp_i32_f64_e32 v31, v[31:32]
	v_frexp_exp_i32_f64_e32 v32, v[33:34]
	s_delay_alu instid0(VALU_DEP_2) | instskip(NEXT) | instid1(VALU_DEP_2)
	v_sub_nc_u32_e32 v33, 0, v31
	v_sub_nc_u32_e32 v34, 0, v32
	s_delay_alu instid0(VALU_DEP_2) | instskip(NEXT) | instid1(VALU_DEP_2)
	v_ldexp_f32 v36, |v30|, v33
	v_ldexp_f32 v37, |v29|, v34
	;; [unrolled: 1-line block ×4, first 2 shown]
	s_delay_alu instid0(VALU_DEP_3) | instskip(NEXT) | instid1(VALU_DEP_1)
	v_dual_mul_f32 v36, v36, v36 :: v_dual_mul_f32 v37, v37, v37
	v_dual_fmac_f32 v36, v33, v33 :: v_dual_fmac_f32 v37, v34, v34
	s_delay_alu instid0(VALU_DEP_1) | instskip(NEXT) | instid1(VALU_DEP_1)
	v_sqrt_f32_e32 v33, v36
	v_sqrt_f32_e32 v34, v37
	s_waitcnt_depctr 0xfff
	v_ldexp_f32 v31, v33, v31
	v_ldexp_f32 v32, v34, v32
                                        ; implicit-def: $vgpr34
	s_delay_alu instid0(VALU_DEP_2) | instskip(SKIP_1) | instid1(VALU_DEP_3)
	v_cndmask_b32_e32 v33, 0x7f800000, v31, vcc_lo
	v_cmp_neq_f32_e32 vcc_lo, 0x7f800000, v28
	v_cndmask_b32_e32 v31, 0x7f800000, v32, vcc_lo
	s_delay_alu instid0(VALU_DEP_1) | instskip(NEXT) | instid1(VALU_DEP_1)
	v_add_f32_e32 v28, v33, v31
	v_mul_f32_e32 v28, 0.5, v28
	s_delay_alu instid0(VALU_DEP_1) | instskip(SKIP_1) | instid1(VALU_DEP_1)
	v_cmp_ngt_f32_e32 vcc_lo, 1.0, v28
	v_cndmask_b32_e32 v28, 1.0, v28, vcc_lo
	v_cmpx_ngt_f32_e32 0x41200000, v28
	s_xor_b32 s5, exec_lo, s4
	s_cbranch_execz .LBB57_513
; %bb.512:                              ;   in Loop: Header=BB57_401 Depth=1
	v_fma_f32 v32, v28, v28, -1.0
	s_delay_alu instid0(VALU_DEP_1) | instskip(SKIP_1) | instid1(VALU_DEP_2)
	v_mul_f32_e32 v34, 0x4f800000, v32
	v_cmp_gt_f32_e32 vcc_lo, 0xf800000, v32
	v_cndmask_b32_e32 v32, v32, v34, vcc_lo
	s_delay_alu instid0(VALU_DEP_1) | instskip(SKIP_3) | instid1(VALU_DEP_2)
	v_sqrt_f32_e32 v34, v32
	s_waitcnt_depctr 0xfff
	v_add_nc_u32_e32 v35, -1, v34
	v_add_nc_u32_e32 v36, 1, v34
	v_fma_f32 v37, -v35, v34, v32
	s_delay_alu instid0(VALU_DEP_2) | instskip(NEXT) | instid1(VALU_DEP_2)
	v_fma_f32 v38, -v36, v34, v32
	v_cmp_ge_f32_e64 s4, 0, v37
	s_delay_alu instid0(VALU_DEP_1) | instskip(NEXT) | instid1(VALU_DEP_3)
	v_cndmask_b32_e64 v34, v34, v35, s4
	v_cmp_lt_f32_e64 s4, 0, v38
	s_delay_alu instid0(VALU_DEP_1) | instskip(NEXT) | instid1(VALU_DEP_1)
	v_cndmask_b32_e64 v34, v34, v36, s4
	v_mul_f32_e32 v35, 0x37800000, v34
	s_delay_alu instid0(VALU_DEP_1) | instskip(SKIP_1) | instid1(VALU_DEP_2)
	v_cndmask_b32_e32 v34, v34, v35, vcc_lo
	v_cmp_class_f32_e64 vcc_lo, v32, 0x260
	v_cndmask_b32_e32 v32, v34, v32, vcc_lo
	s_delay_alu instid0(VALU_DEP_1) | instskip(NEXT) | instid1(VALU_DEP_1)
	v_add_f32_e32 v32, v28, v32
	v_cmp_gt_f32_e32 vcc_lo, 0x800000, v32
	s_delay_alu instid0(VALU_DEP_4) | instskip(NEXT) | instid1(VALU_DEP_1)
	v_cndmask_b32_e64 v34, 1.0, 0x4f800000, vcc_lo
	v_mul_f32_e32 v32, v32, v34
	s_delay_alu instid0(VALU_DEP_1) | instskip(SKIP_3) | instid1(VALU_DEP_2)
	v_log_f32_e32 v32, v32
	s_waitcnt_depctr 0xfff
	v_mul_f32_e32 v34, 0x3f317217, v32
	v_cmp_gt_f32_e64 s4, 0x7f800000, |v32|
	v_fma_f32 v35, 0x3f317217, v32, -v34
	s_delay_alu instid0(VALU_DEP_1) | instskip(NEXT) | instid1(VALU_DEP_1)
	v_fmac_f32_e32 v35, 0x3377d1cf, v32
	v_add_f32_e32 v34, v34, v35
	s_delay_alu instid0(VALU_DEP_1) | instskip(SKIP_1) | instid1(VALU_DEP_1)
	v_cndmask_b32_e64 v32, v32, v34, s4
	v_cndmask_b32_e64 v34, 0, 0x41b17218, vcc_lo
	v_sub_f32_e32 v34, v32, v34
.LBB57_513:                             ;   in Loop: Header=BB57_401 Depth=1
	s_or_saveexec_b32 s5, s5
	v_and_b32_e32 v32, 0x7fffffff, v7
	s_xor_b32 exec_lo, exec_lo, s5
	s_cbranch_execz .LBB57_535
; %bb.514:                              ;   in Loop: Header=BB57_401 Depth=1
	v_cmp_neq_f32_e64 s4, |v6|, 1.0
	v_cmp_ngt_f32_e64 s30, 0x25000000, |v7|
                                        ; implicit-def: $vgpr34
	s_delay_alu instid0(VALU_DEP_1) | instskip(NEXT) | instid1(SALU_CYCLE_1)
	s_or_b32 s4, s30, s4
	s_and_saveexec_b32 s30, s4
	s_delay_alu instid0(SALU_CYCLE_1)
	s_xor_b32 s30, exec_lo, s30
	s_cbranch_execz .LBB57_532
; %bb.515:                              ;   in Loop: Header=BB57_401 Depth=1
	v_mul_f32_e64 v34, 0x34000000, |v29|
	s_delay_alu instid0(VALU_DEP_1) | instskip(NEXT) | instid1(VALU_DEP_1)
	v_cmp_le_f32_e64 s4, v34, |v7|
                                        ; implicit-def: $vgpr34
	s_and_saveexec_b32 s31, s4
	s_delay_alu instid0(SALU_CYCLE_1)
	s_xor_b32 s31, exec_lo, s31
	s_cbranch_execz .LBB57_525
; %bb.516:                              ;   in Loop: Header=BB57_401 Depth=1
	v_mov_b32_e32 v34, v32
	s_mov_b32 s4, exec_lo
	v_cmpx_neq_f32_e32 0, v30
	s_cbranch_execz .LBB57_518
; %bb.517:                              ;   in Loop: Header=BB57_401 Depth=1
	v_dual_mul_f32 v34, v7, v7 :: v_dual_add_f32 v35, v30, v33
	s_delay_alu instid0(VALU_DEP_1) | instskip(NEXT) | instid1(VALU_DEP_1)
	v_div_scale_f32 v36, null, v35, v35, v34
	v_rcp_f32_e32 v37, v36
	s_waitcnt_depctr 0xfff
	v_fma_f32 v38, -v36, v37, 1.0
	s_delay_alu instid0(VALU_DEP_1) | instskip(SKIP_1) | instid1(VALU_DEP_1)
	v_fmac_f32_e32 v37, v38, v37
	v_div_scale_f32 v38, vcc_lo, v34, v35, v34
	v_mul_f32_e32 v39, v38, v37
	s_delay_alu instid0(VALU_DEP_1) | instskip(NEXT) | instid1(VALU_DEP_1)
	v_fma_f32 v40, -v36, v39, v38
	v_fmac_f32_e32 v39, v40, v37
	s_delay_alu instid0(VALU_DEP_1) | instskip(NEXT) | instid1(VALU_DEP_1)
	v_fma_f32 v36, -v36, v39, v38
	v_div_fmas_f32 v36, v36, v37, v39
	s_delay_alu instid0(VALU_DEP_1)
	v_div_fixup_f32 v34, v36, v35, v34
.LBB57_518:                             ;   in Loop: Header=BB57_401 Depth=1
	s_or_b32 exec_lo, exec_lo, s4
	v_sub_f32_e64 v36, 1.0, |v6|
	s_mov_b32 s4, exec_lo
                                        ; implicit-def: $vgpr35
	s_delay_alu instid0(VALU_DEP_1)
	v_cmpx_ngt_f32_e32 0, v36
	s_xor_b32 s4, exec_lo, s4
	s_cbranch_execz .LBB57_522
; %bb.519:                              ;   in Loop: Header=BB57_401 Depth=1
	v_mov_b32_e32 v35, v32
	s_mov_b32 s33, exec_lo
	v_cmpx_neq_f32_e32 0, v36
	s_cbranch_execz .LBB57_521
; %bb.520:                              ;   in Loop: Header=BB57_401 Depth=1
	v_mul_f32_e32 v35, v7, v7
	v_add_f32_e32 v36, v36, v31
	s_delay_alu instid0(VALU_DEP_1) | instskip(NEXT) | instid1(VALU_DEP_1)
	v_div_scale_f32 v37, null, v36, v36, v35
	v_rcp_f32_e32 v38, v37
	s_waitcnt_depctr 0xfff
	v_fma_f32 v39, -v37, v38, 1.0
	s_delay_alu instid0(VALU_DEP_1) | instskip(SKIP_1) | instid1(VALU_DEP_1)
	v_fmac_f32_e32 v38, v39, v38
	v_div_scale_f32 v39, vcc_lo, v35, v36, v35
	v_mul_f32_e32 v40, v39, v38
	s_delay_alu instid0(VALU_DEP_1) | instskip(NEXT) | instid1(VALU_DEP_1)
	v_fma_f32 v41, -v37, v40, v39
	v_fmac_f32_e32 v40, v41, v38
	s_delay_alu instid0(VALU_DEP_1) | instskip(NEXT) | instid1(VALU_DEP_1)
	v_fma_f32 v37, -v37, v40, v39
	v_div_fmas_f32 v37, v37, v38, v40
	s_delay_alu instid0(VALU_DEP_1)
	v_div_fixup_f32 v35, v37, v36, v35
.LBB57_521:                             ;   in Loop: Header=BB57_401 Depth=1
	s_or_b32 exec_lo, exec_lo, s33
                                        ; implicit-def: $vgpr36
.LBB57_522:                             ;   in Loop: Header=BB57_401 Depth=1
	s_and_not1_saveexec_b32 s4, s4
; %bb.523:                              ;   in Loop: Header=BB57_401 Depth=1
	v_sub_f32_e32 v35, v31, v36
; %bb.524:                              ;   in Loop: Header=BB57_401 Depth=1
	s_or_b32 exec_lo, exec_lo, s4
	s_delay_alu instid0(VALU_DEP_1) | instskip(NEXT) | instid1(VALU_DEP_1)
	v_dual_mul_f32 v35, 0.5, v35 :: v_dual_add_f32 v36, 1.0, v28
	v_fmac_f32_e32 v35, 0.5, v34
	s_delay_alu instid0(VALU_DEP_1) | instskip(NEXT) | instid1(VALU_DEP_1)
	v_mul_f32_e32 v34, v36, v35
	v_mul_f32_e32 v36, 0x4f800000, v34
	v_cmp_gt_f32_e32 vcc_lo, 0xf800000, v34
	s_delay_alu instid0(VALU_DEP_2) | instskip(NEXT) | instid1(VALU_DEP_1)
	v_cndmask_b32_e32 v34, v34, v36, vcc_lo
	v_sqrt_f32_e32 v36, v34
	s_waitcnt_depctr 0xfff
	v_add_nc_u32_e32 v37, -1, v36
	v_add_nc_u32_e32 v38, 1, v36
	s_delay_alu instid0(VALU_DEP_2) | instskip(NEXT) | instid1(VALU_DEP_2)
	v_fma_f32 v39, -v37, v36, v34
	v_fma_f32 v40, -v38, v36, v34
	s_delay_alu instid0(VALU_DEP_2) | instskip(NEXT) | instid1(VALU_DEP_1)
	v_cmp_ge_f32_e64 s4, 0, v39
	v_cndmask_b32_e64 v36, v36, v37, s4
	s_delay_alu instid0(VALU_DEP_3) | instskip(NEXT) | instid1(VALU_DEP_1)
	v_cmp_lt_f32_e64 s4, 0, v40
	v_cndmask_b32_e64 v36, v36, v38, s4
	s_delay_alu instid0(VALU_DEP_1) | instskip(NEXT) | instid1(VALU_DEP_1)
	v_mul_f32_e32 v37, 0x37800000, v36
	v_cndmask_b32_e32 v36, v36, v37, vcc_lo
	v_cmp_class_f32_e64 vcc_lo, v34, 0x260
	s_delay_alu instid0(VALU_DEP_2) | instskip(NEXT) | instid1(VALU_DEP_1)
	v_cndmask_b32_e32 v34, v36, v34, vcc_lo
	v_add_f32_e32 v36, v35, v34
	s_delay_alu instid0(VALU_DEP_1) | instskip(NEXT) | instid1(VALU_DEP_1)
	v_add_f32_e32 v37, 1.0, v36
	v_cvt_f64_f32_e32 v[34:35], v37
	s_delay_alu instid0(VALU_DEP_1) | instskip(SKIP_1) | instid1(VALU_DEP_1)
	v_frexp_exp_i32_f64_e32 v34, v[34:35]
	v_frexp_mant_f32_e32 v35, v37
	v_cmp_gt_f32_e32 vcc_lo, 0x3f2aaaab, v35
	v_add_f32_e32 v35, -1.0, v37
	s_delay_alu instid0(VALU_DEP_1) | instskip(NEXT) | instid1(VALU_DEP_1)
	v_sub_f32_e32 v39, v35, v37
	v_add_f32_e32 v39, 1.0, v39
	v_subrev_co_ci_u32_e32 v34, vcc_lo, 0, v34, vcc_lo
	s_delay_alu instid0(VALU_DEP_1) | instskip(SKIP_1) | instid1(VALU_DEP_2)
	v_sub_nc_u32_e32 v38, 0, v34
	v_cvt_f32_i32_e32 v34, v34
	v_ldexp_f32 v37, v37, v38
	s_delay_alu instid0(VALU_DEP_1) | instskip(NEXT) | instid1(VALU_DEP_1)
	v_dual_sub_f32 v35, v36, v35 :: v_dual_add_f32 v40, 1.0, v37
	v_add_f32_e32 v35, v35, v39
	s_delay_alu instid0(VALU_DEP_2) | instskip(NEXT) | instid1(VALU_DEP_2)
	v_add_f32_e32 v39, -1.0, v40
	v_ldexp_f32 v35, v35, v38
	v_add_f32_e32 v38, -1.0, v37
	v_cmp_eq_f32_e32 vcc_lo, 0x7f800000, v36
	s_delay_alu instid0(VALU_DEP_4) | instskip(NEXT) | instid1(VALU_DEP_3)
	v_sub_f32_e32 v39, v37, v39
	v_add_f32_e32 v41, 1.0, v38
	s_delay_alu instid0(VALU_DEP_2) | instskip(NEXT) | instid1(VALU_DEP_2)
	v_add_f32_e32 v39, v35, v39
	v_sub_f32_e32 v37, v37, v41
	s_delay_alu instid0(VALU_DEP_1) | instskip(NEXT) | instid1(VALU_DEP_1)
	v_add_f32_e32 v35, v35, v37
	v_add_f32_e32 v42, v38, v35
	s_delay_alu instid0(VALU_DEP_1) | instskip(NEXT) | instid1(VALU_DEP_1)
	v_dual_add_f32 v41, v40, v39 :: v_dual_sub_f32 v38, v42, v38
	v_rcp_f32_e32 v37, v41
	v_sub_f32_e32 v40, v41, v40
	s_delay_alu instid0(VALU_DEP_1) | instskip(SKIP_2) | instid1(VALU_DEP_1)
	v_sub_f32_e32 v39, v39, v40
	s_waitcnt_depctr 0xfff
	v_mul_f32_e32 v43, v42, v37
	v_mul_f32_e32 v44, v41, v43
	s_delay_alu instid0(VALU_DEP_1) | instskip(NEXT) | instid1(VALU_DEP_1)
	v_fma_f32 v40, v43, v41, -v44
	v_fmac_f32_e32 v40, v43, v39
	v_sub_f32_e32 v35, v35, v38
	s_delay_alu instid0(VALU_DEP_2) | instskip(NEXT) | instid1(VALU_DEP_1)
	v_add_f32_e32 v45, v44, v40
	v_sub_f32_e32 v46, v42, v45
	v_sub_f32_e32 v38, v45, v44
	s_delay_alu instid0(VALU_DEP_2) | instskip(NEXT) | instid1(VALU_DEP_2)
	v_sub_f32_e32 v42, v42, v46
	v_sub_f32_e32 v38, v38, v40
	s_delay_alu instid0(VALU_DEP_2) | instskip(NEXT) | instid1(VALU_DEP_1)
	v_sub_f32_e32 v42, v42, v45
	v_add_f32_e32 v35, v35, v42
	s_delay_alu instid0(VALU_DEP_1) | instskip(NEXT) | instid1(VALU_DEP_1)
	v_add_f32_e32 v35, v38, v35
	v_add_f32_e32 v38, v46, v35
	s_delay_alu instid0(VALU_DEP_1) | instskip(NEXT) | instid1(VALU_DEP_1)
	v_mul_f32_e32 v40, v37, v38
	v_dual_sub_f32 v45, v46, v38 :: v_dual_mul_f32 v42, v41, v40
	s_delay_alu instid0(VALU_DEP_1) | instskip(NEXT) | instid1(VALU_DEP_2)
	v_add_f32_e32 v35, v35, v45
	v_fma_f32 v41, v40, v41, -v42
	s_delay_alu instid0(VALU_DEP_1) | instskip(NEXT) | instid1(VALU_DEP_1)
	v_fmac_f32_e32 v41, v40, v39
	v_add_f32_e32 v39, v42, v41
	s_delay_alu instid0(VALU_DEP_1) | instskip(NEXT) | instid1(VALU_DEP_1)
	v_sub_f32_e32 v44, v38, v39
	v_sub_f32_e32 v38, v38, v44
	s_delay_alu instid0(VALU_DEP_1) | instskip(NEXT) | instid1(VALU_DEP_1)
	v_sub_f32_e32 v38, v38, v39
	v_add_f32_e32 v35, v35, v38
	v_add_f32_e32 v38, v43, v40
	v_sub_f32_e32 v42, v39, v42
	s_delay_alu instid0(VALU_DEP_1) | instskip(NEXT) | instid1(VALU_DEP_1)
	v_sub_f32_e32 v39, v42, v41
	v_add_f32_e32 v35, v39, v35
	s_delay_alu instid0(VALU_DEP_4) | instskip(NEXT) | instid1(VALU_DEP_2)
	v_sub_f32_e32 v39, v38, v43
	v_add_f32_e32 v35, v44, v35
	s_delay_alu instid0(VALU_DEP_2) | instskip(NEXT) | instid1(VALU_DEP_2)
	v_sub_f32_e32 v39, v40, v39
	v_mul_f32_e32 v35, v37, v35
	s_delay_alu instid0(VALU_DEP_1) | instskip(NEXT) | instid1(VALU_DEP_1)
	v_add_f32_e32 v35, v39, v35
	v_add_f32_e32 v37, v38, v35
	s_delay_alu instid0(VALU_DEP_1) | instskip(NEXT) | instid1(VALU_DEP_1)
	v_mul_f32_e32 v39, v37, v37
	v_fmaak_f32 v40, s24, v39, 0x3ecc95a3
	v_mul_f32_e32 v41, v37, v39
	s_delay_alu instid0(VALU_DEP_2) | instskip(SKIP_2) | instid1(VALU_DEP_3)
	v_fmaak_f32 v39, v39, v40, 0x3f2aaada
	v_ldexp_f32 v40, v37, 1
	v_sub_f32_e32 v37, v37, v38
	v_mul_f32_e32 v39, v41, v39
	v_mul_f32_e32 v41, 0x3f317218, v34
	s_delay_alu instid0(VALU_DEP_2) | instskip(NEXT) | instid1(VALU_DEP_1)
	v_dual_sub_f32 v35, v35, v37 :: v_dual_add_f32 v38, v40, v39
	v_ldexp_f32 v35, v35, 1
	s_delay_alu instid0(VALU_DEP_2) | instskip(NEXT) | instid1(VALU_DEP_4)
	v_sub_f32_e32 v37, v38, v40
	v_fma_f32 v40, 0x3f317218, v34, -v41
	s_delay_alu instid0(VALU_DEP_1) | instskip(NEXT) | instid1(VALU_DEP_1)
	v_dual_sub_f32 v37, v39, v37 :: v_dual_fmac_f32 v40, 0xb102e308, v34
	v_dual_add_f32 v34, v35, v37 :: v_dual_add_f32 v35, v41, v40
	s_delay_alu instid0(VALU_DEP_1) | instskip(NEXT) | instid1(VALU_DEP_2)
	v_add_f32_e32 v37, v38, v34
	v_sub_f32_e32 v41, v35, v41
	s_delay_alu instid0(VALU_DEP_2) | instskip(NEXT) | instid1(VALU_DEP_2)
	v_dual_add_f32 v39, v35, v37 :: v_dual_sub_f32 v38, v37, v38
	v_sub_f32_e32 v40, v40, v41
	s_delay_alu instid0(VALU_DEP_2) | instskip(NEXT) | instid1(VALU_DEP_3)
	v_sub_f32_e32 v42, v39, v35
	v_sub_f32_e32 v34, v34, v38
	s_delay_alu instid0(VALU_DEP_2) | instskip(SKIP_1) | instid1(VALU_DEP_2)
	v_sub_f32_e32 v43, v39, v42
	v_sub_f32_e32 v37, v37, v42
	v_dual_add_f32 v38, v40, v34 :: v_dual_sub_f32 v35, v35, v43
	s_delay_alu instid0(VALU_DEP_1) | instskip(NEXT) | instid1(VALU_DEP_2)
	v_add_f32_e32 v35, v37, v35
	v_sub_f32_e32 v37, v38, v40
	s_delay_alu instid0(VALU_DEP_2) | instskip(NEXT) | instid1(VALU_DEP_2)
	v_add_f32_e32 v35, v38, v35
	v_sub_f32_e32 v38, v38, v37
	s_delay_alu instid0(VALU_DEP_2) | instskip(NEXT) | instid1(VALU_DEP_1)
	v_dual_sub_f32 v34, v34, v37 :: v_dual_add_f32 v41, v39, v35
	v_dual_sub_f32 v38, v40, v38 :: v_dual_sub_f32 v37, v41, v39
	s_delay_alu instid0(VALU_DEP_1) | instskip(NEXT) | instid1(VALU_DEP_1)
	v_dual_add_f32 v34, v34, v38 :: v_dual_sub_f32 v35, v35, v37
	v_add_f32_e32 v34, v34, v35
	s_delay_alu instid0(VALU_DEP_1) | instskip(NEXT) | instid1(VALU_DEP_1)
	v_add_f32_e32 v34, v41, v34
	v_cndmask_b32_e32 v34, v34, v36, vcc_lo
	v_cmp_ngt_f32_e32 vcc_lo, -1.0, v36
	s_delay_alu instid0(VALU_DEP_2) | instskip(SKIP_1) | instid1(VALU_DEP_2)
	v_cndmask_b32_e32 v34, 0x7fc00000, v34, vcc_lo
	v_cmp_neq_f32_e32 vcc_lo, -1.0, v36
	v_cndmask_b32_e32 v34, 0xff800000, v34, vcc_lo
	v_cmp_gt_f32_e64 vcc_lo, 0x33800000, |v36|
	s_delay_alu instid0(VALU_DEP_2)
	v_cndmask_b32_e32 v34, v34, v36, vcc_lo
.LBB57_525:                             ;   in Loop: Header=BB57_401 Depth=1
	s_and_not1_saveexec_b32 s31, s31
	s_cbranch_execz .LBB57_531
; %bb.526:                              ;   in Loop: Header=BB57_401 Depth=1
	s_mov_b32 s33, exec_lo
                                        ; implicit-def: $vgpr34
	v_cmpx_nlt_f32_e64 |v6|, 1.0
	s_xor_b32 s33, exec_lo, s33
	s_cbranch_execz .LBB57_528
; %bb.527:                              ;   in Loop: Header=BB57_401 Depth=1
	v_mul_f32_e32 v34, v29, v30
	s_delay_alu instid0(VALU_DEP_1) | instskip(SKIP_1) | instid1(VALU_DEP_2)
	v_mul_f32_e32 v35, 0x4f800000, v34
	v_cmp_gt_f32_e32 vcc_lo, 0xf800000, v34
	v_cndmask_b32_e32 v34, v34, v35, vcc_lo
	s_delay_alu instid0(VALU_DEP_1) | instskip(SKIP_3) | instid1(VALU_DEP_2)
	v_sqrt_f32_e32 v35, v34
	s_waitcnt_depctr 0xfff
	v_add_nc_u32_e32 v36, -1, v35
	v_add_nc_u32_e32 v37, 1, v35
	v_fma_f32 v38, -v36, v35, v34
	s_delay_alu instid0(VALU_DEP_2) | instskip(NEXT) | instid1(VALU_DEP_2)
	v_fma_f32 v39, -v37, v35, v34
	v_cmp_ge_f32_e64 s4, 0, v38
	s_delay_alu instid0(VALU_DEP_1) | instskip(NEXT) | instid1(VALU_DEP_3)
	v_cndmask_b32_e64 v35, v35, v36, s4
	v_cmp_lt_f32_e64 s4, 0, v39
	s_delay_alu instid0(VALU_DEP_1) | instskip(NEXT) | instid1(VALU_DEP_1)
	v_cndmask_b32_e64 v35, v35, v37, s4
	v_mul_f32_e32 v36, 0x37800000, v35
	s_delay_alu instid0(VALU_DEP_1) | instskip(SKIP_1) | instid1(VALU_DEP_2)
	v_cndmask_b32_e32 v35, v35, v36, vcc_lo
	v_cmp_class_f32_e64 vcc_lo, v34, 0x260
	v_cndmask_b32_e32 v34, v35, v34, vcc_lo
	s_delay_alu instid0(VALU_DEP_1) | instskip(NEXT) | instid1(VALU_DEP_1)
	v_add_f32_e32 v36, v29, v34
	v_add_f32_e32 v37, 1.0, v36
	s_delay_alu instid0(VALU_DEP_1) | instskip(NEXT) | instid1(VALU_DEP_1)
	v_cvt_f64_f32_e32 v[34:35], v37
	v_frexp_exp_i32_f64_e32 v34, v[34:35]
	v_frexp_mant_f32_e32 v35, v37
	s_delay_alu instid0(VALU_DEP_1) | instskip(SKIP_1) | instid1(VALU_DEP_1)
	v_cmp_gt_f32_e32 vcc_lo, 0x3f2aaaab, v35
	v_add_f32_e32 v35, -1.0, v37
	v_sub_f32_e32 v39, v35, v37
	s_delay_alu instid0(VALU_DEP_1) | instskip(SKIP_2) | instid1(VALU_DEP_2)
	v_add_f32_e32 v39, 1.0, v39
	v_subrev_co_ci_u32_e32 v34, vcc_lo, 0, v34, vcc_lo
	v_cmp_eq_f32_e32 vcc_lo, 0x7f800000, v36
	v_sub_nc_u32_e32 v38, 0, v34
	v_cvt_f32_i32_e32 v34, v34
	s_delay_alu instid0(VALU_DEP_2) | instskip(NEXT) | instid1(VALU_DEP_1)
	v_ldexp_f32 v37, v37, v38
	v_dual_sub_f32 v35, v36, v35 :: v_dual_add_f32 v40, 1.0, v37
	s_delay_alu instid0(VALU_DEP_1) | instskip(NEXT) | instid1(VALU_DEP_1)
	v_add_f32_e32 v35, v35, v39
	v_ldexp_f32 v35, v35, v38
	s_delay_alu instid0(VALU_DEP_3) | instskip(NEXT) | instid1(VALU_DEP_1)
	v_dual_add_f32 v38, -1.0, v37 :: v_dual_add_f32 v39, -1.0, v40
	v_add_f32_e32 v41, 1.0, v38
	s_delay_alu instid0(VALU_DEP_2) | instskip(NEXT) | instid1(VALU_DEP_2)
	v_sub_f32_e32 v39, v37, v39
	v_sub_f32_e32 v37, v37, v41
	s_delay_alu instid0(VALU_DEP_2) | instskip(NEXT) | instid1(VALU_DEP_2)
	v_add_f32_e32 v39, v35, v39
	v_add_f32_e32 v35, v35, v37
	s_delay_alu instid0(VALU_DEP_1) | instskip(NEXT) | instid1(VALU_DEP_1)
	v_add_f32_e32 v42, v38, v35
	v_dual_sub_f32 v38, v42, v38 :: v_dual_add_f32 v41, v40, v39
	s_delay_alu instid0(VALU_DEP_1) | instskip(SKIP_1) | instid1(VALU_DEP_1)
	v_rcp_f32_e32 v37, v41
	v_sub_f32_e32 v40, v41, v40
	v_sub_f32_e32 v39, v39, v40
	s_waitcnt_depctr 0xfff
	v_mul_f32_e32 v43, v42, v37
	s_delay_alu instid0(VALU_DEP_1) | instskip(NEXT) | instid1(VALU_DEP_1)
	v_mul_f32_e32 v44, v41, v43
	v_fma_f32 v40, v43, v41, -v44
	s_delay_alu instid0(VALU_DEP_1) | instskip(SKIP_1) | instid1(VALU_DEP_2)
	v_fmac_f32_e32 v40, v43, v39
	v_sub_f32_e32 v35, v35, v38
	v_add_f32_e32 v45, v44, v40
	s_delay_alu instid0(VALU_DEP_1) | instskip(SKIP_1) | instid1(VALU_DEP_2)
	v_sub_f32_e32 v46, v42, v45
	v_sub_f32_e32 v38, v45, v44
	;; [unrolled: 1-line block ×3, first 2 shown]
	s_delay_alu instid0(VALU_DEP_2) | instskip(NEXT) | instid1(VALU_DEP_2)
	v_sub_f32_e32 v38, v38, v40
	v_sub_f32_e32 v42, v42, v45
	s_delay_alu instid0(VALU_DEP_1) | instskip(NEXT) | instid1(VALU_DEP_1)
	v_add_f32_e32 v35, v35, v42
	v_add_f32_e32 v35, v38, v35
	s_delay_alu instid0(VALU_DEP_1) | instskip(NEXT) | instid1(VALU_DEP_1)
	v_add_f32_e32 v38, v46, v35
	v_mul_f32_e32 v40, v37, v38
	s_delay_alu instid0(VALU_DEP_1) | instskip(NEXT) | instid1(VALU_DEP_1)
	v_dual_sub_f32 v45, v46, v38 :: v_dual_mul_f32 v42, v41, v40
	v_fma_f32 v41, v40, v41, -v42
	s_delay_alu instid0(VALU_DEP_1) | instskip(NEXT) | instid1(VALU_DEP_1)
	v_fmac_f32_e32 v41, v40, v39
	v_add_f32_e32 v39, v42, v41
	s_delay_alu instid0(VALU_DEP_1) | instskip(SKIP_1) | instid1(VALU_DEP_1)
	v_sub_f32_e32 v42, v39, v42
	v_dual_sub_f32 v44, v38, v39 :: v_dual_add_f32 v35, v35, v45
	v_sub_f32_e32 v38, v38, v44
	s_delay_alu instid0(VALU_DEP_1) | instskip(NEXT) | instid1(VALU_DEP_4)
	v_sub_f32_e32 v38, v38, v39
	v_sub_f32_e32 v39, v42, v41
	s_delay_alu instid0(VALU_DEP_2) | instskip(SKIP_1) | instid1(VALU_DEP_2)
	v_add_f32_e32 v35, v35, v38
	v_add_f32_e32 v38, v43, v40
	;; [unrolled: 1-line block ×3, first 2 shown]
	s_delay_alu instid0(VALU_DEP_2) | instskip(NEXT) | instid1(VALU_DEP_2)
	v_sub_f32_e32 v39, v38, v43
	v_add_f32_e32 v35, v44, v35
	s_delay_alu instid0(VALU_DEP_2) | instskip(NEXT) | instid1(VALU_DEP_2)
	v_sub_f32_e32 v39, v40, v39
	v_mul_f32_e32 v35, v37, v35
	s_delay_alu instid0(VALU_DEP_1) | instskip(NEXT) | instid1(VALU_DEP_1)
	v_add_f32_e32 v35, v39, v35
	v_add_f32_e32 v37, v38, v35
	s_delay_alu instid0(VALU_DEP_1) | instskip(NEXT) | instid1(VALU_DEP_1)
	v_mul_f32_e32 v39, v37, v37
	v_fmaak_f32 v40, s24, v39, 0x3ecc95a3
	v_mul_f32_e32 v41, v37, v39
	s_delay_alu instid0(VALU_DEP_2) | instskip(SKIP_2) | instid1(VALU_DEP_3)
	v_fmaak_f32 v39, v39, v40, 0x3f2aaada
	v_ldexp_f32 v40, v37, 1
	v_sub_f32_e32 v37, v37, v38
	v_mul_f32_e32 v39, v41, v39
	v_mul_f32_e32 v41, 0x3f317218, v34
	s_delay_alu instid0(VALU_DEP_2) | instskip(NEXT) | instid1(VALU_DEP_1)
	v_dual_sub_f32 v35, v35, v37 :: v_dual_add_f32 v38, v40, v39
	v_ldexp_f32 v35, v35, 1
	s_delay_alu instid0(VALU_DEP_2) | instskip(NEXT) | instid1(VALU_DEP_4)
	v_sub_f32_e32 v37, v38, v40
	v_fma_f32 v40, 0x3f317218, v34, -v41
	s_delay_alu instid0(VALU_DEP_1) | instskip(NEXT) | instid1(VALU_DEP_1)
	v_dual_sub_f32 v37, v39, v37 :: v_dual_fmac_f32 v40, 0xb102e308, v34
	v_dual_add_f32 v34, v35, v37 :: v_dual_add_f32 v35, v41, v40
	s_delay_alu instid0(VALU_DEP_1) | instskip(NEXT) | instid1(VALU_DEP_2)
	v_add_f32_e32 v37, v38, v34
	v_sub_f32_e32 v41, v35, v41
	s_delay_alu instid0(VALU_DEP_2) | instskip(NEXT) | instid1(VALU_DEP_2)
	v_dual_add_f32 v39, v35, v37 :: v_dual_sub_f32 v38, v37, v38
	v_sub_f32_e32 v40, v40, v41
	s_delay_alu instid0(VALU_DEP_2) | instskip(NEXT) | instid1(VALU_DEP_3)
	v_sub_f32_e32 v42, v39, v35
	v_sub_f32_e32 v34, v34, v38
	s_delay_alu instid0(VALU_DEP_2) | instskip(SKIP_1) | instid1(VALU_DEP_2)
	v_sub_f32_e32 v43, v39, v42
	v_sub_f32_e32 v37, v37, v42
	v_dual_add_f32 v38, v40, v34 :: v_dual_sub_f32 v35, v35, v43
	s_delay_alu instid0(VALU_DEP_1) | instskip(NEXT) | instid1(VALU_DEP_2)
	v_add_f32_e32 v35, v37, v35
	v_sub_f32_e32 v37, v38, v40
	s_delay_alu instid0(VALU_DEP_2) | instskip(NEXT) | instid1(VALU_DEP_2)
	v_add_f32_e32 v35, v38, v35
	v_sub_f32_e32 v38, v38, v37
	s_delay_alu instid0(VALU_DEP_2) | instskip(NEXT) | instid1(VALU_DEP_1)
	v_dual_sub_f32 v34, v34, v37 :: v_dual_add_f32 v41, v39, v35
	v_dual_sub_f32 v38, v40, v38 :: v_dual_sub_f32 v37, v41, v39
	s_delay_alu instid0(VALU_DEP_1) | instskip(NEXT) | instid1(VALU_DEP_1)
	v_dual_add_f32 v34, v34, v38 :: v_dual_sub_f32 v35, v35, v37
	v_add_f32_e32 v34, v34, v35
	s_delay_alu instid0(VALU_DEP_1) | instskip(NEXT) | instid1(VALU_DEP_1)
	v_add_f32_e32 v34, v41, v34
	v_cndmask_b32_e32 v34, v34, v36, vcc_lo
	v_cmp_ngt_f32_e32 vcc_lo, -1.0, v36
	s_delay_alu instid0(VALU_DEP_2) | instskip(SKIP_1) | instid1(VALU_DEP_2)
	v_cndmask_b32_e32 v34, 0x7fc00000, v34, vcc_lo
	v_cmp_neq_f32_e32 vcc_lo, -1.0, v36
	v_cndmask_b32_e32 v34, 0xff800000, v34, vcc_lo
	v_cmp_gt_f32_e64 vcc_lo, 0x33800000, |v36|
	s_delay_alu instid0(VALU_DEP_2)
	v_cndmask_b32_e32 v34, v34, v36, vcc_lo
.LBB57_528:                             ;   in Loop: Header=BB57_401 Depth=1
	s_and_not1_saveexec_b32 s33, s33
	s_cbranch_execz .LBB57_530
; %bb.529:                              ;   in Loop: Header=BB57_401 Depth=1
	v_sub_f32_e64 v34, 1.0, |v6|
	s_delay_alu instid0(VALU_DEP_1) | instskip(NEXT) | instid1(VALU_DEP_1)
	v_mul_f32_e32 v34, v34, v30
	v_mul_f32_e32 v35, 0x4f800000, v34
	v_cmp_gt_f32_e32 vcc_lo, 0xf800000, v34
	s_delay_alu instid0(VALU_DEP_2) | instskip(NEXT) | instid1(VALU_DEP_1)
	v_cndmask_b32_e32 v34, v34, v35, vcc_lo
	v_sqrt_f32_e32 v35, v34
	s_waitcnt_depctr 0xfff
	v_add_nc_u32_e32 v36, -1, v35
	v_add_nc_u32_e32 v37, 1, v35
	s_delay_alu instid0(VALU_DEP_2) | instskip(NEXT) | instid1(VALU_DEP_2)
	v_fma_f32 v38, -v36, v35, v34
	v_fma_f32 v39, -v37, v35, v34
	s_delay_alu instid0(VALU_DEP_2) | instskip(NEXT) | instid1(VALU_DEP_1)
	v_cmp_ge_f32_e64 s4, 0, v38
	v_cndmask_b32_e64 v35, v35, v36, s4
	s_delay_alu instid0(VALU_DEP_3) | instskip(NEXT) | instid1(VALU_DEP_1)
	v_cmp_lt_f32_e64 s4, 0, v39
	v_cndmask_b32_e64 v35, v35, v37, s4
	s_delay_alu instid0(VALU_DEP_1) | instskip(NEXT) | instid1(VALU_DEP_1)
	v_mul_f32_e32 v36, 0x37800000, v35
	v_cndmask_b32_e32 v35, v35, v36, vcc_lo
	v_cmp_class_f32_e64 vcc_lo, v34, 0x260
	v_and_b32_e32 v36, 0x7fffffff, v7
	s_delay_alu instid0(VALU_DEP_3) | instskip(NEXT) | instid1(VALU_DEP_1)
	v_cndmask_b32_e32 v34, v35, v34, vcc_lo
	v_div_scale_f32 v35, null, v34, v34, v36
	v_div_scale_f32 v36, vcc_lo, v36, v34, v36
	s_delay_alu instid0(VALU_DEP_2) | instskip(SKIP_2) | instid1(VALU_DEP_1)
	v_rcp_f32_e32 v37, v35
	s_waitcnt_depctr 0xfff
	v_fma_f32 v38, -v35, v37, 1.0
	v_fmac_f32_e32 v37, v38, v37
	s_delay_alu instid0(VALU_DEP_1) | instskip(NEXT) | instid1(VALU_DEP_1)
	v_mul_f32_e32 v38, v36, v37
	v_fma_f32 v39, -v35, v38, v36
	s_delay_alu instid0(VALU_DEP_1) | instskip(NEXT) | instid1(VALU_DEP_1)
	v_fmac_f32_e32 v38, v39, v37
	v_fma_f32 v35, -v35, v38, v36
	s_delay_alu instid0(VALU_DEP_1) | instskip(NEXT) | instid1(VALU_DEP_1)
	v_div_fmas_f32 v35, v35, v37, v38
	v_div_fixup_f32 v34, v35, v34, |v7|
.LBB57_530:                             ;   in Loop: Header=BB57_401 Depth=1
	s_or_b32 exec_lo, exec_lo, s33
.LBB57_531:                             ;   in Loop: Header=BB57_401 Depth=1
	s_delay_alu instid0(SALU_CYCLE_1)
	s_or_b32 exec_lo, exec_lo, s31
.LBB57_532:                             ;   in Loop: Header=BB57_401 Depth=1
	s_and_not1_saveexec_b32 s30, s30
	s_cbranch_execz .LBB57_534
; %bb.533:                              ;   in Loop: Header=BB57_401 Depth=1
	v_mul_f32_e64 v34, 0x4f800000, |v7|
	v_cmp_gt_f32_e64 vcc_lo, 0xf800000, |v7|
	s_delay_alu instid0(VALU_DEP_1) | instskip(NEXT) | instid1(VALU_DEP_1)
	v_cndmask_b32_e64 v34, |v7|, v34, vcc_lo
	v_sqrt_f32_e32 v35, v34
	s_waitcnt_depctr 0xfff
	v_add_nc_u32_e32 v36, -1, v35
	v_add_nc_u32_e32 v37, 1, v35
	s_delay_alu instid0(VALU_DEP_2) | instskip(NEXT) | instid1(VALU_DEP_2)
	v_fma_f32 v38, -v36, v35, v34
	v_fma_f32 v39, -v37, v35, v34
	s_delay_alu instid0(VALU_DEP_2) | instskip(NEXT) | instid1(VALU_DEP_1)
	v_cmp_ge_f32_e64 s4, 0, v38
	v_cndmask_b32_e64 v35, v35, v36, s4
	s_delay_alu instid0(VALU_DEP_3) | instskip(NEXT) | instid1(VALU_DEP_1)
	v_cmp_lt_f32_e64 s4, 0, v39
	v_cndmask_b32_e64 v35, v35, v37, s4
	s_delay_alu instid0(VALU_DEP_1) | instskip(NEXT) | instid1(VALU_DEP_1)
	v_mul_f32_e32 v36, 0x37800000, v35
	v_cndmask_b32_e32 v35, v35, v36, vcc_lo
	v_cmp_class_f32_e64 vcc_lo, v34, 0x260
	s_delay_alu instid0(VALU_DEP_2)
	v_cndmask_b32_e32 v34, v35, v34, vcc_lo
.LBB57_534:                             ;   in Loop: Header=BB57_401 Depth=1
	s_or_b32 exec_lo, exec_lo, s30
.LBB57_535:                             ;   in Loop: Header=BB57_401 Depth=1
	s_delay_alu instid0(SALU_CYCLE_1) | instskip(NEXT) | instid1(SALU_CYCLE_1)
	s_or_b32 exec_lo, exec_lo, s5
	s_mov_b32 s30, exec_lo
                                        ; implicit-def: $sgpr4
                                        ; implicit-def: $vgpr35
                                        ; implicit-def: $vgpr37
                                        ; implicit-def: $vgpr36
	v_cmpx_ngt_f32_e64 0x21000000, |v6|
	s_xor_b32 s30, exec_lo, s30
	s_cbranch_execz .LBB57_559
; %bb.536:                              ;   in Loop: Header=BB57_401 Depth=1
	v_and_b32_e32 v36, 0x7fffffff, v6
	s_mov_b32 s4, 0
	s_mov_b32 s31, exec_lo
	s_delay_alu instid0(VALU_DEP_1) | instskip(NEXT) | instid1(VALU_DEP_1)
	v_div_scale_f32 v35, null, v28, v28, v36
	v_rcp_f32_e32 v37, v35
	s_waitcnt_depctr 0xfff
	v_fma_f32 v38, -v35, v37, 1.0
	s_delay_alu instid0(VALU_DEP_1) | instskip(SKIP_1) | instid1(VALU_DEP_1)
	v_fmac_f32_e32 v37, v38, v37
	v_div_scale_f32 v38, vcc_lo, v36, v28, v36
	v_mul_f32_e32 v39, v38, v37
	s_delay_alu instid0(VALU_DEP_1) | instskip(NEXT) | instid1(VALU_DEP_1)
	v_fma_f32 v40, -v35, v39, v38
	v_fmac_f32_e32 v39, v40, v37
	s_delay_alu instid0(VALU_DEP_1) | instskip(NEXT) | instid1(VALU_DEP_1)
	v_fma_f32 v35, -v35, v39, v38
	v_div_fmas_f32 v35, v35, v37, v39
                                        ; implicit-def: $vgpr37
	s_delay_alu instid0(VALU_DEP_1) | instskip(NEXT) | instid1(VALU_DEP_1)
	v_div_fixup_f32 v35, v35, v28, |v6|
	v_cmpx_lt_f32_e32 0x3f244674, v35
	s_cbranch_execz .LBB57_558
; %bb.537:                              ;   in Loop: Header=BB57_401 Depth=1
	v_cmp_neq_f32_e64 s4, |v6|, 1.0
	v_cmp_ngt_f32_e64 s5, 0x30800000, |v7|
                                        ; implicit-def: $sgpr33
                                        ; implicit-def: $vgpr37
	s_delay_alu instid0(VALU_DEP_1) | instskip(NEXT) | instid1(SALU_CYCLE_1)
	s_or_b32 s4, s5, s4
	s_and_saveexec_b32 s5, s4
	s_delay_alu instid0(SALU_CYCLE_1)
	s_xor_b32 s5, exec_lo, s5
	s_cbranch_execz .LBB57_555
; %bb.538:                              ;   in Loop: Header=BB57_401 Depth=1
	v_mul_f32_e64 v37, 0x34000000, |v29|
                                        ; implicit-def: $sgpr33
	s_delay_alu instid0(VALU_DEP_1) | instskip(NEXT) | instid1(VALU_DEP_1)
	v_cmp_le_f32_e64 s4, v37, |v7|
                                        ; implicit-def: $vgpr37
	s_and_saveexec_b32 s34, s4
	s_delay_alu instid0(SALU_CYCLE_1)
	s_xor_b32 s34, exec_lo, s34
	s_cbranch_execz .LBB57_548
; %bb.539:                              ;   in Loop: Header=BB57_401 Depth=1
	v_mov_b32_e32 v37, v32
	s_mov_b32 s4, exec_lo
	v_cmpx_neq_f32_e32 0, v30
	s_cbranch_execz .LBB57_541
; %bb.540:                              ;   in Loop: Header=BB57_401 Depth=1
	v_dual_mul_f32 v37, v7, v7 :: v_dual_add_f32 v30, v30, v33
	s_delay_alu instid0(VALU_DEP_1) | instskip(NEXT) | instid1(VALU_DEP_1)
	v_div_scale_f32 v33, null, v30, v30, v37
	v_rcp_f32_e32 v38, v33
	s_waitcnt_depctr 0xfff
	v_fma_f32 v39, -v33, v38, 1.0
	s_delay_alu instid0(VALU_DEP_1) | instskip(SKIP_1) | instid1(VALU_DEP_1)
	v_fmac_f32_e32 v38, v39, v38
	v_div_scale_f32 v39, vcc_lo, v37, v30, v37
	v_mul_f32_e32 v40, v39, v38
	s_delay_alu instid0(VALU_DEP_1) | instskip(NEXT) | instid1(VALU_DEP_1)
	v_fma_f32 v41, -v33, v40, v39
	v_fmac_f32_e32 v40, v41, v38
	s_delay_alu instid0(VALU_DEP_1) | instskip(NEXT) | instid1(VALU_DEP_1)
	v_fma_f32 v33, -v33, v40, v39
	v_div_fmas_f32 v33, v33, v38, v40
	s_delay_alu instid0(VALU_DEP_1)
	v_div_fixup_f32 v37, v33, v30, v37
.LBB57_541:                             ;   in Loop: Header=BB57_401 Depth=1
	s_or_b32 exec_lo, exec_lo, s4
	s_delay_alu instid0(SALU_CYCLE_1)
	s_mov_b32 s4, exec_lo
	v_cmpx_ngt_f32_e32 0, v29
	s_xor_b32 s4, exec_lo, s4
	s_cbranch_execz .LBB57_545
; %bb.542:                              ;   in Loop: Header=BB57_401 Depth=1
	s_mov_b32 s33, exec_lo
	v_cmpx_neq_f32_e32 0, v29
	s_cbranch_execz .LBB57_544
; %bb.543:                              ;   in Loop: Header=BB57_401 Depth=1
	v_mul_f32_e32 v30, v7, v7
	v_add_f32_e32 v29, v29, v31
	s_delay_alu instid0(VALU_DEP_1) | instskip(NEXT) | instid1(VALU_DEP_1)
	v_div_scale_f32 v31, null, v29, v29, v30
	v_rcp_f32_e32 v32, v31
	s_waitcnt_depctr 0xfff
	v_fma_f32 v33, -v31, v32, 1.0
	s_delay_alu instid0(VALU_DEP_1) | instskip(SKIP_1) | instid1(VALU_DEP_1)
	v_fmac_f32_e32 v32, v33, v32
	v_div_scale_f32 v33, vcc_lo, v30, v29, v30
	v_mul_f32_e32 v38, v33, v32
	s_delay_alu instid0(VALU_DEP_1) | instskip(NEXT) | instid1(VALU_DEP_1)
	v_fma_f32 v39, -v31, v38, v33
	v_fmac_f32_e32 v38, v39, v32
	s_delay_alu instid0(VALU_DEP_1) | instskip(NEXT) | instid1(VALU_DEP_1)
	v_fma_f32 v31, -v31, v38, v33
	v_div_fmas_f32 v31, v31, v32, v38
	s_delay_alu instid0(VALU_DEP_1)
	v_div_fixup_f32 v32, v31, v29, v30
.LBB57_544:                             ;   in Loop: Header=BB57_401 Depth=1
	s_or_b32 exec_lo, exec_lo, s33
                                        ; implicit-def: $vgpr31
                                        ; implicit-def: $vgpr29
.LBB57_545:                             ;   in Loop: Header=BB57_401 Depth=1
	s_and_not1_saveexec_b32 s4, s4
; %bb.546:                              ;   in Loop: Header=BB57_401 Depth=1
	v_sub_f32_e32 v32, v31, v29
; %bb.547:                              ;   in Loop: Header=BB57_401 Depth=1
	s_or_b32 exec_lo, exec_lo, s4
	s_delay_alu instid0(VALU_DEP_1) | instskip(SKIP_2) | instid1(VALU_DEP_2)
	v_mul_f32_e32 v29, 0.5, v32
	v_add_f32_e64 v28, |v6|, v28
	s_mov_b32 s33, -1
	v_fmac_f32_e32 v29, 0.5, v37
	s_delay_alu instid0(VALU_DEP_1) | instskip(NEXT) | instid1(VALU_DEP_1)
	v_mul_f32_e32 v28, v28, v29
	v_mul_f32_e32 v29, 0x4f800000, v28
	v_cmp_gt_f32_e32 vcc_lo, 0xf800000, v28
	s_delay_alu instid0(VALU_DEP_2) | instskip(NEXT) | instid1(VALU_DEP_1)
	v_cndmask_b32_e32 v28, v28, v29, vcc_lo
	v_sqrt_f32_e32 v29, v28
	s_waitcnt_depctr 0xfff
	v_add_nc_u32_e32 v30, -1, v29
	v_add_nc_u32_e32 v31, 1, v29
	s_delay_alu instid0(VALU_DEP_2) | instskip(NEXT) | instid1(VALU_DEP_2)
	v_fma_f32 v32, -v30, v29, v28
	v_fma_f32 v33, -v31, v29, v28
	s_delay_alu instid0(VALU_DEP_2) | instskip(NEXT) | instid1(VALU_DEP_1)
	v_cmp_ge_f32_e64 s4, 0, v32
	v_cndmask_b32_e64 v29, v29, v30, s4
	s_delay_alu instid0(VALU_DEP_3) | instskip(NEXT) | instid1(VALU_DEP_1)
	v_cmp_lt_f32_e64 s4, 0, v33
	v_cndmask_b32_e64 v29, v29, v31, s4
	s_delay_alu instid0(VALU_DEP_1) | instskip(NEXT) | instid1(VALU_DEP_1)
	v_mul_f32_e32 v30, 0x37800000, v29
	v_cndmask_b32_e32 v29, v29, v30, vcc_lo
	v_cmp_class_f32_e64 vcc_lo, v28, 0x260
                                        ; implicit-def: $vgpr30
	s_delay_alu instid0(VALU_DEP_2)
	v_cndmask_b32_e32 v37, v29, v28, vcc_lo
                                        ; implicit-def: $vgpr29
.LBB57_548:                             ;   in Loop: Header=BB57_401 Depth=1
	s_and_not1_saveexec_b32 s34, s34
	s_cbranch_execz .LBB57_554
; %bb.549:                              ;   in Loop: Header=BB57_401 Depth=1
	s_mov_b32 s36, exec_lo
                                        ; implicit-def: $vgpr37
                                        ; implicit-def: $sgpr35
	v_cmpx_ngt_f32_e64 |v6|, 1.0
	s_xor_b32 s36, exec_lo, s36
	s_cbranch_execz .LBB57_551
; %bb.550:                              ;   in Loop: Header=BB57_401 Depth=1
	v_sub_f32_e64 v28, 1.0, |v6|
	s_mov_b32 s35, -1
	s_delay_alu instid0(VALU_DEP_1) | instskip(NEXT) | instid1(VALU_DEP_1)
	v_mul_f32_e32 v28, v28, v30
	v_mul_f32_e32 v29, 0x4f800000, v28
	v_cmp_gt_f32_e32 vcc_lo, 0xf800000, v28
	s_delay_alu instid0(VALU_DEP_2) | instskip(NEXT) | instid1(VALU_DEP_1)
	v_cndmask_b32_e32 v28, v28, v29, vcc_lo
	v_sqrt_f32_e32 v29, v28
	s_waitcnt_depctr 0xfff
	v_add_nc_u32_e32 v30, -1, v29
	v_add_nc_u32_e32 v31, 1, v29
	s_delay_alu instid0(VALU_DEP_2) | instskip(NEXT) | instid1(VALU_DEP_2)
	v_fma_f32 v32, -v30, v29, v28
	v_fma_f32 v33, -v31, v29, v28
	s_delay_alu instid0(VALU_DEP_2) | instskip(NEXT) | instid1(VALU_DEP_1)
	v_cmp_ge_f32_e64 s4, 0, v32
	v_cndmask_b32_e64 v29, v29, v30, s4
	s_delay_alu instid0(VALU_DEP_3) | instskip(NEXT) | instid1(VALU_DEP_1)
	v_cmp_lt_f32_e64 s4, 0, v33
	v_cndmask_b32_e64 v29, v29, v31, s4
	s_delay_alu instid0(VALU_DEP_1) | instskip(NEXT) | instid1(VALU_DEP_1)
	v_mul_f32_e32 v30, 0x37800000, v29
	v_cndmask_b32_e32 v29, v29, v30, vcc_lo
	v_cmp_class_f32_e64 vcc_lo, v28, 0x260
                                        ; implicit-def: $vgpr30
	s_delay_alu instid0(VALU_DEP_2)
	v_cndmask_b32_e32 v37, v29, v28, vcc_lo
                                        ; implicit-def: $vgpr29
.LBB57_551:                             ;   in Loop: Header=BB57_401 Depth=1
	s_and_not1_saveexec_b32 s36, s36
	s_cbranch_execz .LBB57_553
; %bb.552:                              ;   in Loop: Header=BB57_401 Depth=1
	v_mul_f32_e32 v28, v30, v29
	s_or_b32 s35, s35, exec_lo
	s_delay_alu instid0(VALU_DEP_1) | instskip(SKIP_1) | instid1(VALU_DEP_2)
	v_mul_f32_e32 v29, 0x4f800000, v28
	v_cmp_gt_f32_e32 vcc_lo, 0xf800000, v28
	v_cndmask_b32_e32 v28, v28, v29, vcc_lo
	s_delay_alu instid0(VALU_DEP_1) | instskip(SKIP_3) | instid1(VALU_DEP_2)
	v_sqrt_f32_e32 v29, v28
	s_waitcnt_depctr 0xfff
	v_add_nc_u32_e32 v30, -1, v29
	v_add_nc_u32_e32 v31, 1, v29
	v_fma_f32 v32, -v30, v29, v28
	s_delay_alu instid0(VALU_DEP_2) | instskip(NEXT) | instid1(VALU_DEP_2)
	v_fma_f32 v33, -v31, v29, v28
	v_cmp_ge_f32_e64 s4, 0, v32
	s_delay_alu instid0(VALU_DEP_1) | instskip(NEXT) | instid1(VALU_DEP_3)
	v_cndmask_b32_e64 v29, v29, v30, s4
	v_cmp_lt_f32_e64 s4, 0, v33
	s_delay_alu instid0(VALU_DEP_1) | instskip(SKIP_1) | instid1(VALU_DEP_2)
	v_cndmask_b32_e64 v29, v29, v31, s4
	v_mul_f32_e64 v31, 0x57800000, |v7|
	v_mul_f32_e32 v30, 0x37800000, v29
	s_delay_alu instid0(VALU_DEP_1) | instskip(SKIP_1) | instid1(VALU_DEP_4)
	v_cndmask_b32_e32 v29, v29, v30, vcc_lo
	v_cmp_class_f32_e64 vcc_lo, v28, 0x260
	v_mul_f32_e64 v30, |v6|, v31
	s_delay_alu instid0(VALU_DEP_3) | instskip(NEXT) | instid1(VALU_DEP_1)
	v_cndmask_b32_e32 v28, v29, v28, vcc_lo
	v_div_scale_f32 v29, null, v28, v28, v30
	v_div_scale_f32 v33, vcc_lo, v30, v28, v30
	s_delay_alu instid0(VALU_DEP_2) | instskip(SKIP_2) | instid1(VALU_DEP_1)
	v_rcp_f32_e32 v31, v29
	s_waitcnt_depctr 0xfff
	v_fma_f32 v32, -v29, v31, 1.0
	v_fmac_f32_e32 v31, v32, v31
	s_delay_alu instid0(VALU_DEP_1) | instskip(NEXT) | instid1(VALU_DEP_1)
	v_mul_f32_e32 v32, v33, v31
	v_fma_f32 v36, -v29, v32, v33
	s_delay_alu instid0(VALU_DEP_1) | instskip(SKIP_1) | instid1(VALU_DEP_2)
	v_fmac_f32_e32 v32, v36, v31
	v_mul_f32_e64 v36, 0x57800000, |v6|
	v_fma_f32 v29, -v29, v32, v33
	s_delay_alu instid0(VALU_DEP_1) | instskip(NEXT) | instid1(VALU_DEP_1)
	v_div_fmas_f32 v29, v29, v31, v32
	v_div_fixup_f32 v37, v29, v28, v30
.LBB57_553:                             ;   in Loop: Header=BB57_401 Depth=1
	s_or_b32 exec_lo, exec_lo, s36
	s_delay_alu instid0(SALU_CYCLE_1) | instskip(SKIP_1) | instid1(SALU_CYCLE_1)
	s_and_not1_b32 s4, s33, exec_lo
	s_and_b32 s33, s35, exec_lo
	s_or_b32 s33, s4, s33
.LBB57_554:                             ;   in Loop: Header=BB57_401 Depth=1
	s_or_b32 exec_lo, exec_lo, s34
	s_delay_alu instid0(SALU_CYCLE_1)
	s_and_b32 s33, s33, exec_lo
                                        ; implicit-def: $vgpr28
.LBB57_555:                             ;   in Loop: Header=BB57_401 Depth=1
	s_and_not1_saveexec_b32 s34, s5
	s_cbranch_execz .LBB57_557
; %bb.556:                              ;   in Loop: Header=BB57_401 Depth=1
	v_add_f32_e32 v28, 1.0, v28
	v_mul_f32_e64 v29, 0x4f800000, |v7|
	v_cmp_gt_f32_e64 vcc_lo, 0xf800000, |v7|
	s_or_b32 s33, s33, exec_lo
	s_delay_alu instid0(VALU_DEP_3) | instskip(NEXT) | instid1(VALU_DEP_2)
	v_mul_f32_e32 v28, 0.5, v28
	v_cndmask_b32_e64 v29, |v7|, v29, vcc_lo
	s_delay_alu instid0(VALU_DEP_2) | instskip(SKIP_1) | instid1(VALU_DEP_1)
	v_mul_f32_e32 v30, 0x4f800000, v28
	v_cmp_gt_f32_e64 s4, 0xf800000, v28
	v_cndmask_b32_e64 v28, v28, v30, s4
	s_delay_alu instid0(VALU_DEP_4) | instskip(NEXT) | instid1(VALU_DEP_1)
	v_sqrt_f32_e32 v30, v29
	v_sqrt_f32_e32 v31, v28
	s_waitcnt_depctr 0xfff
	v_add_nc_u32_e32 v32, -1, v30
	v_add_nc_u32_e32 v36, 1, v30
	v_add_nc_u32_e32 v33, -1, v31
	s_delay_alu instid0(VALU_DEP_3) | instskip(SKIP_1) | instid1(VALU_DEP_4)
	v_fma_f32 v37, -v32, v30, v29
	v_add_nc_u32_e32 v38, 1, v31
	v_fma_f32 v40, -v36, v30, v29
	s_delay_alu instid0(VALU_DEP_4) | instskip(NEXT) | instid1(VALU_DEP_4)
	v_fma_f32 v39, -v33, v31, v28
	v_cmp_ge_f32_e64 s5, 0, v37
	s_delay_alu instid0(VALU_DEP_1) | instskip(NEXT) | instid1(VALU_DEP_3)
	v_cndmask_b32_e64 v30, v30, v32, s5
	v_cmp_ge_f32_e64 s5, 0, v39
	v_fma_f32 v32, -v38, v31, v28
	s_delay_alu instid0(VALU_DEP_2) | instskip(SKIP_1) | instid1(VALU_DEP_1)
	v_cndmask_b32_e64 v31, v31, v33, s5
	v_cmp_lt_f32_e64 s5, 0, v40
	v_cndmask_b32_e64 v30, v30, v36, s5
	s_delay_alu instid0(VALU_DEP_4) | instskip(SKIP_1) | instid1(VALU_DEP_3)
	v_cmp_lt_f32_e64 s5, 0, v32
	v_mov_b32_e32 v36, 1.0
	v_mul_f32_e32 v32, 0x37800000, v30
	s_delay_alu instid0(VALU_DEP_3) | instskip(NEXT) | instid1(VALU_DEP_1)
	v_cndmask_b32_e64 v31, v31, v38, s5
	v_dual_cndmask_b32 v30, v30, v32 :: v_dual_mul_f32 v33, 0x37800000, v31
	v_cmp_class_f32_e64 vcc_lo, v29, 0x260
	s_delay_alu instid0(VALU_DEP_2) | instskip(NEXT) | instid1(VALU_DEP_3)
	v_cndmask_b32_e64 v31, v31, v33, s4
	v_cndmask_b32_e32 v29, v30, v29, vcc_lo
	v_cmp_class_f32_e64 vcc_lo, v28, 0x260
	s_delay_alu instid0(VALU_DEP_3) | instskip(NEXT) | instid1(VALU_DEP_1)
	v_cndmask_b32_e32 v28, v31, v28, vcc_lo
	v_mul_f32_e32 v37, v29, v28
.LBB57_557:                             ;   in Loop: Header=BB57_401 Depth=1
	s_or_b32 exec_lo, exec_lo, s34
	s_delay_alu instid0(SALU_CYCLE_1)
	s_and_b32 s4, s33, exec_lo
.LBB57_558:                             ;   in Loop: Header=BB57_401 Depth=1
	s_or_b32 exec_lo, exec_lo, s31
	s_delay_alu instid0(SALU_CYCLE_1)
	s_and_b32 s4, s4, exec_lo
                                        ; implicit-def: $vgpr28
.LBB57_559:                             ;   in Loop: Header=BB57_401 Depth=1
	s_and_not1_saveexec_b32 s5, s30
; %bb.560:                              ;   in Loop: Header=BB57_401 Depth=1
	v_mul_f32_e32 v37, 0x4b800000, v28
	v_mul_f32_e64 v36, 0x4b800000, |v6|
	s_or_b32 s4, s4, exec_lo
                                        ; implicit-def: $vgpr35
; %bb.561:                              ;   in Loop: Header=BB57_401 Depth=1
	s_or_b32 exec_lo, exec_lo, s5
	s_xor_b32 s4, s4, -1
                                        ; implicit-def: $vgpr28
	s_delay_alu instid0(SALU_CYCLE_1) | instskip(NEXT) | instid1(SALU_CYCLE_1)
	s_and_saveexec_b32 s5, s4
	s_xor_b32 s4, exec_lo, s5
	s_cbranch_execz .LBB57_563
; %bb.562:                              ;   in Loop: Header=BB57_401 Depth=1
	v_fma_f32 v28, |v35|, -0.5, 0.5
	v_mul_f32_e32 v29, v35, v35
	v_cmp_ge_f32_e64 vcc_lo, |v35|, 0.5
                                        ; implicit-def: $vgpr36
                                        ; implicit-def: $vgpr37
	s_delay_alu instid0(VALU_DEP_2) | instskip(SKIP_1) | instid1(VALU_DEP_2)
	v_cndmask_b32_e32 v28, v29, v28, vcc_lo
	v_cmp_lt_f32_e64 vcc_lo, |v35|, 0.5
	v_fmaak_f32 v29, s25, v28, 0x3c5fc5da
	v_sqrt_f32_e32 v30, v28
	s_delay_alu instid0(VALU_DEP_1) | instskip(NEXT) | instid1(VALU_DEP_1)
	v_fmaak_f32 v29, v28, v29, 0x3d034c3c
	v_fmaak_f32 v29, v28, v29, 0x3d3641b1
	s_delay_alu instid0(VALU_DEP_1) | instskip(NEXT) | instid1(VALU_DEP_1)
	v_fmaak_f32 v29, v28, v29, 0x3d999bc8
	v_fmaak_f32 v29, v28, v29, 0x3e2aaaac
	s_delay_alu instid0(VALU_DEP_1) | instskip(SKIP_3) | instid1(VALU_DEP_2)
	v_mul_f32_e32 v28, v28, v29
	s_waitcnt_depctr 0xfff
	v_fmac_f32_e32 v30, v30, v28
	v_fma_f32 v28, |v35|, v28, |v35|
	v_add_f32_e32 v29, v30, v30
	s_delay_alu instid0(VALU_DEP_1) | instskip(NEXT) | instid1(VALU_DEP_1)
	v_sub_f32_e32 v29, 0x3fc90fdb, v29
	v_cndmask_b32_e32 v28, v29, v28, vcc_lo
	s_delay_alu instid0(VALU_DEP_1)
	v_bfi_b32 v28, 0x7fffffff, v28, v35
.LBB57_563:                             ;   in Loop: Header=BB57_401 Depth=1
	s_and_not1_saveexec_b32 s30, s4
	s_cbranch_execz .LBB57_565
; %bb.564:                              ;   in Loop: Header=BB57_401 Depth=1
	v_max_f32_e32 v28, v36, v36
	v_max_f32_e64 v29, |v37|, |v37|
	v_cmp_gt_f32_e64 vcc_lo, v36, |v37|
	v_cmp_eq_f32_e64 s5, 0, v36
	v_cmp_class_f32_e64 s31, v37, 0x204
	v_cmp_eq_f32_e64 s4, 0x7f800000, v36
	v_max_f32_e32 v30, v29, v28
	v_min_f32_e32 v28, v29, v28
	s_delay_alu instid0(VALU_DEP_2) | instskip(SKIP_1) | instid1(VALU_DEP_2)
	v_frexp_mant_f32_e32 v31, v30
	v_frexp_exp_i32_f32_e32 v30, v30
	v_rcp_f32_e32 v29, v31
	s_delay_alu instid0(VALU_DEP_3) | instskip(SKIP_1) | instid1(VALU_DEP_2)
	v_frexp_exp_i32_f32_e32 v31, v28
	v_frexp_mant_f32_e32 v28, v28
	v_sub_nc_u32_e32 v30, v31, v30
	s_waitcnt_depctr 0xfff
	v_mul_f32_e32 v28, v28, v29
	s_delay_alu instid0(VALU_DEP_1) | instskip(NEXT) | instid1(VALU_DEP_1)
	v_ldexp_f32 v28, v28, v30
	v_mul_f32_e32 v29, v28, v28
	s_delay_alu instid0(VALU_DEP_1) | instskip(NEXT) | instid1(VALU_DEP_1)
	v_fmaak_f32 v30, s26, v29, 0xbc7a590c
	v_fmaak_f32 v30, v29, v30, 0x3d29fb3f
	s_delay_alu instid0(VALU_DEP_1) | instskip(NEXT) | instid1(VALU_DEP_1)
	v_fmaak_f32 v30, v29, v30, 0xbd97d4d7
	v_fmaak_f32 v30, v29, v30, 0x3dd931b2
	;; [unrolled: 3-line block ×3, first 2 shown]
	s_delay_alu instid0(VALU_DEP_1) | instskip(NEXT) | instid1(VALU_DEP_1)
	v_fmaak_f32 v30, v29, v30, 0xbeaaaa62
	v_mul_f32_e32 v29, v29, v30
	s_delay_alu instid0(VALU_DEP_1) | instskip(NEXT) | instid1(VALU_DEP_1)
	v_fmac_f32_e32 v28, v28, v29
	v_sub_f32_e32 v29, 0x3fc90fdb, v28
	s_delay_alu instid0(VALU_DEP_1) | instskip(SKIP_1) | instid1(VALU_DEP_2)
	v_cndmask_b32_e32 v28, v28, v29, vcc_lo
	v_cmp_gt_i32_e32 vcc_lo, 0, v37
	v_sub_f32_e32 v29, 0x40490fdb, v28
	v_cndmask_b32_e64 v30, 0, 0x40490fdb, vcc_lo
	v_cmp_gt_f32_e32 vcc_lo, 0, v37
	s_delay_alu instid0(VALU_DEP_3) | instskip(SKIP_2) | instid1(VALU_DEP_2)
	v_cndmask_b32_e32 v28, v28, v29, vcc_lo
	v_cndmask_b32_e32 v29, 0x3f490fdb, v27, vcc_lo
	s_and_b32 vcc_lo, s4, s31
	v_cndmask_b32_e64 v28, v28, v30, s5
	s_delay_alu instid0(VALU_DEP_1) | instskip(SKIP_1) | instid1(VALU_DEP_2)
	v_cndmask_b32_e32 v28, v28, v29, vcc_lo
	v_cmp_o_f32_e32 vcc_lo, v37, v36
	v_cndmask_b32_e64 v28, 0x7fc00000, |v28|, vcc_lo
.LBB57_565:                             ;   in Loop: Header=BB57_401 Depth=1
	s_or_b32 exec_lo, exec_lo, s30
	v_bfi_b32 v7, 0x7fffffff, v34, v7
	s_delay_alu instid0(VALU_DEP_2)
	v_bfi_b32 v6, 0x7fffffff, v28, v6
.LBB57_566:                             ;   in Loop: Header=BB57_401 Depth=1
	s_or_b32 exec_lo, exec_lo, s29
.LBB57_567:                             ;   in Loop: Header=BB57_401 Depth=1
	s_delay_alu instid0(SALU_CYCLE_1)
	s_or_b32 exec_lo, exec_lo, s28
                                        ; implicit-def: $vgpr28
                                        ; implicit-def: $vgpr30
                                        ; implicit-def: $vgpr29
.LBB57_568:                             ;   in Loop: Header=BB57_401 Depth=1
	s_and_not1_saveexec_b32 s27, s27
	s_cbranch_execz .LBB57_590
; %bb.569:                              ;   in Loop: Header=BB57_401 Depth=1
                                        ; implicit-def: $vgpr31
                                        ; implicit-def: $vgpr32
	s_mov_b32 s4, exec_lo
	v_cmpx_lt_i32_e32 -1, v7
	s_xor_b32 s28, exec_lo, s4
	s_cbranch_execz .LBB57_579
; %bb.570:                              ;   in Loop: Header=BB57_401 Depth=1
	v_cmp_lt_f32_e64 s4, |v7|, |v6|
                                        ; implicit-def: $vgpr31
                                        ; implicit-def: $vgpr32
	s_mov_b32 s5, exec_lo
	s_delay_alu instid0(VALU_DEP_1) | instskip(NEXT) | instid1(VALU_DEP_1)
	v_cndmask_b32_e64 v33, |v7|, |v6|, s4
	v_cmpx_nlt_f32_e32 0x7effffff, v33
	s_xor_b32 s29, exec_lo, s5
	s_cbranch_execz .LBB57_576
; %bb.571:                              ;   in Loop: Header=BB57_401 Depth=1
	v_cndmask_b32_e64 v34, |v6|, |v7|, s4
	v_cmp_nlt_f32_e32 vcc_lo, 0x5e000000, v33
                                        ; implicit-def: $vgpr31
                                        ; implicit-def: $vgpr32
	s_delay_alu instid0(VALU_DEP_2) | instskip(NEXT) | instid1(VALU_DEP_1)
	v_cmp_ngt_f32_e64 s5, 0x20000000, v34
	s_and_b32 s5, vcc_lo, s5
	s_delay_alu instid0(SALU_CYCLE_1) | instskip(NEXT) | instid1(SALU_CYCLE_1)
	s_and_saveexec_b32 s30, s5
	s_xor_b32 s30, exec_lo, s30
	s_cbranch_execz .LBB57_573
; %bb.572:                              ;   in Loop: Header=BB57_401 Depth=1
	s_waitcnt lgkmcnt(0)
	v_frexp_mant_f32_e32 v31, v29
	v_min_f32_e32 v28, v28, v30
	v_frexp_exp_i32_f32_e32 v29, v29
	s_delay_alu instid0(VALU_DEP_3) | instskip(SKIP_1) | instid1(VALU_DEP_1)
	v_rcp_f32_e32 v30, v31
	v_mul_f32_e32 v31, v34, v34
	v_fmac_f32_e32 v31, v33, v33
	v_frexp_mant_f32_e32 v32, v28
	v_frexp_exp_i32_f32_e32 v28, v28
	s_delay_alu instid0(VALU_DEP_3) | instskip(SKIP_4) | instid1(VALU_DEP_2)
	v_cmp_gt_f32_e32 vcc_lo, 0x800000, v31
	s_waitcnt_depctr 0xfff
	v_mul_f32_e32 v30, v32, v30
	v_sub_nc_u32_e32 v28, v28, v29
	v_cndmask_b32_e64 v29, 1.0, 0x4f800000, vcc_lo
	v_ldexp_f32 v32, v30, v28
	s_delay_alu instid0(VALU_DEP_1) | instskip(NEXT) | instid1(VALU_DEP_1)
	v_dual_mul_f32 v28, v31, v29 :: v_dual_mul_f32 v29, v32, v32
	v_log_f32_e32 v28, v28
	s_delay_alu instid0(VALU_DEP_1) | instskip(SKIP_3) | instid1(VALU_DEP_2)
	v_fmaak_f32 v30, s26, v29, 0xbc7a590c
	s_waitcnt_depctr 0xfff
	v_mul_f32_e32 v31, 0x3f317217, v28
	v_cmp_gt_f32_e64 s5, 0x7f800000, |v28|
	v_fma_f32 v33, 0x3f317217, v28, -v31
	s_delay_alu instid0(VALU_DEP_1) | instskip(NEXT) | instid1(VALU_DEP_1)
	v_fmac_f32_e32 v33, 0x3377d1cf, v28
	v_dual_fmaak_f32 v30, v29, v30, 0x3d29fb3f :: v_dual_add_f32 v31, v31, v33
	s_delay_alu instid0(VALU_DEP_1) | instskip(SKIP_1) | instid1(VALU_DEP_1)
	v_cndmask_b32_e64 v28, v28, v31, s5
	v_cndmask_b32_e64 v31, 0, 0x41b17218, vcc_lo
	v_sub_f32_e32 v28, v28, v31
	s_delay_alu instid0(VALU_DEP_1) | instskip(NEXT) | instid1(VALU_DEP_1)
	v_dual_fmaak_f32 v30, v29, v30, 0xbd97d4d7 :: v_dual_mul_f32 v31, 0.5, v28
	v_fmaak_f32 v30, v29, v30, 0x3dd931b2
                                        ; implicit-def: $vgpr28
	s_delay_alu instid0(VALU_DEP_1) | instskip(NEXT) | instid1(VALU_DEP_1)
	v_fmaak_f32 v30, v29, v30, 0xbe1160e6
	v_fmaak_f32 v30, v29, v30, 0x3e4cb8bf
	s_delay_alu instid0(VALU_DEP_1) | instskip(NEXT) | instid1(VALU_DEP_1)
	v_fmaak_f32 v30, v29, v30, 0xbeaaaa62
	v_mul_f32_e32 v29, v29, v30
                                        ; implicit-def: $vgpr30
	s_delay_alu instid0(VALU_DEP_1)
	v_fmac_f32_e32 v32, v32, v29
                                        ; implicit-def: $vgpr29
.LBB57_573:                             ;   in Loop: Header=BB57_401 Depth=1
	s_and_not1_saveexec_b32 s5, s30
	s_cbranch_execz .LBB57_575
; %bb.574:                              ;   in Loop: Header=BB57_401 Depth=1
	s_waitcnt lgkmcnt(0)
	v_cvt_f64_f32_e32 v[31:32], v29
	v_cmp_neq_f32_e32 vcc_lo, 0x7f800000, v29
	v_min_f32_e32 v28, v28, v30
	s_delay_alu instid0(VALU_DEP_1) | instskip(SKIP_2) | instid1(VALU_DEP_1)
	v_frexp_exp_i32_f32_e32 v34, v28
	v_frexp_mant_f32_e32 v28, v28
	v_frexp_exp_i32_f64_e32 v31, v[31:32]
	v_sub_nc_u32_e32 v32, 0, v31
	s_delay_alu instid0(VALU_DEP_1) | instskip(SKIP_1) | instid1(VALU_DEP_2)
	v_ldexp_f32 v33, |v6|, v32
	v_ldexp_f32 v32, |v7|, v32
	v_mul_f32_e32 v33, v33, v33
	s_delay_alu instid0(VALU_DEP_1) | instskip(SKIP_1) | instid1(VALU_DEP_2)
	v_fmac_f32_e32 v33, v32, v32
	v_frexp_mant_f32_e32 v32, v29
	v_sqrt_f32_e32 v33, v33
	s_delay_alu instid0(VALU_DEP_1) | instskip(SKIP_1) | instid1(VALU_DEP_1)
	v_rcp_f32_e32 v30, v32
	v_frexp_exp_i32_f32_e32 v32, v29
	v_sub_nc_u32_e32 v32, v34, v32
	s_waitcnt_depctr 0xfff
	v_ldexp_f32 v31, v33, v31
	s_delay_alu instid0(VALU_DEP_1) | instskip(NEXT) | instid1(VALU_DEP_1)
	v_dual_mul_f32 v28, v28, v30 :: v_dual_cndmask_b32 v29, 0x7f800000, v31
	v_ldexp_f32 v32, v28, v32
	s_delay_alu instid0(VALU_DEP_2) | instskip(SKIP_1) | instid1(VALU_DEP_1)
	v_cmp_gt_f32_e32 vcc_lo, 0x800000, v29
	v_cndmask_b32_e64 v28, 1.0, 0x4f800000, vcc_lo
	v_mul_f32_e32 v28, v29, v28
	s_delay_alu instid0(VALU_DEP_1) | instskip(SKIP_2) | instid1(VALU_DEP_1)
	v_log_f32_e32 v28, v28
	s_waitcnt_depctr 0xfff
	v_mul_f32_e32 v31, 0x3f317217, v28
	v_fma_f32 v33, 0x3f317217, v28, -v31
	s_delay_alu instid0(VALU_DEP_1) | instskip(NEXT) | instid1(VALU_DEP_1)
	v_fmac_f32_e32 v33, 0x3377d1cf, v28
	v_dual_mul_f32 v30, v32, v32 :: v_dual_add_f32 v31, v31, v33
	s_delay_alu instid0(VALU_DEP_1) | instskip(SKIP_2) | instid1(VALU_DEP_3)
	v_fmaak_f32 v29, s26, v30, 0xbc7a590c
	v_cndmask_b32_e64 v33, 0, 0x41b17218, vcc_lo
	v_cmp_gt_f32_e64 vcc_lo, 0x7f800000, |v28|
	v_dual_fmaak_f32 v29, v30, v29, 0x3d29fb3f :: v_dual_cndmask_b32 v28, v28, v31
	s_delay_alu instid0(VALU_DEP_1) | instskip(NEXT) | instid1(VALU_DEP_2)
	v_fmaak_f32 v29, v30, v29, 0xbd97d4d7
	v_sub_f32_e32 v31, v28, v33
	s_delay_alu instid0(VALU_DEP_2) | instskip(NEXT) | instid1(VALU_DEP_1)
	v_fmaak_f32 v29, v30, v29, 0x3dd931b2
	v_fmaak_f32 v29, v30, v29, 0xbe1160e6
	s_delay_alu instid0(VALU_DEP_1) | instskip(NEXT) | instid1(VALU_DEP_1)
	v_fmaak_f32 v29, v30, v29, 0x3e4cb8bf
	v_fmaak_f32 v29, v30, v29, 0xbeaaaa62
	s_delay_alu instid0(VALU_DEP_1) | instskip(NEXT) | instid1(VALU_DEP_1)
	v_mul_f32_e32 v29, v30, v29
	v_fmac_f32_e32 v32, v32, v29
.LBB57_575:                             ;   in Loop: Header=BB57_401 Depth=1
	s_or_b32 exec_lo, exec_lo, s5
                                        ; implicit-def: $vgpr28
                                        ; implicit-def: $vgpr30
                                        ; implicit-def: $vgpr29
.LBB57_576:                             ;   in Loop: Header=BB57_401 Depth=1
	s_and_not1_saveexec_b32 s29, s29
	s_cbranch_execz .LBB57_578
; %bb.577:                              ;   in Loop: Header=BB57_401 Depth=1
	v_div_scale_f32 v31, null, 0x402df854, 0x402df854, v7
	v_div_scale_f32 v32, null, 0x402df854, 0x402df854, v6
	v_div_scale_f32 v37, vcc_lo, v7, 0x402df854, v7
	s_delay_alu instid0(VALU_DEP_3) | instskip(NEXT) | instid1(VALU_DEP_2)
	v_rcp_f32_e32 v33, v31
	v_rcp_f32_e32 v34, v32
	v_min_f32_e32 v28, v28, v30
	s_waitcnt_depctr 0xfff
	v_fma_f32 v35, -v31, v33, 1.0
	v_fma_f32 v36, -v32, v34, 1.0
	s_delay_alu instid0(VALU_DEP_1) | instskip(SKIP_1) | instid1(VALU_DEP_2)
	v_dual_fmac_f32 v33, v35, v33 :: v_dual_fmac_f32 v34, v36, v34
	v_div_scale_f32 v35, s5, v6, 0x402df854, v6
	v_mul_f32_e32 v36, v37, v33
	s_delay_alu instid0(VALU_DEP_2) | instskip(NEXT) | instid1(VALU_DEP_2)
	v_mul_f32_e32 v38, v35, v34
	v_fma_f32 v39, -v31, v36, v37
	s_delay_alu instid0(VALU_DEP_2) | instskip(NEXT) | instid1(VALU_DEP_2)
	v_fma_f32 v40, -v32, v38, v35
	v_fmac_f32_e32 v36, v39, v33
	s_delay_alu instid0(VALU_DEP_2) | instskip(NEXT) | instid1(VALU_DEP_2)
	v_fmac_f32_e32 v38, v40, v34
	v_fma_f32 v31, -v31, v36, v37
	s_delay_alu instid0(VALU_DEP_2) | instskip(NEXT) | instid1(VALU_DEP_2)
	v_fma_f32 v32, -v32, v38, v35
	v_div_fmas_f32 v31, v31, v33, v36
	s_mov_b32 vcc_lo, s5
	s_delay_alu instid0(VALU_DEP_2) | instskip(NEXT) | instid1(VALU_DEP_2)
	v_div_fmas_f32 v32, v32, v34, v38
	v_div_fixup_f32 v33, v31, 0x402df854, v7
	s_delay_alu instid0(VALU_DEP_2) | instskip(NEXT) | instid1(VALU_DEP_1)
	v_div_fixup_f32 v34, v32, 0x402df854, v6
	v_max_f32_e64 v35, |v33|, |v34|
	s_delay_alu instid0(VALU_DEP_1) | instskip(SKIP_1) | instid1(VALU_DEP_2)
	v_cvt_f64_f32_e32 v[31:32], v35
	v_cmp_neq_f32_e32 vcc_lo, 0x7f800000, v35
	v_frexp_exp_i32_f64_e32 v31, v[31:32]
	s_delay_alu instid0(VALU_DEP_1) | instskip(NEXT) | instid1(VALU_DEP_1)
	v_sub_nc_u32_e32 v32, 0, v31
	v_ldexp_f32 v34, |v34|, v32
	v_ldexp_f32 v32, |v33|, v32
	s_delay_alu instid0(VALU_DEP_2) | instskip(NEXT) | instid1(VALU_DEP_1)
	v_mul_f32_e32 v33, v34, v34
	v_fmac_f32_e32 v33, v32, v32
	s_delay_alu instid0(VALU_DEP_1) | instskip(SKIP_3) | instid1(VALU_DEP_2)
	v_sqrt_f32_e32 v32, v33
	s_waitcnt lgkmcnt(0)
	v_frexp_mant_f32_e32 v33, v29
	v_frexp_exp_i32_f32_e32 v29, v29
	v_rcp_f32_e32 v30, v33
	s_waitcnt_depctr 0xfff
	v_ldexp_f32 v31, v32, v31
	v_frexp_exp_i32_f32_e32 v32, v28
	v_frexp_mant_f32_e32 v28, v28
	s_delay_alu instid0(VALU_DEP_3) | instskip(NEXT) | instid1(VALU_DEP_3)
	v_cndmask_b32_e32 v31, 0x7f800000, v31, vcc_lo
	v_sub_nc_u32_e32 v29, v32, v29
	s_delay_alu instid0(VALU_DEP_3) | instskip(NEXT) | instid1(VALU_DEP_3)
	v_mul_f32_e32 v28, v28, v30
	v_cmp_gt_f32_e32 vcc_lo, 0x800000, v31
	s_delay_alu instid0(VALU_DEP_2) | instskip(SKIP_1) | instid1(VALU_DEP_1)
	v_ldexp_f32 v32, v28, v29
	v_cndmask_b32_e64 v30, 1.0, 0x4f800000, vcc_lo
	v_dual_mul_f32 v29, v32, v32 :: v_dual_mul_f32 v28, v31, v30
	s_delay_alu instid0(VALU_DEP_1) | instskip(SKIP_2) | instid1(VALU_DEP_1)
	v_log_f32_e32 v28, v28
	s_waitcnt_depctr 0xfff
	v_mul_f32_e32 v31, 0x3f317217, v28
	v_fma_f32 v33, 0x3f317217, v28, -v31
	s_delay_alu instid0(VALU_DEP_1) | instskip(NEXT) | instid1(VALU_DEP_1)
	v_fmac_f32_e32 v33, 0x3377d1cf, v28
	v_add_f32_e32 v31, v31, v33
	v_cndmask_b32_e64 v33, 0, 0x41b17218, vcc_lo
	v_cmp_gt_f32_e64 vcc_lo, 0x7f800000, |v28|
	s_delay_alu instid0(VALU_DEP_3) | instskip(NEXT) | instid1(VALU_DEP_1)
	v_cndmask_b32_e32 v28, v28, v31, vcc_lo
	v_sub_f32_e32 v28, v28, v33
	s_delay_alu instid0(VALU_DEP_1) | instskip(NEXT) | instid1(VALU_DEP_1)
	v_dual_fmaak_f32 v30, s26, v29, 0xbc7a590c :: v_dual_add_f32 v31, 1.0, v28
	v_fmaak_f32 v30, v29, v30, 0x3d29fb3f
	s_delay_alu instid0(VALU_DEP_1) | instskip(NEXT) | instid1(VALU_DEP_1)
	v_fmaak_f32 v30, v29, v30, 0xbd97d4d7
	v_fmaak_f32 v30, v29, v30, 0x3dd931b2
	s_delay_alu instid0(VALU_DEP_1) | instskip(NEXT) | instid1(VALU_DEP_1)
	v_fmaak_f32 v30, v29, v30, 0xbe1160e6
	;; [unrolled: 3-line block ×3, first 2 shown]
	v_mul_f32_e32 v29, v29, v30
	s_delay_alu instid0(VALU_DEP_1)
	v_fmac_f32_e32 v32, v32, v29
.LBB57_578:                             ;   in Loop: Header=BB57_401 Depth=1
	s_or_b32 exec_lo, exec_lo, s29
	s_delay_alu instid0(VALU_DEP_1) | instskip(NEXT) | instid1(VALU_DEP_1)
	v_sub_f32_e32 v28, 0x3fc90fdb, v32
                                        ; implicit-def: $vgpr30
                                        ; implicit-def: $vgpr29
	v_cndmask_b32_e64 v32, v32, v28, s4
                                        ; implicit-def: $vgpr28
.LBB57_579:                             ;   in Loop: Header=BB57_401 Depth=1
	s_and_not1_saveexec_b32 s28, s28
	s_cbranch_execz .LBB57_589
; %bb.580:                              ;   in Loop: Header=BB57_401 Depth=1
	v_cmp_lt_f32_e64 s4, |v7|, |v6|
                                        ; implicit-def: $vgpr31
                                        ; implicit-def: $vgpr32
	s_mov_b32 s5, exec_lo
	s_delay_alu instid0(VALU_DEP_1) | instskip(NEXT) | instid1(VALU_DEP_1)
	v_cndmask_b32_e64 v33, |v7|, |v6|, s4
	v_cmpx_nlt_f32_e32 0x7effffff, v33
	s_xor_b32 s29, exec_lo, s5
	s_cbranch_execz .LBB57_586
; %bb.581:                              ;   in Loop: Header=BB57_401 Depth=1
	v_cndmask_b32_e64 v34, |v6|, |v7|, s4
	v_cmp_nlt_f32_e32 vcc_lo, 0x5e000000, v33
                                        ; implicit-def: $vgpr31
                                        ; implicit-def: $vgpr32
	s_delay_alu instid0(VALU_DEP_2) | instskip(NEXT) | instid1(VALU_DEP_1)
	v_cmp_ngt_f32_e64 s5, 0x20000000, v34
	s_and_b32 s5, vcc_lo, s5
	s_delay_alu instid0(SALU_CYCLE_1) | instskip(NEXT) | instid1(SALU_CYCLE_1)
	s_and_saveexec_b32 s30, s5
	s_xor_b32 s30, exec_lo, s30
	s_cbranch_execz .LBB57_583
; %bb.582:                              ;   in Loop: Header=BB57_401 Depth=1
	s_waitcnt lgkmcnt(0)
	v_frexp_mant_f32_e32 v31, v29
	v_min_f32_e32 v28, v28, v30
	v_frexp_exp_i32_f32_e32 v29, v29
	s_delay_alu instid0(VALU_DEP_3) | instskip(SKIP_1) | instid1(VALU_DEP_1)
	v_rcp_f32_e32 v30, v31
	v_mul_f32_e32 v31, v34, v34
	v_fmac_f32_e32 v31, v33, v33
	v_frexp_mant_f32_e32 v32, v28
	v_frexp_exp_i32_f32_e32 v28, v28
	s_delay_alu instid0(VALU_DEP_3) | instskip(SKIP_4) | instid1(VALU_DEP_2)
	v_cmp_gt_f32_e32 vcc_lo, 0x800000, v31
	s_waitcnt_depctr 0xfff
	v_mul_f32_e32 v30, v32, v30
	v_sub_nc_u32_e32 v28, v28, v29
	v_cndmask_b32_e64 v29, 1.0, 0x4f800000, vcc_lo
	v_ldexp_f32 v32, v30, v28
	s_delay_alu instid0(VALU_DEP_1) | instskip(NEXT) | instid1(VALU_DEP_1)
	v_dual_mul_f32 v28, v31, v29 :: v_dual_mul_f32 v29, v32, v32
	v_log_f32_e32 v28, v28
	s_delay_alu instid0(VALU_DEP_1) | instskip(SKIP_3) | instid1(VALU_DEP_2)
	v_fmaak_f32 v30, s26, v29, 0xbc7a590c
	s_waitcnt_depctr 0xfff
	v_mul_f32_e32 v31, 0x3f317217, v28
	v_cmp_gt_f32_e64 s5, 0x7f800000, |v28|
	v_fma_f32 v33, 0x3f317217, v28, -v31
	s_delay_alu instid0(VALU_DEP_1) | instskip(NEXT) | instid1(VALU_DEP_1)
	v_fmac_f32_e32 v33, 0x3377d1cf, v28
	v_dual_fmaak_f32 v30, v29, v30, 0x3d29fb3f :: v_dual_add_f32 v31, v31, v33
	s_delay_alu instid0(VALU_DEP_1) | instskip(SKIP_1) | instid1(VALU_DEP_1)
	v_cndmask_b32_e64 v28, v28, v31, s5
	v_cndmask_b32_e64 v31, 0, 0x41b17218, vcc_lo
	v_sub_f32_e32 v28, v28, v31
	s_delay_alu instid0(VALU_DEP_1) | instskip(NEXT) | instid1(VALU_DEP_1)
	v_dual_fmaak_f32 v30, v29, v30, 0xbd97d4d7 :: v_dual_mul_f32 v31, 0.5, v28
	v_fmaak_f32 v30, v29, v30, 0x3dd931b2
                                        ; implicit-def: $vgpr28
	s_delay_alu instid0(VALU_DEP_1) | instskip(NEXT) | instid1(VALU_DEP_1)
	v_fmaak_f32 v30, v29, v30, 0xbe1160e6
	v_fmaak_f32 v30, v29, v30, 0x3e4cb8bf
	s_delay_alu instid0(VALU_DEP_1) | instskip(NEXT) | instid1(VALU_DEP_1)
	v_fmaak_f32 v30, v29, v30, 0xbeaaaa62
	v_mul_f32_e32 v29, v29, v30
                                        ; implicit-def: $vgpr30
	s_delay_alu instid0(VALU_DEP_1)
	v_fmac_f32_e32 v32, v32, v29
                                        ; implicit-def: $vgpr29
.LBB57_583:                             ;   in Loop: Header=BB57_401 Depth=1
	s_and_not1_saveexec_b32 s5, s30
	s_cbranch_execz .LBB57_585
; %bb.584:                              ;   in Loop: Header=BB57_401 Depth=1
	s_waitcnt lgkmcnt(0)
	v_cvt_f64_f32_e32 v[31:32], v29
	v_cmp_neq_f32_e32 vcc_lo, 0x7f800000, v29
	v_min_f32_e32 v28, v28, v30
	s_delay_alu instid0(VALU_DEP_1) | instskip(SKIP_2) | instid1(VALU_DEP_1)
	v_frexp_exp_i32_f32_e32 v34, v28
	v_frexp_mant_f32_e32 v28, v28
	v_frexp_exp_i32_f64_e32 v31, v[31:32]
	v_sub_nc_u32_e32 v32, 0, v31
	s_delay_alu instid0(VALU_DEP_1) | instskip(SKIP_1) | instid1(VALU_DEP_2)
	v_ldexp_f32 v33, |v6|, v32
	v_ldexp_f32 v32, |v7|, v32
	v_mul_f32_e32 v33, v33, v33
	s_delay_alu instid0(VALU_DEP_1) | instskip(SKIP_1) | instid1(VALU_DEP_2)
	v_fmac_f32_e32 v33, v32, v32
	v_frexp_mant_f32_e32 v32, v29
	v_sqrt_f32_e32 v33, v33
	s_delay_alu instid0(VALU_DEP_1) | instskip(SKIP_1) | instid1(VALU_DEP_1)
	v_rcp_f32_e32 v30, v32
	v_frexp_exp_i32_f32_e32 v32, v29
	v_sub_nc_u32_e32 v32, v34, v32
	s_waitcnt_depctr 0xfff
	v_ldexp_f32 v31, v33, v31
	s_delay_alu instid0(VALU_DEP_1) | instskip(NEXT) | instid1(VALU_DEP_1)
	v_dual_mul_f32 v28, v28, v30 :: v_dual_cndmask_b32 v29, 0x7f800000, v31
	v_ldexp_f32 v32, v28, v32
	s_delay_alu instid0(VALU_DEP_2) | instskip(SKIP_1) | instid1(VALU_DEP_1)
	v_cmp_gt_f32_e32 vcc_lo, 0x800000, v29
	v_cndmask_b32_e64 v28, 1.0, 0x4f800000, vcc_lo
	v_mul_f32_e32 v28, v29, v28
	s_delay_alu instid0(VALU_DEP_1) | instskip(SKIP_2) | instid1(VALU_DEP_1)
	v_log_f32_e32 v28, v28
	s_waitcnt_depctr 0xfff
	v_mul_f32_e32 v31, 0x3f317217, v28
	v_fma_f32 v33, 0x3f317217, v28, -v31
	s_delay_alu instid0(VALU_DEP_1) | instskip(NEXT) | instid1(VALU_DEP_1)
	v_fmac_f32_e32 v33, 0x3377d1cf, v28
	v_dual_mul_f32 v30, v32, v32 :: v_dual_add_f32 v31, v31, v33
	s_delay_alu instid0(VALU_DEP_1) | instskip(SKIP_2) | instid1(VALU_DEP_3)
	v_fmaak_f32 v29, s26, v30, 0xbc7a590c
	v_cndmask_b32_e64 v33, 0, 0x41b17218, vcc_lo
	v_cmp_gt_f32_e64 vcc_lo, 0x7f800000, |v28|
	v_dual_fmaak_f32 v29, v30, v29, 0x3d29fb3f :: v_dual_cndmask_b32 v28, v28, v31
	s_delay_alu instid0(VALU_DEP_1) | instskip(NEXT) | instid1(VALU_DEP_2)
	v_fmaak_f32 v29, v30, v29, 0xbd97d4d7
	v_sub_f32_e32 v31, v28, v33
	s_delay_alu instid0(VALU_DEP_2) | instskip(NEXT) | instid1(VALU_DEP_1)
	v_fmaak_f32 v29, v30, v29, 0x3dd931b2
	v_fmaak_f32 v29, v30, v29, 0xbe1160e6
	s_delay_alu instid0(VALU_DEP_1) | instskip(NEXT) | instid1(VALU_DEP_1)
	v_fmaak_f32 v29, v30, v29, 0x3e4cb8bf
	v_fmaak_f32 v29, v30, v29, 0xbeaaaa62
	s_delay_alu instid0(VALU_DEP_1) | instskip(NEXT) | instid1(VALU_DEP_1)
	v_mul_f32_e32 v29, v30, v29
	v_fmac_f32_e32 v32, v32, v29
.LBB57_585:                             ;   in Loop: Header=BB57_401 Depth=1
	s_or_b32 exec_lo, exec_lo, s5
                                        ; implicit-def: $vgpr28
                                        ; implicit-def: $vgpr30
                                        ; implicit-def: $vgpr29
.LBB57_586:                             ;   in Loop: Header=BB57_401 Depth=1
	s_and_not1_saveexec_b32 s29, s29
	s_cbranch_execz .LBB57_588
; %bb.587:                              ;   in Loop: Header=BB57_401 Depth=1
	v_div_scale_f32 v31, null, 0xc02df854, 0xc02df854, v7
	v_div_scale_f32 v32, null, 0xc02df854, 0xc02df854, v6
	v_div_scale_f32 v37, vcc_lo, v7, 0xc02df854, v7
	s_delay_alu instid0(VALU_DEP_3) | instskip(NEXT) | instid1(VALU_DEP_2)
	v_rcp_f32_e32 v33, v31
	v_rcp_f32_e32 v34, v32
	v_min_f32_e32 v28, v28, v30
	s_waitcnt_depctr 0xfff
	v_fma_f32 v35, -v31, v33, 1.0
	v_fma_f32 v36, -v32, v34, 1.0
	s_delay_alu instid0(VALU_DEP_1) | instskip(SKIP_1) | instid1(VALU_DEP_2)
	v_dual_fmac_f32 v33, v35, v33 :: v_dual_fmac_f32 v34, v36, v34
	v_div_scale_f32 v35, s5, v6, 0xc02df854, v6
	v_mul_f32_e32 v36, v37, v33
	s_delay_alu instid0(VALU_DEP_2) | instskip(NEXT) | instid1(VALU_DEP_2)
	v_mul_f32_e32 v38, v35, v34
	v_fma_f32 v39, -v31, v36, v37
	s_delay_alu instid0(VALU_DEP_2) | instskip(NEXT) | instid1(VALU_DEP_2)
	v_fma_f32 v40, -v32, v38, v35
	v_fmac_f32_e32 v36, v39, v33
	s_delay_alu instid0(VALU_DEP_2) | instskip(NEXT) | instid1(VALU_DEP_2)
	v_fmac_f32_e32 v38, v40, v34
	v_fma_f32 v31, -v31, v36, v37
	s_delay_alu instid0(VALU_DEP_2) | instskip(NEXT) | instid1(VALU_DEP_2)
	v_fma_f32 v32, -v32, v38, v35
	v_div_fmas_f32 v31, v31, v33, v36
	s_mov_b32 vcc_lo, s5
	s_delay_alu instid0(VALU_DEP_2) | instskip(NEXT) | instid1(VALU_DEP_2)
	v_div_fmas_f32 v32, v32, v34, v38
	v_div_fixup_f32 v33, v31, 0xc02df854, v7
	s_delay_alu instid0(VALU_DEP_2) | instskip(NEXT) | instid1(VALU_DEP_1)
	v_div_fixup_f32 v34, v32, 0xc02df854, v6
	v_max_f32_e64 v35, |v33|, |v34|
	s_delay_alu instid0(VALU_DEP_1) | instskip(SKIP_1) | instid1(VALU_DEP_2)
	v_cvt_f64_f32_e32 v[31:32], v35
	v_cmp_neq_f32_e32 vcc_lo, 0x7f800000, v35
	v_frexp_exp_i32_f64_e32 v31, v[31:32]
	s_delay_alu instid0(VALU_DEP_1) | instskip(NEXT) | instid1(VALU_DEP_1)
	v_sub_nc_u32_e32 v32, 0, v31
	v_ldexp_f32 v34, |v34|, v32
	v_ldexp_f32 v32, |v33|, v32
	s_delay_alu instid0(VALU_DEP_2) | instskip(NEXT) | instid1(VALU_DEP_1)
	v_mul_f32_e32 v33, v34, v34
	v_fmac_f32_e32 v33, v32, v32
	s_delay_alu instid0(VALU_DEP_1) | instskip(SKIP_3) | instid1(VALU_DEP_2)
	v_sqrt_f32_e32 v32, v33
	s_waitcnt lgkmcnt(0)
	v_frexp_mant_f32_e32 v33, v29
	v_frexp_exp_i32_f32_e32 v29, v29
	v_rcp_f32_e32 v30, v33
	s_waitcnt_depctr 0xfff
	v_ldexp_f32 v31, v32, v31
	v_frexp_exp_i32_f32_e32 v32, v28
	v_frexp_mant_f32_e32 v28, v28
	s_delay_alu instid0(VALU_DEP_3) | instskip(NEXT) | instid1(VALU_DEP_3)
	v_cndmask_b32_e32 v31, 0x7f800000, v31, vcc_lo
	v_sub_nc_u32_e32 v29, v32, v29
	s_delay_alu instid0(VALU_DEP_3) | instskip(NEXT) | instid1(VALU_DEP_3)
	v_mul_f32_e32 v28, v28, v30
	v_cmp_gt_f32_e32 vcc_lo, 0x800000, v31
	s_delay_alu instid0(VALU_DEP_2) | instskip(SKIP_1) | instid1(VALU_DEP_1)
	v_ldexp_f32 v32, v28, v29
	v_cndmask_b32_e64 v30, 1.0, 0x4f800000, vcc_lo
	v_dual_mul_f32 v29, v32, v32 :: v_dual_mul_f32 v28, v31, v30
	s_delay_alu instid0(VALU_DEP_1) | instskip(SKIP_2) | instid1(VALU_DEP_1)
	v_log_f32_e32 v28, v28
	s_waitcnt_depctr 0xfff
	v_mul_f32_e32 v31, 0x3f317217, v28
	v_fma_f32 v33, 0x3f317217, v28, -v31
	s_delay_alu instid0(VALU_DEP_1) | instskip(NEXT) | instid1(VALU_DEP_1)
	v_fmac_f32_e32 v33, 0x3377d1cf, v28
	v_add_f32_e32 v31, v31, v33
	v_cndmask_b32_e64 v33, 0, 0x41b17218, vcc_lo
	v_cmp_gt_f32_e64 vcc_lo, 0x7f800000, |v28|
	s_delay_alu instid0(VALU_DEP_3) | instskip(NEXT) | instid1(VALU_DEP_1)
	v_cndmask_b32_e32 v28, v28, v31, vcc_lo
	v_sub_f32_e32 v28, v28, v33
	s_delay_alu instid0(VALU_DEP_1) | instskip(NEXT) | instid1(VALU_DEP_1)
	v_dual_fmaak_f32 v30, s26, v29, 0xbc7a590c :: v_dual_add_f32 v31, 1.0, v28
	v_fmaak_f32 v30, v29, v30, 0x3d29fb3f
	s_delay_alu instid0(VALU_DEP_1) | instskip(NEXT) | instid1(VALU_DEP_1)
	v_fmaak_f32 v30, v29, v30, 0xbd97d4d7
	v_fmaak_f32 v30, v29, v30, 0x3dd931b2
	s_delay_alu instid0(VALU_DEP_1) | instskip(NEXT) | instid1(VALU_DEP_1)
	v_fmaak_f32 v30, v29, v30, 0xbe1160e6
	;; [unrolled: 3-line block ×3, first 2 shown]
	v_mul_f32_e32 v29, v29, v30
	s_delay_alu instid0(VALU_DEP_1)
	v_fmac_f32_e32 v32, v32, v29
.LBB57_588:                             ;   in Loop: Header=BB57_401 Depth=1
	s_or_b32 exec_lo, exec_lo, s29
	s_delay_alu instid0(VALU_DEP_1) | instskip(NEXT) | instid1(VALU_DEP_1)
	v_sub_f32_e32 v28, 0x3fc90fdb, v32
	v_cndmask_b32_e64 v32, v32, v28, s4
.LBB57_589:                             ;   in Loop: Header=BB57_401 Depth=1
	s_or_b32 exec_lo, exec_lo, s28
	v_cmp_neq_f32_e32 vcc_lo, 0, v6
	v_cmp_class_f32_e64 s4, v7, 0x204
	v_cmp_class_f32_e64 s5, v6, 0x204
	s_waitcnt lgkmcnt(0)
	v_dual_add_f32 v29, 0x3f317218, v31 :: v_dual_cndmask_b32 v28, 0, v32
	v_cmp_o_f32_e32 vcc_lo, v6, v7
	s_delay_alu instid0(VALU_DEP_3) | instskip(NEXT) | instid1(VALU_DEP_2)
	s_and_b32 s4, s4, s5
	v_bfi_b32 v7, 0x7fffffff, v29, v7
	s_delay_alu instid0(VALU_DEP_3) | instskip(NEXT) | instid1(VALU_DEP_1)
	v_cndmask_b32_e64 v28, v28, 0x3f490fdb, s4
	v_cndmask_b32_e32 v28, 0x7fc00000, v28, vcc_lo
	s_delay_alu instid0(VALU_DEP_1)
	v_bfi_b32 v6, 0x7fffffff, v28, v6
.LBB57_590:                             ;   in Loop: Header=BB57_401 Depth=1
	s_or_b32 exec_lo, exec_lo, s27
.LBB57_591:                             ;   in Loop: Header=BB57_401 Depth=1
	s_and_not1_saveexec_b32 s4, s11
	s_cbranch_execz .LBB57_605
; %bb.592:                              ;   in Loop: Header=BB57_401 Depth=1
	v_cmp_neq_f32_e64 s5, 0x7f800000, |v7|
                                        ; implicit-def: $vgpr28
                                        ; implicit-def: $vgpr29
	s_delay_alu instid0(VALU_DEP_1) | instskip(NEXT) | instid1(SALU_CYCLE_1)
	s_and_saveexec_b32 s11, s5
	s_xor_b32 s5, exec_lo, s11
	s_cbranch_execz .LBB57_602
; %bb.593:                              ;   in Loop: Header=BB57_401 Depth=1
	v_cmp_neq_f32_e64 s11, 0x7f800000, |v6|
                                        ; implicit-def: $vgpr28
                                        ; implicit-def: $vgpr29
	s_delay_alu instid0(VALU_DEP_1) | instskip(NEXT) | instid1(SALU_CYCLE_1)
	s_and_saveexec_b32 s27, s11
	s_xor_b32 s11, exec_lo, s27
	s_cbranch_execz .LBB57_599
; %bb.594:                              ;   in Loop: Header=BB57_401 Depth=1
	s_mov_b32 s27, exec_lo
                                        ; implicit-def: $vgpr28
	v_cmpx_neq_f32_e32 0, v6
	s_xor_b32 s27, exec_lo, s27
; %bb.595:                              ;   in Loop: Header=BB57_401 Depth=1
	v_add_f32_e32 v7, 0, v7
	s_delay_alu instid0(VALU_DEP_1)
	v_add_f32_e32 v28, v6, v7
                                        ; implicit-def: $vgpr7
; %bb.596:                              ;   in Loop: Header=BB57_401 Depth=1
	s_or_saveexec_b32 s27, s27
	s_waitcnt lgkmcnt(0)
	s_delay_alu instid0(VALU_DEP_1)
	v_mov_b32_e32 v29, v28
	s_xor_b32 exec_lo, exec_lo, s27
; %bb.597:                              ;   in Loop: Header=BB57_401 Depth=1
	v_dual_add_f32 v29, v7, v7 :: v_dual_mov_b32 v28, v6
; %bb.598:                              ;   in Loop: Header=BB57_401 Depth=1
	s_or_b32 exec_lo, exec_lo, s27
                                        ; implicit-def: $vgpr7
.LBB57_599:                             ;   in Loop: Header=BB57_401 Depth=1
	s_and_not1_saveexec_b32 s11, s11
	s_cbranch_execz .LBB57_601
; %bb.600:                              ;   in Loop: Header=BB57_401 Depth=1
	s_waitcnt lgkmcnt(0)
	v_dual_add_f32 v28, v7, v7 :: v_dual_mov_b32 v29, v6
.LBB57_601:                             ;   in Loop: Header=BB57_401 Depth=1
	s_or_b32 exec_lo, exec_lo, s11
                                        ; implicit-def: $vgpr6
.LBB57_602:                             ;   in Loop: Header=BB57_401 Depth=1
	s_and_not1_saveexec_b32 s5, s5
	s_cbranch_execz .LBB57_604
; %bb.603:                              ;   in Loop: Header=BB57_401 Depth=1
	s_waitcnt lgkmcnt(0)
	v_dual_add_f32 v28, v6, v6 :: v_dual_mov_b32 v29, v7
.LBB57_604:                             ;   in Loop: Header=BB57_401 Depth=1
	s_or_b32 exec_lo, exec_lo, s5
	s_waitcnt lgkmcnt(0)
	s_delay_alu instid0(VALU_DEP_1)
	v_dual_mov_b32 v7, v29 :: v_dual_mov_b32 v6, v28
.LBB57_605:                             ;   in Loop: Header=BB57_401 Depth=1
	s_or_b32 exec_lo, exec_lo, s4
	v_cmp_o_f32_e32 vcc_lo, v3, v3
	v_cmp_o_f32_e64 s4, v2, v2
	s_delay_alu instid0(VALU_DEP_1) | instskip(NEXT) | instid1(SALU_CYCLE_1)
	s_and_b32 s4, vcc_lo, s4
	s_and_saveexec_b32 s5, s4
	s_delay_alu instid0(SALU_CYCLE_1)
	s_xor_b32 s11, exec_lo, s5
	s_cbranch_execz .LBB57_689
; %bb.606:                              ;   in Loop: Header=BB57_401 Depth=1
	v_max_f32_e64 v30, |v2|, |v2|
	v_max_f32_e64 v28, |v3|, |v3|
	s_mov_b32 s4, exec_lo
	s_waitcnt lgkmcnt(0)
	s_delay_alu instid0(VALU_DEP_1) | instskip(NEXT) | instid1(VALU_DEP_1)
	v_max_f32_e32 v29, v28, v30
	v_cmpx_nlt_f32_e32 0x4b000000, v29
	s_xor_b32 s27, exec_lo, s4
	s_cbranch_execz .LBB57_666
; %bb.607:                              ;   in Loop: Header=BB57_401 Depth=1
	v_cmp_neq_f32_e32 vcc_lo, 0, v3
	v_cmp_neq_f32_e64 s4, 0, v2
	s_delay_alu instid0(VALU_DEP_1) | instskip(NEXT) | instid1(SALU_CYCLE_1)
	s_or_b32 s4, vcc_lo, s4
	s_and_saveexec_b32 s28, s4
	s_cbranch_execz .LBB57_665
; %bb.608:                              ;   in Loop: Header=BB57_401 Depth=1
	v_dual_mov_b32 v30, s13 :: v_dual_mov_b32 v29, s12
	v_cmp_ngt_f32_e64 s4, 0x395db3d7, |v3|
	v_cmp_ngt_f32_e64 s5, 0x395db3d7, |v2|
	flat_store_b32 v[29:30], v26 dlc
	s_waitcnt_vscnt null, 0x0
	flat_load_b32 v29, v[29:30] glc dlc
	s_waitcnt vmcnt(0)
	s_or_b32 s4, s4, s5
	s_waitcnt lgkmcnt(0)
	v_dual_add_f32 v31, 1.0, v29 :: v_dual_mov_b32 v30, s15
	v_mov_b32_e32 v29, s14
	flat_store_b32 v[29:30], v31 dlc
	s_waitcnt_vscnt null, 0x0
	flat_load_b32 v29, v[29:30] glc dlc
	s_waitcnt vmcnt(0)
	s_and_saveexec_b32 s29, s4
	s_cbranch_execz .LBB57_664
; %bb.609:                              ;   in Loop: Header=BB57_401 Depth=1
	v_add_f32_e64 v30, |v2|, 1.0
	s_waitcnt lgkmcnt(0)
	v_add_f32_e64 v29, |v2|, -1.0
	s_mov_b32 s4, exec_lo
	s_delay_alu instid0(VALU_DEP_2) | instskip(NEXT) | instid1(VALU_DEP_2)
	v_max_f32_e64 v35, v28, |v30|
	v_max_f32_e64 v28, v28, |v29|
	s_delay_alu instid0(VALU_DEP_2) | instskip(NEXT) | instid1(VALU_DEP_2)
	v_cvt_f64_f32_e32 v[31:32], v35
	v_cvt_f64_f32_e32 v[33:34], v28
	v_cmp_neq_f32_e32 vcc_lo, 0x7f800000, v35
	s_delay_alu instid0(VALU_DEP_3) | instskip(NEXT) | instid1(VALU_DEP_3)
	v_frexp_exp_i32_f64_e32 v31, v[31:32]
	v_frexp_exp_i32_f64_e32 v32, v[33:34]
	s_delay_alu instid0(VALU_DEP_2) | instskip(NEXT) | instid1(VALU_DEP_2)
	v_sub_nc_u32_e32 v33, 0, v31
	v_sub_nc_u32_e32 v34, 0, v32
	s_delay_alu instid0(VALU_DEP_2) | instskip(NEXT) | instid1(VALU_DEP_2)
	v_ldexp_f32 v36, |v30|, v33
	v_ldexp_f32 v37, |v29|, v34
	;; [unrolled: 1-line block ×4, first 2 shown]
	s_delay_alu instid0(VALU_DEP_3) | instskip(NEXT) | instid1(VALU_DEP_1)
	v_dual_mul_f32 v36, v36, v36 :: v_dual_mul_f32 v37, v37, v37
	v_dual_fmac_f32 v36, v33, v33 :: v_dual_fmac_f32 v37, v34, v34
	s_delay_alu instid0(VALU_DEP_1) | instskip(NEXT) | instid1(VALU_DEP_1)
	v_sqrt_f32_e32 v33, v36
	v_sqrt_f32_e32 v34, v37
	s_waitcnt_depctr 0xfff
	v_ldexp_f32 v31, v33, v31
	v_ldexp_f32 v32, v34, v32
                                        ; implicit-def: $vgpr34
	s_delay_alu instid0(VALU_DEP_2) | instskip(SKIP_1) | instid1(VALU_DEP_3)
	v_cndmask_b32_e32 v33, 0x7f800000, v31, vcc_lo
	v_cmp_neq_f32_e32 vcc_lo, 0x7f800000, v28
	v_cndmask_b32_e32 v31, 0x7f800000, v32, vcc_lo
	s_delay_alu instid0(VALU_DEP_1) | instskip(NEXT) | instid1(VALU_DEP_1)
	v_add_f32_e32 v28, v33, v31
	v_mul_f32_e32 v28, 0.5, v28
	s_delay_alu instid0(VALU_DEP_1) | instskip(SKIP_1) | instid1(VALU_DEP_1)
	v_cmp_ngt_f32_e32 vcc_lo, 1.0, v28
	v_cndmask_b32_e32 v28, 1.0, v28, vcc_lo
	v_cmpx_ngt_f32_e32 0x41200000, v28
	s_xor_b32 s5, exec_lo, s4
	s_cbranch_execz .LBB57_611
; %bb.610:                              ;   in Loop: Header=BB57_401 Depth=1
	v_fma_f32 v32, v28, v28, -1.0
	s_delay_alu instid0(VALU_DEP_1) | instskip(SKIP_1) | instid1(VALU_DEP_2)
	v_mul_f32_e32 v34, 0x4f800000, v32
	v_cmp_gt_f32_e32 vcc_lo, 0xf800000, v32
	v_cndmask_b32_e32 v32, v32, v34, vcc_lo
	s_delay_alu instid0(VALU_DEP_1) | instskip(SKIP_3) | instid1(VALU_DEP_2)
	v_sqrt_f32_e32 v34, v32
	s_waitcnt_depctr 0xfff
	v_add_nc_u32_e32 v35, -1, v34
	v_add_nc_u32_e32 v36, 1, v34
	v_fma_f32 v37, -v35, v34, v32
	s_delay_alu instid0(VALU_DEP_2) | instskip(NEXT) | instid1(VALU_DEP_2)
	v_fma_f32 v38, -v36, v34, v32
	v_cmp_ge_f32_e64 s4, 0, v37
	s_delay_alu instid0(VALU_DEP_1) | instskip(NEXT) | instid1(VALU_DEP_3)
	v_cndmask_b32_e64 v34, v34, v35, s4
	v_cmp_lt_f32_e64 s4, 0, v38
	s_delay_alu instid0(VALU_DEP_1) | instskip(NEXT) | instid1(VALU_DEP_1)
	v_cndmask_b32_e64 v34, v34, v36, s4
	v_mul_f32_e32 v35, 0x37800000, v34
	s_delay_alu instid0(VALU_DEP_1) | instskip(SKIP_1) | instid1(VALU_DEP_2)
	v_cndmask_b32_e32 v34, v34, v35, vcc_lo
	v_cmp_class_f32_e64 vcc_lo, v32, 0x260
	v_cndmask_b32_e32 v32, v34, v32, vcc_lo
	s_delay_alu instid0(VALU_DEP_1) | instskip(NEXT) | instid1(VALU_DEP_1)
	v_add_f32_e32 v32, v28, v32
	v_cmp_gt_f32_e32 vcc_lo, 0x800000, v32
	s_delay_alu instid0(VALU_DEP_4) | instskip(NEXT) | instid1(VALU_DEP_1)
	v_cndmask_b32_e64 v34, 1.0, 0x4f800000, vcc_lo
	v_mul_f32_e32 v32, v32, v34
	s_delay_alu instid0(VALU_DEP_1) | instskip(SKIP_3) | instid1(VALU_DEP_2)
	v_log_f32_e32 v32, v32
	s_waitcnt_depctr 0xfff
	v_mul_f32_e32 v34, 0x3f317217, v32
	v_cmp_gt_f32_e64 s4, 0x7f800000, |v32|
	v_fma_f32 v35, 0x3f317217, v32, -v34
	s_delay_alu instid0(VALU_DEP_1) | instskip(NEXT) | instid1(VALU_DEP_1)
	v_fmac_f32_e32 v35, 0x3377d1cf, v32
	v_add_f32_e32 v34, v34, v35
	s_delay_alu instid0(VALU_DEP_1) | instskip(SKIP_1) | instid1(VALU_DEP_1)
	v_cndmask_b32_e64 v32, v32, v34, s4
	v_cndmask_b32_e64 v34, 0, 0x41b17218, vcc_lo
	v_sub_f32_e32 v34, v32, v34
.LBB57_611:                             ;   in Loop: Header=BB57_401 Depth=1
	s_or_saveexec_b32 s5, s5
	v_and_b32_e32 v32, 0x7fffffff, v3
	s_xor_b32 exec_lo, exec_lo, s5
	s_cbranch_execz .LBB57_633
; %bb.612:                              ;   in Loop: Header=BB57_401 Depth=1
	v_cmp_neq_f32_e64 s4, |v2|, 1.0
	v_cmp_ngt_f32_e64 s30, 0x25000000, |v3|
                                        ; implicit-def: $vgpr34
	s_delay_alu instid0(VALU_DEP_1) | instskip(NEXT) | instid1(SALU_CYCLE_1)
	s_or_b32 s4, s30, s4
	s_and_saveexec_b32 s30, s4
	s_delay_alu instid0(SALU_CYCLE_1)
	s_xor_b32 s30, exec_lo, s30
	s_cbranch_execz .LBB57_630
; %bb.613:                              ;   in Loop: Header=BB57_401 Depth=1
	v_mul_f32_e64 v34, 0x34000000, |v29|
	s_delay_alu instid0(VALU_DEP_1) | instskip(NEXT) | instid1(VALU_DEP_1)
	v_cmp_le_f32_e64 s4, v34, |v3|
                                        ; implicit-def: $vgpr34
	s_and_saveexec_b32 s31, s4
	s_delay_alu instid0(SALU_CYCLE_1)
	s_xor_b32 s31, exec_lo, s31
	s_cbranch_execz .LBB57_623
; %bb.614:                              ;   in Loop: Header=BB57_401 Depth=1
	v_mov_b32_e32 v34, v32
	s_mov_b32 s4, exec_lo
	v_cmpx_neq_f32_e32 0, v30
	s_cbranch_execz .LBB57_616
; %bb.615:                              ;   in Loop: Header=BB57_401 Depth=1
	v_dual_mul_f32 v34, v3, v3 :: v_dual_add_f32 v35, v30, v33
	s_delay_alu instid0(VALU_DEP_1) | instskip(NEXT) | instid1(VALU_DEP_1)
	v_div_scale_f32 v36, null, v35, v35, v34
	v_rcp_f32_e32 v37, v36
	s_waitcnt_depctr 0xfff
	v_fma_f32 v38, -v36, v37, 1.0
	s_delay_alu instid0(VALU_DEP_1) | instskip(SKIP_1) | instid1(VALU_DEP_1)
	v_fmac_f32_e32 v37, v38, v37
	v_div_scale_f32 v38, vcc_lo, v34, v35, v34
	v_mul_f32_e32 v39, v38, v37
	s_delay_alu instid0(VALU_DEP_1) | instskip(NEXT) | instid1(VALU_DEP_1)
	v_fma_f32 v40, -v36, v39, v38
	v_fmac_f32_e32 v39, v40, v37
	s_delay_alu instid0(VALU_DEP_1) | instskip(NEXT) | instid1(VALU_DEP_1)
	v_fma_f32 v36, -v36, v39, v38
	v_div_fmas_f32 v36, v36, v37, v39
	s_delay_alu instid0(VALU_DEP_1)
	v_div_fixup_f32 v34, v36, v35, v34
.LBB57_616:                             ;   in Loop: Header=BB57_401 Depth=1
	s_or_b32 exec_lo, exec_lo, s4
	v_sub_f32_e64 v36, 1.0, |v2|
	s_mov_b32 s4, exec_lo
                                        ; implicit-def: $vgpr35
	s_delay_alu instid0(VALU_DEP_1)
	v_cmpx_ngt_f32_e32 0, v36
	s_xor_b32 s4, exec_lo, s4
	s_cbranch_execz .LBB57_620
; %bb.617:                              ;   in Loop: Header=BB57_401 Depth=1
	v_mov_b32_e32 v35, v32
	s_mov_b32 s33, exec_lo
	v_cmpx_neq_f32_e32 0, v36
	s_cbranch_execz .LBB57_619
; %bb.618:                              ;   in Loop: Header=BB57_401 Depth=1
	v_mul_f32_e32 v35, v3, v3
	v_add_f32_e32 v36, v36, v31
	s_delay_alu instid0(VALU_DEP_1) | instskip(NEXT) | instid1(VALU_DEP_1)
	v_div_scale_f32 v37, null, v36, v36, v35
	v_rcp_f32_e32 v38, v37
	s_waitcnt_depctr 0xfff
	v_fma_f32 v39, -v37, v38, 1.0
	s_delay_alu instid0(VALU_DEP_1) | instskip(SKIP_1) | instid1(VALU_DEP_1)
	v_fmac_f32_e32 v38, v39, v38
	v_div_scale_f32 v39, vcc_lo, v35, v36, v35
	v_mul_f32_e32 v40, v39, v38
	s_delay_alu instid0(VALU_DEP_1) | instskip(NEXT) | instid1(VALU_DEP_1)
	v_fma_f32 v41, -v37, v40, v39
	v_fmac_f32_e32 v40, v41, v38
	s_delay_alu instid0(VALU_DEP_1) | instskip(NEXT) | instid1(VALU_DEP_1)
	v_fma_f32 v37, -v37, v40, v39
	v_div_fmas_f32 v37, v37, v38, v40
	s_delay_alu instid0(VALU_DEP_1)
	v_div_fixup_f32 v35, v37, v36, v35
.LBB57_619:                             ;   in Loop: Header=BB57_401 Depth=1
	s_or_b32 exec_lo, exec_lo, s33
                                        ; implicit-def: $vgpr36
.LBB57_620:                             ;   in Loop: Header=BB57_401 Depth=1
	s_and_not1_saveexec_b32 s4, s4
; %bb.621:                              ;   in Loop: Header=BB57_401 Depth=1
	v_sub_f32_e32 v35, v31, v36
; %bb.622:                              ;   in Loop: Header=BB57_401 Depth=1
	s_or_b32 exec_lo, exec_lo, s4
	s_delay_alu instid0(VALU_DEP_1) | instskip(NEXT) | instid1(VALU_DEP_1)
	v_dual_mul_f32 v35, 0.5, v35 :: v_dual_add_f32 v36, 1.0, v28
	v_fmac_f32_e32 v35, 0.5, v34
	s_delay_alu instid0(VALU_DEP_1) | instskip(NEXT) | instid1(VALU_DEP_1)
	v_mul_f32_e32 v34, v36, v35
	v_mul_f32_e32 v36, 0x4f800000, v34
	v_cmp_gt_f32_e32 vcc_lo, 0xf800000, v34
	s_delay_alu instid0(VALU_DEP_2) | instskip(NEXT) | instid1(VALU_DEP_1)
	v_cndmask_b32_e32 v34, v34, v36, vcc_lo
	v_sqrt_f32_e32 v36, v34
	s_waitcnt_depctr 0xfff
	v_add_nc_u32_e32 v37, -1, v36
	v_add_nc_u32_e32 v38, 1, v36
	s_delay_alu instid0(VALU_DEP_2) | instskip(NEXT) | instid1(VALU_DEP_2)
	v_fma_f32 v39, -v37, v36, v34
	v_fma_f32 v40, -v38, v36, v34
	s_delay_alu instid0(VALU_DEP_2) | instskip(NEXT) | instid1(VALU_DEP_1)
	v_cmp_ge_f32_e64 s4, 0, v39
	v_cndmask_b32_e64 v36, v36, v37, s4
	s_delay_alu instid0(VALU_DEP_3) | instskip(NEXT) | instid1(VALU_DEP_1)
	v_cmp_lt_f32_e64 s4, 0, v40
	v_cndmask_b32_e64 v36, v36, v38, s4
	s_delay_alu instid0(VALU_DEP_1) | instskip(NEXT) | instid1(VALU_DEP_1)
	v_mul_f32_e32 v37, 0x37800000, v36
	v_cndmask_b32_e32 v36, v36, v37, vcc_lo
	v_cmp_class_f32_e64 vcc_lo, v34, 0x260
	s_delay_alu instid0(VALU_DEP_2) | instskip(NEXT) | instid1(VALU_DEP_1)
	v_cndmask_b32_e32 v34, v36, v34, vcc_lo
	v_add_f32_e32 v36, v35, v34
	s_delay_alu instid0(VALU_DEP_1) | instskip(NEXT) | instid1(VALU_DEP_1)
	v_add_f32_e32 v37, 1.0, v36
	v_cvt_f64_f32_e32 v[34:35], v37
	s_delay_alu instid0(VALU_DEP_1) | instskip(SKIP_1) | instid1(VALU_DEP_1)
	v_frexp_exp_i32_f64_e32 v34, v[34:35]
	v_frexp_mant_f32_e32 v35, v37
	v_cmp_gt_f32_e32 vcc_lo, 0x3f2aaaab, v35
	v_add_f32_e32 v35, -1.0, v37
	s_delay_alu instid0(VALU_DEP_1) | instskip(NEXT) | instid1(VALU_DEP_1)
	v_sub_f32_e32 v39, v35, v37
	v_add_f32_e32 v39, 1.0, v39
	v_subrev_co_ci_u32_e32 v34, vcc_lo, 0, v34, vcc_lo
	s_delay_alu instid0(VALU_DEP_1) | instskip(SKIP_1) | instid1(VALU_DEP_2)
	v_sub_nc_u32_e32 v38, 0, v34
	v_cvt_f32_i32_e32 v34, v34
	v_ldexp_f32 v37, v37, v38
	s_delay_alu instid0(VALU_DEP_1) | instskip(NEXT) | instid1(VALU_DEP_1)
	v_dual_sub_f32 v35, v36, v35 :: v_dual_add_f32 v40, 1.0, v37
	v_add_f32_e32 v35, v35, v39
	s_delay_alu instid0(VALU_DEP_2) | instskip(NEXT) | instid1(VALU_DEP_2)
	v_add_f32_e32 v39, -1.0, v40
	v_ldexp_f32 v35, v35, v38
	v_add_f32_e32 v38, -1.0, v37
	v_cmp_eq_f32_e32 vcc_lo, 0x7f800000, v36
	s_delay_alu instid0(VALU_DEP_4) | instskip(NEXT) | instid1(VALU_DEP_3)
	v_sub_f32_e32 v39, v37, v39
	v_add_f32_e32 v41, 1.0, v38
	s_delay_alu instid0(VALU_DEP_2) | instskip(NEXT) | instid1(VALU_DEP_2)
	v_add_f32_e32 v39, v35, v39
	v_sub_f32_e32 v37, v37, v41
	s_delay_alu instid0(VALU_DEP_1) | instskip(NEXT) | instid1(VALU_DEP_1)
	v_add_f32_e32 v35, v35, v37
	v_add_f32_e32 v42, v38, v35
	s_delay_alu instid0(VALU_DEP_1) | instskip(NEXT) | instid1(VALU_DEP_1)
	v_dual_add_f32 v41, v40, v39 :: v_dual_sub_f32 v38, v42, v38
	v_rcp_f32_e32 v37, v41
	v_sub_f32_e32 v40, v41, v40
	s_delay_alu instid0(VALU_DEP_1) | instskip(SKIP_2) | instid1(VALU_DEP_1)
	v_sub_f32_e32 v39, v39, v40
	s_waitcnt_depctr 0xfff
	v_mul_f32_e32 v43, v42, v37
	v_mul_f32_e32 v44, v41, v43
	s_delay_alu instid0(VALU_DEP_1) | instskip(NEXT) | instid1(VALU_DEP_1)
	v_fma_f32 v40, v43, v41, -v44
	v_fmac_f32_e32 v40, v43, v39
	v_sub_f32_e32 v35, v35, v38
	s_delay_alu instid0(VALU_DEP_2) | instskip(NEXT) | instid1(VALU_DEP_1)
	v_add_f32_e32 v45, v44, v40
	v_sub_f32_e32 v46, v42, v45
	v_sub_f32_e32 v38, v45, v44
	s_delay_alu instid0(VALU_DEP_2) | instskip(NEXT) | instid1(VALU_DEP_2)
	v_sub_f32_e32 v42, v42, v46
	v_sub_f32_e32 v38, v38, v40
	s_delay_alu instid0(VALU_DEP_2) | instskip(NEXT) | instid1(VALU_DEP_1)
	v_sub_f32_e32 v42, v42, v45
	v_add_f32_e32 v35, v35, v42
	s_delay_alu instid0(VALU_DEP_1) | instskip(NEXT) | instid1(VALU_DEP_1)
	v_add_f32_e32 v35, v38, v35
	v_add_f32_e32 v38, v46, v35
	s_delay_alu instid0(VALU_DEP_1) | instskip(NEXT) | instid1(VALU_DEP_1)
	v_mul_f32_e32 v40, v37, v38
	v_dual_sub_f32 v45, v46, v38 :: v_dual_mul_f32 v42, v41, v40
	s_delay_alu instid0(VALU_DEP_1) | instskip(NEXT) | instid1(VALU_DEP_2)
	v_add_f32_e32 v35, v35, v45
	v_fma_f32 v41, v40, v41, -v42
	s_delay_alu instid0(VALU_DEP_1) | instskip(NEXT) | instid1(VALU_DEP_1)
	v_fmac_f32_e32 v41, v40, v39
	v_add_f32_e32 v39, v42, v41
	s_delay_alu instid0(VALU_DEP_1) | instskip(NEXT) | instid1(VALU_DEP_1)
	v_sub_f32_e32 v44, v38, v39
	v_sub_f32_e32 v38, v38, v44
	s_delay_alu instid0(VALU_DEP_1) | instskip(NEXT) | instid1(VALU_DEP_1)
	v_sub_f32_e32 v38, v38, v39
	v_add_f32_e32 v35, v35, v38
	v_add_f32_e32 v38, v43, v40
	v_sub_f32_e32 v42, v39, v42
	s_delay_alu instid0(VALU_DEP_1) | instskip(NEXT) | instid1(VALU_DEP_1)
	v_sub_f32_e32 v39, v42, v41
	v_add_f32_e32 v35, v39, v35
	s_delay_alu instid0(VALU_DEP_4) | instskip(NEXT) | instid1(VALU_DEP_2)
	v_sub_f32_e32 v39, v38, v43
	v_add_f32_e32 v35, v44, v35
	s_delay_alu instid0(VALU_DEP_2) | instskip(NEXT) | instid1(VALU_DEP_2)
	v_sub_f32_e32 v39, v40, v39
	v_mul_f32_e32 v35, v37, v35
	s_delay_alu instid0(VALU_DEP_1) | instskip(NEXT) | instid1(VALU_DEP_1)
	v_add_f32_e32 v35, v39, v35
	v_add_f32_e32 v37, v38, v35
	s_delay_alu instid0(VALU_DEP_1) | instskip(NEXT) | instid1(VALU_DEP_1)
	v_mul_f32_e32 v39, v37, v37
	v_fmaak_f32 v40, s24, v39, 0x3ecc95a3
	v_mul_f32_e32 v41, v37, v39
	s_delay_alu instid0(VALU_DEP_2) | instskip(SKIP_2) | instid1(VALU_DEP_3)
	v_fmaak_f32 v39, v39, v40, 0x3f2aaada
	v_ldexp_f32 v40, v37, 1
	v_sub_f32_e32 v37, v37, v38
	v_mul_f32_e32 v39, v41, v39
	v_mul_f32_e32 v41, 0x3f317218, v34
	s_delay_alu instid0(VALU_DEP_2) | instskip(NEXT) | instid1(VALU_DEP_1)
	v_dual_sub_f32 v35, v35, v37 :: v_dual_add_f32 v38, v40, v39
	v_ldexp_f32 v35, v35, 1
	s_delay_alu instid0(VALU_DEP_2) | instskip(NEXT) | instid1(VALU_DEP_4)
	v_sub_f32_e32 v37, v38, v40
	v_fma_f32 v40, 0x3f317218, v34, -v41
	s_delay_alu instid0(VALU_DEP_1) | instskip(NEXT) | instid1(VALU_DEP_1)
	v_dual_sub_f32 v37, v39, v37 :: v_dual_fmac_f32 v40, 0xb102e308, v34
	v_dual_add_f32 v34, v35, v37 :: v_dual_add_f32 v35, v41, v40
	s_delay_alu instid0(VALU_DEP_1) | instskip(NEXT) | instid1(VALU_DEP_2)
	v_add_f32_e32 v37, v38, v34
	v_sub_f32_e32 v41, v35, v41
	s_delay_alu instid0(VALU_DEP_2) | instskip(NEXT) | instid1(VALU_DEP_2)
	v_dual_add_f32 v39, v35, v37 :: v_dual_sub_f32 v38, v37, v38
	v_sub_f32_e32 v40, v40, v41
	s_delay_alu instid0(VALU_DEP_2) | instskip(NEXT) | instid1(VALU_DEP_3)
	v_sub_f32_e32 v42, v39, v35
	v_sub_f32_e32 v34, v34, v38
	s_delay_alu instid0(VALU_DEP_2) | instskip(SKIP_1) | instid1(VALU_DEP_2)
	v_sub_f32_e32 v43, v39, v42
	v_sub_f32_e32 v37, v37, v42
	v_dual_add_f32 v38, v40, v34 :: v_dual_sub_f32 v35, v35, v43
	s_delay_alu instid0(VALU_DEP_1) | instskip(NEXT) | instid1(VALU_DEP_2)
	v_add_f32_e32 v35, v37, v35
	v_sub_f32_e32 v37, v38, v40
	s_delay_alu instid0(VALU_DEP_2) | instskip(NEXT) | instid1(VALU_DEP_2)
	v_add_f32_e32 v35, v38, v35
	v_sub_f32_e32 v38, v38, v37
	s_delay_alu instid0(VALU_DEP_2) | instskip(NEXT) | instid1(VALU_DEP_1)
	v_dual_sub_f32 v34, v34, v37 :: v_dual_add_f32 v41, v39, v35
	v_dual_sub_f32 v38, v40, v38 :: v_dual_sub_f32 v37, v41, v39
	s_delay_alu instid0(VALU_DEP_1) | instskip(NEXT) | instid1(VALU_DEP_1)
	v_dual_add_f32 v34, v34, v38 :: v_dual_sub_f32 v35, v35, v37
	v_add_f32_e32 v34, v34, v35
	s_delay_alu instid0(VALU_DEP_1) | instskip(NEXT) | instid1(VALU_DEP_1)
	v_add_f32_e32 v34, v41, v34
	v_cndmask_b32_e32 v34, v34, v36, vcc_lo
	v_cmp_ngt_f32_e32 vcc_lo, -1.0, v36
	s_delay_alu instid0(VALU_DEP_2) | instskip(SKIP_1) | instid1(VALU_DEP_2)
	v_cndmask_b32_e32 v34, 0x7fc00000, v34, vcc_lo
	v_cmp_neq_f32_e32 vcc_lo, -1.0, v36
	v_cndmask_b32_e32 v34, 0xff800000, v34, vcc_lo
	v_cmp_gt_f32_e64 vcc_lo, 0x33800000, |v36|
	s_delay_alu instid0(VALU_DEP_2)
	v_cndmask_b32_e32 v34, v34, v36, vcc_lo
.LBB57_623:                             ;   in Loop: Header=BB57_401 Depth=1
	s_and_not1_saveexec_b32 s31, s31
	s_cbranch_execz .LBB57_629
; %bb.624:                              ;   in Loop: Header=BB57_401 Depth=1
	s_mov_b32 s33, exec_lo
                                        ; implicit-def: $vgpr34
	v_cmpx_nlt_f32_e64 |v2|, 1.0
	s_xor_b32 s33, exec_lo, s33
	s_cbranch_execz .LBB57_626
; %bb.625:                              ;   in Loop: Header=BB57_401 Depth=1
	v_mul_f32_e32 v34, v29, v30
	s_delay_alu instid0(VALU_DEP_1) | instskip(SKIP_1) | instid1(VALU_DEP_2)
	v_mul_f32_e32 v35, 0x4f800000, v34
	v_cmp_gt_f32_e32 vcc_lo, 0xf800000, v34
	v_cndmask_b32_e32 v34, v34, v35, vcc_lo
	s_delay_alu instid0(VALU_DEP_1) | instskip(SKIP_3) | instid1(VALU_DEP_2)
	v_sqrt_f32_e32 v35, v34
	s_waitcnt_depctr 0xfff
	v_add_nc_u32_e32 v36, -1, v35
	v_add_nc_u32_e32 v37, 1, v35
	v_fma_f32 v38, -v36, v35, v34
	s_delay_alu instid0(VALU_DEP_2) | instskip(NEXT) | instid1(VALU_DEP_2)
	v_fma_f32 v39, -v37, v35, v34
	v_cmp_ge_f32_e64 s4, 0, v38
	s_delay_alu instid0(VALU_DEP_1) | instskip(NEXT) | instid1(VALU_DEP_3)
	v_cndmask_b32_e64 v35, v35, v36, s4
	v_cmp_lt_f32_e64 s4, 0, v39
	s_delay_alu instid0(VALU_DEP_1) | instskip(NEXT) | instid1(VALU_DEP_1)
	v_cndmask_b32_e64 v35, v35, v37, s4
	v_mul_f32_e32 v36, 0x37800000, v35
	s_delay_alu instid0(VALU_DEP_1) | instskip(SKIP_1) | instid1(VALU_DEP_2)
	v_cndmask_b32_e32 v35, v35, v36, vcc_lo
	v_cmp_class_f32_e64 vcc_lo, v34, 0x260
	v_cndmask_b32_e32 v34, v35, v34, vcc_lo
	s_delay_alu instid0(VALU_DEP_1) | instskip(NEXT) | instid1(VALU_DEP_1)
	v_add_f32_e32 v36, v29, v34
	v_add_f32_e32 v37, 1.0, v36
	s_delay_alu instid0(VALU_DEP_1) | instskip(NEXT) | instid1(VALU_DEP_1)
	v_cvt_f64_f32_e32 v[34:35], v37
	v_frexp_exp_i32_f64_e32 v34, v[34:35]
	v_frexp_mant_f32_e32 v35, v37
	s_delay_alu instid0(VALU_DEP_1) | instskip(SKIP_1) | instid1(VALU_DEP_1)
	v_cmp_gt_f32_e32 vcc_lo, 0x3f2aaaab, v35
	v_add_f32_e32 v35, -1.0, v37
	v_sub_f32_e32 v39, v35, v37
	s_delay_alu instid0(VALU_DEP_1) | instskip(SKIP_2) | instid1(VALU_DEP_2)
	v_add_f32_e32 v39, 1.0, v39
	v_subrev_co_ci_u32_e32 v34, vcc_lo, 0, v34, vcc_lo
	v_cmp_eq_f32_e32 vcc_lo, 0x7f800000, v36
	v_sub_nc_u32_e32 v38, 0, v34
	v_cvt_f32_i32_e32 v34, v34
	s_delay_alu instid0(VALU_DEP_2) | instskip(NEXT) | instid1(VALU_DEP_1)
	v_ldexp_f32 v37, v37, v38
	v_dual_sub_f32 v35, v36, v35 :: v_dual_add_f32 v40, 1.0, v37
	s_delay_alu instid0(VALU_DEP_1) | instskip(NEXT) | instid1(VALU_DEP_1)
	v_add_f32_e32 v35, v35, v39
	v_ldexp_f32 v35, v35, v38
	s_delay_alu instid0(VALU_DEP_3) | instskip(NEXT) | instid1(VALU_DEP_1)
	v_dual_add_f32 v38, -1.0, v37 :: v_dual_add_f32 v39, -1.0, v40
	v_add_f32_e32 v41, 1.0, v38
	s_delay_alu instid0(VALU_DEP_2) | instskip(NEXT) | instid1(VALU_DEP_2)
	v_sub_f32_e32 v39, v37, v39
	v_sub_f32_e32 v37, v37, v41
	s_delay_alu instid0(VALU_DEP_2) | instskip(NEXT) | instid1(VALU_DEP_2)
	v_add_f32_e32 v39, v35, v39
	v_add_f32_e32 v35, v35, v37
	s_delay_alu instid0(VALU_DEP_1) | instskip(NEXT) | instid1(VALU_DEP_1)
	v_add_f32_e32 v42, v38, v35
	v_dual_sub_f32 v38, v42, v38 :: v_dual_add_f32 v41, v40, v39
	s_delay_alu instid0(VALU_DEP_1) | instskip(SKIP_1) | instid1(VALU_DEP_1)
	v_rcp_f32_e32 v37, v41
	v_sub_f32_e32 v40, v41, v40
	v_sub_f32_e32 v39, v39, v40
	s_waitcnt_depctr 0xfff
	v_mul_f32_e32 v43, v42, v37
	s_delay_alu instid0(VALU_DEP_1) | instskip(NEXT) | instid1(VALU_DEP_1)
	v_mul_f32_e32 v44, v41, v43
	v_fma_f32 v40, v43, v41, -v44
	s_delay_alu instid0(VALU_DEP_1) | instskip(SKIP_1) | instid1(VALU_DEP_2)
	v_fmac_f32_e32 v40, v43, v39
	v_sub_f32_e32 v35, v35, v38
	v_add_f32_e32 v45, v44, v40
	s_delay_alu instid0(VALU_DEP_1) | instskip(SKIP_1) | instid1(VALU_DEP_2)
	v_sub_f32_e32 v46, v42, v45
	v_sub_f32_e32 v38, v45, v44
	;; [unrolled: 1-line block ×3, first 2 shown]
	s_delay_alu instid0(VALU_DEP_2) | instskip(NEXT) | instid1(VALU_DEP_2)
	v_sub_f32_e32 v38, v38, v40
	v_sub_f32_e32 v42, v42, v45
	s_delay_alu instid0(VALU_DEP_1) | instskip(NEXT) | instid1(VALU_DEP_1)
	v_add_f32_e32 v35, v35, v42
	v_add_f32_e32 v35, v38, v35
	s_delay_alu instid0(VALU_DEP_1) | instskip(NEXT) | instid1(VALU_DEP_1)
	v_add_f32_e32 v38, v46, v35
	v_mul_f32_e32 v40, v37, v38
	s_delay_alu instid0(VALU_DEP_1) | instskip(NEXT) | instid1(VALU_DEP_1)
	v_dual_sub_f32 v45, v46, v38 :: v_dual_mul_f32 v42, v41, v40
	v_fma_f32 v41, v40, v41, -v42
	s_delay_alu instid0(VALU_DEP_1) | instskip(NEXT) | instid1(VALU_DEP_1)
	v_fmac_f32_e32 v41, v40, v39
	v_add_f32_e32 v39, v42, v41
	s_delay_alu instid0(VALU_DEP_1) | instskip(SKIP_1) | instid1(VALU_DEP_1)
	v_sub_f32_e32 v42, v39, v42
	v_dual_sub_f32 v44, v38, v39 :: v_dual_add_f32 v35, v35, v45
	v_sub_f32_e32 v38, v38, v44
	s_delay_alu instid0(VALU_DEP_1) | instskip(NEXT) | instid1(VALU_DEP_4)
	v_sub_f32_e32 v38, v38, v39
	v_sub_f32_e32 v39, v42, v41
	s_delay_alu instid0(VALU_DEP_2) | instskip(SKIP_1) | instid1(VALU_DEP_2)
	v_add_f32_e32 v35, v35, v38
	v_add_f32_e32 v38, v43, v40
	;; [unrolled: 1-line block ×3, first 2 shown]
	s_delay_alu instid0(VALU_DEP_2) | instskip(NEXT) | instid1(VALU_DEP_2)
	v_sub_f32_e32 v39, v38, v43
	v_add_f32_e32 v35, v44, v35
	s_delay_alu instid0(VALU_DEP_2) | instskip(NEXT) | instid1(VALU_DEP_2)
	v_sub_f32_e32 v39, v40, v39
	v_mul_f32_e32 v35, v37, v35
	s_delay_alu instid0(VALU_DEP_1) | instskip(NEXT) | instid1(VALU_DEP_1)
	v_add_f32_e32 v35, v39, v35
	v_add_f32_e32 v37, v38, v35
	s_delay_alu instid0(VALU_DEP_1) | instskip(NEXT) | instid1(VALU_DEP_1)
	v_mul_f32_e32 v39, v37, v37
	v_fmaak_f32 v40, s24, v39, 0x3ecc95a3
	v_mul_f32_e32 v41, v37, v39
	s_delay_alu instid0(VALU_DEP_2) | instskip(SKIP_2) | instid1(VALU_DEP_3)
	v_fmaak_f32 v39, v39, v40, 0x3f2aaada
	v_ldexp_f32 v40, v37, 1
	v_sub_f32_e32 v37, v37, v38
	v_mul_f32_e32 v39, v41, v39
	v_mul_f32_e32 v41, 0x3f317218, v34
	s_delay_alu instid0(VALU_DEP_2) | instskip(NEXT) | instid1(VALU_DEP_1)
	v_dual_sub_f32 v35, v35, v37 :: v_dual_add_f32 v38, v40, v39
	v_ldexp_f32 v35, v35, 1
	s_delay_alu instid0(VALU_DEP_2) | instskip(NEXT) | instid1(VALU_DEP_4)
	v_sub_f32_e32 v37, v38, v40
	v_fma_f32 v40, 0x3f317218, v34, -v41
	s_delay_alu instid0(VALU_DEP_1) | instskip(NEXT) | instid1(VALU_DEP_1)
	v_dual_sub_f32 v37, v39, v37 :: v_dual_fmac_f32 v40, 0xb102e308, v34
	v_dual_add_f32 v34, v35, v37 :: v_dual_add_f32 v35, v41, v40
	s_delay_alu instid0(VALU_DEP_1) | instskip(NEXT) | instid1(VALU_DEP_2)
	v_add_f32_e32 v37, v38, v34
	v_sub_f32_e32 v41, v35, v41
	s_delay_alu instid0(VALU_DEP_2) | instskip(NEXT) | instid1(VALU_DEP_2)
	v_dual_add_f32 v39, v35, v37 :: v_dual_sub_f32 v38, v37, v38
	v_sub_f32_e32 v40, v40, v41
	s_delay_alu instid0(VALU_DEP_2) | instskip(NEXT) | instid1(VALU_DEP_3)
	v_sub_f32_e32 v42, v39, v35
	v_sub_f32_e32 v34, v34, v38
	s_delay_alu instid0(VALU_DEP_2) | instskip(SKIP_1) | instid1(VALU_DEP_2)
	v_sub_f32_e32 v43, v39, v42
	v_sub_f32_e32 v37, v37, v42
	v_dual_add_f32 v38, v40, v34 :: v_dual_sub_f32 v35, v35, v43
	s_delay_alu instid0(VALU_DEP_1) | instskip(NEXT) | instid1(VALU_DEP_2)
	v_add_f32_e32 v35, v37, v35
	v_sub_f32_e32 v37, v38, v40
	s_delay_alu instid0(VALU_DEP_2) | instskip(NEXT) | instid1(VALU_DEP_2)
	v_add_f32_e32 v35, v38, v35
	v_sub_f32_e32 v38, v38, v37
	s_delay_alu instid0(VALU_DEP_2) | instskip(NEXT) | instid1(VALU_DEP_1)
	v_dual_sub_f32 v34, v34, v37 :: v_dual_add_f32 v41, v39, v35
	v_dual_sub_f32 v38, v40, v38 :: v_dual_sub_f32 v37, v41, v39
	s_delay_alu instid0(VALU_DEP_1) | instskip(NEXT) | instid1(VALU_DEP_1)
	v_dual_add_f32 v34, v34, v38 :: v_dual_sub_f32 v35, v35, v37
	v_add_f32_e32 v34, v34, v35
	s_delay_alu instid0(VALU_DEP_1) | instskip(NEXT) | instid1(VALU_DEP_1)
	v_add_f32_e32 v34, v41, v34
	v_cndmask_b32_e32 v34, v34, v36, vcc_lo
	v_cmp_ngt_f32_e32 vcc_lo, -1.0, v36
	s_delay_alu instid0(VALU_DEP_2) | instskip(SKIP_1) | instid1(VALU_DEP_2)
	v_cndmask_b32_e32 v34, 0x7fc00000, v34, vcc_lo
	v_cmp_neq_f32_e32 vcc_lo, -1.0, v36
	v_cndmask_b32_e32 v34, 0xff800000, v34, vcc_lo
	v_cmp_gt_f32_e64 vcc_lo, 0x33800000, |v36|
	s_delay_alu instid0(VALU_DEP_2)
	v_cndmask_b32_e32 v34, v34, v36, vcc_lo
.LBB57_626:                             ;   in Loop: Header=BB57_401 Depth=1
	s_and_not1_saveexec_b32 s33, s33
	s_cbranch_execz .LBB57_628
; %bb.627:                              ;   in Loop: Header=BB57_401 Depth=1
	v_sub_f32_e64 v34, 1.0, |v2|
	s_delay_alu instid0(VALU_DEP_1) | instskip(NEXT) | instid1(VALU_DEP_1)
	v_mul_f32_e32 v34, v34, v30
	v_mul_f32_e32 v35, 0x4f800000, v34
	v_cmp_gt_f32_e32 vcc_lo, 0xf800000, v34
	s_delay_alu instid0(VALU_DEP_2) | instskip(NEXT) | instid1(VALU_DEP_1)
	v_cndmask_b32_e32 v34, v34, v35, vcc_lo
	v_sqrt_f32_e32 v35, v34
	s_waitcnt_depctr 0xfff
	v_add_nc_u32_e32 v36, -1, v35
	v_add_nc_u32_e32 v37, 1, v35
	s_delay_alu instid0(VALU_DEP_2) | instskip(NEXT) | instid1(VALU_DEP_2)
	v_fma_f32 v38, -v36, v35, v34
	v_fma_f32 v39, -v37, v35, v34
	s_delay_alu instid0(VALU_DEP_2) | instskip(NEXT) | instid1(VALU_DEP_1)
	v_cmp_ge_f32_e64 s4, 0, v38
	v_cndmask_b32_e64 v35, v35, v36, s4
	s_delay_alu instid0(VALU_DEP_3) | instskip(NEXT) | instid1(VALU_DEP_1)
	v_cmp_lt_f32_e64 s4, 0, v39
	v_cndmask_b32_e64 v35, v35, v37, s4
	s_delay_alu instid0(VALU_DEP_1) | instskip(NEXT) | instid1(VALU_DEP_1)
	v_mul_f32_e32 v36, 0x37800000, v35
	v_cndmask_b32_e32 v35, v35, v36, vcc_lo
	v_cmp_class_f32_e64 vcc_lo, v34, 0x260
	v_and_b32_e32 v36, 0x7fffffff, v3
	s_delay_alu instid0(VALU_DEP_3) | instskip(NEXT) | instid1(VALU_DEP_1)
	v_cndmask_b32_e32 v34, v35, v34, vcc_lo
	v_div_scale_f32 v35, null, v34, v34, v36
	v_div_scale_f32 v36, vcc_lo, v36, v34, v36
	s_delay_alu instid0(VALU_DEP_2) | instskip(SKIP_2) | instid1(VALU_DEP_1)
	v_rcp_f32_e32 v37, v35
	s_waitcnt_depctr 0xfff
	v_fma_f32 v38, -v35, v37, 1.0
	v_fmac_f32_e32 v37, v38, v37
	s_delay_alu instid0(VALU_DEP_1) | instskip(NEXT) | instid1(VALU_DEP_1)
	v_mul_f32_e32 v38, v36, v37
	v_fma_f32 v39, -v35, v38, v36
	s_delay_alu instid0(VALU_DEP_1) | instskip(NEXT) | instid1(VALU_DEP_1)
	v_fmac_f32_e32 v38, v39, v37
	v_fma_f32 v35, -v35, v38, v36
	s_delay_alu instid0(VALU_DEP_1) | instskip(NEXT) | instid1(VALU_DEP_1)
	v_div_fmas_f32 v35, v35, v37, v38
	v_div_fixup_f32 v34, v35, v34, |v3|
.LBB57_628:                             ;   in Loop: Header=BB57_401 Depth=1
	s_or_b32 exec_lo, exec_lo, s33
.LBB57_629:                             ;   in Loop: Header=BB57_401 Depth=1
	s_delay_alu instid0(SALU_CYCLE_1)
	s_or_b32 exec_lo, exec_lo, s31
.LBB57_630:                             ;   in Loop: Header=BB57_401 Depth=1
	s_and_not1_saveexec_b32 s30, s30
	s_cbranch_execz .LBB57_632
; %bb.631:                              ;   in Loop: Header=BB57_401 Depth=1
	v_mul_f32_e64 v34, 0x4f800000, |v3|
	v_cmp_gt_f32_e64 vcc_lo, 0xf800000, |v3|
	s_delay_alu instid0(VALU_DEP_1) | instskip(NEXT) | instid1(VALU_DEP_1)
	v_cndmask_b32_e64 v34, |v3|, v34, vcc_lo
	v_sqrt_f32_e32 v35, v34
	s_waitcnt_depctr 0xfff
	v_add_nc_u32_e32 v36, -1, v35
	v_add_nc_u32_e32 v37, 1, v35
	s_delay_alu instid0(VALU_DEP_2) | instskip(NEXT) | instid1(VALU_DEP_2)
	v_fma_f32 v38, -v36, v35, v34
	v_fma_f32 v39, -v37, v35, v34
	s_delay_alu instid0(VALU_DEP_2) | instskip(NEXT) | instid1(VALU_DEP_1)
	v_cmp_ge_f32_e64 s4, 0, v38
	v_cndmask_b32_e64 v35, v35, v36, s4
	s_delay_alu instid0(VALU_DEP_3) | instskip(NEXT) | instid1(VALU_DEP_1)
	v_cmp_lt_f32_e64 s4, 0, v39
	v_cndmask_b32_e64 v35, v35, v37, s4
	s_delay_alu instid0(VALU_DEP_1) | instskip(NEXT) | instid1(VALU_DEP_1)
	v_mul_f32_e32 v36, 0x37800000, v35
	v_cndmask_b32_e32 v35, v35, v36, vcc_lo
	v_cmp_class_f32_e64 vcc_lo, v34, 0x260
	s_delay_alu instid0(VALU_DEP_2)
	v_cndmask_b32_e32 v34, v35, v34, vcc_lo
.LBB57_632:                             ;   in Loop: Header=BB57_401 Depth=1
	s_or_b32 exec_lo, exec_lo, s30
.LBB57_633:                             ;   in Loop: Header=BB57_401 Depth=1
	s_delay_alu instid0(SALU_CYCLE_1) | instskip(NEXT) | instid1(SALU_CYCLE_1)
	s_or_b32 exec_lo, exec_lo, s5
	s_mov_b32 s30, exec_lo
                                        ; implicit-def: $sgpr4
                                        ; implicit-def: $vgpr35
                                        ; implicit-def: $vgpr37
                                        ; implicit-def: $vgpr36
	v_cmpx_ngt_f32_e64 0x21000000, |v2|
	s_xor_b32 s30, exec_lo, s30
	s_cbranch_execz .LBB57_657
; %bb.634:                              ;   in Loop: Header=BB57_401 Depth=1
	v_and_b32_e32 v36, 0x7fffffff, v2
	s_mov_b32 s4, 0
	s_mov_b32 s31, exec_lo
	s_delay_alu instid0(VALU_DEP_1) | instskip(NEXT) | instid1(VALU_DEP_1)
	v_div_scale_f32 v35, null, v28, v28, v36
	v_rcp_f32_e32 v37, v35
	s_waitcnt_depctr 0xfff
	v_fma_f32 v38, -v35, v37, 1.0
	s_delay_alu instid0(VALU_DEP_1) | instskip(SKIP_1) | instid1(VALU_DEP_1)
	v_fmac_f32_e32 v37, v38, v37
	v_div_scale_f32 v38, vcc_lo, v36, v28, v36
	v_mul_f32_e32 v39, v38, v37
	s_delay_alu instid0(VALU_DEP_1) | instskip(NEXT) | instid1(VALU_DEP_1)
	v_fma_f32 v40, -v35, v39, v38
	v_fmac_f32_e32 v39, v40, v37
	s_delay_alu instid0(VALU_DEP_1) | instskip(NEXT) | instid1(VALU_DEP_1)
	v_fma_f32 v35, -v35, v39, v38
	v_div_fmas_f32 v35, v35, v37, v39
                                        ; implicit-def: $vgpr37
	s_delay_alu instid0(VALU_DEP_1) | instskip(NEXT) | instid1(VALU_DEP_1)
	v_div_fixup_f32 v35, v35, v28, |v2|
	v_cmpx_lt_f32_e32 0x3f244674, v35
	s_cbranch_execz .LBB57_656
; %bb.635:                              ;   in Loop: Header=BB57_401 Depth=1
	v_cmp_neq_f32_e64 s4, |v2|, 1.0
	v_cmp_ngt_f32_e64 s5, 0x30800000, |v3|
                                        ; implicit-def: $sgpr33
                                        ; implicit-def: $vgpr37
	s_delay_alu instid0(VALU_DEP_1) | instskip(NEXT) | instid1(SALU_CYCLE_1)
	s_or_b32 s4, s5, s4
	s_and_saveexec_b32 s5, s4
	s_delay_alu instid0(SALU_CYCLE_1)
	s_xor_b32 s5, exec_lo, s5
	s_cbranch_execz .LBB57_653
; %bb.636:                              ;   in Loop: Header=BB57_401 Depth=1
	v_mul_f32_e64 v37, 0x34000000, |v29|
                                        ; implicit-def: $sgpr33
	s_delay_alu instid0(VALU_DEP_1) | instskip(NEXT) | instid1(VALU_DEP_1)
	v_cmp_le_f32_e64 s4, v37, |v3|
                                        ; implicit-def: $vgpr37
	s_and_saveexec_b32 s34, s4
	s_delay_alu instid0(SALU_CYCLE_1)
	s_xor_b32 s34, exec_lo, s34
	s_cbranch_execz .LBB57_646
; %bb.637:                              ;   in Loop: Header=BB57_401 Depth=1
	v_mov_b32_e32 v37, v32
	s_mov_b32 s4, exec_lo
	v_cmpx_neq_f32_e32 0, v30
	s_cbranch_execz .LBB57_639
; %bb.638:                              ;   in Loop: Header=BB57_401 Depth=1
	v_dual_mul_f32 v37, v3, v3 :: v_dual_add_f32 v30, v30, v33
	s_delay_alu instid0(VALU_DEP_1) | instskip(NEXT) | instid1(VALU_DEP_1)
	v_div_scale_f32 v33, null, v30, v30, v37
	v_rcp_f32_e32 v38, v33
	s_waitcnt_depctr 0xfff
	v_fma_f32 v39, -v33, v38, 1.0
	s_delay_alu instid0(VALU_DEP_1) | instskip(SKIP_1) | instid1(VALU_DEP_1)
	v_fmac_f32_e32 v38, v39, v38
	v_div_scale_f32 v39, vcc_lo, v37, v30, v37
	v_mul_f32_e32 v40, v39, v38
	s_delay_alu instid0(VALU_DEP_1) | instskip(NEXT) | instid1(VALU_DEP_1)
	v_fma_f32 v41, -v33, v40, v39
	v_fmac_f32_e32 v40, v41, v38
	s_delay_alu instid0(VALU_DEP_1) | instskip(NEXT) | instid1(VALU_DEP_1)
	v_fma_f32 v33, -v33, v40, v39
	v_div_fmas_f32 v33, v33, v38, v40
	s_delay_alu instid0(VALU_DEP_1)
	v_div_fixup_f32 v37, v33, v30, v37
.LBB57_639:                             ;   in Loop: Header=BB57_401 Depth=1
	s_or_b32 exec_lo, exec_lo, s4
	s_delay_alu instid0(SALU_CYCLE_1)
	s_mov_b32 s4, exec_lo
	v_cmpx_ngt_f32_e32 0, v29
	s_xor_b32 s4, exec_lo, s4
	s_cbranch_execz .LBB57_643
; %bb.640:                              ;   in Loop: Header=BB57_401 Depth=1
	s_mov_b32 s33, exec_lo
	v_cmpx_neq_f32_e32 0, v29
	s_cbranch_execz .LBB57_642
; %bb.641:                              ;   in Loop: Header=BB57_401 Depth=1
	v_mul_f32_e32 v30, v3, v3
	v_add_f32_e32 v29, v29, v31
	s_delay_alu instid0(VALU_DEP_1) | instskip(NEXT) | instid1(VALU_DEP_1)
	v_div_scale_f32 v31, null, v29, v29, v30
	v_rcp_f32_e32 v32, v31
	s_waitcnt_depctr 0xfff
	v_fma_f32 v33, -v31, v32, 1.0
	s_delay_alu instid0(VALU_DEP_1) | instskip(SKIP_1) | instid1(VALU_DEP_1)
	v_fmac_f32_e32 v32, v33, v32
	v_div_scale_f32 v33, vcc_lo, v30, v29, v30
	v_mul_f32_e32 v38, v33, v32
	s_delay_alu instid0(VALU_DEP_1) | instskip(NEXT) | instid1(VALU_DEP_1)
	v_fma_f32 v39, -v31, v38, v33
	v_fmac_f32_e32 v38, v39, v32
	s_delay_alu instid0(VALU_DEP_1) | instskip(NEXT) | instid1(VALU_DEP_1)
	v_fma_f32 v31, -v31, v38, v33
	v_div_fmas_f32 v31, v31, v32, v38
	s_delay_alu instid0(VALU_DEP_1)
	v_div_fixup_f32 v32, v31, v29, v30
.LBB57_642:                             ;   in Loop: Header=BB57_401 Depth=1
	s_or_b32 exec_lo, exec_lo, s33
                                        ; implicit-def: $vgpr31
                                        ; implicit-def: $vgpr29
.LBB57_643:                             ;   in Loop: Header=BB57_401 Depth=1
	s_and_not1_saveexec_b32 s4, s4
; %bb.644:                              ;   in Loop: Header=BB57_401 Depth=1
	v_sub_f32_e32 v32, v31, v29
; %bb.645:                              ;   in Loop: Header=BB57_401 Depth=1
	s_or_b32 exec_lo, exec_lo, s4
	s_delay_alu instid0(VALU_DEP_1) | instskip(SKIP_2) | instid1(VALU_DEP_2)
	v_mul_f32_e32 v29, 0.5, v32
	v_add_f32_e64 v28, |v2|, v28
	s_mov_b32 s33, -1
	v_fmac_f32_e32 v29, 0.5, v37
	s_delay_alu instid0(VALU_DEP_1) | instskip(NEXT) | instid1(VALU_DEP_1)
	v_mul_f32_e32 v28, v28, v29
	v_mul_f32_e32 v29, 0x4f800000, v28
	v_cmp_gt_f32_e32 vcc_lo, 0xf800000, v28
	s_delay_alu instid0(VALU_DEP_2) | instskip(NEXT) | instid1(VALU_DEP_1)
	v_cndmask_b32_e32 v28, v28, v29, vcc_lo
	v_sqrt_f32_e32 v29, v28
	s_waitcnt_depctr 0xfff
	v_add_nc_u32_e32 v30, -1, v29
	v_add_nc_u32_e32 v31, 1, v29
	s_delay_alu instid0(VALU_DEP_2) | instskip(NEXT) | instid1(VALU_DEP_2)
	v_fma_f32 v32, -v30, v29, v28
	v_fma_f32 v33, -v31, v29, v28
	s_delay_alu instid0(VALU_DEP_2) | instskip(NEXT) | instid1(VALU_DEP_1)
	v_cmp_ge_f32_e64 s4, 0, v32
	v_cndmask_b32_e64 v29, v29, v30, s4
	s_delay_alu instid0(VALU_DEP_3) | instskip(NEXT) | instid1(VALU_DEP_1)
	v_cmp_lt_f32_e64 s4, 0, v33
	v_cndmask_b32_e64 v29, v29, v31, s4
	s_delay_alu instid0(VALU_DEP_1) | instskip(NEXT) | instid1(VALU_DEP_1)
	v_mul_f32_e32 v30, 0x37800000, v29
	v_cndmask_b32_e32 v29, v29, v30, vcc_lo
	v_cmp_class_f32_e64 vcc_lo, v28, 0x260
                                        ; implicit-def: $vgpr30
	s_delay_alu instid0(VALU_DEP_2)
	v_cndmask_b32_e32 v37, v29, v28, vcc_lo
                                        ; implicit-def: $vgpr29
.LBB57_646:                             ;   in Loop: Header=BB57_401 Depth=1
	s_and_not1_saveexec_b32 s34, s34
	s_cbranch_execz .LBB57_652
; %bb.647:                              ;   in Loop: Header=BB57_401 Depth=1
	s_mov_b32 s36, exec_lo
                                        ; implicit-def: $vgpr37
                                        ; implicit-def: $sgpr35
	v_cmpx_ngt_f32_e64 |v2|, 1.0
	s_xor_b32 s36, exec_lo, s36
	s_cbranch_execz .LBB57_649
; %bb.648:                              ;   in Loop: Header=BB57_401 Depth=1
	v_sub_f32_e64 v28, 1.0, |v2|
	s_mov_b32 s35, -1
	s_delay_alu instid0(VALU_DEP_1) | instskip(NEXT) | instid1(VALU_DEP_1)
	v_mul_f32_e32 v28, v28, v30
	v_mul_f32_e32 v29, 0x4f800000, v28
	v_cmp_gt_f32_e32 vcc_lo, 0xf800000, v28
	s_delay_alu instid0(VALU_DEP_2) | instskip(NEXT) | instid1(VALU_DEP_1)
	v_cndmask_b32_e32 v28, v28, v29, vcc_lo
	v_sqrt_f32_e32 v29, v28
	s_waitcnt_depctr 0xfff
	v_add_nc_u32_e32 v30, -1, v29
	v_add_nc_u32_e32 v31, 1, v29
	s_delay_alu instid0(VALU_DEP_2) | instskip(NEXT) | instid1(VALU_DEP_2)
	v_fma_f32 v32, -v30, v29, v28
	v_fma_f32 v33, -v31, v29, v28
	s_delay_alu instid0(VALU_DEP_2) | instskip(NEXT) | instid1(VALU_DEP_1)
	v_cmp_ge_f32_e64 s4, 0, v32
	v_cndmask_b32_e64 v29, v29, v30, s4
	s_delay_alu instid0(VALU_DEP_3) | instskip(NEXT) | instid1(VALU_DEP_1)
	v_cmp_lt_f32_e64 s4, 0, v33
	v_cndmask_b32_e64 v29, v29, v31, s4
	s_delay_alu instid0(VALU_DEP_1) | instskip(NEXT) | instid1(VALU_DEP_1)
	v_mul_f32_e32 v30, 0x37800000, v29
	v_cndmask_b32_e32 v29, v29, v30, vcc_lo
	v_cmp_class_f32_e64 vcc_lo, v28, 0x260
                                        ; implicit-def: $vgpr30
	s_delay_alu instid0(VALU_DEP_2)
	v_cndmask_b32_e32 v37, v29, v28, vcc_lo
                                        ; implicit-def: $vgpr29
.LBB57_649:                             ;   in Loop: Header=BB57_401 Depth=1
	s_and_not1_saveexec_b32 s36, s36
	s_cbranch_execz .LBB57_651
; %bb.650:                              ;   in Loop: Header=BB57_401 Depth=1
	v_mul_f32_e32 v28, v30, v29
	s_or_b32 s35, s35, exec_lo
	s_delay_alu instid0(VALU_DEP_1) | instskip(SKIP_1) | instid1(VALU_DEP_2)
	v_mul_f32_e32 v29, 0x4f800000, v28
	v_cmp_gt_f32_e32 vcc_lo, 0xf800000, v28
	v_cndmask_b32_e32 v28, v28, v29, vcc_lo
	s_delay_alu instid0(VALU_DEP_1) | instskip(SKIP_3) | instid1(VALU_DEP_2)
	v_sqrt_f32_e32 v29, v28
	s_waitcnt_depctr 0xfff
	v_add_nc_u32_e32 v30, -1, v29
	v_add_nc_u32_e32 v31, 1, v29
	v_fma_f32 v32, -v30, v29, v28
	s_delay_alu instid0(VALU_DEP_2) | instskip(NEXT) | instid1(VALU_DEP_2)
	v_fma_f32 v33, -v31, v29, v28
	v_cmp_ge_f32_e64 s4, 0, v32
	s_delay_alu instid0(VALU_DEP_1) | instskip(NEXT) | instid1(VALU_DEP_3)
	v_cndmask_b32_e64 v29, v29, v30, s4
	v_cmp_lt_f32_e64 s4, 0, v33
	s_delay_alu instid0(VALU_DEP_1) | instskip(SKIP_1) | instid1(VALU_DEP_2)
	v_cndmask_b32_e64 v29, v29, v31, s4
	v_mul_f32_e64 v31, 0x57800000, |v3|
	v_mul_f32_e32 v30, 0x37800000, v29
	s_delay_alu instid0(VALU_DEP_1) | instskip(SKIP_1) | instid1(VALU_DEP_4)
	v_cndmask_b32_e32 v29, v29, v30, vcc_lo
	v_cmp_class_f32_e64 vcc_lo, v28, 0x260
	v_mul_f32_e64 v30, |v2|, v31
	s_delay_alu instid0(VALU_DEP_3) | instskip(NEXT) | instid1(VALU_DEP_1)
	v_cndmask_b32_e32 v28, v29, v28, vcc_lo
	v_div_scale_f32 v29, null, v28, v28, v30
	v_div_scale_f32 v33, vcc_lo, v30, v28, v30
	s_delay_alu instid0(VALU_DEP_2) | instskip(SKIP_2) | instid1(VALU_DEP_1)
	v_rcp_f32_e32 v31, v29
	s_waitcnt_depctr 0xfff
	v_fma_f32 v32, -v29, v31, 1.0
	v_fmac_f32_e32 v31, v32, v31
	s_delay_alu instid0(VALU_DEP_1) | instskip(NEXT) | instid1(VALU_DEP_1)
	v_mul_f32_e32 v32, v33, v31
	v_fma_f32 v36, -v29, v32, v33
	s_delay_alu instid0(VALU_DEP_1) | instskip(SKIP_1) | instid1(VALU_DEP_2)
	v_fmac_f32_e32 v32, v36, v31
	v_mul_f32_e64 v36, 0x57800000, |v2|
	v_fma_f32 v29, -v29, v32, v33
	s_delay_alu instid0(VALU_DEP_1) | instskip(NEXT) | instid1(VALU_DEP_1)
	v_div_fmas_f32 v29, v29, v31, v32
	v_div_fixup_f32 v37, v29, v28, v30
.LBB57_651:                             ;   in Loop: Header=BB57_401 Depth=1
	s_or_b32 exec_lo, exec_lo, s36
	s_delay_alu instid0(SALU_CYCLE_1) | instskip(SKIP_1) | instid1(SALU_CYCLE_1)
	s_and_not1_b32 s4, s33, exec_lo
	s_and_b32 s33, s35, exec_lo
	s_or_b32 s33, s4, s33
.LBB57_652:                             ;   in Loop: Header=BB57_401 Depth=1
	s_or_b32 exec_lo, exec_lo, s34
	s_delay_alu instid0(SALU_CYCLE_1)
	s_and_b32 s33, s33, exec_lo
                                        ; implicit-def: $vgpr28
.LBB57_653:                             ;   in Loop: Header=BB57_401 Depth=1
	s_and_not1_saveexec_b32 s34, s5
	s_cbranch_execz .LBB57_655
; %bb.654:                              ;   in Loop: Header=BB57_401 Depth=1
	v_add_f32_e32 v28, 1.0, v28
	v_mul_f32_e64 v29, 0x4f800000, |v3|
	v_cmp_gt_f32_e64 vcc_lo, 0xf800000, |v3|
	s_or_b32 s33, s33, exec_lo
	s_delay_alu instid0(VALU_DEP_3) | instskip(NEXT) | instid1(VALU_DEP_2)
	v_mul_f32_e32 v28, 0.5, v28
	v_cndmask_b32_e64 v29, |v3|, v29, vcc_lo
	s_delay_alu instid0(VALU_DEP_2) | instskip(SKIP_1) | instid1(VALU_DEP_1)
	v_mul_f32_e32 v30, 0x4f800000, v28
	v_cmp_gt_f32_e64 s4, 0xf800000, v28
	v_cndmask_b32_e64 v28, v28, v30, s4
	s_delay_alu instid0(VALU_DEP_4) | instskip(NEXT) | instid1(VALU_DEP_1)
	v_sqrt_f32_e32 v30, v29
	v_sqrt_f32_e32 v31, v28
	s_waitcnt_depctr 0xfff
	v_add_nc_u32_e32 v32, -1, v30
	v_add_nc_u32_e32 v36, 1, v30
	v_add_nc_u32_e32 v33, -1, v31
	s_delay_alu instid0(VALU_DEP_3) | instskip(SKIP_1) | instid1(VALU_DEP_4)
	v_fma_f32 v37, -v32, v30, v29
	v_add_nc_u32_e32 v38, 1, v31
	v_fma_f32 v40, -v36, v30, v29
	s_delay_alu instid0(VALU_DEP_4) | instskip(NEXT) | instid1(VALU_DEP_4)
	v_fma_f32 v39, -v33, v31, v28
	v_cmp_ge_f32_e64 s5, 0, v37
	s_delay_alu instid0(VALU_DEP_1) | instskip(NEXT) | instid1(VALU_DEP_3)
	v_cndmask_b32_e64 v30, v30, v32, s5
	v_cmp_ge_f32_e64 s5, 0, v39
	v_fma_f32 v32, -v38, v31, v28
	s_delay_alu instid0(VALU_DEP_2) | instskip(SKIP_1) | instid1(VALU_DEP_1)
	v_cndmask_b32_e64 v31, v31, v33, s5
	v_cmp_lt_f32_e64 s5, 0, v40
	v_cndmask_b32_e64 v30, v30, v36, s5
	s_delay_alu instid0(VALU_DEP_4) | instskip(SKIP_1) | instid1(VALU_DEP_3)
	v_cmp_lt_f32_e64 s5, 0, v32
	v_mov_b32_e32 v36, 1.0
	v_mul_f32_e32 v32, 0x37800000, v30
	s_delay_alu instid0(VALU_DEP_3) | instskip(NEXT) | instid1(VALU_DEP_1)
	v_cndmask_b32_e64 v31, v31, v38, s5
	v_dual_cndmask_b32 v30, v30, v32 :: v_dual_mul_f32 v33, 0x37800000, v31
	v_cmp_class_f32_e64 vcc_lo, v29, 0x260
	s_delay_alu instid0(VALU_DEP_2) | instskip(NEXT) | instid1(VALU_DEP_3)
	v_cndmask_b32_e64 v31, v31, v33, s4
	v_cndmask_b32_e32 v29, v30, v29, vcc_lo
	v_cmp_class_f32_e64 vcc_lo, v28, 0x260
	s_delay_alu instid0(VALU_DEP_3) | instskip(NEXT) | instid1(VALU_DEP_1)
	v_cndmask_b32_e32 v28, v31, v28, vcc_lo
	v_mul_f32_e32 v37, v29, v28
.LBB57_655:                             ;   in Loop: Header=BB57_401 Depth=1
	s_or_b32 exec_lo, exec_lo, s34
	s_delay_alu instid0(SALU_CYCLE_1)
	s_and_b32 s4, s33, exec_lo
.LBB57_656:                             ;   in Loop: Header=BB57_401 Depth=1
	s_or_b32 exec_lo, exec_lo, s31
	s_delay_alu instid0(SALU_CYCLE_1)
	s_and_b32 s4, s4, exec_lo
                                        ; implicit-def: $vgpr28
.LBB57_657:                             ;   in Loop: Header=BB57_401 Depth=1
	s_and_not1_saveexec_b32 s5, s30
; %bb.658:                              ;   in Loop: Header=BB57_401 Depth=1
	v_mul_f32_e32 v37, 0x4b800000, v28
	v_mul_f32_e64 v36, 0x4b800000, |v2|
	s_or_b32 s4, s4, exec_lo
                                        ; implicit-def: $vgpr35
; %bb.659:                              ;   in Loop: Header=BB57_401 Depth=1
	s_or_b32 exec_lo, exec_lo, s5
	s_xor_b32 s4, s4, -1
                                        ; implicit-def: $vgpr28
	s_delay_alu instid0(SALU_CYCLE_1) | instskip(NEXT) | instid1(SALU_CYCLE_1)
	s_and_saveexec_b32 s5, s4
	s_xor_b32 s4, exec_lo, s5
	s_cbranch_execz .LBB57_661
; %bb.660:                              ;   in Loop: Header=BB57_401 Depth=1
	v_fma_f32 v28, |v35|, -0.5, 0.5
	v_mul_f32_e32 v29, v35, v35
	v_cmp_ge_f32_e64 vcc_lo, |v35|, 0.5
                                        ; implicit-def: $vgpr36
                                        ; implicit-def: $vgpr37
	s_delay_alu instid0(VALU_DEP_2) | instskip(SKIP_1) | instid1(VALU_DEP_2)
	v_cndmask_b32_e32 v28, v29, v28, vcc_lo
	v_cmp_lt_f32_e64 vcc_lo, |v35|, 0.5
	v_fmaak_f32 v29, s25, v28, 0x3c5fc5da
	v_sqrt_f32_e32 v30, v28
	s_delay_alu instid0(VALU_DEP_1) | instskip(NEXT) | instid1(VALU_DEP_1)
	v_fmaak_f32 v29, v28, v29, 0x3d034c3c
	v_fmaak_f32 v29, v28, v29, 0x3d3641b1
	s_delay_alu instid0(VALU_DEP_1) | instskip(NEXT) | instid1(VALU_DEP_1)
	v_fmaak_f32 v29, v28, v29, 0x3d999bc8
	v_fmaak_f32 v29, v28, v29, 0x3e2aaaac
	s_delay_alu instid0(VALU_DEP_1) | instskip(SKIP_3) | instid1(VALU_DEP_2)
	v_mul_f32_e32 v28, v28, v29
	s_waitcnt_depctr 0xfff
	v_fmac_f32_e32 v30, v30, v28
	v_fma_f32 v28, |v35|, v28, |v35|
	v_add_f32_e32 v29, v30, v30
	s_delay_alu instid0(VALU_DEP_1) | instskip(NEXT) | instid1(VALU_DEP_1)
	v_sub_f32_e32 v29, 0x3fc90fdb, v29
	v_cndmask_b32_e32 v28, v29, v28, vcc_lo
	s_delay_alu instid0(VALU_DEP_1)
	v_bfi_b32 v28, 0x7fffffff, v28, v35
.LBB57_661:                             ;   in Loop: Header=BB57_401 Depth=1
	s_and_not1_saveexec_b32 s30, s4
	s_cbranch_execz .LBB57_663
; %bb.662:                              ;   in Loop: Header=BB57_401 Depth=1
	v_max_f32_e32 v28, v36, v36
	v_max_f32_e64 v29, |v37|, |v37|
	v_cmp_gt_f32_e64 vcc_lo, v36, |v37|
	v_cmp_eq_f32_e64 s5, 0, v36
	v_cmp_class_f32_e64 s31, v37, 0x204
	v_cmp_eq_f32_e64 s4, 0x7f800000, v36
	v_max_f32_e32 v30, v29, v28
	v_min_f32_e32 v28, v29, v28
	s_delay_alu instid0(VALU_DEP_2) | instskip(SKIP_1) | instid1(VALU_DEP_2)
	v_frexp_mant_f32_e32 v31, v30
	v_frexp_exp_i32_f32_e32 v30, v30
	v_rcp_f32_e32 v29, v31
	s_delay_alu instid0(VALU_DEP_3) | instskip(SKIP_1) | instid1(VALU_DEP_2)
	v_frexp_exp_i32_f32_e32 v31, v28
	v_frexp_mant_f32_e32 v28, v28
	v_sub_nc_u32_e32 v30, v31, v30
	s_waitcnt_depctr 0xfff
	v_mul_f32_e32 v28, v28, v29
	s_delay_alu instid0(VALU_DEP_1) | instskip(NEXT) | instid1(VALU_DEP_1)
	v_ldexp_f32 v28, v28, v30
	v_mul_f32_e32 v29, v28, v28
	s_delay_alu instid0(VALU_DEP_1) | instskip(NEXT) | instid1(VALU_DEP_1)
	v_fmaak_f32 v30, s26, v29, 0xbc7a590c
	v_fmaak_f32 v30, v29, v30, 0x3d29fb3f
	s_delay_alu instid0(VALU_DEP_1) | instskip(NEXT) | instid1(VALU_DEP_1)
	v_fmaak_f32 v30, v29, v30, 0xbd97d4d7
	v_fmaak_f32 v30, v29, v30, 0x3dd931b2
	;; [unrolled: 3-line block ×3, first 2 shown]
	s_delay_alu instid0(VALU_DEP_1) | instskip(NEXT) | instid1(VALU_DEP_1)
	v_fmaak_f32 v30, v29, v30, 0xbeaaaa62
	v_mul_f32_e32 v29, v29, v30
	s_delay_alu instid0(VALU_DEP_1) | instskip(NEXT) | instid1(VALU_DEP_1)
	v_fmac_f32_e32 v28, v28, v29
	v_sub_f32_e32 v29, 0x3fc90fdb, v28
	s_delay_alu instid0(VALU_DEP_1) | instskip(SKIP_1) | instid1(VALU_DEP_2)
	v_cndmask_b32_e32 v28, v28, v29, vcc_lo
	v_cmp_gt_i32_e32 vcc_lo, 0, v37
	v_sub_f32_e32 v29, 0x40490fdb, v28
	v_cndmask_b32_e64 v30, 0, 0x40490fdb, vcc_lo
	v_cmp_gt_f32_e32 vcc_lo, 0, v37
	s_delay_alu instid0(VALU_DEP_3) | instskip(SKIP_2) | instid1(VALU_DEP_2)
	v_cndmask_b32_e32 v28, v28, v29, vcc_lo
	v_cndmask_b32_e32 v29, 0x3f490fdb, v27, vcc_lo
	s_and_b32 vcc_lo, s4, s31
	v_cndmask_b32_e64 v28, v28, v30, s5
	s_delay_alu instid0(VALU_DEP_1) | instskip(SKIP_1) | instid1(VALU_DEP_2)
	v_cndmask_b32_e32 v28, v28, v29, vcc_lo
	v_cmp_o_f32_e32 vcc_lo, v37, v36
	v_cndmask_b32_e64 v28, 0x7fc00000, |v28|, vcc_lo
.LBB57_663:                             ;   in Loop: Header=BB57_401 Depth=1
	s_or_b32 exec_lo, exec_lo, s30
	v_bfi_b32 v3, 0x7fffffff, v34, v3
	s_delay_alu instid0(VALU_DEP_2)
	v_bfi_b32 v2, 0x7fffffff, v28, v2
.LBB57_664:                             ;   in Loop: Header=BB57_401 Depth=1
	s_or_b32 exec_lo, exec_lo, s29
.LBB57_665:                             ;   in Loop: Header=BB57_401 Depth=1
	s_delay_alu instid0(SALU_CYCLE_1)
	s_or_b32 exec_lo, exec_lo, s28
                                        ; implicit-def: $vgpr28
                                        ; implicit-def: $vgpr30
                                        ; implicit-def: $vgpr29
.LBB57_666:                             ;   in Loop: Header=BB57_401 Depth=1
	s_and_not1_saveexec_b32 s27, s27
	s_cbranch_execz .LBB57_688
; %bb.667:                              ;   in Loop: Header=BB57_401 Depth=1
                                        ; implicit-def: $vgpr31
                                        ; implicit-def: $vgpr32
	s_mov_b32 s4, exec_lo
	v_cmpx_lt_i32_e32 -1, v3
	s_xor_b32 s28, exec_lo, s4
	s_cbranch_execz .LBB57_677
; %bb.668:                              ;   in Loop: Header=BB57_401 Depth=1
	v_cmp_lt_f32_e64 s4, |v3|, |v2|
                                        ; implicit-def: $vgpr31
                                        ; implicit-def: $vgpr32
	s_mov_b32 s5, exec_lo
	s_delay_alu instid0(VALU_DEP_1) | instskip(NEXT) | instid1(VALU_DEP_1)
	v_cndmask_b32_e64 v33, |v3|, |v2|, s4
	v_cmpx_nlt_f32_e32 0x7effffff, v33
	s_xor_b32 s29, exec_lo, s5
	s_cbranch_execz .LBB57_674
; %bb.669:                              ;   in Loop: Header=BB57_401 Depth=1
	v_cndmask_b32_e64 v34, |v2|, |v3|, s4
	v_cmp_nlt_f32_e32 vcc_lo, 0x5e000000, v33
                                        ; implicit-def: $vgpr31
                                        ; implicit-def: $vgpr32
	s_delay_alu instid0(VALU_DEP_2) | instskip(NEXT) | instid1(VALU_DEP_1)
	v_cmp_ngt_f32_e64 s5, 0x20000000, v34
	s_and_b32 s5, vcc_lo, s5
	s_delay_alu instid0(SALU_CYCLE_1) | instskip(NEXT) | instid1(SALU_CYCLE_1)
	s_and_saveexec_b32 s30, s5
	s_xor_b32 s30, exec_lo, s30
	s_cbranch_execz .LBB57_671
; %bb.670:                              ;   in Loop: Header=BB57_401 Depth=1
	s_waitcnt lgkmcnt(0)
	v_frexp_mant_f32_e32 v31, v29
	v_min_f32_e32 v28, v28, v30
	v_frexp_exp_i32_f32_e32 v29, v29
	s_delay_alu instid0(VALU_DEP_3) | instskip(SKIP_1) | instid1(VALU_DEP_1)
	v_rcp_f32_e32 v30, v31
	v_mul_f32_e32 v31, v34, v34
	v_fmac_f32_e32 v31, v33, v33
	v_frexp_mant_f32_e32 v32, v28
	v_frexp_exp_i32_f32_e32 v28, v28
	s_delay_alu instid0(VALU_DEP_3) | instskip(SKIP_4) | instid1(VALU_DEP_2)
	v_cmp_gt_f32_e32 vcc_lo, 0x800000, v31
	s_waitcnt_depctr 0xfff
	v_mul_f32_e32 v30, v32, v30
	v_sub_nc_u32_e32 v28, v28, v29
	v_cndmask_b32_e64 v29, 1.0, 0x4f800000, vcc_lo
	v_ldexp_f32 v32, v30, v28
	s_delay_alu instid0(VALU_DEP_1) | instskip(NEXT) | instid1(VALU_DEP_1)
	v_dual_mul_f32 v28, v31, v29 :: v_dual_mul_f32 v29, v32, v32
	v_log_f32_e32 v28, v28
	s_delay_alu instid0(VALU_DEP_1) | instskip(SKIP_3) | instid1(VALU_DEP_2)
	v_fmaak_f32 v30, s26, v29, 0xbc7a590c
	s_waitcnt_depctr 0xfff
	v_mul_f32_e32 v31, 0x3f317217, v28
	v_cmp_gt_f32_e64 s5, 0x7f800000, |v28|
	v_fma_f32 v33, 0x3f317217, v28, -v31
	s_delay_alu instid0(VALU_DEP_1) | instskip(NEXT) | instid1(VALU_DEP_1)
	v_fmac_f32_e32 v33, 0x3377d1cf, v28
	v_dual_fmaak_f32 v30, v29, v30, 0x3d29fb3f :: v_dual_add_f32 v31, v31, v33
	s_delay_alu instid0(VALU_DEP_1) | instskip(SKIP_1) | instid1(VALU_DEP_1)
	v_cndmask_b32_e64 v28, v28, v31, s5
	v_cndmask_b32_e64 v31, 0, 0x41b17218, vcc_lo
	v_sub_f32_e32 v28, v28, v31
	s_delay_alu instid0(VALU_DEP_1) | instskip(NEXT) | instid1(VALU_DEP_1)
	v_dual_fmaak_f32 v30, v29, v30, 0xbd97d4d7 :: v_dual_mul_f32 v31, 0.5, v28
	v_fmaak_f32 v30, v29, v30, 0x3dd931b2
                                        ; implicit-def: $vgpr28
	s_delay_alu instid0(VALU_DEP_1) | instskip(NEXT) | instid1(VALU_DEP_1)
	v_fmaak_f32 v30, v29, v30, 0xbe1160e6
	v_fmaak_f32 v30, v29, v30, 0x3e4cb8bf
	s_delay_alu instid0(VALU_DEP_1) | instskip(NEXT) | instid1(VALU_DEP_1)
	v_fmaak_f32 v30, v29, v30, 0xbeaaaa62
	v_mul_f32_e32 v29, v29, v30
                                        ; implicit-def: $vgpr30
	s_delay_alu instid0(VALU_DEP_1)
	v_fmac_f32_e32 v32, v32, v29
                                        ; implicit-def: $vgpr29
.LBB57_671:                             ;   in Loop: Header=BB57_401 Depth=1
	s_and_not1_saveexec_b32 s5, s30
	s_cbranch_execz .LBB57_673
; %bb.672:                              ;   in Loop: Header=BB57_401 Depth=1
	s_waitcnt lgkmcnt(0)
	v_cvt_f64_f32_e32 v[31:32], v29
	v_cmp_neq_f32_e32 vcc_lo, 0x7f800000, v29
	v_min_f32_e32 v28, v28, v30
	s_delay_alu instid0(VALU_DEP_1) | instskip(SKIP_2) | instid1(VALU_DEP_1)
	v_frexp_exp_i32_f32_e32 v34, v28
	v_frexp_mant_f32_e32 v28, v28
	v_frexp_exp_i32_f64_e32 v31, v[31:32]
	v_sub_nc_u32_e32 v32, 0, v31
	s_delay_alu instid0(VALU_DEP_1) | instskip(SKIP_1) | instid1(VALU_DEP_2)
	v_ldexp_f32 v33, |v2|, v32
	v_ldexp_f32 v32, |v3|, v32
	v_mul_f32_e32 v33, v33, v33
	s_delay_alu instid0(VALU_DEP_1) | instskip(SKIP_1) | instid1(VALU_DEP_2)
	v_fmac_f32_e32 v33, v32, v32
	v_frexp_mant_f32_e32 v32, v29
	v_sqrt_f32_e32 v33, v33
	s_delay_alu instid0(VALU_DEP_1) | instskip(SKIP_1) | instid1(VALU_DEP_1)
	v_rcp_f32_e32 v30, v32
	v_frexp_exp_i32_f32_e32 v32, v29
	v_sub_nc_u32_e32 v32, v34, v32
	s_waitcnt_depctr 0xfff
	v_ldexp_f32 v31, v33, v31
	s_delay_alu instid0(VALU_DEP_1) | instskip(NEXT) | instid1(VALU_DEP_1)
	v_dual_mul_f32 v28, v28, v30 :: v_dual_cndmask_b32 v29, 0x7f800000, v31
	v_ldexp_f32 v32, v28, v32
	s_delay_alu instid0(VALU_DEP_2) | instskip(SKIP_1) | instid1(VALU_DEP_1)
	v_cmp_gt_f32_e32 vcc_lo, 0x800000, v29
	v_cndmask_b32_e64 v28, 1.0, 0x4f800000, vcc_lo
	v_mul_f32_e32 v28, v29, v28
	s_delay_alu instid0(VALU_DEP_1) | instskip(SKIP_2) | instid1(VALU_DEP_1)
	v_log_f32_e32 v28, v28
	s_waitcnt_depctr 0xfff
	v_mul_f32_e32 v31, 0x3f317217, v28
	v_fma_f32 v33, 0x3f317217, v28, -v31
	s_delay_alu instid0(VALU_DEP_1) | instskip(NEXT) | instid1(VALU_DEP_1)
	v_fmac_f32_e32 v33, 0x3377d1cf, v28
	v_dual_mul_f32 v30, v32, v32 :: v_dual_add_f32 v31, v31, v33
	s_delay_alu instid0(VALU_DEP_1) | instskip(SKIP_2) | instid1(VALU_DEP_3)
	v_fmaak_f32 v29, s26, v30, 0xbc7a590c
	v_cndmask_b32_e64 v33, 0, 0x41b17218, vcc_lo
	v_cmp_gt_f32_e64 vcc_lo, 0x7f800000, |v28|
	v_dual_fmaak_f32 v29, v30, v29, 0x3d29fb3f :: v_dual_cndmask_b32 v28, v28, v31
	s_delay_alu instid0(VALU_DEP_1) | instskip(NEXT) | instid1(VALU_DEP_2)
	v_fmaak_f32 v29, v30, v29, 0xbd97d4d7
	v_sub_f32_e32 v31, v28, v33
	s_delay_alu instid0(VALU_DEP_2) | instskip(NEXT) | instid1(VALU_DEP_1)
	v_fmaak_f32 v29, v30, v29, 0x3dd931b2
	v_fmaak_f32 v29, v30, v29, 0xbe1160e6
	s_delay_alu instid0(VALU_DEP_1) | instskip(NEXT) | instid1(VALU_DEP_1)
	v_fmaak_f32 v29, v30, v29, 0x3e4cb8bf
	v_fmaak_f32 v29, v30, v29, 0xbeaaaa62
	s_delay_alu instid0(VALU_DEP_1) | instskip(NEXT) | instid1(VALU_DEP_1)
	v_mul_f32_e32 v29, v30, v29
	v_fmac_f32_e32 v32, v32, v29
.LBB57_673:                             ;   in Loop: Header=BB57_401 Depth=1
	s_or_b32 exec_lo, exec_lo, s5
                                        ; implicit-def: $vgpr28
                                        ; implicit-def: $vgpr30
                                        ; implicit-def: $vgpr29
.LBB57_674:                             ;   in Loop: Header=BB57_401 Depth=1
	s_and_not1_saveexec_b32 s29, s29
	s_cbranch_execz .LBB57_676
; %bb.675:                              ;   in Loop: Header=BB57_401 Depth=1
	v_div_scale_f32 v31, null, 0x402df854, 0x402df854, v3
	v_div_scale_f32 v32, null, 0x402df854, 0x402df854, v2
	v_div_scale_f32 v37, vcc_lo, v3, 0x402df854, v3
	s_delay_alu instid0(VALU_DEP_3) | instskip(NEXT) | instid1(VALU_DEP_2)
	v_rcp_f32_e32 v33, v31
	v_rcp_f32_e32 v34, v32
	v_min_f32_e32 v28, v28, v30
	s_waitcnt_depctr 0xfff
	v_fma_f32 v35, -v31, v33, 1.0
	v_fma_f32 v36, -v32, v34, 1.0
	s_delay_alu instid0(VALU_DEP_1) | instskip(SKIP_1) | instid1(VALU_DEP_2)
	v_dual_fmac_f32 v33, v35, v33 :: v_dual_fmac_f32 v34, v36, v34
	v_div_scale_f32 v35, s5, v2, 0x402df854, v2
	v_mul_f32_e32 v36, v37, v33
	s_delay_alu instid0(VALU_DEP_2) | instskip(NEXT) | instid1(VALU_DEP_2)
	v_mul_f32_e32 v38, v35, v34
	v_fma_f32 v39, -v31, v36, v37
	s_delay_alu instid0(VALU_DEP_2) | instskip(NEXT) | instid1(VALU_DEP_2)
	v_fma_f32 v40, -v32, v38, v35
	v_fmac_f32_e32 v36, v39, v33
	s_delay_alu instid0(VALU_DEP_2) | instskip(NEXT) | instid1(VALU_DEP_2)
	v_fmac_f32_e32 v38, v40, v34
	v_fma_f32 v31, -v31, v36, v37
	s_delay_alu instid0(VALU_DEP_2) | instskip(NEXT) | instid1(VALU_DEP_2)
	v_fma_f32 v32, -v32, v38, v35
	v_div_fmas_f32 v31, v31, v33, v36
	s_mov_b32 vcc_lo, s5
	s_delay_alu instid0(VALU_DEP_2) | instskip(NEXT) | instid1(VALU_DEP_2)
	v_div_fmas_f32 v32, v32, v34, v38
	v_div_fixup_f32 v33, v31, 0x402df854, v3
	s_delay_alu instid0(VALU_DEP_2) | instskip(NEXT) | instid1(VALU_DEP_1)
	v_div_fixup_f32 v34, v32, 0x402df854, v2
	v_max_f32_e64 v35, |v33|, |v34|
	s_delay_alu instid0(VALU_DEP_1) | instskip(SKIP_1) | instid1(VALU_DEP_2)
	v_cvt_f64_f32_e32 v[31:32], v35
	v_cmp_neq_f32_e32 vcc_lo, 0x7f800000, v35
	v_frexp_exp_i32_f64_e32 v31, v[31:32]
	s_delay_alu instid0(VALU_DEP_1) | instskip(NEXT) | instid1(VALU_DEP_1)
	v_sub_nc_u32_e32 v32, 0, v31
	v_ldexp_f32 v34, |v34|, v32
	v_ldexp_f32 v32, |v33|, v32
	s_delay_alu instid0(VALU_DEP_2) | instskip(NEXT) | instid1(VALU_DEP_1)
	v_mul_f32_e32 v33, v34, v34
	v_fmac_f32_e32 v33, v32, v32
	s_delay_alu instid0(VALU_DEP_1) | instskip(SKIP_3) | instid1(VALU_DEP_2)
	v_sqrt_f32_e32 v32, v33
	s_waitcnt lgkmcnt(0)
	v_frexp_mant_f32_e32 v33, v29
	v_frexp_exp_i32_f32_e32 v29, v29
	v_rcp_f32_e32 v30, v33
	s_waitcnt_depctr 0xfff
	v_ldexp_f32 v31, v32, v31
	v_frexp_exp_i32_f32_e32 v32, v28
	v_frexp_mant_f32_e32 v28, v28
	s_delay_alu instid0(VALU_DEP_3) | instskip(NEXT) | instid1(VALU_DEP_3)
	v_cndmask_b32_e32 v31, 0x7f800000, v31, vcc_lo
	v_sub_nc_u32_e32 v29, v32, v29
	s_delay_alu instid0(VALU_DEP_3) | instskip(NEXT) | instid1(VALU_DEP_3)
	v_mul_f32_e32 v28, v28, v30
	v_cmp_gt_f32_e32 vcc_lo, 0x800000, v31
	s_delay_alu instid0(VALU_DEP_2) | instskip(SKIP_1) | instid1(VALU_DEP_1)
	v_ldexp_f32 v32, v28, v29
	v_cndmask_b32_e64 v30, 1.0, 0x4f800000, vcc_lo
	v_dual_mul_f32 v29, v32, v32 :: v_dual_mul_f32 v28, v31, v30
	s_delay_alu instid0(VALU_DEP_1) | instskip(SKIP_2) | instid1(VALU_DEP_1)
	v_log_f32_e32 v28, v28
	s_waitcnt_depctr 0xfff
	v_mul_f32_e32 v31, 0x3f317217, v28
	v_fma_f32 v33, 0x3f317217, v28, -v31
	s_delay_alu instid0(VALU_DEP_1) | instskip(NEXT) | instid1(VALU_DEP_1)
	v_fmac_f32_e32 v33, 0x3377d1cf, v28
	v_add_f32_e32 v31, v31, v33
	v_cndmask_b32_e64 v33, 0, 0x41b17218, vcc_lo
	v_cmp_gt_f32_e64 vcc_lo, 0x7f800000, |v28|
	s_delay_alu instid0(VALU_DEP_3) | instskip(NEXT) | instid1(VALU_DEP_1)
	v_cndmask_b32_e32 v28, v28, v31, vcc_lo
	v_sub_f32_e32 v28, v28, v33
	s_delay_alu instid0(VALU_DEP_1) | instskip(NEXT) | instid1(VALU_DEP_1)
	v_dual_fmaak_f32 v30, s26, v29, 0xbc7a590c :: v_dual_add_f32 v31, 1.0, v28
	v_fmaak_f32 v30, v29, v30, 0x3d29fb3f
	s_delay_alu instid0(VALU_DEP_1) | instskip(NEXT) | instid1(VALU_DEP_1)
	v_fmaak_f32 v30, v29, v30, 0xbd97d4d7
	v_fmaak_f32 v30, v29, v30, 0x3dd931b2
	s_delay_alu instid0(VALU_DEP_1) | instskip(NEXT) | instid1(VALU_DEP_1)
	v_fmaak_f32 v30, v29, v30, 0xbe1160e6
	;; [unrolled: 3-line block ×3, first 2 shown]
	v_mul_f32_e32 v29, v29, v30
	s_delay_alu instid0(VALU_DEP_1)
	v_fmac_f32_e32 v32, v32, v29
.LBB57_676:                             ;   in Loop: Header=BB57_401 Depth=1
	s_or_b32 exec_lo, exec_lo, s29
	s_delay_alu instid0(VALU_DEP_1) | instskip(NEXT) | instid1(VALU_DEP_1)
	v_sub_f32_e32 v28, 0x3fc90fdb, v32
                                        ; implicit-def: $vgpr30
                                        ; implicit-def: $vgpr29
	v_cndmask_b32_e64 v32, v32, v28, s4
                                        ; implicit-def: $vgpr28
.LBB57_677:                             ;   in Loop: Header=BB57_401 Depth=1
	s_and_not1_saveexec_b32 s28, s28
	s_cbranch_execz .LBB57_687
; %bb.678:                              ;   in Loop: Header=BB57_401 Depth=1
	v_cmp_lt_f32_e64 s4, |v3|, |v2|
                                        ; implicit-def: $vgpr31
                                        ; implicit-def: $vgpr32
	s_mov_b32 s5, exec_lo
	s_delay_alu instid0(VALU_DEP_1) | instskip(NEXT) | instid1(VALU_DEP_1)
	v_cndmask_b32_e64 v33, |v3|, |v2|, s4
	v_cmpx_nlt_f32_e32 0x7effffff, v33
	s_xor_b32 s29, exec_lo, s5
	s_cbranch_execz .LBB57_684
; %bb.679:                              ;   in Loop: Header=BB57_401 Depth=1
	v_cndmask_b32_e64 v34, |v2|, |v3|, s4
	v_cmp_nlt_f32_e32 vcc_lo, 0x5e000000, v33
                                        ; implicit-def: $vgpr31
                                        ; implicit-def: $vgpr32
	s_delay_alu instid0(VALU_DEP_2) | instskip(NEXT) | instid1(VALU_DEP_1)
	v_cmp_ngt_f32_e64 s5, 0x20000000, v34
	s_and_b32 s5, vcc_lo, s5
	s_delay_alu instid0(SALU_CYCLE_1) | instskip(NEXT) | instid1(SALU_CYCLE_1)
	s_and_saveexec_b32 s30, s5
	s_xor_b32 s30, exec_lo, s30
	s_cbranch_execz .LBB57_681
; %bb.680:                              ;   in Loop: Header=BB57_401 Depth=1
	s_waitcnt lgkmcnt(0)
	v_frexp_mant_f32_e32 v31, v29
	v_min_f32_e32 v28, v28, v30
	v_frexp_exp_i32_f32_e32 v29, v29
	s_delay_alu instid0(VALU_DEP_3) | instskip(SKIP_1) | instid1(VALU_DEP_1)
	v_rcp_f32_e32 v30, v31
	v_mul_f32_e32 v31, v34, v34
	v_fmac_f32_e32 v31, v33, v33
	v_frexp_mant_f32_e32 v32, v28
	v_frexp_exp_i32_f32_e32 v28, v28
	s_delay_alu instid0(VALU_DEP_3) | instskip(SKIP_4) | instid1(VALU_DEP_2)
	v_cmp_gt_f32_e32 vcc_lo, 0x800000, v31
	s_waitcnt_depctr 0xfff
	v_mul_f32_e32 v30, v32, v30
	v_sub_nc_u32_e32 v28, v28, v29
	v_cndmask_b32_e64 v29, 1.0, 0x4f800000, vcc_lo
	v_ldexp_f32 v32, v30, v28
	s_delay_alu instid0(VALU_DEP_1) | instskip(NEXT) | instid1(VALU_DEP_1)
	v_dual_mul_f32 v28, v31, v29 :: v_dual_mul_f32 v29, v32, v32
	v_log_f32_e32 v28, v28
	s_delay_alu instid0(VALU_DEP_1) | instskip(SKIP_3) | instid1(VALU_DEP_2)
	v_fmaak_f32 v30, s26, v29, 0xbc7a590c
	s_waitcnt_depctr 0xfff
	v_mul_f32_e32 v31, 0x3f317217, v28
	v_cmp_gt_f32_e64 s5, 0x7f800000, |v28|
	v_fma_f32 v33, 0x3f317217, v28, -v31
	s_delay_alu instid0(VALU_DEP_1) | instskip(NEXT) | instid1(VALU_DEP_1)
	v_fmac_f32_e32 v33, 0x3377d1cf, v28
	v_dual_fmaak_f32 v30, v29, v30, 0x3d29fb3f :: v_dual_add_f32 v31, v31, v33
	s_delay_alu instid0(VALU_DEP_1) | instskip(SKIP_1) | instid1(VALU_DEP_1)
	v_cndmask_b32_e64 v28, v28, v31, s5
	v_cndmask_b32_e64 v31, 0, 0x41b17218, vcc_lo
	v_sub_f32_e32 v28, v28, v31
	s_delay_alu instid0(VALU_DEP_1) | instskip(NEXT) | instid1(VALU_DEP_1)
	v_dual_fmaak_f32 v30, v29, v30, 0xbd97d4d7 :: v_dual_mul_f32 v31, 0.5, v28
	v_fmaak_f32 v30, v29, v30, 0x3dd931b2
                                        ; implicit-def: $vgpr28
	s_delay_alu instid0(VALU_DEP_1) | instskip(NEXT) | instid1(VALU_DEP_1)
	v_fmaak_f32 v30, v29, v30, 0xbe1160e6
	v_fmaak_f32 v30, v29, v30, 0x3e4cb8bf
	s_delay_alu instid0(VALU_DEP_1) | instskip(NEXT) | instid1(VALU_DEP_1)
	v_fmaak_f32 v30, v29, v30, 0xbeaaaa62
	v_mul_f32_e32 v29, v29, v30
                                        ; implicit-def: $vgpr30
	s_delay_alu instid0(VALU_DEP_1)
	v_fmac_f32_e32 v32, v32, v29
                                        ; implicit-def: $vgpr29
.LBB57_681:                             ;   in Loop: Header=BB57_401 Depth=1
	s_and_not1_saveexec_b32 s5, s30
	s_cbranch_execz .LBB57_683
; %bb.682:                              ;   in Loop: Header=BB57_401 Depth=1
	s_waitcnt lgkmcnt(0)
	v_cvt_f64_f32_e32 v[31:32], v29
	v_cmp_neq_f32_e32 vcc_lo, 0x7f800000, v29
	v_min_f32_e32 v28, v28, v30
	s_delay_alu instid0(VALU_DEP_1) | instskip(SKIP_2) | instid1(VALU_DEP_1)
	v_frexp_exp_i32_f32_e32 v34, v28
	v_frexp_mant_f32_e32 v28, v28
	v_frexp_exp_i32_f64_e32 v31, v[31:32]
	v_sub_nc_u32_e32 v32, 0, v31
	s_delay_alu instid0(VALU_DEP_1) | instskip(SKIP_1) | instid1(VALU_DEP_2)
	v_ldexp_f32 v33, |v2|, v32
	v_ldexp_f32 v32, |v3|, v32
	v_mul_f32_e32 v33, v33, v33
	s_delay_alu instid0(VALU_DEP_1) | instskip(SKIP_1) | instid1(VALU_DEP_2)
	v_fmac_f32_e32 v33, v32, v32
	v_frexp_mant_f32_e32 v32, v29
	v_sqrt_f32_e32 v33, v33
	s_delay_alu instid0(VALU_DEP_1) | instskip(SKIP_1) | instid1(VALU_DEP_1)
	v_rcp_f32_e32 v30, v32
	v_frexp_exp_i32_f32_e32 v32, v29
	v_sub_nc_u32_e32 v32, v34, v32
	s_waitcnt_depctr 0xfff
	v_ldexp_f32 v31, v33, v31
	s_delay_alu instid0(VALU_DEP_1) | instskip(NEXT) | instid1(VALU_DEP_1)
	v_dual_mul_f32 v28, v28, v30 :: v_dual_cndmask_b32 v29, 0x7f800000, v31
	v_ldexp_f32 v32, v28, v32
	s_delay_alu instid0(VALU_DEP_2) | instskip(SKIP_1) | instid1(VALU_DEP_1)
	v_cmp_gt_f32_e32 vcc_lo, 0x800000, v29
	v_cndmask_b32_e64 v28, 1.0, 0x4f800000, vcc_lo
	v_mul_f32_e32 v28, v29, v28
	s_delay_alu instid0(VALU_DEP_1) | instskip(SKIP_2) | instid1(VALU_DEP_1)
	v_log_f32_e32 v28, v28
	s_waitcnt_depctr 0xfff
	v_mul_f32_e32 v31, 0x3f317217, v28
	v_fma_f32 v33, 0x3f317217, v28, -v31
	s_delay_alu instid0(VALU_DEP_1) | instskip(NEXT) | instid1(VALU_DEP_1)
	v_fmac_f32_e32 v33, 0x3377d1cf, v28
	v_dual_mul_f32 v30, v32, v32 :: v_dual_add_f32 v31, v31, v33
	s_delay_alu instid0(VALU_DEP_1) | instskip(SKIP_2) | instid1(VALU_DEP_3)
	v_fmaak_f32 v29, s26, v30, 0xbc7a590c
	v_cndmask_b32_e64 v33, 0, 0x41b17218, vcc_lo
	v_cmp_gt_f32_e64 vcc_lo, 0x7f800000, |v28|
	v_dual_fmaak_f32 v29, v30, v29, 0x3d29fb3f :: v_dual_cndmask_b32 v28, v28, v31
	s_delay_alu instid0(VALU_DEP_1) | instskip(NEXT) | instid1(VALU_DEP_2)
	v_fmaak_f32 v29, v30, v29, 0xbd97d4d7
	v_sub_f32_e32 v31, v28, v33
	s_delay_alu instid0(VALU_DEP_2) | instskip(NEXT) | instid1(VALU_DEP_1)
	v_fmaak_f32 v29, v30, v29, 0x3dd931b2
	v_fmaak_f32 v29, v30, v29, 0xbe1160e6
	s_delay_alu instid0(VALU_DEP_1) | instskip(NEXT) | instid1(VALU_DEP_1)
	v_fmaak_f32 v29, v30, v29, 0x3e4cb8bf
	v_fmaak_f32 v29, v30, v29, 0xbeaaaa62
	s_delay_alu instid0(VALU_DEP_1) | instskip(NEXT) | instid1(VALU_DEP_1)
	v_mul_f32_e32 v29, v30, v29
	v_fmac_f32_e32 v32, v32, v29
.LBB57_683:                             ;   in Loop: Header=BB57_401 Depth=1
	s_or_b32 exec_lo, exec_lo, s5
                                        ; implicit-def: $vgpr28
                                        ; implicit-def: $vgpr30
                                        ; implicit-def: $vgpr29
.LBB57_684:                             ;   in Loop: Header=BB57_401 Depth=1
	s_and_not1_saveexec_b32 s29, s29
	s_cbranch_execz .LBB57_686
; %bb.685:                              ;   in Loop: Header=BB57_401 Depth=1
	v_div_scale_f32 v31, null, 0xc02df854, 0xc02df854, v3
	v_div_scale_f32 v32, null, 0xc02df854, 0xc02df854, v2
	v_div_scale_f32 v37, vcc_lo, v3, 0xc02df854, v3
	s_delay_alu instid0(VALU_DEP_3) | instskip(NEXT) | instid1(VALU_DEP_2)
	v_rcp_f32_e32 v33, v31
	v_rcp_f32_e32 v34, v32
	v_min_f32_e32 v28, v28, v30
	s_waitcnt_depctr 0xfff
	v_fma_f32 v35, -v31, v33, 1.0
	v_fma_f32 v36, -v32, v34, 1.0
	s_delay_alu instid0(VALU_DEP_1) | instskip(SKIP_1) | instid1(VALU_DEP_2)
	v_dual_fmac_f32 v33, v35, v33 :: v_dual_fmac_f32 v34, v36, v34
	v_div_scale_f32 v35, s5, v2, 0xc02df854, v2
	v_mul_f32_e32 v36, v37, v33
	s_delay_alu instid0(VALU_DEP_2) | instskip(NEXT) | instid1(VALU_DEP_2)
	v_mul_f32_e32 v38, v35, v34
	v_fma_f32 v39, -v31, v36, v37
	s_delay_alu instid0(VALU_DEP_2) | instskip(NEXT) | instid1(VALU_DEP_2)
	v_fma_f32 v40, -v32, v38, v35
	v_fmac_f32_e32 v36, v39, v33
	s_delay_alu instid0(VALU_DEP_2) | instskip(NEXT) | instid1(VALU_DEP_2)
	v_fmac_f32_e32 v38, v40, v34
	v_fma_f32 v31, -v31, v36, v37
	s_delay_alu instid0(VALU_DEP_2) | instskip(NEXT) | instid1(VALU_DEP_2)
	v_fma_f32 v32, -v32, v38, v35
	v_div_fmas_f32 v31, v31, v33, v36
	s_mov_b32 vcc_lo, s5
	s_delay_alu instid0(VALU_DEP_2) | instskip(NEXT) | instid1(VALU_DEP_2)
	v_div_fmas_f32 v32, v32, v34, v38
	v_div_fixup_f32 v33, v31, 0xc02df854, v3
	s_delay_alu instid0(VALU_DEP_2) | instskip(NEXT) | instid1(VALU_DEP_1)
	v_div_fixup_f32 v34, v32, 0xc02df854, v2
	v_max_f32_e64 v35, |v33|, |v34|
	s_delay_alu instid0(VALU_DEP_1) | instskip(SKIP_1) | instid1(VALU_DEP_2)
	v_cvt_f64_f32_e32 v[31:32], v35
	v_cmp_neq_f32_e32 vcc_lo, 0x7f800000, v35
	v_frexp_exp_i32_f64_e32 v31, v[31:32]
	s_delay_alu instid0(VALU_DEP_1) | instskip(NEXT) | instid1(VALU_DEP_1)
	v_sub_nc_u32_e32 v32, 0, v31
	v_ldexp_f32 v34, |v34|, v32
	v_ldexp_f32 v32, |v33|, v32
	s_delay_alu instid0(VALU_DEP_2) | instskip(NEXT) | instid1(VALU_DEP_1)
	v_mul_f32_e32 v33, v34, v34
	v_fmac_f32_e32 v33, v32, v32
	s_delay_alu instid0(VALU_DEP_1) | instskip(SKIP_3) | instid1(VALU_DEP_2)
	v_sqrt_f32_e32 v32, v33
	s_waitcnt lgkmcnt(0)
	v_frexp_mant_f32_e32 v33, v29
	v_frexp_exp_i32_f32_e32 v29, v29
	v_rcp_f32_e32 v30, v33
	s_waitcnt_depctr 0xfff
	v_ldexp_f32 v31, v32, v31
	v_frexp_exp_i32_f32_e32 v32, v28
	v_frexp_mant_f32_e32 v28, v28
	s_delay_alu instid0(VALU_DEP_3) | instskip(NEXT) | instid1(VALU_DEP_3)
	v_cndmask_b32_e32 v31, 0x7f800000, v31, vcc_lo
	v_sub_nc_u32_e32 v29, v32, v29
	s_delay_alu instid0(VALU_DEP_3) | instskip(NEXT) | instid1(VALU_DEP_3)
	v_mul_f32_e32 v28, v28, v30
	v_cmp_gt_f32_e32 vcc_lo, 0x800000, v31
	s_delay_alu instid0(VALU_DEP_2) | instskip(SKIP_1) | instid1(VALU_DEP_1)
	v_ldexp_f32 v32, v28, v29
	v_cndmask_b32_e64 v30, 1.0, 0x4f800000, vcc_lo
	v_dual_mul_f32 v29, v32, v32 :: v_dual_mul_f32 v28, v31, v30
	s_delay_alu instid0(VALU_DEP_1) | instskip(SKIP_2) | instid1(VALU_DEP_1)
	v_log_f32_e32 v28, v28
	s_waitcnt_depctr 0xfff
	v_mul_f32_e32 v31, 0x3f317217, v28
	v_fma_f32 v33, 0x3f317217, v28, -v31
	s_delay_alu instid0(VALU_DEP_1) | instskip(NEXT) | instid1(VALU_DEP_1)
	v_fmac_f32_e32 v33, 0x3377d1cf, v28
	v_add_f32_e32 v31, v31, v33
	v_cndmask_b32_e64 v33, 0, 0x41b17218, vcc_lo
	v_cmp_gt_f32_e64 vcc_lo, 0x7f800000, |v28|
	s_delay_alu instid0(VALU_DEP_3) | instskip(NEXT) | instid1(VALU_DEP_1)
	v_cndmask_b32_e32 v28, v28, v31, vcc_lo
	v_sub_f32_e32 v28, v28, v33
	s_delay_alu instid0(VALU_DEP_1) | instskip(NEXT) | instid1(VALU_DEP_1)
	v_dual_fmaak_f32 v30, s26, v29, 0xbc7a590c :: v_dual_add_f32 v31, 1.0, v28
	v_fmaak_f32 v30, v29, v30, 0x3d29fb3f
	s_delay_alu instid0(VALU_DEP_1) | instskip(NEXT) | instid1(VALU_DEP_1)
	v_fmaak_f32 v30, v29, v30, 0xbd97d4d7
	v_fmaak_f32 v30, v29, v30, 0x3dd931b2
	s_delay_alu instid0(VALU_DEP_1) | instskip(NEXT) | instid1(VALU_DEP_1)
	v_fmaak_f32 v30, v29, v30, 0xbe1160e6
	;; [unrolled: 3-line block ×3, first 2 shown]
	v_mul_f32_e32 v29, v29, v30
	s_delay_alu instid0(VALU_DEP_1)
	v_fmac_f32_e32 v32, v32, v29
.LBB57_686:                             ;   in Loop: Header=BB57_401 Depth=1
	s_or_b32 exec_lo, exec_lo, s29
	s_delay_alu instid0(VALU_DEP_1) | instskip(NEXT) | instid1(VALU_DEP_1)
	v_sub_f32_e32 v28, 0x3fc90fdb, v32
	v_cndmask_b32_e64 v32, v32, v28, s4
.LBB57_687:                             ;   in Loop: Header=BB57_401 Depth=1
	s_or_b32 exec_lo, exec_lo, s28
	v_cmp_neq_f32_e32 vcc_lo, 0, v2
	v_cmp_class_f32_e64 s4, v3, 0x204
	v_cmp_class_f32_e64 s5, v2, 0x204
	s_waitcnt lgkmcnt(0)
	v_dual_add_f32 v29, 0x3f317218, v31 :: v_dual_cndmask_b32 v28, 0, v32
	v_cmp_o_f32_e32 vcc_lo, v2, v3
	s_delay_alu instid0(VALU_DEP_3) | instskip(NEXT) | instid1(VALU_DEP_2)
	s_and_b32 s4, s4, s5
	v_bfi_b32 v3, 0x7fffffff, v29, v3
	s_delay_alu instid0(VALU_DEP_3) | instskip(NEXT) | instid1(VALU_DEP_1)
	v_cndmask_b32_e64 v28, v28, 0x3f490fdb, s4
	v_cndmask_b32_e32 v28, 0x7fc00000, v28, vcc_lo
	s_delay_alu instid0(VALU_DEP_1)
	v_bfi_b32 v2, 0x7fffffff, v28, v2
.LBB57_688:                             ;   in Loop: Header=BB57_401 Depth=1
	s_or_b32 exec_lo, exec_lo, s27
.LBB57_689:                             ;   in Loop: Header=BB57_401 Depth=1
	s_and_not1_saveexec_b32 s4, s11
	s_cbranch_execz .LBB57_703
; %bb.690:                              ;   in Loop: Header=BB57_401 Depth=1
	v_cmp_neq_f32_e64 s5, 0x7f800000, |v3|
                                        ; implicit-def: $vgpr28
                                        ; implicit-def: $vgpr29
	s_delay_alu instid0(VALU_DEP_1) | instskip(NEXT) | instid1(SALU_CYCLE_1)
	s_and_saveexec_b32 s11, s5
	s_xor_b32 s5, exec_lo, s11
	s_cbranch_execz .LBB57_700
; %bb.691:                              ;   in Loop: Header=BB57_401 Depth=1
	v_cmp_neq_f32_e64 s11, 0x7f800000, |v2|
                                        ; implicit-def: $vgpr28
                                        ; implicit-def: $vgpr29
	s_delay_alu instid0(VALU_DEP_1) | instskip(NEXT) | instid1(SALU_CYCLE_1)
	s_and_saveexec_b32 s27, s11
	s_xor_b32 s11, exec_lo, s27
	s_cbranch_execz .LBB57_697
; %bb.692:                              ;   in Loop: Header=BB57_401 Depth=1
	s_mov_b32 s27, exec_lo
                                        ; implicit-def: $vgpr28
	v_cmpx_neq_f32_e32 0, v2
	s_xor_b32 s27, exec_lo, s27
; %bb.693:                              ;   in Loop: Header=BB57_401 Depth=1
	v_add_f32_e32 v3, 0, v3
	s_delay_alu instid0(VALU_DEP_1)
	v_add_f32_e32 v28, v2, v3
                                        ; implicit-def: $vgpr3
; %bb.694:                              ;   in Loop: Header=BB57_401 Depth=1
	s_or_saveexec_b32 s27, s27
	s_waitcnt lgkmcnt(0)
	s_delay_alu instid0(VALU_DEP_1)
	v_mov_b32_e32 v29, v28
	s_xor_b32 exec_lo, exec_lo, s27
; %bb.695:                              ;   in Loop: Header=BB57_401 Depth=1
	v_dual_add_f32 v29, v3, v3 :: v_dual_mov_b32 v28, v2
; %bb.696:                              ;   in Loop: Header=BB57_401 Depth=1
	s_or_b32 exec_lo, exec_lo, s27
                                        ; implicit-def: $vgpr3
.LBB57_697:                             ;   in Loop: Header=BB57_401 Depth=1
	s_and_not1_saveexec_b32 s11, s11
	s_cbranch_execz .LBB57_699
; %bb.698:                              ;   in Loop: Header=BB57_401 Depth=1
	s_waitcnt lgkmcnt(0)
	v_dual_add_f32 v28, v3, v3 :: v_dual_mov_b32 v29, v2
.LBB57_699:                             ;   in Loop: Header=BB57_401 Depth=1
	s_or_b32 exec_lo, exec_lo, s11
                                        ; implicit-def: $vgpr2
.LBB57_700:                             ;   in Loop: Header=BB57_401 Depth=1
	s_and_not1_saveexec_b32 s5, s5
	s_cbranch_execz .LBB57_702
; %bb.701:                              ;   in Loop: Header=BB57_401 Depth=1
	s_waitcnt lgkmcnt(0)
	v_dual_add_f32 v28, v2, v2 :: v_dual_mov_b32 v29, v3
.LBB57_702:                             ;   in Loop: Header=BB57_401 Depth=1
	s_or_b32 exec_lo, exec_lo, s5
	s_waitcnt lgkmcnt(0)
	s_delay_alu instid0(VALU_DEP_1)
	v_dual_mov_b32 v3, v29 :: v_dual_mov_b32 v2, v28
.LBB57_703:                             ;   in Loop: Header=BB57_401 Depth=1
	s_or_b32 exec_lo, exec_lo, s4
	v_cmp_o_f32_e32 vcc_lo, v9, v9
	v_cmp_o_f32_e64 s4, v8, v8
	s_delay_alu instid0(VALU_DEP_1) | instskip(NEXT) | instid1(SALU_CYCLE_1)
	s_and_b32 s4, vcc_lo, s4
	s_and_saveexec_b32 s5, s4
	s_delay_alu instid0(SALU_CYCLE_1)
	s_xor_b32 s11, exec_lo, s5
	s_cbranch_execnz .LBB57_709
; %bb.704:                              ;   in Loop: Header=BB57_401 Depth=1
	s_and_not1_saveexec_b32 s4, s11
	s_cbranch_execnz .LBB57_792
.LBB57_705:                             ;   in Loop: Header=BB57_401 Depth=1
	s_or_b32 exec_lo, exec_lo, s4
	s_and_saveexec_b32 s4, s0
	s_delay_alu instid0(SALU_CYCLE_1)
	s_xor_b32 s0, exec_lo, s4
	s_cbranch_execnz .LBB57_805
.LBB57_706:                             ;   in Loop: Header=BB57_401 Depth=1
	s_or_b32 exec_lo, exec_lo, s0
	s_and_saveexec_b32 s0, s1
	s_cbranch_execnz .LBB57_806
.LBB57_707:                             ;   in Loop: Header=BB57_401 Depth=1
	s_or_b32 exec_lo, exec_lo, s0
	s_and_saveexec_b32 s0, s2
	s_cbranch_execnz .LBB57_807
.LBB57_708:                             ;   in Loop: Header=BB57_401 Depth=1
	s_or_b32 exec_lo, exec_lo, s0
	s_and_saveexec_b32 s0, s3
	s_cbranch_execz .LBB57_400
	s_branch .LBB57_808
.LBB57_709:                             ;   in Loop: Header=BB57_401 Depth=1
	v_max_f32_e64 v30, |v8|, |v8|
	v_max_f32_e64 v28, |v9|, |v9|
	s_mov_b32 s4, exec_lo
	s_waitcnt lgkmcnt(0)
	s_delay_alu instid0(VALU_DEP_1) | instskip(NEXT) | instid1(VALU_DEP_1)
	v_max_f32_e32 v29, v28, v30
	v_cmpx_nlt_f32_e32 0x4b000000, v29
	s_xor_b32 s27, exec_lo, s4
	s_cbranch_execz .LBB57_769
; %bb.710:                              ;   in Loop: Header=BB57_401 Depth=1
	v_cmp_neq_f32_e32 vcc_lo, 0, v9
	v_cmp_neq_f32_e64 s4, 0, v8
	s_delay_alu instid0(VALU_DEP_1) | instskip(NEXT) | instid1(SALU_CYCLE_1)
	s_or_b32 s4, vcc_lo, s4
	s_and_saveexec_b32 s28, s4
	s_cbranch_execz .LBB57_768
; %bb.711:                              ;   in Loop: Header=BB57_401 Depth=1
	v_dual_mov_b32 v30, s13 :: v_dual_mov_b32 v29, s12
	v_cmp_ngt_f32_e64 s4, 0x395db3d7, |v9|
	v_cmp_ngt_f32_e64 s5, 0x395db3d7, |v8|
	flat_store_b32 v[29:30], v26 dlc
	s_waitcnt_vscnt null, 0x0
	flat_load_b32 v29, v[29:30] glc dlc
	s_waitcnt vmcnt(0)
	s_or_b32 s4, s4, s5
	s_waitcnt lgkmcnt(0)
	v_dual_add_f32 v31, 1.0, v29 :: v_dual_mov_b32 v30, s15
	v_mov_b32_e32 v29, s14
	flat_store_b32 v[29:30], v31 dlc
	s_waitcnt_vscnt null, 0x0
	flat_load_b32 v29, v[29:30] glc dlc
	s_waitcnt vmcnt(0)
	s_and_saveexec_b32 s29, s4
	s_cbranch_execz .LBB57_767
; %bb.712:                              ;   in Loop: Header=BB57_401 Depth=1
	v_add_f32_e64 v30, |v8|, 1.0
	s_waitcnt lgkmcnt(0)
	v_add_f32_e64 v29, |v8|, -1.0
	s_mov_b32 s4, exec_lo
	s_delay_alu instid0(VALU_DEP_2) | instskip(NEXT) | instid1(VALU_DEP_2)
	v_max_f32_e64 v35, v28, |v30|
	v_max_f32_e64 v28, v28, |v29|
	s_delay_alu instid0(VALU_DEP_2) | instskip(NEXT) | instid1(VALU_DEP_2)
	v_cvt_f64_f32_e32 v[31:32], v35
	v_cvt_f64_f32_e32 v[33:34], v28
	v_cmp_neq_f32_e32 vcc_lo, 0x7f800000, v35
	s_delay_alu instid0(VALU_DEP_3) | instskip(NEXT) | instid1(VALU_DEP_3)
	v_frexp_exp_i32_f64_e32 v31, v[31:32]
	v_frexp_exp_i32_f64_e32 v32, v[33:34]
	s_delay_alu instid0(VALU_DEP_2) | instskip(NEXT) | instid1(VALU_DEP_2)
	v_sub_nc_u32_e32 v33, 0, v31
	v_sub_nc_u32_e32 v34, 0, v32
	s_delay_alu instid0(VALU_DEP_2) | instskip(NEXT) | instid1(VALU_DEP_2)
	v_ldexp_f32 v36, |v30|, v33
	v_ldexp_f32 v37, |v29|, v34
	;; [unrolled: 1-line block ×4, first 2 shown]
	s_delay_alu instid0(VALU_DEP_3) | instskip(NEXT) | instid1(VALU_DEP_1)
	v_dual_mul_f32 v36, v36, v36 :: v_dual_mul_f32 v37, v37, v37
	v_dual_fmac_f32 v36, v33, v33 :: v_dual_fmac_f32 v37, v34, v34
	s_delay_alu instid0(VALU_DEP_1) | instskip(NEXT) | instid1(VALU_DEP_1)
	v_sqrt_f32_e32 v33, v36
	v_sqrt_f32_e32 v34, v37
	s_waitcnt_depctr 0xfff
	v_ldexp_f32 v31, v33, v31
	v_ldexp_f32 v32, v34, v32
                                        ; implicit-def: $vgpr34
	s_delay_alu instid0(VALU_DEP_2) | instskip(SKIP_1) | instid1(VALU_DEP_3)
	v_cndmask_b32_e32 v33, 0x7f800000, v31, vcc_lo
	v_cmp_neq_f32_e32 vcc_lo, 0x7f800000, v28
	v_cndmask_b32_e32 v31, 0x7f800000, v32, vcc_lo
	s_delay_alu instid0(VALU_DEP_1) | instskip(NEXT) | instid1(VALU_DEP_1)
	v_add_f32_e32 v28, v33, v31
	v_mul_f32_e32 v28, 0.5, v28
	s_delay_alu instid0(VALU_DEP_1) | instskip(SKIP_1) | instid1(VALU_DEP_1)
	v_cmp_ngt_f32_e32 vcc_lo, 1.0, v28
	v_cndmask_b32_e32 v28, 1.0, v28, vcc_lo
	v_cmpx_ngt_f32_e32 0x41200000, v28
	s_xor_b32 s5, exec_lo, s4
	s_cbranch_execz .LBB57_714
; %bb.713:                              ;   in Loop: Header=BB57_401 Depth=1
	v_fma_f32 v32, v28, v28, -1.0
	s_delay_alu instid0(VALU_DEP_1) | instskip(SKIP_1) | instid1(VALU_DEP_2)
	v_mul_f32_e32 v34, 0x4f800000, v32
	v_cmp_gt_f32_e32 vcc_lo, 0xf800000, v32
	v_cndmask_b32_e32 v32, v32, v34, vcc_lo
	s_delay_alu instid0(VALU_DEP_1) | instskip(SKIP_3) | instid1(VALU_DEP_2)
	v_sqrt_f32_e32 v34, v32
	s_waitcnt_depctr 0xfff
	v_add_nc_u32_e32 v35, -1, v34
	v_add_nc_u32_e32 v36, 1, v34
	v_fma_f32 v37, -v35, v34, v32
	s_delay_alu instid0(VALU_DEP_2) | instskip(NEXT) | instid1(VALU_DEP_2)
	v_fma_f32 v38, -v36, v34, v32
	v_cmp_ge_f32_e64 s4, 0, v37
	s_delay_alu instid0(VALU_DEP_1) | instskip(NEXT) | instid1(VALU_DEP_3)
	v_cndmask_b32_e64 v34, v34, v35, s4
	v_cmp_lt_f32_e64 s4, 0, v38
	s_delay_alu instid0(VALU_DEP_1) | instskip(NEXT) | instid1(VALU_DEP_1)
	v_cndmask_b32_e64 v34, v34, v36, s4
	v_mul_f32_e32 v35, 0x37800000, v34
	s_delay_alu instid0(VALU_DEP_1) | instskip(SKIP_1) | instid1(VALU_DEP_2)
	v_cndmask_b32_e32 v34, v34, v35, vcc_lo
	v_cmp_class_f32_e64 vcc_lo, v32, 0x260
	v_cndmask_b32_e32 v32, v34, v32, vcc_lo
	s_delay_alu instid0(VALU_DEP_1) | instskip(NEXT) | instid1(VALU_DEP_1)
	v_add_f32_e32 v32, v28, v32
	v_cmp_gt_f32_e32 vcc_lo, 0x800000, v32
	s_delay_alu instid0(VALU_DEP_4) | instskip(NEXT) | instid1(VALU_DEP_1)
	v_cndmask_b32_e64 v34, 1.0, 0x4f800000, vcc_lo
	v_mul_f32_e32 v32, v32, v34
	s_delay_alu instid0(VALU_DEP_1) | instskip(SKIP_3) | instid1(VALU_DEP_2)
	v_log_f32_e32 v32, v32
	s_waitcnt_depctr 0xfff
	v_mul_f32_e32 v34, 0x3f317217, v32
	v_cmp_gt_f32_e64 s4, 0x7f800000, |v32|
	v_fma_f32 v35, 0x3f317217, v32, -v34
	s_delay_alu instid0(VALU_DEP_1) | instskip(NEXT) | instid1(VALU_DEP_1)
	v_fmac_f32_e32 v35, 0x3377d1cf, v32
	v_add_f32_e32 v34, v34, v35
	s_delay_alu instid0(VALU_DEP_1) | instskip(SKIP_1) | instid1(VALU_DEP_1)
	v_cndmask_b32_e64 v32, v32, v34, s4
	v_cndmask_b32_e64 v34, 0, 0x41b17218, vcc_lo
	v_sub_f32_e32 v34, v32, v34
.LBB57_714:                             ;   in Loop: Header=BB57_401 Depth=1
	s_or_saveexec_b32 s5, s5
	v_and_b32_e32 v32, 0x7fffffff, v9
	s_xor_b32 exec_lo, exec_lo, s5
	s_cbranch_execz .LBB57_736
; %bb.715:                              ;   in Loop: Header=BB57_401 Depth=1
	v_cmp_neq_f32_e64 s4, |v8|, 1.0
	v_cmp_ngt_f32_e64 s30, 0x25000000, |v9|
                                        ; implicit-def: $vgpr34
	s_delay_alu instid0(VALU_DEP_1) | instskip(NEXT) | instid1(SALU_CYCLE_1)
	s_or_b32 s4, s30, s4
	s_and_saveexec_b32 s30, s4
	s_delay_alu instid0(SALU_CYCLE_1)
	s_xor_b32 s30, exec_lo, s30
	s_cbranch_execz .LBB57_733
; %bb.716:                              ;   in Loop: Header=BB57_401 Depth=1
	v_mul_f32_e64 v34, 0x34000000, |v29|
	s_delay_alu instid0(VALU_DEP_1) | instskip(NEXT) | instid1(VALU_DEP_1)
	v_cmp_le_f32_e64 s4, v34, |v9|
                                        ; implicit-def: $vgpr34
	s_and_saveexec_b32 s31, s4
	s_delay_alu instid0(SALU_CYCLE_1)
	s_xor_b32 s31, exec_lo, s31
	s_cbranch_execz .LBB57_726
; %bb.717:                              ;   in Loop: Header=BB57_401 Depth=1
	v_mov_b32_e32 v34, v32
	s_mov_b32 s4, exec_lo
	v_cmpx_neq_f32_e32 0, v30
	s_cbranch_execz .LBB57_719
; %bb.718:                              ;   in Loop: Header=BB57_401 Depth=1
	v_mul_f32_e32 v34, v9, v9
	v_add_f32_e32 v35, v30, v33
	s_delay_alu instid0(VALU_DEP_1) | instskip(NEXT) | instid1(VALU_DEP_1)
	v_div_scale_f32 v36, null, v35, v35, v34
	v_rcp_f32_e32 v37, v36
	s_waitcnt_depctr 0xfff
	v_fma_f32 v38, -v36, v37, 1.0
	s_delay_alu instid0(VALU_DEP_1) | instskip(SKIP_1) | instid1(VALU_DEP_1)
	v_fmac_f32_e32 v37, v38, v37
	v_div_scale_f32 v38, vcc_lo, v34, v35, v34
	v_mul_f32_e32 v39, v38, v37
	s_delay_alu instid0(VALU_DEP_1) | instskip(NEXT) | instid1(VALU_DEP_1)
	v_fma_f32 v40, -v36, v39, v38
	v_fmac_f32_e32 v39, v40, v37
	s_delay_alu instid0(VALU_DEP_1) | instskip(NEXT) | instid1(VALU_DEP_1)
	v_fma_f32 v36, -v36, v39, v38
	v_div_fmas_f32 v36, v36, v37, v39
	s_delay_alu instid0(VALU_DEP_1)
	v_div_fixup_f32 v34, v36, v35, v34
.LBB57_719:                             ;   in Loop: Header=BB57_401 Depth=1
	s_or_b32 exec_lo, exec_lo, s4
	v_sub_f32_e64 v36, 1.0, |v8|
	s_mov_b32 s4, exec_lo
                                        ; implicit-def: $vgpr35
	s_delay_alu instid0(VALU_DEP_1)
	v_cmpx_ngt_f32_e32 0, v36
	s_xor_b32 s4, exec_lo, s4
	s_cbranch_execz .LBB57_723
; %bb.720:                              ;   in Loop: Header=BB57_401 Depth=1
	v_mov_b32_e32 v35, v32
	s_mov_b32 s33, exec_lo
	v_cmpx_neq_f32_e32 0, v36
	s_cbranch_execz .LBB57_722
; %bb.721:                              ;   in Loop: Header=BB57_401 Depth=1
	v_dual_mul_f32 v35, v9, v9 :: v_dual_add_f32 v36, v36, v31
	s_delay_alu instid0(VALU_DEP_1) | instskip(NEXT) | instid1(VALU_DEP_1)
	v_div_scale_f32 v37, null, v36, v36, v35
	v_rcp_f32_e32 v38, v37
	s_waitcnt_depctr 0xfff
	v_fma_f32 v39, -v37, v38, 1.0
	s_delay_alu instid0(VALU_DEP_1) | instskip(SKIP_1) | instid1(VALU_DEP_1)
	v_fmac_f32_e32 v38, v39, v38
	v_div_scale_f32 v39, vcc_lo, v35, v36, v35
	v_mul_f32_e32 v40, v39, v38
	s_delay_alu instid0(VALU_DEP_1) | instskip(NEXT) | instid1(VALU_DEP_1)
	v_fma_f32 v41, -v37, v40, v39
	v_fmac_f32_e32 v40, v41, v38
	s_delay_alu instid0(VALU_DEP_1) | instskip(NEXT) | instid1(VALU_DEP_1)
	v_fma_f32 v37, -v37, v40, v39
	v_div_fmas_f32 v37, v37, v38, v40
	s_delay_alu instid0(VALU_DEP_1)
	v_div_fixup_f32 v35, v37, v36, v35
.LBB57_722:                             ;   in Loop: Header=BB57_401 Depth=1
	s_or_b32 exec_lo, exec_lo, s33
                                        ; implicit-def: $vgpr36
.LBB57_723:                             ;   in Loop: Header=BB57_401 Depth=1
	s_and_not1_saveexec_b32 s4, s4
; %bb.724:                              ;   in Loop: Header=BB57_401 Depth=1
	v_sub_f32_e32 v35, v31, v36
; %bb.725:                              ;   in Loop: Header=BB57_401 Depth=1
	s_or_b32 exec_lo, exec_lo, s4
	s_delay_alu instid0(VALU_DEP_1) | instskip(NEXT) | instid1(VALU_DEP_1)
	v_dual_mul_f32 v35, 0.5, v35 :: v_dual_add_f32 v36, 1.0, v28
	v_fmac_f32_e32 v35, 0.5, v34
	s_delay_alu instid0(VALU_DEP_1) | instskip(NEXT) | instid1(VALU_DEP_1)
	v_mul_f32_e32 v34, v36, v35
	v_mul_f32_e32 v36, 0x4f800000, v34
	v_cmp_gt_f32_e32 vcc_lo, 0xf800000, v34
	s_delay_alu instid0(VALU_DEP_2) | instskip(NEXT) | instid1(VALU_DEP_1)
	v_cndmask_b32_e32 v34, v34, v36, vcc_lo
	v_sqrt_f32_e32 v36, v34
	s_waitcnt_depctr 0xfff
	v_add_nc_u32_e32 v37, -1, v36
	v_add_nc_u32_e32 v38, 1, v36
	s_delay_alu instid0(VALU_DEP_2) | instskip(NEXT) | instid1(VALU_DEP_2)
	v_fma_f32 v39, -v37, v36, v34
	v_fma_f32 v40, -v38, v36, v34
	s_delay_alu instid0(VALU_DEP_2) | instskip(NEXT) | instid1(VALU_DEP_1)
	v_cmp_ge_f32_e64 s4, 0, v39
	v_cndmask_b32_e64 v36, v36, v37, s4
	s_delay_alu instid0(VALU_DEP_3) | instskip(NEXT) | instid1(VALU_DEP_1)
	v_cmp_lt_f32_e64 s4, 0, v40
	v_cndmask_b32_e64 v36, v36, v38, s4
	s_delay_alu instid0(VALU_DEP_1) | instskip(NEXT) | instid1(VALU_DEP_1)
	v_mul_f32_e32 v37, 0x37800000, v36
	v_cndmask_b32_e32 v36, v36, v37, vcc_lo
	v_cmp_class_f32_e64 vcc_lo, v34, 0x260
	s_delay_alu instid0(VALU_DEP_2) | instskip(NEXT) | instid1(VALU_DEP_1)
	v_cndmask_b32_e32 v34, v36, v34, vcc_lo
	v_add_f32_e32 v36, v35, v34
	s_delay_alu instid0(VALU_DEP_1) | instskip(NEXT) | instid1(VALU_DEP_1)
	v_add_f32_e32 v37, 1.0, v36
	v_cvt_f64_f32_e32 v[34:35], v37
	s_delay_alu instid0(VALU_DEP_1) | instskip(SKIP_1) | instid1(VALU_DEP_1)
	v_frexp_exp_i32_f64_e32 v34, v[34:35]
	v_frexp_mant_f32_e32 v35, v37
	v_cmp_gt_f32_e32 vcc_lo, 0x3f2aaaab, v35
	v_add_f32_e32 v35, -1.0, v37
	s_delay_alu instid0(VALU_DEP_1) | instskip(NEXT) | instid1(VALU_DEP_1)
	v_sub_f32_e32 v39, v35, v37
	v_add_f32_e32 v39, 1.0, v39
	v_subrev_co_ci_u32_e32 v34, vcc_lo, 0, v34, vcc_lo
	s_delay_alu instid0(VALU_DEP_1) | instskip(SKIP_1) | instid1(VALU_DEP_2)
	v_sub_nc_u32_e32 v38, 0, v34
	v_cvt_f32_i32_e32 v34, v34
	v_ldexp_f32 v37, v37, v38
	s_delay_alu instid0(VALU_DEP_1) | instskip(NEXT) | instid1(VALU_DEP_1)
	v_dual_sub_f32 v35, v36, v35 :: v_dual_add_f32 v40, 1.0, v37
	v_add_f32_e32 v35, v35, v39
	s_delay_alu instid0(VALU_DEP_2) | instskip(NEXT) | instid1(VALU_DEP_2)
	v_add_f32_e32 v39, -1.0, v40
	v_ldexp_f32 v35, v35, v38
	v_add_f32_e32 v38, -1.0, v37
	v_cmp_eq_f32_e32 vcc_lo, 0x7f800000, v36
	s_delay_alu instid0(VALU_DEP_4) | instskip(NEXT) | instid1(VALU_DEP_3)
	v_sub_f32_e32 v39, v37, v39
	v_add_f32_e32 v41, 1.0, v38
	s_delay_alu instid0(VALU_DEP_2) | instskip(NEXT) | instid1(VALU_DEP_2)
	v_add_f32_e32 v39, v35, v39
	v_sub_f32_e32 v37, v37, v41
	s_delay_alu instid0(VALU_DEP_1) | instskip(NEXT) | instid1(VALU_DEP_1)
	v_add_f32_e32 v35, v35, v37
	v_add_f32_e32 v42, v38, v35
	s_delay_alu instid0(VALU_DEP_1) | instskip(NEXT) | instid1(VALU_DEP_1)
	v_dual_add_f32 v41, v40, v39 :: v_dual_sub_f32 v38, v42, v38
	v_rcp_f32_e32 v37, v41
	v_sub_f32_e32 v40, v41, v40
	s_delay_alu instid0(VALU_DEP_1) | instskip(SKIP_2) | instid1(VALU_DEP_1)
	v_sub_f32_e32 v39, v39, v40
	s_waitcnt_depctr 0xfff
	v_mul_f32_e32 v43, v42, v37
	v_mul_f32_e32 v44, v41, v43
	s_delay_alu instid0(VALU_DEP_1) | instskip(NEXT) | instid1(VALU_DEP_1)
	v_fma_f32 v40, v43, v41, -v44
	v_fmac_f32_e32 v40, v43, v39
	v_sub_f32_e32 v35, v35, v38
	s_delay_alu instid0(VALU_DEP_2) | instskip(NEXT) | instid1(VALU_DEP_1)
	v_add_f32_e32 v45, v44, v40
	v_sub_f32_e32 v46, v42, v45
	v_sub_f32_e32 v38, v45, v44
	s_delay_alu instid0(VALU_DEP_2) | instskip(NEXT) | instid1(VALU_DEP_2)
	v_sub_f32_e32 v42, v42, v46
	v_sub_f32_e32 v38, v38, v40
	s_delay_alu instid0(VALU_DEP_2) | instskip(NEXT) | instid1(VALU_DEP_1)
	v_sub_f32_e32 v42, v42, v45
	v_add_f32_e32 v35, v35, v42
	s_delay_alu instid0(VALU_DEP_1) | instskip(NEXT) | instid1(VALU_DEP_1)
	v_add_f32_e32 v35, v38, v35
	v_add_f32_e32 v38, v46, v35
	s_delay_alu instid0(VALU_DEP_1) | instskip(NEXT) | instid1(VALU_DEP_1)
	v_mul_f32_e32 v40, v37, v38
	v_dual_sub_f32 v45, v46, v38 :: v_dual_mul_f32 v42, v41, v40
	s_delay_alu instid0(VALU_DEP_1) | instskip(NEXT) | instid1(VALU_DEP_2)
	v_add_f32_e32 v35, v35, v45
	v_fma_f32 v41, v40, v41, -v42
	s_delay_alu instid0(VALU_DEP_1) | instskip(NEXT) | instid1(VALU_DEP_1)
	v_fmac_f32_e32 v41, v40, v39
	v_add_f32_e32 v39, v42, v41
	s_delay_alu instid0(VALU_DEP_1) | instskip(NEXT) | instid1(VALU_DEP_1)
	v_sub_f32_e32 v44, v38, v39
	v_sub_f32_e32 v38, v38, v44
	s_delay_alu instid0(VALU_DEP_1) | instskip(NEXT) | instid1(VALU_DEP_1)
	v_sub_f32_e32 v38, v38, v39
	v_add_f32_e32 v35, v35, v38
	v_add_f32_e32 v38, v43, v40
	v_sub_f32_e32 v42, v39, v42
	s_delay_alu instid0(VALU_DEP_1) | instskip(NEXT) | instid1(VALU_DEP_1)
	v_sub_f32_e32 v39, v42, v41
	v_add_f32_e32 v35, v39, v35
	s_delay_alu instid0(VALU_DEP_4) | instskip(NEXT) | instid1(VALU_DEP_2)
	v_sub_f32_e32 v39, v38, v43
	v_add_f32_e32 v35, v44, v35
	s_delay_alu instid0(VALU_DEP_2) | instskip(NEXT) | instid1(VALU_DEP_2)
	v_sub_f32_e32 v39, v40, v39
	v_mul_f32_e32 v35, v37, v35
	s_delay_alu instid0(VALU_DEP_1) | instskip(NEXT) | instid1(VALU_DEP_1)
	v_add_f32_e32 v35, v39, v35
	v_add_f32_e32 v37, v38, v35
	s_delay_alu instid0(VALU_DEP_1) | instskip(NEXT) | instid1(VALU_DEP_1)
	v_mul_f32_e32 v39, v37, v37
	v_fmaak_f32 v40, s24, v39, 0x3ecc95a3
	v_mul_f32_e32 v41, v37, v39
	s_delay_alu instid0(VALU_DEP_2) | instskip(SKIP_2) | instid1(VALU_DEP_3)
	v_fmaak_f32 v39, v39, v40, 0x3f2aaada
	v_ldexp_f32 v40, v37, 1
	v_sub_f32_e32 v37, v37, v38
	v_mul_f32_e32 v39, v41, v39
	v_mul_f32_e32 v41, 0x3f317218, v34
	s_delay_alu instid0(VALU_DEP_2) | instskip(NEXT) | instid1(VALU_DEP_1)
	v_dual_sub_f32 v35, v35, v37 :: v_dual_add_f32 v38, v40, v39
	v_ldexp_f32 v35, v35, 1
	s_delay_alu instid0(VALU_DEP_2) | instskip(NEXT) | instid1(VALU_DEP_4)
	v_sub_f32_e32 v37, v38, v40
	v_fma_f32 v40, 0x3f317218, v34, -v41
	s_delay_alu instid0(VALU_DEP_1) | instskip(NEXT) | instid1(VALU_DEP_1)
	v_dual_sub_f32 v37, v39, v37 :: v_dual_fmac_f32 v40, 0xb102e308, v34
	v_dual_add_f32 v34, v35, v37 :: v_dual_add_f32 v35, v41, v40
	s_delay_alu instid0(VALU_DEP_1) | instskip(NEXT) | instid1(VALU_DEP_2)
	v_add_f32_e32 v37, v38, v34
	v_sub_f32_e32 v41, v35, v41
	s_delay_alu instid0(VALU_DEP_2) | instskip(NEXT) | instid1(VALU_DEP_2)
	v_dual_add_f32 v39, v35, v37 :: v_dual_sub_f32 v38, v37, v38
	v_sub_f32_e32 v40, v40, v41
	s_delay_alu instid0(VALU_DEP_2) | instskip(NEXT) | instid1(VALU_DEP_3)
	v_sub_f32_e32 v42, v39, v35
	v_sub_f32_e32 v34, v34, v38
	s_delay_alu instid0(VALU_DEP_2) | instskip(SKIP_1) | instid1(VALU_DEP_2)
	v_sub_f32_e32 v43, v39, v42
	v_sub_f32_e32 v37, v37, v42
	v_dual_add_f32 v38, v40, v34 :: v_dual_sub_f32 v35, v35, v43
	s_delay_alu instid0(VALU_DEP_1) | instskip(NEXT) | instid1(VALU_DEP_2)
	v_add_f32_e32 v35, v37, v35
	v_sub_f32_e32 v37, v38, v40
	s_delay_alu instid0(VALU_DEP_2) | instskip(NEXT) | instid1(VALU_DEP_2)
	v_add_f32_e32 v35, v38, v35
	v_sub_f32_e32 v38, v38, v37
	s_delay_alu instid0(VALU_DEP_2) | instskip(NEXT) | instid1(VALU_DEP_1)
	v_dual_sub_f32 v34, v34, v37 :: v_dual_add_f32 v41, v39, v35
	v_dual_sub_f32 v38, v40, v38 :: v_dual_sub_f32 v37, v41, v39
	s_delay_alu instid0(VALU_DEP_1) | instskip(NEXT) | instid1(VALU_DEP_1)
	v_dual_add_f32 v34, v34, v38 :: v_dual_sub_f32 v35, v35, v37
	v_add_f32_e32 v34, v34, v35
	s_delay_alu instid0(VALU_DEP_1) | instskip(NEXT) | instid1(VALU_DEP_1)
	v_add_f32_e32 v34, v41, v34
	v_cndmask_b32_e32 v34, v34, v36, vcc_lo
	v_cmp_ngt_f32_e32 vcc_lo, -1.0, v36
	s_delay_alu instid0(VALU_DEP_2) | instskip(SKIP_1) | instid1(VALU_DEP_2)
	v_cndmask_b32_e32 v34, 0x7fc00000, v34, vcc_lo
	v_cmp_neq_f32_e32 vcc_lo, -1.0, v36
	v_cndmask_b32_e32 v34, 0xff800000, v34, vcc_lo
	v_cmp_gt_f32_e64 vcc_lo, 0x33800000, |v36|
	s_delay_alu instid0(VALU_DEP_2)
	v_cndmask_b32_e32 v34, v34, v36, vcc_lo
.LBB57_726:                             ;   in Loop: Header=BB57_401 Depth=1
	s_and_not1_saveexec_b32 s31, s31
	s_cbranch_execz .LBB57_732
; %bb.727:                              ;   in Loop: Header=BB57_401 Depth=1
	s_mov_b32 s33, exec_lo
                                        ; implicit-def: $vgpr34
	v_cmpx_nlt_f32_e64 |v8|, 1.0
	s_xor_b32 s33, exec_lo, s33
	s_cbranch_execz .LBB57_729
; %bb.728:                              ;   in Loop: Header=BB57_401 Depth=1
	v_mul_f32_e32 v34, v29, v30
	s_delay_alu instid0(VALU_DEP_1) | instskip(SKIP_1) | instid1(VALU_DEP_2)
	v_mul_f32_e32 v35, 0x4f800000, v34
	v_cmp_gt_f32_e32 vcc_lo, 0xf800000, v34
	v_cndmask_b32_e32 v34, v34, v35, vcc_lo
	s_delay_alu instid0(VALU_DEP_1) | instskip(SKIP_3) | instid1(VALU_DEP_2)
	v_sqrt_f32_e32 v35, v34
	s_waitcnt_depctr 0xfff
	v_add_nc_u32_e32 v36, -1, v35
	v_add_nc_u32_e32 v37, 1, v35
	v_fma_f32 v38, -v36, v35, v34
	s_delay_alu instid0(VALU_DEP_2) | instskip(NEXT) | instid1(VALU_DEP_2)
	v_fma_f32 v39, -v37, v35, v34
	v_cmp_ge_f32_e64 s4, 0, v38
	s_delay_alu instid0(VALU_DEP_1) | instskip(NEXT) | instid1(VALU_DEP_3)
	v_cndmask_b32_e64 v35, v35, v36, s4
	v_cmp_lt_f32_e64 s4, 0, v39
	s_delay_alu instid0(VALU_DEP_1) | instskip(NEXT) | instid1(VALU_DEP_1)
	v_cndmask_b32_e64 v35, v35, v37, s4
	v_mul_f32_e32 v36, 0x37800000, v35
	s_delay_alu instid0(VALU_DEP_1) | instskip(SKIP_1) | instid1(VALU_DEP_2)
	v_cndmask_b32_e32 v35, v35, v36, vcc_lo
	v_cmp_class_f32_e64 vcc_lo, v34, 0x260
	v_cndmask_b32_e32 v34, v35, v34, vcc_lo
	s_delay_alu instid0(VALU_DEP_1) | instskip(NEXT) | instid1(VALU_DEP_1)
	v_add_f32_e32 v36, v29, v34
	v_add_f32_e32 v37, 1.0, v36
	s_delay_alu instid0(VALU_DEP_1) | instskip(NEXT) | instid1(VALU_DEP_1)
	v_cvt_f64_f32_e32 v[34:35], v37
	v_frexp_exp_i32_f64_e32 v34, v[34:35]
	v_frexp_mant_f32_e32 v35, v37
	s_delay_alu instid0(VALU_DEP_1) | instskip(SKIP_1) | instid1(VALU_DEP_1)
	v_cmp_gt_f32_e32 vcc_lo, 0x3f2aaaab, v35
	v_add_f32_e32 v35, -1.0, v37
	v_sub_f32_e32 v39, v35, v37
	s_delay_alu instid0(VALU_DEP_1) | instskip(SKIP_2) | instid1(VALU_DEP_2)
	v_add_f32_e32 v39, 1.0, v39
	v_subrev_co_ci_u32_e32 v34, vcc_lo, 0, v34, vcc_lo
	v_cmp_eq_f32_e32 vcc_lo, 0x7f800000, v36
	v_sub_nc_u32_e32 v38, 0, v34
	v_cvt_f32_i32_e32 v34, v34
	s_delay_alu instid0(VALU_DEP_2) | instskip(NEXT) | instid1(VALU_DEP_1)
	v_ldexp_f32 v37, v37, v38
	v_dual_sub_f32 v35, v36, v35 :: v_dual_add_f32 v40, 1.0, v37
	s_delay_alu instid0(VALU_DEP_1) | instskip(NEXT) | instid1(VALU_DEP_1)
	v_add_f32_e32 v35, v35, v39
	v_ldexp_f32 v35, v35, v38
	s_delay_alu instid0(VALU_DEP_3) | instskip(NEXT) | instid1(VALU_DEP_1)
	v_dual_add_f32 v38, -1.0, v37 :: v_dual_add_f32 v39, -1.0, v40
	v_add_f32_e32 v41, 1.0, v38
	s_delay_alu instid0(VALU_DEP_2) | instskip(NEXT) | instid1(VALU_DEP_2)
	v_sub_f32_e32 v39, v37, v39
	v_sub_f32_e32 v37, v37, v41
	s_delay_alu instid0(VALU_DEP_2) | instskip(NEXT) | instid1(VALU_DEP_2)
	v_add_f32_e32 v39, v35, v39
	v_add_f32_e32 v35, v35, v37
	s_delay_alu instid0(VALU_DEP_1) | instskip(NEXT) | instid1(VALU_DEP_1)
	v_add_f32_e32 v42, v38, v35
	v_dual_sub_f32 v38, v42, v38 :: v_dual_add_f32 v41, v40, v39
	s_delay_alu instid0(VALU_DEP_1) | instskip(SKIP_1) | instid1(VALU_DEP_1)
	v_rcp_f32_e32 v37, v41
	v_sub_f32_e32 v40, v41, v40
	v_sub_f32_e32 v39, v39, v40
	s_waitcnt_depctr 0xfff
	v_mul_f32_e32 v43, v42, v37
	s_delay_alu instid0(VALU_DEP_1) | instskip(NEXT) | instid1(VALU_DEP_1)
	v_mul_f32_e32 v44, v41, v43
	v_fma_f32 v40, v43, v41, -v44
	s_delay_alu instid0(VALU_DEP_1) | instskip(SKIP_1) | instid1(VALU_DEP_2)
	v_fmac_f32_e32 v40, v43, v39
	v_sub_f32_e32 v35, v35, v38
	v_add_f32_e32 v45, v44, v40
	s_delay_alu instid0(VALU_DEP_1) | instskip(SKIP_1) | instid1(VALU_DEP_2)
	v_sub_f32_e32 v46, v42, v45
	v_sub_f32_e32 v38, v45, v44
	;; [unrolled: 1-line block ×3, first 2 shown]
	s_delay_alu instid0(VALU_DEP_2) | instskip(NEXT) | instid1(VALU_DEP_2)
	v_sub_f32_e32 v38, v38, v40
	v_sub_f32_e32 v42, v42, v45
	s_delay_alu instid0(VALU_DEP_1) | instskip(NEXT) | instid1(VALU_DEP_1)
	v_add_f32_e32 v35, v35, v42
	v_add_f32_e32 v35, v38, v35
	s_delay_alu instid0(VALU_DEP_1) | instskip(NEXT) | instid1(VALU_DEP_1)
	v_add_f32_e32 v38, v46, v35
	v_mul_f32_e32 v40, v37, v38
	s_delay_alu instid0(VALU_DEP_1) | instskip(NEXT) | instid1(VALU_DEP_1)
	v_dual_sub_f32 v45, v46, v38 :: v_dual_mul_f32 v42, v41, v40
	v_fma_f32 v41, v40, v41, -v42
	s_delay_alu instid0(VALU_DEP_1) | instskip(NEXT) | instid1(VALU_DEP_1)
	v_fmac_f32_e32 v41, v40, v39
	v_add_f32_e32 v39, v42, v41
	s_delay_alu instid0(VALU_DEP_1) | instskip(SKIP_1) | instid1(VALU_DEP_1)
	v_sub_f32_e32 v42, v39, v42
	v_dual_sub_f32 v44, v38, v39 :: v_dual_add_f32 v35, v35, v45
	v_sub_f32_e32 v38, v38, v44
	s_delay_alu instid0(VALU_DEP_1) | instskip(NEXT) | instid1(VALU_DEP_4)
	v_sub_f32_e32 v38, v38, v39
	v_sub_f32_e32 v39, v42, v41
	s_delay_alu instid0(VALU_DEP_2) | instskip(SKIP_1) | instid1(VALU_DEP_2)
	v_add_f32_e32 v35, v35, v38
	v_add_f32_e32 v38, v43, v40
	;; [unrolled: 1-line block ×3, first 2 shown]
	s_delay_alu instid0(VALU_DEP_2) | instskip(NEXT) | instid1(VALU_DEP_2)
	v_sub_f32_e32 v39, v38, v43
	v_add_f32_e32 v35, v44, v35
	s_delay_alu instid0(VALU_DEP_2) | instskip(NEXT) | instid1(VALU_DEP_2)
	v_sub_f32_e32 v39, v40, v39
	v_mul_f32_e32 v35, v37, v35
	s_delay_alu instid0(VALU_DEP_1) | instskip(NEXT) | instid1(VALU_DEP_1)
	v_add_f32_e32 v35, v39, v35
	v_add_f32_e32 v37, v38, v35
	s_delay_alu instid0(VALU_DEP_1) | instskip(NEXT) | instid1(VALU_DEP_1)
	v_mul_f32_e32 v39, v37, v37
	v_fmaak_f32 v40, s24, v39, 0x3ecc95a3
	v_mul_f32_e32 v41, v37, v39
	s_delay_alu instid0(VALU_DEP_2) | instskip(SKIP_2) | instid1(VALU_DEP_3)
	v_fmaak_f32 v39, v39, v40, 0x3f2aaada
	v_ldexp_f32 v40, v37, 1
	v_sub_f32_e32 v37, v37, v38
	v_mul_f32_e32 v39, v41, v39
	v_mul_f32_e32 v41, 0x3f317218, v34
	s_delay_alu instid0(VALU_DEP_2) | instskip(NEXT) | instid1(VALU_DEP_1)
	v_dual_sub_f32 v35, v35, v37 :: v_dual_add_f32 v38, v40, v39
	v_ldexp_f32 v35, v35, 1
	s_delay_alu instid0(VALU_DEP_2) | instskip(NEXT) | instid1(VALU_DEP_4)
	v_sub_f32_e32 v37, v38, v40
	v_fma_f32 v40, 0x3f317218, v34, -v41
	s_delay_alu instid0(VALU_DEP_1) | instskip(NEXT) | instid1(VALU_DEP_1)
	v_dual_sub_f32 v37, v39, v37 :: v_dual_fmac_f32 v40, 0xb102e308, v34
	v_dual_add_f32 v34, v35, v37 :: v_dual_add_f32 v35, v41, v40
	s_delay_alu instid0(VALU_DEP_1) | instskip(NEXT) | instid1(VALU_DEP_2)
	v_add_f32_e32 v37, v38, v34
	v_sub_f32_e32 v41, v35, v41
	s_delay_alu instid0(VALU_DEP_2) | instskip(NEXT) | instid1(VALU_DEP_2)
	v_dual_add_f32 v39, v35, v37 :: v_dual_sub_f32 v38, v37, v38
	v_sub_f32_e32 v40, v40, v41
	s_delay_alu instid0(VALU_DEP_2) | instskip(NEXT) | instid1(VALU_DEP_3)
	v_sub_f32_e32 v42, v39, v35
	v_sub_f32_e32 v34, v34, v38
	s_delay_alu instid0(VALU_DEP_2) | instskip(SKIP_1) | instid1(VALU_DEP_2)
	v_sub_f32_e32 v43, v39, v42
	v_sub_f32_e32 v37, v37, v42
	v_dual_add_f32 v38, v40, v34 :: v_dual_sub_f32 v35, v35, v43
	s_delay_alu instid0(VALU_DEP_1) | instskip(NEXT) | instid1(VALU_DEP_2)
	v_add_f32_e32 v35, v37, v35
	v_sub_f32_e32 v37, v38, v40
	s_delay_alu instid0(VALU_DEP_2) | instskip(NEXT) | instid1(VALU_DEP_2)
	v_add_f32_e32 v35, v38, v35
	v_sub_f32_e32 v38, v38, v37
	s_delay_alu instid0(VALU_DEP_2) | instskip(NEXT) | instid1(VALU_DEP_1)
	v_dual_sub_f32 v34, v34, v37 :: v_dual_add_f32 v41, v39, v35
	v_dual_sub_f32 v38, v40, v38 :: v_dual_sub_f32 v37, v41, v39
	s_delay_alu instid0(VALU_DEP_1) | instskip(NEXT) | instid1(VALU_DEP_1)
	v_dual_add_f32 v34, v34, v38 :: v_dual_sub_f32 v35, v35, v37
	v_add_f32_e32 v34, v34, v35
	s_delay_alu instid0(VALU_DEP_1) | instskip(NEXT) | instid1(VALU_DEP_1)
	v_add_f32_e32 v34, v41, v34
	v_cndmask_b32_e32 v34, v34, v36, vcc_lo
	v_cmp_ngt_f32_e32 vcc_lo, -1.0, v36
	s_delay_alu instid0(VALU_DEP_2) | instskip(SKIP_1) | instid1(VALU_DEP_2)
	v_cndmask_b32_e32 v34, 0x7fc00000, v34, vcc_lo
	v_cmp_neq_f32_e32 vcc_lo, -1.0, v36
	v_cndmask_b32_e32 v34, 0xff800000, v34, vcc_lo
	v_cmp_gt_f32_e64 vcc_lo, 0x33800000, |v36|
	s_delay_alu instid0(VALU_DEP_2)
	v_cndmask_b32_e32 v34, v34, v36, vcc_lo
.LBB57_729:                             ;   in Loop: Header=BB57_401 Depth=1
	s_and_not1_saveexec_b32 s33, s33
	s_cbranch_execz .LBB57_731
; %bb.730:                              ;   in Loop: Header=BB57_401 Depth=1
	v_sub_f32_e64 v34, 1.0, |v8|
	s_delay_alu instid0(VALU_DEP_1) | instskip(NEXT) | instid1(VALU_DEP_1)
	v_mul_f32_e32 v34, v34, v30
	v_mul_f32_e32 v35, 0x4f800000, v34
	v_cmp_gt_f32_e32 vcc_lo, 0xf800000, v34
	s_delay_alu instid0(VALU_DEP_2) | instskip(NEXT) | instid1(VALU_DEP_1)
	v_cndmask_b32_e32 v34, v34, v35, vcc_lo
	v_sqrt_f32_e32 v35, v34
	s_waitcnt_depctr 0xfff
	v_add_nc_u32_e32 v36, -1, v35
	v_add_nc_u32_e32 v37, 1, v35
	s_delay_alu instid0(VALU_DEP_2) | instskip(NEXT) | instid1(VALU_DEP_2)
	v_fma_f32 v38, -v36, v35, v34
	v_fma_f32 v39, -v37, v35, v34
	s_delay_alu instid0(VALU_DEP_2) | instskip(NEXT) | instid1(VALU_DEP_1)
	v_cmp_ge_f32_e64 s4, 0, v38
	v_cndmask_b32_e64 v35, v35, v36, s4
	s_delay_alu instid0(VALU_DEP_3) | instskip(NEXT) | instid1(VALU_DEP_1)
	v_cmp_lt_f32_e64 s4, 0, v39
	v_cndmask_b32_e64 v35, v35, v37, s4
	s_delay_alu instid0(VALU_DEP_1) | instskip(NEXT) | instid1(VALU_DEP_1)
	v_mul_f32_e32 v36, 0x37800000, v35
	v_cndmask_b32_e32 v35, v35, v36, vcc_lo
	v_cmp_class_f32_e64 vcc_lo, v34, 0x260
	v_and_b32_e32 v36, 0x7fffffff, v9
	s_delay_alu instid0(VALU_DEP_3) | instskip(NEXT) | instid1(VALU_DEP_1)
	v_cndmask_b32_e32 v34, v35, v34, vcc_lo
	v_div_scale_f32 v35, null, v34, v34, v36
	v_div_scale_f32 v36, vcc_lo, v36, v34, v36
	s_delay_alu instid0(VALU_DEP_2) | instskip(SKIP_2) | instid1(VALU_DEP_1)
	v_rcp_f32_e32 v37, v35
	s_waitcnt_depctr 0xfff
	v_fma_f32 v38, -v35, v37, 1.0
	v_fmac_f32_e32 v37, v38, v37
	s_delay_alu instid0(VALU_DEP_1) | instskip(NEXT) | instid1(VALU_DEP_1)
	v_mul_f32_e32 v38, v36, v37
	v_fma_f32 v39, -v35, v38, v36
	s_delay_alu instid0(VALU_DEP_1) | instskip(NEXT) | instid1(VALU_DEP_1)
	v_fmac_f32_e32 v38, v39, v37
	v_fma_f32 v35, -v35, v38, v36
	s_delay_alu instid0(VALU_DEP_1) | instskip(NEXT) | instid1(VALU_DEP_1)
	v_div_fmas_f32 v35, v35, v37, v38
	v_div_fixup_f32 v34, v35, v34, |v9|
.LBB57_731:                             ;   in Loop: Header=BB57_401 Depth=1
	s_or_b32 exec_lo, exec_lo, s33
.LBB57_732:                             ;   in Loop: Header=BB57_401 Depth=1
	s_delay_alu instid0(SALU_CYCLE_1)
	s_or_b32 exec_lo, exec_lo, s31
.LBB57_733:                             ;   in Loop: Header=BB57_401 Depth=1
	s_and_not1_saveexec_b32 s30, s30
	s_cbranch_execz .LBB57_735
; %bb.734:                              ;   in Loop: Header=BB57_401 Depth=1
	v_mul_f32_e64 v34, 0x4f800000, |v9|
	v_cmp_gt_f32_e64 vcc_lo, 0xf800000, |v9|
	s_delay_alu instid0(VALU_DEP_1) | instskip(NEXT) | instid1(VALU_DEP_1)
	v_cndmask_b32_e64 v34, |v9|, v34, vcc_lo
	v_sqrt_f32_e32 v35, v34
	s_waitcnt_depctr 0xfff
	v_add_nc_u32_e32 v36, -1, v35
	v_add_nc_u32_e32 v37, 1, v35
	s_delay_alu instid0(VALU_DEP_2) | instskip(NEXT) | instid1(VALU_DEP_2)
	v_fma_f32 v38, -v36, v35, v34
	v_fma_f32 v39, -v37, v35, v34
	s_delay_alu instid0(VALU_DEP_2) | instskip(NEXT) | instid1(VALU_DEP_1)
	v_cmp_ge_f32_e64 s4, 0, v38
	v_cndmask_b32_e64 v35, v35, v36, s4
	s_delay_alu instid0(VALU_DEP_3) | instskip(NEXT) | instid1(VALU_DEP_1)
	v_cmp_lt_f32_e64 s4, 0, v39
	v_cndmask_b32_e64 v35, v35, v37, s4
	s_delay_alu instid0(VALU_DEP_1) | instskip(NEXT) | instid1(VALU_DEP_1)
	v_mul_f32_e32 v36, 0x37800000, v35
	v_cndmask_b32_e32 v35, v35, v36, vcc_lo
	v_cmp_class_f32_e64 vcc_lo, v34, 0x260
	s_delay_alu instid0(VALU_DEP_2)
	v_cndmask_b32_e32 v34, v35, v34, vcc_lo
.LBB57_735:                             ;   in Loop: Header=BB57_401 Depth=1
	s_or_b32 exec_lo, exec_lo, s30
.LBB57_736:                             ;   in Loop: Header=BB57_401 Depth=1
	s_delay_alu instid0(SALU_CYCLE_1) | instskip(NEXT) | instid1(SALU_CYCLE_1)
	s_or_b32 exec_lo, exec_lo, s5
	s_mov_b32 s30, exec_lo
                                        ; implicit-def: $sgpr4
                                        ; implicit-def: $vgpr35
                                        ; implicit-def: $vgpr37
                                        ; implicit-def: $vgpr36
	v_cmpx_ngt_f32_e64 0x21000000, |v8|
	s_xor_b32 s30, exec_lo, s30
	s_cbranch_execz .LBB57_760
; %bb.737:                              ;   in Loop: Header=BB57_401 Depth=1
	v_and_b32_e32 v36, 0x7fffffff, v8
	s_mov_b32 s4, 0
	s_mov_b32 s31, exec_lo
	s_delay_alu instid0(VALU_DEP_1) | instskip(NEXT) | instid1(VALU_DEP_1)
	v_div_scale_f32 v35, null, v28, v28, v36
	v_rcp_f32_e32 v37, v35
	s_waitcnt_depctr 0xfff
	v_fma_f32 v38, -v35, v37, 1.0
	s_delay_alu instid0(VALU_DEP_1) | instskip(SKIP_1) | instid1(VALU_DEP_1)
	v_fmac_f32_e32 v37, v38, v37
	v_div_scale_f32 v38, vcc_lo, v36, v28, v36
	v_mul_f32_e32 v39, v38, v37
	s_delay_alu instid0(VALU_DEP_1) | instskip(NEXT) | instid1(VALU_DEP_1)
	v_fma_f32 v40, -v35, v39, v38
	v_fmac_f32_e32 v39, v40, v37
	s_delay_alu instid0(VALU_DEP_1) | instskip(NEXT) | instid1(VALU_DEP_1)
	v_fma_f32 v35, -v35, v39, v38
	v_div_fmas_f32 v35, v35, v37, v39
                                        ; implicit-def: $vgpr37
	s_delay_alu instid0(VALU_DEP_1) | instskip(NEXT) | instid1(VALU_DEP_1)
	v_div_fixup_f32 v35, v35, v28, |v8|
	v_cmpx_lt_f32_e32 0x3f244674, v35
	s_cbranch_execz .LBB57_759
; %bb.738:                              ;   in Loop: Header=BB57_401 Depth=1
	v_cmp_neq_f32_e64 s4, |v8|, 1.0
	v_cmp_ngt_f32_e64 s5, 0x30800000, |v9|
                                        ; implicit-def: $sgpr33
                                        ; implicit-def: $vgpr37
	s_delay_alu instid0(VALU_DEP_1) | instskip(NEXT) | instid1(SALU_CYCLE_1)
	s_or_b32 s4, s5, s4
	s_and_saveexec_b32 s5, s4
	s_delay_alu instid0(SALU_CYCLE_1)
	s_xor_b32 s5, exec_lo, s5
	s_cbranch_execz .LBB57_756
; %bb.739:                              ;   in Loop: Header=BB57_401 Depth=1
	v_mul_f32_e64 v37, 0x34000000, |v29|
                                        ; implicit-def: $sgpr33
	s_delay_alu instid0(VALU_DEP_1) | instskip(NEXT) | instid1(VALU_DEP_1)
	v_cmp_le_f32_e64 s4, v37, |v9|
                                        ; implicit-def: $vgpr37
	s_and_saveexec_b32 s34, s4
	s_delay_alu instid0(SALU_CYCLE_1)
	s_xor_b32 s34, exec_lo, s34
	s_cbranch_execz .LBB57_749
; %bb.740:                              ;   in Loop: Header=BB57_401 Depth=1
	v_mov_b32_e32 v37, v32
	s_mov_b32 s4, exec_lo
	v_cmpx_neq_f32_e32 0, v30
	s_cbranch_execz .LBB57_742
; %bb.741:                              ;   in Loop: Header=BB57_401 Depth=1
	v_mul_f32_e32 v37, v9, v9
	v_add_f32_e32 v30, v30, v33
	s_delay_alu instid0(VALU_DEP_1) | instskip(NEXT) | instid1(VALU_DEP_1)
	v_div_scale_f32 v33, null, v30, v30, v37
	v_rcp_f32_e32 v38, v33
	s_waitcnt_depctr 0xfff
	v_fma_f32 v39, -v33, v38, 1.0
	s_delay_alu instid0(VALU_DEP_1) | instskip(SKIP_1) | instid1(VALU_DEP_1)
	v_fmac_f32_e32 v38, v39, v38
	v_div_scale_f32 v39, vcc_lo, v37, v30, v37
	v_mul_f32_e32 v40, v39, v38
	s_delay_alu instid0(VALU_DEP_1) | instskip(NEXT) | instid1(VALU_DEP_1)
	v_fma_f32 v41, -v33, v40, v39
	v_fmac_f32_e32 v40, v41, v38
	s_delay_alu instid0(VALU_DEP_1) | instskip(NEXT) | instid1(VALU_DEP_1)
	v_fma_f32 v33, -v33, v40, v39
	v_div_fmas_f32 v33, v33, v38, v40
	s_delay_alu instid0(VALU_DEP_1)
	v_div_fixup_f32 v37, v33, v30, v37
.LBB57_742:                             ;   in Loop: Header=BB57_401 Depth=1
	s_or_b32 exec_lo, exec_lo, s4
	s_delay_alu instid0(SALU_CYCLE_1)
	s_mov_b32 s4, exec_lo
	v_cmpx_ngt_f32_e32 0, v29
	s_xor_b32 s4, exec_lo, s4
	s_cbranch_execz .LBB57_746
; %bb.743:                              ;   in Loop: Header=BB57_401 Depth=1
	s_mov_b32 s33, exec_lo
	v_cmpx_neq_f32_e32 0, v29
	s_cbranch_execz .LBB57_745
; %bb.744:                              ;   in Loop: Header=BB57_401 Depth=1
	v_mul_f32_e32 v30, v9, v9
	v_add_f32_e32 v29, v29, v31
	s_delay_alu instid0(VALU_DEP_1) | instskip(NEXT) | instid1(VALU_DEP_1)
	v_div_scale_f32 v31, null, v29, v29, v30
	v_rcp_f32_e32 v32, v31
	s_waitcnt_depctr 0xfff
	v_fma_f32 v33, -v31, v32, 1.0
	s_delay_alu instid0(VALU_DEP_1) | instskip(SKIP_1) | instid1(VALU_DEP_1)
	v_fmac_f32_e32 v32, v33, v32
	v_div_scale_f32 v33, vcc_lo, v30, v29, v30
	v_mul_f32_e32 v38, v33, v32
	s_delay_alu instid0(VALU_DEP_1) | instskip(NEXT) | instid1(VALU_DEP_1)
	v_fma_f32 v39, -v31, v38, v33
	v_fmac_f32_e32 v38, v39, v32
	s_delay_alu instid0(VALU_DEP_1) | instskip(NEXT) | instid1(VALU_DEP_1)
	v_fma_f32 v31, -v31, v38, v33
	v_div_fmas_f32 v31, v31, v32, v38
	s_delay_alu instid0(VALU_DEP_1)
	v_div_fixup_f32 v32, v31, v29, v30
.LBB57_745:                             ;   in Loop: Header=BB57_401 Depth=1
	s_or_b32 exec_lo, exec_lo, s33
                                        ; implicit-def: $vgpr31
                                        ; implicit-def: $vgpr29
.LBB57_746:                             ;   in Loop: Header=BB57_401 Depth=1
	s_and_not1_saveexec_b32 s4, s4
; %bb.747:                              ;   in Loop: Header=BB57_401 Depth=1
	v_sub_f32_e32 v32, v31, v29
; %bb.748:                              ;   in Loop: Header=BB57_401 Depth=1
	s_or_b32 exec_lo, exec_lo, s4
	s_delay_alu instid0(VALU_DEP_1) | instskip(SKIP_2) | instid1(VALU_DEP_2)
	v_mul_f32_e32 v29, 0.5, v32
	v_add_f32_e64 v28, |v8|, v28
	s_mov_b32 s33, -1
	v_fmac_f32_e32 v29, 0.5, v37
	s_delay_alu instid0(VALU_DEP_1) | instskip(NEXT) | instid1(VALU_DEP_1)
	v_mul_f32_e32 v28, v28, v29
	v_mul_f32_e32 v29, 0x4f800000, v28
	v_cmp_gt_f32_e32 vcc_lo, 0xf800000, v28
	s_delay_alu instid0(VALU_DEP_2) | instskip(NEXT) | instid1(VALU_DEP_1)
	v_cndmask_b32_e32 v28, v28, v29, vcc_lo
	v_sqrt_f32_e32 v29, v28
	s_waitcnt_depctr 0xfff
	v_add_nc_u32_e32 v30, -1, v29
	v_add_nc_u32_e32 v31, 1, v29
	s_delay_alu instid0(VALU_DEP_2) | instskip(NEXT) | instid1(VALU_DEP_2)
	v_fma_f32 v32, -v30, v29, v28
	v_fma_f32 v33, -v31, v29, v28
	s_delay_alu instid0(VALU_DEP_2) | instskip(NEXT) | instid1(VALU_DEP_1)
	v_cmp_ge_f32_e64 s4, 0, v32
	v_cndmask_b32_e64 v29, v29, v30, s4
	s_delay_alu instid0(VALU_DEP_3) | instskip(NEXT) | instid1(VALU_DEP_1)
	v_cmp_lt_f32_e64 s4, 0, v33
	v_cndmask_b32_e64 v29, v29, v31, s4
	s_delay_alu instid0(VALU_DEP_1) | instskip(NEXT) | instid1(VALU_DEP_1)
	v_mul_f32_e32 v30, 0x37800000, v29
	v_cndmask_b32_e32 v29, v29, v30, vcc_lo
	v_cmp_class_f32_e64 vcc_lo, v28, 0x260
                                        ; implicit-def: $vgpr30
	s_delay_alu instid0(VALU_DEP_2)
	v_cndmask_b32_e32 v37, v29, v28, vcc_lo
                                        ; implicit-def: $vgpr29
.LBB57_749:                             ;   in Loop: Header=BB57_401 Depth=1
	s_and_not1_saveexec_b32 s34, s34
	s_cbranch_execz .LBB57_755
; %bb.750:                              ;   in Loop: Header=BB57_401 Depth=1
	s_mov_b32 s36, exec_lo
                                        ; implicit-def: $vgpr37
                                        ; implicit-def: $sgpr35
	v_cmpx_ngt_f32_e64 |v8|, 1.0
	s_xor_b32 s36, exec_lo, s36
	s_cbranch_execz .LBB57_752
; %bb.751:                              ;   in Loop: Header=BB57_401 Depth=1
	v_sub_f32_e64 v28, 1.0, |v8|
	s_mov_b32 s35, -1
	s_delay_alu instid0(VALU_DEP_1) | instskip(NEXT) | instid1(VALU_DEP_1)
	v_mul_f32_e32 v28, v28, v30
	v_mul_f32_e32 v29, 0x4f800000, v28
	v_cmp_gt_f32_e32 vcc_lo, 0xf800000, v28
	s_delay_alu instid0(VALU_DEP_2) | instskip(NEXT) | instid1(VALU_DEP_1)
	v_cndmask_b32_e32 v28, v28, v29, vcc_lo
	v_sqrt_f32_e32 v29, v28
	s_waitcnt_depctr 0xfff
	v_add_nc_u32_e32 v30, -1, v29
	v_add_nc_u32_e32 v31, 1, v29
	s_delay_alu instid0(VALU_DEP_2) | instskip(NEXT) | instid1(VALU_DEP_2)
	v_fma_f32 v32, -v30, v29, v28
	v_fma_f32 v33, -v31, v29, v28
	s_delay_alu instid0(VALU_DEP_2) | instskip(NEXT) | instid1(VALU_DEP_1)
	v_cmp_ge_f32_e64 s4, 0, v32
	v_cndmask_b32_e64 v29, v29, v30, s4
	s_delay_alu instid0(VALU_DEP_3) | instskip(NEXT) | instid1(VALU_DEP_1)
	v_cmp_lt_f32_e64 s4, 0, v33
	v_cndmask_b32_e64 v29, v29, v31, s4
	s_delay_alu instid0(VALU_DEP_1) | instskip(NEXT) | instid1(VALU_DEP_1)
	v_mul_f32_e32 v30, 0x37800000, v29
	v_cndmask_b32_e32 v29, v29, v30, vcc_lo
	v_cmp_class_f32_e64 vcc_lo, v28, 0x260
                                        ; implicit-def: $vgpr30
	s_delay_alu instid0(VALU_DEP_2)
	v_cndmask_b32_e32 v37, v29, v28, vcc_lo
                                        ; implicit-def: $vgpr29
.LBB57_752:                             ;   in Loop: Header=BB57_401 Depth=1
	s_and_not1_saveexec_b32 s36, s36
	s_cbranch_execz .LBB57_754
; %bb.753:                              ;   in Loop: Header=BB57_401 Depth=1
	v_mul_f32_e32 v28, v30, v29
	s_or_b32 s35, s35, exec_lo
	s_delay_alu instid0(VALU_DEP_1) | instskip(SKIP_1) | instid1(VALU_DEP_2)
	v_mul_f32_e32 v29, 0x4f800000, v28
	v_cmp_gt_f32_e32 vcc_lo, 0xf800000, v28
	v_cndmask_b32_e32 v28, v28, v29, vcc_lo
	s_delay_alu instid0(VALU_DEP_1) | instskip(SKIP_3) | instid1(VALU_DEP_2)
	v_sqrt_f32_e32 v29, v28
	s_waitcnt_depctr 0xfff
	v_add_nc_u32_e32 v30, -1, v29
	v_add_nc_u32_e32 v31, 1, v29
	v_fma_f32 v32, -v30, v29, v28
	s_delay_alu instid0(VALU_DEP_2) | instskip(NEXT) | instid1(VALU_DEP_2)
	v_fma_f32 v33, -v31, v29, v28
	v_cmp_ge_f32_e64 s4, 0, v32
	s_delay_alu instid0(VALU_DEP_1) | instskip(NEXT) | instid1(VALU_DEP_3)
	v_cndmask_b32_e64 v29, v29, v30, s4
	v_cmp_lt_f32_e64 s4, 0, v33
	s_delay_alu instid0(VALU_DEP_1) | instskip(SKIP_1) | instid1(VALU_DEP_2)
	v_cndmask_b32_e64 v29, v29, v31, s4
	v_mul_f32_e64 v31, 0x57800000, |v9|
	v_mul_f32_e32 v30, 0x37800000, v29
	s_delay_alu instid0(VALU_DEP_1) | instskip(SKIP_1) | instid1(VALU_DEP_4)
	v_cndmask_b32_e32 v29, v29, v30, vcc_lo
	v_cmp_class_f32_e64 vcc_lo, v28, 0x260
	v_mul_f32_e64 v30, |v8|, v31
	s_delay_alu instid0(VALU_DEP_3) | instskip(NEXT) | instid1(VALU_DEP_1)
	v_cndmask_b32_e32 v28, v29, v28, vcc_lo
	v_div_scale_f32 v29, null, v28, v28, v30
	v_div_scale_f32 v33, vcc_lo, v30, v28, v30
	s_delay_alu instid0(VALU_DEP_2) | instskip(SKIP_2) | instid1(VALU_DEP_1)
	v_rcp_f32_e32 v31, v29
	s_waitcnt_depctr 0xfff
	v_fma_f32 v32, -v29, v31, 1.0
	v_fmac_f32_e32 v31, v32, v31
	s_delay_alu instid0(VALU_DEP_1) | instskip(NEXT) | instid1(VALU_DEP_1)
	v_mul_f32_e32 v32, v33, v31
	v_fma_f32 v36, -v29, v32, v33
	s_delay_alu instid0(VALU_DEP_1) | instskip(SKIP_1) | instid1(VALU_DEP_2)
	v_fmac_f32_e32 v32, v36, v31
	v_mul_f32_e64 v36, 0x57800000, |v8|
	v_fma_f32 v29, -v29, v32, v33
	s_delay_alu instid0(VALU_DEP_1) | instskip(NEXT) | instid1(VALU_DEP_1)
	v_div_fmas_f32 v29, v29, v31, v32
	v_div_fixup_f32 v37, v29, v28, v30
.LBB57_754:                             ;   in Loop: Header=BB57_401 Depth=1
	s_or_b32 exec_lo, exec_lo, s36
	s_delay_alu instid0(SALU_CYCLE_1) | instskip(SKIP_1) | instid1(SALU_CYCLE_1)
	s_and_not1_b32 s4, s33, exec_lo
	s_and_b32 s33, s35, exec_lo
	s_or_b32 s33, s4, s33
.LBB57_755:                             ;   in Loop: Header=BB57_401 Depth=1
	s_or_b32 exec_lo, exec_lo, s34
	s_delay_alu instid0(SALU_CYCLE_1)
	s_and_b32 s33, s33, exec_lo
                                        ; implicit-def: $vgpr28
.LBB57_756:                             ;   in Loop: Header=BB57_401 Depth=1
	s_and_not1_saveexec_b32 s34, s5
	s_cbranch_execz .LBB57_758
; %bb.757:                              ;   in Loop: Header=BB57_401 Depth=1
	v_add_f32_e32 v28, 1.0, v28
	v_mul_f32_e64 v29, 0x4f800000, |v9|
	v_cmp_gt_f32_e64 vcc_lo, 0xf800000, |v9|
	s_or_b32 s33, s33, exec_lo
	s_delay_alu instid0(VALU_DEP_3) | instskip(NEXT) | instid1(VALU_DEP_2)
	v_mul_f32_e32 v28, 0.5, v28
	v_cndmask_b32_e64 v29, |v9|, v29, vcc_lo
	s_delay_alu instid0(VALU_DEP_2) | instskip(SKIP_1) | instid1(VALU_DEP_1)
	v_mul_f32_e32 v30, 0x4f800000, v28
	v_cmp_gt_f32_e64 s4, 0xf800000, v28
	v_cndmask_b32_e64 v28, v28, v30, s4
	s_delay_alu instid0(VALU_DEP_4) | instskip(NEXT) | instid1(VALU_DEP_1)
	v_sqrt_f32_e32 v30, v29
	v_sqrt_f32_e32 v31, v28
	s_waitcnt_depctr 0xfff
	v_add_nc_u32_e32 v32, -1, v30
	v_add_nc_u32_e32 v36, 1, v30
	v_add_nc_u32_e32 v33, -1, v31
	s_delay_alu instid0(VALU_DEP_3) | instskip(SKIP_1) | instid1(VALU_DEP_4)
	v_fma_f32 v37, -v32, v30, v29
	v_add_nc_u32_e32 v38, 1, v31
	v_fma_f32 v40, -v36, v30, v29
	s_delay_alu instid0(VALU_DEP_4) | instskip(NEXT) | instid1(VALU_DEP_4)
	v_fma_f32 v39, -v33, v31, v28
	v_cmp_ge_f32_e64 s5, 0, v37
	s_delay_alu instid0(VALU_DEP_1) | instskip(NEXT) | instid1(VALU_DEP_3)
	v_cndmask_b32_e64 v30, v30, v32, s5
	v_cmp_ge_f32_e64 s5, 0, v39
	v_fma_f32 v32, -v38, v31, v28
	s_delay_alu instid0(VALU_DEP_2) | instskip(SKIP_1) | instid1(VALU_DEP_1)
	v_cndmask_b32_e64 v31, v31, v33, s5
	v_cmp_lt_f32_e64 s5, 0, v40
	v_cndmask_b32_e64 v30, v30, v36, s5
	s_delay_alu instid0(VALU_DEP_4) | instskip(SKIP_1) | instid1(VALU_DEP_3)
	v_cmp_lt_f32_e64 s5, 0, v32
	v_mov_b32_e32 v36, 1.0
	v_mul_f32_e32 v32, 0x37800000, v30
	s_delay_alu instid0(VALU_DEP_3) | instskip(NEXT) | instid1(VALU_DEP_1)
	v_cndmask_b32_e64 v31, v31, v38, s5
	v_dual_cndmask_b32 v30, v30, v32 :: v_dual_mul_f32 v33, 0x37800000, v31
	v_cmp_class_f32_e64 vcc_lo, v29, 0x260
	s_delay_alu instid0(VALU_DEP_2) | instskip(NEXT) | instid1(VALU_DEP_3)
	v_cndmask_b32_e64 v31, v31, v33, s4
	v_cndmask_b32_e32 v29, v30, v29, vcc_lo
	v_cmp_class_f32_e64 vcc_lo, v28, 0x260
	s_delay_alu instid0(VALU_DEP_3) | instskip(NEXT) | instid1(VALU_DEP_1)
	v_cndmask_b32_e32 v28, v31, v28, vcc_lo
	v_mul_f32_e32 v37, v29, v28
.LBB57_758:                             ;   in Loop: Header=BB57_401 Depth=1
	s_or_b32 exec_lo, exec_lo, s34
	s_delay_alu instid0(SALU_CYCLE_1)
	s_and_b32 s4, s33, exec_lo
.LBB57_759:                             ;   in Loop: Header=BB57_401 Depth=1
	s_or_b32 exec_lo, exec_lo, s31
	s_delay_alu instid0(SALU_CYCLE_1)
	s_and_b32 s4, s4, exec_lo
                                        ; implicit-def: $vgpr28
.LBB57_760:                             ;   in Loop: Header=BB57_401 Depth=1
	s_and_not1_saveexec_b32 s5, s30
; %bb.761:                              ;   in Loop: Header=BB57_401 Depth=1
	v_mul_f32_e32 v37, 0x4b800000, v28
	v_mul_f32_e64 v36, 0x4b800000, |v8|
	s_or_b32 s4, s4, exec_lo
                                        ; implicit-def: $vgpr35
; %bb.762:                              ;   in Loop: Header=BB57_401 Depth=1
	s_or_b32 exec_lo, exec_lo, s5
	s_xor_b32 s4, s4, -1
                                        ; implicit-def: $vgpr28
	s_delay_alu instid0(SALU_CYCLE_1) | instskip(NEXT) | instid1(SALU_CYCLE_1)
	s_and_saveexec_b32 s5, s4
	s_xor_b32 s4, exec_lo, s5
	s_cbranch_execz .LBB57_764
; %bb.763:                              ;   in Loop: Header=BB57_401 Depth=1
	v_fma_f32 v28, |v35|, -0.5, 0.5
	v_mul_f32_e32 v29, v35, v35
	v_cmp_ge_f32_e64 vcc_lo, |v35|, 0.5
                                        ; implicit-def: $vgpr36
                                        ; implicit-def: $vgpr37
	s_delay_alu instid0(VALU_DEP_2) | instskip(SKIP_1) | instid1(VALU_DEP_2)
	v_cndmask_b32_e32 v28, v29, v28, vcc_lo
	v_cmp_lt_f32_e64 vcc_lo, |v35|, 0.5
	v_fmaak_f32 v29, s25, v28, 0x3c5fc5da
	v_sqrt_f32_e32 v30, v28
	s_delay_alu instid0(VALU_DEP_1) | instskip(NEXT) | instid1(VALU_DEP_1)
	v_fmaak_f32 v29, v28, v29, 0x3d034c3c
	v_fmaak_f32 v29, v28, v29, 0x3d3641b1
	s_delay_alu instid0(VALU_DEP_1) | instskip(NEXT) | instid1(VALU_DEP_1)
	v_fmaak_f32 v29, v28, v29, 0x3d999bc8
	v_fmaak_f32 v29, v28, v29, 0x3e2aaaac
	s_delay_alu instid0(VALU_DEP_1) | instskip(SKIP_3) | instid1(VALU_DEP_2)
	v_mul_f32_e32 v28, v28, v29
	s_waitcnt_depctr 0xfff
	v_fmac_f32_e32 v30, v30, v28
	v_fma_f32 v28, |v35|, v28, |v35|
	v_add_f32_e32 v29, v30, v30
	s_delay_alu instid0(VALU_DEP_1) | instskip(NEXT) | instid1(VALU_DEP_1)
	v_sub_f32_e32 v29, 0x3fc90fdb, v29
	v_cndmask_b32_e32 v28, v29, v28, vcc_lo
	s_delay_alu instid0(VALU_DEP_1)
	v_bfi_b32 v28, 0x7fffffff, v28, v35
.LBB57_764:                             ;   in Loop: Header=BB57_401 Depth=1
	s_and_not1_saveexec_b32 s30, s4
	s_cbranch_execz .LBB57_766
; %bb.765:                              ;   in Loop: Header=BB57_401 Depth=1
	v_max_f32_e32 v28, v36, v36
	v_max_f32_e64 v29, |v37|, |v37|
	v_cmp_gt_f32_e64 vcc_lo, v36, |v37|
	v_cmp_eq_f32_e64 s5, 0, v36
	v_cmp_class_f32_e64 s31, v37, 0x204
	v_cmp_eq_f32_e64 s4, 0x7f800000, v36
	v_max_f32_e32 v30, v29, v28
	v_min_f32_e32 v28, v29, v28
	s_delay_alu instid0(VALU_DEP_2) | instskip(SKIP_1) | instid1(VALU_DEP_2)
	v_frexp_mant_f32_e32 v31, v30
	v_frexp_exp_i32_f32_e32 v30, v30
	v_rcp_f32_e32 v29, v31
	s_delay_alu instid0(VALU_DEP_3) | instskip(SKIP_1) | instid1(VALU_DEP_2)
	v_frexp_exp_i32_f32_e32 v31, v28
	v_frexp_mant_f32_e32 v28, v28
	v_sub_nc_u32_e32 v30, v31, v30
	s_waitcnt_depctr 0xfff
	v_mul_f32_e32 v28, v28, v29
	s_delay_alu instid0(VALU_DEP_1) | instskip(NEXT) | instid1(VALU_DEP_1)
	v_ldexp_f32 v28, v28, v30
	v_mul_f32_e32 v29, v28, v28
	s_delay_alu instid0(VALU_DEP_1) | instskip(NEXT) | instid1(VALU_DEP_1)
	v_fmaak_f32 v30, s26, v29, 0xbc7a590c
	v_fmaak_f32 v30, v29, v30, 0x3d29fb3f
	s_delay_alu instid0(VALU_DEP_1) | instskip(NEXT) | instid1(VALU_DEP_1)
	v_fmaak_f32 v30, v29, v30, 0xbd97d4d7
	v_fmaak_f32 v30, v29, v30, 0x3dd931b2
	;; [unrolled: 3-line block ×3, first 2 shown]
	s_delay_alu instid0(VALU_DEP_1) | instskip(NEXT) | instid1(VALU_DEP_1)
	v_fmaak_f32 v30, v29, v30, 0xbeaaaa62
	v_mul_f32_e32 v29, v29, v30
	s_delay_alu instid0(VALU_DEP_1) | instskip(NEXT) | instid1(VALU_DEP_1)
	v_fmac_f32_e32 v28, v28, v29
	v_sub_f32_e32 v29, 0x3fc90fdb, v28
	s_delay_alu instid0(VALU_DEP_1) | instskip(SKIP_1) | instid1(VALU_DEP_2)
	v_cndmask_b32_e32 v28, v28, v29, vcc_lo
	v_cmp_gt_i32_e32 vcc_lo, 0, v37
	v_sub_f32_e32 v29, 0x40490fdb, v28
	v_cndmask_b32_e64 v30, 0, 0x40490fdb, vcc_lo
	v_cmp_gt_f32_e32 vcc_lo, 0, v37
	s_delay_alu instid0(VALU_DEP_3) | instskip(SKIP_2) | instid1(VALU_DEP_2)
	v_cndmask_b32_e32 v28, v28, v29, vcc_lo
	v_cndmask_b32_e32 v29, 0x3f490fdb, v27, vcc_lo
	s_and_b32 vcc_lo, s4, s31
	v_cndmask_b32_e64 v28, v28, v30, s5
	s_delay_alu instid0(VALU_DEP_1) | instskip(SKIP_1) | instid1(VALU_DEP_2)
	v_cndmask_b32_e32 v28, v28, v29, vcc_lo
	v_cmp_o_f32_e32 vcc_lo, v37, v36
	v_cndmask_b32_e64 v28, 0x7fc00000, |v28|, vcc_lo
.LBB57_766:                             ;   in Loop: Header=BB57_401 Depth=1
	s_or_b32 exec_lo, exec_lo, s30
	v_bfi_b32 v9, 0x7fffffff, v34, v9
	s_delay_alu instid0(VALU_DEP_2)
	v_bfi_b32 v8, 0x7fffffff, v28, v8
.LBB57_767:                             ;   in Loop: Header=BB57_401 Depth=1
	s_or_b32 exec_lo, exec_lo, s29
.LBB57_768:                             ;   in Loop: Header=BB57_401 Depth=1
	s_delay_alu instid0(SALU_CYCLE_1)
	s_or_b32 exec_lo, exec_lo, s28
                                        ; implicit-def: $vgpr28
                                        ; implicit-def: $vgpr30
                                        ; implicit-def: $vgpr29
.LBB57_769:                             ;   in Loop: Header=BB57_401 Depth=1
	s_and_not1_saveexec_b32 s27, s27
	s_cbranch_execz .LBB57_791
; %bb.770:                              ;   in Loop: Header=BB57_401 Depth=1
                                        ; implicit-def: $vgpr31
                                        ; implicit-def: $vgpr32
	s_mov_b32 s4, exec_lo
	v_cmpx_lt_i32_e32 -1, v9
	s_xor_b32 s28, exec_lo, s4
	s_cbranch_execz .LBB57_780
; %bb.771:                              ;   in Loop: Header=BB57_401 Depth=1
	v_cmp_lt_f32_e64 s4, |v9|, |v8|
                                        ; implicit-def: $vgpr31
                                        ; implicit-def: $vgpr32
	s_mov_b32 s5, exec_lo
	s_delay_alu instid0(VALU_DEP_1) | instskip(NEXT) | instid1(VALU_DEP_1)
	v_cndmask_b32_e64 v33, |v9|, |v8|, s4
	v_cmpx_nlt_f32_e32 0x7effffff, v33
	s_xor_b32 s29, exec_lo, s5
	s_cbranch_execz .LBB57_777
; %bb.772:                              ;   in Loop: Header=BB57_401 Depth=1
	v_cndmask_b32_e64 v34, |v8|, |v9|, s4
	v_cmp_nlt_f32_e32 vcc_lo, 0x5e000000, v33
                                        ; implicit-def: $vgpr31
                                        ; implicit-def: $vgpr32
	s_delay_alu instid0(VALU_DEP_2) | instskip(NEXT) | instid1(VALU_DEP_1)
	v_cmp_ngt_f32_e64 s5, 0x20000000, v34
	s_and_b32 s5, vcc_lo, s5
	s_delay_alu instid0(SALU_CYCLE_1) | instskip(NEXT) | instid1(SALU_CYCLE_1)
	s_and_saveexec_b32 s30, s5
	s_xor_b32 s30, exec_lo, s30
	s_cbranch_execz .LBB57_774
; %bb.773:                              ;   in Loop: Header=BB57_401 Depth=1
	s_waitcnt lgkmcnt(0)
	v_frexp_mant_f32_e32 v31, v29
	v_min_f32_e32 v28, v28, v30
	v_frexp_exp_i32_f32_e32 v29, v29
	s_delay_alu instid0(VALU_DEP_3) | instskip(SKIP_1) | instid1(VALU_DEP_1)
	v_rcp_f32_e32 v30, v31
	v_mul_f32_e32 v31, v34, v34
	v_fmac_f32_e32 v31, v33, v33
	v_frexp_mant_f32_e32 v32, v28
	v_frexp_exp_i32_f32_e32 v28, v28
	s_delay_alu instid0(VALU_DEP_3) | instskip(SKIP_4) | instid1(VALU_DEP_2)
	v_cmp_gt_f32_e32 vcc_lo, 0x800000, v31
	s_waitcnt_depctr 0xfff
	v_mul_f32_e32 v30, v32, v30
	v_sub_nc_u32_e32 v28, v28, v29
	v_cndmask_b32_e64 v29, 1.0, 0x4f800000, vcc_lo
	v_ldexp_f32 v32, v30, v28
	s_delay_alu instid0(VALU_DEP_1) | instskip(NEXT) | instid1(VALU_DEP_1)
	v_dual_mul_f32 v28, v31, v29 :: v_dual_mul_f32 v29, v32, v32
	v_log_f32_e32 v28, v28
	s_delay_alu instid0(VALU_DEP_1) | instskip(SKIP_3) | instid1(VALU_DEP_2)
	v_fmaak_f32 v30, s26, v29, 0xbc7a590c
	s_waitcnt_depctr 0xfff
	v_mul_f32_e32 v31, 0x3f317217, v28
	v_cmp_gt_f32_e64 s5, 0x7f800000, |v28|
	v_fma_f32 v33, 0x3f317217, v28, -v31
	s_delay_alu instid0(VALU_DEP_1) | instskip(NEXT) | instid1(VALU_DEP_1)
	v_fmac_f32_e32 v33, 0x3377d1cf, v28
	v_dual_fmaak_f32 v30, v29, v30, 0x3d29fb3f :: v_dual_add_f32 v31, v31, v33
	s_delay_alu instid0(VALU_DEP_1) | instskip(SKIP_1) | instid1(VALU_DEP_1)
	v_cndmask_b32_e64 v28, v28, v31, s5
	v_cndmask_b32_e64 v31, 0, 0x41b17218, vcc_lo
	v_sub_f32_e32 v28, v28, v31
	s_delay_alu instid0(VALU_DEP_1) | instskip(NEXT) | instid1(VALU_DEP_1)
	v_dual_fmaak_f32 v30, v29, v30, 0xbd97d4d7 :: v_dual_mul_f32 v31, 0.5, v28
	v_fmaak_f32 v30, v29, v30, 0x3dd931b2
                                        ; implicit-def: $vgpr28
	s_delay_alu instid0(VALU_DEP_1) | instskip(NEXT) | instid1(VALU_DEP_1)
	v_fmaak_f32 v30, v29, v30, 0xbe1160e6
	v_fmaak_f32 v30, v29, v30, 0x3e4cb8bf
	s_delay_alu instid0(VALU_DEP_1) | instskip(NEXT) | instid1(VALU_DEP_1)
	v_fmaak_f32 v30, v29, v30, 0xbeaaaa62
	v_mul_f32_e32 v29, v29, v30
                                        ; implicit-def: $vgpr30
	s_delay_alu instid0(VALU_DEP_1)
	v_fmac_f32_e32 v32, v32, v29
                                        ; implicit-def: $vgpr29
.LBB57_774:                             ;   in Loop: Header=BB57_401 Depth=1
	s_and_not1_saveexec_b32 s5, s30
	s_cbranch_execz .LBB57_776
; %bb.775:                              ;   in Loop: Header=BB57_401 Depth=1
	s_waitcnt lgkmcnt(0)
	v_cvt_f64_f32_e32 v[31:32], v29
	v_cmp_neq_f32_e32 vcc_lo, 0x7f800000, v29
	v_min_f32_e32 v28, v28, v30
	s_delay_alu instid0(VALU_DEP_1) | instskip(SKIP_2) | instid1(VALU_DEP_1)
	v_frexp_exp_i32_f32_e32 v34, v28
	v_frexp_mant_f32_e32 v28, v28
	v_frexp_exp_i32_f64_e32 v31, v[31:32]
	v_sub_nc_u32_e32 v32, 0, v31
	s_delay_alu instid0(VALU_DEP_1) | instskip(SKIP_1) | instid1(VALU_DEP_2)
	v_ldexp_f32 v33, |v8|, v32
	v_ldexp_f32 v32, |v9|, v32
	v_mul_f32_e32 v33, v33, v33
	s_delay_alu instid0(VALU_DEP_1) | instskip(SKIP_1) | instid1(VALU_DEP_2)
	v_fmac_f32_e32 v33, v32, v32
	v_frexp_mant_f32_e32 v32, v29
	v_sqrt_f32_e32 v33, v33
	s_delay_alu instid0(VALU_DEP_1) | instskip(SKIP_1) | instid1(VALU_DEP_1)
	v_rcp_f32_e32 v30, v32
	v_frexp_exp_i32_f32_e32 v32, v29
	v_sub_nc_u32_e32 v32, v34, v32
	s_waitcnt_depctr 0xfff
	v_ldexp_f32 v31, v33, v31
	s_delay_alu instid0(VALU_DEP_1) | instskip(NEXT) | instid1(VALU_DEP_1)
	v_dual_mul_f32 v28, v28, v30 :: v_dual_cndmask_b32 v29, 0x7f800000, v31
	v_ldexp_f32 v32, v28, v32
	s_delay_alu instid0(VALU_DEP_2) | instskip(SKIP_1) | instid1(VALU_DEP_1)
	v_cmp_gt_f32_e32 vcc_lo, 0x800000, v29
	v_cndmask_b32_e64 v28, 1.0, 0x4f800000, vcc_lo
	v_mul_f32_e32 v28, v29, v28
	s_delay_alu instid0(VALU_DEP_1) | instskip(SKIP_2) | instid1(VALU_DEP_1)
	v_log_f32_e32 v28, v28
	s_waitcnt_depctr 0xfff
	v_mul_f32_e32 v31, 0x3f317217, v28
	v_fma_f32 v33, 0x3f317217, v28, -v31
	s_delay_alu instid0(VALU_DEP_1) | instskip(NEXT) | instid1(VALU_DEP_1)
	v_fmac_f32_e32 v33, 0x3377d1cf, v28
	v_dual_mul_f32 v30, v32, v32 :: v_dual_add_f32 v31, v31, v33
	s_delay_alu instid0(VALU_DEP_1) | instskip(SKIP_2) | instid1(VALU_DEP_3)
	v_fmaak_f32 v29, s26, v30, 0xbc7a590c
	v_cndmask_b32_e64 v33, 0, 0x41b17218, vcc_lo
	v_cmp_gt_f32_e64 vcc_lo, 0x7f800000, |v28|
	v_dual_fmaak_f32 v29, v30, v29, 0x3d29fb3f :: v_dual_cndmask_b32 v28, v28, v31
	s_delay_alu instid0(VALU_DEP_1) | instskip(NEXT) | instid1(VALU_DEP_2)
	v_fmaak_f32 v29, v30, v29, 0xbd97d4d7
	v_sub_f32_e32 v31, v28, v33
	s_delay_alu instid0(VALU_DEP_2) | instskip(NEXT) | instid1(VALU_DEP_1)
	v_fmaak_f32 v29, v30, v29, 0x3dd931b2
	v_fmaak_f32 v29, v30, v29, 0xbe1160e6
	s_delay_alu instid0(VALU_DEP_1) | instskip(NEXT) | instid1(VALU_DEP_1)
	v_fmaak_f32 v29, v30, v29, 0x3e4cb8bf
	v_fmaak_f32 v29, v30, v29, 0xbeaaaa62
	s_delay_alu instid0(VALU_DEP_1) | instskip(NEXT) | instid1(VALU_DEP_1)
	v_mul_f32_e32 v29, v30, v29
	v_fmac_f32_e32 v32, v32, v29
.LBB57_776:                             ;   in Loop: Header=BB57_401 Depth=1
	s_or_b32 exec_lo, exec_lo, s5
                                        ; implicit-def: $vgpr28
                                        ; implicit-def: $vgpr30
                                        ; implicit-def: $vgpr29
.LBB57_777:                             ;   in Loop: Header=BB57_401 Depth=1
	s_and_not1_saveexec_b32 s29, s29
	s_cbranch_execz .LBB57_779
; %bb.778:                              ;   in Loop: Header=BB57_401 Depth=1
	v_div_scale_f32 v31, null, 0x402df854, 0x402df854, v9
	v_div_scale_f32 v32, null, 0x402df854, 0x402df854, v8
	v_div_scale_f32 v37, vcc_lo, v9, 0x402df854, v9
	s_delay_alu instid0(VALU_DEP_3) | instskip(NEXT) | instid1(VALU_DEP_2)
	v_rcp_f32_e32 v33, v31
	v_rcp_f32_e32 v34, v32
	v_min_f32_e32 v28, v28, v30
	s_waitcnt_depctr 0xfff
	v_fma_f32 v35, -v31, v33, 1.0
	v_fma_f32 v36, -v32, v34, 1.0
	s_delay_alu instid0(VALU_DEP_1) | instskip(SKIP_1) | instid1(VALU_DEP_2)
	v_dual_fmac_f32 v33, v35, v33 :: v_dual_fmac_f32 v34, v36, v34
	v_div_scale_f32 v35, s5, v8, 0x402df854, v8
	v_mul_f32_e32 v36, v37, v33
	s_delay_alu instid0(VALU_DEP_2) | instskip(NEXT) | instid1(VALU_DEP_2)
	v_mul_f32_e32 v38, v35, v34
	v_fma_f32 v39, -v31, v36, v37
	s_delay_alu instid0(VALU_DEP_2) | instskip(NEXT) | instid1(VALU_DEP_2)
	v_fma_f32 v40, -v32, v38, v35
	v_fmac_f32_e32 v36, v39, v33
	s_delay_alu instid0(VALU_DEP_2) | instskip(NEXT) | instid1(VALU_DEP_2)
	v_fmac_f32_e32 v38, v40, v34
	v_fma_f32 v31, -v31, v36, v37
	s_delay_alu instid0(VALU_DEP_2) | instskip(NEXT) | instid1(VALU_DEP_2)
	v_fma_f32 v32, -v32, v38, v35
	v_div_fmas_f32 v31, v31, v33, v36
	s_mov_b32 vcc_lo, s5
	s_delay_alu instid0(VALU_DEP_2) | instskip(NEXT) | instid1(VALU_DEP_2)
	v_div_fmas_f32 v32, v32, v34, v38
	v_div_fixup_f32 v33, v31, 0x402df854, v9
	s_delay_alu instid0(VALU_DEP_2) | instskip(NEXT) | instid1(VALU_DEP_1)
	v_div_fixup_f32 v34, v32, 0x402df854, v8
	v_max_f32_e64 v35, |v33|, |v34|
	s_delay_alu instid0(VALU_DEP_1) | instskip(SKIP_1) | instid1(VALU_DEP_2)
	v_cvt_f64_f32_e32 v[31:32], v35
	v_cmp_neq_f32_e32 vcc_lo, 0x7f800000, v35
	v_frexp_exp_i32_f64_e32 v31, v[31:32]
	s_delay_alu instid0(VALU_DEP_1) | instskip(NEXT) | instid1(VALU_DEP_1)
	v_sub_nc_u32_e32 v32, 0, v31
	v_ldexp_f32 v34, |v34|, v32
	v_ldexp_f32 v32, |v33|, v32
	s_delay_alu instid0(VALU_DEP_2) | instskip(NEXT) | instid1(VALU_DEP_1)
	v_mul_f32_e32 v33, v34, v34
	v_fmac_f32_e32 v33, v32, v32
	s_delay_alu instid0(VALU_DEP_1) | instskip(SKIP_3) | instid1(VALU_DEP_2)
	v_sqrt_f32_e32 v32, v33
	s_waitcnt lgkmcnt(0)
	v_frexp_mant_f32_e32 v33, v29
	v_frexp_exp_i32_f32_e32 v29, v29
	v_rcp_f32_e32 v30, v33
	s_waitcnt_depctr 0xfff
	v_ldexp_f32 v31, v32, v31
	v_frexp_exp_i32_f32_e32 v32, v28
	v_frexp_mant_f32_e32 v28, v28
	s_delay_alu instid0(VALU_DEP_3) | instskip(NEXT) | instid1(VALU_DEP_3)
	v_cndmask_b32_e32 v31, 0x7f800000, v31, vcc_lo
	v_sub_nc_u32_e32 v29, v32, v29
	s_delay_alu instid0(VALU_DEP_3) | instskip(NEXT) | instid1(VALU_DEP_3)
	v_mul_f32_e32 v28, v28, v30
	v_cmp_gt_f32_e32 vcc_lo, 0x800000, v31
	s_delay_alu instid0(VALU_DEP_2) | instskip(SKIP_1) | instid1(VALU_DEP_1)
	v_ldexp_f32 v32, v28, v29
	v_cndmask_b32_e64 v30, 1.0, 0x4f800000, vcc_lo
	v_dual_mul_f32 v29, v32, v32 :: v_dual_mul_f32 v28, v31, v30
	s_delay_alu instid0(VALU_DEP_1) | instskip(SKIP_2) | instid1(VALU_DEP_1)
	v_log_f32_e32 v28, v28
	s_waitcnt_depctr 0xfff
	v_mul_f32_e32 v31, 0x3f317217, v28
	v_fma_f32 v33, 0x3f317217, v28, -v31
	s_delay_alu instid0(VALU_DEP_1) | instskip(NEXT) | instid1(VALU_DEP_1)
	v_fmac_f32_e32 v33, 0x3377d1cf, v28
	v_add_f32_e32 v31, v31, v33
	v_cndmask_b32_e64 v33, 0, 0x41b17218, vcc_lo
	v_cmp_gt_f32_e64 vcc_lo, 0x7f800000, |v28|
	s_delay_alu instid0(VALU_DEP_3) | instskip(NEXT) | instid1(VALU_DEP_1)
	v_cndmask_b32_e32 v28, v28, v31, vcc_lo
	v_sub_f32_e32 v28, v28, v33
	s_delay_alu instid0(VALU_DEP_1) | instskip(NEXT) | instid1(VALU_DEP_1)
	v_dual_fmaak_f32 v30, s26, v29, 0xbc7a590c :: v_dual_add_f32 v31, 1.0, v28
	v_fmaak_f32 v30, v29, v30, 0x3d29fb3f
	s_delay_alu instid0(VALU_DEP_1) | instskip(NEXT) | instid1(VALU_DEP_1)
	v_fmaak_f32 v30, v29, v30, 0xbd97d4d7
	v_fmaak_f32 v30, v29, v30, 0x3dd931b2
	s_delay_alu instid0(VALU_DEP_1) | instskip(NEXT) | instid1(VALU_DEP_1)
	v_fmaak_f32 v30, v29, v30, 0xbe1160e6
	;; [unrolled: 3-line block ×3, first 2 shown]
	v_mul_f32_e32 v29, v29, v30
	s_delay_alu instid0(VALU_DEP_1)
	v_fmac_f32_e32 v32, v32, v29
.LBB57_779:                             ;   in Loop: Header=BB57_401 Depth=1
	s_or_b32 exec_lo, exec_lo, s29
	s_delay_alu instid0(VALU_DEP_1) | instskip(NEXT) | instid1(VALU_DEP_1)
	v_sub_f32_e32 v28, 0x3fc90fdb, v32
                                        ; implicit-def: $vgpr30
                                        ; implicit-def: $vgpr29
	v_cndmask_b32_e64 v32, v32, v28, s4
                                        ; implicit-def: $vgpr28
.LBB57_780:                             ;   in Loop: Header=BB57_401 Depth=1
	s_and_not1_saveexec_b32 s28, s28
	s_cbranch_execz .LBB57_790
; %bb.781:                              ;   in Loop: Header=BB57_401 Depth=1
	v_cmp_lt_f32_e64 s4, |v9|, |v8|
                                        ; implicit-def: $vgpr31
                                        ; implicit-def: $vgpr32
	s_mov_b32 s5, exec_lo
	s_delay_alu instid0(VALU_DEP_1) | instskip(NEXT) | instid1(VALU_DEP_1)
	v_cndmask_b32_e64 v33, |v9|, |v8|, s4
	v_cmpx_nlt_f32_e32 0x7effffff, v33
	s_xor_b32 s29, exec_lo, s5
	s_cbranch_execz .LBB57_787
; %bb.782:                              ;   in Loop: Header=BB57_401 Depth=1
	v_cndmask_b32_e64 v34, |v8|, |v9|, s4
	v_cmp_nlt_f32_e32 vcc_lo, 0x5e000000, v33
                                        ; implicit-def: $vgpr31
                                        ; implicit-def: $vgpr32
	s_delay_alu instid0(VALU_DEP_2) | instskip(NEXT) | instid1(VALU_DEP_1)
	v_cmp_ngt_f32_e64 s5, 0x20000000, v34
	s_and_b32 s5, vcc_lo, s5
	s_delay_alu instid0(SALU_CYCLE_1) | instskip(NEXT) | instid1(SALU_CYCLE_1)
	s_and_saveexec_b32 s30, s5
	s_xor_b32 s30, exec_lo, s30
	s_cbranch_execz .LBB57_784
; %bb.783:                              ;   in Loop: Header=BB57_401 Depth=1
	s_waitcnt lgkmcnt(0)
	v_frexp_mant_f32_e32 v31, v29
	v_min_f32_e32 v28, v28, v30
	v_frexp_exp_i32_f32_e32 v29, v29
	s_delay_alu instid0(VALU_DEP_3) | instskip(SKIP_1) | instid1(VALU_DEP_1)
	v_rcp_f32_e32 v30, v31
	v_mul_f32_e32 v31, v34, v34
	v_fmac_f32_e32 v31, v33, v33
	v_frexp_mant_f32_e32 v32, v28
	v_frexp_exp_i32_f32_e32 v28, v28
	s_delay_alu instid0(VALU_DEP_3) | instskip(SKIP_4) | instid1(VALU_DEP_2)
	v_cmp_gt_f32_e32 vcc_lo, 0x800000, v31
	s_waitcnt_depctr 0xfff
	v_mul_f32_e32 v30, v32, v30
	v_sub_nc_u32_e32 v28, v28, v29
	v_cndmask_b32_e64 v29, 1.0, 0x4f800000, vcc_lo
	v_ldexp_f32 v32, v30, v28
	s_delay_alu instid0(VALU_DEP_1) | instskip(NEXT) | instid1(VALU_DEP_1)
	v_dual_mul_f32 v28, v31, v29 :: v_dual_mul_f32 v29, v32, v32
	v_log_f32_e32 v28, v28
	s_delay_alu instid0(VALU_DEP_1) | instskip(SKIP_3) | instid1(VALU_DEP_2)
	v_fmaak_f32 v30, s26, v29, 0xbc7a590c
	s_waitcnt_depctr 0xfff
	v_mul_f32_e32 v31, 0x3f317217, v28
	v_cmp_gt_f32_e64 s5, 0x7f800000, |v28|
	v_fma_f32 v33, 0x3f317217, v28, -v31
	s_delay_alu instid0(VALU_DEP_1) | instskip(NEXT) | instid1(VALU_DEP_1)
	v_fmac_f32_e32 v33, 0x3377d1cf, v28
	v_dual_fmaak_f32 v30, v29, v30, 0x3d29fb3f :: v_dual_add_f32 v31, v31, v33
	s_delay_alu instid0(VALU_DEP_1) | instskip(SKIP_1) | instid1(VALU_DEP_1)
	v_cndmask_b32_e64 v28, v28, v31, s5
	v_cndmask_b32_e64 v31, 0, 0x41b17218, vcc_lo
	v_sub_f32_e32 v28, v28, v31
	s_delay_alu instid0(VALU_DEP_1) | instskip(NEXT) | instid1(VALU_DEP_1)
	v_dual_fmaak_f32 v30, v29, v30, 0xbd97d4d7 :: v_dual_mul_f32 v31, 0.5, v28
	v_fmaak_f32 v30, v29, v30, 0x3dd931b2
                                        ; implicit-def: $vgpr28
	s_delay_alu instid0(VALU_DEP_1) | instskip(NEXT) | instid1(VALU_DEP_1)
	v_fmaak_f32 v30, v29, v30, 0xbe1160e6
	v_fmaak_f32 v30, v29, v30, 0x3e4cb8bf
	s_delay_alu instid0(VALU_DEP_1) | instskip(NEXT) | instid1(VALU_DEP_1)
	v_fmaak_f32 v30, v29, v30, 0xbeaaaa62
	v_mul_f32_e32 v29, v29, v30
                                        ; implicit-def: $vgpr30
	s_delay_alu instid0(VALU_DEP_1)
	v_fmac_f32_e32 v32, v32, v29
                                        ; implicit-def: $vgpr29
.LBB57_784:                             ;   in Loop: Header=BB57_401 Depth=1
	s_and_not1_saveexec_b32 s5, s30
	s_cbranch_execz .LBB57_786
; %bb.785:                              ;   in Loop: Header=BB57_401 Depth=1
	s_waitcnt lgkmcnt(0)
	v_cvt_f64_f32_e32 v[31:32], v29
	v_cmp_neq_f32_e32 vcc_lo, 0x7f800000, v29
	v_min_f32_e32 v28, v28, v30
	s_delay_alu instid0(VALU_DEP_1) | instskip(SKIP_2) | instid1(VALU_DEP_1)
	v_frexp_exp_i32_f32_e32 v34, v28
	v_frexp_mant_f32_e32 v28, v28
	v_frexp_exp_i32_f64_e32 v31, v[31:32]
	v_sub_nc_u32_e32 v32, 0, v31
	s_delay_alu instid0(VALU_DEP_1) | instskip(SKIP_1) | instid1(VALU_DEP_2)
	v_ldexp_f32 v33, |v8|, v32
	v_ldexp_f32 v32, |v9|, v32
	v_mul_f32_e32 v33, v33, v33
	s_delay_alu instid0(VALU_DEP_1) | instskip(SKIP_1) | instid1(VALU_DEP_2)
	v_fmac_f32_e32 v33, v32, v32
	v_frexp_mant_f32_e32 v32, v29
	v_sqrt_f32_e32 v33, v33
	s_delay_alu instid0(VALU_DEP_1) | instskip(SKIP_1) | instid1(VALU_DEP_1)
	v_rcp_f32_e32 v30, v32
	v_frexp_exp_i32_f32_e32 v32, v29
	v_sub_nc_u32_e32 v32, v34, v32
	s_waitcnt_depctr 0xfff
	v_ldexp_f32 v31, v33, v31
	s_delay_alu instid0(VALU_DEP_1) | instskip(NEXT) | instid1(VALU_DEP_1)
	v_dual_mul_f32 v28, v28, v30 :: v_dual_cndmask_b32 v29, 0x7f800000, v31
	v_ldexp_f32 v32, v28, v32
	s_delay_alu instid0(VALU_DEP_2) | instskip(SKIP_1) | instid1(VALU_DEP_1)
	v_cmp_gt_f32_e32 vcc_lo, 0x800000, v29
	v_cndmask_b32_e64 v28, 1.0, 0x4f800000, vcc_lo
	v_mul_f32_e32 v28, v29, v28
	s_delay_alu instid0(VALU_DEP_1) | instskip(SKIP_2) | instid1(VALU_DEP_1)
	v_log_f32_e32 v28, v28
	s_waitcnt_depctr 0xfff
	v_mul_f32_e32 v31, 0x3f317217, v28
	v_fma_f32 v33, 0x3f317217, v28, -v31
	s_delay_alu instid0(VALU_DEP_1) | instskip(NEXT) | instid1(VALU_DEP_1)
	v_fmac_f32_e32 v33, 0x3377d1cf, v28
	v_dual_mul_f32 v30, v32, v32 :: v_dual_add_f32 v31, v31, v33
	s_delay_alu instid0(VALU_DEP_1) | instskip(SKIP_2) | instid1(VALU_DEP_3)
	v_fmaak_f32 v29, s26, v30, 0xbc7a590c
	v_cndmask_b32_e64 v33, 0, 0x41b17218, vcc_lo
	v_cmp_gt_f32_e64 vcc_lo, 0x7f800000, |v28|
	v_dual_fmaak_f32 v29, v30, v29, 0x3d29fb3f :: v_dual_cndmask_b32 v28, v28, v31
	s_delay_alu instid0(VALU_DEP_1) | instskip(NEXT) | instid1(VALU_DEP_2)
	v_fmaak_f32 v29, v30, v29, 0xbd97d4d7
	v_sub_f32_e32 v31, v28, v33
	s_delay_alu instid0(VALU_DEP_2) | instskip(NEXT) | instid1(VALU_DEP_1)
	v_fmaak_f32 v29, v30, v29, 0x3dd931b2
	v_fmaak_f32 v29, v30, v29, 0xbe1160e6
	s_delay_alu instid0(VALU_DEP_1) | instskip(NEXT) | instid1(VALU_DEP_1)
	v_fmaak_f32 v29, v30, v29, 0x3e4cb8bf
	v_fmaak_f32 v29, v30, v29, 0xbeaaaa62
	s_delay_alu instid0(VALU_DEP_1) | instskip(NEXT) | instid1(VALU_DEP_1)
	v_mul_f32_e32 v29, v30, v29
	v_fmac_f32_e32 v32, v32, v29
.LBB57_786:                             ;   in Loop: Header=BB57_401 Depth=1
	s_or_b32 exec_lo, exec_lo, s5
                                        ; implicit-def: $vgpr28
                                        ; implicit-def: $vgpr30
                                        ; implicit-def: $vgpr29
.LBB57_787:                             ;   in Loop: Header=BB57_401 Depth=1
	s_and_not1_saveexec_b32 s29, s29
	s_cbranch_execz .LBB57_789
; %bb.788:                              ;   in Loop: Header=BB57_401 Depth=1
	v_div_scale_f32 v31, null, 0xc02df854, 0xc02df854, v9
	v_div_scale_f32 v32, null, 0xc02df854, 0xc02df854, v8
	v_div_scale_f32 v37, vcc_lo, v9, 0xc02df854, v9
	s_delay_alu instid0(VALU_DEP_3) | instskip(NEXT) | instid1(VALU_DEP_2)
	v_rcp_f32_e32 v33, v31
	v_rcp_f32_e32 v34, v32
	v_min_f32_e32 v28, v28, v30
	s_waitcnt_depctr 0xfff
	v_fma_f32 v35, -v31, v33, 1.0
	v_fma_f32 v36, -v32, v34, 1.0
	s_delay_alu instid0(VALU_DEP_1) | instskip(SKIP_1) | instid1(VALU_DEP_2)
	v_dual_fmac_f32 v33, v35, v33 :: v_dual_fmac_f32 v34, v36, v34
	v_div_scale_f32 v35, s5, v8, 0xc02df854, v8
	v_mul_f32_e32 v36, v37, v33
	s_delay_alu instid0(VALU_DEP_2) | instskip(NEXT) | instid1(VALU_DEP_2)
	v_mul_f32_e32 v38, v35, v34
	v_fma_f32 v39, -v31, v36, v37
	s_delay_alu instid0(VALU_DEP_2) | instskip(NEXT) | instid1(VALU_DEP_2)
	v_fma_f32 v40, -v32, v38, v35
	v_fmac_f32_e32 v36, v39, v33
	s_delay_alu instid0(VALU_DEP_2) | instskip(NEXT) | instid1(VALU_DEP_2)
	v_fmac_f32_e32 v38, v40, v34
	v_fma_f32 v31, -v31, v36, v37
	s_delay_alu instid0(VALU_DEP_2) | instskip(NEXT) | instid1(VALU_DEP_2)
	v_fma_f32 v32, -v32, v38, v35
	v_div_fmas_f32 v31, v31, v33, v36
	s_mov_b32 vcc_lo, s5
	s_delay_alu instid0(VALU_DEP_2) | instskip(NEXT) | instid1(VALU_DEP_2)
	v_div_fmas_f32 v32, v32, v34, v38
	v_div_fixup_f32 v33, v31, 0xc02df854, v9
	s_delay_alu instid0(VALU_DEP_2) | instskip(NEXT) | instid1(VALU_DEP_1)
	v_div_fixup_f32 v34, v32, 0xc02df854, v8
	v_max_f32_e64 v35, |v33|, |v34|
	s_delay_alu instid0(VALU_DEP_1) | instskip(SKIP_1) | instid1(VALU_DEP_2)
	v_cvt_f64_f32_e32 v[31:32], v35
	v_cmp_neq_f32_e32 vcc_lo, 0x7f800000, v35
	v_frexp_exp_i32_f64_e32 v31, v[31:32]
	s_delay_alu instid0(VALU_DEP_1) | instskip(NEXT) | instid1(VALU_DEP_1)
	v_sub_nc_u32_e32 v32, 0, v31
	v_ldexp_f32 v34, |v34|, v32
	v_ldexp_f32 v32, |v33|, v32
	s_delay_alu instid0(VALU_DEP_2) | instskip(NEXT) | instid1(VALU_DEP_1)
	v_mul_f32_e32 v33, v34, v34
	v_fmac_f32_e32 v33, v32, v32
	s_delay_alu instid0(VALU_DEP_1) | instskip(SKIP_3) | instid1(VALU_DEP_2)
	v_sqrt_f32_e32 v32, v33
	s_waitcnt lgkmcnt(0)
	v_frexp_mant_f32_e32 v33, v29
	v_frexp_exp_i32_f32_e32 v29, v29
	v_rcp_f32_e32 v30, v33
	s_waitcnt_depctr 0xfff
	v_ldexp_f32 v31, v32, v31
	v_frexp_exp_i32_f32_e32 v32, v28
	v_frexp_mant_f32_e32 v28, v28
	s_delay_alu instid0(VALU_DEP_3) | instskip(NEXT) | instid1(VALU_DEP_3)
	v_cndmask_b32_e32 v31, 0x7f800000, v31, vcc_lo
	v_sub_nc_u32_e32 v29, v32, v29
	s_delay_alu instid0(VALU_DEP_3) | instskip(NEXT) | instid1(VALU_DEP_3)
	v_mul_f32_e32 v28, v28, v30
	v_cmp_gt_f32_e32 vcc_lo, 0x800000, v31
	s_delay_alu instid0(VALU_DEP_2) | instskip(SKIP_1) | instid1(VALU_DEP_1)
	v_ldexp_f32 v32, v28, v29
	v_cndmask_b32_e64 v30, 1.0, 0x4f800000, vcc_lo
	v_dual_mul_f32 v29, v32, v32 :: v_dual_mul_f32 v28, v31, v30
	s_delay_alu instid0(VALU_DEP_1) | instskip(SKIP_2) | instid1(VALU_DEP_1)
	v_log_f32_e32 v28, v28
	s_waitcnt_depctr 0xfff
	v_mul_f32_e32 v31, 0x3f317217, v28
	v_fma_f32 v33, 0x3f317217, v28, -v31
	s_delay_alu instid0(VALU_DEP_1) | instskip(NEXT) | instid1(VALU_DEP_1)
	v_fmac_f32_e32 v33, 0x3377d1cf, v28
	v_add_f32_e32 v31, v31, v33
	v_cndmask_b32_e64 v33, 0, 0x41b17218, vcc_lo
	v_cmp_gt_f32_e64 vcc_lo, 0x7f800000, |v28|
	s_delay_alu instid0(VALU_DEP_3) | instskip(NEXT) | instid1(VALU_DEP_1)
	v_cndmask_b32_e32 v28, v28, v31, vcc_lo
	v_sub_f32_e32 v28, v28, v33
	s_delay_alu instid0(VALU_DEP_1) | instskip(NEXT) | instid1(VALU_DEP_1)
	v_dual_fmaak_f32 v30, s26, v29, 0xbc7a590c :: v_dual_add_f32 v31, 1.0, v28
	v_fmaak_f32 v30, v29, v30, 0x3d29fb3f
	s_delay_alu instid0(VALU_DEP_1) | instskip(NEXT) | instid1(VALU_DEP_1)
	v_fmaak_f32 v30, v29, v30, 0xbd97d4d7
	v_fmaak_f32 v30, v29, v30, 0x3dd931b2
	s_delay_alu instid0(VALU_DEP_1) | instskip(NEXT) | instid1(VALU_DEP_1)
	v_fmaak_f32 v30, v29, v30, 0xbe1160e6
	;; [unrolled: 3-line block ×3, first 2 shown]
	v_mul_f32_e32 v29, v29, v30
	s_delay_alu instid0(VALU_DEP_1)
	v_fmac_f32_e32 v32, v32, v29
.LBB57_789:                             ;   in Loop: Header=BB57_401 Depth=1
	s_or_b32 exec_lo, exec_lo, s29
	s_delay_alu instid0(VALU_DEP_1) | instskip(NEXT) | instid1(VALU_DEP_1)
	v_sub_f32_e32 v28, 0x3fc90fdb, v32
	v_cndmask_b32_e64 v32, v32, v28, s4
.LBB57_790:                             ;   in Loop: Header=BB57_401 Depth=1
	s_or_b32 exec_lo, exec_lo, s28
	v_cmp_neq_f32_e32 vcc_lo, 0, v8
	v_cmp_class_f32_e64 s4, v9, 0x204
	v_cmp_class_f32_e64 s5, v8, 0x204
	s_waitcnt lgkmcnt(0)
	v_dual_add_f32 v29, 0x3f317218, v31 :: v_dual_cndmask_b32 v28, 0, v32
	v_cmp_o_f32_e32 vcc_lo, v8, v9
	s_delay_alu instid0(VALU_DEP_3) | instskip(NEXT) | instid1(VALU_DEP_2)
	s_and_b32 s4, s4, s5
	v_bfi_b32 v9, 0x7fffffff, v29, v9
	s_delay_alu instid0(VALU_DEP_3) | instskip(NEXT) | instid1(VALU_DEP_1)
	v_cndmask_b32_e64 v28, v28, 0x3f490fdb, s4
	v_cndmask_b32_e32 v28, 0x7fc00000, v28, vcc_lo
	s_delay_alu instid0(VALU_DEP_1)
	v_bfi_b32 v8, 0x7fffffff, v28, v8
.LBB57_791:                             ;   in Loop: Header=BB57_401 Depth=1
	s_or_b32 exec_lo, exec_lo, s27
	s_and_not1_saveexec_b32 s4, s11
	s_cbranch_execz .LBB57_705
.LBB57_792:                             ;   in Loop: Header=BB57_401 Depth=1
	v_cmp_neq_f32_e64 s5, 0x7f800000, |v9|
                                        ; implicit-def: $vgpr28
                                        ; implicit-def: $vgpr29
	s_delay_alu instid0(VALU_DEP_1) | instskip(NEXT) | instid1(SALU_CYCLE_1)
	s_and_saveexec_b32 s11, s5
	s_xor_b32 s5, exec_lo, s11
	s_cbranch_execz .LBB57_802
; %bb.793:                              ;   in Loop: Header=BB57_401 Depth=1
	v_cmp_neq_f32_e64 s11, 0x7f800000, |v8|
                                        ; implicit-def: $vgpr28
                                        ; implicit-def: $vgpr29
	s_delay_alu instid0(VALU_DEP_1) | instskip(NEXT) | instid1(SALU_CYCLE_1)
	s_and_saveexec_b32 s27, s11
	s_xor_b32 s11, exec_lo, s27
	s_cbranch_execz .LBB57_799
; %bb.794:                              ;   in Loop: Header=BB57_401 Depth=1
	s_mov_b32 s27, exec_lo
                                        ; implicit-def: $vgpr28
	v_cmpx_neq_f32_e32 0, v8
	s_xor_b32 s27, exec_lo, s27
; %bb.795:                              ;   in Loop: Header=BB57_401 Depth=1
	v_add_f32_e32 v9, 0, v9
	s_delay_alu instid0(VALU_DEP_1)
	v_add_f32_e32 v28, v8, v9
                                        ; implicit-def: $vgpr9
; %bb.796:                              ;   in Loop: Header=BB57_401 Depth=1
	s_or_saveexec_b32 s27, s27
	s_waitcnt lgkmcnt(0)
	s_delay_alu instid0(VALU_DEP_1)
	v_mov_b32_e32 v29, v28
	s_xor_b32 exec_lo, exec_lo, s27
; %bb.797:                              ;   in Loop: Header=BB57_401 Depth=1
	v_dual_add_f32 v29, v9, v9 :: v_dual_mov_b32 v28, v8
; %bb.798:                              ;   in Loop: Header=BB57_401 Depth=1
	s_or_b32 exec_lo, exec_lo, s27
                                        ; implicit-def: $vgpr9
.LBB57_799:                             ;   in Loop: Header=BB57_401 Depth=1
	s_and_not1_saveexec_b32 s11, s11
	s_cbranch_execz .LBB57_801
; %bb.800:                              ;   in Loop: Header=BB57_401 Depth=1
	s_waitcnt lgkmcnt(0)
	v_dual_add_f32 v28, v9, v9 :: v_dual_mov_b32 v29, v8
.LBB57_801:                             ;   in Loop: Header=BB57_401 Depth=1
	s_or_b32 exec_lo, exec_lo, s11
                                        ; implicit-def: $vgpr8
.LBB57_802:                             ;   in Loop: Header=BB57_401 Depth=1
	s_and_not1_saveexec_b32 s5, s5
	s_cbranch_execz .LBB57_804
; %bb.803:                              ;   in Loop: Header=BB57_401 Depth=1
	s_waitcnt lgkmcnt(0)
	v_dual_add_f32 v28, v8, v8 :: v_dual_mov_b32 v29, v9
.LBB57_804:                             ;   in Loop: Header=BB57_401 Depth=1
	s_or_b32 exec_lo, exec_lo, s5
	s_waitcnt lgkmcnt(0)
	s_delay_alu instid0(VALU_DEP_1) | instskip(SKIP_2) | instid1(SALU_CYCLE_1)
	v_dual_mov_b32 v9, v29 :: v_dual_mov_b32 v8, v28
	s_or_b32 exec_lo, exec_lo, s4
	s_and_saveexec_b32 s4, s0
	s_xor_b32 s0, exec_lo, s4
	s_cbranch_execz .LBB57_706
.LBB57_805:                             ;   in Loop: Header=BB57_401 Depth=1
	v_add_co_u32 v28, vcc_lo, v12, s6
	s_waitcnt lgkmcnt(0)
	v_add_co_ci_u32_e32 v29, vcc_lo, s7, v13, vcc_lo
	global_store_b64 v[28:29], v[4:5], off offset:-4
	s_or_b32 exec_lo, exec_lo, s0
	s_and_saveexec_b32 s0, s1
	s_cbranch_execz .LBB57_707
.LBB57_806:                             ;   in Loop: Header=BB57_401 Depth=1
	v_add_co_u32 v4, vcc_lo, v14, s6
	v_add_co_ci_u32_e32 v5, vcc_lo, s7, v15, vcc_lo
	global_store_b64 v[4:5], v[6:7], off
	s_or_b32 exec_lo, exec_lo, s0
	s_and_saveexec_b32 s0, s2
	s_cbranch_execz .LBB57_708
.LBB57_807:                             ;   in Loop: Header=BB57_401 Depth=1
	v_add_co_u32 v4, vcc_lo, v24, s6
	v_add_co_ci_u32_e32 v5, vcc_lo, s7, v25, vcc_lo
	global_store_b64 v[4:5], v[2:3], off offset:-4
	s_or_b32 exec_lo, exec_lo, s0
	s_and_saveexec_b32 s0, s3
	s_cbranch_execz .LBB57_400
.LBB57_808:                             ;   in Loop: Header=BB57_401 Depth=1
	v_add_co_u32 v2, vcc_lo, v20, s6
	v_add_co_ci_u32_e32 v3, vcc_lo, s7, v21, vcc_lo
	global_store_b64 v[2:3], v[8:9], off offset:-4
	s_branch .LBB57_400
.LBB57_809:
	s_nop 0
	s_sendmsg sendmsg(MSG_DEALLOC_VGPRS)
	s_endpgm
	.section	.rodata,"a",@progbits
	.p2align	6, 0x0
	.amdhsa_kernel _ZN2at6native12_GLOBAL__N_125multi_tensor_apply_kernelINS1_18TensorListMetadataILi2EEENS1_14UnaryOpFunctorIN3c107complexIfEELi2ELi1ELi1EEEJNS0_4AsinIS8_EEEEEvT_T0_DpT1_
		.amdhsa_group_segment_fixed_size 0
		.amdhsa_private_segment_fixed_size 12
		.amdhsa_kernarg_size 3408
		.amdhsa_user_sgpr_count 15
		.amdhsa_user_sgpr_dispatch_ptr 0
		.amdhsa_user_sgpr_queue_ptr 0
		.amdhsa_user_sgpr_kernarg_segment_ptr 1
		.amdhsa_user_sgpr_dispatch_id 0
		.amdhsa_user_sgpr_private_segment_size 0
		.amdhsa_wavefront_size32 1
		.amdhsa_uses_dynamic_stack 0
		.amdhsa_enable_private_segment 1
		.amdhsa_system_sgpr_workgroup_id_x 1
		.amdhsa_system_sgpr_workgroup_id_y 0
		.amdhsa_system_sgpr_workgroup_id_z 0
		.amdhsa_system_sgpr_workgroup_info 0
		.amdhsa_system_vgpr_workitem_id 0
		.amdhsa_next_free_vgpr 47
		.amdhsa_next_free_sgpr 38
		.amdhsa_reserve_vcc 1
		.amdhsa_float_round_mode_32 0
		.amdhsa_float_round_mode_16_64 0
		.amdhsa_float_denorm_mode_32 3
		.amdhsa_float_denorm_mode_16_64 3
		.amdhsa_dx10_clamp 1
		.amdhsa_ieee_mode 1
		.amdhsa_fp16_overflow 0
		.amdhsa_workgroup_processor_mode 1
		.amdhsa_memory_ordered 1
		.amdhsa_forward_progress 0
		.amdhsa_shared_vgpr_count 0
		.amdhsa_exception_fp_ieee_invalid_op 0
		.amdhsa_exception_fp_denorm_src 0
		.amdhsa_exception_fp_ieee_div_zero 0
		.amdhsa_exception_fp_ieee_overflow 0
		.amdhsa_exception_fp_ieee_underflow 0
		.amdhsa_exception_fp_ieee_inexact 0
		.amdhsa_exception_int_div_zero 0
	.end_amdhsa_kernel
	.section	.text._ZN2at6native12_GLOBAL__N_125multi_tensor_apply_kernelINS1_18TensorListMetadataILi2EEENS1_14UnaryOpFunctorIN3c107complexIfEELi2ELi1ELi1EEEJNS0_4AsinIS8_EEEEEvT_T0_DpT1_,"axG",@progbits,_ZN2at6native12_GLOBAL__N_125multi_tensor_apply_kernelINS1_18TensorListMetadataILi2EEENS1_14UnaryOpFunctorIN3c107complexIfEELi2ELi1ELi1EEEJNS0_4AsinIS8_EEEEEvT_T0_DpT1_,comdat
.Lfunc_end57:
	.size	_ZN2at6native12_GLOBAL__N_125multi_tensor_apply_kernelINS1_18TensorListMetadataILi2EEENS1_14UnaryOpFunctorIN3c107complexIfEELi2ELi1ELi1EEEJNS0_4AsinIS8_EEEEEvT_T0_DpT1_, .Lfunc_end57-_ZN2at6native12_GLOBAL__N_125multi_tensor_apply_kernelINS1_18TensorListMetadataILi2EEENS1_14UnaryOpFunctorIN3c107complexIfEELi2ELi1ELi1EEEJNS0_4AsinIS8_EEEEEvT_T0_DpT1_
                                        ; -- End function
	.section	.AMDGPU.csdata,"",@progbits
; Kernel info:
; codeLenInByte = 67224
; NumSgprs: 40
; NumVgprs: 47
; ScratchSize: 12
; MemoryBound: 1
; FloatMode: 240
; IeeeMode: 1
; LDSByteSize: 0 bytes/workgroup (compile time only)
; SGPRBlocks: 4
; VGPRBlocks: 5
; NumSGPRsForWavesPerEU: 40
; NumVGPRsForWavesPerEU: 47
; Occupancy: 16
; WaveLimiterHint : 0
; COMPUTE_PGM_RSRC2:SCRATCH_EN: 1
; COMPUTE_PGM_RSRC2:USER_SGPR: 15
; COMPUTE_PGM_RSRC2:TRAP_HANDLER: 0
; COMPUTE_PGM_RSRC2:TGID_X_EN: 1
; COMPUTE_PGM_RSRC2:TGID_Y_EN: 0
; COMPUTE_PGM_RSRC2:TGID_Z_EN: 0
; COMPUTE_PGM_RSRC2:TIDIG_COMP_CNT: 0
	.section	.text._ZN2at6native12_GLOBAL__N_125multi_tensor_apply_kernelINS1_18TensorListMetadataILi2EEENS1_14UnaryOpFunctorIN3c104HalfELi2ELi1ELi1EEEJNS0_4AsinIfEEEEEvT_T0_DpT1_,"axG",@progbits,_ZN2at6native12_GLOBAL__N_125multi_tensor_apply_kernelINS1_18TensorListMetadataILi2EEENS1_14UnaryOpFunctorIN3c104HalfELi2ELi1ELi1EEEJNS0_4AsinIfEEEEEvT_T0_DpT1_,comdat
	.globl	_ZN2at6native12_GLOBAL__N_125multi_tensor_apply_kernelINS1_18TensorListMetadataILi2EEENS1_14UnaryOpFunctorIN3c104HalfELi2ELi1ELi1EEEJNS0_4AsinIfEEEEEvT_T0_DpT1_ ; -- Begin function _ZN2at6native12_GLOBAL__N_125multi_tensor_apply_kernelINS1_18TensorListMetadataILi2EEENS1_14UnaryOpFunctorIN3c104HalfELi2ELi1ELi1EEEJNS0_4AsinIfEEEEEvT_T0_DpT1_
	.p2align	8
	.type	_ZN2at6native12_GLOBAL__N_125multi_tensor_apply_kernelINS1_18TensorListMetadataILi2EEENS1_14UnaryOpFunctorIN3c104HalfELi2ELi1ELi1EEEJNS0_4AsinIfEEEEEvT_T0_DpT1_,@function
_ZN2at6native12_GLOBAL__N_125multi_tensor_apply_kernelINS1_18TensorListMetadataILi2EEENS1_14UnaryOpFunctorIN3c104HalfELi2ELi1ELi1EEEJNS0_4AsinIfEEEEEvT_T0_DpT1_: ; @_ZN2at6native12_GLOBAL__N_125multi_tensor_apply_kernelINS1_18TensorListMetadataILi2EEENS1_14UnaryOpFunctorIN3c104HalfELi2ELi1ELi1EEEJNS0_4AsinIfEEEEEvT_T0_DpT1_
; %bb.0:
	v_mov_b32_e32 v1, s15
	s_add_u32 s2, s0, s15
	s_mul_hi_u32 s3, s15, 3
	s_mul_i32 s15, s15, 3
	s_addc_u32 s4, s1, 0
	global_load_u8 v1, v1, s[0:1] offset:1536
	s_add_u32 s2, s2, s15
	s_addc_u32 s3, s4, s3
	s_mov_b32 s19, 0
	s_load_b32 s2, s[2:3], 0x740
	s_mov_b32 s21, s19
	s_mov_b32 s23, s19
	s_waitcnt vmcnt(0)
	v_readfirstlane_b32 s5, v1
	s_delay_alu instid0(VALU_DEP_1)
	s_lshl_b32 s3, s5, 3
	s_clause 0x2
	s_load_b64 s[10:11], s[0:1], s3 offset:0x0
	s_load_b64 s[12:13], s[0:1], s3 offset:0x200
	;; [unrolled: 1-line block ×3, first 2 shown]
	s_waitcnt lgkmcnt(0)
	s_ashr_i32 s3, s2, 31
	s_delay_alu instid0(SALU_CYCLE_1) | instskip(NEXT) | instid1(SALU_CYCLE_1)
	s_lshl_b64 s[6:7], s[2:3], 17
	s_add_u32 s5, s10, s6
	s_addc_u32 s14, s11, s7
	s_and_b32 s18, s5, 7
	s_add_u32 s15, s12, s6
	s_addc_u32 s16, s13, s7
	s_and_b32 s20, s8, 3
	s_and_b32 s22, s15, 7
	s_or_b64 s[18:19], s[18:19], s[20:21]
	s_lshl_b64 s[2:3], s[2:3], 16
	s_or_b64 s[18:19], s[22:23], s[18:19]
	s_sub_u32 s8, s8, s2
	s_subb_u32 s9, s9, s3
	s_cmp_eq_u64 s[18:19], 0
	s_mov_b32 s2, -1
	s_cbranch_scc0 .LBB58_5
; %bb.1:
	v_dual_mov_b32 v2, 0 :: v_dual_lshlrev_b32 v1, 2, v0
	s_mov_b32 s17, exec_lo
	s_delay_alu instid0(VALU_DEP_1)
	v_cmpx_gt_i64_e64 s[8:9], v[1:2]
	s_cbranch_execz .LBB58_4
; %bb.2:
	s_load_b32 s2, s[0:1], 0xc5c
	v_lshlrev_b32_e32 v3, 3, v0
	s_mov_b32 s18, 0
	s_mov_b32 s21, 0.5
	s_mov_b32 s22, -0.5
	s_mov_b32 s23, 0x3d1c21a7
	s_waitcnt lgkmcnt(0)
	s_and_b32 s2, s2, 0xffff
	s_delay_alu instid0(SALU_CYCLE_1)
	v_add_lshl_u32 v1, v0, s2, 2
	s_lshl_b32 s19, s2, 2
	s_lshl_b32 s20, s2, 3
.LBB58_3:                               ; =>This Inner Loop Header: Depth=1
	v_add_co_u32 v4, s2, s5, v3
	s_delay_alu instid0(VALU_DEP_1) | instskip(SKIP_1) | instid1(VALU_DEP_1)
	v_add_co_ci_u32_e64 v5, null, s14, 0, s2
	v_add_co_u32 v6, s2, s15, v3
	v_add_co_ci_u32_e64 v7, null, s16, 0, s2
	global_load_b64 v[4:5], v[4:5], off
	v_cmp_le_i64_e32 vcc_lo, s[8:9], v[1:2]
	v_cmp_lt_u64_e64 s2, 0xffff, v[1:2]
	v_add_co_u32 v1, s3, v1, s19
	s_delay_alu instid0(VALU_DEP_1) | instskip(NEXT) | instid1(VALU_DEP_3)
	v_add_co_ci_u32_e64 v2, s3, 0, v2, s3
	s_or_b32 s2, vcc_lo, s2
	s_add_u32 s5, s5, s20
	s_addc_u32 s14, s14, 0
	s_add_u32 s15, s15, s20
	s_addc_u32 s16, s16, 0
	s_and_b32 s2, exec_lo, s2
	s_delay_alu instid0(SALU_CYCLE_1)
	s_or_b32 s18, s2, s18
	s_waitcnt vmcnt(0)
	v_cvt_f32_f16_e32 v10, v4
	v_lshrrev_b32_e32 v9, 16, v5
	v_fma_mix_f32 v11, |v4|, s22, s21 op_sel_hi:[1,0,0]
	v_cvt_f32_f16_e32 v13, v5
	v_fma_mix_f32 v14, |v5|, s22, s21 op_sel_hi:[1,0,0]
	v_mul_f32_e32 v16, v10, v10
	v_cmp_ge_f32_e64 s4, |v10|, 0.5
	v_cvt_f32_f16_e32 v19, v9
	v_mul_f32_e32 v18, v13, v13
	v_cmp_ge_f32_e64 s3, |v13|, 0.5
	v_fma_mix_f32 v15, |v5|, s22, s21 op_sel:[1,0,0] op_sel_hi:[1,0,0]
	v_cndmask_b32_e64 v11, v16, v11, s4
	v_lshrrev_b32_e32 v8, 16, v4
	v_fma_mix_f32 v12, |v4|, s22, s21 op_sel:[1,0,0] op_sel_hi:[1,0,0]
	v_cndmask_b32_e64 v14, v18, v14, s3
	v_mul_f32_e32 v18, v19, v19
	v_cmp_ge_f32_e64 s3, |v19|, 0.5
	v_fmaak_f32 v20, s23, v11, 0x3c5fc5da
	v_cvt_f32_f16_e32 v17, v8
	v_sqrt_f32_e32 v21, v11
	v_sqrt_f32_e32 v22, v14
	v_cndmask_b32_e64 v15, v18, v15, s3
	v_fmaak_f32 v18, v11, v20, 0x3d034c3c
	v_cmp_ge_f32_e64 s4, |v17|, 0.5
	v_cmp_lt_f32_e64 s3, |v13|, 0.5
	s_delay_alu instid0(VALU_DEP_4) | instskip(NEXT) | instid1(VALU_DEP_3)
	v_sqrt_f32_e32 v25, v15
	v_fmaak_f32 v18, v11, v18, 0x3d3641b1
	v_fmaak_f32 v24, s23, v15, 0x3c5fc5da
	s_delay_alu instid0(VALU_DEP_2) | instskip(NEXT) | instid1(VALU_DEP_2)
	v_fmaak_f32 v18, v11, v18, 0x3d999bc8
	v_fmaak_f32 v24, v15, v24, 0x3d034c3c
	s_delay_alu instid0(VALU_DEP_2) | instskip(SKIP_1) | instid1(VALU_DEP_3)
	v_fmaak_f32 v18, v11, v18, 0x3e2aaaac
	v_mul_f32_e32 v16, v17, v17
	v_fmaak_f32 v24, v15, v24, 0x3d3641b1
	s_delay_alu instid0(VALU_DEP_3) | instskip(NEXT) | instid1(VALU_DEP_3)
	v_mul_f32_e32 v11, v11, v18
	v_cndmask_b32_e64 v12, v16, v12, s4
	v_fmaak_f32 v16, s23, v14, 0x3c5fc5da
	s_delay_alu instid0(VALU_DEP_4) | instskip(SKIP_1) | instid1(VALU_DEP_4)
	v_fmaak_f32 v24, v15, v24, 0x3d999bc8
	v_cmp_lt_f32_e64 s4, |v10|, 0.5
	v_dual_fmac_f32 v21, v21, v11 :: v_dual_fmaak_f32 v20, s23, v12, 0x3c5fc5da
	s_delay_alu instid0(VALU_DEP_4) | instskip(SKIP_2) | instid1(VALU_DEP_3)
	v_fmaak_f32 v16, v14, v16, 0x3d034c3c
	v_sqrt_f32_e32 v23, v12
	v_fma_mix_f32 v11, |v4|, v11, |v4| op_sel_hi:[1,0,1]
	v_fmaak_f32 v20, v12, v20, 0x3d034c3c
	s_delay_alu instid0(VALU_DEP_3) | instskip(NEXT) | instid1(VALU_DEP_2)
	v_fmaak_f32 v16, v14, v16, 0x3d3641b1
	v_fmaak_f32 v20, v12, v20, 0x3d3641b1
	s_delay_alu instid0(VALU_DEP_2) | instskip(NEXT) | instid1(VALU_DEP_2)
	v_fmaak_f32 v16, v14, v16, 0x3d999bc8
	v_fmaak_f32 v20, v12, v20, 0x3d999bc8
	s_delay_alu instid0(VALU_DEP_2) | instskip(NEXT) | instid1(VALU_DEP_2)
	v_fmaak_f32 v16, v14, v16, 0x3e2aaaac
	v_fmaak_f32 v18, v12, v20, 0x3e2aaaac
	s_delay_alu instid0(VALU_DEP_2) | instskip(SKIP_1) | instid1(VALU_DEP_1)
	v_mul_f32_e32 v14, v14, v16
	v_fmaak_f32 v16, v15, v24, 0x3e2aaaac
	v_dual_mul_f32 v12, v12, v18 :: v_dual_mul_f32 v15, v15, v16
	s_delay_alu instid0(VALU_DEP_1) | instskip(NEXT) | instid1(VALU_DEP_1)
	v_dual_add_f32 v16, v21, v21 :: v_dual_fmac_f32 v23, v23, v12
	v_dual_fmac_f32 v25, v25, v15 :: v_dual_sub_f32 v16, 0x3fc90fdb, v16
	v_fma_mix_f32 v15, |v5|, v15, |v5| op_sel:[1,0,1] op_sel_hi:[1,0,1]
	s_delay_alu instid0(VALU_DEP_2) | instskip(NEXT) | instid1(VALU_DEP_3)
	v_dual_add_f32 v20, v23, v23 :: v_dual_add_f32 v21, v25, v25
	v_cndmask_b32_e64 v10, v16, v11, s4
	v_cmp_lt_f32_e64 s4, |v17|, 0.5
	s_delay_alu instid0(VALU_DEP_3) | instskip(SKIP_4) | instid1(VALU_DEP_4)
	v_sub_f32_e32 v13, 0x3fc90fdb, v20
	v_fma_mix_f32 v12, |v4|, v12, |v4| op_sel:[1,0,1] op_sel_hi:[1,0,1]
	v_dual_sub_f32 v11, 0x3fc90fdb, v21 :: v_dual_fmac_f32 v22, v22, v14
	v_fma_mix_f32 v14, |v5|, v14, |v5| op_sel_hi:[1,0,1]
	v_cvt_f16_f32_e32 v10, v10
	v_cndmask_b32_e64 v12, v13, v12, s4
	s_delay_alu instid0(VALU_DEP_4) | instskip(NEXT) | instid1(VALU_DEP_3)
	v_add_f32_e32 v18, v22, v22
	v_bfi_b32 v4, 0x7fff, v10, v4
	s_delay_alu instid0(VALU_DEP_3) | instskip(NEXT) | instid1(VALU_DEP_3)
	v_cvt_f16_f32_e32 v12, v12
	v_sub_f32_e32 v18, 0x3fc90fdb, v18
	s_delay_alu instid0(VALU_DEP_2) | instskip(NEXT) | instid1(VALU_DEP_2)
	v_bfi_b32 v8, 0x7fff, v12, v8
	v_cndmask_b32_e64 v14, v18, v14, s3
	v_cmp_lt_f32_e64 s3, |v19|, 0.5
	s_delay_alu instid0(VALU_DEP_3) | instskip(NEXT) | instid1(VALU_DEP_3)
	v_pack_b32_f16 v4, v4, v8
	v_cvt_f16_f32_e32 v13, v14
	s_delay_alu instid0(VALU_DEP_3) | instskip(NEXT) | instid1(VALU_DEP_2)
	v_cndmask_b32_e64 v11, v11, v15, s3
	v_bfi_b32 v5, 0x7fff, v13, v5
	s_delay_alu instid0(VALU_DEP_2) | instskip(NEXT) | instid1(VALU_DEP_1)
	v_cvt_f16_f32_e32 v11, v11
	v_bfi_b32 v9, 0x7fff, v11, v9
	s_delay_alu instid0(VALU_DEP_1)
	v_pack_b32_f16 v5, v5, v9
	global_store_b64 v[6:7], v[4:5], off
	s_and_not1_b32 exec_lo, exec_lo, s18
	s_cbranch_execnz .LBB58_3
.LBB58_4:
	s_or_b32 exec_lo, exec_lo, s17
	s_mov_b32 s2, 0
.LBB58_5:
	s_delay_alu instid0(SALU_CYCLE_1)
	s_and_not1_b32 vcc_lo, exec_lo, s2
	s_cbranch_vccnz .LBB58_25
; %bb.6:
	v_cmp_lt_i64_e64 s2, s[8:9], 1
	s_delay_alu instid0(VALU_DEP_1)
	s_and_b32 vcc_lo, exec_lo, s2
	s_cbranch_vccnz .LBB58_25
; %bb.7:
	s_load_b32 s0, s[0:1], 0xc5c
	v_dual_mov_b32 v10, 0 :: v_dual_lshlrev_b32 v9, 1, v0
	v_cmp_gt_u64_e64 s1, 0x10000, s[8:9]
	s_mov_b32 s16, 0x3d1c21a7
	s_delay_alu instid0(VALU_DEP_2) | instskip(NEXT) | instid1(VALU_DEP_1)
	v_add_co_u32 v1, s2, s10, v9
	v_add_co_ci_u32_e64 v2, null, s11, 0, s2
	v_add_co_u32 v3, s2, s12, v9
	s_delay_alu instid0(VALU_DEP_1)
	v_add_co_ci_u32_e64 v4, null, s13, 0, s2
	s_waitcnt lgkmcnt(0)
	s_and_b32 s0, s0, 0xffff
	s_and_b32 s1, s1, exec_lo
	v_mad_u64_u32 v[7:8], null, s0, 6, v[9:10]
	s_cselect_b32 s5, s9, 0
	s_cselect_b32 s4, s8, 0x10000
	s_lshl_b32 s1, s0, 1
	s_mul_i32 s2, s0, 3
	s_lshl_b32 s14, s0, 2
	s_lshl_b32 s15, s0, 3
	v_add_co_u32 v13, s0, v0, s0
	v_add_co_u32 v5, vcc_lo, s10, v7
	v_add_co_u32 v14, s3, s14, v9
	v_add_co_ci_u32_e32 v6, vcc_lo, s11, v8, vcc_lo
	s_delay_alu instid0(VALU_DEP_4)
	v_lshlrev_b32_e32 v21, 1, v13
	v_add_co_u32 v7, vcc_lo, s12, v7
	v_add_co_ci_u32_e64 v15, null, 0, 0, s3
	v_add_co_ci_u32_e32 v8, vcc_lo, s13, v8, vcc_lo
	v_add_co_ci_u32_e64 v16, null, 0, 0, s0
	v_add_co_u32 v17, s0, s1, v0
	v_add_co_u32 v11, vcc_lo, s10, v14
	v_add_co_ci_u32_e64 v18, null, 0, 0, s0
	v_add_co_u32 v19, s0, s10, v21
	v_add_co_ci_u32_e32 v12, vcc_lo, s11, v15, vcc_lo
	v_add_co_u32 v9, s2, s2, v0
	v_add_co_u32 v14, vcc_lo, s12, v14
	v_add_co_ci_u32_e64 v20, null, s11, 0, s0
	v_add_co_u32 v21, s0, s12, v21
	v_add_co_ci_u32_e64 v10, null, 0, 0, s2
	v_add_co_ci_u32_e32 v15, vcc_lo, s13, v15, vcc_lo
	v_add_co_ci_u32_e64 v22, null, s13, 0, s0
	s_mov_b64 s[10:11], 0
	s_mov_b32 s12, 0.5
	s_mov_b32 s13, -0.5
	s_branch .LBB58_9
.LBB58_8:                               ;   in Loop: Header=BB58_9 Depth=1
	s_or_b32 exec_lo, exec_lo, s0
	v_add_co_u32 v1, vcc_lo, v1, s15
	v_add_co_ci_u32_e32 v2, vcc_lo, 0, v2, vcc_lo
	v_add_co_u32 v3, vcc_lo, v3, s15
	v_add_co_ci_u32_e32 v4, vcc_lo, 0, v4, vcc_lo
	;; [unrolled: 2-line block ×5, first 2 shown]
	s_add_u32 s10, s10, s14
	v_add_co_u32 v14, vcc_lo, v14, s15
	s_addc_u32 s11, s11, 0
	v_add_co_ci_u32_e32 v15, vcc_lo, 0, v15, vcc_lo
	v_cmp_ge_i64_e64 s0, s[10:11], s[8:9]
	v_cmp_lt_u64_e64 s1, 0xffff, s[10:11]
	v_add_co_u32 v19, vcc_lo, v19, s15
	v_add_co_ci_u32_e32 v20, vcc_lo, 0, v20, vcc_lo
	v_add_co_u32 v21, vcc_lo, v21, s15
	v_add_co_ci_u32_e32 v22, vcc_lo, 0, v22, vcc_lo
	s_or_b32 s0, s0, s1
	s_delay_alu instid0(SALU_CYCLE_1)
	s_and_b32 vcc_lo, exec_lo, s0
	s_cbranch_vccnz .LBB58_25
.LBB58_9:                               ; =>This Inner Loop Header: Depth=1
	s_waitcnt vmcnt(0)
	v_add_co_u32 v23, s0, v0, s10
	s_delay_alu instid0(VALU_DEP_1) | instskip(SKIP_1) | instid1(VALU_DEP_2)
	v_add_co_ci_u32_e64 v24, null, 0, s11, s0
	v_mov_b32_e32 v26, 0
	v_cmp_gt_u64_e64 s2, s[4:5], v[23:24]
	s_delay_alu instid0(VALU_DEP_1)
	s_and_saveexec_b32 s0, s2
	s_cbranch_execz .LBB58_11
; %bb.10:                               ;   in Loop: Header=BB58_9 Depth=1
	v_add_co_u32 v23, vcc_lo, v1, s6
	v_add_co_ci_u32_e32 v24, vcc_lo, s7, v2, vcc_lo
	global_load_u16 v26, v[23:24], off
.LBB58_11:                              ;   in Loop: Header=BB58_9 Depth=1
	s_or_b32 exec_lo, exec_lo, s0
	v_add_co_u32 v23, vcc_lo, v13, s10
	v_add_co_ci_u32_e32 v24, vcc_lo, s11, v16, vcc_lo
	v_mov_b32_e32 v25, 0
	s_delay_alu instid0(VALU_DEP_2) | instskip(NEXT) | instid1(VALU_DEP_1)
	v_cmp_gt_u64_e64 s1, s[4:5], v[23:24]
	s_and_saveexec_b32 s0, s1
	s_cbranch_execz .LBB58_13
; %bb.12:                               ;   in Loop: Header=BB58_9 Depth=1
	v_add_co_u32 v23, vcc_lo, v19, s6
	v_add_co_ci_u32_e32 v24, vcc_lo, s7, v20, vcc_lo
	global_load_u16 v25, v[23:24], off
.LBB58_13:                              ;   in Loop: Header=BB58_9 Depth=1
	s_or_b32 exec_lo, exec_lo, s0
	v_add_co_u32 v23, vcc_lo, v17, s10
	v_add_co_ci_u32_e32 v24, vcc_lo, s11, v18, vcc_lo
	s_delay_alu instid0(VALU_DEP_1) | instskip(SKIP_1) | instid1(VALU_DEP_2)
	v_cmp_gt_u64_e64 s0, s[4:5], v[23:24]
	v_dual_mov_b32 v23, 0 :: v_dual_mov_b32 v24, 0
	s_and_saveexec_b32 s3, s0
	s_cbranch_execz .LBB58_15
; %bb.14:                               ;   in Loop: Header=BB58_9 Depth=1
	v_add_co_u32 v27, vcc_lo, v11, s6
	v_add_co_ci_u32_e32 v28, vcc_lo, s7, v12, vcc_lo
	global_load_u16 v24, v[27:28], off
.LBB58_15:                              ;   in Loop: Header=BB58_9 Depth=1
	s_or_b32 exec_lo, exec_lo, s3
	v_add_co_u32 v27, vcc_lo, v9, s10
	v_add_co_ci_u32_e32 v28, vcc_lo, s11, v10, vcc_lo
	s_delay_alu instid0(VALU_DEP_1)
	v_cmp_gt_u64_e32 vcc_lo, s[4:5], v[27:28]
	s_and_saveexec_b32 s17, vcc_lo
	s_cbranch_execnz .LBB58_20
; %bb.16:                               ;   in Loop: Header=BB58_9 Depth=1
	s_or_b32 exec_lo, exec_lo, s17
	s_and_saveexec_b32 s3, s2
	s_cbranch_execnz .LBB58_21
.LBB58_17:                              ;   in Loop: Header=BB58_9 Depth=1
	s_or_b32 exec_lo, exec_lo, s3
	s_and_saveexec_b32 s2, s1
	s_cbranch_execnz .LBB58_22
.LBB58_18:                              ;   in Loop: Header=BB58_9 Depth=1
	s_or_b32 exec_lo, exec_lo, s2
	s_and_saveexec_b32 s1, s0
	s_cbranch_execnz .LBB58_23
.LBB58_19:                              ;   in Loop: Header=BB58_9 Depth=1
	s_or_b32 exec_lo, exec_lo, s1
	s_and_saveexec_b32 s0, vcc_lo
	s_cbranch_execz .LBB58_8
	s_branch .LBB58_24
.LBB58_20:                              ;   in Loop: Header=BB58_9 Depth=1
	v_add_co_u32 v27, s3, v5, s6
	s_delay_alu instid0(VALU_DEP_1)
	v_add_co_ci_u32_e64 v28, s3, s7, v6, s3
	global_load_u16 v23, v[27:28], off
	s_or_b32 exec_lo, exec_lo, s17
	s_and_saveexec_b32 s3, s2
	s_cbranch_execz .LBB58_17
.LBB58_21:                              ;   in Loop: Header=BB58_9 Depth=1
	s_waitcnt vmcnt(0)
	v_cvt_f32_f16_e32 v27, v26
	v_fma_mix_f32 v28, |v26|, s13, s12 op_sel_hi:[1,0,0]
	s_delay_alu instid0(VALU_DEP_2) | instskip(SKIP_1) | instid1(VALU_DEP_1)
	v_mul_f32_e32 v29, v27, v27
	v_cmp_ge_f32_e64 s2, |v27|, 0.5
	v_cndmask_b32_e64 v28, v29, v28, s2
	v_cmp_lt_f32_e64 s2, |v27|, 0.5
	s_delay_alu instid0(VALU_DEP_2) | instskip(SKIP_1) | instid1(VALU_DEP_1)
	v_fmaak_f32 v29, s16, v28, 0x3c5fc5da
	v_sqrt_f32_e32 v30, v28
	v_fmaak_f32 v29, v28, v29, 0x3d034c3c
	s_delay_alu instid0(VALU_DEP_1) | instskip(NEXT) | instid1(VALU_DEP_1)
	v_fmaak_f32 v29, v28, v29, 0x3d3641b1
	v_fmaak_f32 v29, v28, v29, 0x3d999bc8
	s_delay_alu instid0(VALU_DEP_1) | instskip(NEXT) | instid1(VALU_DEP_1)
	v_fmaak_f32 v29, v28, v29, 0x3e2aaaac
	v_mul_f32_e32 v28, v28, v29
	s_waitcnt_depctr 0xfff
	v_fmac_f32_e32 v30, v30, v28
	s_delay_alu instid0(VALU_DEP_1) | instskip(SKIP_1) | instid1(VALU_DEP_2)
	v_add_f32_e32 v29, v30, v30
	v_fma_mix_f32 v28, |v26|, v28, |v26| op_sel_hi:[1,0,1]
	v_sub_f32_e32 v29, 0x3fc90fdb, v29
	s_delay_alu instid0(VALU_DEP_1) | instskip(NEXT) | instid1(VALU_DEP_1)
	v_cndmask_b32_e64 v27, v29, v28, s2
	v_cvt_f16_f32_e32 v27, v27
	s_delay_alu instid0(VALU_DEP_1) | instskip(SKIP_1) | instid1(VALU_DEP_1)
	v_bfi_b32 v28, 0x7fff, v27, v26
	v_add_co_u32 v26, s2, v3, s6
	v_add_co_ci_u32_e64 v27, s2, s7, v4, s2
	global_store_b16 v[26:27], v28, off
	s_or_b32 exec_lo, exec_lo, s3
	s_and_saveexec_b32 s2, s1
	s_cbranch_execz .LBB58_18
.LBB58_22:                              ;   in Loop: Header=BB58_9 Depth=1
	s_waitcnt vmcnt(0)
	v_cvt_f32_f16_e32 v26, v25
	v_fma_mix_f32 v27, |v25|, s13, s12 op_sel_hi:[1,0,0]
	s_delay_alu instid0(VALU_DEP_2) | instskip(SKIP_1) | instid1(VALU_DEP_1)
	v_mul_f32_e32 v28, v26, v26
	v_cmp_ge_f32_e64 s1, |v26|, 0.5
	v_cndmask_b32_e64 v27, v28, v27, s1
	v_cmp_lt_f32_e64 s1, |v26|, 0.5
	s_delay_alu instid0(VALU_DEP_2) | instskip(SKIP_1) | instid1(VALU_DEP_1)
	v_fmaak_f32 v28, s16, v27, 0x3c5fc5da
	v_sqrt_f32_e32 v29, v27
	v_fmaak_f32 v28, v27, v28, 0x3d034c3c
	s_delay_alu instid0(VALU_DEP_1) | instskip(NEXT) | instid1(VALU_DEP_1)
	v_fmaak_f32 v28, v27, v28, 0x3d3641b1
	v_fmaak_f32 v28, v27, v28, 0x3d999bc8
	s_delay_alu instid0(VALU_DEP_1) | instskip(NEXT) | instid1(VALU_DEP_1)
	v_fmaak_f32 v28, v27, v28, 0x3e2aaaac
	v_mul_f32_e32 v27, v27, v28
	s_waitcnt_depctr 0xfff
	v_fmac_f32_e32 v29, v29, v27
	s_delay_alu instid0(VALU_DEP_1) | instskip(SKIP_1) | instid1(VALU_DEP_2)
	v_add_f32_e32 v28, v29, v29
	v_fma_mix_f32 v27, |v25|, v27, |v25| op_sel_hi:[1,0,1]
	v_sub_f32_e32 v28, 0x3fc90fdb, v28
	s_delay_alu instid0(VALU_DEP_1) | instskip(NEXT) | instid1(VALU_DEP_1)
	v_cndmask_b32_e64 v26, v28, v27, s1
	v_cvt_f16_f32_e32 v26, v26
	s_delay_alu instid0(VALU_DEP_1) | instskip(SKIP_1) | instid1(VALU_DEP_1)
	v_bfi_b32 v27, 0x7fff, v26, v25
	v_add_co_u32 v25, s1, v21, s6
	v_add_co_ci_u32_e64 v26, s1, s7, v22, s1
	global_store_b16 v[25:26], v27, off
	s_or_b32 exec_lo, exec_lo, s2
	s_and_saveexec_b32 s1, s0
	s_cbranch_execz .LBB58_19
.LBB58_23:                              ;   in Loop: Header=BB58_9 Depth=1
	s_waitcnt vmcnt(0)
	v_cvt_f32_f16_e32 v25, v24
	v_fma_mix_f32 v26, |v24|, s13, s12 op_sel_hi:[1,0,0]
	s_delay_alu instid0(VALU_DEP_2) | instskip(SKIP_1) | instid1(VALU_DEP_1)
	v_mul_f32_e32 v27, v25, v25
	v_cmp_ge_f32_e64 s0, |v25|, 0.5
	v_cndmask_b32_e64 v26, v27, v26, s0
	v_cmp_lt_f32_e64 s0, |v25|, 0.5
	s_delay_alu instid0(VALU_DEP_2) | instskip(SKIP_1) | instid1(VALU_DEP_1)
	v_fmaak_f32 v27, s16, v26, 0x3c5fc5da
	v_sqrt_f32_e32 v28, v26
	v_fmaak_f32 v27, v26, v27, 0x3d034c3c
	s_delay_alu instid0(VALU_DEP_1) | instskip(NEXT) | instid1(VALU_DEP_1)
	v_fmaak_f32 v27, v26, v27, 0x3d3641b1
	v_fmaak_f32 v27, v26, v27, 0x3d999bc8
	s_delay_alu instid0(VALU_DEP_1) | instskip(NEXT) | instid1(VALU_DEP_1)
	v_fmaak_f32 v27, v26, v27, 0x3e2aaaac
	v_mul_f32_e32 v26, v26, v27
	s_waitcnt_depctr 0xfff
	v_fmac_f32_e32 v28, v28, v26
	s_delay_alu instid0(VALU_DEP_1) | instskip(SKIP_1) | instid1(VALU_DEP_2)
	v_add_f32_e32 v27, v28, v28
	v_fma_mix_f32 v26, |v24|, v26, |v24| op_sel_hi:[1,0,1]
	v_sub_f32_e32 v27, 0x3fc90fdb, v27
	s_delay_alu instid0(VALU_DEP_1) | instskip(NEXT) | instid1(VALU_DEP_1)
	v_cndmask_b32_e64 v25, v27, v26, s0
	v_cvt_f16_f32_e32 v25, v25
	s_delay_alu instid0(VALU_DEP_1) | instskip(SKIP_1) | instid1(VALU_DEP_1)
	v_bfi_b32 v26, 0x7fff, v25, v24
	v_add_co_u32 v24, s0, v14, s6
	v_add_co_ci_u32_e64 v25, s0, s7, v15, s0
	global_store_b16 v[24:25], v26, off
	s_or_b32 exec_lo, exec_lo, s1
	s_and_saveexec_b32 s0, vcc_lo
	s_cbranch_execz .LBB58_8
.LBB58_24:                              ;   in Loop: Header=BB58_9 Depth=1
	s_waitcnt vmcnt(0)
	v_cvt_f32_f16_e32 v24, v23
	v_fma_mix_f32 v25, |v23|, s13, s12 op_sel_hi:[1,0,0]
	s_delay_alu instid0(VALU_DEP_2) | instskip(SKIP_1) | instid1(VALU_DEP_2)
	v_mul_f32_e32 v26, v24, v24
	v_cmp_ge_f32_e64 vcc_lo, |v24|, 0.5
	v_cndmask_b32_e32 v25, v26, v25, vcc_lo
	v_cmp_lt_f32_e64 vcc_lo, |v24|, 0.5
	s_delay_alu instid0(VALU_DEP_2) | instskip(SKIP_1) | instid1(VALU_DEP_1)
	v_fmaak_f32 v26, s16, v25, 0x3c5fc5da
	v_sqrt_f32_e32 v27, v25
	v_fmaak_f32 v26, v25, v26, 0x3d034c3c
	s_delay_alu instid0(VALU_DEP_1) | instskip(NEXT) | instid1(VALU_DEP_1)
	v_fmaak_f32 v26, v25, v26, 0x3d3641b1
	v_fmaak_f32 v26, v25, v26, 0x3d999bc8
	s_delay_alu instid0(VALU_DEP_1) | instskip(NEXT) | instid1(VALU_DEP_1)
	v_fmaak_f32 v26, v25, v26, 0x3e2aaaac
	v_mul_f32_e32 v25, v25, v26
	s_waitcnt_depctr 0xfff
	v_fmac_f32_e32 v27, v27, v25
	v_fma_mix_f32 v25, |v23|, v25, |v23| op_sel_hi:[1,0,1]
	s_delay_alu instid0(VALU_DEP_2) | instskip(NEXT) | instid1(VALU_DEP_1)
	v_add_f32_e32 v26, v27, v27
	v_sub_f32_e32 v26, 0x3fc90fdb, v26
	s_delay_alu instid0(VALU_DEP_1) | instskip(NEXT) | instid1(VALU_DEP_1)
	v_cndmask_b32_e32 v24, v26, v25, vcc_lo
	v_cvt_f16_f32_e32 v24, v24
	s_delay_alu instid0(VALU_DEP_1)
	v_bfi_b32 v25, 0x7fff, v24, v23
	v_add_co_u32 v23, vcc_lo, v7, s6
	v_add_co_ci_u32_e32 v24, vcc_lo, s7, v8, vcc_lo
	global_store_b16 v[23:24], v25, off
	s_branch .LBB58_8
.LBB58_25:
	s_nop 0
	s_sendmsg sendmsg(MSG_DEALLOC_VGPRS)
	s_endpgm
	.section	.rodata,"a",@progbits
	.p2align	6, 0x0
	.amdhsa_kernel _ZN2at6native12_GLOBAL__N_125multi_tensor_apply_kernelINS1_18TensorListMetadataILi2EEENS1_14UnaryOpFunctorIN3c104HalfELi2ELi1ELi1EEEJNS0_4AsinIfEEEEEvT_T0_DpT1_
		.amdhsa_group_segment_fixed_size 0
		.amdhsa_private_segment_fixed_size 0
		.amdhsa_kernarg_size 3408
		.amdhsa_user_sgpr_count 15
		.amdhsa_user_sgpr_dispatch_ptr 0
		.amdhsa_user_sgpr_queue_ptr 0
		.amdhsa_user_sgpr_kernarg_segment_ptr 1
		.amdhsa_user_sgpr_dispatch_id 0
		.amdhsa_user_sgpr_private_segment_size 0
		.amdhsa_wavefront_size32 1
		.amdhsa_uses_dynamic_stack 0
		.amdhsa_enable_private_segment 0
		.amdhsa_system_sgpr_workgroup_id_x 1
		.amdhsa_system_sgpr_workgroup_id_y 0
		.amdhsa_system_sgpr_workgroup_id_z 0
		.amdhsa_system_sgpr_workgroup_info 0
		.amdhsa_system_vgpr_workitem_id 0
		.amdhsa_next_free_vgpr 31
		.amdhsa_next_free_sgpr 24
		.amdhsa_reserve_vcc 1
		.amdhsa_float_round_mode_32 0
		.amdhsa_float_round_mode_16_64 0
		.amdhsa_float_denorm_mode_32 3
		.amdhsa_float_denorm_mode_16_64 3
		.amdhsa_dx10_clamp 1
		.amdhsa_ieee_mode 1
		.amdhsa_fp16_overflow 0
		.amdhsa_workgroup_processor_mode 1
		.amdhsa_memory_ordered 1
		.amdhsa_forward_progress 0
		.amdhsa_shared_vgpr_count 0
		.amdhsa_exception_fp_ieee_invalid_op 0
		.amdhsa_exception_fp_denorm_src 0
		.amdhsa_exception_fp_ieee_div_zero 0
		.amdhsa_exception_fp_ieee_overflow 0
		.amdhsa_exception_fp_ieee_underflow 0
		.amdhsa_exception_fp_ieee_inexact 0
		.amdhsa_exception_int_div_zero 0
	.end_amdhsa_kernel
	.section	.text._ZN2at6native12_GLOBAL__N_125multi_tensor_apply_kernelINS1_18TensorListMetadataILi2EEENS1_14UnaryOpFunctorIN3c104HalfELi2ELi1ELi1EEEJNS0_4AsinIfEEEEEvT_T0_DpT1_,"axG",@progbits,_ZN2at6native12_GLOBAL__N_125multi_tensor_apply_kernelINS1_18TensorListMetadataILi2EEENS1_14UnaryOpFunctorIN3c104HalfELi2ELi1ELi1EEEJNS0_4AsinIfEEEEEvT_T0_DpT1_,comdat
.Lfunc_end58:
	.size	_ZN2at6native12_GLOBAL__N_125multi_tensor_apply_kernelINS1_18TensorListMetadataILi2EEENS1_14UnaryOpFunctorIN3c104HalfELi2ELi1ELi1EEEJNS0_4AsinIfEEEEEvT_T0_DpT1_, .Lfunc_end58-_ZN2at6native12_GLOBAL__N_125multi_tensor_apply_kernelINS1_18TensorListMetadataILi2EEENS1_14UnaryOpFunctorIN3c104HalfELi2ELi1ELi1EEEJNS0_4AsinIfEEEEEvT_T0_DpT1_
                                        ; -- End function
	.section	.AMDGPU.csdata,"",@progbits
; Kernel info:
; codeLenInByte = 2668
; NumSgprs: 26
; NumVgprs: 31
; ScratchSize: 0
; MemoryBound: 0
; FloatMode: 240
; IeeeMode: 1
; LDSByteSize: 0 bytes/workgroup (compile time only)
; SGPRBlocks: 3
; VGPRBlocks: 3
; NumSGPRsForWavesPerEU: 26
; NumVGPRsForWavesPerEU: 31
; Occupancy: 16
; WaveLimiterHint : 0
; COMPUTE_PGM_RSRC2:SCRATCH_EN: 0
; COMPUTE_PGM_RSRC2:USER_SGPR: 15
; COMPUTE_PGM_RSRC2:TRAP_HANDLER: 0
; COMPUTE_PGM_RSRC2:TGID_X_EN: 1
; COMPUTE_PGM_RSRC2:TGID_Y_EN: 0
; COMPUTE_PGM_RSRC2:TGID_Z_EN: 0
; COMPUTE_PGM_RSRC2:TIDIG_COMP_CNT: 0
	.section	.text._ZN2at6native12_GLOBAL__N_125multi_tensor_apply_kernelINS1_18TensorListMetadataILi2EEENS1_14UnaryOpFunctorIN3c108BFloat16ELi2ELi1ELi1EEEJNS0_4AsinIfEEEEEvT_T0_DpT1_,"axG",@progbits,_ZN2at6native12_GLOBAL__N_125multi_tensor_apply_kernelINS1_18TensorListMetadataILi2EEENS1_14UnaryOpFunctorIN3c108BFloat16ELi2ELi1ELi1EEEJNS0_4AsinIfEEEEEvT_T0_DpT1_,comdat
	.globl	_ZN2at6native12_GLOBAL__N_125multi_tensor_apply_kernelINS1_18TensorListMetadataILi2EEENS1_14UnaryOpFunctorIN3c108BFloat16ELi2ELi1ELi1EEEJNS0_4AsinIfEEEEEvT_T0_DpT1_ ; -- Begin function _ZN2at6native12_GLOBAL__N_125multi_tensor_apply_kernelINS1_18TensorListMetadataILi2EEENS1_14UnaryOpFunctorIN3c108BFloat16ELi2ELi1ELi1EEEJNS0_4AsinIfEEEEEvT_T0_DpT1_
	.p2align	8
	.type	_ZN2at6native12_GLOBAL__N_125multi_tensor_apply_kernelINS1_18TensorListMetadataILi2EEENS1_14UnaryOpFunctorIN3c108BFloat16ELi2ELi1ELi1EEEJNS0_4AsinIfEEEEEvT_T0_DpT1_,@function
_ZN2at6native12_GLOBAL__N_125multi_tensor_apply_kernelINS1_18TensorListMetadataILi2EEENS1_14UnaryOpFunctorIN3c108BFloat16ELi2ELi1ELi1EEEJNS0_4AsinIfEEEEEvT_T0_DpT1_: ; @_ZN2at6native12_GLOBAL__N_125multi_tensor_apply_kernelINS1_18TensorListMetadataILi2EEENS1_14UnaryOpFunctorIN3c108BFloat16ELi2ELi1ELi1EEEJNS0_4AsinIfEEEEEvT_T0_DpT1_
; %bb.0:
	v_mov_b32_e32 v1, s15
	s_add_u32 s2, s0, s15
	s_mul_hi_u32 s3, s15, 3
	s_mul_i32 s15, s15, 3
	s_addc_u32 s4, s1, 0
	global_load_u8 v1, v1, s[0:1] offset:1536
	s_add_u32 s2, s2, s15
	s_addc_u32 s3, s4, s3
	s_mov_b32 s7, 0
	s_load_b32 s2, s[2:3], 0x740
	s_mov_b32 s17, s7
	s_mov_b32 s11, s7
	s_waitcnt vmcnt(0)
	v_readfirstlane_b32 s5, v1
	s_delay_alu instid0(VALU_DEP_1)
	s_lshl_b32 s3, s5, 3
	s_clause 0x2
	s_load_b64 s[12:13], s[0:1], s3 offset:0x0
	s_load_b64 s[14:15], s[0:1], s3 offset:0x200
	;; [unrolled: 1-line block ×3, first 2 shown]
	s_waitcnt lgkmcnt(0)
	s_ashr_i32 s3, s2, 31
	s_delay_alu instid0(SALU_CYCLE_1) | instskip(SKIP_4) | instid1(SALU_CYCLE_1)
	s_lshl_b64 s[8:9], s[2:3], 17
	s_lshl_b64 s[2:3], s[2:3], 16
	s_and_b32 s6, s12, 7
	s_and_b32 s10, s14, 7
	s_and_b32 s16, s4, 3
	s_or_b64 s[6:7], s[6:7], s[16:17]
	s_delay_alu instid0(SALU_CYCLE_1)
	s_or_b64 s[6:7], s[10:11], s[6:7]
	s_sub_u32 s10, s4, s2
	s_subb_u32 s11, s5, s3
	s_cmp_eq_u64 s[6:7], 0
	s_mov_b32 s2, -1
	s_cbranch_scc0 .LBB59_5
; %bb.1:
	v_dual_mov_b32 v2, 0 :: v_dual_lshlrev_b32 v1, 2, v0
	s_mov_b32 s7, exec_lo
	s_delay_alu instid0(VALU_DEP_1)
	v_cmpx_gt_i64_e64 s[10:11], v[1:2]
	s_cbranch_execz .LBB59_4
; %bb.2:
	s_load_b32 s2, s[0:1], 0xc5c
	v_lshlrev_b32_e32 v1, 3, v0
	s_mov_b32 s16, 0
	s_mov_b32 s19, 0x3d1c21a7
	s_delay_alu instid0(VALU_DEP_1) | instskip(NEXT) | instid1(VALU_DEP_1)
	v_add_co_u32 v3, s3, s8, v1
	v_add_co_ci_u32_e64 v4, null, s9, 0, s3
	s_waitcnt lgkmcnt(0)
	s_and_b32 s2, s2, 0xffff
	s_delay_alu instid0(SALU_CYCLE_1)
	v_add_lshl_u32 v1, v0, s2, 2
	s_lshl_b32 s17, s2, 3
	s_lshl_b32 s18, s2, 2
.LBB59_3:                               ; =>This Inner Loop Header: Depth=1
	v_add_co_u32 v5, vcc_lo, s12, v3
	v_add_co_ci_u32_e32 v6, vcc_lo, s13, v4, vcc_lo
	v_add_co_u32 v7, vcc_lo, s14, v3
	v_add_co_ci_u32_e32 v8, vcc_lo, s15, v4, vcc_lo
	global_load_b64 v[5:6], v[5:6], off
	v_cmp_le_i64_e32 vcc_lo, s[10:11], v[1:2]
	v_cmp_lt_u64_e64 s2, 0xffff, v[1:2]
	v_add_co_u32 v3, s3, v3, s17
	s_delay_alu instid0(VALU_DEP_1) | instskip(SKIP_1) | instid1(VALU_DEP_4)
	v_add_co_ci_u32_e64 v4, s3, 0, v4, s3
	v_add_co_u32 v1, s3, v1, s18
	s_or_b32 s2, vcc_lo, s2
	v_add_co_ci_u32_e64 v2, s3, 0, v2, s3
	s_and_b32 s2, exec_lo, s2
	s_delay_alu instid0(SALU_CYCLE_1) | instskip(SKIP_4) | instid1(VALU_DEP_3)
	s_or_b32 s16, s2, s16
	s_waitcnt vmcnt(0)
	v_and_b32_e32 v10, 0xffff0000, v5
	v_lshlrev_b32_e32 v9, 16, v5
	v_alignbit_b32 v5, v6, v5, 16
	v_mul_f32_e32 v14, v10, v10
	s_delay_alu instid0(VALU_DEP_3) | instskip(SKIP_2) | instid1(VALU_DEP_1)
	v_fma_f32 v11, |v9|, -0.5, 0.5
	v_mul_f32_e32 v12, v9, v9
	v_cmp_ge_f32_e64 s6, |v9|, 0.5
	v_cndmask_b32_e64 v11, v12, v11, s6
	v_cmp_lt_f32_e64 s6, |v9|, 0.5
	s_delay_alu instid0(VALU_DEP_2) | instskip(SKIP_1) | instid1(VALU_DEP_1)
	v_sqrt_f32_e32 v17, v11
	v_and_b32_e32 v6, 0xffff0000, v6
	v_dual_mul_f32 v16, v6, v6 :: v_dual_and_b32 v5, 0xffff0000, v5
	v_fma_f32 v15, |v6|, -0.5, 0.5
	v_cmp_ge_f32_e64 s5, |v6|, 0.5
	s_delay_alu instid0(VALU_DEP_1) | instskip(SKIP_1) | instid1(VALU_DEP_2)
	v_cndmask_b32_e64 v15, v16, v15, s5
	v_fmaak_f32 v16, s19, v11, 0x3c5fc5da
	v_sqrt_f32_e32 v20, v15
	s_delay_alu instid0(VALU_DEP_1) | instskip(NEXT) | instid1(VALU_DEP_1)
	v_fmaak_f32 v16, v11, v16, 0x3d034c3c
	v_fmaak_f32 v16, v11, v16, 0x3d3641b1
	s_delay_alu instid0(VALU_DEP_1) | instskip(NEXT) | instid1(VALU_DEP_1)
	v_fmaak_f32 v16, v11, v16, 0x3d999bc8
	v_fmaak_f32 v16, v11, v16, 0x3e2aaaac
	s_delay_alu instid0(VALU_DEP_1) | instskip(SKIP_2) | instid1(VALU_DEP_3)
	v_mul_f32_e32 v11, v11, v16
	v_fma_f32 v13, |v10|, -0.5, 0.5
	v_cmp_ge_f32_e64 s4, |v10|, 0.5
	v_fmac_f32_e32 v17, v17, v11
	v_fma_f32 v11, |v9|, v11, |v9|
	s_delay_alu instid0(VALU_DEP_3) | instskip(SKIP_3) | instid1(VALU_DEP_4)
	v_cndmask_b32_e64 v12, v14, v13, s4
	v_fma_f32 v13, |v5|, -0.5, 0.5
	v_cmp_ge_f32_e64 s4, |v5|, 0.5
	v_cmp_lt_f32_e64 s5, |v6|, 0.5
	v_fmaak_f32 v18, s19, v12, 0x3c5fc5da
	v_sqrt_f32_e32 v19, v12
	s_delay_alu instid0(VALU_DEP_1) | instskip(NEXT) | instid1(VALU_DEP_1)
	v_fmaak_f32 v18, v12, v18, 0x3d034c3c
	v_fmaak_f32 v18, v12, v18, 0x3d3641b1
	s_delay_alu instid0(VALU_DEP_1) | instskip(NEXT) | instid1(VALU_DEP_1)
	v_fmaak_f32 v18, v12, v18, 0x3d999bc8
	v_fmaak_f32 v18, v12, v18, 0x3e2aaaac
	s_delay_alu instid0(VALU_DEP_1) | instskip(SKIP_2) | instid1(VALU_DEP_1)
	v_mul_f32_e32 v12, v12, v18
	s_waitcnt_depctr 0xfff
	v_dual_mul_f32 v14, v5, v5 :: v_dual_fmac_f32 v19, v19, v12
	v_cndmask_b32_e64 v13, v14, v13, s4
	v_cmp_lt_f32_e64 s4, |v10|, 0.5
	s_delay_alu instid0(VALU_DEP_2) | instskip(SKIP_1) | instid1(VALU_DEP_1)
	v_fmaak_f32 v21, s19, v13, 0x3c5fc5da
	v_sqrt_f32_e32 v22, v13
	v_fmaak_f32 v21, v13, v21, 0x3d034c3c
	s_delay_alu instid0(VALU_DEP_1) | instskip(NEXT) | instid1(VALU_DEP_1)
	v_fmaak_f32 v21, v13, v21, 0x3d3641b1
	v_fmaak_f32 v21, v13, v21, 0x3d999bc8
	s_delay_alu instid0(VALU_DEP_1) | instskip(NEXT) | instid1(VALU_DEP_1)
	v_fmaak_f32 v16, v13, v21, 0x3e2aaaac
	v_dual_fmaak_f32 v14, s19, v15, 0x3c5fc5da :: v_dual_mul_f32 v13, v13, v16
	s_delay_alu instid0(VALU_DEP_1)
	v_fmaak_f32 v14, v15, v14, 0x3d034c3c
	s_delay_alu instid0(TRANS32_DEP_1) | instid1(VALU_DEP_2)
	v_fmac_f32_e32 v22, v22, v13
	s_delay_alu instid0(VALU_DEP_2) | instskip(SKIP_1) | instid1(VALU_DEP_3)
	v_fmaak_f32 v14, v15, v14, 0x3d3641b1
	v_fma_f32 v13, |v5|, v13, |v5|
	v_add_f32_e32 v18, v22, v22
	s_delay_alu instid0(VALU_DEP_3) | instskip(SKIP_1) | instid1(VALU_DEP_2)
	v_fmaak_f32 v14, v15, v14, 0x3d999bc8
	v_add_f32_e32 v16, v19, v19
	v_fmaak_f32 v14, v15, v14, 0x3e2aaaac
	s_delay_alu instid0(VALU_DEP_1) | instskip(NEXT) | instid1(VALU_DEP_1)
	v_dual_mul_f32 v14, v15, v14 :: v_dual_add_f32 v15, v17, v17
	v_sub_f32_e32 v15, 0x3fc90fdb, v15
	v_fma_f32 v12, |v10|, v12, |v10|
	s_delay_alu instid0(VALU_DEP_2) | instskip(SKIP_1) | instid1(VALU_DEP_2)
	v_cndmask_b32_e64 v11, v15, v11, s6
	v_dual_sub_f32 v15, 0x3fc90fdb, v18 :: v_dual_sub_f32 v16, 0x3fc90fdb, v16
	v_bfi_b32 v9, 0x7fffffff, v11, v9
	s_delay_alu instid0(VALU_DEP_2) | instskip(SKIP_1) | instid1(VALU_DEP_2)
	v_cndmask_b32_e64 v12, v16, v12, s4
	v_cmp_lt_f32_e64 s4, |v5|, 0.5
	v_bfi_b32 v10, 0x7fffffff, v12, v10
	s_delay_alu instid0(VALU_DEP_2) | instskip(SKIP_2) | instid1(VALU_DEP_3)
	v_cndmask_b32_e64 v11, v15, v13, s4
	v_bfe_u32 v12, v9, 16, 1
	v_cmp_o_f32_e64 s4, v9, v9
	v_bfi_b32 v5, 0x7fffffff, v11, v5
	v_bfe_u32 v11, v10, 16, 1
	s_delay_alu instid0(VALU_DEP_4) | instskip(NEXT) | instid1(VALU_DEP_2)
	v_add3_u32 v12, v9, v12, 0x7fff
	v_add3_u32 v11, v10, v11, 0x7fff
	v_fmac_f32_e32 v20, v20, v14
	s_delay_alu instid0(VALU_DEP_3) | instskip(NEXT) | instid1(VALU_DEP_3)
	v_lshrrev_b32_e32 v12, 16, v12
	v_and_b32_e32 v11, 0xffff0000, v11
	s_delay_alu instid0(VALU_DEP_3) | instskip(NEXT) | instid1(VALU_DEP_1)
	v_add_f32_e32 v17, v20, v20
	v_sub_f32_e32 v17, 0x3fc90fdb, v17
	v_fma_f32 v14, |v6|, v14, |v6|
	s_delay_alu instid0(VALU_DEP_1) | instskip(SKIP_1) | instid1(VALU_DEP_2)
	v_cndmask_b32_e64 v14, v17, v14, s5
	v_cmp_o_f32_e64 s5, v10, v10
	v_bfi_b32 v6, 0x7fffffff, v14, v6
	v_bfe_u32 v14, v5, 16, 1
	s_delay_alu instid0(VALU_DEP_3) | instskip(SKIP_1) | instid1(VALU_DEP_4)
	v_cndmask_b32_e64 v10, 0x7fc00000, v11, s5
	v_cndmask_b32_e64 v11, 0x7fc0, v12, s4
	v_bfe_u32 v13, v6, 16, 1
	s_delay_alu instid0(VALU_DEP_4) | instskip(SKIP_1) | instid1(VALU_DEP_3)
	v_add3_u32 v14, v5, v14, 0x7fff
	v_cmp_o_f32_e64 s4, v6, v6
	v_add3_u32 v13, v6, v13, 0x7fff
	s_delay_alu instid0(VALU_DEP_3) | instskip(NEXT) | instid1(VALU_DEP_2)
	v_lshrrev_b32_e32 v9, 16, v14
	v_and_b32_e32 v13, 0xffff0000, v13
	s_delay_alu instid0(VALU_DEP_1) | instskip(SKIP_1) | instid1(VALU_DEP_1)
	v_cndmask_b32_e64 v6, 0x7fc00000, v13, s4
	v_cmp_o_f32_e64 s4, v5, v5
	v_cndmask_b32_e64 v5, 0x7fc0, v9, s4
	v_or_b32_e32 v9, v11, v10
	s_delay_alu instid0(VALU_DEP_2) | instskip(NEXT) | instid1(VALU_DEP_2)
	v_or3_b32 v6, 0, v5, v6
	v_or3_b32 v5, v9, 0, 0
	global_store_b64 v[7:8], v[5:6], off
	s_and_not1_b32 exec_lo, exec_lo, s16
	s_cbranch_execnz .LBB59_3
.LBB59_4:
	s_or_b32 exec_lo, exec_lo, s7
	s_mov_b32 s2, 0
.LBB59_5:
	s_delay_alu instid0(SALU_CYCLE_1)
	s_and_not1_b32 vcc_lo, exec_lo, s2
	s_cbranch_vccnz .LBB59_25
; %bb.6:
	v_cmp_lt_i64_e64 s2, s[10:11], 1
	s_delay_alu instid0(VALU_DEP_1)
	s_and_b32 vcc_lo, exec_lo, s2
	s_cbranch_vccnz .LBB59_25
; %bb.7:
	s_load_b32 s0, s[0:1], 0xc5c
	v_dual_mov_b32 v10, 0 :: v_dual_lshlrev_b32 v9, 1, v0
	v_cmp_gt_u64_e64 s1, 0x10000, s[10:11]
	s_mov_b64 s[6:7], 0
	s_delay_alu instid0(VALU_DEP_2) | instskip(NEXT) | instid1(VALU_DEP_1)
	v_add_co_u32 v1, s2, s12, v9
	v_add_co_ci_u32_e64 v2, null, s13, 0, s2
	v_add_co_u32 v3, s2, s14, v9
	s_delay_alu instid0(VALU_DEP_1)
	v_add_co_ci_u32_e64 v4, null, s15, 0, s2
	s_waitcnt lgkmcnt(0)
	s_and_b32 s0, s0, 0xffff
	s_and_b32 s1, s1, exec_lo
	v_mad_u64_u32 v[7:8], null, s0, 6, v[9:10]
	s_cselect_b32 s5, s11, 0
	s_cselect_b32 s4, s10, 0x10000
	s_mul_i32 s2, s0, 3
	s_lshl_b32 s16, s0, 2
	s_lshl_b32 s1, s0, 1
	v_add_co_u32 v14, s3, s16, v9
	v_add_co_u32 v9, s2, s2, v0
	s_delay_alu instid0(VALU_DEP_1) | instskip(SKIP_3) | instid1(VALU_DEP_3)
	v_add_co_ci_u32_e64 v10, null, 0, 0, s2
	v_add_co_u32 v13, s2, v0, s0
	v_add_co_u32 v5, vcc_lo, s12, v7
	v_add_co_ci_u32_e32 v6, vcc_lo, s13, v8, vcc_lo
	v_lshlrev_b32_e32 v21, 1, v13
	v_add_co_u32 v7, vcc_lo, s14, v7
	v_add_co_ci_u32_e64 v15, null, 0, 0, s3
	v_add_co_ci_u32_e32 v8, vcc_lo, s15, v8, vcc_lo
	v_add_co_u32 v17, s1, s1, v0
	v_add_co_u32 v11, vcc_lo, s12, v14
	v_add_co_ci_u32_e64 v18, null, 0, 0, s1
	v_add_co_u32 v19, s1, s12, v21
	v_add_co_ci_u32_e32 v12, vcc_lo, s13, v15, vcc_lo
	v_add_co_u32 v14, vcc_lo, s14, v14
	v_add_co_ci_u32_e64 v20, null, s13, 0, s1
	v_add_co_u32 v21, s1, s14, v21
	v_add_co_ci_u32_e32 v15, vcc_lo, s15, v15, vcc_lo
	v_add_co_ci_u32_e64 v16, null, 0, 0, s2
	v_add_co_ci_u32_e64 v22, null, s15, 0, s1
	s_lshl_b32 s12, s0, 3
	s_mov_b32 s13, 0x3d1c21a7
	s_branch .LBB59_9
.LBB59_8:                               ;   in Loop: Header=BB59_9 Depth=1
	s_or_b32 exec_lo, exec_lo, s0
	v_add_co_u32 v1, vcc_lo, v1, s12
	v_add_co_ci_u32_e32 v2, vcc_lo, 0, v2, vcc_lo
	v_add_co_u32 v3, vcc_lo, v3, s12
	v_add_co_ci_u32_e32 v4, vcc_lo, 0, v4, vcc_lo
	v_add_co_u32 v5, vcc_lo, v5, s12
	v_add_co_ci_u32_e32 v6, vcc_lo, 0, v6, vcc_lo
	v_add_co_u32 v7, vcc_lo, v7, s12
	v_add_co_ci_u32_e32 v8, vcc_lo, 0, v8, vcc_lo
	v_add_co_u32 v11, vcc_lo, v11, s12
	v_add_co_ci_u32_e32 v12, vcc_lo, 0, v12, vcc_lo
	s_add_u32 s6, s6, s16
	v_add_co_u32 v14, vcc_lo, v14, s12
	s_addc_u32 s7, s7, 0
	v_add_co_ci_u32_e32 v15, vcc_lo, 0, v15, vcc_lo
	v_cmp_ge_i64_e64 s0, s[6:7], s[10:11]
	v_cmp_lt_u64_e64 s1, 0xffff, s[6:7]
	v_add_co_u32 v19, vcc_lo, v19, s12
	v_add_co_ci_u32_e32 v20, vcc_lo, 0, v20, vcc_lo
	v_add_co_u32 v21, vcc_lo, v21, s12
	v_add_co_ci_u32_e32 v22, vcc_lo, 0, v22, vcc_lo
	s_or_b32 s0, s0, s1
	s_delay_alu instid0(SALU_CYCLE_1)
	s_and_b32 vcc_lo, exec_lo, s0
	s_cbranch_vccnz .LBB59_25
.LBB59_9:                               ; =>This Inner Loop Header: Depth=1
	s_waitcnt vmcnt(0)
	v_add_co_u32 v23, s0, v0, s6
	s_delay_alu instid0(VALU_DEP_1) | instskip(SKIP_1) | instid1(VALU_DEP_2)
	v_add_co_ci_u32_e64 v24, null, 0, s7, s0
	v_mov_b32_e32 v26, 0
	v_cmp_gt_u64_e64 s2, s[4:5], v[23:24]
	s_delay_alu instid0(VALU_DEP_1)
	s_and_saveexec_b32 s0, s2
	s_cbranch_execz .LBB59_11
; %bb.10:                               ;   in Loop: Header=BB59_9 Depth=1
	v_add_co_u32 v23, vcc_lo, v1, s8
	v_add_co_ci_u32_e32 v24, vcc_lo, s9, v2, vcc_lo
	global_load_u16 v26, v[23:24], off
.LBB59_11:                              ;   in Loop: Header=BB59_9 Depth=1
	s_or_b32 exec_lo, exec_lo, s0
	v_add_co_u32 v23, vcc_lo, v13, s6
	v_add_co_ci_u32_e32 v24, vcc_lo, s7, v16, vcc_lo
	v_mov_b32_e32 v25, 0
	s_delay_alu instid0(VALU_DEP_2) | instskip(NEXT) | instid1(VALU_DEP_1)
	v_cmp_gt_u64_e64 s1, s[4:5], v[23:24]
	s_and_saveexec_b32 s0, s1
	s_cbranch_execz .LBB59_13
; %bb.12:                               ;   in Loop: Header=BB59_9 Depth=1
	v_add_co_u32 v23, vcc_lo, v19, s8
	v_add_co_ci_u32_e32 v24, vcc_lo, s9, v20, vcc_lo
	global_load_u16 v25, v[23:24], off
.LBB59_13:                              ;   in Loop: Header=BB59_9 Depth=1
	s_or_b32 exec_lo, exec_lo, s0
	v_add_co_u32 v23, vcc_lo, v17, s6
	v_add_co_ci_u32_e32 v24, vcc_lo, s7, v18, vcc_lo
	s_delay_alu instid0(VALU_DEP_1) | instskip(SKIP_1) | instid1(VALU_DEP_2)
	v_cmp_gt_u64_e64 s0, s[4:5], v[23:24]
	v_dual_mov_b32 v23, 0 :: v_dual_mov_b32 v24, 0
	s_and_saveexec_b32 s3, s0
	s_cbranch_execz .LBB59_15
; %bb.14:                               ;   in Loop: Header=BB59_9 Depth=1
	v_add_co_u32 v27, vcc_lo, v11, s8
	v_add_co_ci_u32_e32 v28, vcc_lo, s9, v12, vcc_lo
	global_load_u16 v24, v[27:28], off
.LBB59_15:                              ;   in Loop: Header=BB59_9 Depth=1
	s_or_b32 exec_lo, exec_lo, s3
	v_add_co_u32 v27, vcc_lo, v9, s6
	v_add_co_ci_u32_e32 v28, vcc_lo, s7, v10, vcc_lo
	s_delay_alu instid0(VALU_DEP_1)
	v_cmp_gt_u64_e32 vcc_lo, s[4:5], v[27:28]
	s_and_saveexec_b32 s14, vcc_lo
	s_cbranch_execnz .LBB59_20
; %bb.16:                               ;   in Loop: Header=BB59_9 Depth=1
	s_or_b32 exec_lo, exec_lo, s14
	s_and_saveexec_b32 s3, s2
	s_cbranch_execnz .LBB59_21
.LBB59_17:                              ;   in Loop: Header=BB59_9 Depth=1
	s_or_b32 exec_lo, exec_lo, s3
	s_and_saveexec_b32 s2, s1
	s_cbranch_execnz .LBB59_22
.LBB59_18:                              ;   in Loop: Header=BB59_9 Depth=1
	s_or_b32 exec_lo, exec_lo, s2
	s_and_saveexec_b32 s1, s0
	s_cbranch_execnz .LBB59_23
.LBB59_19:                              ;   in Loop: Header=BB59_9 Depth=1
	s_or_b32 exec_lo, exec_lo, s1
	s_and_saveexec_b32 s0, vcc_lo
	s_cbranch_execz .LBB59_8
	s_branch .LBB59_24
.LBB59_20:                              ;   in Loop: Header=BB59_9 Depth=1
	v_add_co_u32 v27, s3, v5, s8
	s_delay_alu instid0(VALU_DEP_1)
	v_add_co_ci_u32_e64 v28, s3, s9, v6, s3
	global_load_u16 v23, v[27:28], off
	s_or_b32 exec_lo, exec_lo, s14
	s_and_saveexec_b32 s3, s2
	s_cbranch_execz .LBB59_17
.LBB59_21:                              ;   in Loop: Header=BB59_9 Depth=1
	s_waitcnt vmcnt(0)
	v_lshlrev_b32_e32 v26, 16, v26
	s_delay_alu instid0(VALU_DEP_1) | instskip(SKIP_2) | instid1(VALU_DEP_1)
	v_fma_f32 v27, |v26|, -0.5, 0.5
	v_mul_f32_e32 v28, v26, v26
	v_cmp_ge_f32_e64 s2, |v26|, 0.5
	v_cndmask_b32_e64 v27, v28, v27, s2
	s_delay_alu instid0(VALU_DEP_1) | instskip(SKIP_1) | instid1(VALU_DEP_1)
	v_fmaak_f32 v28, s13, v27, 0x3c5fc5da
	v_sqrt_f32_e32 v29, v27
	v_fmaak_f32 v28, v27, v28, 0x3d034c3c
	s_delay_alu instid0(VALU_DEP_1) | instskip(NEXT) | instid1(VALU_DEP_1)
	v_fmaak_f32 v28, v27, v28, 0x3d3641b1
	v_fmaak_f32 v28, v27, v28, 0x3d999bc8
	s_delay_alu instid0(VALU_DEP_1) | instskip(NEXT) | instid1(VALU_DEP_1)
	v_fmaak_f32 v28, v27, v28, 0x3e2aaaac
	v_mul_f32_e32 v27, v27, v28
	v_cmp_lt_f32_e64 s2, |v26|, 0.5
	s_delay_alu instid0(TRANS32_DEP_1) | instid1(VALU_DEP_2)
	v_fmac_f32_e32 v29, v29, v27
	v_fma_f32 v27, |v26|, v27, |v26|
	s_delay_alu instid0(VALU_DEP_2) | instskip(NEXT) | instid1(VALU_DEP_1)
	v_add_f32_e32 v28, v29, v29
	v_sub_f32_e32 v28, 0x3fc90fdb, v28
	s_delay_alu instid0(VALU_DEP_1) | instskip(NEXT) | instid1(VALU_DEP_1)
	v_cndmask_b32_e64 v27, v28, v27, s2
	v_bfi_b32 v26, 0x7fffffff, v27, v26
	s_delay_alu instid0(VALU_DEP_1) | instskip(SKIP_1) | instid1(VALU_DEP_2)
	v_bfe_u32 v27, v26, 16, 1
	v_cmp_o_f32_e64 s2, v26, v26
	v_add3_u32 v27, v26, v27, 0x7fff
	s_delay_alu instid0(VALU_DEP_1) | instskip(NEXT) | instid1(VALU_DEP_1)
	v_lshrrev_b32_e32 v27, 16, v27
	v_cndmask_b32_e64 v28, 0x7fc0, v27, s2
	v_add_co_u32 v26, s2, v3, s8
	s_delay_alu instid0(VALU_DEP_1)
	v_add_co_ci_u32_e64 v27, s2, s9, v4, s2
	global_store_b16 v[26:27], v28, off
	s_or_b32 exec_lo, exec_lo, s3
	s_and_saveexec_b32 s2, s1
	s_cbranch_execz .LBB59_18
.LBB59_22:                              ;   in Loop: Header=BB59_9 Depth=1
	s_waitcnt vmcnt(0)
	v_lshlrev_b32_e32 v25, 16, v25
	s_delay_alu instid0(VALU_DEP_1) | instskip(SKIP_2) | instid1(VALU_DEP_1)
	v_fma_f32 v26, |v25|, -0.5, 0.5
	v_mul_f32_e32 v27, v25, v25
	v_cmp_ge_f32_e64 s1, |v25|, 0.5
	v_cndmask_b32_e64 v26, v27, v26, s1
	s_delay_alu instid0(VALU_DEP_1) | instskip(SKIP_1) | instid1(VALU_DEP_1)
	v_fmaak_f32 v27, s13, v26, 0x3c5fc5da
	v_sqrt_f32_e32 v28, v26
	v_fmaak_f32 v27, v26, v27, 0x3d034c3c
	s_delay_alu instid0(VALU_DEP_1) | instskip(NEXT) | instid1(VALU_DEP_1)
	v_fmaak_f32 v27, v26, v27, 0x3d3641b1
	v_fmaak_f32 v27, v26, v27, 0x3d999bc8
	s_delay_alu instid0(VALU_DEP_1) | instskip(NEXT) | instid1(VALU_DEP_1)
	v_fmaak_f32 v27, v26, v27, 0x3e2aaaac
	v_mul_f32_e32 v26, v26, v27
	v_cmp_lt_f32_e64 s1, |v25|, 0.5
	s_delay_alu instid0(TRANS32_DEP_1) | instid1(VALU_DEP_2)
	v_fmac_f32_e32 v28, v28, v26
	v_fma_f32 v26, |v25|, v26, |v25|
	s_delay_alu instid0(VALU_DEP_2) | instskip(NEXT) | instid1(VALU_DEP_1)
	v_add_f32_e32 v27, v28, v28
	v_sub_f32_e32 v27, 0x3fc90fdb, v27
	s_delay_alu instid0(VALU_DEP_1) | instskip(NEXT) | instid1(VALU_DEP_1)
	v_cndmask_b32_e64 v26, v27, v26, s1
	v_bfi_b32 v25, 0x7fffffff, v26, v25
	s_delay_alu instid0(VALU_DEP_1) | instskip(SKIP_1) | instid1(VALU_DEP_2)
	v_bfe_u32 v26, v25, 16, 1
	v_cmp_o_f32_e64 s1, v25, v25
	v_add3_u32 v26, v25, v26, 0x7fff
	s_delay_alu instid0(VALU_DEP_1) | instskip(NEXT) | instid1(VALU_DEP_1)
	v_lshrrev_b32_e32 v26, 16, v26
	v_cndmask_b32_e64 v27, 0x7fc0, v26, s1
	v_add_co_u32 v25, s1, v21, s8
	s_delay_alu instid0(VALU_DEP_1)
	v_add_co_ci_u32_e64 v26, s1, s9, v22, s1
	global_store_b16 v[25:26], v27, off
	s_or_b32 exec_lo, exec_lo, s2
	s_and_saveexec_b32 s1, s0
	s_cbranch_execz .LBB59_19
.LBB59_23:                              ;   in Loop: Header=BB59_9 Depth=1
	s_waitcnt vmcnt(0)
	v_lshlrev_b32_e32 v24, 16, v24
	s_delay_alu instid0(VALU_DEP_1) | instskip(SKIP_2) | instid1(VALU_DEP_1)
	v_fma_f32 v25, |v24|, -0.5, 0.5
	v_mul_f32_e32 v26, v24, v24
	v_cmp_ge_f32_e64 s0, |v24|, 0.5
	v_cndmask_b32_e64 v25, v26, v25, s0
	s_delay_alu instid0(VALU_DEP_1) | instskip(SKIP_1) | instid1(VALU_DEP_1)
	v_fmaak_f32 v26, s13, v25, 0x3c5fc5da
	v_sqrt_f32_e32 v27, v25
	v_fmaak_f32 v26, v25, v26, 0x3d034c3c
	s_delay_alu instid0(VALU_DEP_1) | instskip(NEXT) | instid1(VALU_DEP_1)
	v_fmaak_f32 v26, v25, v26, 0x3d3641b1
	v_fmaak_f32 v26, v25, v26, 0x3d999bc8
	s_delay_alu instid0(VALU_DEP_1) | instskip(NEXT) | instid1(VALU_DEP_1)
	v_fmaak_f32 v26, v25, v26, 0x3e2aaaac
	v_mul_f32_e32 v25, v25, v26
	v_cmp_lt_f32_e64 s0, |v24|, 0.5
	s_delay_alu instid0(TRANS32_DEP_1) | instid1(VALU_DEP_2)
	v_fmac_f32_e32 v27, v27, v25
	v_fma_f32 v25, |v24|, v25, |v24|
	s_delay_alu instid0(VALU_DEP_2) | instskip(NEXT) | instid1(VALU_DEP_1)
	v_add_f32_e32 v26, v27, v27
	v_sub_f32_e32 v26, 0x3fc90fdb, v26
	s_delay_alu instid0(VALU_DEP_1) | instskip(NEXT) | instid1(VALU_DEP_1)
	v_cndmask_b32_e64 v25, v26, v25, s0
	v_bfi_b32 v24, 0x7fffffff, v25, v24
	s_delay_alu instid0(VALU_DEP_1) | instskip(SKIP_1) | instid1(VALU_DEP_2)
	v_bfe_u32 v25, v24, 16, 1
	v_cmp_o_f32_e64 s0, v24, v24
	v_add3_u32 v25, v24, v25, 0x7fff
	s_delay_alu instid0(VALU_DEP_1) | instskip(NEXT) | instid1(VALU_DEP_1)
	v_lshrrev_b32_e32 v25, 16, v25
	v_cndmask_b32_e64 v26, 0x7fc0, v25, s0
	v_add_co_u32 v24, s0, v14, s8
	s_delay_alu instid0(VALU_DEP_1)
	v_add_co_ci_u32_e64 v25, s0, s9, v15, s0
	global_store_b16 v[24:25], v26, off
	s_or_b32 exec_lo, exec_lo, s1
	s_and_saveexec_b32 s0, vcc_lo
	s_cbranch_execz .LBB59_8
.LBB59_24:                              ;   in Loop: Header=BB59_9 Depth=1
	s_waitcnt vmcnt(0)
	v_lshlrev_b32_e32 v23, 16, v23
	s_delay_alu instid0(VALU_DEP_1) | instskip(SKIP_2) | instid1(VALU_DEP_2)
	v_fma_f32 v24, |v23|, -0.5, 0.5
	v_mul_f32_e32 v25, v23, v23
	v_cmp_ge_f32_e64 vcc_lo, |v23|, 0.5
	v_cndmask_b32_e32 v24, v25, v24, vcc_lo
	v_cmp_lt_f32_e64 vcc_lo, |v23|, 0.5
	s_delay_alu instid0(VALU_DEP_2) | instskip(SKIP_1) | instid1(VALU_DEP_1)
	v_fmaak_f32 v25, s13, v24, 0x3c5fc5da
	v_sqrt_f32_e32 v26, v24
	v_fmaak_f32 v25, v24, v25, 0x3d034c3c
	s_delay_alu instid0(VALU_DEP_1) | instskip(NEXT) | instid1(VALU_DEP_1)
	v_fmaak_f32 v25, v24, v25, 0x3d3641b1
	v_fmaak_f32 v25, v24, v25, 0x3d999bc8
	s_delay_alu instid0(VALU_DEP_1) | instskip(NEXT) | instid1(VALU_DEP_1)
	v_fmaak_f32 v25, v24, v25, 0x3e2aaaac
	v_mul_f32_e32 v24, v24, v25
	s_waitcnt_depctr 0xfff
	v_fmac_f32_e32 v26, v26, v24
	s_delay_alu instid0(VALU_DEP_1) | instskip(SKIP_1) | instid1(VALU_DEP_2)
	v_add_f32_e32 v25, v26, v26
	v_fma_f32 v24, |v23|, v24, |v23|
	v_sub_f32_e32 v25, 0x3fc90fdb, v25
	s_delay_alu instid0(VALU_DEP_1) | instskip(NEXT) | instid1(VALU_DEP_1)
	v_cndmask_b32_e32 v24, v25, v24, vcc_lo
	v_bfi_b32 v23, 0x7fffffff, v24, v23
	s_delay_alu instid0(VALU_DEP_1) | instskip(SKIP_1) | instid1(VALU_DEP_2)
	v_bfe_u32 v24, v23, 16, 1
	v_cmp_o_f32_e32 vcc_lo, v23, v23
	v_add3_u32 v24, v23, v24, 0x7fff
	s_delay_alu instid0(VALU_DEP_1) | instskip(NEXT) | instid1(VALU_DEP_1)
	v_lshrrev_b32_e32 v24, 16, v24
	v_cndmask_b32_e32 v25, 0x7fc0, v24, vcc_lo
	v_add_co_u32 v23, vcc_lo, v7, s8
	v_add_co_ci_u32_e32 v24, vcc_lo, s9, v8, vcc_lo
	global_store_b16 v[23:24], v25, off
	s_branch .LBB59_8
.LBB59_25:
	s_nop 0
	s_sendmsg sendmsg(MSG_DEALLOC_VGPRS)
	s_endpgm
	.section	.rodata,"a",@progbits
	.p2align	6, 0x0
	.amdhsa_kernel _ZN2at6native12_GLOBAL__N_125multi_tensor_apply_kernelINS1_18TensorListMetadataILi2EEENS1_14UnaryOpFunctorIN3c108BFloat16ELi2ELi1ELi1EEEJNS0_4AsinIfEEEEEvT_T0_DpT1_
		.amdhsa_group_segment_fixed_size 0
		.amdhsa_private_segment_fixed_size 0
		.amdhsa_kernarg_size 3408
		.amdhsa_user_sgpr_count 15
		.amdhsa_user_sgpr_dispatch_ptr 0
		.amdhsa_user_sgpr_queue_ptr 0
		.amdhsa_user_sgpr_kernarg_segment_ptr 1
		.amdhsa_user_sgpr_dispatch_id 0
		.amdhsa_user_sgpr_private_segment_size 0
		.amdhsa_wavefront_size32 1
		.amdhsa_uses_dynamic_stack 0
		.amdhsa_enable_private_segment 0
		.amdhsa_system_sgpr_workgroup_id_x 1
		.amdhsa_system_sgpr_workgroup_id_y 0
		.amdhsa_system_sgpr_workgroup_id_z 0
		.amdhsa_system_sgpr_workgroup_info 0
		.amdhsa_system_vgpr_workitem_id 0
		.amdhsa_next_free_vgpr 30
		.amdhsa_next_free_sgpr 20
		.amdhsa_reserve_vcc 1
		.amdhsa_float_round_mode_32 0
		.amdhsa_float_round_mode_16_64 0
		.amdhsa_float_denorm_mode_32 3
		.amdhsa_float_denorm_mode_16_64 3
		.amdhsa_dx10_clamp 1
		.amdhsa_ieee_mode 1
		.amdhsa_fp16_overflow 0
		.amdhsa_workgroup_processor_mode 1
		.amdhsa_memory_ordered 1
		.amdhsa_forward_progress 0
		.amdhsa_shared_vgpr_count 0
		.amdhsa_exception_fp_ieee_invalid_op 0
		.amdhsa_exception_fp_denorm_src 0
		.amdhsa_exception_fp_ieee_div_zero 0
		.amdhsa_exception_fp_ieee_overflow 0
		.amdhsa_exception_fp_ieee_underflow 0
		.amdhsa_exception_fp_ieee_inexact 0
		.amdhsa_exception_int_div_zero 0
	.end_amdhsa_kernel
	.section	.text._ZN2at6native12_GLOBAL__N_125multi_tensor_apply_kernelINS1_18TensorListMetadataILi2EEENS1_14UnaryOpFunctorIN3c108BFloat16ELi2ELi1ELi1EEEJNS0_4AsinIfEEEEEvT_T0_DpT1_,"axG",@progbits,_ZN2at6native12_GLOBAL__N_125multi_tensor_apply_kernelINS1_18TensorListMetadataILi2EEENS1_14UnaryOpFunctorIN3c108BFloat16ELi2ELi1ELi1EEEJNS0_4AsinIfEEEEEvT_T0_DpT1_,comdat
.Lfunc_end59:
	.size	_ZN2at6native12_GLOBAL__N_125multi_tensor_apply_kernelINS1_18TensorListMetadataILi2EEENS1_14UnaryOpFunctorIN3c108BFloat16ELi2ELi1ELi1EEEJNS0_4AsinIfEEEEEvT_T0_DpT1_, .Lfunc_end59-_ZN2at6native12_GLOBAL__N_125multi_tensor_apply_kernelINS1_18TensorListMetadataILi2EEENS1_14UnaryOpFunctorIN3c108BFloat16ELi2ELi1ELi1EEEJNS0_4AsinIfEEEEEvT_T0_DpT1_
                                        ; -- End function
	.section	.AMDGPU.csdata,"",@progbits
; Kernel info:
; codeLenInByte = 3052
; NumSgprs: 22
; NumVgprs: 30
; ScratchSize: 0
; MemoryBound: 0
; FloatMode: 240
; IeeeMode: 1
; LDSByteSize: 0 bytes/workgroup (compile time only)
; SGPRBlocks: 2
; VGPRBlocks: 3
; NumSGPRsForWavesPerEU: 22
; NumVGPRsForWavesPerEU: 30
; Occupancy: 16
; WaveLimiterHint : 0
; COMPUTE_PGM_RSRC2:SCRATCH_EN: 0
; COMPUTE_PGM_RSRC2:USER_SGPR: 15
; COMPUTE_PGM_RSRC2:TRAP_HANDLER: 0
; COMPUTE_PGM_RSRC2:TGID_X_EN: 1
; COMPUTE_PGM_RSRC2:TGID_Y_EN: 0
; COMPUTE_PGM_RSRC2:TGID_Z_EN: 0
; COMPUTE_PGM_RSRC2:TIDIG_COMP_CNT: 0
	.section	.text._ZN2at6native12_GLOBAL__N_125multi_tensor_apply_kernelINS1_18TensorListMetadataILi1EEENS1_14UnaryOpFunctorIdLi1ELi1ELi0EEEJNS0_4AsinIdEEEEEvT_T0_DpT1_,"axG",@progbits,_ZN2at6native12_GLOBAL__N_125multi_tensor_apply_kernelINS1_18TensorListMetadataILi1EEENS1_14UnaryOpFunctorIdLi1ELi1ELi0EEEJNS0_4AsinIdEEEEEvT_T0_DpT1_,comdat
	.globl	_ZN2at6native12_GLOBAL__N_125multi_tensor_apply_kernelINS1_18TensorListMetadataILi1EEENS1_14UnaryOpFunctorIdLi1ELi1ELi0EEEJNS0_4AsinIdEEEEEvT_T0_DpT1_ ; -- Begin function _ZN2at6native12_GLOBAL__N_125multi_tensor_apply_kernelINS1_18TensorListMetadataILi1EEENS1_14UnaryOpFunctorIdLi1ELi1ELi0EEEJNS0_4AsinIdEEEEEvT_T0_DpT1_
	.p2align	8
	.type	_ZN2at6native12_GLOBAL__N_125multi_tensor_apply_kernelINS1_18TensorListMetadataILi1EEENS1_14UnaryOpFunctorIdLi1ELi1ELi0EEEJNS0_4AsinIdEEEEEvT_T0_DpT1_,@function
_ZN2at6native12_GLOBAL__N_125multi_tensor_apply_kernelINS1_18TensorListMetadataILi1EEENS1_14UnaryOpFunctorIdLi1ELi1ELi0EEEJNS0_4AsinIdEEEEEvT_T0_DpT1_: ; @_ZN2at6native12_GLOBAL__N_125multi_tensor_apply_kernelINS1_18TensorListMetadataILi1EEENS1_14UnaryOpFunctorIdLi1ELi1ELi0EEEJNS0_4AsinIdEEEEEvT_T0_DpT1_
; %bb.0:
	v_mov_b32_e32 v1, s15
	s_add_u32 s2, s0, s15
	s_mul_hi_u32 s3, s15, 3
	s_mul_i32 s15, s15, 3
	s_addc_u32 s4, s1, 0
	global_load_u8 v1, v1, s[0:1] offset:1760
	s_add_u32 s2, s2, s15
	s_addc_u32 s3, s4, s3
	s_mov_b32 s13, 0
	s_load_b32 s2, s[2:3], 0x820
	s_waitcnt vmcnt(0)
	v_readfirstlane_b32 s5, v1
	s_delay_alu instid0(VALU_DEP_1)
	s_lshl_b32 s3, s5, 3
	s_clause 0x1
	s_load_b64 s[8:9], s[0:1], s3 offset:0x0
	s_load_b64 s[4:5], s[0:1], s3 offset:0x370
	s_waitcnt lgkmcnt(0)
	s_ashr_i32 s3, s2, 31
	s_delay_alu instid0(SALU_CYCLE_1)
	s_lshl_b64 s[10:11], s[2:3], 19
	s_lshl_b64 s[2:3], s[2:3], 16
	s_and_b32 s12, s8, 31
	s_sub_u32 s6, s4, s2
	s_subb_u32 s7, s5, s3
	s_and_b32 s2, s4, 3
	s_mov_b32 s3, s13
	s_delay_alu instid0(SALU_CYCLE_1) | instskip(NEXT) | instid1(SALU_CYCLE_1)
	s_or_b64 s[2:3], s[12:13], s[2:3]
	s_cmp_eq_u64 s[2:3], 0
	s_cbranch_scc1 .LBB60_29
; %bb.1:
	v_cmp_lt_i64_e64 s2, s[6:7], 1
	s_delay_alu instid0(VALU_DEP_1)
	s_and_b32 vcc_lo, exec_lo, s2
	s_cbranch_vccnz .LBB60_28
; %bb.2:
	s_load_b32 s2, s[0:1], 0xd3c
	v_cmp_gt_u64_e64 s3, 0x10000, s[6:7]
	v_lshlrev_b32_e32 v1, 3, v0
	s_mov_b32 s14, 0x78a05eaf
	s_mov_b32 s16, 0x9fea6a70
	;; [unrolled: 1-line block ×17, first 2 shown]
	s_waitcnt lgkmcnt(0)
	s_and_b32 s2, s2, 0xffff
	s_and_b32 s3, s3, exec_lo
	v_add_co_u32 v25, s5, v0, s2
	s_cselect_b32 s13, s7, 0
	s_cselect_b32 s12, s6, 0x10000
	s_lshl_b32 s3, s2, 1
	s_lshl_b32 s33, s2, 2
	v_lshlrev_b32_e32 v3, 3, v25
	s_add_u32 s44, s8, s10
	v_add_co_u32 v28, s3, s3, v0
	s_mul_i32 s4, s2, 3
	s_addc_u32 s45, s9, s11
	v_add_co_ci_u32_e64 v29, null, 0, 0, s3
	v_add_co_u32 v1, s3, s44, v1
	v_add_co_u32 v26, s4, s4, v0
	v_add_co_ci_u32_e64 v2, null, s45, 0, s3
	v_add_co_u32 v3, s3, s44, v3
	v_add_co_ci_u32_e64 v27, null, 0, 0, s4
	v_add_co_ci_u32_e64 v30, null, 0, 0, s5
	;; [unrolled: 1-line block ×3, first 2 shown]
	s_lshl_b32 s46, s2, 5
	s_mov_b32 s21, 0x3f7ab3a0
	s_mov_b32 s23, 0x3f88ed60
	;; [unrolled: 1-line block ×11, first 2 shown]
	s_mul_i32 s47, s2, 24
	s_lshl_b32 s48, s2, 4
	s_mov_b64 s[44:45], 0
	s_branch .LBB60_4
.LBB60_3:                               ;   in Loop: Header=BB60_4 Depth=1
	s_or_b32 exec_lo, exec_lo, s2
	s_add_u32 s44, s44, s33
	s_addc_u32 s45, s45, 0
	v_add_co_u32 v1, vcc_lo, v1, s46
	v_cmp_ge_i64_e64 s2, s[44:45], s[6:7]
	v_cmp_lt_u64_e64 s3, 0xffff, s[44:45]
	v_add_co_ci_u32_e32 v2, vcc_lo, 0, v2, vcc_lo
	v_add_co_u32 v3, vcc_lo, v3, s46
	v_add_co_ci_u32_e32 v4, vcc_lo, 0, v4, vcc_lo
	s_delay_alu instid0(VALU_DEP_4) | instskip(NEXT) | instid1(SALU_CYCLE_1)
	s_or_b32 s2, s2, s3
	s_and_b32 vcc_lo, exec_lo, s2
	s_cbranch_vccnz .LBB60_28
.LBB60_4:                               ; =>This Inner Loop Header: Depth=1
	v_add_co_u32 v7, s2, v0, s44
	s_delay_alu instid0(VALU_DEP_1) | instskip(SKIP_2) | instid1(VALU_DEP_3)
	v_add_co_ci_u32_e64 v8, null, 0, s45, s2
	v_mov_b32_e32 v5, 0
	v_mov_b32_e32 v6, 0
	v_cmp_gt_u64_e32 vcc_lo, s[12:13], v[7:8]
	s_delay_alu instid0(VALU_DEP_2)
	v_dual_mov_b32 v10, v6 :: v_dual_mov_b32 v9, v5
	s_and_saveexec_b32 s2, vcc_lo
	s_cbranch_execz .LBB60_6
; %bb.5:                                ;   in Loop: Header=BB60_4 Depth=1
	global_load_b64 v[9:10], v[1:2], off
.LBB60_6:                               ;   in Loop: Header=BB60_4 Depth=1
	s_or_b32 exec_lo, exec_lo, s2
	v_add_co_u32 v7, s2, v25, s44
	s_delay_alu instid0(VALU_DEP_1) | instskip(NEXT) | instid1(VALU_DEP_1)
	v_add_co_ci_u32_e64 v8, s2, s45, v30, s2
	v_cmp_gt_u64_e64 s2, s[12:13], v[7:8]
	s_delay_alu instid0(VALU_DEP_1)
	s_and_saveexec_b32 s3, s2
	s_cbranch_execz .LBB60_8
; %bb.7:                                ;   in Loop: Header=BB60_4 Depth=1
	global_load_b64 v[5:6], v[3:4], off
.LBB60_8:                               ;   in Loop: Header=BB60_4 Depth=1
	s_or_b32 exec_lo, exec_lo, s3
	v_add_co_u32 v11, s3, v28, s44
	s_delay_alu instid0(VALU_DEP_1) | instskip(SKIP_2) | instid1(VALU_DEP_3)
	v_add_co_ci_u32_e64 v12, s3, s45, v29, s3
	v_mov_b32_e32 v7, 0
	v_mov_b32_e32 v8, 0
	v_cmp_gt_u64_e64 s3, s[12:13], v[11:12]
	s_delay_alu instid0(VALU_DEP_2) | instskip(NEXT) | instid1(VALU_DEP_2)
	v_dual_mov_b32 v12, v8 :: v_dual_mov_b32 v11, v7
	s_and_saveexec_b32 s5, s3
	s_cbranch_execz .LBB60_10
; %bb.9:                                ;   in Loop: Header=BB60_4 Depth=1
	v_add_co_u32 v11, s4, v1, s48
	s_delay_alu instid0(VALU_DEP_1)
	v_add_co_ci_u32_e64 v12, s4, 0, v2, s4
	global_load_b64 v[11:12], v[11:12], off
.LBB60_10:                              ;   in Loop: Header=BB60_4 Depth=1
	s_or_b32 exec_lo, exec_lo, s5
	v_add_co_u32 v13, s4, v26, s44
	s_delay_alu instid0(VALU_DEP_1) | instskip(NEXT) | instid1(VALU_DEP_1)
	v_add_co_ci_u32_e64 v14, s4, s45, v27, s4
	v_cmp_gt_u64_e64 s4, s[12:13], v[13:14]
	s_delay_alu instid0(VALU_DEP_1)
	s_and_saveexec_b32 s49, s4
	s_cbranch_execz .LBB60_12
; %bb.11:                               ;   in Loop: Header=BB60_4 Depth=1
	v_add_co_u32 v7, s5, v1, s47
	s_delay_alu instid0(VALU_DEP_1)
	v_add_co_ci_u32_e64 v8, s5, 0, v2, s5
	global_load_b64 v[7:8], v[7:8], off
.LBB60_12:                              ;   in Loop: Header=BB60_4 Depth=1
	s_or_b32 exec_lo, exec_lo, s49
	s_waitcnt vmcnt(0)
	v_fma_f64 v[17:18], |v[9:10]|, -0.5, 0.5
	v_mul_f64 v[13:14], v[9:10], v[9:10]
	v_cmp_ge_f64_e64 s5, |v[9:10]|, 0.5
	s_delay_alu instid0(VALU_DEP_1) | instskip(NEXT) | instid1(VALU_DEP_3)
	v_cndmask_b32_e64 v14, v14, v18, s5
	v_cndmask_b32_e64 v13, v13, v17, s5
	s_delay_alu instid0(VALU_DEP_1) | instskip(NEXT) | instid1(VALU_DEP_1)
	v_fma_f64 v[15:16], v[13:14], s[16:17], s[14:15]
	v_fma_f64 v[15:16], v[13:14], v[15:16], s[18:19]
	s_delay_alu instid0(VALU_DEP_1) | instskip(NEXT) | instid1(VALU_DEP_1)
	v_fma_f64 v[15:16], v[13:14], v[15:16], s[20:21]
	v_fma_f64 v[15:16], v[13:14], v[15:16], s[22:23]
	;; [unrolled: 3-line block ×5, first 2 shown]
	s_delay_alu instid0(VALU_DEP_1) | instskip(NEXT) | instid1(VALU_DEP_1)
	v_fma_f64 v[15:16], v[13:14], v[15:16], s[38:39]
	v_mul_f64 v[15:16], v[13:14], v[15:16]
	s_delay_alu instid0(VALU_DEP_1)
	v_fma_f64 v[13:14], |v[9:10]|, v[15:16], |v[9:10]|
	s_and_saveexec_b32 s49, s5
	s_cbranch_execz .LBB60_14
; %bb.13:                               ;   in Loop: Header=BB60_4 Depth=1
	v_rsq_f64_e32 v[13:14], v[17:18]
	v_cmp_eq_f64_e64 s5, 0, v[17:18]
	s_waitcnt_depctr 0xfff
	v_mul_f64 v[19:20], v[17:18], v[13:14]
	v_mul_f64 v[13:14], v[13:14], 0.5
	s_delay_alu instid0(VALU_DEP_1) | instskip(NEXT) | instid1(VALU_DEP_1)
	v_fma_f64 v[21:22], -v[13:14], v[19:20], 0.5
	v_fma_f64 v[19:20], v[19:20], v[21:22], v[19:20]
	v_fma_f64 v[13:14], v[13:14], v[21:22], v[13:14]
	s_delay_alu instid0(VALU_DEP_2) | instskip(NEXT) | instid1(VALU_DEP_1)
	v_fma_f64 v[21:22], -v[19:20], v[19:20], v[17:18]
	v_fma_f64 v[13:14], v[21:22], v[13:14], v[19:20]
	s_delay_alu instid0(VALU_DEP_1) | instskip(NEXT) | instid1(VALU_DEP_2)
	v_cndmask_b32_e64 v14, v14, v18, s5
	v_cndmask_b32_e64 v13, v13, v17, s5
	s_delay_alu instid0(VALU_DEP_1) | instskip(SKIP_1) | instid1(VALU_DEP_2)
	v_add_f64 v[19:20], v[13:14], v[13:14]
	v_mul_f64 v[21:22], v[13:14], v[13:14]
	v_rcp_f64_e32 v[23:24], v[19:20]
	s_delay_alu instid0(VALU_DEP_1) | instskip(SKIP_1) | instid1(VALU_DEP_2)
	v_add_f64 v[31:32], v[17:18], -v[21:22]
	v_fma_f64 v[35:36], v[13:14], v[13:14], -v[21:22]
	v_add_f64 v[17:18], v[17:18], -v[31:32]
	s_waitcnt_depctr 0xfff
	v_fma_f64 v[33:34], -v[19:20], v[23:24], 1.0
	v_add_f64 v[17:18], v[17:18], -v[21:22]
	s_delay_alu instid0(VALU_DEP_2) | instskip(NEXT) | instid1(VALU_DEP_2)
	v_fma_f64 v[21:22], v[33:34], v[23:24], v[23:24]
	v_add_f64 v[17:18], v[17:18], -v[35:36]
	s_delay_alu instid0(VALU_DEP_2) | instskip(NEXT) | instid1(VALU_DEP_2)
	v_fma_f64 v[23:24], -v[19:20], v[21:22], 1.0
	v_add_f64 v[17:18], v[31:32], v[17:18]
	s_delay_alu instid0(VALU_DEP_2) | instskip(NEXT) | instid1(VALU_DEP_1)
	v_fma_f64 v[21:22], v[23:24], v[21:22], v[21:22]
	v_mul_f64 v[23:24], v[17:18], v[21:22]
	s_delay_alu instid0(VALU_DEP_1) | instskip(NEXT) | instid1(VALU_DEP_1)
	v_fma_f64 v[17:18], -v[19:20], v[23:24], v[17:18]
	v_fma_f64 v[17:18], v[17:18], v[21:22], v[23:24]
	s_delay_alu instid0(VALU_DEP_1) | instskip(NEXT) | instid1(VALU_DEP_2)
	v_cndmask_b32_e64 v18, v18, 0, s5
	v_cndmask_b32_e64 v17, v17, 0, s5
	v_cmp_neq_f64_e64 s5, |v[9:10]|, 1.0
	s_delay_alu instid0(VALU_DEP_2) | instskip(NEXT) | instid1(VALU_DEP_1)
	v_add_f64 v[19:20], v[13:14], v[17:18]
	v_add_f64 v[13:14], v[19:20], -v[13:14]
	v_mul_f64 v[21:22], v[15:16], v[19:20]
	s_delay_alu instid0(VALU_DEP_2) | instskip(NEXT) | instid1(VALU_DEP_2)
	v_add_f64 v[13:14], v[17:18], -v[13:14]
	v_fma_f64 v[17:18], v[19:20], v[15:16], -v[21:22]
	s_delay_alu instid0(VALU_DEP_1) | instskip(NEXT) | instid1(VALU_DEP_1)
	v_fma_f64 v[15:16], v[13:14], v[15:16], v[17:18]
	v_add_f64 v[17:18], v[21:22], v[15:16]
	s_delay_alu instid0(VALU_DEP_1) | instskip(SKIP_1) | instid1(VALU_DEP_2)
	v_add_f64 v[23:24], v[19:20], v[17:18]
	v_add_f64 v[21:22], v[17:18], -v[21:22]
	v_add_f64 v[19:20], v[23:24], -v[19:20]
	s_delay_alu instid0(VALU_DEP_2) | instskip(NEXT) | instid1(VALU_DEP_2)
	v_add_f64 v[15:16], v[15:16], -v[21:22]
	v_add_f64 v[17:18], v[17:18], -v[19:20]
	s_delay_alu instid0(VALU_DEP_2) | instskip(NEXT) | instid1(VALU_DEP_1)
	v_add_f64 v[13:14], v[13:14], v[15:16]
	v_add_f64 v[13:14], v[13:14], v[17:18]
	s_delay_alu instid0(VALU_DEP_1) | instskip(NEXT) | instid1(VALU_DEP_1)
	v_add_f64 v[15:16], v[23:24], v[13:14]
	v_add_f64 v[17:18], -v[15:16], s[40:41]
	v_add_f64 v[21:22], v[15:16], -v[23:24]
	s_delay_alu instid0(VALU_DEP_2) | instskip(NEXT) | instid1(VALU_DEP_2)
	v_add_f64 v[19:20], -v[17:18], s[40:41]
	v_add_f64 v[13:14], v[21:22], -v[13:14]
	s_delay_alu instid0(VALU_DEP_2) | instskip(NEXT) | instid1(VALU_DEP_1)
	v_add_f64 v[15:16], v[19:20], -v[15:16]
	v_add_f64 v[15:16], v[15:16], s[42:43]
	s_delay_alu instid0(VALU_DEP_1) | instskip(NEXT) | instid1(VALU_DEP_1)
	v_add_f64 v[13:14], v[13:14], v[15:16]
	v_add_f64 v[13:14], v[17:18], v[13:14]
	s_delay_alu instid0(VALU_DEP_1) | instskip(NEXT) | instid1(VALU_DEP_1)
	v_add_f64 v[13:14], v[13:14], v[13:14]
	v_cndmask_b32_e64 v14, 0x3ff921fb, v14, s5
	s_delay_alu instid0(VALU_DEP_2)
	v_cndmask_b32_e64 v13, 0x54442d18, v13, s5
.LBB60_14:                              ;   in Loop: Header=BB60_4 Depth=1
	s_or_b32 exec_lo, exec_lo, s49
	v_fma_f64 v[19:20], |v[5:6]|, -0.5, 0.5
	v_mul_f64 v[15:16], v[5:6], v[5:6]
	v_cmp_ge_f64_e64 s5, |v[5:6]|, 0.5
	s_delay_alu instid0(VALU_DEP_1) | instskip(NEXT) | instid1(VALU_DEP_3)
	v_cndmask_b32_e64 v16, v16, v20, s5
	v_cndmask_b32_e64 v15, v15, v19, s5
	s_delay_alu instid0(VALU_DEP_1) | instskip(NEXT) | instid1(VALU_DEP_1)
	v_fma_f64 v[17:18], v[15:16], s[16:17], s[14:15]
	v_fma_f64 v[17:18], v[15:16], v[17:18], s[18:19]
	s_delay_alu instid0(VALU_DEP_1) | instskip(NEXT) | instid1(VALU_DEP_1)
	v_fma_f64 v[17:18], v[15:16], v[17:18], s[20:21]
	v_fma_f64 v[17:18], v[15:16], v[17:18], s[22:23]
	;; [unrolled: 3-line block ×5, first 2 shown]
	s_delay_alu instid0(VALU_DEP_1) | instskip(NEXT) | instid1(VALU_DEP_1)
	v_fma_f64 v[17:18], v[15:16], v[17:18], s[38:39]
	v_mul_f64 v[17:18], v[15:16], v[17:18]
	s_delay_alu instid0(VALU_DEP_1)
	v_fma_f64 v[15:16], |v[5:6]|, v[17:18], |v[5:6]|
	s_and_saveexec_b32 s49, s5
	s_cbranch_execz .LBB60_16
; %bb.15:                               ;   in Loop: Header=BB60_4 Depth=1
	v_rsq_f64_e32 v[15:16], v[19:20]
	v_cmp_eq_f64_e64 s5, 0, v[19:20]
	s_waitcnt_depctr 0xfff
	v_mul_f64 v[21:22], v[19:20], v[15:16]
	v_mul_f64 v[15:16], v[15:16], 0.5
	s_delay_alu instid0(VALU_DEP_1) | instskip(NEXT) | instid1(VALU_DEP_1)
	v_fma_f64 v[23:24], -v[15:16], v[21:22], 0.5
	v_fma_f64 v[21:22], v[21:22], v[23:24], v[21:22]
	v_fma_f64 v[15:16], v[15:16], v[23:24], v[15:16]
	s_delay_alu instid0(VALU_DEP_2) | instskip(NEXT) | instid1(VALU_DEP_1)
	v_fma_f64 v[23:24], -v[21:22], v[21:22], v[19:20]
	v_fma_f64 v[15:16], v[23:24], v[15:16], v[21:22]
	s_delay_alu instid0(VALU_DEP_1) | instskip(NEXT) | instid1(VALU_DEP_2)
	v_cndmask_b32_e64 v16, v16, v20, s5
	v_cndmask_b32_e64 v15, v15, v19, s5
	s_delay_alu instid0(VALU_DEP_1) | instskip(SKIP_1) | instid1(VALU_DEP_2)
	v_add_f64 v[21:22], v[15:16], v[15:16]
	v_mul_f64 v[23:24], v[15:16], v[15:16]
	v_rcp_f64_e32 v[31:32], v[21:22]
	s_delay_alu instid0(VALU_DEP_1) | instskip(SKIP_1) | instid1(VALU_DEP_2)
	v_add_f64 v[33:34], v[19:20], -v[23:24]
	v_fma_f64 v[37:38], v[15:16], v[15:16], -v[23:24]
	v_add_f64 v[19:20], v[19:20], -v[33:34]
	s_waitcnt_depctr 0xfff
	v_fma_f64 v[35:36], -v[21:22], v[31:32], 1.0
	v_add_f64 v[19:20], v[19:20], -v[23:24]
	s_delay_alu instid0(VALU_DEP_2) | instskip(NEXT) | instid1(VALU_DEP_2)
	v_fma_f64 v[23:24], v[35:36], v[31:32], v[31:32]
	v_add_f64 v[19:20], v[19:20], -v[37:38]
	s_delay_alu instid0(VALU_DEP_2) | instskip(NEXT) | instid1(VALU_DEP_2)
	v_fma_f64 v[31:32], -v[21:22], v[23:24], 1.0
	v_add_f64 v[19:20], v[33:34], v[19:20]
	s_delay_alu instid0(VALU_DEP_2) | instskip(NEXT) | instid1(VALU_DEP_1)
	v_fma_f64 v[23:24], v[31:32], v[23:24], v[23:24]
	v_mul_f64 v[31:32], v[19:20], v[23:24]
	s_delay_alu instid0(VALU_DEP_1) | instskip(NEXT) | instid1(VALU_DEP_1)
	v_fma_f64 v[19:20], -v[21:22], v[31:32], v[19:20]
	v_fma_f64 v[19:20], v[19:20], v[23:24], v[31:32]
	s_delay_alu instid0(VALU_DEP_1) | instskip(NEXT) | instid1(VALU_DEP_2)
	v_cndmask_b32_e64 v20, v20, 0, s5
	v_cndmask_b32_e64 v19, v19, 0, s5
	v_cmp_neq_f64_e64 s5, |v[5:6]|, 1.0
	s_delay_alu instid0(VALU_DEP_2) | instskip(NEXT) | instid1(VALU_DEP_1)
	v_add_f64 v[21:22], v[15:16], v[19:20]
	v_add_f64 v[15:16], v[21:22], -v[15:16]
	v_mul_f64 v[23:24], v[17:18], v[21:22]
	s_delay_alu instid0(VALU_DEP_2) | instskip(NEXT) | instid1(VALU_DEP_2)
	v_add_f64 v[15:16], v[19:20], -v[15:16]
	v_fma_f64 v[19:20], v[21:22], v[17:18], -v[23:24]
	s_delay_alu instid0(VALU_DEP_1) | instskip(NEXT) | instid1(VALU_DEP_1)
	v_fma_f64 v[17:18], v[15:16], v[17:18], v[19:20]
	v_add_f64 v[19:20], v[23:24], v[17:18]
	s_delay_alu instid0(VALU_DEP_1) | instskip(SKIP_1) | instid1(VALU_DEP_2)
	v_add_f64 v[31:32], v[21:22], v[19:20]
	v_add_f64 v[23:24], v[19:20], -v[23:24]
	v_add_f64 v[21:22], v[31:32], -v[21:22]
	s_delay_alu instid0(VALU_DEP_2) | instskip(NEXT) | instid1(VALU_DEP_2)
	v_add_f64 v[17:18], v[17:18], -v[23:24]
	v_add_f64 v[19:20], v[19:20], -v[21:22]
	s_delay_alu instid0(VALU_DEP_2) | instskip(NEXT) | instid1(VALU_DEP_1)
	v_add_f64 v[15:16], v[15:16], v[17:18]
	v_add_f64 v[15:16], v[15:16], v[19:20]
	s_delay_alu instid0(VALU_DEP_1) | instskip(NEXT) | instid1(VALU_DEP_1)
	v_add_f64 v[17:18], v[31:32], v[15:16]
	v_add_f64 v[19:20], -v[17:18], s[40:41]
	v_add_f64 v[23:24], v[17:18], -v[31:32]
	s_delay_alu instid0(VALU_DEP_2) | instskip(NEXT) | instid1(VALU_DEP_2)
	v_add_f64 v[21:22], -v[19:20], s[40:41]
	v_add_f64 v[15:16], v[23:24], -v[15:16]
	s_delay_alu instid0(VALU_DEP_2) | instskip(NEXT) | instid1(VALU_DEP_1)
	v_add_f64 v[17:18], v[21:22], -v[17:18]
	v_add_f64 v[17:18], v[17:18], s[42:43]
	s_delay_alu instid0(VALU_DEP_1) | instskip(NEXT) | instid1(VALU_DEP_1)
	v_add_f64 v[15:16], v[15:16], v[17:18]
	v_add_f64 v[15:16], v[19:20], v[15:16]
	s_delay_alu instid0(VALU_DEP_1) | instskip(NEXT) | instid1(VALU_DEP_1)
	v_add_f64 v[15:16], v[15:16], v[15:16]
	v_cndmask_b32_e64 v16, 0x3ff921fb, v16, s5
	s_delay_alu instid0(VALU_DEP_2)
	v_cndmask_b32_e64 v15, 0x54442d18, v15, s5
.LBB60_16:                              ;   in Loop: Header=BB60_4 Depth=1
	s_or_b32 exec_lo, exec_lo, s49
	v_fma_f64 v[21:22], |v[11:12]|, -0.5, 0.5
	v_mul_f64 v[17:18], v[11:12], v[11:12]
	v_cmp_ge_f64_e64 s5, |v[11:12]|, 0.5
	s_delay_alu instid0(VALU_DEP_1) | instskip(NEXT) | instid1(VALU_DEP_3)
	v_cndmask_b32_e64 v18, v18, v22, s5
	v_cndmask_b32_e64 v17, v17, v21, s5
	s_delay_alu instid0(VALU_DEP_1) | instskip(NEXT) | instid1(VALU_DEP_1)
	v_fma_f64 v[19:20], v[17:18], s[16:17], s[14:15]
	v_fma_f64 v[19:20], v[17:18], v[19:20], s[18:19]
	s_delay_alu instid0(VALU_DEP_1) | instskip(NEXT) | instid1(VALU_DEP_1)
	v_fma_f64 v[19:20], v[17:18], v[19:20], s[20:21]
	v_fma_f64 v[19:20], v[17:18], v[19:20], s[22:23]
	;; [unrolled: 3-line block ×5, first 2 shown]
	s_delay_alu instid0(VALU_DEP_1) | instskip(NEXT) | instid1(VALU_DEP_1)
	v_fma_f64 v[19:20], v[17:18], v[19:20], s[38:39]
	v_mul_f64 v[19:20], v[17:18], v[19:20]
	s_delay_alu instid0(VALU_DEP_1)
	v_fma_f64 v[17:18], |v[11:12]|, v[19:20], |v[11:12]|
	s_and_saveexec_b32 s49, s5
	s_cbranch_execz .LBB60_18
; %bb.17:                               ;   in Loop: Header=BB60_4 Depth=1
	v_rsq_f64_e32 v[17:18], v[21:22]
	v_cmp_eq_f64_e64 s5, 0, v[21:22]
	s_waitcnt_depctr 0xfff
	v_mul_f64 v[23:24], v[21:22], v[17:18]
	v_mul_f64 v[17:18], v[17:18], 0.5
	s_delay_alu instid0(VALU_DEP_1) | instskip(NEXT) | instid1(VALU_DEP_1)
	v_fma_f64 v[31:32], -v[17:18], v[23:24], 0.5
	v_fma_f64 v[23:24], v[23:24], v[31:32], v[23:24]
	v_fma_f64 v[17:18], v[17:18], v[31:32], v[17:18]
	s_delay_alu instid0(VALU_DEP_2) | instskip(NEXT) | instid1(VALU_DEP_1)
	v_fma_f64 v[31:32], -v[23:24], v[23:24], v[21:22]
	v_fma_f64 v[17:18], v[31:32], v[17:18], v[23:24]
	s_delay_alu instid0(VALU_DEP_1) | instskip(NEXT) | instid1(VALU_DEP_2)
	v_cndmask_b32_e64 v18, v18, v22, s5
	v_cndmask_b32_e64 v17, v17, v21, s5
	s_delay_alu instid0(VALU_DEP_1) | instskip(SKIP_1) | instid1(VALU_DEP_2)
	v_add_f64 v[23:24], v[17:18], v[17:18]
	v_mul_f64 v[31:32], v[17:18], v[17:18]
	v_rcp_f64_e32 v[33:34], v[23:24]
	s_delay_alu instid0(VALU_DEP_1) | instskip(SKIP_1) | instid1(VALU_DEP_2)
	v_add_f64 v[35:36], v[21:22], -v[31:32]
	v_fma_f64 v[39:40], v[17:18], v[17:18], -v[31:32]
	v_add_f64 v[21:22], v[21:22], -v[35:36]
	s_waitcnt_depctr 0xfff
	v_fma_f64 v[37:38], -v[23:24], v[33:34], 1.0
	v_add_f64 v[21:22], v[21:22], -v[31:32]
	s_delay_alu instid0(VALU_DEP_2) | instskip(NEXT) | instid1(VALU_DEP_2)
	v_fma_f64 v[31:32], v[37:38], v[33:34], v[33:34]
	v_add_f64 v[21:22], v[21:22], -v[39:40]
	s_delay_alu instid0(VALU_DEP_2) | instskip(NEXT) | instid1(VALU_DEP_2)
	v_fma_f64 v[33:34], -v[23:24], v[31:32], 1.0
	v_add_f64 v[21:22], v[35:36], v[21:22]
	s_delay_alu instid0(VALU_DEP_2) | instskip(NEXT) | instid1(VALU_DEP_1)
	v_fma_f64 v[31:32], v[33:34], v[31:32], v[31:32]
	v_mul_f64 v[33:34], v[21:22], v[31:32]
	s_delay_alu instid0(VALU_DEP_1) | instskip(NEXT) | instid1(VALU_DEP_1)
	v_fma_f64 v[21:22], -v[23:24], v[33:34], v[21:22]
	v_fma_f64 v[21:22], v[21:22], v[31:32], v[33:34]
	s_delay_alu instid0(VALU_DEP_1) | instskip(NEXT) | instid1(VALU_DEP_2)
	v_cndmask_b32_e64 v22, v22, 0, s5
	v_cndmask_b32_e64 v21, v21, 0, s5
	v_cmp_neq_f64_e64 s5, |v[11:12]|, 1.0
	s_delay_alu instid0(VALU_DEP_2) | instskip(NEXT) | instid1(VALU_DEP_1)
	v_add_f64 v[23:24], v[17:18], v[21:22]
	v_add_f64 v[17:18], v[23:24], -v[17:18]
	v_mul_f64 v[31:32], v[19:20], v[23:24]
	s_delay_alu instid0(VALU_DEP_2) | instskip(NEXT) | instid1(VALU_DEP_2)
	v_add_f64 v[17:18], v[21:22], -v[17:18]
	v_fma_f64 v[21:22], v[23:24], v[19:20], -v[31:32]
	s_delay_alu instid0(VALU_DEP_1) | instskip(NEXT) | instid1(VALU_DEP_1)
	v_fma_f64 v[19:20], v[17:18], v[19:20], v[21:22]
	v_add_f64 v[21:22], v[31:32], v[19:20]
	s_delay_alu instid0(VALU_DEP_1) | instskip(SKIP_1) | instid1(VALU_DEP_2)
	v_add_f64 v[33:34], v[23:24], v[21:22]
	v_add_f64 v[31:32], v[21:22], -v[31:32]
	v_add_f64 v[23:24], v[33:34], -v[23:24]
	s_delay_alu instid0(VALU_DEP_2) | instskip(NEXT) | instid1(VALU_DEP_2)
	v_add_f64 v[19:20], v[19:20], -v[31:32]
	v_add_f64 v[21:22], v[21:22], -v[23:24]
	s_delay_alu instid0(VALU_DEP_2) | instskip(NEXT) | instid1(VALU_DEP_1)
	v_add_f64 v[17:18], v[17:18], v[19:20]
	v_add_f64 v[17:18], v[17:18], v[21:22]
	s_delay_alu instid0(VALU_DEP_1) | instskip(NEXT) | instid1(VALU_DEP_1)
	v_add_f64 v[19:20], v[33:34], v[17:18]
	v_add_f64 v[21:22], -v[19:20], s[40:41]
	v_add_f64 v[31:32], v[19:20], -v[33:34]
	s_delay_alu instid0(VALU_DEP_2) | instskip(NEXT) | instid1(VALU_DEP_2)
	v_add_f64 v[23:24], -v[21:22], s[40:41]
	v_add_f64 v[17:18], v[31:32], -v[17:18]
	s_delay_alu instid0(VALU_DEP_2) | instskip(NEXT) | instid1(VALU_DEP_1)
	v_add_f64 v[19:20], v[23:24], -v[19:20]
	v_add_f64 v[19:20], v[19:20], s[42:43]
	s_delay_alu instid0(VALU_DEP_1) | instskip(NEXT) | instid1(VALU_DEP_1)
	v_add_f64 v[17:18], v[17:18], v[19:20]
	v_add_f64 v[17:18], v[21:22], v[17:18]
	s_delay_alu instid0(VALU_DEP_1) | instskip(NEXT) | instid1(VALU_DEP_1)
	v_add_f64 v[17:18], v[17:18], v[17:18]
	v_cndmask_b32_e64 v18, 0x3ff921fb, v18, s5
	s_delay_alu instid0(VALU_DEP_2)
	v_cndmask_b32_e64 v17, 0x54442d18, v17, s5
.LBB60_18:                              ;   in Loop: Header=BB60_4 Depth=1
	s_or_b32 exec_lo, exec_lo, s49
	v_fma_f64 v[23:24], |v[7:8]|, -0.5, 0.5
	v_mul_f64 v[19:20], v[7:8], v[7:8]
	v_cmp_ge_f64_e64 s5, |v[7:8]|, 0.5
	s_delay_alu instid0(VALU_DEP_1) | instskip(NEXT) | instid1(VALU_DEP_3)
	v_cndmask_b32_e64 v20, v20, v24, s5
	v_cndmask_b32_e64 v19, v19, v23, s5
	s_delay_alu instid0(VALU_DEP_1) | instskip(NEXT) | instid1(VALU_DEP_1)
	v_fma_f64 v[21:22], v[19:20], s[16:17], s[14:15]
	v_fma_f64 v[21:22], v[19:20], v[21:22], s[18:19]
	s_delay_alu instid0(VALU_DEP_1) | instskip(NEXT) | instid1(VALU_DEP_1)
	v_fma_f64 v[21:22], v[19:20], v[21:22], s[20:21]
	v_fma_f64 v[21:22], v[19:20], v[21:22], s[22:23]
	;; [unrolled: 3-line block ×5, first 2 shown]
	s_delay_alu instid0(VALU_DEP_1) | instskip(NEXT) | instid1(VALU_DEP_1)
	v_fma_f64 v[21:22], v[19:20], v[21:22], s[38:39]
	v_mul_f64 v[21:22], v[19:20], v[21:22]
	s_delay_alu instid0(VALU_DEP_1)
	v_fma_f64 v[19:20], |v[7:8]|, v[21:22], |v[7:8]|
	s_and_saveexec_b32 s49, s5
	s_cbranch_execnz .LBB60_23
; %bb.19:                               ;   in Loop: Header=BB60_4 Depth=1
	s_or_b32 exec_lo, exec_lo, s49
	s_and_saveexec_b32 s5, vcc_lo
	s_delay_alu instid0(SALU_CYCLE_1)
	s_xor_b32 s5, exec_lo, s5
	s_cbranch_execnz .LBB60_24
.LBB60_20:                              ;   in Loop: Header=BB60_4 Depth=1
	s_or_b32 exec_lo, exec_lo, s5
	s_and_saveexec_b32 s5, s2
	s_cbranch_execnz .LBB60_25
.LBB60_21:                              ;   in Loop: Header=BB60_4 Depth=1
	s_or_b32 exec_lo, exec_lo, s5
	s_and_saveexec_b32 s2, s3
	s_cbranch_execnz .LBB60_26
.LBB60_22:                              ;   in Loop: Header=BB60_4 Depth=1
	s_or_b32 exec_lo, exec_lo, s2
	s_and_saveexec_b32 s2, s4
	s_cbranch_execz .LBB60_3
	s_branch .LBB60_27
.LBB60_23:                              ;   in Loop: Header=BB60_4 Depth=1
	v_rsq_f64_e32 v[19:20], v[23:24]
	v_cmp_eq_f64_e64 s5, 0, v[23:24]
	s_waitcnt_depctr 0xfff
	v_mul_f64 v[31:32], v[23:24], v[19:20]
	v_mul_f64 v[19:20], v[19:20], 0.5
	s_delay_alu instid0(VALU_DEP_1) | instskip(NEXT) | instid1(VALU_DEP_1)
	v_fma_f64 v[33:34], -v[19:20], v[31:32], 0.5
	v_fma_f64 v[31:32], v[31:32], v[33:34], v[31:32]
	v_fma_f64 v[19:20], v[19:20], v[33:34], v[19:20]
	s_delay_alu instid0(VALU_DEP_2) | instskip(NEXT) | instid1(VALU_DEP_1)
	v_fma_f64 v[33:34], -v[31:32], v[31:32], v[23:24]
	v_fma_f64 v[19:20], v[33:34], v[19:20], v[31:32]
	s_delay_alu instid0(VALU_DEP_1) | instskip(NEXT) | instid1(VALU_DEP_2)
	v_cndmask_b32_e64 v20, v20, v24, s5
	v_cndmask_b32_e64 v19, v19, v23, s5
	s_delay_alu instid0(VALU_DEP_1) | instskip(SKIP_1) | instid1(VALU_DEP_2)
	v_add_f64 v[31:32], v[19:20], v[19:20]
	v_mul_f64 v[33:34], v[19:20], v[19:20]
	v_rcp_f64_e32 v[35:36], v[31:32]
	s_delay_alu instid0(VALU_DEP_1) | instskip(SKIP_1) | instid1(VALU_DEP_2)
	v_add_f64 v[37:38], v[23:24], -v[33:34]
	v_fma_f64 v[41:42], v[19:20], v[19:20], -v[33:34]
	v_add_f64 v[23:24], v[23:24], -v[37:38]
	s_waitcnt_depctr 0xfff
	v_fma_f64 v[39:40], -v[31:32], v[35:36], 1.0
	v_add_f64 v[23:24], v[23:24], -v[33:34]
	s_delay_alu instid0(VALU_DEP_2) | instskip(NEXT) | instid1(VALU_DEP_2)
	v_fma_f64 v[33:34], v[39:40], v[35:36], v[35:36]
	v_add_f64 v[23:24], v[23:24], -v[41:42]
	s_delay_alu instid0(VALU_DEP_2) | instskip(NEXT) | instid1(VALU_DEP_2)
	v_fma_f64 v[35:36], -v[31:32], v[33:34], 1.0
	v_add_f64 v[23:24], v[37:38], v[23:24]
	s_delay_alu instid0(VALU_DEP_2) | instskip(NEXT) | instid1(VALU_DEP_1)
	v_fma_f64 v[33:34], v[35:36], v[33:34], v[33:34]
	v_mul_f64 v[35:36], v[23:24], v[33:34]
	s_delay_alu instid0(VALU_DEP_1) | instskip(NEXT) | instid1(VALU_DEP_1)
	v_fma_f64 v[23:24], -v[31:32], v[35:36], v[23:24]
	v_fma_f64 v[23:24], v[23:24], v[33:34], v[35:36]
	s_delay_alu instid0(VALU_DEP_1) | instskip(NEXT) | instid1(VALU_DEP_2)
	v_cndmask_b32_e64 v24, v24, 0, s5
	v_cndmask_b32_e64 v23, v23, 0, s5
	v_cmp_neq_f64_e64 s5, |v[7:8]|, 1.0
	s_delay_alu instid0(VALU_DEP_2) | instskip(NEXT) | instid1(VALU_DEP_1)
	v_add_f64 v[31:32], v[19:20], v[23:24]
	v_add_f64 v[19:20], v[31:32], -v[19:20]
	v_mul_f64 v[33:34], v[21:22], v[31:32]
	s_delay_alu instid0(VALU_DEP_2) | instskip(NEXT) | instid1(VALU_DEP_2)
	v_add_f64 v[19:20], v[23:24], -v[19:20]
	v_fma_f64 v[23:24], v[31:32], v[21:22], -v[33:34]
	s_delay_alu instid0(VALU_DEP_1) | instskip(NEXT) | instid1(VALU_DEP_1)
	v_fma_f64 v[21:22], v[19:20], v[21:22], v[23:24]
	v_add_f64 v[23:24], v[33:34], v[21:22]
	s_delay_alu instid0(VALU_DEP_1) | instskip(SKIP_1) | instid1(VALU_DEP_2)
	v_add_f64 v[35:36], v[31:32], v[23:24]
	v_add_f64 v[33:34], v[23:24], -v[33:34]
	v_add_f64 v[31:32], v[35:36], -v[31:32]
	s_delay_alu instid0(VALU_DEP_2) | instskip(NEXT) | instid1(VALU_DEP_2)
	v_add_f64 v[21:22], v[21:22], -v[33:34]
	v_add_f64 v[23:24], v[23:24], -v[31:32]
	s_delay_alu instid0(VALU_DEP_2) | instskip(NEXT) | instid1(VALU_DEP_1)
	v_add_f64 v[19:20], v[19:20], v[21:22]
	v_add_f64 v[19:20], v[19:20], v[23:24]
	s_delay_alu instid0(VALU_DEP_1) | instskip(NEXT) | instid1(VALU_DEP_1)
	v_add_f64 v[21:22], v[35:36], v[19:20]
	v_add_f64 v[23:24], -v[21:22], s[40:41]
	v_add_f64 v[33:34], v[21:22], -v[35:36]
	s_delay_alu instid0(VALU_DEP_2) | instskip(NEXT) | instid1(VALU_DEP_2)
	v_add_f64 v[31:32], -v[23:24], s[40:41]
	v_add_f64 v[19:20], v[33:34], -v[19:20]
	s_delay_alu instid0(VALU_DEP_2) | instskip(NEXT) | instid1(VALU_DEP_1)
	v_add_f64 v[21:22], v[31:32], -v[21:22]
	v_add_f64 v[21:22], v[21:22], s[42:43]
	s_delay_alu instid0(VALU_DEP_1) | instskip(NEXT) | instid1(VALU_DEP_1)
	v_add_f64 v[19:20], v[19:20], v[21:22]
	v_add_f64 v[19:20], v[23:24], v[19:20]
	s_delay_alu instid0(VALU_DEP_1) | instskip(NEXT) | instid1(VALU_DEP_1)
	v_add_f64 v[19:20], v[19:20], v[19:20]
	v_cndmask_b32_e64 v20, 0x3ff921fb, v20, s5
	s_delay_alu instid0(VALU_DEP_2) | instskip(SKIP_2) | instid1(SALU_CYCLE_1)
	v_cndmask_b32_e64 v19, 0x54442d18, v19, s5
	s_or_b32 exec_lo, exec_lo, s49
	s_and_saveexec_b32 s5, vcc_lo
	s_xor_b32 s5, exec_lo, s5
	s_cbranch_execz .LBB60_20
.LBB60_24:                              ;   in Loop: Header=BB60_4 Depth=1
	v_bfi_b32 v14, 0x7fffffff, v14, v10
	global_store_b64 v[1:2], v[13:14], off
	s_or_b32 exec_lo, exec_lo, s5
	s_and_saveexec_b32 s5, s2
	s_cbranch_execz .LBB60_21
.LBB60_25:                              ;   in Loop: Header=BB60_4 Depth=1
	v_bfi_b32 v16, 0x7fffffff, v16, v6
	global_store_b64 v[3:4], v[15:16], off
	s_or_b32 exec_lo, exec_lo, s5
	s_and_saveexec_b32 s2, s3
	s_cbranch_execz .LBB60_22
.LBB60_26:                              ;   in Loop: Header=BB60_4 Depth=1
	v_add_co_u32 v5, vcc_lo, v1, s48
	v_bfi_b32 v18, 0x7fffffff, v18, v12
	v_add_co_ci_u32_e32 v6, vcc_lo, 0, v2, vcc_lo
	global_store_b64 v[5:6], v[17:18], off
	s_or_b32 exec_lo, exec_lo, s2
	s_and_saveexec_b32 s2, s4
	s_cbranch_execz .LBB60_3
.LBB60_27:                              ;   in Loop: Header=BB60_4 Depth=1
	v_add_co_u32 v5, vcc_lo, v1, s47
	s_delay_alu instid0(VALU_DEP_2)
	v_bfi_b32 v20, 0x7fffffff, v20, v8
	v_add_co_ci_u32_e32 v6, vcc_lo, 0, v2, vcc_lo
	global_store_b64 v[5:6], v[19:20], off
	s_branch .LBB60_3
.LBB60_28:
	s_cbranch_execz .LBB60_30
	s_branch .LBB60_41
.LBB60_29:
.LBB60_30:
	v_dual_mov_b32 v17, 0 :: v_dual_lshlrev_b32 v16, 2, v0
	s_mov_b32 s33, 0
	s_mov_b32 s2, exec_lo
	s_delay_alu instid0(VALU_DEP_1)
	v_cmpx_gt_i64_e64 s[6:7], v[16:17]
	s_cbranch_execz .LBB60_41
; %bb.31:
	s_load_b32 s0, s[0:1], 0xd3c
	v_lshlrev_b32_e32 v1, 5, v0
	s_mov_b32 s2, 0x78a05eaf
	s_mov_b32 s4, 0x9fea6a70
	;; [unrolled: 1-line block ×18, first 2 shown]
	s_waitcnt lgkmcnt(0)
	s_and_b32 s0, s0, 0xffff
	s_mov_b32 s21, 0x3f91c6c1
	s_lshl_b32 s1, s0, 2
	s_add_u32 s8, s8, s10
	v_add_lshl_u32 v16, v0, s0, 2
	s_addc_u32 s9, s9, s11
	v_add_co_u32 v0, s8, s8, v1
	s_delay_alu instid0(VALU_DEP_1) | instskip(SKIP_1) | instid1(VALU_DEP_2)
	v_add_co_ci_u32_e64 v1, null, s9, 0, s8
	s_mov_b32 s8, 0xc668963f
	v_add_co_u32 v18, vcc_lo, v0, 16
	s_delay_alu instid0(VALU_DEP_2)
	v_add_co_ci_u32_e32 v19, vcc_lo, 0, v1, vcc_lo
	s_mov_b32 s10, 0xb41ce4bd
	s_mov_b32 s23, 0x3f96e89f
	;; [unrolled: 1-line block ×8, first 2 shown]
	s_lshl_b32 s34, s0, 5
	s_branch .LBB60_33
.LBB60_32:                              ;   in Loop: Header=BB60_33 Depth=1
	s_or_b32 exec_lo, exec_lo, s0
	v_cmp_le_i64_e32 vcc_lo, s[6:7], v[16:17]
	v_cmp_lt_u64_e64 s0, 0xffff, v[16:17]
	v_bfi_b32 v11, 0x7fffffff, v11, v3
	v_bfi_b32 v9, 0x7fffffff, v9, v1
	;; [unrolled: 1-line block ×4, first 2 shown]
	s_clause 0x1
	global_store_b128 v[18:19], v[8:11], off offset:-16
	global_store_b128 v[18:19], v[12:15], off
	s_or_b32 s0, vcc_lo, s0
	v_add_co_u32 v16, vcc_lo, v16, s1
	v_add_co_ci_u32_e32 v17, vcc_lo, 0, v17, vcc_lo
	v_add_co_u32 v18, vcc_lo, v18, s34
	v_add_co_ci_u32_e32 v19, vcc_lo, 0, v19, vcc_lo
	s_and_b32 s0, exec_lo, s0
	s_delay_alu instid0(SALU_CYCLE_1) | instskip(NEXT) | instid1(SALU_CYCLE_1)
	s_or_b32 s33, s0, s33
	s_and_not1_b32 exec_lo, exec_lo, s33
	s_cbranch_execz .LBB60_41
.LBB60_33:                              ; =>This Inner Loop Header: Depth=1
	global_load_b128 v[0:3], v[18:19], off offset:-16
	s_waitcnt vmcnt(0)
	v_fma_f64 v[12:13], |v[0:1]|, -0.5, 0.5
	v_mul_f64 v[4:5], v[0:1], v[0:1]
	v_cmp_ge_f64_e64 vcc_lo, |v[0:1]|, 0.5
	s_delay_alu instid0(VALU_DEP_2) | instskip(NEXT) | instid1(VALU_DEP_1)
	v_dual_cndmask_b32 v9, v5, v13 :: v_dual_cndmask_b32 v8, v4, v12
	v_fma_f64 v[4:5], v[8:9], s[4:5], s[2:3]
	s_delay_alu instid0(VALU_DEP_1) | instskip(NEXT) | instid1(VALU_DEP_1)
	v_fma_f64 v[4:5], v[8:9], v[4:5], s[12:13]
	v_fma_f64 v[4:5], v[8:9], v[4:5], s[14:15]
	s_delay_alu instid0(VALU_DEP_1) | instskip(NEXT) | instid1(VALU_DEP_1)
	v_fma_f64 v[4:5], v[8:9], v[4:5], s[16:17]
	v_fma_f64 v[10:11], v[8:9], v[4:5], s[18:19]
	global_load_b128 v[4:7], v[18:19], off
	v_fma_f64 v[10:11], v[8:9], v[10:11], s[20:21]
	s_delay_alu instid0(VALU_DEP_1) | instskip(NEXT) | instid1(VALU_DEP_1)
	v_fma_f64 v[10:11], v[8:9], v[10:11], s[22:23]
	v_fma_f64 v[10:11], v[8:9], v[10:11], s[8:9]
	s_delay_alu instid0(VALU_DEP_1) | instskip(NEXT) | instid1(VALU_DEP_1)
	v_fma_f64 v[10:11], v[8:9], v[10:11], s[10:11]
	;; [unrolled: 3-line block ×3, first 2 shown]
	v_mul_f64 v[10:11], v[8:9], v[10:11]
	s_delay_alu instid0(VALU_DEP_1)
	v_fma_f64 v[8:9], |v[0:1]|, v[10:11], |v[0:1]|
	s_and_saveexec_b32 s0, vcc_lo
	s_cbranch_execz .LBB60_35
; %bb.34:                               ;   in Loop: Header=BB60_33 Depth=1
	v_rsq_f64_e32 v[8:9], v[12:13]
	v_cmp_eq_f64_e32 vcc_lo, 0, v[12:13]
	s_waitcnt_depctr 0xfff
	v_mul_f64 v[14:15], v[12:13], v[8:9]
	v_mul_f64 v[8:9], v[8:9], 0.5
	s_delay_alu instid0(VALU_DEP_1) | instskip(NEXT) | instid1(VALU_DEP_1)
	v_fma_f64 v[20:21], -v[8:9], v[14:15], 0.5
	v_fma_f64 v[14:15], v[14:15], v[20:21], v[14:15]
	v_fma_f64 v[8:9], v[8:9], v[20:21], v[8:9]
	s_delay_alu instid0(VALU_DEP_2) | instskip(NEXT) | instid1(VALU_DEP_1)
	v_fma_f64 v[20:21], -v[14:15], v[14:15], v[12:13]
	v_fma_f64 v[8:9], v[20:21], v[8:9], v[14:15]
	s_delay_alu instid0(VALU_DEP_1) | instskip(NEXT) | instid1(VALU_DEP_1)
	v_dual_cndmask_b32 v9, v9, v13 :: v_dual_cndmask_b32 v8, v8, v12
	v_add_f64 v[14:15], v[8:9], v[8:9]
	v_mul_f64 v[20:21], v[8:9], v[8:9]
	s_delay_alu instid0(VALU_DEP_2) | instskip(NEXT) | instid1(VALU_DEP_1)
	v_rcp_f64_e32 v[22:23], v[14:15]
	v_add_f64 v[24:25], v[12:13], -v[20:21]
	v_fma_f64 v[28:29], v[8:9], v[8:9], -v[20:21]
	s_delay_alu instid0(VALU_DEP_2) | instskip(SKIP_3) | instid1(VALU_DEP_2)
	v_add_f64 v[12:13], v[12:13], -v[24:25]
	s_waitcnt_depctr 0xfff
	v_fma_f64 v[26:27], -v[14:15], v[22:23], 1.0
	v_add_f64 v[12:13], v[12:13], -v[20:21]
	v_fma_f64 v[20:21], v[26:27], v[22:23], v[22:23]
	s_delay_alu instid0(VALU_DEP_2) | instskip(NEXT) | instid1(VALU_DEP_2)
	v_add_f64 v[12:13], v[12:13], -v[28:29]
	v_fma_f64 v[22:23], -v[14:15], v[20:21], 1.0
	s_delay_alu instid0(VALU_DEP_2) | instskip(NEXT) | instid1(VALU_DEP_2)
	v_add_f64 v[12:13], v[24:25], v[12:13]
	v_fma_f64 v[20:21], v[22:23], v[20:21], v[20:21]
	s_delay_alu instid0(VALU_DEP_1) | instskip(NEXT) | instid1(VALU_DEP_1)
	v_mul_f64 v[22:23], v[12:13], v[20:21]
	v_fma_f64 v[12:13], -v[14:15], v[22:23], v[12:13]
	s_delay_alu instid0(VALU_DEP_1) | instskip(NEXT) | instid1(VALU_DEP_1)
	v_fma_f64 v[12:13], v[12:13], v[20:21], v[22:23]
	v_cndmask_b32_e64 v13, v13, 0, vcc_lo
	s_delay_alu instid0(VALU_DEP_2) | instskip(SKIP_1) | instid1(VALU_DEP_2)
	v_cndmask_b32_e64 v12, v12, 0, vcc_lo
	v_cmp_neq_f64_e64 vcc_lo, |v[0:1]|, 1.0
	v_add_f64 v[14:15], v[8:9], v[12:13]
	s_delay_alu instid0(VALU_DEP_1) | instskip(SKIP_1) | instid1(VALU_DEP_2)
	v_add_f64 v[8:9], v[14:15], -v[8:9]
	v_mul_f64 v[20:21], v[10:11], v[14:15]
	v_add_f64 v[8:9], v[12:13], -v[8:9]
	s_delay_alu instid0(VALU_DEP_2) | instskip(NEXT) | instid1(VALU_DEP_1)
	v_fma_f64 v[12:13], v[14:15], v[10:11], -v[20:21]
	v_fma_f64 v[10:11], v[8:9], v[10:11], v[12:13]
	s_delay_alu instid0(VALU_DEP_1) | instskip(NEXT) | instid1(VALU_DEP_1)
	v_add_f64 v[12:13], v[20:21], v[10:11]
	v_add_f64 v[22:23], v[14:15], v[12:13]
	v_add_f64 v[20:21], v[12:13], -v[20:21]
	s_delay_alu instid0(VALU_DEP_2) | instskip(NEXT) | instid1(VALU_DEP_2)
	v_add_f64 v[14:15], v[22:23], -v[14:15]
	v_add_f64 v[10:11], v[10:11], -v[20:21]
	s_delay_alu instid0(VALU_DEP_2) | instskip(NEXT) | instid1(VALU_DEP_2)
	v_add_f64 v[12:13], v[12:13], -v[14:15]
	v_add_f64 v[8:9], v[8:9], v[10:11]
	s_delay_alu instid0(VALU_DEP_1) | instskip(NEXT) | instid1(VALU_DEP_1)
	v_add_f64 v[8:9], v[8:9], v[12:13]
	v_add_f64 v[10:11], v[22:23], v[8:9]
	s_delay_alu instid0(VALU_DEP_1) | instskip(SKIP_1) | instid1(VALU_DEP_2)
	v_add_f64 v[12:13], -v[10:11], s[28:29]
	v_add_f64 v[20:21], v[10:11], -v[22:23]
	v_add_f64 v[14:15], -v[12:13], s[28:29]
	s_delay_alu instid0(VALU_DEP_2) | instskip(NEXT) | instid1(VALU_DEP_2)
	v_add_f64 v[8:9], v[20:21], -v[8:9]
	v_add_f64 v[10:11], v[14:15], -v[10:11]
	s_delay_alu instid0(VALU_DEP_1) | instskip(NEXT) | instid1(VALU_DEP_1)
	v_add_f64 v[10:11], v[10:11], s[30:31]
	v_add_f64 v[8:9], v[8:9], v[10:11]
	s_delay_alu instid0(VALU_DEP_1) | instskip(NEXT) | instid1(VALU_DEP_1)
	v_add_f64 v[8:9], v[12:13], v[8:9]
	v_add_f64 v[8:9], v[8:9], v[8:9]
	s_delay_alu instid0(VALU_DEP_1) | instskip(NEXT) | instid1(VALU_DEP_2)
	v_cndmask_b32_e32 v9, 0x3ff921fb, v9, vcc_lo
	v_cndmask_b32_e32 v8, 0x54442d18, v8, vcc_lo
.LBB60_35:                              ;   in Loop: Header=BB60_33 Depth=1
	s_or_b32 exec_lo, exec_lo, s0
	v_fma_f64 v[14:15], |v[2:3]|, -0.5, 0.5
	v_mul_f64 v[10:11], v[2:3], v[2:3]
	v_cmp_ge_f64_e64 vcc_lo, |v[2:3]|, 0.5
	s_delay_alu instid0(VALU_DEP_2) | instskip(NEXT) | instid1(VALU_DEP_1)
	v_dual_cndmask_b32 v11, v11, v15 :: v_dual_cndmask_b32 v10, v10, v14
	v_fma_f64 v[12:13], v[10:11], s[4:5], s[2:3]
	s_delay_alu instid0(VALU_DEP_1) | instskip(NEXT) | instid1(VALU_DEP_1)
	v_fma_f64 v[12:13], v[10:11], v[12:13], s[12:13]
	v_fma_f64 v[12:13], v[10:11], v[12:13], s[14:15]
	s_delay_alu instid0(VALU_DEP_1) | instskip(NEXT) | instid1(VALU_DEP_1)
	v_fma_f64 v[12:13], v[10:11], v[12:13], s[16:17]
	;; [unrolled: 3-line block ×5, first 2 shown]
	v_fma_f64 v[12:13], v[10:11], v[12:13], s[26:27]
	s_delay_alu instid0(VALU_DEP_1) | instskip(NEXT) | instid1(VALU_DEP_1)
	v_mul_f64 v[12:13], v[10:11], v[12:13]
	v_fma_f64 v[10:11], |v[2:3]|, v[12:13], |v[2:3]|
	s_and_saveexec_b32 s0, vcc_lo
	s_cbranch_execz .LBB60_37
; %bb.36:                               ;   in Loop: Header=BB60_33 Depth=1
	v_rsq_f64_e32 v[10:11], v[14:15]
	v_cmp_eq_f64_e32 vcc_lo, 0, v[14:15]
	s_waitcnt_depctr 0xfff
	v_mul_f64 v[20:21], v[14:15], v[10:11]
	v_mul_f64 v[10:11], v[10:11], 0.5
	s_delay_alu instid0(VALU_DEP_1) | instskip(NEXT) | instid1(VALU_DEP_1)
	v_fma_f64 v[22:23], -v[10:11], v[20:21], 0.5
	v_fma_f64 v[20:21], v[20:21], v[22:23], v[20:21]
	v_fma_f64 v[10:11], v[10:11], v[22:23], v[10:11]
	s_delay_alu instid0(VALU_DEP_2) | instskip(NEXT) | instid1(VALU_DEP_1)
	v_fma_f64 v[22:23], -v[20:21], v[20:21], v[14:15]
	v_fma_f64 v[10:11], v[22:23], v[10:11], v[20:21]
	s_delay_alu instid0(VALU_DEP_1) | instskip(NEXT) | instid1(VALU_DEP_1)
	v_dual_cndmask_b32 v11, v11, v15 :: v_dual_cndmask_b32 v10, v10, v14
	v_add_f64 v[20:21], v[10:11], v[10:11]
	v_mul_f64 v[22:23], v[10:11], v[10:11]
	s_delay_alu instid0(VALU_DEP_2) | instskip(NEXT) | instid1(VALU_DEP_1)
	v_rcp_f64_e32 v[24:25], v[20:21]
	v_add_f64 v[26:27], v[14:15], -v[22:23]
	v_fma_f64 v[30:31], v[10:11], v[10:11], -v[22:23]
	s_delay_alu instid0(VALU_DEP_2) | instskip(SKIP_3) | instid1(VALU_DEP_2)
	v_add_f64 v[14:15], v[14:15], -v[26:27]
	s_waitcnt_depctr 0xfff
	v_fma_f64 v[28:29], -v[20:21], v[24:25], 1.0
	v_add_f64 v[14:15], v[14:15], -v[22:23]
	v_fma_f64 v[22:23], v[28:29], v[24:25], v[24:25]
	s_delay_alu instid0(VALU_DEP_2) | instskip(NEXT) | instid1(VALU_DEP_2)
	v_add_f64 v[14:15], v[14:15], -v[30:31]
	v_fma_f64 v[24:25], -v[20:21], v[22:23], 1.0
	s_delay_alu instid0(VALU_DEP_2) | instskip(NEXT) | instid1(VALU_DEP_2)
	v_add_f64 v[14:15], v[26:27], v[14:15]
	v_fma_f64 v[22:23], v[24:25], v[22:23], v[22:23]
	s_delay_alu instid0(VALU_DEP_1) | instskip(NEXT) | instid1(VALU_DEP_1)
	v_mul_f64 v[24:25], v[14:15], v[22:23]
	v_fma_f64 v[14:15], -v[20:21], v[24:25], v[14:15]
	s_delay_alu instid0(VALU_DEP_1) | instskip(NEXT) | instid1(VALU_DEP_1)
	v_fma_f64 v[14:15], v[14:15], v[22:23], v[24:25]
	v_cndmask_b32_e64 v15, v15, 0, vcc_lo
	s_delay_alu instid0(VALU_DEP_2) | instskip(SKIP_1) | instid1(VALU_DEP_2)
	v_cndmask_b32_e64 v14, v14, 0, vcc_lo
	v_cmp_neq_f64_e64 vcc_lo, |v[2:3]|, 1.0
	v_add_f64 v[20:21], v[10:11], v[14:15]
	s_delay_alu instid0(VALU_DEP_1) | instskip(SKIP_1) | instid1(VALU_DEP_2)
	v_add_f64 v[10:11], v[20:21], -v[10:11]
	v_mul_f64 v[22:23], v[12:13], v[20:21]
	v_add_f64 v[10:11], v[14:15], -v[10:11]
	s_delay_alu instid0(VALU_DEP_2) | instskip(NEXT) | instid1(VALU_DEP_1)
	v_fma_f64 v[14:15], v[20:21], v[12:13], -v[22:23]
	v_fma_f64 v[12:13], v[10:11], v[12:13], v[14:15]
	s_delay_alu instid0(VALU_DEP_1) | instskip(NEXT) | instid1(VALU_DEP_1)
	v_add_f64 v[14:15], v[22:23], v[12:13]
	v_add_f64 v[24:25], v[20:21], v[14:15]
	v_add_f64 v[22:23], v[14:15], -v[22:23]
	s_delay_alu instid0(VALU_DEP_2) | instskip(NEXT) | instid1(VALU_DEP_2)
	v_add_f64 v[20:21], v[24:25], -v[20:21]
	v_add_f64 v[12:13], v[12:13], -v[22:23]
	s_delay_alu instid0(VALU_DEP_2) | instskip(NEXT) | instid1(VALU_DEP_2)
	v_add_f64 v[14:15], v[14:15], -v[20:21]
	v_add_f64 v[10:11], v[10:11], v[12:13]
	s_delay_alu instid0(VALU_DEP_1) | instskip(NEXT) | instid1(VALU_DEP_1)
	v_add_f64 v[10:11], v[10:11], v[14:15]
	v_add_f64 v[12:13], v[24:25], v[10:11]
	s_delay_alu instid0(VALU_DEP_1) | instskip(SKIP_1) | instid1(VALU_DEP_2)
	v_add_f64 v[14:15], -v[12:13], s[28:29]
	v_add_f64 v[22:23], v[12:13], -v[24:25]
	v_add_f64 v[20:21], -v[14:15], s[28:29]
	s_delay_alu instid0(VALU_DEP_2) | instskip(NEXT) | instid1(VALU_DEP_2)
	v_add_f64 v[10:11], v[22:23], -v[10:11]
	v_add_f64 v[12:13], v[20:21], -v[12:13]
	s_delay_alu instid0(VALU_DEP_1) | instskip(NEXT) | instid1(VALU_DEP_1)
	v_add_f64 v[12:13], v[12:13], s[30:31]
	v_add_f64 v[10:11], v[10:11], v[12:13]
	s_delay_alu instid0(VALU_DEP_1) | instskip(NEXT) | instid1(VALU_DEP_1)
	v_add_f64 v[10:11], v[14:15], v[10:11]
	v_add_f64 v[10:11], v[10:11], v[10:11]
	s_delay_alu instid0(VALU_DEP_1) | instskip(NEXT) | instid1(VALU_DEP_2)
	v_cndmask_b32_e32 v11, 0x3ff921fb, v11, vcc_lo
	v_cndmask_b32_e32 v10, 0x54442d18, v10, vcc_lo
.LBB60_37:                              ;   in Loop: Header=BB60_33 Depth=1
	s_or_b32 exec_lo, exec_lo, s0
	s_waitcnt vmcnt(0)
	v_fma_f64 v[20:21], |v[4:5]|, -0.5, 0.5
	v_mul_f64 v[12:13], v[4:5], v[4:5]
	v_cmp_ge_f64_e64 vcc_lo, |v[4:5]|, 0.5
	s_delay_alu instid0(VALU_DEP_2) | instskip(NEXT) | instid1(VALU_DEP_1)
	v_dual_cndmask_b32 v13, v13, v21 :: v_dual_cndmask_b32 v12, v12, v20
	v_fma_f64 v[14:15], v[12:13], s[4:5], s[2:3]
	s_delay_alu instid0(VALU_DEP_1) | instskip(NEXT) | instid1(VALU_DEP_1)
	v_fma_f64 v[14:15], v[12:13], v[14:15], s[12:13]
	v_fma_f64 v[14:15], v[12:13], v[14:15], s[14:15]
	s_delay_alu instid0(VALU_DEP_1) | instskip(NEXT) | instid1(VALU_DEP_1)
	v_fma_f64 v[14:15], v[12:13], v[14:15], s[16:17]
	;; [unrolled: 3-line block ×5, first 2 shown]
	v_fma_f64 v[14:15], v[12:13], v[14:15], s[26:27]
	s_delay_alu instid0(VALU_DEP_1) | instskip(NEXT) | instid1(VALU_DEP_1)
	v_mul_f64 v[14:15], v[12:13], v[14:15]
	v_fma_f64 v[12:13], |v[4:5]|, v[14:15], |v[4:5]|
	s_and_saveexec_b32 s0, vcc_lo
	s_cbranch_execz .LBB60_39
; %bb.38:                               ;   in Loop: Header=BB60_33 Depth=1
	v_rsq_f64_e32 v[12:13], v[20:21]
	v_cmp_eq_f64_e32 vcc_lo, 0, v[20:21]
	s_waitcnt_depctr 0xfff
	v_mul_f64 v[22:23], v[20:21], v[12:13]
	v_mul_f64 v[12:13], v[12:13], 0.5
	s_delay_alu instid0(VALU_DEP_1) | instskip(NEXT) | instid1(VALU_DEP_1)
	v_fma_f64 v[24:25], -v[12:13], v[22:23], 0.5
	v_fma_f64 v[22:23], v[22:23], v[24:25], v[22:23]
	v_fma_f64 v[12:13], v[12:13], v[24:25], v[12:13]
	s_delay_alu instid0(VALU_DEP_2) | instskip(NEXT) | instid1(VALU_DEP_1)
	v_fma_f64 v[24:25], -v[22:23], v[22:23], v[20:21]
	v_fma_f64 v[12:13], v[24:25], v[12:13], v[22:23]
	s_delay_alu instid0(VALU_DEP_1) | instskip(NEXT) | instid1(VALU_DEP_1)
	v_dual_cndmask_b32 v13, v13, v21 :: v_dual_cndmask_b32 v12, v12, v20
	v_add_f64 v[22:23], v[12:13], v[12:13]
	v_mul_f64 v[24:25], v[12:13], v[12:13]
	s_delay_alu instid0(VALU_DEP_2) | instskip(NEXT) | instid1(VALU_DEP_1)
	v_rcp_f64_e32 v[26:27], v[22:23]
	v_add_f64 v[28:29], v[20:21], -v[24:25]
	v_fma_f64 v[32:33], v[12:13], v[12:13], -v[24:25]
	s_delay_alu instid0(VALU_DEP_2) | instskip(SKIP_3) | instid1(VALU_DEP_2)
	v_add_f64 v[20:21], v[20:21], -v[28:29]
	s_waitcnt_depctr 0xfff
	v_fma_f64 v[30:31], -v[22:23], v[26:27], 1.0
	v_add_f64 v[20:21], v[20:21], -v[24:25]
	v_fma_f64 v[24:25], v[30:31], v[26:27], v[26:27]
	s_delay_alu instid0(VALU_DEP_2) | instskip(NEXT) | instid1(VALU_DEP_2)
	v_add_f64 v[20:21], v[20:21], -v[32:33]
	v_fma_f64 v[26:27], -v[22:23], v[24:25], 1.0
	s_delay_alu instid0(VALU_DEP_2) | instskip(NEXT) | instid1(VALU_DEP_2)
	v_add_f64 v[20:21], v[28:29], v[20:21]
	v_fma_f64 v[24:25], v[26:27], v[24:25], v[24:25]
	s_delay_alu instid0(VALU_DEP_1) | instskip(NEXT) | instid1(VALU_DEP_1)
	v_mul_f64 v[26:27], v[20:21], v[24:25]
	v_fma_f64 v[20:21], -v[22:23], v[26:27], v[20:21]
	s_delay_alu instid0(VALU_DEP_1) | instskip(NEXT) | instid1(VALU_DEP_1)
	v_fma_f64 v[20:21], v[20:21], v[24:25], v[26:27]
	v_cndmask_b32_e64 v21, v21, 0, vcc_lo
	s_delay_alu instid0(VALU_DEP_2) | instskip(SKIP_1) | instid1(VALU_DEP_2)
	v_cndmask_b32_e64 v20, v20, 0, vcc_lo
	v_cmp_neq_f64_e64 vcc_lo, |v[4:5]|, 1.0
	v_add_f64 v[22:23], v[12:13], v[20:21]
	s_delay_alu instid0(VALU_DEP_1) | instskip(SKIP_1) | instid1(VALU_DEP_2)
	v_add_f64 v[12:13], v[22:23], -v[12:13]
	v_mul_f64 v[24:25], v[14:15], v[22:23]
	v_add_f64 v[12:13], v[20:21], -v[12:13]
	s_delay_alu instid0(VALU_DEP_2) | instskip(NEXT) | instid1(VALU_DEP_1)
	v_fma_f64 v[20:21], v[22:23], v[14:15], -v[24:25]
	v_fma_f64 v[14:15], v[12:13], v[14:15], v[20:21]
	s_delay_alu instid0(VALU_DEP_1) | instskip(NEXT) | instid1(VALU_DEP_1)
	v_add_f64 v[20:21], v[24:25], v[14:15]
	v_add_f64 v[26:27], v[22:23], v[20:21]
	v_add_f64 v[24:25], v[20:21], -v[24:25]
	s_delay_alu instid0(VALU_DEP_2) | instskip(NEXT) | instid1(VALU_DEP_2)
	v_add_f64 v[22:23], v[26:27], -v[22:23]
	v_add_f64 v[14:15], v[14:15], -v[24:25]
	s_delay_alu instid0(VALU_DEP_2) | instskip(NEXT) | instid1(VALU_DEP_2)
	v_add_f64 v[20:21], v[20:21], -v[22:23]
	v_add_f64 v[12:13], v[12:13], v[14:15]
	s_delay_alu instid0(VALU_DEP_1) | instskip(NEXT) | instid1(VALU_DEP_1)
	v_add_f64 v[12:13], v[12:13], v[20:21]
	v_add_f64 v[14:15], v[26:27], v[12:13]
	s_delay_alu instid0(VALU_DEP_1) | instskip(SKIP_1) | instid1(VALU_DEP_2)
	v_add_f64 v[20:21], -v[14:15], s[28:29]
	v_add_f64 v[24:25], v[14:15], -v[26:27]
	v_add_f64 v[22:23], -v[20:21], s[28:29]
	s_delay_alu instid0(VALU_DEP_2) | instskip(NEXT) | instid1(VALU_DEP_2)
	v_add_f64 v[12:13], v[24:25], -v[12:13]
	v_add_f64 v[14:15], v[22:23], -v[14:15]
	s_delay_alu instid0(VALU_DEP_1) | instskip(NEXT) | instid1(VALU_DEP_1)
	v_add_f64 v[14:15], v[14:15], s[30:31]
	v_add_f64 v[12:13], v[12:13], v[14:15]
	s_delay_alu instid0(VALU_DEP_1) | instskip(NEXT) | instid1(VALU_DEP_1)
	v_add_f64 v[12:13], v[20:21], v[12:13]
	v_add_f64 v[12:13], v[12:13], v[12:13]
	s_delay_alu instid0(VALU_DEP_1) | instskip(NEXT) | instid1(VALU_DEP_2)
	v_cndmask_b32_e32 v13, 0x3ff921fb, v13, vcc_lo
	v_cndmask_b32_e32 v12, 0x54442d18, v12, vcc_lo
.LBB60_39:                              ;   in Loop: Header=BB60_33 Depth=1
	s_or_b32 exec_lo, exec_lo, s0
	v_fma_f64 v[22:23], |v[6:7]|, -0.5, 0.5
	v_mul_f64 v[14:15], v[6:7], v[6:7]
	v_cmp_ge_f64_e64 vcc_lo, |v[6:7]|, 0.5
	s_delay_alu instid0(VALU_DEP_2) | instskip(NEXT) | instid1(VALU_DEP_1)
	v_dual_cndmask_b32 v15, v15, v23 :: v_dual_cndmask_b32 v14, v14, v22
	v_fma_f64 v[20:21], v[14:15], s[4:5], s[2:3]
	s_delay_alu instid0(VALU_DEP_1) | instskip(NEXT) | instid1(VALU_DEP_1)
	v_fma_f64 v[20:21], v[14:15], v[20:21], s[12:13]
	v_fma_f64 v[20:21], v[14:15], v[20:21], s[14:15]
	s_delay_alu instid0(VALU_DEP_1) | instskip(NEXT) | instid1(VALU_DEP_1)
	v_fma_f64 v[20:21], v[14:15], v[20:21], s[16:17]
	;; [unrolled: 3-line block ×5, first 2 shown]
	v_fma_f64 v[20:21], v[14:15], v[20:21], s[26:27]
	s_delay_alu instid0(VALU_DEP_1) | instskip(NEXT) | instid1(VALU_DEP_1)
	v_mul_f64 v[20:21], v[14:15], v[20:21]
	v_fma_f64 v[14:15], |v[6:7]|, v[20:21], |v[6:7]|
	s_and_saveexec_b32 s0, vcc_lo
	s_cbranch_execz .LBB60_32
; %bb.40:                               ;   in Loop: Header=BB60_33 Depth=1
	v_rsq_f64_e32 v[14:15], v[22:23]
	v_cmp_eq_f64_e32 vcc_lo, 0, v[22:23]
	s_waitcnt_depctr 0xfff
	v_mul_f64 v[24:25], v[22:23], v[14:15]
	v_mul_f64 v[14:15], v[14:15], 0.5
	s_delay_alu instid0(VALU_DEP_1) | instskip(NEXT) | instid1(VALU_DEP_1)
	v_fma_f64 v[26:27], -v[14:15], v[24:25], 0.5
	v_fma_f64 v[24:25], v[24:25], v[26:27], v[24:25]
	v_fma_f64 v[14:15], v[14:15], v[26:27], v[14:15]
	s_delay_alu instid0(VALU_DEP_2) | instskip(NEXT) | instid1(VALU_DEP_1)
	v_fma_f64 v[26:27], -v[24:25], v[24:25], v[22:23]
	v_fma_f64 v[14:15], v[26:27], v[14:15], v[24:25]
	s_delay_alu instid0(VALU_DEP_1) | instskip(NEXT) | instid1(VALU_DEP_1)
	v_dual_cndmask_b32 v15, v15, v23 :: v_dual_cndmask_b32 v14, v14, v22
	v_add_f64 v[24:25], v[14:15], v[14:15]
	v_mul_f64 v[26:27], v[14:15], v[14:15]
	s_delay_alu instid0(VALU_DEP_2) | instskip(NEXT) | instid1(VALU_DEP_1)
	v_rcp_f64_e32 v[28:29], v[24:25]
	v_add_f64 v[30:31], v[22:23], -v[26:27]
	v_fma_f64 v[34:35], v[14:15], v[14:15], -v[26:27]
	s_delay_alu instid0(VALU_DEP_2) | instskip(SKIP_3) | instid1(VALU_DEP_2)
	v_add_f64 v[22:23], v[22:23], -v[30:31]
	s_waitcnt_depctr 0xfff
	v_fma_f64 v[32:33], -v[24:25], v[28:29], 1.0
	v_add_f64 v[22:23], v[22:23], -v[26:27]
	v_fma_f64 v[26:27], v[32:33], v[28:29], v[28:29]
	s_delay_alu instid0(VALU_DEP_2) | instskip(NEXT) | instid1(VALU_DEP_2)
	v_add_f64 v[22:23], v[22:23], -v[34:35]
	v_fma_f64 v[28:29], -v[24:25], v[26:27], 1.0
	s_delay_alu instid0(VALU_DEP_2) | instskip(NEXT) | instid1(VALU_DEP_2)
	v_add_f64 v[22:23], v[30:31], v[22:23]
	v_fma_f64 v[26:27], v[28:29], v[26:27], v[26:27]
	s_delay_alu instid0(VALU_DEP_1) | instskip(NEXT) | instid1(VALU_DEP_1)
	v_mul_f64 v[28:29], v[22:23], v[26:27]
	v_fma_f64 v[22:23], -v[24:25], v[28:29], v[22:23]
	s_delay_alu instid0(VALU_DEP_1) | instskip(NEXT) | instid1(VALU_DEP_1)
	v_fma_f64 v[22:23], v[22:23], v[26:27], v[28:29]
	v_cndmask_b32_e64 v23, v23, 0, vcc_lo
	s_delay_alu instid0(VALU_DEP_2) | instskip(SKIP_1) | instid1(VALU_DEP_2)
	v_cndmask_b32_e64 v22, v22, 0, vcc_lo
	v_cmp_neq_f64_e64 vcc_lo, |v[6:7]|, 1.0
	v_add_f64 v[24:25], v[14:15], v[22:23]
	s_delay_alu instid0(VALU_DEP_1) | instskip(SKIP_1) | instid1(VALU_DEP_2)
	v_add_f64 v[14:15], v[24:25], -v[14:15]
	v_mul_f64 v[26:27], v[20:21], v[24:25]
	v_add_f64 v[14:15], v[22:23], -v[14:15]
	s_delay_alu instid0(VALU_DEP_2) | instskip(NEXT) | instid1(VALU_DEP_1)
	v_fma_f64 v[22:23], v[24:25], v[20:21], -v[26:27]
	v_fma_f64 v[20:21], v[14:15], v[20:21], v[22:23]
	s_delay_alu instid0(VALU_DEP_1) | instskip(NEXT) | instid1(VALU_DEP_1)
	v_add_f64 v[22:23], v[26:27], v[20:21]
	v_add_f64 v[28:29], v[24:25], v[22:23]
	v_add_f64 v[26:27], v[22:23], -v[26:27]
	s_delay_alu instid0(VALU_DEP_2) | instskip(NEXT) | instid1(VALU_DEP_2)
	v_add_f64 v[24:25], v[28:29], -v[24:25]
	v_add_f64 v[20:21], v[20:21], -v[26:27]
	s_delay_alu instid0(VALU_DEP_2) | instskip(NEXT) | instid1(VALU_DEP_2)
	v_add_f64 v[22:23], v[22:23], -v[24:25]
	v_add_f64 v[14:15], v[14:15], v[20:21]
	s_delay_alu instid0(VALU_DEP_1) | instskip(NEXT) | instid1(VALU_DEP_1)
	v_add_f64 v[14:15], v[14:15], v[22:23]
	v_add_f64 v[20:21], v[28:29], v[14:15]
	s_delay_alu instid0(VALU_DEP_1) | instskip(SKIP_1) | instid1(VALU_DEP_2)
	v_add_f64 v[22:23], -v[20:21], s[28:29]
	v_add_f64 v[26:27], v[20:21], -v[28:29]
	v_add_f64 v[24:25], -v[22:23], s[28:29]
	s_delay_alu instid0(VALU_DEP_2) | instskip(NEXT) | instid1(VALU_DEP_2)
	v_add_f64 v[14:15], v[26:27], -v[14:15]
	v_add_f64 v[20:21], v[24:25], -v[20:21]
	s_delay_alu instid0(VALU_DEP_1) | instskip(NEXT) | instid1(VALU_DEP_1)
	v_add_f64 v[20:21], v[20:21], s[30:31]
	v_add_f64 v[14:15], v[14:15], v[20:21]
	s_delay_alu instid0(VALU_DEP_1) | instskip(NEXT) | instid1(VALU_DEP_1)
	v_add_f64 v[14:15], v[22:23], v[14:15]
	v_add_f64 v[14:15], v[14:15], v[14:15]
	s_delay_alu instid0(VALU_DEP_1) | instskip(NEXT) | instid1(VALU_DEP_2)
	v_cndmask_b32_e32 v15, 0x3ff921fb, v15, vcc_lo
	v_cndmask_b32_e32 v14, 0x54442d18, v14, vcc_lo
	s_branch .LBB60_32
.LBB60_41:
	s_nop 0
	s_sendmsg sendmsg(MSG_DEALLOC_VGPRS)
	s_endpgm
	.section	.rodata,"a",@progbits
	.p2align	6, 0x0
	.amdhsa_kernel _ZN2at6native12_GLOBAL__N_125multi_tensor_apply_kernelINS1_18TensorListMetadataILi1EEENS1_14UnaryOpFunctorIdLi1ELi1ELi0EEEJNS0_4AsinIdEEEEEvT_T0_DpT1_
		.amdhsa_group_segment_fixed_size 0
		.amdhsa_private_segment_fixed_size 0
		.amdhsa_kernarg_size 3632
		.amdhsa_user_sgpr_count 15
		.amdhsa_user_sgpr_dispatch_ptr 0
		.amdhsa_user_sgpr_queue_ptr 0
		.amdhsa_user_sgpr_kernarg_segment_ptr 1
		.amdhsa_user_sgpr_dispatch_id 0
		.amdhsa_user_sgpr_private_segment_size 0
		.amdhsa_wavefront_size32 1
		.amdhsa_uses_dynamic_stack 0
		.amdhsa_enable_private_segment 0
		.amdhsa_system_sgpr_workgroup_id_x 1
		.amdhsa_system_sgpr_workgroup_id_y 0
		.amdhsa_system_sgpr_workgroup_id_z 0
		.amdhsa_system_sgpr_workgroup_info 0
		.amdhsa_system_vgpr_workitem_id 0
		.amdhsa_next_free_vgpr 43
		.amdhsa_next_free_sgpr 50
		.amdhsa_reserve_vcc 1
		.amdhsa_float_round_mode_32 0
		.amdhsa_float_round_mode_16_64 0
		.amdhsa_float_denorm_mode_32 3
		.amdhsa_float_denorm_mode_16_64 3
		.amdhsa_dx10_clamp 1
		.amdhsa_ieee_mode 1
		.amdhsa_fp16_overflow 0
		.amdhsa_workgroup_processor_mode 1
		.amdhsa_memory_ordered 1
		.amdhsa_forward_progress 0
		.amdhsa_shared_vgpr_count 0
		.amdhsa_exception_fp_ieee_invalid_op 0
		.amdhsa_exception_fp_denorm_src 0
		.amdhsa_exception_fp_ieee_div_zero 0
		.amdhsa_exception_fp_ieee_overflow 0
		.amdhsa_exception_fp_ieee_underflow 0
		.amdhsa_exception_fp_ieee_inexact 0
		.amdhsa_exception_int_div_zero 0
	.end_amdhsa_kernel
	.section	.text._ZN2at6native12_GLOBAL__N_125multi_tensor_apply_kernelINS1_18TensorListMetadataILi1EEENS1_14UnaryOpFunctorIdLi1ELi1ELi0EEEJNS0_4AsinIdEEEEEvT_T0_DpT1_,"axG",@progbits,_ZN2at6native12_GLOBAL__N_125multi_tensor_apply_kernelINS1_18TensorListMetadataILi1EEENS1_14UnaryOpFunctorIdLi1ELi1ELi0EEEJNS0_4AsinIdEEEEEvT_T0_DpT1_,comdat
.Lfunc_end60:
	.size	_ZN2at6native12_GLOBAL__N_125multi_tensor_apply_kernelINS1_18TensorListMetadataILi1EEENS1_14UnaryOpFunctorIdLi1ELi1ELi0EEEJNS0_4AsinIdEEEEEvT_T0_DpT1_, .Lfunc_end60-_ZN2at6native12_GLOBAL__N_125multi_tensor_apply_kernelINS1_18TensorListMetadataILi1EEENS1_14UnaryOpFunctorIdLi1ELi1ELi0EEEJNS0_4AsinIdEEEEEvT_T0_DpT1_
                                        ; -- End function
	.section	.AMDGPU.csdata,"",@progbits
; Kernel info:
; codeLenInByte = 7368
; NumSgprs: 52
; NumVgprs: 43
; ScratchSize: 0
; MemoryBound: 0
; FloatMode: 240
; IeeeMode: 1
; LDSByteSize: 0 bytes/workgroup (compile time only)
; SGPRBlocks: 6
; VGPRBlocks: 5
; NumSGPRsForWavesPerEU: 52
; NumVGPRsForWavesPerEU: 43
; Occupancy: 16
; WaveLimiterHint : 0
; COMPUTE_PGM_RSRC2:SCRATCH_EN: 0
; COMPUTE_PGM_RSRC2:USER_SGPR: 15
; COMPUTE_PGM_RSRC2:TRAP_HANDLER: 0
; COMPUTE_PGM_RSRC2:TGID_X_EN: 1
; COMPUTE_PGM_RSRC2:TGID_Y_EN: 0
; COMPUTE_PGM_RSRC2:TGID_Z_EN: 0
; COMPUTE_PGM_RSRC2:TIDIG_COMP_CNT: 0
	.section	.text._ZN2at6native12_GLOBAL__N_125multi_tensor_apply_kernelINS1_18TensorListMetadataILi1EEENS1_14UnaryOpFunctorIfLi1ELi1ELi0EEEJNS0_4AsinIfEEEEEvT_T0_DpT1_,"axG",@progbits,_ZN2at6native12_GLOBAL__N_125multi_tensor_apply_kernelINS1_18TensorListMetadataILi1EEENS1_14UnaryOpFunctorIfLi1ELi1ELi0EEEJNS0_4AsinIfEEEEEvT_T0_DpT1_,comdat
	.globl	_ZN2at6native12_GLOBAL__N_125multi_tensor_apply_kernelINS1_18TensorListMetadataILi1EEENS1_14UnaryOpFunctorIfLi1ELi1ELi0EEEJNS0_4AsinIfEEEEEvT_T0_DpT1_ ; -- Begin function _ZN2at6native12_GLOBAL__N_125multi_tensor_apply_kernelINS1_18TensorListMetadataILi1EEENS1_14UnaryOpFunctorIfLi1ELi1ELi0EEEJNS0_4AsinIfEEEEEvT_T0_DpT1_
	.p2align	8
	.type	_ZN2at6native12_GLOBAL__N_125multi_tensor_apply_kernelINS1_18TensorListMetadataILi1EEENS1_14UnaryOpFunctorIfLi1ELi1ELi0EEEJNS0_4AsinIfEEEEEvT_T0_DpT1_,@function
_ZN2at6native12_GLOBAL__N_125multi_tensor_apply_kernelINS1_18TensorListMetadataILi1EEENS1_14UnaryOpFunctorIfLi1ELi1ELi0EEEJNS0_4AsinIfEEEEEvT_T0_DpT1_: ; @_ZN2at6native12_GLOBAL__N_125multi_tensor_apply_kernelINS1_18TensorListMetadataILi1EEENS1_14UnaryOpFunctorIfLi1ELi1ELi0EEEJNS0_4AsinIfEEEEEvT_T0_DpT1_
; %bb.0:
	v_mov_b32_e32 v1, s15
	s_add_u32 s2, s0, s15
	s_mul_hi_u32 s3, s15, 3
	s_mul_i32 s15, s15, 3
	s_addc_u32 s4, s1, 0
	global_load_u8 v1, v1, s[0:1] offset:1760
	s_add_u32 s2, s2, s15
	s_addc_u32 s3, s4, s3
	s_mov_b32 s13, 0
	s_load_b32 s2, s[2:3], 0x820
	s_waitcnt vmcnt(0)
	v_readfirstlane_b32 s5, v1
	s_delay_alu instid0(VALU_DEP_1)
	s_lshl_b32 s3, s5, 3
	s_clause 0x1
	s_load_b64 s[8:9], s[0:1], s3 offset:0x0
	s_load_b64 s[4:5], s[0:1], s3 offset:0x370
	s_waitcnt lgkmcnt(0)
	s_ashr_i32 s3, s2, 31
	s_delay_alu instid0(SALU_CYCLE_1)
	s_lshl_b64 s[10:11], s[2:3], 18
	s_lshl_b64 s[2:3], s[2:3], 16
	s_and_b32 s12, s8, 15
	s_sub_u32 s6, s4, s2
	s_subb_u32 s7, s5, s3
	s_and_b32 s2, s4, 3
	s_mov_b32 s3, s13
	s_delay_alu instid0(SALU_CYCLE_1) | instskip(NEXT) | instid1(SALU_CYCLE_1)
	s_or_b64 s[2:3], s[12:13], s[2:3]
	s_cmp_eq_u64 s[2:3], 0
	s_cbranch_scc1 .LBB61_21
; %bb.1:
	v_cmp_lt_i64_e64 s2, s[6:7], 1
	s_delay_alu instid0(VALU_DEP_1)
	s_and_b32 vcc_lo, exec_lo, s2
	s_cbranch_vccnz .LBB61_20
; %bb.2:
	s_load_b32 s2, s[0:1], 0xd3c
	v_cmp_gt_u64_e64 s3, 0x10000, s[6:7]
	v_lshlrev_b32_e32 v1, 2, v0
	s_mov_b32 s20, 0x3d1c21a7
	s_waitcnt lgkmcnt(0)
	s_and_b32 s2, s2, 0xffff
	s_delay_alu instid0(VALU_DEP_2)
	s_and_b32 s3, s3, exec_lo
	v_add_co_u32 v5, s5, v0, s2
	s_cselect_b32 s13, s7, 0
	s_cselect_b32 s12, s6, 0x10000
	s_lshl_b32 s3, s2, 1
	s_lshl_b32 s16, s2, 2
	v_lshlrev_b32_e32 v3, 2, v5
	v_add_co_ci_u32_e64 v6, null, 0, 0, s5
	s_add_u32 s5, s8, s10
	v_add_co_u32 v9, s3, s3, v0
	s_mul_i32 s4, s2, 3
	s_addc_u32 s14, s9, s11
	v_add_co_ci_u32_e64 v10, null, 0, 0, s3
	v_add_co_u32 v1, s3, s5, v1
	v_add_co_u32 v7, s4, s4, v0
	v_add_co_ci_u32_e64 v2, null, s14, 0, s3
	v_add_co_u32 v3, s3, s5, v3
	v_add_co_ci_u32_e64 v8, null, 0, 0, s4
	v_add_co_ci_u32_e64 v4, null, s14, 0, s3
	s_mul_i32 s17, s2, 12
	s_lshl_b32 s18, s2, 4
	s_lshl_b32 s19, s2, 3
	s_mov_b64 s[14:15], 0
	s_branch .LBB61_4
.LBB61_3:                               ;   in Loop: Header=BB61_4 Depth=1
	s_or_b32 exec_lo, exec_lo, s2
	s_add_u32 s14, s14, s16
	s_addc_u32 s15, s15, 0
	v_add_co_u32 v1, vcc_lo, v1, s18
	v_cmp_lt_i64_e64 s2, s[14:15], s[6:7]
	v_cmp_gt_u64_e64 s3, 0x10000, s[14:15]
	v_add_co_ci_u32_e32 v2, vcc_lo, 0, v2, vcc_lo
	v_add_co_u32 v3, vcc_lo, v3, s18
	v_add_co_ci_u32_e32 v4, vcc_lo, 0, v4, vcc_lo
	s_delay_alu instid0(VALU_DEP_4) | instskip(NEXT) | instid1(SALU_CYCLE_1)
	s_and_b32 s2, s2, s3
	s_and_b32 vcc_lo, exec_lo, s2
	s_cbranch_vccz .LBB61_20
.LBB61_4:                               ; =>This Inner Loop Header: Depth=1
	s_waitcnt vmcnt(0)
	v_add_co_u32 v11, s2, v0, s14
	s_delay_alu instid0(VALU_DEP_1) | instskip(SKIP_1) | instid1(VALU_DEP_2)
	v_add_co_ci_u32_e64 v12, null, 0, s15, s2
	v_mov_b32_e32 v14, 0
	v_cmp_gt_u64_e64 s4, s[12:13], v[11:12]
	s_delay_alu instid0(VALU_DEP_1)
	s_and_saveexec_b32 s2, s4
	s_cbranch_execz .LBB61_6
; %bb.5:                                ;   in Loop: Header=BB61_4 Depth=1
	global_load_b32 v14, v[1:2], off
.LBB61_6:                               ;   in Loop: Header=BB61_4 Depth=1
	s_or_b32 exec_lo, exec_lo, s2
	v_add_co_u32 v11, vcc_lo, v5, s14
	v_add_co_ci_u32_e32 v12, vcc_lo, s15, v6, vcc_lo
	v_mov_b32_e32 v13, 0
	s_delay_alu instid0(VALU_DEP_2) | instskip(NEXT) | instid1(VALU_DEP_1)
	v_cmp_gt_u64_e64 s3, s[12:13], v[11:12]
	s_and_saveexec_b32 s2, s3
	s_cbranch_execz .LBB61_8
; %bb.7:                                ;   in Loop: Header=BB61_4 Depth=1
	global_load_b32 v13, v[3:4], off
.LBB61_8:                               ;   in Loop: Header=BB61_4 Depth=1
	s_or_b32 exec_lo, exec_lo, s2
	v_add_co_u32 v11, vcc_lo, v9, s14
	v_add_co_ci_u32_e32 v12, vcc_lo, s15, v10, vcc_lo
	s_delay_alu instid0(VALU_DEP_1) | instskip(SKIP_1) | instid1(VALU_DEP_2)
	v_cmp_gt_u64_e64 s2, s[12:13], v[11:12]
	v_dual_mov_b32 v11, 0 :: v_dual_mov_b32 v12, 0
	s_and_saveexec_b32 s5, s2
	s_cbranch_execz .LBB61_10
; %bb.9:                                ;   in Loop: Header=BB61_4 Depth=1
	v_add_co_u32 v15, vcc_lo, v1, s19
	v_add_co_ci_u32_e32 v16, vcc_lo, 0, v2, vcc_lo
	global_load_b32 v12, v[15:16], off
.LBB61_10:                              ;   in Loop: Header=BB61_4 Depth=1
	s_or_b32 exec_lo, exec_lo, s5
	v_add_co_u32 v15, vcc_lo, v7, s14
	v_add_co_ci_u32_e32 v16, vcc_lo, s15, v8, vcc_lo
	s_delay_alu instid0(VALU_DEP_1)
	v_cmp_gt_u64_e32 vcc_lo, s[12:13], v[15:16]
	s_and_saveexec_b32 s21, vcc_lo
	s_cbranch_execnz .LBB61_15
; %bb.11:                               ;   in Loop: Header=BB61_4 Depth=1
	s_or_b32 exec_lo, exec_lo, s21
	s_and_saveexec_b32 s5, s4
	s_cbranch_execnz .LBB61_16
.LBB61_12:                              ;   in Loop: Header=BB61_4 Depth=1
	s_or_b32 exec_lo, exec_lo, s5
	s_and_saveexec_b32 s4, s3
	s_cbranch_execnz .LBB61_17
.LBB61_13:                              ;   in Loop: Header=BB61_4 Depth=1
	s_or_b32 exec_lo, exec_lo, s4
	s_and_saveexec_b32 s3, s2
	s_cbranch_execnz .LBB61_18
.LBB61_14:                              ;   in Loop: Header=BB61_4 Depth=1
	s_or_b32 exec_lo, exec_lo, s3
	s_and_saveexec_b32 s2, vcc_lo
	s_cbranch_execz .LBB61_3
	s_branch .LBB61_19
.LBB61_15:                              ;   in Loop: Header=BB61_4 Depth=1
	v_add_co_u32 v15, s5, v1, s17
	s_delay_alu instid0(VALU_DEP_1)
	v_add_co_ci_u32_e64 v16, s5, 0, v2, s5
	global_load_b32 v11, v[15:16], off
	s_or_b32 exec_lo, exec_lo, s21
	s_and_saveexec_b32 s5, s4
	s_cbranch_execz .LBB61_12
.LBB61_16:                              ;   in Loop: Header=BB61_4 Depth=1
	s_waitcnt vmcnt(0)
	v_fma_f32 v15, |v14|, -0.5, 0.5
	v_mul_f32_e32 v16, v14, v14
	v_cmp_ge_f32_e64 s4, |v14|, 0.5
	s_delay_alu instid0(VALU_DEP_1) | instskip(SKIP_1) | instid1(VALU_DEP_2)
	v_cndmask_b32_e64 v15, v16, v15, s4
	v_cmp_lt_f32_e64 s4, |v14|, 0.5
	v_fmaak_f32 v16, s20, v15, 0x3c5fc5da
	v_sqrt_f32_e32 v17, v15
	s_delay_alu instid0(VALU_DEP_1) | instskip(NEXT) | instid1(VALU_DEP_1)
	v_fmaak_f32 v16, v15, v16, 0x3d034c3c
	v_fmaak_f32 v16, v15, v16, 0x3d3641b1
	s_delay_alu instid0(VALU_DEP_1) | instskip(NEXT) | instid1(VALU_DEP_1)
	v_fmaak_f32 v16, v15, v16, 0x3d999bc8
	v_fmaak_f32 v16, v15, v16, 0x3e2aaaac
	s_delay_alu instid0(VALU_DEP_1) | instskip(SKIP_2) | instid1(VALU_DEP_1)
	v_mul_f32_e32 v15, v15, v16
	s_waitcnt_depctr 0xfff
	v_fmac_f32_e32 v17, v17, v15
	v_add_f32_e32 v16, v17, v17
	v_fma_f32 v15, |v14|, v15, |v14|
	s_delay_alu instid0(VALU_DEP_2) | instskip(NEXT) | instid1(VALU_DEP_1)
	v_sub_f32_e32 v16, 0x3fc90fdb, v16
	v_cndmask_b32_e64 v15, v16, v15, s4
	s_delay_alu instid0(VALU_DEP_1)
	v_bfi_b32 v14, 0x7fffffff, v15, v14
	global_store_b32 v[1:2], v14, off
	s_or_b32 exec_lo, exec_lo, s5
	s_and_saveexec_b32 s4, s3
	s_cbranch_execz .LBB61_13
.LBB61_17:                              ;   in Loop: Header=BB61_4 Depth=1
	s_waitcnt vmcnt(0)
	v_fma_f32 v14, |v13|, -0.5, 0.5
	v_mul_f32_e32 v15, v13, v13
	v_cmp_ge_f32_e64 s3, |v13|, 0.5
	s_delay_alu instid0(VALU_DEP_1) | instskip(SKIP_1) | instid1(VALU_DEP_2)
	v_cndmask_b32_e64 v14, v15, v14, s3
	v_cmp_lt_f32_e64 s3, |v13|, 0.5
	v_fmaak_f32 v15, s20, v14, 0x3c5fc5da
	v_sqrt_f32_e32 v16, v14
	s_delay_alu instid0(VALU_DEP_1) | instskip(NEXT) | instid1(VALU_DEP_1)
	v_fmaak_f32 v15, v14, v15, 0x3d034c3c
	v_fmaak_f32 v15, v14, v15, 0x3d3641b1
	s_delay_alu instid0(VALU_DEP_1) | instskip(NEXT) | instid1(VALU_DEP_1)
	v_fmaak_f32 v15, v14, v15, 0x3d999bc8
	v_fmaak_f32 v15, v14, v15, 0x3e2aaaac
	s_delay_alu instid0(VALU_DEP_1) | instskip(SKIP_2) | instid1(VALU_DEP_1)
	v_mul_f32_e32 v14, v14, v15
	s_waitcnt_depctr 0xfff
	v_fmac_f32_e32 v16, v16, v14
	v_add_f32_e32 v15, v16, v16
	v_fma_f32 v14, |v13|, v14, |v13|
	s_delay_alu instid0(VALU_DEP_2) | instskip(NEXT) | instid1(VALU_DEP_1)
	v_sub_f32_e32 v15, 0x3fc90fdb, v15
	v_cndmask_b32_e64 v14, v15, v14, s3
	s_delay_alu instid0(VALU_DEP_1)
	v_bfi_b32 v13, 0x7fffffff, v14, v13
	global_store_b32 v[3:4], v13, off
	s_or_b32 exec_lo, exec_lo, s4
	s_and_saveexec_b32 s3, s2
	s_cbranch_execz .LBB61_14
.LBB61_18:                              ;   in Loop: Header=BB61_4 Depth=1
	s_waitcnt vmcnt(0)
	v_fma_f32 v13, |v12|, -0.5, 0.5
	v_mul_f32_e32 v14, v12, v12
	v_cmp_ge_f32_e64 s2, |v12|, 0.5
	s_delay_alu instid0(VALU_DEP_1) | instskip(SKIP_1) | instid1(VALU_DEP_2)
	v_cndmask_b32_e64 v13, v14, v13, s2
	v_cmp_lt_f32_e64 s2, |v12|, 0.5
	v_fmaak_f32 v14, s20, v13, 0x3c5fc5da
	v_sqrt_f32_e32 v15, v13
	s_delay_alu instid0(VALU_DEP_1) | instskip(NEXT) | instid1(VALU_DEP_1)
	v_fmaak_f32 v14, v13, v14, 0x3d034c3c
	v_fmaak_f32 v14, v13, v14, 0x3d3641b1
	s_delay_alu instid0(VALU_DEP_1) | instskip(NEXT) | instid1(VALU_DEP_1)
	v_fmaak_f32 v14, v13, v14, 0x3d999bc8
	v_fmaak_f32 v14, v13, v14, 0x3e2aaaac
	s_delay_alu instid0(VALU_DEP_1) | instskip(SKIP_2) | instid1(VALU_DEP_1)
	v_mul_f32_e32 v13, v13, v14
	s_waitcnt_depctr 0xfff
	v_fmac_f32_e32 v15, v15, v13
	v_add_f32_e32 v14, v15, v15
	v_fma_f32 v13, |v12|, v13, |v12|
	s_delay_alu instid0(VALU_DEP_2) | instskip(NEXT) | instid1(VALU_DEP_1)
	v_sub_f32_e32 v14, 0x3fc90fdb, v14
	v_cndmask_b32_e64 v13, v14, v13, s2
	s_delay_alu instid0(VALU_DEP_1) | instskip(SKIP_1) | instid1(VALU_DEP_1)
	v_bfi_b32 v14, 0x7fffffff, v13, v12
	v_add_co_u32 v12, s2, v1, s19
	v_add_co_ci_u32_e64 v13, s2, 0, v2, s2
	global_store_b32 v[12:13], v14, off
	s_or_b32 exec_lo, exec_lo, s3
	s_and_saveexec_b32 s2, vcc_lo
	s_cbranch_execz .LBB61_3
.LBB61_19:                              ;   in Loop: Header=BB61_4 Depth=1
	s_waitcnt vmcnt(0)
	v_fma_f32 v12, |v11|, -0.5, 0.5
	v_mul_f32_e32 v13, v11, v11
	v_cmp_ge_f32_e64 vcc_lo, |v11|, 0.5
	s_delay_alu instid0(VALU_DEP_2) | instskip(SKIP_1) | instid1(VALU_DEP_2)
	v_cndmask_b32_e32 v12, v13, v12, vcc_lo
	v_cmp_lt_f32_e64 vcc_lo, |v11|, 0.5
	v_fmaak_f32 v13, s20, v12, 0x3c5fc5da
	v_sqrt_f32_e32 v14, v12
	s_delay_alu instid0(VALU_DEP_1) | instskip(NEXT) | instid1(VALU_DEP_1)
	v_fmaak_f32 v13, v12, v13, 0x3d034c3c
	v_fmaak_f32 v13, v12, v13, 0x3d3641b1
	s_delay_alu instid0(VALU_DEP_1) | instskip(NEXT) | instid1(VALU_DEP_1)
	v_fmaak_f32 v13, v12, v13, 0x3d999bc8
	v_fmaak_f32 v13, v12, v13, 0x3e2aaaac
	s_delay_alu instid0(VALU_DEP_1) | instskip(SKIP_3) | instid1(VALU_DEP_2)
	v_mul_f32_e32 v12, v12, v13
	s_waitcnt_depctr 0xfff
	v_fmac_f32_e32 v14, v14, v12
	v_fma_f32 v12, |v11|, v12, |v11|
	v_add_f32_e32 v13, v14, v14
	s_delay_alu instid0(VALU_DEP_1) | instskip(NEXT) | instid1(VALU_DEP_1)
	v_sub_f32_e32 v13, 0x3fc90fdb, v13
	v_cndmask_b32_e32 v12, v13, v12, vcc_lo
	s_delay_alu instid0(VALU_DEP_1)
	v_bfi_b32 v13, 0x7fffffff, v12, v11
	v_add_co_u32 v11, vcc_lo, v1, s17
	v_add_co_ci_u32_e32 v12, vcc_lo, 0, v2, vcc_lo
	global_store_b32 v[11:12], v13, off
	s_branch .LBB61_3
.LBB61_20:
	s_cbranch_execz .LBB61_22
	s_branch .LBB61_25
.LBB61_21:
.LBB61_22:
	v_dual_mov_b32 v2, 0 :: v_dual_lshlrev_b32 v1, 2, v0
	s_mov_b32 s2, 0
	s_mov_b32 s3, exec_lo
	s_delay_alu instid0(VALU_DEP_1)
	v_cmpx_gt_i64_e64 s[6:7], v[1:2]
	s_cbranch_execz .LBB61_25
; %bb.23:
	s_load_b32 s0, s[0:1], 0xd3c
	v_lshlrev_b32_e32 v1, 4, v0
	s_mov_b32 s5, 0x3d1c21a7
	s_waitcnt lgkmcnt(0)
	s_and_b32 s0, s0, 0xffff
	s_delay_alu instid0(SALU_CYCLE_1) | instskip(SKIP_3) | instid1(VALU_DEP_1)
	s_lshl_b32 s3, s0, 2
	s_add_u32 s1, s8, s10
	s_addc_u32 s4, s9, s11
	v_add_co_u32 v3, s1, s1, v1
	v_add_co_ci_u32_e64 v4, null, s4, 0, s1
	v_add_lshl_u32 v1, v0, s0, 2
	s_delay_alu instid0(VALU_DEP_3) | instskip(NEXT) | instid1(VALU_DEP_3)
	v_add_co_u32 v3, vcc_lo, v3, 8
	v_add_co_ci_u32_e32 v4, vcc_lo, 0, v4, vcc_lo
	s_lshl_b32 s4, s0, 4
.LBB61_24:                              ; =>This Inner Loop Header: Depth=1
	global_load_b128 v[5:8], v[3:4], off offset:-8
	s_waitcnt vmcnt(0)
	v_fma_f32 v0, |v5|, -0.5, 0.5
	v_mul_f32_e32 v9, v5, v5
	v_cmp_ge_f32_e64 vcc_lo, |v5|, 0.5
	v_fma_f32 v10, |v6|, -0.5, 0.5
	v_mul_f32_e32 v11, v6, v6
	v_fma_f32 v12, |v7|, -0.5, 0.5
	v_dual_mul_f32 v13, v7, v7 :: v_dual_cndmask_b32 v0, v9, v0
	v_cmp_ge_f32_e64 vcc_lo, |v6|, 0.5
	v_fma_f32 v14, |v8|, -0.5, 0.5
	v_cmp_lt_f32_e64 s0, |v5|, 0.5
	s_delay_alu instid0(VALU_DEP_4)
	v_sqrt_f32_e32 v16, v0
	v_cndmask_b32_e32 v9, v11, v10, vcc_lo
	v_cmp_ge_f32_e64 vcc_lo, |v7|, 0.5
	v_cndmask_b32_e32 v10, v13, v12, vcc_lo
	v_mul_f32_e32 v15, v8, v8
	v_cmp_ge_f32_e64 vcc_lo, |v8|, 0.5
	v_fmaak_f32 v12, s5, v0, 0x3c5fc5da
	v_sqrt_f32_e32 v17, v9
	v_sqrt_f32_e32 v18, v10
	s_delay_alu instid0(VALU_DEP_1) | instskip(SKIP_2) | instid1(VALU_DEP_3)
	v_dual_cndmask_b32 v11, v15, v14 :: v_dual_fmaak_f32 v12, v0, v12, 0x3d034c3c
	v_fmaak_f32 v14, s5, v10, 0x3c5fc5da
	v_cmp_le_i64_e32 vcc_lo, s[6:7], v[1:2]
	v_sqrt_f32_e32 v19, v11
	s_delay_alu instid0(VALU_DEP_3) | instskip(NEXT) | instid1(VALU_DEP_3)
	v_fmaak_f32 v12, v0, v12, 0x3d3641b1
	v_fmaak_f32 v14, v10, v14, 0x3d034c3c
	s_delay_alu instid0(VALU_DEP_2) | instskip(NEXT) | instid1(VALU_DEP_2)
	v_fmaak_f32 v12, v0, v12, 0x3d999bc8
	v_fmaak_f32 v14, v10, v14, 0x3d3641b1
	s_delay_alu instid0(VALU_DEP_2) | instskip(SKIP_1) | instid1(VALU_DEP_3)
	v_fmaak_f32 v12, v0, v12, 0x3e2aaaac
	v_fmaak_f32 v13, s5, v9, 0x3c5fc5da
	;; [unrolled: 1-line block ×3, first 2 shown]
	s_delay_alu instid0(VALU_DEP_2) | instskip(NEXT) | instid1(VALU_DEP_2)
	v_dual_mul_f32 v0, v0, v12 :: v_dual_fmaak_f32 v13, v9, v13, 0x3d034c3c
	v_fmaak_f32 v14, v10, v14, 0x3e2aaaac
	s_delay_alu instid0(VALU_DEP_2) | instskip(NEXT) | instid1(VALU_DEP_2)
	v_dual_fmaak_f32 v15, s5, v11, 0x3c5fc5da :: v_dual_fmac_f32 v16, v16, v0
	v_dual_fmaak_f32 v13, v9, v13, 0x3d3641b1 :: v_dual_mul_f32 v10, v10, v14
	s_delay_alu instid0(VALU_DEP_2) | instskip(SKIP_1) | instid1(VALU_DEP_3)
	v_fmaak_f32 v15, v11, v15, 0x3d034c3c
	v_fma_f32 v0, |v5|, v0, |v5|
	v_dual_add_f32 v12, v16, v16 :: v_dual_fmaak_f32 v13, v9, v13, 0x3d999bc8
	s_delay_alu instid0(VALU_DEP_3) | instskip(SKIP_1) | instid1(VALU_DEP_3)
	v_dual_fmac_f32 v18, v18, v10 :: v_dual_fmaak_f32 v15, v11, v15, 0x3d3641b1
	v_fma_f32 v10, |v7|, v10, |v7|
	v_sub_f32_e32 v12, 0x3fc90fdb, v12
	s_delay_alu instid0(VALU_DEP_3) | instskip(NEXT) | instid1(VALU_DEP_4)
	v_dual_fmaak_f32 v13, v9, v13, 0x3e2aaaac :: v_dual_add_f32 v14, v18, v18
	v_fmaak_f32 v15, v11, v15, 0x3d999bc8
	s_delay_alu instid0(VALU_DEP_3) | instskip(NEXT) | instid1(VALU_DEP_3)
	v_cndmask_b32_e64 v0, v12, v0, s0
	v_mul_f32_e32 v9, v9, v13
	v_cmp_lt_f32_e64 s0, |v6|, 0.5
	s_delay_alu instid0(VALU_DEP_4)
	v_fmaak_f32 v15, v11, v15, 0x3e2aaaac
	v_sub_f32_e32 v14, 0x3fc90fdb, v14
	v_bfi_b32 v5, 0x7fffffff, v0, v5
	v_fmac_f32_e32 v17, v17, v9
	v_fma_f32 v9, |v6|, v9, |v6|
	v_mul_f32_e32 v11, v11, v15
	s_delay_alu instid0(VALU_DEP_3) | instskip(NEXT) | instid1(VALU_DEP_2)
	v_add_f32_e32 v13, v17, v17
	v_fmac_f32_e32 v19, v19, v11
	v_fma_f32 v11, |v8|, v11, |v8|
	s_delay_alu instid0(VALU_DEP_3) | instskip(NEXT) | instid1(VALU_DEP_3)
	v_sub_f32_e32 v13, 0x3fc90fdb, v13
	v_add_f32_e32 v15, v19, v19
	s_delay_alu instid0(VALU_DEP_2) | instskip(SKIP_1) | instid1(VALU_DEP_3)
	v_cndmask_b32_e64 v9, v13, v9, s0
	v_cmp_lt_f32_e64 s0, |v7|, 0.5
	v_sub_f32_e32 v15, 0x3fc90fdb, v15
	s_delay_alu instid0(VALU_DEP_3) | instskip(NEXT) | instid1(VALU_DEP_3)
	v_bfi_b32 v6, 0x7fffffff, v9, v6
	v_cndmask_b32_e64 v10, v14, v10, s0
	v_cmp_lt_f32_e64 s0, |v8|, 0.5
	s_delay_alu instid0(VALU_DEP_2) | instskip(NEXT) | instid1(VALU_DEP_2)
	v_bfi_b32 v7, 0x7fffffff, v10, v7
	v_cndmask_b32_e64 v11, v15, v11, s0
	v_cmp_lt_u64_e64 s0, 0xffff, v[1:2]
	v_add_co_u32 v1, s1, v1, s3
	s_delay_alu instid0(VALU_DEP_1) | instskip(NEXT) | instid1(VALU_DEP_4)
	v_add_co_ci_u32_e64 v2, s1, 0, v2, s1
	v_bfi_b32 v8, 0x7fffffff, v11, v8
	s_delay_alu instid0(VALU_DEP_4) | instskip(NEXT) | instid1(SALU_CYCLE_1)
	s_or_b32 s0, vcc_lo, s0
	s_and_b32 s0, exec_lo, s0
	global_store_b128 v[3:4], v[5:8], off offset:-8
	v_add_co_u32 v3, vcc_lo, v3, s4
	v_add_co_ci_u32_e32 v4, vcc_lo, 0, v4, vcc_lo
	s_or_b32 s2, s0, s2
	s_delay_alu instid0(SALU_CYCLE_1)
	s_and_not1_b32 exec_lo, exec_lo, s2
	s_cbranch_execnz .LBB61_24
.LBB61_25:
	s_nop 0
	s_sendmsg sendmsg(MSG_DEALLOC_VGPRS)
	s_endpgm
	.section	.rodata,"a",@progbits
	.p2align	6, 0x0
	.amdhsa_kernel _ZN2at6native12_GLOBAL__N_125multi_tensor_apply_kernelINS1_18TensorListMetadataILi1EEENS1_14UnaryOpFunctorIfLi1ELi1ELi0EEEJNS0_4AsinIfEEEEEvT_T0_DpT1_
		.amdhsa_group_segment_fixed_size 0
		.amdhsa_private_segment_fixed_size 0
		.amdhsa_kernarg_size 3632
		.amdhsa_user_sgpr_count 15
		.amdhsa_user_sgpr_dispatch_ptr 0
		.amdhsa_user_sgpr_queue_ptr 0
		.amdhsa_user_sgpr_kernarg_segment_ptr 1
		.amdhsa_user_sgpr_dispatch_id 0
		.amdhsa_user_sgpr_private_segment_size 0
		.amdhsa_wavefront_size32 1
		.amdhsa_uses_dynamic_stack 0
		.amdhsa_enable_private_segment 0
		.amdhsa_system_sgpr_workgroup_id_x 1
		.amdhsa_system_sgpr_workgroup_id_y 0
		.amdhsa_system_sgpr_workgroup_id_z 0
		.amdhsa_system_sgpr_workgroup_info 0
		.amdhsa_system_vgpr_workitem_id 0
		.amdhsa_next_free_vgpr 20
		.amdhsa_next_free_sgpr 22
		.amdhsa_reserve_vcc 1
		.amdhsa_float_round_mode_32 0
		.amdhsa_float_round_mode_16_64 0
		.amdhsa_float_denorm_mode_32 3
		.amdhsa_float_denorm_mode_16_64 3
		.amdhsa_dx10_clamp 1
		.amdhsa_ieee_mode 1
		.amdhsa_fp16_overflow 0
		.amdhsa_workgroup_processor_mode 1
		.amdhsa_memory_ordered 1
		.amdhsa_forward_progress 0
		.amdhsa_shared_vgpr_count 0
		.amdhsa_exception_fp_ieee_invalid_op 0
		.amdhsa_exception_fp_denorm_src 0
		.amdhsa_exception_fp_ieee_div_zero 0
		.amdhsa_exception_fp_ieee_overflow 0
		.amdhsa_exception_fp_ieee_underflow 0
		.amdhsa_exception_fp_ieee_inexact 0
		.amdhsa_exception_int_div_zero 0
	.end_amdhsa_kernel
	.section	.text._ZN2at6native12_GLOBAL__N_125multi_tensor_apply_kernelINS1_18TensorListMetadataILi1EEENS1_14UnaryOpFunctorIfLi1ELi1ELi0EEEJNS0_4AsinIfEEEEEvT_T0_DpT1_,"axG",@progbits,_ZN2at6native12_GLOBAL__N_125multi_tensor_apply_kernelINS1_18TensorListMetadataILi1EEENS1_14UnaryOpFunctorIfLi1ELi1ELi0EEEJNS0_4AsinIfEEEEEvT_T0_DpT1_,comdat
.Lfunc_end61:
	.size	_ZN2at6native12_GLOBAL__N_125multi_tensor_apply_kernelINS1_18TensorListMetadataILi1EEENS1_14UnaryOpFunctorIfLi1ELi1ELi0EEEJNS0_4AsinIfEEEEEvT_T0_DpT1_, .Lfunc_end61-_ZN2at6native12_GLOBAL__N_125multi_tensor_apply_kernelINS1_18TensorListMetadataILi1EEENS1_14UnaryOpFunctorIfLi1ELi1ELi0EEEJNS0_4AsinIfEEEEEvT_T0_DpT1_
                                        ; -- End function
	.section	.AMDGPU.csdata,"",@progbits
; Kernel info:
; codeLenInByte = 2248
; NumSgprs: 24
; NumVgprs: 20
; ScratchSize: 0
; MemoryBound: 0
; FloatMode: 240
; IeeeMode: 1
; LDSByteSize: 0 bytes/workgroup (compile time only)
; SGPRBlocks: 2
; VGPRBlocks: 2
; NumSGPRsForWavesPerEU: 24
; NumVGPRsForWavesPerEU: 20
; Occupancy: 16
; WaveLimiterHint : 0
; COMPUTE_PGM_RSRC2:SCRATCH_EN: 0
; COMPUTE_PGM_RSRC2:USER_SGPR: 15
; COMPUTE_PGM_RSRC2:TRAP_HANDLER: 0
; COMPUTE_PGM_RSRC2:TGID_X_EN: 1
; COMPUTE_PGM_RSRC2:TGID_Y_EN: 0
; COMPUTE_PGM_RSRC2:TGID_Z_EN: 0
; COMPUTE_PGM_RSRC2:TIDIG_COMP_CNT: 0
	.section	.text._ZN2at6native12_GLOBAL__N_125multi_tensor_apply_kernelINS1_18TensorListMetadataILi1EEENS1_14UnaryOpFunctorIN3c107complexIdEELi1ELi1ELi0EEEJNS0_4AsinIS8_EEEEEvT_T0_DpT1_,"axG",@progbits,_ZN2at6native12_GLOBAL__N_125multi_tensor_apply_kernelINS1_18TensorListMetadataILi1EEENS1_14UnaryOpFunctorIN3c107complexIdEELi1ELi1ELi0EEEJNS0_4AsinIS8_EEEEEvT_T0_DpT1_,comdat
	.globl	_ZN2at6native12_GLOBAL__N_125multi_tensor_apply_kernelINS1_18TensorListMetadataILi1EEENS1_14UnaryOpFunctorIN3c107complexIdEELi1ELi1ELi0EEEJNS0_4AsinIS8_EEEEEvT_T0_DpT1_ ; -- Begin function _ZN2at6native12_GLOBAL__N_125multi_tensor_apply_kernelINS1_18TensorListMetadataILi1EEENS1_14UnaryOpFunctorIN3c107complexIdEELi1ELi1ELi0EEEJNS0_4AsinIS8_EEEEEvT_T0_DpT1_
	.p2align	8
	.type	_ZN2at6native12_GLOBAL__N_125multi_tensor_apply_kernelINS1_18TensorListMetadataILi1EEENS1_14UnaryOpFunctorIN3c107complexIdEELi1ELi1ELi0EEEJNS0_4AsinIS8_EEEEEvT_T0_DpT1_,@function
_ZN2at6native12_GLOBAL__N_125multi_tensor_apply_kernelINS1_18TensorListMetadataILi1EEENS1_14UnaryOpFunctorIN3c107complexIdEELi1ELi1ELi0EEEJNS0_4AsinIS8_EEEEEvT_T0_DpT1_: ; @_ZN2at6native12_GLOBAL__N_125multi_tensor_apply_kernelINS1_18TensorListMetadataILi1EEENS1_14UnaryOpFunctorIN3c107complexIdEELi1ELi1ELi0EEEJNS0_4AsinIS8_EEEEEvT_T0_DpT1_
; %bb.0:
	v_dual_mov_b32 v57, v0 :: v_dual_mov_b32 v0, s15
	s_mov_b64 s[18:19], s[0:1]
	s_mov_b32 s9, 0
	s_mov_b32 s32, 0
	global_load_u8 v0, v0, s[0:1] offset:1760
	s_add_u32 s0, s18, s15
	s_mul_hi_u32 s1, s15, 3
	s_mul_i32 s15, s15, 3
	s_addc_u32 s2, s19, 0
	s_add_u32 s0, s0, s15
	s_addc_u32 s1, s2, s1
	s_load_b32 s0, s[0:1], 0x820
	s_waitcnt vmcnt(0)
	v_readfirstlane_b32 s3, v0
	s_delay_alu instid0(VALU_DEP_1)
	s_lshl_b32 s1, s3, 3
	s_clause 0x1
	s_load_b64 s[2:3], s[18:19], s1 offset:0x0
	s_load_b64 s[4:5], s[18:19], s1 offset:0x370
	s_waitcnt lgkmcnt(0)
	s_ashr_i32 s1, s0, 31
	s_delay_alu instid0(SALU_CYCLE_1) | instskip(NEXT) | instid1(SALU_CYCLE_1)
	s_lshl_b64 s[6:7], s[0:1], 20
	s_add_u32 s24, s2, s6
	s_addc_u32 s25, s3, s7
	s_lshl_b64 s[0:1], s[0:1], 16
	s_and_b32 s8, s24, 63
	s_sub_u32 s26, s4, s0
	s_subb_u32 s27, s5, s1
	s_and_b32 s0, s4, 3
	s_mov_b32 s1, s9
	s_delay_alu instid0(SALU_CYCLE_1) | instskip(NEXT) | instid1(SALU_CYCLE_1)
	s_or_b64 s[0:1], s[8:9], s[0:1]
	s_cmp_eq_u64 s[0:1], 0
	s_cbranch_scc1 .LBB62_21
; %bb.1:
	v_cmp_lt_i64_e64 s0, s[26:27], 1
	s_delay_alu instid0(VALU_DEP_1)
	s_and_b32 vcc_lo, exec_lo, s0
	s_cbranch_vccnz .LBB62_20
; %bb.2:
	s_load_b32 s0, s[18:19], 0xd3c
	v_cmp_gt_u64_e64 s1, 0x10000, s[26:27]
	v_dual_mov_b32 v59, 0 :: v_dual_lshlrev_b32 v58, 4, v57
	s_mov_b64 s[34:35], 0
	s_mov_b64 s[36:37], s[24:25]
	s_waitcnt lgkmcnt(0)
	s_and_b32 s0, s0, 0xffff
	s_and_b32 s1, s1, exec_lo
	v_add_co_u32 v62, s3, v57, s0
	v_mad_u64_u32 v[60:61], null, s0, 48, v[58:59]
	s_cselect_b32 s29, s27, 0
	s_cselect_b32 s28, s26, 0x10000
	v_add_co_ci_u32_e64 v63, null, 0, 0, s3
	s_lshl_b32 s3, s0, 5
	s_lshl_b32 s1, s0, 1
	v_add_co_u32 v0, s3, s3, v58
	s_mul_i32 s2, s0, 3
	v_add_co_u32 v68, s1, s1, v57
	v_add_co_u32 v59, s2, s2, v57
	s_delay_alu instid0(VALU_DEP_1)
	v_add_co_ci_u32_e64 v64, null, 0, 0, s2
	v_add_co_ci_u32_e64 v65, null, 0, 0, s3
	v_lshlrev_b32_e32 v66, 4, v62
	v_or_b32_e32 v67, 8, v0
	v_or_b32_e32 v60, 8, v60
	v_add_co_ci_u32_e64 v69, null, 0, 0, s1
	s_lshl_b32 s33, s0, 2
	s_lshl_b32 s38, s0, 6
	s_branch .LBB62_4
.LBB62_3:                               ;   in Loop: Header=BB62_4 Depth=1
	s_or_b32 exec_lo, exec_lo, s0
	s_add_u32 s34, s34, s33
	s_addc_u32 s35, s35, 0
	s_delay_alu instid0(SALU_CYCLE_1) | instskip(SKIP_1) | instid1(VALU_DEP_1)
	v_cmp_lt_i64_e64 s0, s[34:35], s[26:27]
	v_cmp_gt_u64_e64 s1, 0x10000, s[34:35]
	s_and_b32 s0, s0, s1
	s_add_u32 s36, s36, s38
	s_addc_u32 s37, s37, 0
	s_and_b32 vcc_lo, exec_lo, s0
	s_cbranch_vccz .LBB62_20
.LBB62_4:                               ; =>This Inner Loop Header: Depth=1
	v_add_co_u32 v0, s0, v57, s34
	s_delay_alu instid0(VALU_DEP_1) | instskip(SKIP_2) | instid1(VALU_DEP_2)
	v_add_co_ci_u32_e64 v1, null, 0, s35, s0
	v_mov_b32_e32 v42, 0
	v_mov_b32_e32 v43, 0
	;; [unrolled: 1-line block ×3, first 2 shown]
	s_delay_alu instid0(VALU_DEP_4) | instskip(NEXT) | instid1(VALU_DEP_3)
	v_cmp_gt_u64_e64 s20, s[28:29], v[0:1]
	v_dual_mov_b32 v0, v42 :: v_dual_mov_b32 v1, v43
	v_mov_b32_e32 v3, v43
	s_delay_alu instid0(VALU_DEP_3)
	s_and_saveexec_b32 s0, s20
	s_cbranch_execz .LBB62_6
; %bb.5:                                ;   in Loop: Header=BB62_4 Depth=1
	v_add_co_u32 v0, s1, s36, v58
	s_delay_alu instid0(VALU_DEP_1)
	v_add_co_ci_u32_e64 v1, null, s37, 0, s1
	global_load_b128 v[0:3], v[0:1], off
.LBB62_6:                               ;   in Loop: Header=BB62_4 Depth=1
	s_or_b32 exec_lo, exec_lo, s0
	v_add_co_u32 v4, vcc_lo, v62, s34
	v_add_co_ci_u32_e32 v5, vcc_lo, s35, v63, vcc_lo
	v_dual_mov_b32 v40, v42 :: v_dual_mov_b32 v41, v43
	s_delay_alu instid0(VALU_DEP_2) | instskip(NEXT) | instid1(VALU_DEP_1)
	v_cmp_gt_u64_e64 s21, s[28:29], v[4:5]
	s_and_saveexec_b32 s0, s21
	s_cbranch_execz .LBB62_8
; %bb.7:                                ;   in Loop: Header=BB62_4 Depth=1
	v_add_co_u32 v4, s1, s36, v66
	s_delay_alu instid0(VALU_DEP_1)
	v_add_co_ci_u32_e64 v5, null, s37, 0, s1
	global_load_b128 v[40:43], v[4:5], off
.LBB62_8:                               ;   in Loop: Header=BB62_4 Depth=1
	s_or_b32 exec_lo, exec_lo, s0
	v_add_co_u32 v4, vcc_lo, v68, s34
	v_add_co_ci_u32_e32 v5, vcc_lo, s35, v69, vcc_lo
	v_mov_b32_e32 v46, 0
	v_mov_b32_e32 v47, 0
	s_delay_alu instid0(VALU_DEP_3) | instskip(NEXT) | instid1(VALU_DEP_2)
	v_cmp_gt_u64_e64 s22, s[28:29], v[4:5]
	v_dual_mov_b32 v52, v47 :: v_dual_mov_b32 v51, v46
	v_dual_mov_b32 v50, v47 :: v_dual_mov_b32 v49, v46
	s_delay_alu instid0(VALU_DEP_3)
	s_and_saveexec_b32 s0, s22
	s_cbranch_execz .LBB62_10
; %bb.9:                                ;   in Loop: Header=BB62_4 Depth=1
	v_add_co_u32 v4, vcc_lo, s36, v67
	v_add_co_ci_u32_e32 v5, vcc_lo, s37, v65, vcc_lo
	global_load_b128 v[49:52], v[4:5], off offset:-8
.LBB62_10:                              ;   in Loop: Header=BB62_4 Depth=1
	s_or_b32 exec_lo, exec_lo, s0
	v_add_co_u32 v4, vcc_lo, v59, s34
	v_add_co_ci_u32_e32 v5, vcc_lo, s35, v64, vcc_lo
	v_dual_mov_b32 v44, v46 :: v_dual_mov_b32 v45, v47
	s_delay_alu instid0(VALU_DEP_2) | instskip(NEXT) | instid1(VALU_DEP_1)
	v_cmp_gt_u64_e64 s23, s[28:29], v[4:5]
	s_and_saveexec_b32 s0, s23
	s_cbranch_execz .LBB62_12
; %bb.11:                               ;   in Loop: Header=BB62_4 Depth=1
	v_add_co_u32 v4, vcc_lo, s36, v60
	v_add_co_ci_u32_e32 v5, vcc_lo, s37, v61, vcc_lo
	global_load_b128 v[44:47], v[4:5], off offset:-8
.LBB62_12:                              ;   in Loop: Header=BB62_4 Depth=1
	s_or_b32 exec_lo, exec_lo, s0
	s_getpc_b64 s[40:41]
	s_add_u32 s40, s40, _ZNK2at6native4AsinIN3c107complexIdEEEclES4_@rel32@lo+4
	s_addc_u32 s41, s41, _ZNK2at6native4AsinIN3c107complexIdEEEclES4_@rel32@hi+12
	s_delay_alu instid0(SALU_CYCLE_1)
	s_swappc_b64 s[30:31], s[40:41]
	v_dual_mov_b32 v53, v0 :: v_dual_mov_b32 v54, v1
	v_dual_mov_b32 v55, v2 :: v_dual_mov_b32 v56, v3
	v_dual_mov_b32 v0, v40 :: v_dual_mov_b32 v1, v41
	v_dual_mov_b32 v2, v42 :: v_dual_mov_b32 v3, v43
	s_swappc_b64 s[30:31], s[40:41]
	s_delay_alu instid0(VALU_DEP_2) | instskip(NEXT) | instid1(VALU_DEP_2)
	v_dual_mov_b32 v40, v0 :: v_dual_mov_b32 v41, v1
	v_dual_mov_b32 v42, v2 :: v_dual_mov_b32 v43, v3
	;; [unrolled: 1-line block ×4, first 2 shown]
	s_swappc_b64 s[30:31], s[40:41]
	s_delay_alu instid0(VALU_DEP_2) | instskip(NEXT) | instid1(VALU_DEP_2)
	v_dual_mov_b32 v49, v0 :: v_dual_mov_b32 v50, v1
	v_dual_mov_b32 v51, v2 :: v_dual_mov_b32 v52, v3
	;; [unrolled: 1-line block ×4, first 2 shown]
	s_swappc_b64 s[30:31], s[40:41]
	s_and_saveexec_b32 s0, s20
	s_cbranch_execnz .LBB62_16
; %bb.13:                               ;   in Loop: Header=BB62_4 Depth=1
	s_or_b32 exec_lo, exec_lo, s0
	s_and_saveexec_b32 s0, s21
	s_cbranch_execnz .LBB62_17
.LBB62_14:                              ;   in Loop: Header=BB62_4 Depth=1
	s_or_b32 exec_lo, exec_lo, s0
	s_and_saveexec_b32 s0, s22
	s_cbranch_execnz .LBB62_18
.LBB62_15:                              ;   in Loop: Header=BB62_4 Depth=1
	s_or_b32 exec_lo, exec_lo, s0
	s_and_saveexec_b32 s0, s23
	s_cbranch_execz .LBB62_3
	s_branch .LBB62_19
.LBB62_16:                              ;   in Loop: Header=BB62_4 Depth=1
	v_add_co_u32 v4, s1, s36, v58
	s_delay_alu instid0(VALU_DEP_1)
	v_add_co_ci_u32_e64 v5, null, s37, 0, s1
	global_store_b128 v[4:5], v[53:56], off
	s_or_b32 exec_lo, exec_lo, s0
	s_and_saveexec_b32 s0, s21
	s_cbranch_execz .LBB62_14
.LBB62_17:                              ;   in Loop: Header=BB62_4 Depth=1
	v_add_co_u32 v4, s1, s36, v66
	s_delay_alu instid0(VALU_DEP_1)
	v_add_co_ci_u32_e64 v5, null, s37, 0, s1
	global_store_b128 v[4:5], v[40:43], off
	s_or_b32 exec_lo, exec_lo, s0
	s_and_saveexec_b32 s0, s22
	s_cbranch_execz .LBB62_15
.LBB62_18:                              ;   in Loop: Header=BB62_4 Depth=1
	v_add_co_u32 v4, vcc_lo, s36, v67
	v_add_co_ci_u32_e32 v5, vcc_lo, s37, v65, vcc_lo
	global_store_b128 v[4:5], v[49:52], off offset:-8
	s_or_b32 exec_lo, exec_lo, s0
	s_and_saveexec_b32 s0, s23
	s_cbranch_execz .LBB62_3
.LBB62_19:                              ;   in Loop: Header=BB62_4 Depth=1
	v_add_co_u32 v4, vcc_lo, s36, v60
	v_add_co_ci_u32_e32 v5, vcc_lo, s37, v61, vcc_lo
	global_store_b128 v[4:5], v[0:3], off offset:-8
	s_branch .LBB62_3
.LBB62_20:
	s_cbranch_execz .LBB62_22
	s_branch .LBB62_25
.LBB62_21:
.LBB62_22:
	v_dual_mov_b32 v1, 0 :: v_dual_lshlrev_b32 v0, 2, v57
	s_mov_b32 s20, 0
	s_mov_b32 s0, exec_lo
	s_delay_alu instid0(VALU_DEP_1)
	v_cmpx_gt_i64_e64 s[26:27], v[0:1]
	s_cbranch_execz .LBB62_25
; %bb.23:
	v_mov_b32_e32 v58, v1
	s_add_u32 s18, s18, 0xd30
	s_addc_u32 s19, s19, 0
.LBB62_24:                              ; =>This Inner Loop Header: Depth=1
	s_delay_alu instid0(VALU_DEP_1) | instskip(SKIP_3) | instid1(VALU_DEP_1)
	v_lshlrev_b64 v[0:1], 6, v[57:58]
	s_getpc_b64 s[22:23]
	s_add_u32 s22, s22, _ZNK2at6native4AsinIN3c107complexIdEEEclES4_@rel32@lo+4
	s_addc_u32 s23, s23, _ZNK2at6native4AsinIN3c107complexIdEEEclES4_@rel32@hi+12
	v_add_co_u32 v59, vcc_lo, s24, v0
	s_delay_alu instid0(VALU_DEP_2)
	v_add_co_ci_u32_e32 v60, vcc_lo, s25, v1, vcc_lo
	s_clause 0x3
	global_load_b128 v[0:3], v[59:60], off
	global_load_b128 v[40:43], v[59:60], off offset:16
	global_load_b128 v[44:47], v[59:60], off offset:48
	;; [unrolled: 1-line block ×3, first 2 shown]
	s_swappc_b64 s[30:31], s[22:23]
	v_dual_mov_b32 v53, v0 :: v_dual_mov_b32 v54, v1
	v_dual_mov_b32 v55, v2 :: v_dual_mov_b32 v56, v3
	;; [unrolled: 1-line block ×4, first 2 shown]
	s_swappc_b64 s[30:31], s[22:23]
	s_delay_alu instid0(VALU_DEP_2) | instskip(NEXT) | instid1(VALU_DEP_2)
	v_dual_mov_b32 v40, v0 :: v_dual_mov_b32 v41, v1
	v_dual_mov_b32 v42, v2 :: v_dual_mov_b32 v43, v3
	;; [unrolled: 1-line block ×4, first 2 shown]
	s_swappc_b64 s[30:31], s[22:23]
	s_delay_alu instid0(VALU_DEP_2) | instskip(NEXT) | instid1(VALU_DEP_2)
	v_dual_mov_b32 v49, v0 :: v_dual_mov_b32 v50, v1
	v_dual_mov_b32 v51, v2 :: v_dual_mov_b32 v52, v3
	;; [unrolled: 1-line block ×4, first 2 shown]
	s_swappc_b64 s[30:31], s[22:23]
	s_clause 0x3
	global_store_b128 v[59:60], v[53:56], off
	global_store_b128 v[59:60], v[40:43], off offset:16
	global_store_b128 v[59:60], v[49:52], off offset:32
	;; [unrolled: 1-line block ×3, first 2 shown]
	s_load_b32 s0, s[18:19], 0xc
	s_waitcnt lgkmcnt(0)
	s_and_b32 s0, s0, 0xffff
	s_delay_alu instid0(SALU_CYCLE_1) | instskip(SKIP_1) | instid1(VALU_DEP_1)
	v_add_co_u32 v57, vcc_lo, v57, s0
	v_add_co_ci_u32_e32 v58, vcc_lo, 0, v58, vcc_lo
	v_lshlrev_b64 v[0:1], 2, v[57:58]
	s_delay_alu instid0(VALU_DEP_1) | instskip(SKIP_1) | instid1(VALU_DEP_1)
	v_cmp_le_i64_e32 vcc_lo, s[26:27], v[0:1]
	v_cmp_lt_u64_e64 s0, 0xffff, v[0:1]
	s_or_b32 s0, vcc_lo, s0
	s_delay_alu instid0(SALU_CYCLE_1) | instskip(NEXT) | instid1(SALU_CYCLE_1)
	s_and_b32 s0, exec_lo, s0
	s_or_b32 s20, s0, s20
	s_delay_alu instid0(SALU_CYCLE_1)
	s_and_not1_b32 exec_lo, exec_lo, s20
	s_cbranch_execnz .LBB62_24
.LBB62_25:
	s_endpgm
	.section	.rodata,"a",@progbits
	.p2align	6, 0x0
	.amdhsa_kernel _ZN2at6native12_GLOBAL__N_125multi_tensor_apply_kernelINS1_18TensorListMetadataILi1EEENS1_14UnaryOpFunctorIN3c107complexIdEELi1ELi1ELi0EEEJNS0_4AsinIS8_EEEEEvT_T0_DpT1_
		.amdhsa_group_segment_fixed_size 0
		.amdhsa_private_segment_fixed_size 12
		.amdhsa_kernarg_size 3632
		.amdhsa_user_sgpr_count 15
		.amdhsa_user_sgpr_dispatch_ptr 0
		.amdhsa_user_sgpr_queue_ptr 0
		.amdhsa_user_sgpr_kernarg_segment_ptr 1
		.amdhsa_user_sgpr_dispatch_id 0
		.amdhsa_user_sgpr_private_segment_size 0
		.amdhsa_wavefront_size32 1
		.amdhsa_uses_dynamic_stack 0
		.amdhsa_enable_private_segment 1
		.amdhsa_system_sgpr_workgroup_id_x 1
		.amdhsa_system_sgpr_workgroup_id_y 0
		.amdhsa_system_sgpr_workgroup_id_z 0
		.amdhsa_system_sgpr_workgroup_info 0
		.amdhsa_system_vgpr_workitem_id 0
		.amdhsa_next_free_vgpr 70
		.amdhsa_next_free_sgpr 42
		.amdhsa_reserve_vcc 1
		.amdhsa_float_round_mode_32 0
		.amdhsa_float_round_mode_16_64 0
		.amdhsa_float_denorm_mode_32 3
		.amdhsa_float_denorm_mode_16_64 3
		.amdhsa_dx10_clamp 1
		.amdhsa_ieee_mode 1
		.amdhsa_fp16_overflow 0
		.amdhsa_workgroup_processor_mode 1
		.amdhsa_memory_ordered 1
		.amdhsa_forward_progress 0
		.amdhsa_shared_vgpr_count 0
		.amdhsa_exception_fp_ieee_invalid_op 0
		.amdhsa_exception_fp_denorm_src 0
		.amdhsa_exception_fp_ieee_div_zero 0
		.amdhsa_exception_fp_ieee_overflow 0
		.amdhsa_exception_fp_ieee_underflow 0
		.amdhsa_exception_fp_ieee_inexact 0
		.amdhsa_exception_int_div_zero 0
	.end_amdhsa_kernel
	.section	.text._ZN2at6native12_GLOBAL__N_125multi_tensor_apply_kernelINS1_18TensorListMetadataILi1EEENS1_14UnaryOpFunctorIN3c107complexIdEELi1ELi1ELi0EEEJNS0_4AsinIS8_EEEEEvT_T0_DpT1_,"axG",@progbits,_ZN2at6native12_GLOBAL__N_125multi_tensor_apply_kernelINS1_18TensorListMetadataILi1EEENS1_14UnaryOpFunctorIN3c107complexIdEELi1ELi1ELi0EEEJNS0_4AsinIS8_EEEEEvT_T0_DpT1_,comdat
.Lfunc_end62:
	.size	_ZN2at6native12_GLOBAL__N_125multi_tensor_apply_kernelINS1_18TensorListMetadataILi1EEENS1_14UnaryOpFunctorIN3c107complexIdEELi1ELi1ELi0EEEJNS0_4AsinIS8_EEEEEvT_T0_DpT1_, .Lfunc_end62-_ZN2at6native12_GLOBAL__N_125multi_tensor_apply_kernelINS1_18TensorListMetadataILi1EEENS1_14UnaryOpFunctorIN3c107complexIdEELi1ELi1ELi0EEEJNS0_4AsinIS8_EEEEEvT_T0_DpT1_
                                        ; -- End function
	.section	.AMDGPU.csdata,"",@progbits
; Kernel info:
; codeLenInByte = 1452
; NumSgprs: 44
; NumVgprs: 70
; ScratchSize: 12
; MemoryBound: 1
; FloatMode: 240
; IeeeMode: 1
; LDSByteSize: 0 bytes/workgroup (compile time only)
; SGPRBlocks: 5
; VGPRBlocks: 8
; NumSGPRsForWavesPerEU: 44
; NumVGPRsForWavesPerEU: 70
; Occupancy: 16
; WaveLimiterHint : 0
; COMPUTE_PGM_RSRC2:SCRATCH_EN: 1
; COMPUTE_PGM_RSRC2:USER_SGPR: 15
; COMPUTE_PGM_RSRC2:TRAP_HANDLER: 0
; COMPUTE_PGM_RSRC2:TGID_X_EN: 1
; COMPUTE_PGM_RSRC2:TGID_Y_EN: 0
; COMPUTE_PGM_RSRC2:TGID_Z_EN: 0
; COMPUTE_PGM_RSRC2:TIDIG_COMP_CNT: 0
	.section	.text._ZN2at6native12_GLOBAL__N_125multi_tensor_apply_kernelINS1_18TensorListMetadataILi1EEENS1_14UnaryOpFunctorIN3c107complexIfEELi1ELi1ELi0EEEJNS0_4AsinIS8_EEEEEvT_T0_DpT1_,"axG",@progbits,_ZN2at6native12_GLOBAL__N_125multi_tensor_apply_kernelINS1_18TensorListMetadataILi1EEENS1_14UnaryOpFunctorIN3c107complexIfEELi1ELi1ELi0EEEJNS0_4AsinIS8_EEEEEvT_T0_DpT1_,comdat
	.globl	_ZN2at6native12_GLOBAL__N_125multi_tensor_apply_kernelINS1_18TensorListMetadataILi1EEENS1_14UnaryOpFunctorIN3c107complexIfEELi1ELi1ELi0EEEJNS0_4AsinIS8_EEEEEvT_T0_DpT1_ ; -- Begin function _ZN2at6native12_GLOBAL__N_125multi_tensor_apply_kernelINS1_18TensorListMetadataILi1EEENS1_14UnaryOpFunctorIN3c107complexIfEELi1ELi1ELi0EEEJNS0_4AsinIS8_EEEEEvT_T0_DpT1_
	.p2align	8
	.type	_ZN2at6native12_GLOBAL__N_125multi_tensor_apply_kernelINS1_18TensorListMetadataILi1EEENS1_14UnaryOpFunctorIN3c107complexIfEELi1ELi1ELi0EEEJNS0_4AsinIS8_EEEEEvT_T0_DpT1_,@function
_ZN2at6native12_GLOBAL__N_125multi_tensor_apply_kernelINS1_18TensorListMetadataILi1EEENS1_14UnaryOpFunctorIN3c107complexIfEELi1ELi1ELi0EEEJNS0_4AsinIS8_EEEEEvT_T0_DpT1_: ; @_ZN2at6native12_GLOBAL__N_125multi_tensor_apply_kernelINS1_18TensorListMetadataILi1EEENS1_14UnaryOpFunctorIN3c107complexIfEELi1ELi1ELi0EEEJNS0_4AsinIS8_EEEEEvT_T0_DpT1_
; %bb.0:
	v_mov_b32_e32 v1, s15
	s_add_u32 s2, s0, s15
	s_mul_hi_u32 s3, s15, 3
	s_mul_i32 s15, s15, 3
	s_addc_u32 s4, s1, 0
	global_load_u8 v1, v1, s[0:1] offset:1760
	s_add_u32 s2, s2, s15
	s_addc_u32 s3, s4, s3
	s_mov_b32 s13, 0
	s_load_b32 s2, s[2:3], 0x820
	s_waitcnt vmcnt(0)
	v_readfirstlane_b32 s5, v1
	s_delay_alu instid0(VALU_DEP_1)
	s_lshl_b32 s3, s5, 3
	s_clause 0x1
	s_load_b64 s[4:5], s[0:1], s3 offset:0x0
	s_load_b64 s[6:7], s[0:1], s3 offset:0x370
	s_waitcnt lgkmcnt(0)
	s_ashr_i32 s3, s2, 31
	s_delay_alu instid0(SALU_CYCLE_1) | instskip(NEXT) | instid1(SALU_CYCLE_1)
	s_lshl_b64 s[8:9], s[2:3], 19
	s_add_u32 s8, s4, s8
	s_addc_u32 s9, s5, s9
	s_lshl_b64 s[2:3], s[2:3], 16
	s_and_b32 s12, s8, 31
	s_sub_u32 s10, s6, s2
	s_subb_u32 s11, s7, s3
	s_and_b32 s2, s6, 3
	s_mov_b32 s3, s13
	s_delay_alu instid0(SALU_CYCLE_1) | instskip(NEXT) | instid1(SALU_CYCLE_1)
	s_or_b64 s[2:3], s[12:13], s[2:3]
	s_cmp_eq_u64 s[2:3], 0
	s_cbranch_scc1 .LBB63_413
; %bb.1:
	v_cmp_lt_i64_e64 s2, s[10:11], 1
	s_delay_alu instid0(VALU_DEP_1)
	s_and_b32 vcc_lo, exec_lo, s2
	s_cbranch_vccnz .LBB63_412
; %bb.2:
	s_load_b32 s2, s[0:1], 0xd3c
	v_cmp_gt_u64_e64 s3, 0x10000, s[10:11]
	v_dual_mov_b32 v2, 0 :: v_dual_lshlrev_b32 v1, 3, v0
	v_mov_b32_e32 v22, 0x4016cbe4
	s_mov_b64 s[12:13], src_private_base
	s_mov_b32 s14, 4
	s_mov_b32 s12, 0
	;; [unrolled: 1-line block ×3, first 2 shown]
	s_mov_b64 s[18:19], 0
	s_mov_b32 s24, 0x3e9b6dac
	s_mov_b32 s25, 0x3d1c21a7
	;; [unrolled: 1-line block ×3, first 2 shown]
	s_mov_b64 s[20:21], s[8:9]
	v_mov_b32_e32 v21, 0xd800000
	s_waitcnt lgkmcnt(0)
	s_and_b32 s2, s2, 0xffff
	s_and_b32 s3, s3, exec_lo
	v_mad_u64_u32 v[3:4], null, s2, 24, v[1:2]
	s_cselect_b32 s17, s11, 0
	s_cselect_b32 s16, s10, 0x10000
	s_lshl_b32 s3, s2, 1
	s_mul_i32 s4, s2, 3
	s_lshl_b32 s22, s2, 2
	s_lshl_b32 s23, s2, 5
	v_add_co_u32 v13, s5, v0, s2
	s_lshl_b32 s2, s2, 4
	v_add_co_u32 v2, s4, s4, v0
	v_add_co_u32 v5, s2, s2, v1
	s_delay_alu instid0(VALU_DEP_1)
	v_add_co_ci_u32_e64 v17, null, 0, 0, s2
	v_add_co_u32 v19, s2, s3, v0
	v_add_co_ci_u32_e64 v14, null, 0, 0, s5
	v_add_co_ci_u32_e64 v15, null, 0, 0, s4
	v_lshlrev_b32_e32 v16, 3, v13
	v_or_b32_e32 v3, 4, v3
	v_or_b32_e32 v18, 4, v5
	v_add_co_ci_u32_e64 v20, null, 0, 0, s2
	s_branch .LBB63_4
.LBB63_3:                               ;   in Loop: Header=BB63_4 Depth=1
	s_or_b32 exec_lo, exec_lo, s2
	s_add_u32 s18, s18, s22
	s_addc_u32 s19, s19, 0
	s_delay_alu instid0(SALU_CYCLE_1) | instskip(SKIP_1) | instid1(VALU_DEP_1)
	v_cmp_ge_i64_e64 s2, s[18:19], s[10:11]
	v_cmp_lt_u64_e64 s3, 0xffff, s[18:19]
	s_or_b32 s2, s2, s3
	s_add_u32 s20, s20, s23
	s_addc_u32 s21, s21, 0
	s_and_b32 vcc_lo, exec_lo, s2
	s_cbranch_vccnz .LBB63_412
.LBB63_4:                               ; =>This Inner Loop Header: Depth=1
	v_add_co_u32 v5, s2, v0, s18
	s_delay_alu instid0(VALU_DEP_1) | instskip(SKIP_1) | instid1(VALU_DEP_2)
	v_add_co_ci_u32_e64 v6, null, 0, s19, s2
	v_dual_mov_b32 v8, 0 :: v_dual_mov_b32 v7, 0
	v_cmp_gt_u64_e64 s2, s[16:17], v[5:6]
	s_delay_alu instid0(VALU_DEP_1)
	s_and_saveexec_b32 s3, s2
	s_cbranch_execz .LBB63_6
; %bb.5:                                ;   in Loop: Header=BB63_4 Depth=1
	v_add_co_u32 v5, s4, s20, v1
	s_delay_alu instid0(VALU_DEP_1)
	v_add_co_ci_u32_e64 v6, null, s21, 0, s4
	global_load_b64 v[7:8], v[5:6], off
.LBB63_6:                               ;   in Loop: Header=BB63_4 Depth=1
	s_or_b32 exec_lo, exec_lo, s3
	v_add_co_u32 v9, vcc_lo, v13, s18
	v_add_co_ci_u32_e32 v10, vcc_lo, s19, v14, vcc_lo
	v_mov_b32_e32 v6, 0
	s_delay_alu instid0(VALU_DEP_2) | instskip(SKIP_1) | instid1(VALU_DEP_2)
	v_cmp_gt_u64_e64 s3, s[16:17], v[9:10]
	v_dual_mov_b32 v9, 0 :: v_dual_mov_b32 v10, 0
	s_and_saveexec_b32 s4, s3
	s_cbranch_execz .LBB63_8
; %bb.7:                                ;   in Loop: Header=BB63_4 Depth=1
	v_add_co_u32 v9, s5, s20, v16
	s_delay_alu instid0(VALU_DEP_1)
	v_add_co_ci_u32_e64 v10, null, s21, 0, s5
	global_load_b64 v[9:10], v[9:10], off
.LBB63_8:                               ;   in Loop: Header=BB63_4 Depth=1
	s_or_b32 exec_lo, exec_lo, s4
	v_add_co_u32 v11, vcc_lo, v19, s18
	v_add_co_ci_u32_e32 v12, vcc_lo, s19, v20, vcc_lo
	v_mov_b32_e32 v5, 0
	s_delay_alu instid0(VALU_DEP_2) | instskip(NEXT) | instid1(VALU_DEP_1)
	v_cmp_gt_u64_e64 s4, s[16:17], v[11:12]
	s_and_saveexec_b32 s5, s4
	s_cbranch_execz .LBB63_10
; %bb.9:                                ;   in Loop: Header=BB63_4 Depth=1
	v_add_co_u32 v5, vcc_lo, s20, v18
	v_add_co_ci_u32_e32 v6, vcc_lo, s21, v17, vcc_lo
	global_load_b64 v[5:6], v[5:6], off offset:-4
.LBB63_10:                              ;   in Loop: Header=BB63_4 Depth=1
	s_or_b32 exec_lo, exec_lo, s5
	v_add_co_u32 v11, vcc_lo, v2, s18
	v_add_co_ci_u32_e32 v12, vcc_lo, s19, v15, vcc_lo
	s_delay_alu instid0(VALU_DEP_1) | instskip(SKIP_1) | instid1(VALU_DEP_2)
	v_cmp_gt_u64_e64 s5, s[16:17], v[11:12]
	v_dual_mov_b32 v12, 0 :: v_dual_mov_b32 v11, 0
	s_and_saveexec_b32 s6, s5
	s_cbranch_execz .LBB63_12
; %bb.11:                               ;   in Loop: Header=BB63_4 Depth=1
	v_add_co_u32 v11, vcc_lo, s20, v3
	v_add_co_ci_u32_e32 v12, vcc_lo, s21, v4, vcc_lo
	global_load_b64 v[11:12], v[11:12], off offset:-4
.LBB63_12:                              ;   in Loop: Header=BB63_4 Depth=1
	s_or_b32 exec_lo, exec_lo, s6
	s_waitcnt vmcnt(0)
	v_cmp_o_f32_e32 vcc_lo, v8, v8
	v_cmp_o_f32_e64 s6, v7, v7
	s_delay_alu instid0(VALU_DEP_1) | instskip(NEXT) | instid1(SALU_CYCLE_1)
	s_and_b32 s6, vcc_lo, s6
	s_and_saveexec_b32 s7, s6
	s_delay_alu instid0(SALU_CYCLE_1)
	s_xor_b32 s27, exec_lo, s7
	s_cbranch_execz .LBB63_96
; %bb.13:                               ;   in Loop: Header=BB63_4 Depth=1
	v_max_f32_e64 v25, |v7|, |v7|
	v_max_f32_e64 v23, |v8|, |v8|
	s_mov_b32 s6, exec_lo
	s_waitcnt lgkmcnt(0)
	s_delay_alu instid0(VALU_DEP_1) | instskip(NEXT) | instid1(VALU_DEP_1)
	v_max_f32_e32 v24, v23, v25
	v_cmpx_nlt_f32_e32 0x4b000000, v24
	s_xor_b32 s28, exec_lo, s6
	s_cbranch_execz .LBB63_73
; %bb.14:                               ;   in Loop: Header=BB63_4 Depth=1
	v_cmp_neq_f32_e32 vcc_lo, 0, v8
	v_cmp_neq_f32_e64 s6, 0, v7
	s_delay_alu instid0(VALU_DEP_1) | instskip(NEXT) | instid1(SALU_CYCLE_1)
	s_or_b32 s6, vcc_lo, s6
	s_and_saveexec_b32 s29, s6
	s_cbranch_execz .LBB63_72
; %bb.15:                               ;   in Loop: Header=BB63_4 Depth=1
	v_dual_mov_b32 v25, s13 :: v_dual_mov_b32 v24, s12
	v_cmp_ngt_f32_e64 s6, 0x395db3d7, |v8|
	v_cmp_ngt_f32_e64 s7, 0x395db3d7, |v7|
	flat_store_b32 v[24:25], v21 dlc
	s_waitcnt_vscnt null, 0x0
	flat_load_b32 v24, v[24:25] glc dlc
	s_waitcnt vmcnt(0)
	s_or_b32 s6, s6, s7
	s_waitcnt lgkmcnt(0)
	v_dual_add_f32 v26, 1.0, v24 :: v_dual_mov_b32 v25, s15
	v_mov_b32_e32 v24, s14
	flat_store_b32 v[24:25], v26 dlc
	s_waitcnt_vscnt null, 0x0
	flat_load_b32 v24, v[24:25] glc dlc
	s_waitcnt vmcnt(0)
	s_and_saveexec_b32 s30, s6
	s_cbranch_execz .LBB63_71
; %bb.16:                               ;   in Loop: Header=BB63_4 Depth=1
	v_add_f32_e64 v25, |v7|, 1.0
	s_waitcnt lgkmcnt(0)
	v_add_f32_e64 v24, |v7|, -1.0
	s_mov_b32 s6, exec_lo
	s_delay_alu instid0(VALU_DEP_2) | instskip(NEXT) | instid1(VALU_DEP_2)
	v_max_f32_e64 v30, v23, |v25|
	v_max_f32_e64 v23, v23, |v24|
	s_delay_alu instid0(VALU_DEP_2) | instskip(NEXT) | instid1(VALU_DEP_2)
	v_cvt_f64_f32_e32 v[26:27], v30
	v_cvt_f64_f32_e32 v[28:29], v23
	v_cmp_neq_f32_e32 vcc_lo, 0x7f800000, v30
	s_delay_alu instid0(VALU_DEP_3) | instskip(NEXT) | instid1(VALU_DEP_3)
	v_frexp_exp_i32_f64_e32 v26, v[26:27]
	v_frexp_exp_i32_f64_e32 v27, v[28:29]
	s_delay_alu instid0(VALU_DEP_2) | instskip(NEXT) | instid1(VALU_DEP_2)
	v_sub_nc_u32_e32 v28, 0, v26
	v_sub_nc_u32_e32 v29, 0, v27
	s_delay_alu instid0(VALU_DEP_2) | instskip(NEXT) | instid1(VALU_DEP_2)
	v_ldexp_f32 v31, |v25|, v28
	v_ldexp_f32 v32, |v24|, v29
	;; [unrolled: 1-line block ×4, first 2 shown]
	s_delay_alu instid0(VALU_DEP_3) | instskip(NEXT) | instid1(VALU_DEP_1)
	v_dual_mul_f32 v31, v31, v31 :: v_dual_mul_f32 v32, v32, v32
	v_dual_fmac_f32 v31, v28, v28 :: v_dual_fmac_f32 v32, v29, v29
	s_delay_alu instid0(VALU_DEP_1) | instskip(NEXT) | instid1(VALU_DEP_1)
	v_sqrt_f32_e32 v28, v31
	v_sqrt_f32_e32 v29, v32
	s_waitcnt_depctr 0xfff
	v_ldexp_f32 v26, v28, v26
	v_ldexp_f32 v27, v29, v27
                                        ; implicit-def: $vgpr29
	s_delay_alu instid0(VALU_DEP_2) | instskip(SKIP_1) | instid1(VALU_DEP_3)
	v_cndmask_b32_e32 v28, 0x7f800000, v26, vcc_lo
	v_cmp_neq_f32_e32 vcc_lo, 0x7f800000, v23
	v_cndmask_b32_e32 v26, 0x7f800000, v27, vcc_lo
	s_delay_alu instid0(VALU_DEP_1) | instskip(NEXT) | instid1(VALU_DEP_1)
	v_add_f32_e32 v23, v28, v26
	v_mul_f32_e32 v23, 0.5, v23
	s_delay_alu instid0(VALU_DEP_1) | instskip(SKIP_1) | instid1(VALU_DEP_1)
	v_cmp_ngt_f32_e32 vcc_lo, 1.0, v23
	v_cndmask_b32_e32 v23, 1.0, v23, vcc_lo
	v_cmpx_ngt_f32_e32 0x41200000, v23
	s_xor_b32 s7, exec_lo, s6
	s_cbranch_execz .LBB63_18
; %bb.17:                               ;   in Loop: Header=BB63_4 Depth=1
	v_fma_f32 v27, v23, v23, -1.0
	s_delay_alu instid0(VALU_DEP_1) | instskip(SKIP_1) | instid1(VALU_DEP_2)
	v_mul_f32_e32 v29, 0x4f800000, v27
	v_cmp_gt_f32_e32 vcc_lo, 0xf800000, v27
	v_cndmask_b32_e32 v27, v27, v29, vcc_lo
	s_delay_alu instid0(VALU_DEP_1) | instskip(SKIP_3) | instid1(VALU_DEP_2)
	v_sqrt_f32_e32 v29, v27
	s_waitcnt_depctr 0xfff
	v_add_nc_u32_e32 v30, -1, v29
	v_add_nc_u32_e32 v31, 1, v29
	v_fma_f32 v32, -v30, v29, v27
	s_delay_alu instid0(VALU_DEP_2) | instskip(NEXT) | instid1(VALU_DEP_2)
	v_fma_f32 v33, -v31, v29, v27
	v_cmp_ge_f32_e64 s6, 0, v32
	s_delay_alu instid0(VALU_DEP_1) | instskip(NEXT) | instid1(VALU_DEP_3)
	v_cndmask_b32_e64 v29, v29, v30, s6
	v_cmp_lt_f32_e64 s6, 0, v33
	s_delay_alu instid0(VALU_DEP_1) | instskip(NEXT) | instid1(VALU_DEP_1)
	v_cndmask_b32_e64 v29, v29, v31, s6
	v_mul_f32_e32 v30, 0x37800000, v29
	s_delay_alu instid0(VALU_DEP_1) | instskip(SKIP_1) | instid1(VALU_DEP_2)
	v_cndmask_b32_e32 v29, v29, v30, vcc_lo
	v_cmp_class_f32_e64 vcc_lo, v27, 0x260
	v_cndmask_b32_e32 v27, v29, v27, vcc_lo
	s_delay_alu instid0(VALU_DEP_1) | instskip(NEXT) | instid1(VALU_DEP_1)
	v_add_f32_e32 v27, v23, v27
	v_cmp_gt_f32_e32 vcc_lo, 0x800000, v27
	s_delay_alu instid0(VALU_DEP_4) | instskip(NEXT) | instid1(VALU_DEP_1)
	v_cndmask_b32_e64 v29, 1.0, 0x4f800000, vcc_lo
	v_mul_f32_e32 v27, v27, v29
	s_delay_alu instid0(VALU_DEP_1) | instskip(SKIP_3) | instid1(VALU_DEP_2)
	v_log_f32_e32 v27, v27
	s_waitcnt_depctr 0xfff
	v_mul_f32_e32 v29, 0x3f317217, v27
	v_cmp_gt_f32_e64 s6, 0x7f800000, |v27|
	v_fma_f32 v30, 0x3f317217, v27, -v29
	s_delay_alu instid0(VALU_DEP_1) | instskip(NEXT) | instid1(VALU_DEP_1)
	v_fmac_f32_e32 v30, 0x3377d1cf, v27
	v_add_f32_e32 v29, v29, v30
	s_delay_alu instid0(VALU_DEP_1) | instskip(SKIP_1) | instid1(VALU_DEP_1)
	v_cndmask_b32_e64 v27, v27, v29, s6
	v_cndmask_b32_e64 v29, 0, 0x41b17218, vcc_lo
	v_sub_f32_e32 v29, v27, v29
.LBB63_18:                              ;   in Loop: Header=BB63_4 Depth=1
	s_or_saveexec_b32 s7, s7
	v_and_b32_e32 v27, 0x7fffffff, v8
	s_xor_b32 exec_lo, exec_lo, s7
	s_cbranch_execz .LBB63_40
; %bb.19:                               ;   in Loop: Header=BB63_4 Depth=1
	v_cmp_neq_f32_e64 s6, |v7|, 1.0
	v_cmp_ngt_f32_e64 s31, 0x25000000, |v8|
                                        ; implicit-def: $vgpr29
	s_delay_alu instid0(VALU_DEP_1) | instskip(NEXT) | instid1(SALU_CYCLE_1)
	s_or_b32 s6, s31, s6
	s_and_saveexec_b32 s31, s6
	s_delay_alu instid0(SALU_CYCLE_1)
	s_xor_b32 s31, exec_lo, s31
	s_cbranch_execz .LBB63_37
; %bb.20:                               ;   in Loop: Header=BB63_4 Depth=1
	v_mul_f32_e64 v29, 0x34000000, |v24|
	s_delay_alu instid0(VALU_DEP_1) | instskip(NEXT) | instid1(VALU_DEP_1)
	v_cmp_le_f32_e64 s6, v29, |v8|
                                        ; implicit-def: $vgpr29
	s_and_saveexec_b32 s33, s6
	s_delay_alu instid0(SALU_CYCLE_1)
	s_xor_b32 s33, exec_lo, s33
	s_cbranch_execz .LBB63_30
; %bb.21:                               ;   in Loop: Header=BB63_4 Depth=1
	v_mov_b32_e32 v29, v27
	s_mov_b32 s6, exec_lo
	v_cmpx_neq_f32_e32 0, v25
	s_cbranch_execz .LBB63_23
; %bb.22:                               ;   in Loop: Header=BB63_4 Depth=1
	v_mul_f32_e32 v29, v8, v8
	v_add_f32_e32 v30, v25, v28
	s_delay_alu instid0(VALU_DEP_1) | instskip(NEXT) | instid1(VALU_DEP_1)
	v_div_scale_f32 v31, null, v30, v30, v29
	v_rcp_f32_e32 v32, v31
	s_waitcnt_depctr 0xfff
	v_fma_f32 v33, -v31, v32, 1.0
	s_delay_alu instid0(VALU_DEP_1) | instskip(SKIP_1) | instid1(VALU_DEP_1)
	v_fmac_f32_e32 v32, v33, v32
	v_div_scale_f32 v33, vcc_lo, v29, v30, v29
	v_mul_f32_e32 v34, v33, v32
	s_delay_alu instid0(VALU_DEP_1) | instskip(NEXT) | instid1(VALU_DEP_1)
	v_fma_f32 v35, -v31, v34, v33
	v_fmac_f32_e32 v34, v35, v32
	s_delay_alu instid0(VALU_DEP_1) | instskip(NEXT) | instid1(VALU_DEP_1)
	v_fma_f32 v31, -v31, v34, v33
	v_div_fmas_f32 v31, v31, v32, v34
	s_delay_alu instid0(VALU_DEP_1)
	v_div_fixup_f32 v29, v31, v30, v29
.LBB63_23:                              ;   in Loop: Header=BB63_4 Depth=1
	s_or_b32 exec_lo, exec_lo, s6
	v_sub_f32_e64 v31, 1.0, |v7|
	s_mov_b32 s6, exec_lo
                                        ; implicit-def: $vgpr30
	s_delay_alu instid0(VALU_DEP_1)
	v_cmpx_ngt_f32_e32 0, v31
	s_xor_b32 s6, exec_lo, s6
	s_cbranch_execz .LBB63_27
; %bb.24:                               ;   in Loop: Header=BB63_4 Depth=1
	v_mov_b32_e32 v30, v27
	s_mov_b32 s34, exec_lo
	v_cmpx_neq_f32_e32 0, v31
	s_cbranch_execz .LBB63_26
; %bb.25:                               ;   in Loop: Header=BB63_4 Depth=1
	v_dual_mul_f32 v30, v8, v8 :: v_dual_add_f32 v31, v31, v26
	s_delay_alu instid0(VALU_DEP_1) | instskip(NEXT) | instid1(VALU_DEP_1)
	v_div_scale_f32 v32, null, v31, v31, v30
	v_rcp_f32_e32 v33, v32
	s_waitcnt_depctr 0xfff
	v_fma_f32 v34, -v32, v33, 1.0
	s_delay_alu instid0(VALU_DEP_1) | instskip(SKIP_1) | instid1(VALU_DEP_1)
	v_fmac_f32_e32 v33, v34, v33
	v_div_scale_f32 v34, vcc_lo, v30, v31, v30
	v_mul_f32_e32 v35, v34, v33
	s_delay_alu instid0(VALU_DEP_1) | instskip(NEXT) | instid1(VALU_DEP_1)
	v_fma_f32 v36, -v32, v35, v34
	v_fmac_f32_e32 v35, v36, v33
	s_delay_alu instid0(VALU_DEP_1) | instskip(NEXT) | instid1(VALU_DEP_1)
	v_fma_f32 v32, -v32, v35, v34
	v_div_fmas_f32 v32, v32, v33, v35
	s_delay_alu instid0(VALU_DEP_1)
	v_div_fixup_f32 v30, v32, v31, v30
.LBB63_26:                              ;   in Loop: Header=BB63_4 Depth=1
	s_or_b32 exec_lo, exec_lo, s34
                                        ; implicit-def: $vgpr31
.LBB63_27:                              ;   in Loop: Header=BB63_4 Depth=1
	s_and_not1_saveexec_b32 s6, s6
; %bb.28:                               ;   in Loop: Header=BB63_4 Depth=1
	v_sub_f32_e32 v30, v26, v31
; %bb.29:                               ;   in Loop: Header=BB63_4 Depth=1
	s_or_b32 exec_lo, exec_lo, s6
	s_delay_alu instid0(VALU_DEP_1) | instskip(NEXT) | instid1(VALU_DEP_1)
	v_dual_mul_f32 v30, 0.5, v30 :: v_dual_add_f32 v31, 1.0, v23
	v_fmac_f32_e32 v30, 0.5, v29
	s_delay_alu instid0(VALU_DEP_1) | instskip(NEXT) | instid1(VALU_DEP_1)
	v_mul_f32_e32 v29, v31, v30
	v_mul_f32_e32 v31, 0x4f800000, v29
	v_cmp_gt_f32_e32 vcc_lo, 0xf800000, v29
	s_delay_alu instid0(VALU_DEP_2) | instskip(NEXT) | instid1(VALU_DEP_1)
	v_cndmask_b32_e32 v29, v29, v31, vcc_lo
	v_sqrt_f32_e32 v31, v29
	s_waitcnt_depctr 0xfff
	v_add_nc_u32_e32 v32, -1, v31
	v_add_nc_u32_e32 v33, 1, v31
	s_delay_alu instid0(VALU_DEP_2) | instskip(NEXT) | instid1(VALU_DEP_2)
	v_fma_f32 v34, -v32, v31, v29
	v_fma_f32 v35, -v33, v31, v29
	s_delay_alu instid0(VALU_DEP_2) | instskip(NEXT) | instid1(VALU_DEP_1)
	v_cmp_ge_f32_e64 s6, 0, v34
	v_cndmask_b32_e64 v31, v31, v32, s6
	s_delay_alu instid0(VALU_DEP_3) | instskip(NEXT) | instid1(VALU_DEP_1)
	v_cmp_lt_f32_e64 s6, 0, v35
	v_cndmask_b32_e64 v31, v31, v33, s6
	s_delay_alu instid0(VALU_DEP_1) | instskip(NEXT) | instid1(VALU_DEP_1)
	v_mul_f32_e32 v32, 0x37800000, v31
	v_cndmask_b32_e32 v31, v31, v32, vcc_lo
	v_cmp_class_f32_e64 vcc_lo, v29, 0x260
	s_delay_alu instid0(VALU_DEP_2) | instskip(NEXT) | instid1(VALU_DEP_1)
	v_cndmask_b32_e32 v29, v31, v29, vcc_lo
	v_add_f32_e32 v31, v30, v29
	s_delay_alu instid0(VALU_DEP_1) | instskip(NEXT) | instid1(VALU_DEP_1)
	v_add_f32_e32 v32, 1.0, v31
	v_cvt_f64_f32_e32 v[29:30], v32
	s_delay_alu instid0(VALU_DEP_1) | instskip(SKIP_1) | instid1(VALU_DEP_1)
	v_frexp_exp_i32_f64_e32 v29, v[29:30]
	v_frexp_mant_f32_e32 v30, v32
	v_cmp_gt_f32_e32 vcc_lo, 0x3f2aaaab, v30
	v_add_f32_e32 v30, -1.0, v32
	s_delay_alu instid0(VALU_DEP_1) | instskip(NEXT) | instid1(VALU_DEP_1)
	v_sub_f32_e32 v34, v30, v32
	v_add_f32_e32 v34, 1.0, v34
	v_subrev_co_ci_u32_e32 v29, vcc_lo, 0, v29, vcc_lo
	s_delay_alu instid0(VALU_DEP_1) | instskip(SKIP_1) | instid1(VALU_DEP_2)
	v_sub_nc_u32_e32 v33, 0, v29
	v_cvt_f32_i32_e32 v29, v29
	v_ldexp_f32 v32, v32, v33
	s_delay_alu instid0(VALU_DEP_1) | instskip(NEXT) | instid1(VALU_DEP_1)
	v_dual_sub_f32 v30, v31, v30 :: v_dual_add_f32 v35, 1.0, v32
	v_add_f32_e32 v30, v30, v34
	s_delay_alu instid0(VALU_DEP_2) | instskip(NEXT) | instid1(VALU_DEP_2)
	v_add_f32_e32 v34, -1.0, v35
	v_ldexp_f32 v30, v30, v33
	v_add_f32_e32 v33, -1.0, v32
	v_cmp_eq_f32_e32 vcc_lo, 0x7f800000, v31
	s_delay_alu instid0(VALU_DEP_4) | instskip(NEXT) | instid1(VALU_DEP_3)
	v_sub_f32_e32 v34, v32, v34
	v_add_f32_e32 v36, 1.0, v33
	s_delay_alu instid0(VALU_DEP_2) | instskip(NEXT) | instid1(VALU_DEP_2)
	v_add_f32_e32 v34, v30, v34
	v_sub_f32_e32 v32, v32, v36
	s_delay_alu instid0(VALU_DEP_1) | instskip(NEXT) | instid1(VALU_DEP_1)
	v_add_f32_e32 v30, v30, v32
	v_add_f32_e32 v37, v33, v30
	s_delay_alu instid0(VALU_DEP_1) | instskip(NEXT) | instid1(VALU_DEP_1)
	v_dual_add_f32 v36, v35, v34 :: v_dual_sub_f32 v33, v37, v33
	v_rcp_f32_e32 v32, v36
	v_sub_f32_e32 v35, v36, v35
	s_delay_alu instid0(VALU_DEP_1) | instskip(SKIP_2) | instid1(VALU_DEP_1)
	v_sub_f32_e32 v34, v34, v35
	s_waitcnt_depctr 0xfff
	v_mul_f32_e32 v38, v37, v32
	v_mul_f32_e32 v39, v36, v38
	s_delay_alu instid0(VALU_DEP_1) | instskip(NEXT) | instid1(VALU_DEP_1)
	v_fma_f32 v35, v38, v36, -v39
	v_fmac_f32_e32 v35, v38, v34
	v_sub_f32_e32 v30, v30, v33
	s_delay_alu instid0(VALU_DEP_2) | instskip(NEXT) | instid1(VALU_DEP_1)
	v_add_f32_e32 v40, v39, v35
	v_sub_f32_e32 v41, v37, v40
	v_sub_f32_e32 v33, v40, v39
	s_delay_alu instid0(VALU_DEP_2) | instskip(NEXT) | instid1(VALU_DEP_2)
	v_sub_f32_e32 v37, v37, v41
	v_sub_f32_e32 v33, v33, v35
	s_delay_alu instid0(VALU_DEP_2) | instskip(NEXT) | instid1(VALU_DEP_1)
	v_sub_f32_e32 v37, v37, v40
	v_add_f32_e32 v30, v30, v37
	s_delay_alu instid0(VALU_DEP_1) | instskip(NEXT) | instid1(VALU_DEP_1)
	v_add_f32_e32 v30, v33, v30
	v_add_f32_e32 v33, v41, v30
	s_delay_alu instid0(VALU_DEP_1) | instskip(NEXT) | instid1(VALU_DEP_1)
	v_mul_f32_e32 v35, v32, v33
	v_dual_sub_f32 v40, v41, v33 :: v_dual_mul_f32 v37, v36, v35
	s_delay_alu instid0(VALU_DEP_1) | instskip(NEXT) | instid1(VALU_DEP_2)
	v_add_f32_e32 v30, v30, v40
	v_fma_f32 v36, v35, v36, -v37
	s_delay_alu instid0(VALU_DEP_1) | instskip(NEXT) | instid1(VALU_DEP_1)
	v_fmac_f32_e32 v36, v35, v34
	v_add_f32_e32 v34, v37, v36
	s_delay_alu instid0(VALU_DEP_1) | instskip(NEXT) | instid1(VALU_DEP_1)
	v_sub_f32_e32 v39, v33, v34
	v_sub_f32_e32 v33, v33, v39
	s_delay_alu instid0(VALU_DEP_1) | instskip(NEXT) | instid1(VALU_DEP_1)
	v_sub_f32_e32 v33, v33, v34
	v_add_f32_e32 v30, v30, v33
	v_add_f32_e32 v33, v38, v35
	v_sub_f32_e32 v37, v34, v37
	s_delay_alu instid0(VALU_DEP_1) | instskip(NEXT) | instid1(VALU_DEP_1)
	v_sub_f32_e32 v34, v37, v36
	v_add_f32_e32 v30, v34, v30
	s_delay_alu instid0(VALU_DEP_4) | instskip(NEXT) | instid1(VALU_DEP_2)
	v_sub_f32_e32 v34, v33, v38
	v_add_f32_e32 v30, v39, v30
	s_delay_alu instid0(VALU_DEP_2) | instskip(NEXT) | instid1(VALU_DEP_2)
	v_sub_f32_e32 v34, v35, v34
	v_mul_f32_e32 v30, v32, v30
	s_delay_alu instid0(VALU_DEP_1) | instskip(NEXT) | instid1(VALU_DEP_1)
	v_add_f32_e32 v30, v34, v30
	v_add_f32_e32 v32, v33, v30
	s_delay_alu instid0(VALU_DEP_1) | instskip(NEXT) | instid1(VALU_DEP_1)
	v_mul_f32_e32 v34, v32, v32
	v_fmaak_f32 v35, s24, v34, 0x3ecc95a3
	v_mul_f32_e32 v36, v32, v34
	s_delay_alu instid0(VALU_DEP_2) | instskip(SKIP_2) | instid1(VALU_DEP_3)
	v_fmaak_f32 v34, v34, v35, 0x3f2aaada
	v_ldexp_f32 v35, v32, 1
	v_sub_f32_e32 v32, v32, v33
	v_mul_f32_e32 v34, v36, v34
	v_mul_f32_e32 v36, 0x3f317218, v29
	s_delay_alu instid0(VALU_DEP_2) | instskip(NEXT) | instid1(VALU_DEP_1)
	v_dual_sub_f32 v30, v30, v32 :: v_dual_add_f32 v33, v35, v34
	v_ldexp_f32 v30, v30, 1
	s_delay_alu instid0(VALU_DEP_2) | instskip(NEXT) | instid1(VALU_DEP_4)
	v_sub_f32_e32 v32, v33, v35
	v_fma_f32 v35, 0x3f317218, v29, -v36
	s_delay_alu instid0(VALU_DEP_1) | instskip(NEXT) | instid1(VALU_DEP_1)
	v_dual_sub_f32 v32, v34, v32 :: v_dual_fmac_f32 v35, 0xb102e308, v29
	v_dual_add_f32 v29, v30, v32 :: v_dual_add_f32 v30, v36, v35
	s_delay_alu instid0(VALU_DEP_1) | instskip(NEXT) | instid1(VALU_DEP_2)
	v_add_f32_e32 v32, v33, v29
	v_sub_f32_e32 v36, v30, v36
	s_delay_alu instid0(VALU_DEP_2) | instskip(NEXT) | instid1(VALU_DEP_2)
	v_dual_add_f32 v34, v30, v32 :: v_dual_sub_f32 v33, v32, v33
	v_sub_f32_e32 v35, v35, v36
	s_delay_alu instid0(VALU_DEP_2) | instskip(NEXT) | instid1(VALU_DEP_3)
	v_sub_f32_e32 v37, v34, v30
	v_sub_f32_e32 v29, v29, v33
	s_delay_alu instid0(VALU_DEP_2) | instskip(SKIP_1) | instid1(VALU_DEP_2)
	v_sub_f32_e32 v38, v34, v37
	v_sub_f32_e32 v32, v32, v37
	v_dual_add_f32 v33, v35, v29 :: v_dual_sub_f32 v30, v30, v38
	s_delay_alu instid0(VALU_DEP_1) | instskip(NEXT) | instid1(VALU_DEP_2)
	v_add_f32_e32 v30, v32, v30
	v_sub_f32_e32 v32, v33, v35
	s_delay_alu instid0(VALU_DEP_2) | instskip(NEXT) | instid1(VALU_DEP_2)
	v_add_f32_e32 v30, v33, v30
	v_sub_f32_e32 v33, v33, v32
	s_delay_alu instid0(VALU_DEP_2) | instskip(NEXT) | instid1(VALU_DEP_1)
	v_dual_sub_f32 v29, v29, v32 :: v_dual_add_f32 v36, v34, v30
	v_dual_sub_f32 v33, v35, v33 :: v_dual_sub_f32 v32, v36, v34
	s_delay_alu instid0(VALU_DEP_1) | instskip(NEXT) | instid1(VALU_DEP_1)
	v_dual_add_f32 v29, v29, v33 :: v_dual_sub_f32 v30, v30, v32
	v_add_f32_e32 v29, v29, v30
	s_delay_alu instid0(VALU_DEP_1) | instskip(NEXT) | instid1(VALU_DEP_1)
	v_add_f32_e32 v29, v36, v29
	v_cndmask_b32_e32 v29, v29, v31, vcc_lo
	v_cmp_ngt_f32_e32 vcc_lo, -1.0, v31
	s_delay_alu instid0(VALU_DEP_2) | instskip(SKIP_1) | instid1(VALU_DEP_2)
	v_cndmask_b32_e32 v29, 0x7fc00000, v29, vcc_lo
	v_cmp_neq_f32_e32 vcc_lo, -1.0, v31
	v_cndmask_b32_e32 v29, 0xff800000, v29, vcc_lo
	v_cmp_gt_f32_e64 vcc_lo, 0x33800000, |v31|
	s_delay_alu instid0(VALU_DEP_2)
	v_cndmask_b32_e32 v29, v29, v31, vcc_lo
.LBB63_30:                              ;   in Loop: Header=BB63_4 Depth=1
	s_and_not1_saveexec_b32 s33, s33
	s_cbranch_execz .LBB63_36
; %bb.31:                               ;   in Loop: Header=BB63_4 Depth=1
	s_mov_b32 s34, exec_lo
                                        ; implicit-def: $vgpr29
	v_cmpx_nlt_f32_e64 |v7|, 1.0
	s_xor_b32 s34, exec_lo, s34
	s_cbranch_execz .LBB63_33
; %bb.32:                               ;   in Loop: Header=BB63_4 Depth=1
	v_mul_f32_e32 v29, v24, v25
	s_delay_alu instid0(VALU_DEP_1) | instskip(SKIP_1) | instid1(VALU_DEP_2)
	v_mul_f32_e32 v30, 0x4f800000, v29
	v_cmp_gt_f32_e32 vcc_lo, 0xf800000, v29
	v_cndmask_b32_e32 v29, v29, v30, vcc_lo
	s_delay_alu instid0(VALU_DEP_1) | instskip(SKIP_3) | instid1(VALU_DEP_2)
	v_sqrt_f32_e32 v30, v29
	s_waitcnt_depctr 0xfff
	v_add_nc_u32_e32 v31, -1, v30
	v_add_nc_u32_e32 v32, 1, v30
	v_fma_f32 v33, -v31, v30, v29
	s_delay_alu instid0(VALU_DEP_2) | instskip(NEXT) | instid1(VALU_DEP_2)
	v_fma_f32 v34, -v32, v30, v29
	v_cmp_ge_f32_e64 s6, 0, v33
	s_delay_alu instid0(VALU_DEP_1) | instskip(NEXT) | instid1(VALU_DEP_3)
	v_cndmask_b32_e64 v30, v30, v31, s6
	v_cmp_lt_f32_e64 s6, 0, v34
	s_delay_alu instid0(VALU_DEP_1) | instskip(NEXT) | instid1(VALU_DEP_1)
	v_cndmask_b32_e64 v30, v30, v32, s6
	v_mul_f32_e32 v31, 0x37800000, v30
	s_delay_alu instid0(VALU_DEP_1) | instskip(SKIP_1) | instid1(VALU_DEP_2)
	v_cndmask_b32_e32 v30, v30, v31, vcc_lo
	v_cmp_class_f32_e64 vcc_lo, v29, 0x260
	v_cndmask_b32_e32 v29, v30, v29, vcc_lo
	s_delay_alu instid0(VALU_DEP_1) | instskip(NEXT) | instid1(VALU_DEP_1)
	v_add_f32_e32 v31, v24, v29
	v_add_f32_e32 v32, 1.0, v31
	s_delay_alu instid0(VALU_DEP_1) | instskip(NEXT) | instid1(VALU_DEP_1)
	v_cvt_f64_f32_e32 v[29:30], v32
	v_frexp_exp_i32_f64_e32 v29, v[29:30]
	v_frexp_mant_f32_e32 v30, v32
	s_delay_alu instid0(VALU_DEP_1) | instskip(SKIP_1) | instid1(VALU_DEP_1)
	v_cmp_gt_f32_e32 vcc_lo, 0x3f2aaaab, v30
	v_add_f32_e32 v30, -1.0, v32
	v_sub_f32_e32 v34, v30, v32
	s_delay_alu instid0(VALU_DEP_1) | instskip(SKIP_2) | instid1(VALU_DEP_2)
	v_add_f32_e32 v34, 1.0, v34
	v_subrev_co_ci_u32_e32 v29, vcc_lo, 0, v29, vcc_lo
	v_cmp_eq_f32_e32 vcc_lo, 0x7f800000, v31
	v_sub_nc_u32_e32 v33, 0, v29
	v_cvt_f32_i32_e32 v29, v29
	s_delay_alu instid0(VALU_DEP_2) | instskip(NEXT) | instid1(VALU_DEP_1)
	v_ldexp_f32 v32, v32, v33
	v_dual_sub_f32 v30, v31, v30 :: v_dual_add_f32 v35, 1.0, v32
	s_delay_alu instid0(VALU_DEP_1) | instskip(NEXT) | instid1(VALU_DEP_1)
	v_add_f32_e32 v30, v30, v34
	v_ldexp_f32 v30, v30, v33
	s_delay_alu instid0(VALU_DEP_3) | instskip(NEXT) | instid1(VALU_DEP_1)
	v_dual_add_f32 v33, -1.0, v32 :: v_dual_add_f32 v34, -1.0, v35
	v_add_f32_e32 v36, 1.0, v33
	s_delay_alu instid0(VALU_DEP_2) | instskip(NEXT) | instid1(VALU_DEP_2)
	v_sub_f32_e32 v34, v32, v34
	v_sub_f32_e32 v32, v32, v36
	s_delay_alu instid0(VALU_DEP_2) | instskip(NEXT) | instid1(VALU_DEP_2)
	v_add_f32_e32 v34, v30, v34
	v_add_f32_e32 v30, v30, v32
	s_delay_alu instid0(VALU_DEP_1) | instskip(NEXT) | instid1(VALU_DEP_1)
	v_add_f32_e32 v37, v33, v30
	v_dual_sub_f32 v33, v37, v33 :: v_dual_add_f32 v36, v35, v34
	s_delay_alu instid0(VALU_DEP_1) | instskip(SKIP_1) | instid1(VALU_DEP_1)
	v_rcp_f32_e32 v32, v36
	v_sub_f32_e32 v35, v36, v35
	v_sub_f32_e32 v34, v34, v35
	s_waitcnt_depctr 0xfff
	v_mul_f32_e32 v38, v37, v32
	s_delay_alu instid0(VALU_DEP_1) | instskip(NEXT) | instid1(VALU_DEP_1)
	v_mul_f32_e32 v39, v36, v38
	v_fma_f32 v35, v38, v36, -v39
	s_delay_alu instid0(VALU_DEP_1) | instskip(SKIP_1) | instid1(VALU_DEP_2)
	v_fmac_f32_e32 v35, v38, v34
	v_sub_f32_e32 v30, v30, v33
	v_add_f32_e32 v40, v39, v35
	s_delay_alu instid0(VALU_DEP_1) | instskip(SKIP_1) | instid1(VALU_DEP_2)
	v_sub_f32_e32 v41, v37, v40
	v_sub_f32_e32 v33, v40, v39
	;; [unrolled: 1-line block ×3, first 2 shown]
	s_delay_alu instid0(VALU_DEP_2) | instskip(NEXT) | instid1(VALU_DEP_2)
	v_sub_f32_e32 v33, v33, v35
	v_sub_f32_e32 v37, v37, v40
	s_delay_alu instid0(VALU_DEP_1) | instskip(NEXT) | instid1(VALU_DEP_1)
	v_add_f32_e32 v30, v30, v37
	v_add_f32_e32 v30, v33, v30
	s_delay_alu instid0(VALU_DEP_1) | instskip(NEXT) | instid1(VALU_DEP_1)
	v_add_f32_e32 v33, v41, v30
	v_mul_f32_e32 v35, v32, v33
	s_delay_alu instid0(VALU_DEP_1) | instskip(NEXT) | instid1(VALU_DEP_1)
	v_dual_sub_f32 v40, v41, v33 :: v_dual_mul_f32 v37, v36, v35
	v_fma_f32 v36, v35, v36, -v37
	s_delay_alu instid0(VALU_DEP_1) | instskip(NEXT) | instid1(VALU_DEP_1)
	v_fmac_f32_e32 v36, v35, v34
	v_add_f32_e32 v34, v37, v36
	s_delay_alu instid0(VALU_DEP_1) | instskip(SKIP_1) | instid1(VALU_DEP_1)
	v_sub_f32_e32 v37, v34, v37
	v_dual_sub_f32 v39, v33, v34 :: v_dual_add_f32 v30, v30, v40
	v_sub_f32_e32 v33, v33, v39
	s_delay_alu instid0(VALU_DEP_1) | instskip(NEXT) | instid1(VALU_DEP_4)
	v_sub_f32_e32 v33, v33, v34
	v_sub_f32_e32 v34, v37, v36
	s_delay_alu instid0(VALU_DEP_2) | instskip(SKIP_1) | instid1(VALU_DEP_2)
	v_add_f32_e32 v30, v30, v33
	v_add_f32_e32 v33, v38, v35
	;; [unrolled: 1-line block ×3, first 2 shown]
	s_delay_alu instid0(VALU_DEP_2) | instskip(NEXT) | instid1(VALU_DEP_2)
	v_sub_f32_e32 v34, v33, v38
	v_add_f32_e32 v30, v39, v30
	s_delay_alu instid0(VALU_DEP_2) | instskip(NEXT) | instid1(VALU_DEP_2)
	v_sub_f32_e32 v34, v35, v34
	v_mul_f32_e32 v30, v32, v30
	s_delay_alu instid0(VALU_DEP_1) | instskip(NEXT) | instid1(VALU_DEP_1)
	v_add_f32_e32 v30, v34, v30
	v_add_f32_e32 v32, v33, v30
	s_delay_alu instid0(VALU_DEP_1) | instskip(NEXT) | instid1(VALU_DEP_1)
	v_mul_f32_e32 v34, v32, v32
	v_fmaak_f32 v35, s24, v34, 0x3ecc95a3
	v_mul_f32_e32 v36, v32, v34
	s_delay_alu instid0(VALU_DEP_2) | instskip(SKIP_2) | instid1(VALU_DEP_3)
	v_fmaak_f32 v34, v34, v35, 0x3f2aaada
	v_ldexp_f32 v35, v32, 1
	v_sub_f32_e32 v32, v32, v33
	v_mul_f32_e32 v34, v36, v34
	v_mul_f32_e32 v36, 0x3f317218, v29
	s_delay_alu instid0(VALU_DEP_2) | instskip(NEXT) | instid1(VALU_DEP_1)
	v_dual_sub_f32 v30, v30, v32 :: v_dual_add_f32 v33, v35, v34
	v_ldexp_f32 v30, v30, 1
	s_delay_alu instid0(VALU_DEP_2) | instskip(NEXT) | instid1(VALU_DEP_4)
	v_sub_f32_e32 v32, v33, v35
	v_fma_f32 v35, 0x3f317218, v29, -v36
	s_delay_alu instid0(VALU_DEP_1) | instskip(NEXT) | instid1(VALU_DEP_1)
	v_dual_sub_f32 v32, v34, v32 :: v_dual_fmac_f32 v35, 0xb102e308, v29
	v_dual_add_f32 v29, v30, v32 :: v_dual_add_f32 v30, v36, v35
	s_delay_alu instid0(VALU_DEP_1) | instskip(NEXT) | instid1(VALU_DEP_2)
	v_add_f32_e32 v32, v33, v29
	v_sub_f32_e32 v36, v30, v36
	s_delay_alu instid0(VALU_DEP_2) | instskip(NEXT) | instid1(VALU_DEP_2)
	v_dual_add_f32 v34, v30, v32 :: v_dual_sub_f32 v33, v32, v33
	v_sub_f32_e32 v35, v35, v36
	s_delay_alu instid0(VALU_DEP_2) | instskip(NEXT) | instid1(VALU_DEP_3)
	v_sub_f32_e32 v37, v34, v30
	v_sub_f32_e32 v29, v29, v33
	s_delay_alu instid0(VALU_DEP_2) | instskip(SKIP_1) | instid1(VALU_DEP_2)
	v_sub_f32_e32 v38, v34, v37
	v_sub_f32_e32 v32, v32, v37
	v_dual_add_f32 v33, v35, v29 :: v_dual_sub_f32 v30, v30, v38
	s_delay_alu instid0(VALU_DEP_1) | instskip(NEXT) | instid1(VALU_DEP_2)
	v_add_f32_e32 v30, v32, v30
	v_sub_f32_e32 v32, v33, v35
	s_delay_alu instid0(VALU_DEP_2) | instskip(NEXT) | instid1(VALU_DEP_2)
	v_add_f32_e32 v30, v33, v30
	v_sub_f32_e32 v33, v33, v32
	s_delay_alu instid0(VALU_DEP_2) | instskip(NEXT) | instid1(VALU_DEP_1)
	v_dual_sub_f32 v29, v29, v32 :: v_dual_add_f32 v36, v34, v30
	v_dual_sub_f32 v33, v35, v33 :: v_dual_sub_f32 v32, v36, v34
	s_delay_alu instid0(VALU_DEP_1) | instskip(NEXT) | instid1(VALU_DEP_1)
	v_dual_add_f32 v29, v29, v33 :: v_dual_sub_f32 v30, v30, v32
	v_add_f32_e32 v29, v29, v30
	s_delay_alu instid0(VALU_DEP_1) | instskip(NEXT) | instid1(VALU_DEP_1)
	v_add_f32_e32 v29, v36, v29
	v_cndmask_b32_e32 v29, v29, v31, vcc_lo
	v_cmp_ngt_f32_e32 vcc_lo, -1.0, v31
	s_delay_alu instid0(VALU_DEP_2) | instskip(SKIP_1) | instid1(VALU_DEP_2)
	v_cndmask_b32_e32 v29, 0x7fc00000, v29, vcc_lo
	v_cmp_neq_f32_e32 vcc_lo, -1.0, v31
	v_cndmask_b32_e32 v29, 0xff800000, v29, vcc_lo
	v_cmp_gt_f32_e64 vcc_lo, 0x33800000, |v31|
	s_delay_alu instid0(VALU_DEP_2)
	v_cndmask_b32_e32 v29, v29, v31, vcc_lo
.LBB63_33:                              ;   in Loop: Header=BB63_4 Depth=1
	s_and_not1_saveexec_b32 s34, s34
	s_cbranch_execz .LBB63_35
; %bb.34:                               ;   in Loop: Header=BB63_4 Depth=1
	v_sub_f32_e64 v29, 1.0, |v7|
	s_delay_alu instid0(VALU_DEP_1) | instskip(NEXT) | instid1(VALU_DEP_1)
	v_mul_f32_e32 v29, v29, v25
	v_mul_f32_e32 v30, 0x4f800000, v29
	v_cmp_gt_f32_e32 vcc_lo, 0xf800000, v29
	s_delay_alu instid0(VALU_DEP_2) | instskip(NEXT) | instid1(VALU_DEP_1)
	v_cndmask_b32_e32 v29, v29, v30, vcc_lo
	v_sqrt_f32_e32 v30, v29
	s_waitcnt_depctr 0xfff
	v_add_nc_u32_e32 v31, -1, v30
	v_add_nc_u32_e32 v32, 1, v30
	s_delay_alu instid0(VALU_DEP_2) | instskip(NEXT) | instid1(VALU_DEP_2)
	v_fma_f32 v33, -v31, v30, v29
	v_fma_f32 v34, -v32, v30, v29
	s_delay_alu instid0(VALU_DEP_2) | instskip(NEXT) | instid1(VALU_DEP_1)
	v_cmp_ge_f32_e64 s6, 0, v33
	v_cndmask_b32_e64 v30, v30, v31, s6
	s_delay_alu instid0(VALU_DEP_3) | instskip(NEXT) | instid1(VALU_DEP_1)
	v_cmp_lt_f32_e64 s6, 0, v34
	v_cndmask_b32_e64 v30, v30, v32, s6
	s_delay_alu instid0(VALU_DEP_1) | instskip(NEXT) | instid1(VALU_DEP_1)
	v_mul_f32_e32 v31, 0x37800000, v30
	v_cndmask_b32_e32 v30, v30, v31, vcc_lo
	v_cmp_class_f32_e64 vcc_lo, v29, 0x260
	v_and_b32_e32 v31, 0x7fffffff, v8
	s_delay_alu instid0(VALU_DEP_3) | instskip(NEXT) | instid1(VALU_DEP_1)
	v_cndmask_b32_e32 v29, v30, v29, vcc_lo
	v_div_scale_f32 v30, null, v29, v29, v31
	v_div_scale_f32 v31, vcc_lo, v31, v29, v31
	s_delay_alu instid0(VALU_DEP_2) | instskip(SKIP_2) | instid1(VALU_DEP_1)
	v_rcp_f32_e32 v32, v30
	s_waitcnt_depctr 0xfff
	v_fma_f32 v33, -v30, v32, 1.0
	v_fmac_f32_e32 v32, v33, v32
	s_delay_alu instid0(VALU_DEP_1) | instskip(NEXT) | instid1(VALU_DEP_1)
	v_mul_f32_e32 v33, v31, v32
	v_fma_f32 v34, -v30, v33, v31
	s_delay_alu instid0(VALU_DEP_1) | instskip(NEXT) | instid1(VALU_DEP_1)
	v_fmac_f32_e32 v33, v34, v32
	v_fma_f32 v30, -v30, v33, v31
	s_delay_alu instid0(VALU_DEP_1) | instskip(NEXT) | instid1(VALU_DEP_1)
	v_div_fmas_f32 v30, v30, v32, v33
	v_div_fixup_f32 v29, v30, v29, |v8|
.LBB63_35:                              ;   in Loop: Header=BB63_4 Depth=1
	s_or_b32 exec_lo, exec_lo, s34
.LBB63_36:                              ;   in Loop: Header=BB63_4 Depth=1
	s_delay_alu instid0(SALU_CYCLE_1)
	s_or_b32 exec_lo, exec_lo, s33
.LBB63_37:                              ;   in Loop: Header=BB63_4 Depth=1
	s_and_not1_saveexec_b32 s31, s31
	s_cbranch_execz .LBB63_39
; %bb.38:                               ;   in Loop: Header=BB63_4 Depth=1
	v_mul_f32_e64 v29, 0x4f800000, |v8|
	v_cmp_gt_f32_e64 vcc_lo, 0xf800000, |v8|
	s_delay_alu instid0(VALU_DEP_1) | instskip(NEXT) | instid1(VALU_DEP_1)
	v_cndmask_b32_e64 v29, |v8|, v29, vcc_lo
	v_sqrt_f32_e32 v30, v29
	s_waitcnt_depctr 0xfff
	v_add_nc_u32_e32 v31, -1, v30
	v_add_nc_u32_e32 v32, 1, v30
	s_delay_alu instid0(VALU_DEP_2) | instskip(NEXT) | instid1(VALU_DEP_2)
	v_fma_f32 v33, -v31, v30, v29
	v_fma_f32 v34, -v32, v30, v29
	s_delay_alu instid0(VALU_DEP_2) | instskip(NEXT) | instid1(VALU_DEP_1)
	v_cmp_ge_f32_e64 s6, 0, v33
	v_cndmask_b32_e64 v30, v30, v31, s6
	s_delay_alu instid0(VALU_DEP_3) | instskip(NEXT) | instid1(VALU_DEP_1)
	v_cmp_lt_f32_e64 s6, 0, v34
	v_cndmask_b32_e64 v30, v30, v32, s6
	s_delay_alu instid0(VALU_DEP_1) | instskip(NEXT) | instid1(VALU_DEP_1)
	v_mul_f32_e32 v31, 0x37800000, v30
	v_cndmask_b32_e32 v30, v30, v31, vcc_lo
	v_cmp_class_f32_e64 vcc_lo, v29, 0x260
	s_delay_alu instid0(VALU_DEP_2)
	v_cndmask_b32_e32 v29, v30, v29, vcc_lo
.LBB63_39:                              ;   in Loop: Header=BB63_4 Depth=1
	s_or_b32 exec_lo, exec_lo, s31
.LBB63_40:                              ;   in Loop: Header=BB63_4 Depth=1
	s_delay_alu instid0(SALU_CYCLE_1) | instskip(NEXT) | instid1(SALU_CYCLE_1)
	s_or_b32 exec_lo, exec_lo, s7
	s_mov_b32 s31, exec_lo
                                        ; implicit-def: $sgpr6
                                        ; implicit-def: $vgpr30
                                        ; implicit-def: $vgpr32
                                        ; implicit-def: $vgpr31
	v_cmpx_ngt_f32_e64 0x21000000, |v7|
	s_xor_b32 s31, exec_lo, s31
	s_cbranch_execz .LBB63_64
; %bb.41:                               ;   in Loop: Header=BB63_4 Depth=1
	v_and_b32_e32 v31, 0x7fffffff, v7
	s_mov_b32 s6, 0
	s_mov_b32 s33, exec_lo
	s_delay_alu instid0(VALU_DEP_1) | instskip(NEXT) | instid1(VALU_DEP_1)
	v_div_scale_f32 v30, null, v23, v23, v31
	v_rcp_f32_e32 v32, v30
	s_waitcnt_depctr 0xfff
	v_fma_f32 v33, -v30, v32, 1.0
	s_delay_alu instid0(VALU_DEP_1) | instskip(SKIP_1) | instid1(VALU_DEP_1)
	v_fmac_f32_e32 v32, v33, v32
	v_div_scale_f32 v33, vcc_lo, v31, v23, v31
	v_mul_f32_e32 v34, v33, v32
	s_delay_alu instid0(VALU_DEP_1) | instskip(NEXT) | instid1(VALU_DEP_1)
	v_fma_f32 v35, -v30, v34, v33
	v_fmac_f32_e32 v34, v35, v32
	s_delay_alu instid0(VALU_DEP_1) | instskip(NEXT) | instid1(VALU_DEP_1)
	v_fma_f32 v30, -v30, v34, v33
	v_div_fmas_f32 v30, v30, v32, v34
                                        ; implicit-def: $vgpr32
	s_delay_alu instid0(VALU_DEP_1) | instskip(NEXT) | instid1(VALU_DEP_1)
	v_div_fixup_f32 v30, v30, v23, |v7|
	v_cmpx_lt_f32_e32 0x3f244674, v30
	s_cbranch_execz .LBB63_63
; %bb.42:                               ;   in Loop: Header=BB63_4 Depth=1
	v_cmp_neq_f32_e64 s6, |v7|, 1.0
	v_cmp_ngt_f32_e64 s7, 0x30800000, |v8|
                                        ; implicit-def: $sgpr34
                                        ; implicit-def: $vgpr32
	s_delay_alu instid0(VALU_DEP_1) | instskip(NEXT) | instid1(SALU_CYCLE_1)
	s_or_b32 s6, s7, s6
	s_and_saveexec_b32 s7, s6
	s_delay_alu instid0(SALU_CYCLE_1)
	s_xor_b32 s7, exec_lo, s7
	s_cbranch_execz .LBB63_60
; %bb.43:                               ;   in Loop: Header=BB63_4 Depth=1
	v_mul_f32_e64 v32, 0x34000000, |v24|
                                        ; implicit-def: $sgpr34
	s_delay_alu instid0(VALU_DEP_1) | instskip(NEXT) | instid1(VALU_DEP_1)
	v_cmp_le_f32_e64 s6, v32, |v8|
                                        ; implicit-def: $vgpr32
	s_and_saveexec_b32 s35, s6
	s_delay_alu instid0(SALU_CYCLE_1)
	s_xor_b32 s35, exec_lo, s35
	s_cbranch_execz .LBB63_53
; %bb.44:                               ;   in Loop: Header=BB63_4 Depth=1
	v_mov_b32_e32 v32, v27
	s_mov_b32 s6, exec_lo
	v_cmpx_neq_f32_e32 0, v25
	s_cbranch_execz .LBB63_46
; %bb.45:                               ;   in Loop: Header=BB63_4 Depth=1
	v_mul_f32_e32 v32, v8, v8
	v_add_f32_e32 v25, v25, v28
	s_delay_alu instid0(VALU_DEP_1) | instskip(NEXT) | instid1(VALU_DEP_1)
	v_div_scale_f32 v28, null, v25, v25, v32
	v_rcp_f32_e32 v33, v28
	s_waitcnt_depctr 0xfff
	v_fma_f32 v34, -v28, v33, 1.0
	s_delay_alu instid0(VALU_DEP_1) | instskip(SKIP_1) | instid1(VALU_DEP_1)
	v_fmac_f32_e32 v33, v34, v33
	v_div_scale_f32 v34, vcc_lo, v32, v25, v32
	v_mul_f32_e32 v35, v34, v33
	s_delay_alu instid0(VALU_DEP_1) | instskip(NEXT) | instid1(VALU_DEP_1)
	v_fma_f32 v36, -v28, v35, v34
	v_fmac_f32_e32 v35, v36, v33
	s_delay_alu instid0(VALU_DEP_1) | instskip(NEXT) | instid1(VALU_DEP_1)
	v_fma_f32 v28, -v28, v35, v34
	v_div_fmas_f32 v28, v28, v33, v35
	s_delay_alu instid0(VALU_DEP_1)
	v_div_fixup_f32 v32, v28, v25, v32
.LBB63_46:                              ;   in Loop: Header=BB63_4 Depth=1
	s_or_b32 exec_lo, exec_lo, s6
	s_delay_alu instid0(SALU_CYCLE_1)
	s_mov_b32 s6, exec_lo
	v_cmpx_ngt_f32_e32 0, v24
	s_xor_b32 s6, exec_lo, s6
	s_cbranch_execz .LBB63_50
; %bb.47:                               ;   in Loop: Header=BB63_4 Depth=1
	s_mov_b32 s34, exec_lo
	v_cmpx_neq_f32_e32 0, v24
	s_cbranch_execz .LBB63_49
; %bb.48:                               ;   in Loop: Header=BB63_4 Depth=1
	v_mul_f32_e32 v25, v8, v8
	v_add_f32_e32 v24, v24, v26
	s_delay_alu instid0(VALU_DEP_1) | instskip(NEXT) | instid1(VALU_DEP_1)
	v_div_scale_f32 v26, null, v24, v24, v25
	v_rcp_f32_e32 v27, v26
	s_waitcnt_depctr 0xfff
	v_fma_f32 v28, -v26, v27, 1.0
	s_delay_alu instid0(VALU_DEP_1) | instskip(SKIP_1) | instid1(VALU_DEP_1)
	v_fmac_f32_e32 v27, v28, v27
	v_div_scale_f32 v28, vcc_lo, v25, v24, v25
	v_mul_f32_e32 v33, v28, v27
	s_delay_alu instid0(VALU_DEP_1) | instskip(NEXT) | instid1(VALU_DEP_1)
	v_fma_f32 v34, -v26, v33, v28
	v_fmac_f32_e32 v33, v34, v27
	s_delay_alu instid0(VALU_DEP_1) | instskip(NEXT) | instid1(VALU_DEP_1)
	v_fma_f32 v26, -v26, v33, v28
	v_div_fmas_f32 v26, v26, v27, v33
	s_delay_alu instid0(VALU_DEP_1)
	v_div_fixup_f32 v27, v26, v24, v25
.LBB63_49:                              ;   in Loop: Header=BB63_4 Depth=1
	s_or_b32 exec_lo, exec_lo, s34
                                        ; implicit-def: $vgpr26
                                        ; implicit-def: $vgpr24
.LBB63_50:                              ;   in Loop: Header=BB63_4 Depth=1
	s_and_not1_saveexec_b32 s6, s6
; %bb.51:                               ;   in Loop: Header=BB63_4 Depth=1
	v_sub_f32_e32 v27, v26, v24
; %bb.52:                               ;   in Loop: Header=BB63_4 Depth=1
	s_or_b32 exec_lo, exec_lo, s6
	s_delay_alu instid0(VALU_DEP_1) | instskip(SKIP_2) | instid1(VALU_DEP_2)
	v_mul_f32_e32 v24, 0.5, v27
	v_add_f32_e64 v23, |v7|, v23
	s_mov_b32 s34, -1
	v_fmac_f32_e32 v24, 0.5, v32
	s_delay_alu instid0(VALU_DEP_1) | instskip(NEXT) | instid1(VALU_DEP_1)
	v_mul_f32_e32 v23, v23, v24
	v_mul_f32_e32 v24, 0x4f800000, v23
	v_cmp_gt_f32_e32 vcc_lo, 0xf800000, v23
	s_delay_alu instid0(VALU_DEP_2) | instskip(NEXT) | instid1(VALU_DEP_1)
	v_cndmask_b32_e32 v23, v23, v24, vcc_lo
	v_sqrt_f32_e32 v24, v23
	s_waitcnt_depctr 0xfff
	v_add_nc_u32_e32 v25, -1, v24
	v_add_nc_u32_e32 v26, 1, v24
	s_delay_alu instid0(VALU_DEP_2) | instskip(NEXT) | instid1(VALU_DEP_2)
	v_fma_f32 v27, -v25, v24, v23
	v_fma_f32 v28, -v26, v24, v23
	s_delay_alu instid0(VALU_DEP_2) | instskip(NEXT) | instid1(VALU_DEP_1)
	v_cmp_ge_f32_e64 s6, 0, v27
	v_cndmask_b32_e64 v24, v24, v25, s6
	s_delay_alu instid0(VALU_DEP_3) | instskip(NEXT) | instid1(VALU_DEP_1)
	v_cmp_lt_f32_e64 s6, 0, v28
	v_cndmask_b32_e64 v24, v24, v26, s6
	s_delay_alu instid0(VALU_DEP_1) | instskip(NEXT) | instid1(VALU_DEP_1)
	v_mul_f32_e32 v25, 0x37800000, v24
	v_cndmask_b32_e32 v24, v24, v25, vcc_lo
	v_cmp_class_f32_e64 vcc_lo, v23, 0x260
                                        ; implicit-def: $vgpr25
	s_delay_alu instid0(VALU_DEP_2)
	v_cndmask_b32_e32 v32, v24, v23, vcc_lo
                                        ; implicit-def: $vgpr24
.LBB63_53:                              ;   in Loop: Header=BB63_4 Depth=1
	s_and_not1_saveexec_b32 s35, s35
	s_cbranch_execz .LBB63_59
; %bb.54:                               ;   in Loop: Header=BB63_4 Depth=1
	s_mov_b32 s37, exec_lo
                                        ; implicit-def: $vgpr32
                                        ; implicit-def: $sgpr36
	v_cmpx_ngt_f32_e64 |v7|, 1.0
	s_xor_b32 s37, exec_lo, s37
	s_cbranch_execz .LBB63_56
; %bb.55:                               ;   in Loop: Header=BB63_4 Depth=1
	v_sub_f32_e64 v23, 1.0, |v7|
	s_mov_b32 s36, -1
	s_delay_alu instid0(VALU_DEP_1) | instskip(NEXT) | instid1(VALU_DEP_1)
	v_mul_f32_e32 v23, v23, v25
	v_mul_f32_e32 v24, 0x4f800000, v23
	v_cmp_gt_f32_e32 vcc_lo, 0xf800000, v23
	s_delay_alu instid0(VALU_DEP_2) | instskip(NEXT) | instid1(VALU_DEP_1)
	v_cndmask_b32_e32 v23, v23, v24, vcc_lo
	v_sqrt_f32_e32 v24, v23
	s_waitcnt_depctr 0xfff
	v_add_nc_u32_e32 v25, -1, v24
	v_add_nc_u32_e32 v26, 1, v24
	s_delay_alu instid0(VALU_DEP_2) | instskip(NEXT) | instid1(VALU_DEP_2)
	v_fma_f32 v27, -v25, v24, v23
	v_fma_f32 v28, -v26, v24, v23
	s_delay_alu instid0(VALU_DEP_2) | instskip(NEXT) | instid1(VALU_DEP_1)
	v_cmp_ge_f32_e64 s6, 0, v27
	v_cndmask_b32_e64 v24, v24, v25, s6
	s_delay_alu instid0(VALU_DEP_3) | instskip(NEXT) | instid1(VALU_DEP_1)
	v_cmp_lt_f32_e64 s6, 0, v28
	v_cndmask_b32_e64 v24, v24, v26, s6
	s_delay_alu instid0(VALU_DEP_1) | instskip(NEXT) | instid1(VALU_DEP_1)
	v_mul_f32_e32 v25, 0x37800000, v24
	v_cndmask_b32_e32 v24, v24, v25, vcc_lo
	v_cmp_class_f32_e64 vcc_lo, v23, 0x260
                                        ; implicit-def: $vgpr25
	s_delay_alu instid0(VALU_DEP_2)
	v_cndmask_b32_e32 v32, v24, v23, vcc_lo
                                        ; implicit-def: $vgpr24
.LBB63_56:                              ;   in Loop: Header=BB63_4 Depth=1
	s_and_not1_saveexec_b32 s37, s37
	s_cbranch_execz .LBB63_58
; %bb.57:                               ;   in Loop: Header=BB63_4 Depth=1
	v_mul_f32_e32 v23, v25, v24
	s_or_b32 s36, s36, exec_lo
	s_delay_alu instid0(VALU_DEP_1) | instskip(SKIP_1) | instid1(VALU_DEP_2)
	v_mul_f32_e32 v24, 0x4f800000, v23
	v_cmp_gt_f32_e32 vcc_lo, 0xf800000, v23
	v_cndmask_b32_e32 v23, v23, v24, vcc_lo
	s_delay_alu instid0(VALU_DEP_1) | instskip(SKIP_3) | instid1(VALU_DEP_2)
	v_sqrt_f32_e32 v24, v23
	s_waitcnt_depctr 0xfff
	v_add_nc_u32_e32 v25, -1, v24
	v_add_nc_u32_e32 v26, 1, v24
	v_fma_f32 v27, -v25, v24, v23
	s_delay_alu instid0(VALU_DEP_2) | instskip(NEXT) | instid1(VALU_DEP_2)
	v_fma_f32 v28, -v26, v24, v23
	v_cmp_ge_f32_e64 s6, 0, v27
	s_delay_alu instid0(VALU_DEP_1) | instskip(NEXT) | instid1(VALU_DEP_3)
	v_cndmask_b32_e64 v24, v24, v25, s6
	v_cmp_lt_f32_e64 s6, 0, v28
	s_delay_alu instid0(VALU_DEP_1) | instskip(SKIP_1) | instid1(VALU_DEP_2)
	v_cndmask_b32_e64 v24, v24, v26, s6
	v_mul_f32_e64 v26, 0x57800000, |v8|
	v_mul_f32_e32 v25, 0x37800000, v24
	s_delay_alu instid0(VALU_DEP_1) | instskip(SKIP_1) | instid1(VALU_DEP_4)
	v_cndmask_b32_e32 v24, v24, v25, vcc_lo
	v_cmp_class_f32_e64 vcc_lo, v23, 0x260
	v_mul_f32_e64 v25, |v7|, v26
	s_delay_alu instid0(VALU_DEP_3) | instskip(NEXT) | instid1(VALU_DEP_1)
	v_cndmask_b32_e32 v23, v24, v23, vcc_lo
	v_div_scale_f32 v24, null, v23, v23, v25
	v_div_scale_f32 v28, vcc_lo, v25, v23, v25
	s_delay_alu instid0(VALU_DEP_2) | instskip(SKIP_2) | instid1(VALU_DEP_1)
	v_rcp_f32_e32 v26, v24
	s_waitcnt_depctr 0xfff
	v_fma_f32 v27, -v24, v26, 1.0
	v_fmac_f32_e32 v26, v27, v26
	s_delay_alu instid0(VALU_DEP_1) | instskip(NEXT) | instid1(VALU_DEP_1)
	v_mul_f32_e32 v27, v28, v26
	v_fma_f32 v31, -v24, v27, v28
	s_delay_alu instid0(VALU_DEP_1) | instskip(SKIP_1) | instid1(VALU_DEP_2)
	v_fmac_f32_e32 v27, v31, v26
	v_mul_f32_e64 v31, 0x57800000, |v7|
	v_fma_f32 v24, -v24, v27, v28
	s_delay_alu instid0(VALU_DEP_1) | instskip(NEXT) | instid1(VALU_DEP_1)
	v_div_fmas_f32 v24, v24, v26, v27
	v_div_fixup_f32 v32, v24, v23, v25
.LBB63_58:                              ;   in Loop: Header=BB63_4 Depth=1
	s_or_b32 exec_lo, exec_lo, s37
	s_delay_alu instid0(SALU_CYCLE_1) | instskip(SKIP_1) | instid1(SALU_CYCLE_1)
	s_and_not1_b32 s6, s34, exec_lo
	s_and_b32 s34, s36, exec_lo
	s_or_b32 s34, s6, s34
.LBB63_59:                              ;   in Loop: Header=BB63_4 Depth=1
	s_or_b32 exec_lo, exec_lo, s35
	s_delay_alu instid0(SALU_CYCLE_1)
	s_and_b32 s34, s34, exec_lo
                                        ; implicit-def: $vgpr23
.LBB63_60:                              ;   in Loop: Header=BB63_4 Depth=1
	s_and_not1_saveexec_b32 s35, s7
	s_cbranch_execz .LBB63_62
; %bb.61:                               ;   in Loop: Header=BB63_4 Depth=1
	v_add_f32_e32 v23, 1.0, v23
	v_mul_f32_e64 v24, 0x4f800000, |v8|
	v_cmp_gt_f32_e64 vcc_lo, 0xf800000, |v8|
	s_or_b32 s34, s34, exec_lo
	s_delay_alu instid0(VALU_DEP_3) | instskip(NEXT) | instid1(VALU_DEP_2)
	v_mul_f32_e32 v23, 0.5, v23
	v_cndmask_b32_e64 v24, |v8|, v24, vcc_lo
	s_delay_alu instid0(VALU_DEP_2) | instskip(SKIP_1) | instid1(VALU_DEP_1)
	v_mul_f32_e32 v25, 0x4f800000, v23
	v_cmp_gt_f32_e64 s6, 0xf800000, v23
	v_cndmask_b32_e64 v23, v23, v25, s6
	s_delay_alu instid0(VALU_DEP_4) | instskip(NEXT) | instid1(VALU_DEP_1)
	v_sqrt_f32_e32 v25, v24
	v_sqrt_f32_e32 v26, v23
	s_waitcnt_depctr 0xfff
	v_add_nc_u32_e32 v27, -1, v25
	v_add_nc_u32_e32 v31, 1, v25
	v_add_nc_u32_e32 v28, -1, v26
	s_delay_alu instid0(VALU_DEP_3) | instskip(SKIP_1) | instid1(VALU_DEP_4)
	v_fma_f32 v32, -v27, v25, v24
	v_add_nc_u32_e32 v33, 1, v26
	v_fma_f32 v35, -v31, v25, v24
	s_delay_alu instid0(VALU_DEP_4) | instskip(NEXT) | instid1(VALU_DEP_4)
	v_fma_f32 v34, -v28, v26, v23
	v_cmp_ge_f32_e64 s7, 0, v32
	s_delay_alu instid0(VALU_DEP_1) | instskip(NEXT) | instid1(VALU_DEP_3)
	v_cndmask_b32_e64 v25, v25, v27, s7
	v_cmp_ge_f32_e64 s7, 0, v34
	v_fma_f32 v27, -v33, v26, v23
	s_delay_alu instid0(VALU_DEP_2) | instskip(SKIP_1) | instid1(VALU_DEP_1)
	v_cndmask_b32_e64 v26, v26, v28, s7
	v_cmp_lt_f32_e64 s7, 0, v35
	v_cndmask_b32_e64 v25, v25, v31, s7
	s_delay_alu instid0(VALU_DEP_4) | instskip(SKIP_1) | instid1(VALU_DEP_3)
	v_cmp_lt_f32_e64 s7, 0, v27
	v_mov_b32_e32 v31, 1.0
	v_mul_f32_e32 v27, 0x37800000, v25
	s_delay_alu instid0(VALU_DEP_3) | instskip(NEXT) | instid1(VALU_DEP_1)
	v_cndmask_b32_e64 v26, v26, v33, s7
	v_dual_cndmask_b32 v25, v25, v27 :: v_dual_mul_f32 v28, 0x37800000, v26
	v_cmp_class_f32_e64 vcc_lo, v24, 0x260
	s_delay_alu instid0(VALU_DEP_2) | instskip(NEXT) | instid1(VALU_DEP_3)
	v_cndmask_b32_e64 v26, v26, v28, s6
	v_cndmask_b32_e32 v24, v25, v24, vcc_lo
	v_cmp_class_f32_e64 vcc_lo, v23, 0x260
	s_delay_alu instid0(VALU_DEP_3) | instskip(NEXT) | instid1(VALU_DEP_1)
	v_cndmask_b32_e32 v23, v26, v23, vcc_lo
	v_mul_f32_e32 v32, v24, v23
.LBB63_62:                              ;   in Loop: Header=BB63_4 Depth=1
	s_or_b32 exec_lo, exec_lo, s35
	s_delay_alu instid0(SALU_CYCLE_1)
	s_and_b32 s6, s34, exec_lo
.LBB63_63:                              ;   in Loop: Header=BB63_4 Depth=1
	s_or_b32 exec_lo, exec_lo, s33
	s_delay_alu instid0(SALU_CYCLE_1)
	s_and_b32 s6, s6, exec_lo
                                        ; implicit-def: $vgpr23
.LBB63_64:                              ;   in Loop: Header=BB63_4 Depth=1
	s_and_not1_saveexec_b32 s7, s31
; %bb.65:                               ;   in Loop: Header=BB63_4 Depth=1
	v_mul_f32_e32 v32, 0x4b800000, v23
	v_mul_f32_e64 v31, 0x4b800000, |v7|
	s_or_b32 s6, s6, exec_lo
                                        ; implicit-def: $vgpr30
; %bb.66:                               ;   in Loop: Header=BB63_4 Depth=1
	s_or_b32 exec_lo, exec_lo, s7
	s_xor_b32 s6, s6, -1
                                        ; implicit-def: $vgpr23
	s_delay_alu instid0(SALU_CYCLE_1) | instskip(NEXT) | instid1(SALU_CYCLE_1)
	s_and_saveexec_b32 s7, s6
	s_xor_b32 s6, exec_lo, s7
	s_cbranch_execz .LBB63_68
; %bb.67:                               ;   in Loop: Header=BB63_4 Depth=1
	v_fma_f32 v23, |v30|, -0.5, 0.5
	v_mul_f32_e32 v24, v30, v30
	v_cmp_ge_f32_e64 vcc_lo, |v30|, 0.5
                                        ; implicit-def: $vgpr31
                                        ; implicit-def: $vgpr32
	s_delay_alu instid0(VALU_DEP_2) | instskip(SKIP_1) | instid1(VALU_DEP_2)
	v_cndmask_b32_e32 v23, v24, v23, vcc_lo
	v_cmp_lt_f32_e64 vcc_lo, |v30|, 0.5
	v_fmaak_f32 v24, s25, v23, 0x3c5fc5da
	v_sqrt_f32_e32 v25, v23
	s_delay_alu instid0(VALU_DEP_1) | instskip(NEXT) | instid1(VALU_DEP_1)
	v_fmaak_f32 v24, v23, v24, 0x3d034c3c
	v_fmaak_f32 v24, v23, v24, 0x3d3641b1
	s_delay_alu instid0(VALU_DEP_1) | instskip(NEXT) | instid1(VALU_DEP_1)
	v_fmaak_f32 v24, v23, v24, 0x3d999bc8
	v_fmaak_f32 v24, v23, v24, 0x3e2aaaac
	s_delay_alu instid0(VALU_DEP_1) | instskip(SKIP_3) | instid1(VALU_DEP_2)
	v_mul_f32_e32 v23, v23, v24
	s_waitcnt_depctr 0xfff
	v_fmac_f32_e32 v25, v25, v23
	v_fma_f32 v23, |v30|, v23, |v30|
	v_add_f32_e32 v24, v25, v25
	s_delay_alu instid0(VALU_DEP_1) | instskip(NEXT) | instid1(VALU_DEP_1)
	v_sub_f32_e32 v24, 0x3fc90fdb, v24
	v_cndmask_b32_e32 v23, v24, v23, vcc_lo
	s_delay_alu instid0(VALU_DEP_1)
	v_bfi_b32 v23, 0x7fffffff, v23, v30
.LBB63_68:                              ;   in Loop: Header=BB63_4 Depth=1
	s_and_not1_saveexec_b32 s31, s6
	s_cbranch_execz .LBB63_70
; %bb.69:                               ;   in Loop: Header=BB63_4 Depth=1
	v_max_f32_e32 v23, v31, v31
	v_max_f32_e64 v24, |v32|, |v32|
	v_cmp_gt_f32_e64 vcc_lo, v31, |v32|
	v_cmp_eq_f32_e64 s7, 0, v31
	v_cmp_class_f32_e64 s33, v32, 0x204
	v_cmp_eq_f32_e64 s6, 0x7f800000, v31
	v_max_f32_e32 v25, v24, v23
	v_min_f32_e32 v23, v24, v23
	s_delay_alu instid0(VALU_DEP_2) | instskip(SKIP_1) | instid1(VALU_DEP_2)
	v_frexp_mant_f32_e32 v26, v25
	v_frexp_exp_i32_f32_e32 v25, v25
	v_rcp_f32_e32 v24, v26
	s_delay_alu instid0(VALU_DEP_3) | instskip(SKIP_1) | instid1(VALU_DEP_2)
	v_frexp_exp_i32_f32_e32 v26, v23
	v_frexp_mant_f32_e32 v23, v23
	v_sub_nc_u32_e32 v25, v26, v25
	s_waitcnt_depctr 0xfff
	v_mul_f32_e32 v23, v23, v24
	s_delay_alu instid0(VALU_DEP_1) | instskip(NEXT) | instid1(VALU_DEP_1)
	v_ldexp_f32 v23, v23, v25
	v_mul_f32_e32 v24, v23, v23
	s_delay_alu instid0(VALU_DEP_1) | instskip(NEXT) | instid1(VALU_DEP_1)
	v_fmaak_f32 v25, s26, v24, 0xbc7a590c
	v_fmaak_f32 v25, v24, v25, 0x3d29fb3f
	s_delay_alu instid0(VALU_DEP_1) | instskip(NEXT) | instid1(VALU_DEP_1)
	v_fmaak_f32 v25, v24, v25, 0xbd97d4d7
	v_fmaak_f32 v25, v24, v25, 0x3dd931b2
	;; [unrolled: 3-line block ×3, first 2 shown]
	s_delay_alu instid0(VALU_DEP_1) | instskip(NEXT) | instid1(VALU_DEP_1)
	v_fmaak_f32 v25, v24, v25, 0xbeaaaa62
	v_mul_f32_e32 v24, v24, v25
	s_delay_alu instid0(VALU_DEP_1) | instskip(NEXT) | instid1(VALU_DEP_1)
	v_fmac_f32_e32 v23, v23, v24
	v_sub_f32_e32 v24, 0x3fc90fdb, v23
	s_delay_alu instid0(VALU_DEP_1) | instskip(SKIP_1) | instid1(VALU_DEP_2)
	v_cndmask_b32_e32 v23, v23, v24, vcc_lo
	v_cmp_gt_i32_e32 vcc_lo, 0, v32
	v_sub_f32_e32 v24, 0x40490fdb, v23
	v_cndmask_b32_e64 v25, 0, 0x40490fdb, vcc_lo
	v_cmp_gt_f32_e32 vcc_lo, 0, v32
	s_delay_alu instid0(VALU_DEP_3) | instskip(SKIP_2) | instid1(VALU_DEP_2)
	v_cndmask_b32_e32 v23, v23, v24, vcc_lo
	v_cndmask_b32_e32 v24, 0x3f490fdb, v22, vcc_lo
	s_and_b32 vcc_lo, s6, s33
	v_cndmask_b32_e64 v23, v23, v25, s7
	s_delay_alu instid0(VALU_DEP_1) | instskip(SKIP_1) | instid1(VALU_DEP_2)
	v_cndmask_b32_e32 v23, v23, v24, vcc_lo
	v_cmp_o_f32_e32 vcc_lo, v32, v31
	v_cndmask_b32_e64 v23, 0x7fc00000, |v23|, vcc_lo
.LBB63_70:                              ;   in Loop: Header=BB63_4 Depth=1
	s_or_b32 exec_lo, exec_lo, s31
	v_bfi_b32 v8, 0x7fffffff, v29, v8
	s_delay_alu instid0(VALU_DEP_2)
	v_bfi_b32 v7, 0x7fffffff, v23, v7
.LBB63_71:                              ;   in Loop: Header=BB63_4 Depth=1
	s_or_b32 exec_lo, exec_lo, s30
.LBB63_72:                              ;   in Loop: Header=BB63_4 Depth=1
	s_delay_alu instid0(SALU_CYCLE_1)
	s_or_b32 exec_lo, exec_lo, s29
                                        ; implicit-def: $vgpr23
                                        ; implicit-def: $vgpr25
                                        ; implicit-def: $vgpr24
.LBB63_73:                              ;   in Loop: Header=BB63_4 Depth=1
	s_and_not1_saveexec_b32 s28, s28
	s_cbranch_execz .LBB63_95
; %bb.74:                               ;   in Loop: Header=BB63_4 Depth=1
                                        ; implicit-def: $vgpr26
                                        ; implicit-def: $vgpr27
	s_mov_b32 s6, exec_lo
	v_cmpx_lt_i32_e32 -1, v8
	s_xor_b32 s29, exec_lo, s6
	s_cbranch_execz .LBB63_84
; %bb.75:                               ;   in Loop: Header=BB63_4 Depth=1
	v_cmp_lt_f32_e64 s6, |v8|, |v7|
                                        ; implicit-def: $vgpr26
                                        ; implicit-def: $vgpr27
	s_mov_b32 s7, exec_lo
	s_delay_alu instid0(VALU_DEP_1) | instskip(NEXT) | instid1(VALU_DEP_1)
	v_cndmask_b32_e64 v28, |v8|, |v7|, s6
	v_cmpx_nlt_f32_e32 0x7effffff, v28
	s_xor_b32 s30, exec_lo, s7
	s_cbranch_execz .LBB63_81
; %bb.76:                               ;   in Loop: Header=BB63_4 Depth=1
	v_cndmask_b32_e64 v29, |v7|, |v8|, s6
	v_cmp_nlt_f32_e32 vcc_lo, 0x5e000000, v28
                                        ; implicit-def: $vgpr26
                                        ; implicit-def: $vgpr27
	s_delay_alu instid0(VALU_DEP_2) | instskip(NEXT) | instid1(VALU_DEP_1)
	v_cmp_ngt_f32_e64 s7, 0x20000000, v29
	s_and_b32 s7, vcc_lo, s7
	s_delay_alu instid0(SALU_CYCLE_1) | instskip(NEXT) | instid1(SALU_CYCLE_1)
	s_and_saveexec_b32 s31, s7
	s_xor_b32 s31, exec_lo, s31
	s_cbranch_execz .LBB63_78
; %bb.77:                               ;   in Loop: Header=BB63_4 Depth=1
	s_waitcnt lgkmcnt(0)
	v_frexp_mant_f32_e32 v26, v24
	v_min_f32_e32 v23, v23, v25
	v_frexp_exp_i32_f32_e32 v24, v24
	s_delay_alu instid0(VALU_DEP_3) | instskip(SKIP_1) | instid1(VALU_DEP_1)
	v_rcp_f32_e32 v25, v26
	v_mul_f32_e32 v26, v29, v29
	v_fmac_f32_e32 v26, v28, v28
	v_frexp_mant_f32_e32 v27, v23
	v_frexp_exp_i32_f32_e32 v23, v23
	s_delay_alu instid0(VALU_DEP_3) | instskip(SKIP_4) | instid1(VALU_DEP_2)
	v_cmp_gt_f32_e32 vcc_lo, 0x800000, v26
	s_waitcnt_depctr 0xfff
	v_mul_f32_e32 v25, v27, v25
	v_sub_nc_u32_e32 v23, v23, v24
	v_cndmask_b32_e64 v24, 1.0, 0x4f800000, vcc_lo
	v_ldexp_f32 v27, v25, v23
	s_delay_alu instid0(VALU_DEP_1) | instskip(NEXT) | instid1(VALU_DEP_1)
	v_dual_mul_f32 v23, v26, v24 :: v_dual_mul_f32 v24, v27, v27
	v_log_f32_e32 v23, v23
	s_delay_alu instid0(VALU_DEP_1) | instskip(SKIP_3) | instid1(VALU_DEP_2)
	v_fmaak_f32 v25, s26, v24, 0xbc7a590c
	s_waitcnt_depctr 0xfff
	v_mul_f32_e32 v26, 0x3f317217, v23
	v_cmp_gt_f32_e64 s7, 0x7f800000, |v23|
	v_fma_f32 v28, 0x3f317217, v23, -v26
	s_delay_alu instid0(VALU_DEP_1) | instskip(NEXT) | instid1(VALU_DEP_1)
	v_fmac_f32_e32 v28, 0x3377d1cf, v23
	v_dual_fmaak_f32 v25, v24, v25, 0x3d29fb3f :: v_dual_add_f32 v26, v26, v28
	s_delay_alu instid0(VALU_DEP_1) | instskip(SKIP_1) | instid1(VALU_DEP_1)
	v_cndmask_b32_e64 v23, v23, v26, s7
	v_cndmask_b32_e64 v26, 0, 0x41b17218, vcc_lo
	v_sub_f32_e32 v23, v23, v26
	s_delay_alu instid0(VALU_DEP_1) | instskip(NEXT) | instid1(VALU_DEP_1)
	v_dual_fmaak_f32 v25, v24, v25, 0xbd97d4d7 :: v_dual_mul_f32 v26, 0.5, v23
	v_fmaak_f32 v25, v24, v25, 0x3dd931b2
                                        ; implicit-def: $vgpr23
	s_delay_alu instid0(VALU_DEP_1) | instskip(NEXT) | instid1(VALU_DEP_1)
	v_fmaak_f32 v25, v24, v25, 0xbe1160e6
	v_fmaak_f32 v25, v24, v25, 0x3e4cb8bf
	s_delay_alu instid0(VALU_DEP_1) | instskip(NEXT) | instid1(VALU_DEP_1)
	v_fmaak_f32 v25, v24, v25, 0xbeaaaa62
	v_mul_f32_e32 v24, v24, v25
                                        ; implicit-def: $vgpr25
	s_delay_alu instid0(VALU_DEP_1)
	v_fmac_f32_e32 v27, v27, v24
                                        ; implicit-def: $vgpr24
.LBB63_78:                              ;   in Loop: Header=BB63_4 Depth=1
	s_and_not1_saveexec_b32 s7, s31
	s_cbranch_execz .LBB63_80
; %bb.79:                               ;   in Loop: Header=BB63_4 Depth=1
	s_waitcnt lgkmcnt(0)
	v_cvt_f64_f32_e32 v[26:27], v24
	v_cmp_neq_f32_e32 vcc_lo, 0x7f800000, v24
	v_min_f32_e32 v23, v23, v25
	s_delay_alu instid0(VALU_DEP_1) | instskip(SKIP_2) | instid1(VALU_DEP_1)
	v_frexp_exp_i32_f32_e32 v29, v23
	v_frexp_mant_f32_e32 v23, v23
	v_frexp_exp_i32_f64_e32 v26, v[26:27]
	v_sub_nc_u32_e32 v27, 0, v26
	s_delay_alu instid0(VALU_DEP_1) | instskip(SKIP_1) | instid1(VALU_DEP_2)
	v_ldexp_f32 v28, |v7|, v27
	v_ldexp_f32 v27, |v8|, v27
	v_mul_f32_e32 v28, v28, v28
	s_delay_alu instid0(VALU_DEP_1) | instskip(SKIP_1) | instid1(VALU_DEP_2)
	v_fmac_f32_e32 v28, v27, v27
	v_frexp_mant_f32_e32 v27, v24
	v_sqrt_f32_e32 v28, v28
	s_delay_alu instid0(VALU_DEP_1) | instskip(SKIP_1) | instid1(VALU_DEP_1)
	v_rcp_f32_e32 v25, v27
	v_frexp_exp_i32_f32_e32 v27, v24
	v_sub_nc_u32_e32 v27, v29, v27
	s_waitcnt_depctr 0xfff
	v_ldexp_f32 v26, v28, v26
	s_delay_alu instid0(VALU_DEP_1) | instskip(NEXT) | instid1(VALU_DEP_1)
	v_dual_mul_f32 v23, v23, v25 :: v_dual_cndmask_b32 v24, 0x7f800000, v26
	v_ldexp_f32 v27, v23, v27
	s_delay_alu instid0(VALU_DEP_2) | instskip(SKIP_1) | instid1(VALU_DEP_1)
	v_cmp_gt_f32_e32 vcc_lo, 0x800000, v24
	v_cndmask_b32_e64 v23, 1.0, 0x4f800000, vcc_lo
	v_mul_f32_e32 v23, v24, v23
	s_delay_alu instid0(VALU_DEP_1) | instskip(SKIP_2) | instid1(VALU_DEP_1)
	v_log_f32_e32 v23, v23
	s_waitcnt_depctr 0xfff
	v_mul_f32_e32 v26, 0x3f317217, v23
	v_fma_f32 v28, 0x3f317217, v23, -v26
	s_delay_alu instid0(VALU_DEP_1) | instskip(NEXT) | instid1(VALU_DEP_1)
	v_fmac_f32_e32 v28, 0x3377d1cf, v23
	v_dual_mul_f32 v25, v27, v27 :: v_dual_add_f32 v26, v26, v28
	s_delay_alu instid0(VALU_DEP_1) | instskip(SKIP_2) | instid1(VALU_DEP_3)
	v_fmaak_f32 v24, s26, v25, 0xbc7a590c
	v_cndmask_b32_e64 v28, 0, 0x41b17218, vcc_lo
	v_cmp_gt_f32_e64 vcc_lo, 0x7f800000, |v23|
	v_dual_fmaak_f32 v24, v25, v24, 0x3d29fb3f :: v_dual_cndmask_b32 v23, v23, v26
	s_delay_alu instid0(VALU_DEP_1) | instskip(NEXT) | instid1(VALU_DEP_2)
	v_fmaak_f32 v24, v25, v24, 0xbd97d4d7
	v_sub_f32_e32 v26, v23, v28
	s_delay_alu instid0(VALU_DEP_2) | instskip(NEXT) | instid1(VALU_DEP_1)
	v_fmaak_f32 v24, v25, v24, 0x3dd931b2
	v_fmaak_f32 v24, v25, v24, 0xbe1160e6
	s_delay_alu instid0(VALU_DEP_1) | instskip(NEXT) | instid1(VALU_DEP_1)
	v_fmaak_f32 v24, v25, v24, 0x3e4cb8bf
	v_fmaak_f32 v24, v25, v24, 0xbeaaaa62
	s_delay_alu instid0(VALU_DEP_1) | instskip(NEXT) | instid1(VALU_DEP_1)
	v_mul_f32_e32 v24, v25, v24
	v_fmac_f32_e32 v27, v27, v24
.LBB63_80:                              ;   in Loop: Header=BB63_4 Depth=1
	s_or_b32 exec_lo, exec_lo, s7
                                        ; implicit-def: $vgpr23
                                        ; implicit-def: $vgpr25
                                        ; implicit-def: $vgpr24
.LBB63_81:                              ;   in Loop: Header=BB63_4 Depth=1
	s_and_not1_saveexec_b32 s30, s30
	s_cbranch_execz .LBB63_83
; %bb.82:                               ;   in Loop: Header=BB63_4 Depth=1
	v_div_scale_f32 v26, null, 0x402df854, 0x402df854, v8
	v_div_scale_f32 v27, null, 0x402df854, 0x402df854, v7
	v_div_scale_f32 v32, vcc_lo, v8, 0x402df854, v8
	s_delay_alu instid0(VALU_DEP_3) | instskip(NEXT) | instid1(VALU_DEP_2)
	v_rcp_f32_e32 v28, v26
	v_rcp_f32_e32 v29, v27
	v_min_f32_e32 v23, v23, v25
	s_waitcnt_depctr 0xfff
	v_fma_f32 v30, -v26, v28, 1.0
	v_fma_f32 v31, -v27, v29, 1.0
	s_delay_alu instid0(VALU_DEP_1) | instskip(SKIP_1) | instid1(VALU_DEP_2)
	v_dual_fmac_f32 v28, v30, v28 :: v_dual_fmac_f32 v29, v31, v29
	v_div_scale_f32 v30, s7, v7, 0x402df854, v7
	v_mul_f32_e32 v31, v32, v28
	s_delay_alu instid0(VALU_DEP_2) | instskip(NEXT) | instid1(VALU_DEP_2)
	v_mul_f32_e32 v33, v30, v29
	v_fma_f32 v34, -v26, v31, v32
	s_delay_alu instid0(VALU_DEP_2) | instskip(NEXT) | instid1(VALU_DEP_2)
	v_fma_f32 v35, -v27, v33, v30
	v_fmac_f32_e32 v31, v34, v28
	s_delay_alu instid0(VALU_DEP_2) | instskip(NEXT) | instid1(VALU_DEP_2)
	v_fmac_f32_e32 v33, v35, v29
	v_fma_f32 v26, -v26, v31, v32
	s_delay_alu instid0(VALU_DEP_2) | instskip(NEXT) | instid1(VALU_DEP_2)
	v_fma_f32 v27, -v27, v33, v30
	v_div_fmas_f32 v26, v26, v28, v31
	s_mov_b32 vcc_lo, s7
	s_delay_alu instid0(VALU_DEP_2) | instskip(NEXT) | instid1(VALU_DEP_2)
	v_div_fmas_f32 v27, v27, v29, v33
	v_div_fixup_f32 v28, v26, 0x402df854, v8
	s_delay_alu instid0(VALU_DEP_2) | instskip(NEXT) | instid1(VALU_DEP_1)
	v_div_fixup_f32 v29, v27, 0x402df854, v7
	v_max_f32_e64 v30, |v28|, |v29|
	s_delay_alu instid0(VALU_DEP_1) | instskip(SKIP_1) | instid1(VALU_DEP_2)
	v_cvt_f64_f32_e32 v[26:27], v30
	v_cmp_neq_f32_e32 vcc_lo, 0x7f800000, v30
	v_frexp_exp_i32_f64_e32 v26, v[26:27]
	s_delay_alu instid0(VALU_DEP_1) | instskip(NEXT) | instid1(VALU_DEP_1)
	v_sub_nc_u32_e32 v27, 0, v26
	v_ldexp_f32 v29, |v29|, v27
	v_ldexp_f32 v27, |v28|, v27
	s_delay_alu instid0(VALU_DEP_2) | instskip(NEXT) | instid1(VALU_DEP_1)
	v_mul_f32_e32 v28, v29, v29
	v_fmac_f32_e32 v28, v27, v27
	s_delay_alu instid0(VALU_DEP_1) | instskip(SKIP_3) | instid1(VALU_DEP_2)
	v_sqrt_f32_e32 v27, v28
	s_waitcnt lgkmcnt(0)
	v_frexp_mant_f32_e32 v28, v24
	v_frexp_exp_i32_f32_e32 v24, v24
	v_rcp_f32_e32 v25, v28
	s_waitcnt_depctr 0xfff
	v_ldexp_f32 v26, v27, v26
	v_frexp_exp_i32_f32_e32 v27, v23
	v_frexp_mant_f32_e32 v23, v23
	s_delay_alu instid0(VALU_DEP_3) | instskip(NEXT) | instid1(VALU_DEP_3)
	v_cndmask_b32_e32 v26, 0x7f800000, v26, vcc_lo
	v_sub_nc_u32_e32 v24, v27, v24
	s_delay_alu instid0(VALU_DEP_3) | instskip(NEXT) | instid1(VALU_DEP_3)
	v_mul_f32_e32 v23, v23, v25
	v_cmp_gt_f32_e32 vcc_lo, 0x800000, v26
	s_delay_alu instid0(VALU_DEP_2) | instskip(SKIP_1) | instid1(VALU_DEP_1)
	v_ldexp_f32 v27, v23, v24
	v_cndmask_b32_e64 v25, 1.0, 0x4f800000, vcc_lo
	v_dual_mul_f32 v24, v27, v27 :: v_dual_mul_f32 v23, v26, v25
	s_delay_alu instid0(VALU_DEP_1) | instskip(SKIP_2) | instid1(VALU_DEP_1)
	v_log_f32_e32 v23, v23
	s_waitcnt_depctr 0xfff
	v_mul_f32_e32 v26, 0x3f317217, v23
	v_fma_f32 v28, 0x3f317217, v23, -v26
	s_delay_alu instid0(VALU_DEP_1) | instskip(NEXT) | instid1(VALU_DEP_1)
	v_fmac_f32_e32 v28, 0x3377d1cf, v23
	v_add_f32_e32 v26, v26, v28
	v_cndmask_b32_e64 v28, 0, 0x41b17218, vcc_lo
	v_cmp_gt_f32_e64 vcc_lo, 0x7f800000, |v23|
	s_delay_alu instid0(VALU_DEP_3) | instskip(NEXT) | instid1(VALU_DEP_1)
	v_cndmask_b32_e32 v23, v23, v26, vcc_lo
	v_sub_f32_e32 v23, v23, v28
	s_delay_alu instid0(VALU_DEP_1) | instskip(NEXT) | instid1(VALU_DEP_1)
	v_dual_fmaak_f32 v25, s26, v24, 0xbc7a590c :: v_dual_add_f32 v26, 1.0, v23
	v_fmaak_f32 v25, v24, v25, 0x3d29fb3f
	s_delay_alu instid0(VALU_DEP_1) | instskip(NEXT) | instid1(VALU_DEP_1)
	v_fmaak_f32 v25, v24, v25, 0xbd97d4d7
	v_fmaak_f32 v25, v24, v25, 0x3dd931b2
	s_delay_alu instid0(VALU_DEP_1) | instskip(NEXT) | instid1(VALU_DEP_1)
	v_fmaak_f32 v25, v24, v25, 0xbe1160e6
	;; [unrolled: 3-line block ×3, first 2 shown]
	v_mul_f32_e32 v24, v24, v25
	s_delay_alu instid0(VALU_DEP_1)
	v_fmac_f32_e32 v27, v27, v24
.LBB63_83:                              ;   in Loop: Header=BB63_4 Depth=1
	s_or_b32 exec_lo, exec_lo, s30
	s_delay_alu instid0(VALU_DEP_1) | instskip(NEXT) | instid1(VALU_DEP_1)
	v_sub_f32_e32 v23, 0x3fc90fdb, v27
                                        ; implicit-def: $vgpr25
                                        ; implicit-def: $vgpr24
	v_cndmask_b32_e64 v27, v27, v23, s6
                                        ; implicit-def: $vgpr23
.LBB63_84:                              ;   in Loop: Header=BB63_4 Depth=1
	s_and_not1_saveexec_b32 s29, s29
	s_cbranch_execz .LBB63_94
; %bb.85:                               ;   in Loop: Header=BB63_4 Depth=1
	v_cmp_lt_f32_e64 s6, |v8|, |v7|
                                        ; implicit-def: $vgpr26
                                        ; implicit-def: $vgpr27
	s_mov_b32 s7, exec_lo
	s_delay_alu instid0(VALU_DEP_1) | instskip(NEXT) | instid1(VALU_DEP_1)
	v_cndmask_b32_e64 v28, |v8|, |v7|, s6
	v_cmpx_nlt_f32_e32 0x7effffff, v28
	s_xor_b32 s30, exec_lo, s7
	s_cbranch_execz .LBB63_91
; %bb.86:                               ;   in Loop: Header=BB63_4 Depth=1
	v_cndmask_b32_e64 v29, |v7|, |v8|, s6
	v_cmp_nlt_f32_e32 vcc_lo, 0x5e000000, v28
                                        ; implicit-def: $vgpr26
                                        ; implicit-def: $vgpr27
	s_delay_alu instid0(VALU_DEP_2) | instskip(NEXT) | instid1(VALU_DEP_1)
	v_cmp_ngt_f32_e64 s7, 0x20000000, v29
	s_and_b32 s7, vcc_lo, s7
	s_delay_alu instid0(SALU_CYCLE_1) | instskip(NEXT) | instid1(SALU_CYCLE_1)
	s_and_saveexec_b32 s31, s7
	s_xor_b32 s31, exec_lo, s31
	s_cbranch_execz .LBB63_88
; %bb.87:                               ;   in Loop: Header=BB63_4 Depth=1
	s_waitcnt lgkmcnt(0)
	v_frexp_mant_f32_e32 v26, v24
	v_min_f32_e32 v23, v23, v25
	v_frexp_exp_i32_f32_e32 v24, v24
	s_delay_alu instid0(VALU_DEP_3) | instskip(SKIP_1) | instid1(VALU_DEP_1)
	v_rcp_f32_e32 v25, v26
	v_mul_f32_e32 v26, v29, v29
	v_fmac_f32_e32 v26, v28, v28
	v_frexp_mant_f32_e32 v27, v23
	v_frexp_exp_i32_f32_e32 v23, v23
	s_delay_alu instid0(VALU_DEP_3) | instskip(SKIP_4) | instid1(VALU_DEP_2)
	v_cmp_gt_f32_e32 vcc_lo, 0x800000, v26
	s_waitcnt_depctr 0xfff
	v_mul_f32_e32 v25, v27, v25
	v_sub_nc_u32_e32 v23, v23, v24
	v_cndmask_b32_e64 v24, 1.0, 0x4f800000, vcc_lo
	v_ldexp_f32 v27, v25, v23
	s_delay_alu instid0(VALU_DEP_1) | instskip(NEXT) | instid1(VALU_DEP_1)
	v_dual_mul_f32 v23, v26, v24 :: v_dual_mul_f32 v24, v27, v27
	v_log_f32_e32 v23, v23
	s_delay_alu instid0(VALU_DEP_1) | instskip(SKIP_3) | instid1(VALU_DEP_2)
	v_fmaak_f32 v25, s26, v24, 0xbc7a590c
	s_waitcnt_depctr 0xfff
	v_mul_f32_e32 v26, 0x3f317217, v23
	v_cmp_gt_f32_e64 s7, 0x7f800000, |v23|
	v_fma_f32 v28, 0x3f317217, v23, -v26
	s_delay_alu instid0(VALU_DEP_1) | instskip(NEXT) | instid1(VALU_DEP_1)
	v_fmac_f32_e32 v28, 0x3377d1cf, v23
	v_dual_fmaak_f32 v25, v24, v25, 0x3d29fb3f :: v_dual_add_f32 v26, v26, v28
	s_delay_alu instid0(VALU_DEP_1) | instskip(SKIP_1) | instid1(VALU_DEP_1)
	v_cndmask_b32_e64 v23, v23, v26, s7
	v_cndmask_b32_e64 v26, 0, 0x41b17218, vcc_lo
	v_sub_f32_e32 v23, v23, v26
	s_delay_alu instid0(VALU_DEP_1) | instskip(NEXT) | instid1(VALU_DEP_1)
	v_dual_fmaak_f32 v25, v24, v25, 0xbd97d4d7 :: v_dual_mul_f32 v26, 0.5, v23
	v_fmaak_f32 v25, v24, v25, 0x3dd931b2
                                        ; implicit-def: $vgpr23
	s_delay_alu instid0(VALU_DEP_1) | instskip(NEXT) | instid1(VALU_DEP_1)
	v_fmaak_f32 v25, v24, v25, 0xbe1160e6
	v_fmaak_f32 v25, v24, v25, 0x3e4cb8bf
	s_delay_alu instid0(VALU_DEP_1) | instskip(NEXT) | instid1(VALU_DEP_1)
	v_fmaak_f32 v25, v24, v25, 0xbeaaaa62
	v_mul_f32_e32 v24, v24, v25
                                        ; implicit-def: $vgpr25
	s_delay_alu instid0(VALU_DEP_1)
	v_fmac_f32_e32 v27, v27, v24
                                        ; implicit-def: $vgpr24
.LBB63_88:                              ;   in Loop: Header=BB63_4 Depth=1
	s_and_not1_saveexec_b32 s7, s31
	s_cbranch_execz .LBB63_90
; %bb.89:                               ;   in Loop: Header=BB63_4 Depth=1
	s_waitcnt lgkmcnt(0)
	v_cvt_f64_f32_e32 v[26:27], v24
	v_cmp_neq_f32_e32 vcc_lo, 0x7f800000, v24
	v_min_f32_e32 v23, v23, v25
	s_delay_alu instid0(VALU_DEP_1) | instskip(SKIP_2) | instid1(VALU_DEP_1)
	v_frexp_exp_i32_f32_e32 v29, v23
	v_frexp_mant_f32_e32 v23, v23
	v_frexp_exp_i32_f64_e32 v26, v[26:27]
	v_sub_nc_u32_e32 v27, 0, v26
	s_delay_alu instid0(VALU_DEP_1) | instskip(SKIP_1) | instid1(VALU_DEP_2)
	v_ldexp_f32 v28, |v7|, v27
	v_ldexp_f32 v27, |v8|, v27
	v_mul_f32_e32 v28, v28, v28
	s_delay_alu instid0(VALU_DEP_1) | instskip(SKIP_1) | instid1(VALU_DEP_2)
	v_fmac_f32_e32 v28, v27, v27
	v_frexp_mant_f32_e32 v27, v24
	v_sqrt_f32_e32 v28, v28
	s_delay_alu instid0(VALU_DEP_1) | instskip(SKIP_1) | instid1(VALU_DEP_1)
	v_rcp_f32_e32 v25, v27
	v_frexp_exp_i32_f32_e32 v27, v24
	v_sub_nc_u32_e32 v27, v29, v27
	s_waitcnt_depctr 0xfff
	v_ldexp_f32 v26, v28, v26
	s_delay_alu instid0(VALU_DEP_1) | instskip(NEXT) | instid1(VALU_DEP_1)
	v_dual_mul_f32 v23, v23, v25 :: v_dual_cndmask_b32 v24, 0x7f800000, v26
	v_ldexp_f32 v27, v23, v27
	s_delay_alu instid0(VALU_DEP_2) | instskip(SKIP_1) | instid1(VALU_DEP_1)
	v_cmp_gt_f32_e32 vcc_lo, 0x800000, v24
	v_cndmask_b32_e64 v23, 1.0, 0x4f800000, vcc_lo
	v_mul_f32_e32 v23, v24, v23
	s_delay_alu instid0(VALU_DEP_1) | instskip(SKIP_2) | instid1(VALU_DEP_1)
	v_log_f32_e32 v23, v23
	s_waitcnt_depctr 0xfff
	v_mul_f32_e32 v26, 0x3f317217, v23
	v_fma_f32 v28, 0x3f317217, v23, -v26
	s_delay_alu instid0(VALU_DEP_1) | instskip(NEXT) | instid1(VALU_DEP_1)
	v_fmac_f32_e32 v28, 0x3377d1cf, v23
	v_dual_mul_f32 v25, v27, v27 :: v_dual_add_f32 v26, v26, v28
	s_delay_alu instid0(VALU_DEP_1) | instskip(SKIP_2) | instid1(VALU_DEP_3)
	v_fmaak_f32 v24, s26, v25, 0xbc7a590c
	v_cndmask_b32_e64 v28, 0, 0x41b17218, vcc_lo
	v_cmp_gt_f32_e64 vcc_lo, 0x7f800000, |v23|
	v_dual_fmaak_f32 v24, v25, v24, 0x3d29fb3f :: v_dual_cndmask_b32 v23, v23, v26
	s_delay_alu instid0(VALU_DEP_1) | instskip(NEXT) | instid1(VALU_DEP_2)
	v_fmaak_f32 v24, v25, v24, 0xbd97d4d7
	v_sub_f32_e32 v26, v23, v28
	s_delay_alu instid0(VALU_DEP_2) | instskip(NEXT) | instid1(VALU_DEP_1)
	v_fmaak_f32 v24, v25, v24, 0x3dd931b2
	v_fmaak_f32 v24, v25, v24, 0xbe1160e6
	s_delay_alu instid0(VALU_DEP_1) | instskip(NEXT) | instid1(VALU_DEP_1)
	v_fmaak_f32 v24, v25, v24, 0x3e4cb8bf
	v_fmaak_f32 v24, v25, v24, 0xbeaaaa62
	s_delay_alu instid0(VALU_DEP_1) | instskip(NEXT) | instid1(VALU_DEP_1)
	v_mul_f32_e32 v24, v25, v24
	v_fmac_f32_e32 v27, v27, v24
.LBB63_90:                              ;   in Loop: Header=BB63_4 Depth=1
	s_or_b32 exec_lo, exec_lo, s7
                                        ; implicit-def: $vgpr23
                                        ; implicit-def: $vgpr25
                                        ; implicit-def: $vgpr24
.LBB63_91:                              ;   in Loop: Header=BB63_4 Depth=1
	s_and_not1_saveexec_b32 s30, s30
	s_cbranch_execz .LBB63_93
; %bb.92:                               ;   in Loop: Header=BB63_4 Depth=1
	v_div_scale_f32 v26, null, 0xc02df854, 0xc02df854, v8
	v_div_scale_f32 v27, null, 0xc02df854, 0xc02df854, v7
	v_div_scale_f32 v32, vcc_lo, v8, 0xc02df854, v8
	s_delay_alu instid0(VALU_DEP_3) | instskip(NEXT) | instid1(VALU_DEP_2)
	v_rcp_f32_e32 v28, v26
	v_rcp_f32_e32 v29, v27
	v_min_f32_e32 v23, v23, v25
	s_waitcnt_depctr 0xfff
	v_fma_f32 v30, -v26, v28, 1.0
	v_fma_f32 v31, -v27, v29, 1.0
	s_delay_alu instid0(VALU_DEP_1) | instskip(SKIP_1) | instid1(VALU_DEP_2)
	v_dual_fmac_f32 v28, v30, v28 :: v_dual_fmac_f32 v29, v31, v29
	v_div_scale_f32 v30, s7, v7, 0xc02df854, v7
	v_mul_f32_e32 v31, v32, v28
	s_delay_alu instid0(VALU_DEP_2) | instskip(NEXT) | instid1(VALU_DEP_2)
	v_mul_f32_e32 v33, v30, v29
	v_fma_f32 v34, -v26, v31, v32
	s_delay_alu instid0(VALU_DEP_2) | instskip(NEXT) | instid1(VALU_DEP_2)
	v_fma_f32 v35, -v27, v33, v30
	v_fmac_f32_e32 v31, v34, v28
	s_delay_alu instid0(VALU_DEP_2) | instskip(NEXT) | instid1(VALU_DEP_2)
	v_fmac_f32_e32 v33, v35, v29
	v_fma_f32 v26, -v26, v31, v32
	s_delay_alu instid0(VALU_DEP_2) | instskip(NEXT) | instid1(VALU_DEP_2)
	v_fma_f32 v27, -v27, v33, v30
	v_div_fmas_f32 v26, v26, v28, v31
	s_mov_b32 vcc_lo, s7
	s_delay_alu instid0(VALU_DEP_2) | instskip(NEXT) | instid1(VALU_DEP_2)
	v_div_fmas_f32 v27, v27, v29, v33
	v_div_fixup_f32 v28, v26, 0xc02df854, v8
	s_delay_alu instid0(VALU_DEP_2) | instskip(NEXT) | instid1(VALU_DEP_1)
	v_div_fixup_f32 v29, v27, 0xc02df854, v7
	v_max_f32_e64 v30, |v28|, |v29|
	s_delay_alu instid0(VALU_DEP_1) | instskip(SKIP_1) | instid1(VALU_DEP_2)
	v_cvt_f64_f32_e32 v[26:27], v30
	v_cmp_neq_f32_e32 vcc_lo, 0x7f800000, v30
	v_frexp_exp_i32_f64_e32 v26, v[26:27]
	s_delay_alu instid0(VALU_DEP_1) | instskip(NEXT) | instid1(VALU_DEP_1)
	v_sub_nc_u32_e32 v27, 0, v26
	v_ldexp_f32 v29, |v29|, v27
	v_ldexp_f32 v27, |v28|, v27
	s_delay_alu instid0(VALU_DEP_2) | instskip(NEXT) | instid1(VALU_DEP_1)
	v_mul_f32_e32 v28, v29, v29
	v_fmac_f32_e32 v28, v27, v27
	s_delay_alu instid0(VALU_DEP_1) | instskip(SKIP_3) | instid1(VALU_DEP_2)
	v_sqrt_f32_e32 v27, v28
	s_waitcnt lgkmcnt(0)
	v_frexp_mant_f32_e32 v28, v24
	v_frexp_exp_i32_f32_e32 v24, v24
	v_rcp_f32_e32 v25, v28
	s_waitcnt_depctr 0xfff
	v_ldexp_f32 v26, v27, v26
	v_frexp_exp_i32_f32_e32 v27, v23
	v_frexp_mant_f32_e32 v23, v23
	s_delay_alu instid0(VALU_DEP_3) | instskip(NEXT) | instid1(VALU_DEP_3)
	v_cndmask_b32_e32 v26, 0x7f800000, v26, vcc_lo
	v_sub_nc_u32_e32 v24, v27, v24
	s_delay_alu instid0(VALU_DEP_3) | instskip(NEXT) | instid1(VALU_DEP_3)
	v_mul_f32_e32 v23, v23, v25
	v_cmp_gt_f32_e32 vcc_lo, 0x800000, v26
	s_delay_alu instid0(VALU_DEP_2) | instskip(SKIP_1) | instid1(VALU_DEP_1)
	v_ldexp_f32 v27, v23, v24
	v_cndmask_b32_e64 v25, 1.0, 0x4f800000, vcc_lo
	v_dual_mul_f32 v24, v27, v27 :: v_dual_mul_f32 v23, v26, v25
	s_delay_alu instid0(VALU_DEP_1) | instskip(SKIP_2) | instid1(VALU_DEP_1)
	v_log_f32_e32 v23, v23
	s_waitcnt_depctr 0xfff
	v_mul_f32_e32 v26, 0x3f317217, v23
	v_fma_f32 v28, 0x3f317217, v23, -v26
	s_delay_alu instid0(VALU_DEP_1) | instskip(NEXT) | instid1(VALU_DEP_1)
	v_fmac_f32_e32 v28, 0x3377d1cf, v23
	v_add_f32_e32 v26, v26, v28
	v_cndmask_b32_e64 v28, 0, 0x41b17218, vcc_lo
	v_cmp_gt_f32_e64 vcc_lo, 0x7f800000, |v23|
	s_delay_alu instid0(VALU_DEP_3) | instskip(NEXT) | instid1(VALU_DEP_1)
	v_cndmask_b32_e32 v23, v23, v26, vcc_lo
	v_sub_f32_e32 v23, v23, v28
	s_delay_alu instid0(VALU_DEP_1) | instskip(NEXT) | instid1(VALU_DEP_1)
	v_dual_fmaak_f32 v25, s26, v24, 0xbc7a590c :: v_dual_add_f32 v26, 1.0, v23
	v_fmaak_f32 v25, v24, v25, 0x3d29fb3f
	s_delay_alu instid0(VALU_DEP_1) | instskip(NEXT) | instid1(VALU_DEP_1)
	v_fmaak_f32 v25, v24, v25, 0xbd97d4d7
	v_fmaak_f32 v25, v24, v25, 0x3dd931b2
	s_delay_alu instid0(VALU_DEP_1) | instskip(NEXT) | instid1(VALU_DEP_1)
	v_fmaak_f32 v25, v24, v25, 0xbe1160e6
	;; [unrolled: 3-line block ×3, first 2 shown]
	v_mul_f32_e32 v24, v24, v25
	s_delay_alu instid0(VALU_DEP_1)
	v_fmac_f32_e32 v27, v27, v24
.LBB63_93:                              ;   in Loop: Header=BB63_4 Depth=1
	s_or_b32 exec_lo, exec_lo, s30
	s_delay_alu instid0(VALU_DEP_1) | instskip(NEXT) | instid1(VALU_DEP_1)
	v_sub_f32_e32 v23, 0x3fc90fdb, v27
	v_cndmask_b32_e64 v27, v27, v23, s6
.LBB63_94:                              ;   in Loop: Header=BB63_4 Depth=1
	s_or_b32 exec_lo, exec_lo, s29
	v_cmp_neq_f32_e32 vcc_lo, 0, v7
	v_cmp_class_f32_e64 s6, v8, 0x204
	v_cmp_class_f32_e64 s7, v7, 0x204
	s_waitcnt lgkmcnt(0)
	v_dual_add_f32 v24, 0x3f317218, v26 :: v_dual_cndmask_b32 v23, 0, v27
	v_cmp_o_f32_e32 vcc_lo, v7, v8
	s_delay_alu instid0(VALU_DEP_3) | instskip(NEXT) | instid1(VALU_DEP_2)
	s_and_b32 s6, s6, s7
	v_bfi_b32 v8, 0x7fffffff, v24, v8
	s_delay_alu instid0(VALU_DEP_3) | instskip(NEXT) | instid1(VALU_DEP_1)
	v_cndmask_b32_e64 v23, v23, 0x3f490fdb, s6
	v_cndmask_b32_e32 v23, 0x7fc00000, v23, vcc_lo
	s_delay_alu instid0(VALU_DEP_1)
	v_bfi_b32 v7, 0x7fffffff, v23, v7
.LBB63_95:                              ;   in Loop: Header=BB63_4 Depth=1
	s_or_b32 exec_lo, exec_lo, s28
.LBB63_96:                              ;   in Loop: Header=BB63_4 Depth=1
	s_and_not1_saveexec_b32 s6, s27
	s_cbranch_execz .LBB63_110
; %bb.97:                               ;   in Loop: Header=BB63_4 Depth=1
	v_cmp_neq_f32_e64 s7, 0x7f800000, |v8|
                                        ; implicit-def: $vgpr23
                                        ; implicit-def: $vgpr24
	s_delay_alu instid0(VALU_DEP_1) | instskip(NEXT) | instid1(SALU_CYCLE_1)
	s_and_saveexec_b32 s27, s7
	s_xor_b32 s7, exec_lo, s27
	s_cbranch_execz .LBB63_107
; %bb.98:                               ;   in Loop: Header=BB63_4 Depth=1
	v_cmp_neq_f32_e64 s27, 0x7f800000, |v7|
                                        ; implicit-def: $vgpr23
                                        ; implicit-def: $vgpr24
	s_delay_alu instid0(VALU_DEP_1) | instskip(NEXT) | instid1(SALU_CYCLE_1)
	s_and_saveexec_b32 s28, s27
	s_xor_b32 s27, exec_lo, s28
	s_cbranch_execz .LBB63_104
; %bb.99:                               ;   in Loop: Header=BB63_4 Depth=1
	s_mov_b32 s28, exec_lo
                                        ; implicit-def: $vgpr23
	v_cmpx_neq_f32_e32 0, v7
	s_xor_b32 s28, exec_lo, s28
; %bb.100:                              ;   in Loop: Header=BB63_4 Depth=1
	v_add_f32_e32 v8, 0, v8
	s_delay_alu instid0(VALU_DEP_1)
	v_add_f32_e32 v23, v7, v8
                                        ; implicit-def: $vgpr8
; %bb.101:                              ;   in Loop: Header=BB63_4 Depth=1
	s_or_saveexec_b32 s28, s28
	s_waitcnt lgkmcnt(0)
	s_delay_alu instid0(VALU_DEP_1)
	v_mov_b32_e32 v24, v23
	s_xor_b32 exec_lo, exec_lo, s28
; %bb.102:                              ;   in Loop: Header=BB63_4 Depth=1
	v_dual_add_f32 v24, v8, v8 :: v_dual_mov_b32 v23, v7
; %bb.103:                              ;   in Loop: Header=BB63_4 Depth=1
	s_or_b32 exec_lo, exec_lo, s28
                                        ; implicit-def: $vgpr8
.LBB63_104:                             ;   in Loop: Header=BB63_4 Depth=1
	s_and_not1_saveexec_b32 s27, s27
	s_cbranch_execz .LBB63_106
; %bb.105:                              ;   in Loop: Header=BB63_4 Depth=1
	s_waitcnt lgkmcnt(0)
	v_dual_add_f32 v23, v8, v8 :: v_dual_mov_b32 v24, v7
.LBB63_106:                             ;   in Loop: Header=BB63_4 Depth=1
	s_or_b32 exec_lo, exec_lo, s27
                                        ; implicit-def: $vgpr7
.LBB63_107:                             ;   in Loop: Header=BB63_4 Depth=1
	s_and_not1_saveexec_b32 s7, s7
	s_cbranch_execz .LBB63_109
; %bb.108:                              ;   in Loop: Header=BB63_4 Depth=1
	s_waitcnt lgkmcnt(0)
	v_dual_add_f32 v23, v7, v7 :: v_dual_mov_b32 v24, v8
.LBB63_109:                             ;   in Loop: Header=BB63_4 Depth=1
	s_or_b32 exec_lo, exec_lo, s7
	s_waitcnt lgkmcnt(0)
	s_delay_alu instid0(VALU_DEP_1)
	v_dual_mov_b32 v8, v24 :: v_dual_mov_b32 v7, v23
.LBB63_110:                             ;   in Loop: Header=BB63_4 Depth=1
	s_or_b32 exec_lo, exec_lo, s6
	v_cmp_o_f32_e32 vcc_lo, v10, v10
	v_cmp_o_f32_e64 s6, v9, v9
	s_delay_alu instid0(VALU_DEP_1) | instskip(NEXT) | instid1(SALU_CYCLE_1)
	s_and_b32 s6, vcc_lo, s6
	s_and_saveexec_b32 s7, s6
	s_delay_alu instid0(SALU_CYCLE_1)
	s_xor_b32 s27, exec_lo, s7
	s_cbranch_execz .LBB63_194
; %bb.111:                              ;   in Loop: Header=BB63_4 Depth=1
	v_max_f32_e64 v25, |v9|, |v9|
	v_max_f32_e64 v23, |v10|, |v10|
	s_mov_b32 s6, exec_lo
	s_waitcnt lgkmcnt(0)
	s_delay_alu instid0(VALU_DEP_1) | instskip(NEXT) | instid1(VALU_DEP_1)
	v_max_f32_e32 v24, v23, v25
	v_cmpx_nlt_f32_e32 0x4b000000, v24
	s_xor_b32 s28, exec_lo, s6
	s_cbranch_execz .LBB63_171
; %bb.112:                              ;   in Loop: Header=BB63_4 Depth=1
	v_cmp_neq_f32_e32 vcc_lo, 0, v10
	v_cmp_neq_f32_e64 s6, 0, v9
	s_delay_alu instid0(VALU_DEP_1) | instskip(NEXT) | instid1(SALU_CYCLE_1)
	s_or_b32 s6, vcc_lo, s6
	s_and_saveexec_b32 s29, s6
	s_cbranch_execz .LBB63_170
; %bb.113:                              ;   in Loop: Header=BB63_4 Depth=1
	v_dual_mov_b32 v25, s13 :: v_dual_mov_b32 v24, s12
	v_cmp_ngt_f32_e64 s6, 0x395db3d7, |v10|
	v_cmp_ngt_f32_e64 s7, 0x395db3d7, |v9|
	flat_store_b32 v[24:25], v21 dlc
	s_waitcnt_vscnt null, 0x0
	flat_load_b32 v24, v[24:25] glc dlc
	s_waitcnt vmcnt(0)
	s_or_b32 s6, s6, s7
	s_waitcnt lgkmcnt(0)
	v_dual_add_f32 v26, 1.0, v24 :: v_dual_mov_b32 v25, s15
	v_mov_b32_e32 v24, s14
	flat_store_b32 v[24:25], v26 dlc
	s_waitcnt_vscnt null, 0x0
	flat_load_b32 v24, v[24:25] glc dlc
	s_waitcnt vmcnt(0)
	s_and_saveexec_b32 s30, s6
	s_cbranch_execz .LBB63_169
; %bb.114:                              ;   in Loop: Header=BB63_4 Depth=1
	v_add_f32_e64 v25, |v9|, 1.0
	s_waitcnt lgkmcnt(0)
	v_add_f32_e64 v24, |v9|, -1.0
	s_mov_b32 s6, exec_lo
	s_delay_alu instid0(VALU_DEP_2) | instskip(NEXT) | instid1(VALU_DEP_2)
	v_max_f32_e64 v30, v23, |v25|
	v_max_f32_e64 v23, v23, |v24|
	s_delay_alu instid0(VALU_DEP_2) | instskip(NEXT) | instid1(VALU_DEP_2)
	v_cvt_f64_f32_e32 v[26:27], v30
	v_cvt_f64_f32_e32 v[28:29], v23
	v_cmp_neq_f32_e32 vcc_lo, 0x7f800000, v30
	s_delay_alu instid0(VALU_DEP_3) | instskip(NEXT) | instid1(VALU_DEP_3)
	v_frexp_exp_i32_f64_e32 v26, v[26:27]
	v_frexp_exp_i32_f64_e32 v27, v[28:29]
	s_delay_alu instid0(VALU_DEP_2) | instskip(NEXT) | instid1(VALU_DEP_2)
	v_sub_nc_u32_e32 v28, 0, v26
	v_sub_nc_u32_e32 v29, 0, v27
	s_delay_alu instid0(VALU_DEP_2) | instskip(NEXT) | instid1(VALU_DEP_2)
	v_ldexp_f32 v31, |v25|, v28
	v_ldexp_f32 v32, |v24|, v29
	;; [unrolled: 1-line block ×4, first 2 shown]
	s_delay_alu instid0(VALU_DEP_3) | instskip(NEXT) | instid1(VALU_DEP_1)
	v_dual_mul_f32 v31, v31, v31 :: v_dual_mul_f32 v32, v32, v32
	v_dual_fmac_f32 v31, v28, v28 :: v_dual_fmac_f32 v32, v29, v29
	s_delay_alu instid0(VALU_DEP_1) | instskip(NEXT) | instid1(VALU_DEP_1)
	v_sqrt_f32_e32 v28, v31
	v_sqrt_f32_e32 v29, v32
	s_waitcnt_depctr 0xfff
	v_ldexp_f32 v26, v28, v26
	v_ldexp_f32 v27, v29, v27
                                        ; implicit-def: $vgpr29
	s_delay_alu instid0(VALU_DEP_2) | instskip(SKIP_1) | instid1(VALU_DEP_3)
	v_cndmask_b32_e32 v28, 0x7f800000, v26, vcc_lo
	v_cmp_neq_f32_e32 vcc_lo, 0x7f800000, v23
	v_cndmask_b32_e32 v26, 0x7f800000, v27, vcc_lo
	s_delay_alu instid0(VALU_DEP_1) | instskip(NEXT) | instid1(VALU_DEP_1)
	v_add_f32_e32 v23, v28, v26
	v_mul_f32_e32 v23, 0.5, v23
	s_delay_alu instid0(VALU_DEP_1) | instskip(SKIP_1) | instid1(VALU_DEP_1)
	v_cmp_ngt_f32_e32 vcc_lo, 1.0, v23
	v_cndmask_b32_e32 v23, 1.0, v23, vcc_lo
	v_cmpx_ngt_f32_e32 0x41200000, v23
	s_xor_b32 s7, exec_lo, s6
	s_cbranch_execz .LBB63_116
; %bb.115:                              ;   in Loop: Header=BB63_4 Depth=1
	v_fma_f32 v27, v23, v23, -1.0
	s_delay_alu instid0(VALU_DEP_1) | instskip(SKIP_1) | instid1(VALU_DEP_2)
	v_mul_f32_e32 v29, 0x4f800000, v27
	v_cmp_gt_f32_e32 vcc_lo, 0xf800000, v27
	v_cndmask_b32_e32 v27, v27, v29, vcc_lo
	s_delay_alu instid0(VALU_DEP_1) | instskip(SKIP_3) | instid1(VALU_DEP_2)
	v_sqrt_f32_e32 v29, v27
	s_waitcnt_depctr 0xfff
	v_add_nc_u32_e32 v30, -1, v29
	v_add_nc_u32_e32 v31, 1, v29
	v_fma_f32 v32, -v30, v29, v27
	s_delay_alu instid0(VALU_DEP_2) | instskip(NEXT) | instid1(VALU_DEP_2)
	v_fma_f32 v33, -v31, v29, v27
	v_cmp_ge_f32_e64 s6, 0, v32
	s_delay_alu instid0(VALU_DEP_1) | instskip(NEXT) | instid1(VALU_DEP_3)
	v_cndmask_b32_e64 v29, v29, v30, s6
	v_cmp_lt_f32_e64 s6, 0, v33
	s_delay_alu instid0(VALU_DEP_1) | instskip(NEXT) | instid1(VALU_DEP_1)
	v_cndmask_b32_e64 v29, v29, v31, s6
	v_mul_f32_e32 v30, 0x37800000, v29
	s_delay_alu instid0(VALU_DEP_1) | instskip(SKIP_1) | instid1(VALU_DEP_2)
	v_cndmask_b32_e32 v29, v29, v30, vcc_lo
	v_cmp_class_f32_e64 vcc_lo, v27, 0x260
	v_cndmask_b32_e32 v27, v29, v27, vcc_lo
	s_delay_alu instid0(VALU_DEP_1) | instskip(NEXT) | instid1(VALU_DEP_1)
	v_add_f32_e32 v27, v23, v27
	v_cmp_gt_f32_e32 vcc_lo, 0x800000, v27
	s_delay_alu instid0(VALU_DEP_4) | instskip(NEXT) | instid1(VALU_DEP_1)
	v_cndmask_b32_e64 v29, 1.0, 0x4f800000, vcc_lo
	v_mul_f32_e32 v27, v27, v29
	s_delay_alu instid0(VALU_DEP_1) | instskip(SKIP_3) | instid1(VALU_DEP_2)
	v_log_f32_e32 v27, v27
	s_waitcnt_depctr 0xfff
	v_mul_f32_e32 v29, 0x3f317217, v27
	v_cmp_gt_f32_e64 s6, 0x7f800000, |v27|
	v_fma_f32 v30, 0x3f317217, v27, -v29
	s_delay_alu instid0(VALU_DEP_1) | instskip(NEXT) | instid1(VALU_DEP_1)
	v_fmac_f32_e32 v30, 0x3377d1cf, v27
	v_add_f32_e32 v29, v29, v30
	s_delay_alu instid0(VALU_DEP_1) | instskip(SKIP_1) | instid1(VALU_DEP_1)
	v_cndmask_b32_e64 v27, v27, v29, s6
	v_cndmask_b32_e64 v29, 0, 0x41b17218, vcc_lo
	v_sub_f32_e32 v29, v27, v29
.LBB63_116:                             ;   in Loop: Header=BB63_4 Depth=1
	s_or_saveexec_b32 s7, s7
	v_and_b32_e32 v27, 0x7fffffff, v10
	s_xor_b32 exec_lo, exec_lo, s7
	s_cbranch_execz .LBB63_138
; %bb.117:                              ;   in Loop: Header=BB63_4 Depth=1
	v_cmp_neq_f32_e64 s6, |v9|, 1.0
	v_cmp_ngt_f32_e64 s31, 0x25000000, |v10|
                                        ; implicit-def: $vgpr29
	s_delay_alu instid0(VALU_DEP_1) | instskip(NEXT) | instid1(SALU_CYCLE_1)
	s_or_b32 s6, s31, s6
	s_and_saveexec_b32 s31, s6
	s_delay_alu instid0(SALU_CYCLE_1)
	s_xor_b32 s31, exec_lo, s31
	s_cbranch_execz .LBB63_135
; %bb.118:                              ;   in Loop: Header=BB63_4 Depth=1
	v_mul_f32_e64 v29, 0x34000000, |v24|
	s_delay_alu instid0(VALU_DEP_1) | instskip(NEXT) | instid1(VALU_DEP_1)
	v_cmp_le_f32_e64 s6, v29, |v10|
                                        ; implicit-def: $vgpr29
	s_and_saveexec_b32 s33, s6
	s_delay_alu instid0(SALU_CYCLE_1)
	s_xor_b32 s33, exec_lo, s33
	s_cbranch_execz .LBB63_128
; %bb.119:                              ;   in Loop: Header=BB63_4 Depth=1
	v_mov_b32_e32 v29, v27
	s_mov_b32 s6, exec_lo
	v_cmpx_neq_f32_e32 0, v25
	s_cbranch_execz .LBB63_121
; %bb.120:                              ;   in Loop: Header=BB63_4 Depth=1
	v_dual_mul_f32 v29, v10, v10 :: v_dual_add_f32 v30, v25, v28
	s_delay_alu instid0(VALU_DEP_1) | instskip(NEXT) | instid1(VALU_DEP_1)
	v_div_scale_f32 v31, null, v30, v30, v29
	v_rcp_f32_e32 v32, v31
	s_waitcnt_depctr 0xfff
	v_fma_f32 v33, -v31, v32, 1.0
	s_delay_alu instid0(VALU_DEP_1) | instskip(SKIP_1) | instid1(VALU_DEP_1)
	v_fmac_f32_e32 v32, v33, v32
	v_div_scale_f32 v33, vcc_lo, v29, v30, v29
	v_mul_f32_e32 v34, v33, v32
	s_delay_alu instid0(VALU_DEP_1) | instskip(NEXT) | instid1(VALU_DEP_1)
	v_fma_f32 v35, -v31, v34, v33
	v_fmac_f32_e32 v34, v35, v32
	s_delay_alu instid0(VALU_DEP_1) | instskip(NEXT) | instid1(VALU_DEP_1)
	v_fma_f32 v31, -v31, v34, v33
	v_div_fmas_f32 v31, v31, v32, v34
	s_delay_alu instid0(VALU_DEP_1)
	v_div_fixup_f32 v29, v31, v30, v29
.LBB63_121:                             ;   in Loop: Header=BB63_4 Depth=1
	s_or_b32 exec_lo, exec_lo, s6
	v_sub_f32_e64 v31, 1.0, |v9|
	s_mov_b32 s6, exec_lo
                                        ; implicit-def: $vgpr30
	s_delay_alu instid0(VALU_DEP_1)
	v_cmpx_ngt_f32_e32 0, v31
	s_xor_b32 s6, exec_lo, s6
	s_cbranch_execz .LBB63_125
; %bb.122:                              ;   in Loop: Header=BB63_4 Depth=1
	v_mov_b32_e32 v30, v27
	s_mov_b32 s34, exec_lo
	v_cmpx_neq_f32_e32 0, v31
	s_cbranch_execz .LBB63_124
; %bb.123:                              ;   in Loop: Header=BB63_4 Depth=1
	v_mul_f32_e32 v30, v10, v10
	v_add_f32_e32 v31, v31, v26
	s_delay_alu instid0(VALU_DEP_1) | instskip(NEXT) | instid1(VALU_DEP_1)
	v_div_scale_f32 v32, null, v31, v31, v30
	v_rcp_f32_e32 v33, v32
	s_waitcnt_depctr 0xfff
	v_fma_f32 v34, -v32, v33, 1.0
	s_delay_alu instid0(VALU_DEP_1) | instskip(SKIP_1) | instid1(VALU_DEP_1)
	v_fmac_f32_e32 v33, v34, v33
	v_div_scale_f32 v34, vcc_lo, v30, v31, v30
	v_mul_f32_e32 v35, v34, v33
	s_delay_alu instid0(VALU_DEP_1) | instskip(NEXT) | instid1(VALU_DEP_1)
	v_fma_f32 v36, -v32, v35, v34
	v_fmac_f32_e32 v35, v36, v33
	s_delay_alu instid0(VALU_DEP_1) | instskip(NEXT) | instid1(VALU_DEP_1)
	v_fma_f32 v32, -v32, v35, v34
	v_div_fmas_f32 v32, v32, v33, v35
	s_delay_alu instid0(VALU_DEP_1)
	v_div_fixup_f32 v30, v32, v31, v30
.LBB63_124:                             ;   in Loop: Header=BB63_4 Depth=1
	s_or_b32 exec_lo, exec_lo, s34
                                        ; implicit-def: $vgpr31
.LBB63_125:                             ;   in Loop: Header=BB63_4 Depth=1
	s_and_not1_saveexec_b32 s6, s6
; %bb.126:                              ;   in Loop: Header=BB63_4 Depth=1
	v_sub_f32_e32 v30, v26, v31
; %bb.127:                              ;   in Loop: Header=BB63_4 Depth=1
	s_or_b32 exec_lo, exec_lo, s6
	s_delay_alu instid0(VALU_DEP_1) | instskip(NEXT) | instid1(VALU_DEP_1)
	v_dual_mul_f32 v30, 0.5, v30 :: v_dual_add_f32 v31, 1.0, v23
	v_fmac_f32_e32 v30, 0.5, v29
	s_delay_alu instid0(VALU_DEP_1) | instskip(NEXT) | instid1(VALU_DEP_1)
	v_mul_f32_e32 v29, v31, v30
	v_mul_f32_e32 v31, 0x4f800000, v29
	v_cmp_gt_f32_e32 vcc_lo, 0xf800000, v29
	s_delay_alu instid0(VALU_DEP_2) | instskip(NEXT) | instid1(VALU_DEP_1)
	v_cndmask_b32_e32 v29, v29, v31, vcc_lo
	v_sqrt_f32_e32 v31, v29
	s_waitcnt_depctr 0xfff
	v_add_nc_u32_e32 v32, -1, v31
	v_add_nc_u32_e32 v33, 1, v31
	s_delay_alu instid0(VALU_DEP_2) | instskip(NEXT) | instid1(VALU_DEP_2)
	v_fma_f32 v34, -v32, v31, v29
	v_fma_f32 v35, -v33, v31, v29
	s_delay_alu instid0(VALU_DEP_2) | instskip(NEXT) | instid1(VALU_DEP_1)
	v_cmp_ge_f32_e64 s6, 0, v34
	v_cndmask_b32_e64 v31, v31, v32, s6
	s_delay_alu instid0(VALU_DEP_3) | instskip(NEXT) | instid1(VALU_DEP_1)
	v_cmp_lt_f32_e64 s6, 0, v35
	v_cndmask_b32_e64 v31, v31, v33, s6
	s_delay_alu instid0(VALU_DEP_1) | instskip(NEXT) | instid1(VALU_DEP_1)
	v_mul_f32_e32 v32, 0x37800000, v31
	v_cndmask_b32_e32 v31, v31, v32, vcc_lo
	v_cmp_class_f32_e64 vcc_lo, v29, 0x260
	s_delay_alu instid0(VALU_DEP_2) | instskip(NEXT) | instid1(VALU_DEP_1)
	v_cndmask_b32_e32 v29, v31, v29, vcc_lo
	v_add_f32_e32 v31, v30, v29
	s_delay_alu instid0(VALU_DEP_1) | instskip(NEXT) | instid1(VALU_DEP_1)
	v_add_f32_e32 v32, 1.0, v31
	v_cvt_f64_f32_e32 v[29:30], v32
	s_delay_alu instid0(VALU_DEP_1) | instskip(SKIP_1) | instid1(VALU_DEP_1)
	v_frexp_exp_i32_f64_e32 v29, v[29:30]
	v_frexp_mant_f32_e32 v30, v32
	v_cmp_gt_f32_e32 vcc_lo, 0x3f2aaaab, v30
	v_add_f32_e32 v30, -1.0, v32
	s_delay_alu instid0(VALU_DEP_1) | instskip(NEXT) | instid1(VALU_DEP_1)
	v_sub_f32_e32 v34, v30, v32
	v_add_f32_e32 v34, 1.0, v34
	v_subrev_co_ci_u32_e32 v29, vcc_lo, 0, v29, vcc_lo
	s_delay_alu instid0(VALU_DEP_1) | instskip(SKIP_1) | instid1(VALU_DEP_2)
	v_sub_nc_u32_e32 v33, 0, v29
	v_cvt_f32_i32_e32 v29, v29
	v_ldexp_f32 v32, v32, v33
	s_delay_alu instid0(VALU_DEP_1) | instskip(NEXT) | instid1(VALU_DEP_1)
	v_dual_sub_f32 v30, v31, v30 :: v_dual_add_f32 v35, 1.0, v32
	v_add_f32_e32 v30, v30, v34
	s_delay_alu instid0(VALU_DEP_2) | instskip(NEXT) | instid1(VALU_DEP_2)
	v_add_f32_e32 v34, -1.0, v35
	v_ldexp_f32 v30, v30, v33
	v_add_f32_e32 v33, -1.0, v32
	v_cmp_eq_f32_e32 vcc_lo, 0x7f800000, v31
	s_delay_alu instid0(VALU_DEP_4) | instskip(NEXT) | instid1(VALU_DEP_3)
	v_sub_f32_e32 v34, v32, v34
	v_add_f32_e32 v36, 1.0, v33
	s_delay_alu instid0(VALU_DEP_2) | instskip(NEXT) | instid1(VALU_DEP_2)
	v_add_f32_e32 v34, v30, v34
	v_sub_f32_e32 v32, v32, v36
	s_delay_alu instid0(VALU_DEP_1) | instskip(NEXT) | instid1(VALU_DEP_1)
	v_add_f32_e32 v30, v30, v32
	v_add_f32_e32 v37, v33, v30
	s_delay_alu instid0(VALU_DEP_1) | instskip(NEXT) | instid1(VALU_DEP_1)
	v_dual_add_f32 v36, v35, v34 :: v_dual_sub_f32 v33, v37, v33
	v_rcp_f32_e32 v32, v36
	v_sub_f32_e32 v35, v36, v35
	s_delay_alu instid0(VALU_DEP_1) | instskip(SKIP_2) | instid1(VALU_DEP_1)
	v_sub_f32_e32 v34, v34, v35
	s_waitcnt_depctr 0xfff
	v_mul_f32_e32 v38, v37, v32
	v_mul_f32_e32 v39, v36, v38
	s_delay_alu instid0(VALU_DEP_1) | instskip(NEXT) | instid1(VALU_DEP_1)
	v_fma_f32 v35, v38, v36, -v39
	v_fmac_f32_e32 v35, v38, v34
	v_sub_f32_e32 v30, v30, v33
	s_delay_alu instid0(VALU_DEP_2) | instskip(NEXT) | instid1(VALU_DEP_1)
	v_add_f32_e32 v40, v39, v35
	v_sub_f32_e32 v41, v37, v40
	v_sub_f32_e32 v33, v40, v39
	s_delay_alu instid0(VALU_DEP_2) | instskip(NEXT) | instid1(VALU_DEP_2)
	v_sub_f32_e32 v37, v37, v41
	v_sub_f32_e32 v33, v33, v35
	s_delay_alu instid0(VALU_DEP_2) | instskip(NEXT) | instid1(VALU_DEP_1)
	v_sub_f32_e32 v37, v37, v40
	v_add_f32_e32 v30, v30, v37
	s_delay_alu instid0(VALU_DEP_1) | instskip(NEXT) | instid1(VALU_DEP_1)
	v_add_f32_e32 v30, v33, v30
	v_add_f32_e32 v33, v41, v30
	s_delay_alu instid0(VALU_DEP_1) | instskip(NEXT) | instid1(VALU_DEP_1)
	v_mul_f32_e32 v35, v32, v33
	v_dual_sub_f32 v40, v41, v33 :: v_dual_mul_f32 v37, v36, v35
	s_delay_alu instid0(VALU_DEP_1) | instskip(NEXT) | instid1(VALU_DEP_2)
	v_add_f32_e32 v30, v30, v40
	v_fma_f32 v36, v35, v36, -v37
	s_delay_alu instid0(VALU_DEP_1) | instskip(NEXT) | instid1(VALU_DEP_1)
	v_fmac_f32_e32 v36, v35, v34
	v_add_f32_e32 v34, v37, v36
	s_delay_alu instid0(VALU_DEP_1) | instskip(NEXT) | instid1(VALU_DEP_1)
	v_sub_f32_e32 v39, v33, v34
	v_sub_f32_e32 v33, v33, v39
	s_delay_alu instid0(VALU_DEP_1) | instskip(NEXT) | instid1(VALU_DEP_1)
	v_sub_f32_e32 v33, v33, v34
	v_add_f32_e32 v30, v30, v33
	v_add_f32_e32 v33, v38, v35
	v_sub_f32_e32 v37, v34, v37
	s_delay_alu instid0(VALU_DEP_1) | instskip(NEXT) | instid1(VALU_DEP_1)
	v_sub_f32_e32 v34, v37, v36
	v_add_f32_e32 v30, v34, v30
	s_delay_alu instid0(VALU_DEP_4) | instskip(NEXT) | instid1(VALU_DEP_2)
	v_sub_f32_e32 v34, v33, v38
	v_add_f32_e32 v30, v39, v30
	s_delay_alu instid0(VALU_DEP_2) | instskip(NEXT) | instid1(VALU_DEP_2)
	v_sub_f32_e32 v34, v35, v34
	v_mul_f32_e32 v30, v32, v30
	s_delay_alu instid0(VALU_DEP_1) | instskip(NEXT) | instid1(VALU_DEP_1)
	v_add_f32_e32 v30, v34, v30
	v_add_f32_e32 v32, v33, v30
	s_delay_alu instid0(VALU_DEP_1) | instskip(NEXT) | instid1(VALU_DEP_1)
	v_mul_f32_e32 v34, v32, v32
	v_fmaak_f32 v35, s24, v34, 0x3ecc95a3
	v_mul_f32_e32 v36, v32, v34
	s_delay_alu instid0(VALU_DEP_2) | instskip(SKIP_2) | instid1(VALU_DEP_3)
	v_fmaak_f32 v34, v34, v35, 0x3f2aaada
	v_ldexp_f32 v35, v32, 1
	v_sub_f32_e32 v32, v32, v33
	v_mul_f32_e32 v34, v36, v34
	v_mul_f32_e32 v36, 0x3f317218, v29
	s_delay_alu instid0(VALU_DEP_2) | instskip(NEXT) | instid1(VALU_DEP_1)
	v_dual_sub_f32 v30, v30, v32 :: v_dual_add_f32 v33, v35, v34
	v_ldexp_f32 v30, v30, 1
	s_delay_alu instid0(VALU_DEP_2) | instskip(NEXT) | instid1(VALU_DEP_4)
	v_sub_f32_e32 v32, v33, v35
	v_fma_f32 v35, 0x3f317218, v29, -v36
	s_delay_alu instid0(VALU_DEP_1) | instskip(NEXT) | instid1(VALU_DEP_1)
	v_dual_sub_f32 v32, v34, v32 :: v_dual_fmac_f32 v35, 0xb102e308, v29
	v_dual_add_f32 v29, v30, v32 :: v_dual_add_f32 v30, v36, v35
	s_delay_alu instid0(VALU_DEP_1) | instskip(NEXT) | instid1(VALU_DEP_2)
	v_add_f32_e32 v32, v33, v29
	v_sub_f32_e32 v36, v30, v36
	s_delay_alu instid0(VALU_DEP_2) | instskip(NEXT) | instid1(VALU_DEP_2)
	v_dual_add_f32 v34, v30, v32 :: v_dual_sub_f32 v33, v32, v33
	v_sub_f32_e32 v35, v35, v36
	s_delay_alu instid0(VALU_DEP_2) | instskip(NEXT) | instid1(VALU_DEP_3)
	v_sub_f32_e32 v37, v34, v30
	v_sub_f32_e32 v29, v29, v33
	s_delay_alu instid0(VALU_DEP_2) | instskip(SKIP_1) | instid1(VALU_DEP_2)
	v_sub_f32_e32 v38, v34, v37
	v_sub_f32_e32 v32, v32, v37
	v_dual_add_f32 v33, v35, v29 :: v_dual_sub_f32 v30, v30, v38
	s_delay_alu instid0(VALU_DEP_1) | instskip(NEXT) | instid1(VALU_DEP_2)
	v_add_f32_e32 v30, v32, v30
	v_sub_f32_e32 v32, v33, v35
	s_delay_alu instid0(VALU_DEP_2) | instskip(NEXT) | instid1(VALU_DEP_2)
	v_add_f32_e32 v30, v33, v30
	v_sub_f32_e32 v33, v33, v32
	s_delay_alu instid0(VALU_DEP_2) | instskip(NEXT) | instid1(VALU_DEP_1)
	v_dual_sub_f32 v29, v29, v32 :: v_dual_add_f32 v36, v34, v30
	v_dual_sub_f32 v33, v35, v33 :: v_dual_sub_f32 v32, v36, v34
	s_delay_alu instid0(VALU_DEP_1) | instskip(NEXT) | instid1(VALU_DEP_1)
	v_dual_add_f32 v29, v29, v33 :: v_dual_sub_f32 v30, v30, v32
	v_add_f32_e32 v29, v29, v30
	s_delay_alu instid0(VALU_DEP_1) | instskip(NEXT) | instid1(VALU_DEP_1)
	v_add_f32_e32 v29, v36, v29
	v_cndmask_b32_e32 v29, v29, v31, vcc_lo
	v_cmp_ngt_f32_e32 vcc_lo, -1.0, v31
	s_delay_alu instid0(VALU_DEP_2) | instskip(SKIP_1) | instid1(VALU_DEP_2)
	v_cndmask_b32_e32 v29, 0x7fc00000, v29, vcc_lo
	v_cmp_neq_f32_e32 vcc_lo, -1.0, v31
	v_cndmask_b32_e32 v29, 0xff800000, v29, vcc_lo
	v_cmp_gt_f32_e64 vcc_lo, 0x33800000, |v31|
	s_delay_alu instid0(VALU_DEP_2)
	v_cndmask_b32_e32 v29, v29, v31, vcc_lo
.LBB63_128:                             ;   in Loop: Header=BB63_4 Depth=1
	s_and_not1_saveexec_b32 s33, s33
	s_cbranch_execz .LBB63_134
; %bb.129:                              ;   in Loop: Header=BB63_4 Depth=1
	s_mov_b32 s34, exec_lo
                                        ; implicit-def: $vgpr29
	v_cmpx_nlt_f32_e64 |v9|, 1.0
	s_xor_b32 s34, exec_lo, s34
	s_cbranch_execz .LBB63_131
; %bb.130:                              ;   in Loop: Header=BB63_4 Depth=1
	v_mul_f32_e32 v29, v24, v25
	s_delay_alu instid0(VALU_DEP_1) | instskip(SKIP_1) | instid1(VALU_DEP_2)
	v_mul_f32_e32 v30, 0x4f800000, v29
	v_cmp_gt_f32_e32 vcc_lo, 0xf800000, v29
	v_cndmask_b32_e32 v29, v29, v30, vcc_lo
	s_delay_alu instid0(VALU_DEP_1) | instskip(SKIP_3) | instid1(VALU_DEP_2)
	v_sqrt_f32_e32 v30, v29
	s_waitcnt_depctr 0xfff
	v_add_nc_u32_e32 v31, -1, v30
	v_add_nc_u32_e32 v32, 1, v30
	v_fma_f32 v33, -v31, v30, v29
	s_delay_alu instid0(VALU_DEP_2) | instskip(NEXT) | instid1(VALU_DEP_2)
	v_fma_f32 v34, -v32, v30, v29
	v_cmp_ge_f32_e64 s6, 0, v33
	s_delay_alu instid0(VALU_DEP_1) | instskip(NEXT) | instid1(VALU_DEP_3)
	v_cndmask_b32_e64 v30, v30, v31, s6
	v_cmp_lt_f32_e64 s6, 0, v34
	s_delay_alu instid0(VALU_DEP_1) | instskip(NEXT) | instid1(VALU_DEP_1)
	v_cndmask_b32_e64 v30, v30, v32, s6
	v_mul_f32_e32 v31, 0x37800000, v30
	s_delay_alu instid0(VALU_DEP_1) | instskip(SKIP_1) | instid1(VALU_DEP_2)
	v_cndmask_b32_e32 v30, v30, v31, vcc_lo
	v_cmp_class_f32_e64 vcc_lo, v29, 0x260
	v_cndmask_b32_e32 v29, v30, v29, vcc_lo
	s_delay_alu instid0(VALU_DEP_1) | instskip(NEXT) | instid1(VALU_DEP_1)
	v_add_f32_e32 v31, v24, v29
	v_add_f32_e32 v32, 1.0, v31
	s_delay_alu instid0(VALU_DEP_1) | instskip(NEXT) | instid1(VALU_DEP_1)
	v_cvt_f64_f32_e32 v[29:30], v32
	v_frexp_exp_i32_f64_e32 v29, v[29:30]
	v_frexp_mant_f32_e32 v30, v32
	s_delay_alu instid0(VALU_DEP_1) | instskip(SKIP_1) | instid1(VALU_DEP_1)
	v_cmp_gt_f32_e32 vcc_lo, 0x3f2aaaab, v30
	v_add_f32_e32 v30, -1.0, v32
	v_sub_f32_e32 v34, v30, v32
	s_delay_alu instid0(VALU_DEP_1) | instskip(SKIP_2) | instid1(VALU_DEP_2)
	v_add_f32_e32 v34, 1.0, v34
	v_subrev_co_ci_u32_e32 v29, vcc_lo, 0, v29, vcc_lo
	v_cmp_eq_f32_e32 vcc_lo, 0x7f800000, v31
	v_sub_nc_u32_e32 v33, 0, v29
	v_cvt_f32_i32_e32 v29, v29
	s_delay_alu instid0(VALU_DEP_2) | instskip(NEXT) | instid1(VALU_DEP_1)
	v_ldexp_f32 v32, v32, v33
	v_dual_sub_f32 v30, v31, v30 :: v_dual_add_f32 v35, 1.0, v32
	s_delay_alu instid0(VALU_DEP_1) | instskip(NEXT) | instid1(VALU_DEP_1)
	v_add_f32_e32 v30, v30, v34
	v_ldexp_f32 v30, v30, v33
	s_delay_alu instid0(VALU_DEP_3) | instskip(NEXT) | instid1(VALU_DEP_1)
	v_dual_add_f32 v33, -1.0, v32 :: v_dual_add_f32 v34, -1.0, v35
	v_add_f32_e32 v36, 1.0, v33
	s_delay_alu instid0(VALU_DEP_2) | instskip(NEXT) | instid1(VALU_DEP_2)
	v_sub_f32_e32 v34, v32, v34
	v_sub_f32_e32 v32, v32, v36
	s_delay_alu instid0(VALU_DEP_2) | instskip(NEXT) | instid1(VALU_DEP_2)
	v_add_f32_e32 v34, v30, v34
	v_add_f32_e32 v30, v30, v32
	s_delay_alu instid0(VALU_DEP_1) | instskip(NEXT) | instid1(VALU_DEP_1)
	v_add_f32_e32 v37, v33, v30
	v_dual_sub_f32 v33, v37, v33 :: v_dual_add_f32 v36, v35, v34
	s_delay_alu instid0(VALU_DEP_1) | instskip(SKIP_1) | instid1(VALU_DEP_1)
	v_rcp_f32_e32 v32, v36
	v_sub_f32_e32 v35, v36, v35
	v_sub_f32_e32 v34, v34, v35
	s_waitcnt_depctr 0xfff
	v_mul_f32_e32 v38, v37, v32
	s_delay_alu instid0(VALU_DEP_1) | instskip(NEXT) | instid1(VALU_DEP_1)
	v_mul_f32_e32 v39, v36, v38
	v_fma_f32 v35, v38, v36, -v39
	s_delay_alu instid0(VALU_DEP_1) | instskip(SKIP_1) | instid1(VALU_DEP_2)
	v_fmac_f32_e32 v35, v38, v34
	v_sub_f32_e32 v30, v30, v33
	v_add_f32_e32 v40, v39, v35
	s_delay_alu instid0(VALU_DEP_1) | instskip(SKIP_1) | instid1(VALU_DEP_2)
	v_sub_f32_e32 v41, v37, v40
	v_sub_f32_e32 v33, v40, v39
	;; [unrolled: 1-line block ×3, first 2 shown]
	s_delay_alu instid0(VALU_DEP_2) | instskip(NEXT) | instid1(VALU_DEP_2)
	v_sub_f32_e32 v33, v33, v35
	v_sub_f32_e32 v37, v37, v40
	s_delay_alu instid0(VALU_DEP_1) | instskip(NEXT) | instid1(VALU_DEP_1)
	v_add_f32_e32 v30, v30, v37
	v_add_f32_e32 v30, v33, v30
	s_delay_alu instid0(VALU_DEP_1) | instskip(NEXT) | instid1(VALU_DEP_1)
	v_add_f32_e32 v33, v41, v30
	v_mul_f32_e32 v35, v32, v33
	s_delay_alu instid0(VALU_DEP_1) | instskip(NEXT) | instid1(VALU_DEP_1)
	v_dual_sub_f32 v40, v41, v33 :: v_dual_mul_f32 v37, v36, v35
	v_fma_f32 v36, v35, v36, -v37
	s_delay_alu instid0(VALU_DEP_1) | instskip(NEXT) | instid1(VALU_DEP_1)
	v_fmac_f32_e32 v36, v35, v34
	v_add_f32_e32 v34, v37, v36
	s_delay_alu instid0(VALU_DEP_1) | instskip(SKIP_1) | instid1(VALU_DEP_1)
	v_sub_f32_e32 v37, v34, v37
	v_dual_sub_f32 v39, v33, v34 :: v_dual_add_f32 v30, v30, v40
	v_sub_f32_e32 v33, v33, v39
	s_delay_alu instid0(VALU_DEP_1) | instskip(NEXT) | instid1(VALU_DEP_4)
	v_sub_f32_e32 v33, v33, v34
	v_sub_f32_e32 v34, v37, v36
	s_delay_alu instid0(VALU_DEP_2) | instskip(SKIP_1) | instid1(VALU_DEP_2)
	v_add_f32_e32 v30, v30, v33
	v_add_f32_e32 v33, v38, v35
	;; [unrolled: 1-line block ×3, first 2 shown]
	s_delay_alu instid0(VALU_DEP_2) | instskip(NEXT) | instid1(VALU_DEP_2)
	v_sub_f32_e32 v34, v33, v38
	v_add_f32_e32 v30, v39, v30
	s_delay_alu instid0(VALU_DEP_2) | instskip(NEXT) | instid1(VALU_DEP_2)
	v_sub_f32_e32 v34, v35, v34
	v_mul_f32_e32 v30, v32, v30
	s_delay_alu instid0(VALU_DEP_1) | instskip(NEXT) | instid1(VALU_DEP_1)
	v_add_f32_e32 v30, v34, v30
	v_add_f32_e32 v32, v33, v30
	s_delay_alu instid0(VALU_DEP_1) | instskip(NEXT) | instid1(VALU_DEP_1)
	v_mul_f32_e32 v34, v32, v32
	v_fmaak_f32 v35, s24, v34, 0x3ecc95a3
	v_mul_f32_e32 v36, v32, v34
	s_delay_alu instid0(VALU_DEP_2) | instskip(SKIP_2) | instid1(VALU_DEP_3)
	v_fmaak_f32 v34, v34, v35, 0x3f2aaada
	v_ldexp_f32 v35, v32, 1
	v_sub_f32_e32 v32, v32, v33
	v_mul_f32_e32 v34, v36, v34
	v_mul_f32_e32 v36, 0x3f317218, v29
	s_delay_alu instid0(VALU_DEP_2) | instskip(NEXT) | instid1(VALU_DEP_1)
	v_dual_sub_f32 v30, v30, v32 :: v_dual_add_f32 v33, v35, v34
	v_ldexp_f32 v30, v30, 1
	s_delay_alu instid0(VALU_DEP_2) | instskip(NEXT) | instid1(VALU_DEP_4)
	v_sub_f32_e32 v32, v33, v35
	v_fma_f32 v35, 0x3f317218, v29, -v36
	s_delay_alu instid0(VALU_DEP_1) | instskip(NEXT) | instid1(VALU_DEP_1)
	v_dual_sub_f32 v32, v34, v32 :: v_dual_fmac_f32 v35, 0xb102e308, v29
	v_dual_add_f32 v29, v30, v32 :: v_dual_add_f32 v30, v36, v35
	s_delay_alu instid0(VALU_DEP_1) | instskip(NEXT) | instid1(VALU_DEP_2)
	v_add_f32_e32 v32, v33, v29
	v_sub_f32_e32 v36, v30, v36
	s_delay_alu instid0(VALU_DEP_2) | instskip(NEXT) | instid1(VALU_DEP_2)
	v_dual_add_f32 v34, v30, v32 :: v_dual_sub_f32 v33, v32, v33
	v_sub_f32_e32 v35, v35, v36
	s_delay_alu instid0(VALU_DEP_2) | instskip(NEXT) | instid1(VALU_DEP_3)
	v_sub_f32_e32 v37, v34, v30
	v_sub_f32_e32 v29, v29, v33
	s_delay_alu instid0(VALU_DEP_2) | instskip(SKIP_1) | instid1(VALU_DEP_2)
	v_sub_f32_e32 v38, v34, v37
	v_sub_f32_e32 v32, v32, v37
	v_dual_add_f32 v33, v35, v29 :: v_dual_sub_f32 v30, v30, v38
	s_delay_alu instid0(VALU_DEP_1) | instskip(NEXT) | instid1(VALU_DEP_2)
	v_add_f32_e32 v30, v32, v30
	v_sub_f32_e32 v32, v33, v35
	s_delay_alu instid0(VALU_DEP_2) | instskip(NEXT) | instid1(VALU_DEP_2)
	v_add_f32_e32 v30, v33, v30
	v_sub_f32_e32 v33, v33, v32
	s_delay_alu instid0(VALU_DEP_2) | instskip(NEXT) | instid1(VALU_DEP_1)
	v_dual_sub_f32 v29, v29, v32 :: v_dual_add_f32 v36, v34, v30
	v_dual_sub_f32 v33, v35, v33 :: v_dual_sub_f32 v32, v36, v34
	s_delay_alu instid0(VALU_DEP_1) | instskip(NEXT) | instid1(VALU_DEP_1)
	v_dual_add_f32 v29, v29, v33 :: v_dual_sub_f32 v30, v30, v32
	v_add_f32_e32 v29, v29, v30
	s_delay_alu instid0(VALU_DEP_1) | instskip(NEXT) | instid1(VALU_DEP_1)
	v_add_f32_e32 v29, v36, v29
	v_cndmask_b32_e32 v29, v29, v31, vcc_lo
	v_cmp_ngt_f32_e32 vcc_lo, -1.0, v31
	s_delay_alu instid0(VALU_DEP_2) | instskip(SKIP_1) | instid1(VALU_DEP_2)
	v_cndmask_b32_e32 v29, 0x7fc00000, v29, vcc_lo
	v_cmp_neq_f32_e32 vcc_lo, -1.0, v31
	v_cndmask_b32_e32 v29, 0xff800000, v29, vcc_lo
	v_cmp_gt_f32_e64 vcc_lo, 0x33800000, |v31|
	s_delay_alu instid0(VALU_DEP_2)
	v_cndmask_b32_e32 v29, v29, v31, vcc_lo
.LBB63_131:                             ;   in Loop: Header=BB63_4 Depth=1
	s_and_not1_saveexec_b32 s34, s34
	s_cbranch_execz .LBB63_133
; %bb.132:                              ;   in Loop: Header=BB63_4 Depth=1
	v_sub_f32_e64 v29, 1.0, |v9|
	s_delay_alu instid0(VALU_DEP_1) | instskip(NEXT) | instid1(VALU_DEP_1)
	v_mul_f32_e32 v29, v29, v25
	v_mul_f32_e32 v30, 0x4f800000, v29
	v_cmp_gt_f32_e32 vcc_lo, 0xf800000, v29
	s_delay_alu instid0(VALU_DEP_2) | instskip(NEXT) | instid1(VALU_DEP_1)
	v_cndmask_b32_e32 v29, v29, v30, vcc_lo
	v_sqrt_f32_e32 v30, v29
	s_waitcnt_depctr 0xfff
	v_add_nc_u32_e32 v31, -1, v30
	v_add_nc_u32_e32 v32, 1, v30
	s_delay_alu instid0(VALU_DEP_2) | instskip(NEXT) | instid1(VALU_DEP_2)
	v_fma_f32 v33, -v31, v30, v29
	v_fma_f32 v34, -v32, v30, v29
	s_delay_alu instid0(VALU_DEP_2) | instskip(NEXT) | instid1(VALU_DEP_1)
	v_cmp_ge_f32_e64 s6, 0, v33
	v_cndmask_b32_e64 v30, v30, v31, s6
	s_delay_alu instid0(VALU_DEP_3) | instskip(NEXT) | instid1(VALU_DEP_1)
	v_cmp_lt_f32_e64 s6, 0, v34
	v_cndmask_b32_e64 v30, v30, v32, s6
	s_delay_alu instid0(VALU_DEP_1) | instskip(NEXT) | instid1(VALU_DEP_1)
	v_mul_f32_e32 v31, 0x37800000, v30
	v_cndmask_b32_e32 v30, v30, v31, vcc_lo
	v_cmp_class_f32_e64 vcc_lo, v29, 0x260
	v_and_b32_e32 v31, 0x7fffffff, v10
	s_delay_alu instid0(VALU_DEP_3) | instskip(NEXT) | instid1(VALU_DEP_1)
	v_cndmask_b32_e32 v29, v30, v29, vcc_lo
	v_div_scale_f32 v30, null, v29, v29, v31
	v_div_scale_f32 v31, vcc_lo, v31, v29, v31
	s_delay_alu instid0(VALU_DEP_2) | instskip(SKIP_2) | instid1(VALU_DEP_1)
	v_rcp_f32_e32 v32, v30
	s_waitcnt_depctr 0xfff
	v_fma_f32 v33, -v30, v32, 1.0
	v_fmac_f32_e32 v32, v33, v32
	s_delay_alu instid0(VALU_DEP_1) | instskip(NEXT) | instid1(VALU_DEP_1)
	v_mul_f32_e32 v33, v31, v32
	v_fma_f32 v34, -v30, v33, v31
	s_delay_alu instid0(VALU_DEP_1) | instskip(NEXT) | instid1(VALU_DEP_1)
	v_fmac_f32_e32 v33, v34, v32
	v_fma_f32 v30, -v30, v33, v31
	s_delay_alu instid0(VALU_DEP_1) | instskip(NEXT) | instid1(VALU_DEP_1)
	v_div_fmas_f32 v30, v30, v32, v33
	v_div_fixup_f32 v29, v30, v29, |v10|
.LBB63_133:                             ;   in Loop: Header=BB63_4 Depth=1
	s_or_b32 exec_lo, exec_lo, s34
.LBB63_134:                             ;   in Loop: Header=BB63_4 Depth=1
	s_delay_alu instid0(SALU_CYCLE_1)
	s_or_b32 exec_lo, exec_lo, s33
.LBB63_135:                             ;   in Loop: Header=BB63_4 Depth=1
	s_and_not1_saveexec_b32 s31, s31
	s_cbranch_execz .LBB63_137
; %bb.136:                              ;   in Loop: Header=BB63_4 Depth=1
	v_mul_f32_e64 v29, 0x4f800000, |v10|
	v_cmp_gt_f32_e64 vcc_lo, 0xf800000, |v10|
	s_delay_alu instid0(VALU_DEP_1) | instskip(NEXT) | instid1(VALU_DEP_1)
	v_cndmask_b32_e64 v29, |v10|, v29, vcc_lo
	v_sqrt_f32_e32 v30, v29
	s_waitcnt_depctr 0xfff
	v_add_nc_u32_e32 v31, -1, v30
	v_add_nc_u32_e32 v32, 1, v30
	s_delay_alu instid0(VALU_DEP_2) | instskip(NEXT) | instid1(VALU_DEP_2)
	v_fma_f32 v33, -v31, v30, v29
	v_fma_f32 v34, -v32, v30, v29
	s_delay_alu instid0(VALU_DEP_2) | instskip(NEXT) | instid1(VALU_DEP_1)
	v_cmp_ge_f32_e64 s6, 0, v33
	v_cndmask_b32_e64 v30, v30, v31, s6
	s_delay_alu instid0(VALU_DEP_3) | instskip(NEXT) | instid1(VALU_DEP_1)
	v_cmp_lt_f32_e64 s6, 0, v34
	v_cndmask_b32_e64 v30, v30, v32, s6
	s_delay_alu instid0(VALU_DEP_1) | instskip(NEXT) | instid1(VALU_DEP_1)
	v_mul_f32_e32 v31, 0x37800000, v30
	v_cndmask_b32_e32 v30, v30, v31, vcc_lo
	v_cmp_class_f32_e64 vcc_lo, v29, 0x260
	s_delay_alu instid0(VALU_DEP_2)
	v_cndmask_b32_e32 v29, v30, v29, vcc_lo
.LBB63_137:                             ;   in Loop: Header=BB63_4 Depth=1
	s_or_b32 exec_lo, exec_lo, s31
.LBB63_138:                             ;   in Loop: Header=BB63_4 Depth=1
	s_delay_alu instid0(SALU_CYCLE_1) | instskip(NEXT) | instid1(SALU_CYCLE_1)
	s_or_b32 exec_lo, exec_lo, s7
	s_mov_b32 s31, exec_lo
                                        ; implicit-def: $sgpr6
                                        ; implicit-def: $vgpr30
                                        ; implicit-def: $vgpr32
                                        ; implicit-def: $vgpr31
	v_cmpx_ngt_f32_e64 0x21000000, |v9|
	s_xor_b32 s31, exec_lo, s31
	s_cbranch_execz .LBB63_162
; %bb.139:                              ;   in Loop: Header=BB63_4 Depth=1
	v_and_b32_e32 v31, 0x7fffffff, v9
	s_mov_b32 s6, 0
	s_mov_b32 s33, exec_lo
	s_delay_alu instid0(VALU_DEP_1) | instskip(NEXT) | instid1(VALU_DEP_1)
	v_div_scale_f32 v30, null, v23, v23, v31
	v_rcp_f32_e32 v32, v30
	s_waitcnt_depctr 0xfff
	v_fma_f32 v33, -v30, v32, 1.0
	s_delay_alu instid0(VALU_DEP_1) | instskip(SKIP_1) | instid1(VALU_DEP_1)
	v_fmac_f32_e32 v32, v33, v32
	v_div_scale_f32 v33, vcc_lo, v31, v23, v31
	v_mul_f32_e32 v34, v33, v32
	s_delay_alu instid0(VALU_DEP_1) | instskip(NEXT) | instid1(VALU_DEP_1)
	v_fma_f32 v35, -v30, v34, v33
	v_fmac_f32_e32 v34, v35, v32
	s_delay_alu instid0(VALU_DEP_1) | instskip(NEXT) | instid1(VALU_DEP_1)
	v_fma_f32 v30, -v30, v34, v33
	v_div_fmas_f32 v30, v30, v32, v34
                                        ; implicit-def: $vgpr32
	s_delay_alu instid0(VALU_DEP_1) | instskip(NEXT) | instid1(VALU_DEP_1)
	v_div_fixup_f32 v30, v30, v23, |v9|
	v_cmpx_lt_f32_e32 0x3f244674, v30
	s_cbranch_execz .LBB63_161
; %bb.140:                              ;   in Loop: Header=BB63_4 Depth=1
	v_cmp_neq_f32_e64 s6, |v9|, 1.0
	v_cmp_ngt_f32_e64 s7, 0x30800000, |v10|
                                        ; implicit-def: $sgpr34
                                        ; implicit-def: $vgpr32
	s_delay_alu instid0(VALU_DEP_1) | instskip(NEXT) | instid1(SALU_CYCLE_1)
	s_or_b32 s6, s7, s6
	s_and_saveexec_b32 s7, s6
	s_delay_alu instid0(SALU_CYCLE_1)
	s_xor_b32 s7, exec_lo, s7
	s_cbranch_execz .LBB63_158
; %bb.141:                              ;   in Loop: Header=BB63_4 Depth=1
	v_mul_f32_e64 v32, 0x34000000, |v24|
                                        ; implicit-def: $sgpr34
	s_delay_alu instid0(VALU_DEP_1) | instskip(NEXT) | instid1(VALU_DEP_1)
	v_cmp_le_f32_e64 s6, v32, |v10|
                                        ; implicit-def: $vgpr32
	s_and_saveexec_b32 s35, s6
	s_delay_alu instid0(SALU_CYCLE_1)
	s_xor_b32 s35, exec_lo, s35
	s_cbranch_execz .LBB63_151
; %bb.142:                              ;   in Loop: Header=BB63_4 Depth=1
	v_mov_b32_e32 v32, v27
	s_mov_b32 s6, exec_lo
	v_cmpx_neq_f32_e32 0, v25
	s_cbranch_execz .LBB63_144
; %bb.143:                              ;   in Loop: Header=BB63_4 Depth=1
	v_dual_mul_f32 v32, v10, v10 :: v_dual_add_f32 v25, v25, v28
	s_delay_alu instid0(VALU_DEP_1) | instskip(NEXT) | instid1(VALU_DEP_1)
	v_div_scale_f32 v28, null, v25, v25, v32
	v_rcp_f32_e32 v33, v28
	s_waitcnt_depctr 0xfff
	v_fma_f32 v34, -v28, v33, 1.0
	s_delay_alu instid0(VALU_DEP_1) | instskip(SKIP_1) | instid1(VALU_DEP_1)
	v_fmac_f32_e32 v33, v34, v33
	v_div_scale_f32 v34, vcc_lo, v32, v25, v32
	v_mul_f32_e32 v35, v34, v33
	s_delay_alu instid0(VALU_DEP_1) | instskip(NEXT) | instid1(VALU_DEP_1)
	v_fma_f32 v36, -v28, v35, v34
	v_fmac_f32_e32 v35, v36, v33
	s_delay_alu instid0(VALU_DEP_1) | instskip(NEXT) | instid1(VALU_DEP_1)
	v_fma_f32 v28, -v28, v35, v34
	v_div_fmas_f32 v28, v28, v33, v35
	s_delay_alu instid0(VALU_DEP_1)
	v_div_fixup_f32 v32, v28, v25, v32
.LBB63_144:                             ;   in Loop: Header=BB63_4 Depth=1
	s_or_b32 exec_lo, exec_lo, s6
	s_delay_alu instid0(SALU_CYCLE_1)
	s_mov_b32 s6, exec_lo
	v_cmpx_ngt_f32_e32 0, v24
	s_xor_b32 s6, exec_lo, s6
	s_cbranch_execz .LBB63_148
; %bb.145:                              ;   in Loop: Header=BB63_4 Depth=1
	s_mov_b32 s34, exec_lo
	v_cmpx_neq_f32_e32 0, v24
	s_cbranch_execz .LBB63_147
; %bb.146:                              ;   in Loop: Header=BB63_4 Depth=1
	v_mul_f32_e32 v25, v10, v10
	v_add_f32_e32 v24, v24, v26
	s_delay_alu instid0(VALU_DEP_1) | instskip(NEXT) | instid1(VALU_DEP_1)
	v_div_scale_f32 v26, null, v24, v24, v25
	v_rcp_f32_e32 v27, v26
	s_waitcnt_depctr 0xfff
	v_fma_f32 v28, -v26, v27, 1.0
	s_delay_alu instid0(VALU_DEP_1) | instskip(SKIP_1) | instid1(VALU_DEP_1)
	v_fmac_f32_e32 v27, v28, v27
	v_div_scale_f32 v28, vcc_lo, v25, v24, v25
	v_mul_f32_e32 v33, v28, v27
	s_delay_alu instid0(VALU_DEP_1) | instskip(NEXT) | instid1(VALU_DEP_1)
	v_fma_f32 v34, -v26, v33, v28
	v_fmac_f32_e32 v33, v34, v27
	s_delay_alu instid0(VALU_DEP_1) | instskip(NEXT) | instid1(VALU_DEP_1)
	v_fma_f32 v26, -v26, v33, v28
	v_div_fmas_f32 v26, v26, v27, v33
	s_delay_alu instid0(VALU_DEP_1)
	v_div_fixup_f32 v27, v26, v24, v25
.LBB63_147:                             ;   in Loop: Header=BB63_4 Depth=1
	s_or_b32 exec_lo, exec_lo, s34
                                        ; implicit-def: $vgpr26
                                        ; implicit-def: $vgpr24
.LBB63_148:                             ;   in Loop: Header=BB63_4 Depth=1
	s_and_not1_saveexec_b32 s6, s6
; %bb.149:                              ;   in Loop: Header=BB63_4 Depth=1
	v_sub_f32_e32 v27, v26, v24
; %bb.150:                              ;   in Loop: Header=BB63_4 Depth=1
	s_or_b32 exec_lo, exec_lo, s6
	s_delay_alu instid0(VALU_DEP_1) | instskip(SKIP_2) | instid1(VALU_DEP_2)
	v_mul_f32_e32 v24, 0.5, v27
	v_add_f32_e64 v23, |v9|, v23
	s_mov_b32 s34, -1
	v_fmac_f32_e32 v24, 0.5, v32
	s_delay_alu instid0(VALU_DEP_1) | instskip(NEXT) | instid1(VALU_DEP_1)
	v_mul_f32_e32 v23, v23, v24
	v_mul_f32_e32 v24, 0x4f800000, v23
	v_cmp_gt_f32_e32 vcc_lo, 0xf800000, v23
	s_delay_alu instid0(VALU_DEP_2) | instskip(NEXT) | instid1(VALU_DEP_1)
	v_cndmask_b32_e32 v23, v23, v24, vcc_lo
	v_sqrt_f32_e32 v24, v23
	s_waitcnt_depctr 0xfff
	v_add_nc_u32_e32 v25, -1, v24
	v_add_nc_u32_e32 v26, 1, v24
	s_delay_alu instid0(VALU_DEP_2) | instskip(NEXT) | instid1(VALU_DEP_2)
	v_fma_f32 v27, -v25, v24, v23
	v_fma_f32 v28, -v26, v24, v23
	s_delay_alu instid0(VALU_DEP_2) | instskip(NEXT) | instid1(VALU_DEP_1)
	v_cmp_ge_f32_e64 s6, 0, v27
	v_cndmask_b32_e64 v24, v24, v25, s6
	s_delay_alu instid0(VALU_DEP_3) | instskip(NEXT) | instid1(VALU_DEP_1)
	v_cmp_lt_f32_e64 s6, 0, v28
	v_cndmask_b32_e64 v24, v24, v26, s6
	s_delay_alu instid0(VALU_DEP_1) | instskip(NEXT) | instid1(VALU_DEP_1)
	v_mul_f32_e32 v25, 0x37800000, v24
	v_cndmask_b32_e32 v24, v24, v25, vcc_lo
	v_cmp_class_f32_e64 vcc_lo, v23, 0x260
                                        ; implicit-def: $vgpr25
	s_delay_alu instid0(VALU_DEP_2)
	v_cndmask_b32_e32 v32, v24, v23, vcc_lo
                                        ; implicit-def: $vgpr24
.LBB63_151:                             ;   in Loop: Header=BB63_4 Depth=1
	s_and_not1_saveexec_b32 s35, s35
	s_cbranch_execz .LBB63_157
; %bb.152:                              ;   in Loop: Header=BB63_4 Depth=1
	s_mov_b32 s37, exec_lo
                                        ; implicit-def: $vgpr32
                                        ; implicit-def: $sgpr36
	v_cmpx_ngt_f32_e64 |v9|, 1.0
	s_xor_b32 s37, exec_lo, s37
	s_cbranch_execz .LBB63_154
; %bb.153:                              ;   in Loop: Header=BB63_4 Depth=1
	v_sub_f32_e64 v23, 1.0, |v9|
	s_mov_b32 s36, -1
	s_delay_alu instid0(VALU_DEP_1) | instskip(NEXT) | instid1(VALU_DEP_1)
	v_mul_f32_e32 v23, v23, v25
	v_mul_f32_e32 v24, 0x4f800000, v23
	v_cmp_gt_f32_e32 vcc_lo, 0xf800000, v23
	s_delay_alu instid0(VALU_DEP_2) | instskip(NEXT) | instid1(VALU_DEP_1)
	v_cndmask_b32_e32 v23, v23, v24, vcc_lo
	v_sqrt_f32_e32 v24, v23
	s_waitcnt_depctr 0xfff
	v_add_nc_u32_e32 v25, -1, v24
	v_add_nc_u32_e32 v26, 1, v24
	s_delay_alu instid0(VALU_DEP_2) | instskip(NEXT) | instid1(VALU_DEP_2)
	v_fma_f32 v27, -v25, v24, v23
	v_fma_f32 v28, -v26, v24, v23
	s_delay_alu instid0(VALU_DEP_2) | instskip(NEXT) | instid1(VALU_DEP_1)
	v_cmp_ge_f32_e64 s6, 0, v27
	v_cndmask_b32_e64 v24, v24, v25, s6
	s_delay_alu instid0(VALU_DEP_3) | instskip(NEXT) | instid1(VALU_DEP_1)
	v_cmp_lt_f32_e64 s6, 0, v28
	v_cndmask_b32_e64 v24, v24, v26, s6
	s_delay_alu instid0(VALU_DEP_1) | instskip(NEXT) | instid1(VALU_DEP_1)
	v_mul_f32_e32 v25, 0x37800000, v24
	v_cndmask_b32_e32 v24, v24, v25, vcc_lo
	v_cmp_class_f32_e64 vcc_lo, v23, 0x260
                                        ; implicit-def: $vgpr25
	s_delay_alu instid0(VALU_DEP_2)
	v_cndmask_b32_e32 v32, v24, v23, vcc_lo
                                        ; implicit-def: $vgpr24
.LBB63_154:                             ;   in Loop: Header=BB63_4 Depth=1
	s_and_not1_saveexec_b32 s37, s37
	s_cbranch_execz .LBB63_156
; %bb.155:                              ;   in Loop: Header=BB63_4 Depth=1
	v_mul_f32_e32 v23, v25, v24
	s_or_b32 s36, s36, exec_lo
	s_delay_alu instid0(VALU_DEP_1) | instskip(SKIP_1) | instid1(VALU_DEP_2)
	v_mul_f32_e32 v24, 0x4f800000, v23
	v_cmp_gt_f32_e32 vcc_lo, 0xf800000, v23
	v_cndmask_b32_e32 v23, v23, v24, vcc_lo
	s_delay_alu instid0(VALU_DEP_1) | instskip(SKIP_3) | instid1(VALU_DEP_2)
	v_sqrt_f32_e32 v24, v23
	s_waitcnt_depctr 0xfff
	v_add_nc_u32_e32 v25, -1, v24
	v_add_nc_u32_e32 v26, 1, v24
	v_fma_f32 v27, -v25, v24, v23
	s_delay_alu instid0(VALU_DEP_2) | instskip(NEXT) | instid1(VALU_DEP_2)
	v_fma_f32 v28, -v26, v24, v23
	v_cmp_ge_f32_e64 s6, 0, v27
	s_delay_alu instid0(VALU_DEP_1) | instskip(NEXT) | instid1(VALU_DEP_3)
	v_cndmask_b32_e64 v24, v24, v25, s6
	v_cmp_lt_f32_e64 s6, 0, v28
	s_delay_alu instid0(VALU_DEP_1) | instskip(SKIP_1) | instid1(VALU_DEP_2)
	v_cndmask_b32_e64 v24, v24, v26, s6
	v_mul_f32_e64 v26, 0x57800000, |v10|
	v_mul_f32_e32 v25, 0x37800000, v24
	s_delay_alu instid0(VALU_DEP_1) | instskip(SKIP_1) | instid1(VALU_DEP_4)
	v_cndmask_b32_e32 v24, v24, v25, vcc_lo
	v_cmp_class_f32_e64 vcc_lo, v23, 0x260
	v_mul_f32_e64 v25, |v9|, v26
	s_delay_alu instid0(VALU_DEP_3) | instskip(NEXT) | instid1(VALU_DEP_1)
	v_cndmask_b32_e32 v23, v24, v23, vcc_lo
	v_div_scale_f32 v24, null, v23, v23, v25
	v_div_scale_f32 v28, vcc_lo, v25, v23, v25
	s_delay_alu instid0(VALU_DEP_2) | instskip(SKIP_2) | instid1(VALU_DEP_1)
	v_rcp_f32_e32 v26, v24
	s_waitcnt_depctr 0xfff
	v_fma_f32 v27, -v24, v26, 1.0
	v_fmac_f32_e32 v26, v27, v26
	s_delay_alu instid0(VALU_DEP_1) | instskip(NEXT) | instid1(VALU_DEP_1)
	v_mul_f32_e32 v27, v28, v26
	v_fma_f32 v31, -v24, v27, v28
	s_delay_alu instid0(VALU_DEP_1) | instskip(SKIP_1) | instid1(VALU_DEP_2)
	v_fmac_f32_e32 v27, v31, v26
	v_mul_f32_e64 v31, 0x57800000, |v9|
	v_fma_f32 v24, -v24, v27, v28
	s_delay_alu instid0(VALU_DEP_1) | instskip(NEXT) | instid1(VALU_DEP_1)
	v_div_fmas_f32 v24, v24, v26, v27
	v_div_fixup_f32 v32, v24, v23, v25
.LBB63_156:                             ;   in Loop: Header=BB63_4 Depth=1
	s_or_b32 exec_lo, exec_lo, s37
	s_delay_alu instid0(SALU_CYCLE_1) | instskip(SKIP_1) | instid1(SALU_CYCLE_1)
	s_and_not1_b32 s6, s34, exec_lo
	s_and_b32 s34, s36, exec_lo
	s_or_b32 s34, s6, s34
.LBB63_157:                             ;   in Loop: Header=BB63_4 Depth=1
	s_or_b32 exec_lo, exec_lo, s35
	s_delay_alu instid0(SALU_CYCLE_1)
	s_and_b32 s34, s34, exec_lo
                                        ; implicit-def: $vgpr23
.LBB63_158:                             ;   in Loop: Header=BB63_4 Depth=1
	s_and_not1_saveexec_b32 s35, s7
	s_cbranch_execz .LBB63_160
; %bb.159:                              ;   in Loop: Header=BB63_4 Depth=1
	v_add_f32_e32 v23, 1.0, v23
	v_mul_f32_e64 v24, 0x4f800000, |v10|
	v_cmp_gt_f32_e64 vcc_lo, 0xf800000, |v10|
	s_or_b32 s34, s34, exec_lo
	s_delay_alu instid0(VALU_DEP_3) | instskip(NEXT) | instid1(VALU_DEP_2)
	v_mul_f32_e32 v23, 0.5, v23
	v_cndmask_b32_e64 v24, |v10|, v24, vcc_lo
	s_delay_alu instid0(VALU_DEP_2) | instskip(SKIP_1) | instid1(VALU_DEP_1)
	v_mul_f32_e32 v25, 0x4f800000, v23
	v_cmp_gt_f32_e64 s6, 0xf800000, v23
	v_cndmask_b32_e64 v23, v23, v25, s6
	s_delay_alu instid0(VALU_DEP_4) | instskip(NEXT) | instid1(VALU_DEP_1)
	v_sqrt_f32_e32 v25, v24
	v_sqrt_f32_e32 v26, v23
	s_waitcnt_depctr 0xfff
	v_add_nc_u32_e32 v27, -1, v25
	v_add_nc_u32_e32 v31, 1, v25
	v_add_nc_u32_e32 v28, -1, v26
	s_delay_alu instid0(VALU_DEP_3) | instskip(SKIP_1) | instid1(VALU_DEP_4)
	v_fma_f32 v32, -v27, v25, v24
	v_add_nc_u32_e32 v33, 1, v26
	v_fma_f32 v35, -v31, v25, v24
	s_delay_alu instid0(VALU_DEP_4) | instskip(NEXT) | instid1(VALU_DEP_4)
	v_fma_f32 v34, -v28, v26, v23
	v_cmp_ge_f32_e64 s7, 0, v32
	s_delay_alu instid0(VALU_DEP_1) | instskip(NEXT) | instid1(VALU_DEP_3)
	v_cndmask_b32_e64 v25, v25, v27, s7
	v_cmp_ge_f32_e64 s7, 0, v34
	v_fma_f32 v27, -v33, v26, v23
	s_delay_alu instid0(VALU_DEP_2) | instskip(SKIP_1) | instid1(VALU_DEP_1)
	v_cndmask_b32_e64 v26, v26, v28, s7
	v_cmp_lt_f32_e64 s7, 0, v35
	v_cndmask_b32_e64 v25, v25, v31, s7
	s_delay_alu instid0(VALU_DEP_4) | instskip(SKIP_1) | instid1(VALU_DEP_3)
	v_cmp_lt_f32_e64 s7, 0, v27
	v_mov_b32_e32 v31, 1.0
	v_mul_f32_e32 v27, 0x37800000, v25
	s_delay_alu instid0(VALU_DEP_3) | instskip(NEXT) | instid1(VALU_DEP_1)
	v_cndmask_b32_e64 v26, v26, v33, s7
	v_dual_cndmask_b32 v25, v25, v27 :: v_dual_mul_f32 v28, 0x37800000, v26
	v_cmp_class_f32_e64 vcc_lo, v24, 0x260
	s_delay_alu instid0(VALU_DEP_2) | instskip(NEXT) | instid1(VALU_DEP_3)
	v_cndmask_b32_e64 v26, v26, v28, s6
	v_cndmask_b32_e32 v24, v25, v24, vcc_lo
	v_cmp_class_f32_e64 vcc_lo, v23, 0x260
	s_delay_alu instid0(VALU_DEP_3) | instskip(NEXT) | instid1(VALU_DEP_1)
	v_cndmask_b32_e32 v23, v26, v23, vcc_lo
	v_mul_f32_e32 v32, v24, v23
.LBB63_160:                             ;   in Loop: Header=BB63_4 Depth=1
	s_or_b32 exec_lo, exec_lo, s35
	s_delay_alu instid0(SALU_CYCLE_1)
	s_and_b32 s6, s34, exec_lo
.LBB63_161:                             ;   in Loop: Header=BB63_4 Depth=1
	s_or_b32 exec_lo, exec_lo, s33
	s_delay_alu instid0(SALU_CYCLE_1)
	s_and_b32 s6, s6, exec_lo
                                        ; implicit-def: $vgpr23
.LBB63_162:                             ;   in Loop: Header=BB63_4 Depth=1
	s_and_not1_saveexec_b32 s7, s31
; %bb.163:                              ;   in Loop: Header=BB63_4 Depth=1
	v_mul_f32_e32 v32, 0x4b800000, v23
	v_mul_f32_e64 v31, 0x4b800000, |v9|
	s_or_b32 s6, s6, exec_lo
                                        ; implicit-def: $vgpr30
; %bb.164:                              ;   in Loop: Header=BB63_4 Depth=1
	s_or_b32 exec_lo, exec_lo, s7
	s_xor_b32 s6, s6, -1
                                        ; implicit-def: $vgpr23
	s_delay_alu instid0(SALU_CYCLE_1) | instskip(NEXT) | instid1(SALU_CYCLE_1)
	s_and_saveexec_b32 s7, s6
	s_xor_b32 s6, exec_lo, s7
	s_cbranch_execz .LBB63_166
; %bb.165:                              ;   in Loop: Header=BB63_4 Depth=1
	v_fma_f32 v23, |v30|, -0.5, 0.5
	v_mul_f32_e32 v24, v30, v30
	v_cmp_ge_f32_e64 vcc_lo, |v30|, 0.5
                                        ; implicit-def: $vgpr31
                                        ; implicit-def: $vgpr32
	s_delay_alu instid0(VALU_DEP_2) | instskip(SKIP_1) | instid1(VALU_DEP_2)
	v_cndmask_b32_e32 v23, v24, v23, vcc_lo
	v_cmp_lt_f32_e64 vcc_lo, |v30|, 0.5
	v_fmaak_f32 v24, s25, v23, 0x3c5fc5da
	v_sqrt_f32_e32 v25, v23
	s_delay_alu instid0(VALU_DEP_1) | instskip(NEXT) | instid1(VALU_DEP_1)
	v_fmaak_f32 v24, v23, v24, 0x3d034c3c
	v_fmaak_f32 v24, v23, v24, 0x3d3641b1
	s_delay_alu instid0(VALU_DEP_1) | instskip(NEXT) | instid1(VALU_DEP_1)
	v_fmaak_f32 v24, v23, v24, 0x3d999bc8
	v_fmaak_f32 v24, v23, v24, 0x3e2aaaac
	s_delay_alu instid0(VALU_DEP_1) | instskip(SKIP_3) | instid1(VALU_DEP_2)
	v_mul_f32_e32 v23, v23, v24
	s_waitcnt_depctr 0xfff
	v_fmac_f32_e32 v25, v25, v23
	v_fma_f32 v23, |v30|, v23, |v30|
	v_add_f32_e32 v24, v25, v25
	s_delay_alu instid0(VALU_DEP_1) | instskip(NEXT) | instid1(VALU_DEP_1)
	v_sub_f32_e32 v24, 0x3fc90fdb, v24
	v_cndmask_b32_e32 v23, v24, v23, vcc_lo
	s_delay_alu instid0(VALU_DEP_1)
	v_bfi_b32 v23, 0x7fffffff, v23, v30
.LBB63_166:                             ;   in Loop: Header=BB63_4 Depth=1
	s_and_not1_saveexec_b32 s31, s6
	s_cbranch_execz .LBB63_168
; %bb.167:                              ;   in Loop: Header=BB63_4 Depth=1
	v_max_f32_e32 v23, v31, v31
	v_max_f32_e64 v24, |v32|, |v32|
	v_cmp_gt_f32_e64 vcc_lo, v31, |v32|
	v_cmp_eq_f32_e64 s7, 0, v31
	v_cmp_class_f32_e64 s33, v32, 0x204
	v_cmp_eq_f32_e64 s6, 0x7f800000, v31
	v_max_f32_e32 v25, v24, v23
	v_min_f32_e32 v23, v24, v23
	s_delay_alu instid0(VALU_DEP_2) | instskip(SKIP_1) | instid1(VALU_DEP_2)
	v_frexp_mant_f32_e32 v26, v25
	v_frexp_exp_i32_f32_e32 v25, v25
	v_rcp_f32_e32 v24, v26
	s_delay_alu instid0(VALU_DEP_3) | instskip(SKIP_1) | instid1(VALU_DEP_2)
	v_frexp_exp_i32_f32_e32 v26, v23
	v_frexp_mant_f32_e32 v23, v23
	v_sub_nc_u32_e32 v25, v26, v25
	s_waitcnt_depctr 0xfff
	v_mul_f32_e32 v23, v23, v24
	s_delay_alu instid0(VALU_DEP_1) | instskip(NEXT) | instid1(VALU_DEP_1)
	v_ldexp_f32 v23, v23, v25
	v_mul_f32_e32 v24, v23, v23
	s_delay_alu instid0(VALU_DEP_1) | instskip(NEXT) | instid1(VALU_DEP_1)
	v_fmaak_f32 v25, s26, v24, 0xbc7a590c
	v_fmaak_f32 v25, v24, v25, 0x3d29fb3f
	s_delay_alu instid0(VALU_DEP_1) | instskip(NEXT) | instid1(VALU_DEP_1)
	v_fmaak_f32 v25, v24, v25, 0xbd97d4d7
	v_fmaak_f32 v25, v24, v25, 0x3dd931b2
	s_delay_alu instid0(VALU_DEP_1) | instskip(NEXT) | instid1(VALU_DEP_1)
	v_fmaak_f32 v25, v24, v25, 0xbe1160e6
	v_fmaak_f32 v25, v24, v25, 0x3e4cb8bf
	s_delay_alu instid0(VALU_DEP_1) | instskip(NEXT) | instid1(VALU_DEP_1)
	v_fmaak_f32 v25, v24, v25, 0xbeaaaa62
	v_mul_f32_e32 v24, v24, v25
	s_delay_alu instid0(VALU_DEP_1) | instskip(NEXT) | instid1(VALU_DEP_1)
	v_fmac_f32_e32 v23, v23, v24
	v_sub_f32_e32 v24, 0x3fc90fdb, v23
	s_delay_alu instid0(VALU_DEP_1) | instskip(SKIP_1) | instid1(VALU_DEP_2)
	v_cndmask_b32_e32 v23, v23, v24, vcc_lo
	v_cmp_gt_i32_e32 vcc_lo, 0, v32
	v_sub_f32_e32 v24, 0x40490fdb, v23
	v_cndmask_b32_e64 v25, 0, 0x40490fdb, vcc_lo
	v_cmp_gt_f32_e32 vcc_lo, 0, v32
	s_delay_alu instid0(VALU_DEP_3) | instskip(SKIP_2) | instid1(VALU_DEP_2)
	v_cndmask_b32_e32 v23, v23, v24, vcc_lo
	v_cndmask_b32_e32 v24, 0x3f490fdb, v22, vcc_lo
	s_and_b32 vcc_lo, s6, s33
	v_cndmask_b32_e64 v23, v23, v25, s7
	s_delay_alu instid0(VALU_DEP_1) | instskip(SKIP_1) | instid1(VALU_DEP_2)
	v_cndmask_b32_e32 v23, v23, v24, vcc_lo
	v_cmp_o_f32_e32 vcc_lo, v32, v31
	v_cndmask_b32_e64 v23, 0x7fc00000, |v23|, vcc_lo
.LBB63_168:                             ;   in Loop: Header=BB63_4 Depth=1
	s_or_b32 exec_lo, exec_lo, s31
	v_bfi_b32 v10, 0x7fffffff, v29, v10
	s_delay_alu instid0(VALU_DEP_2)
	v_bfi_b32 v9, 0x7fffffff, v23, v9
.LBB63_169:                             ;   in Loop: Header=BB63_4 Depth=1
	s_or_b32 exec_lo, exec_lo, s30
.LBB63_170:                             ;   in Loop: Header=BB63_4 Depth=1
	s_delay_alu instid0(SALU_CYCLE_1)
	s_or_b32 exec_lo, exec_lo, s29
                                        ; implicit-def: $vgpr23
                                        ; implicit-def: $vgpr25
                                        ; implicit-def: $vgpr24
.LBB63_171:                             ;   in Loop: Header=BB63_4 Depth=1
	s_and_not1_saveexec_b32 s28, s28
	s_cbranch_execz .LBB63_193
; %bb.172:                              ;   in Loop: Header=BB63_4 Depth=1
                                        ; implicit-def: $vgpr26
                                        ; implicit-def: $vgpr27
	s_mov_b32 s6, exec_lo
	v_cmpx_lt_i32_e32 -1, v10
	s_xor_b32 s29, exec_lo, s6
	s_cbranch_execz .LBB63_182
; %bb.173:                              ;   in Loop: Header=BB63_4 Depth=1
	v_cmp_lt_f32_e64 s6, |v10|, |v9|
                                        ; implicit-def: $vgpr26
                                        ; implicit-def: $vgpr27
	s_mov_b32 s7, exec_lo
	s_delay_alu instid0(VALU_DEP_1) | instskip(NEXT) | instid1(VALU_DEP_1)
	v_cndmask_b32_e64 v28, |v10|, |v9|, s6
	v_cmpx_nlt_f32_e32 0x7effffff, v28
	s_xor_b32 s30, exec_lo, s7
	s_cbranch_execz .LBB63_179
; %bb.174:                              ;   in Loop: Header=BB63_4 Depth=1
	v_cndmask_b32_e64 v29, |v9|, |v10|, s6
	v_cmp_nlt_f32_e32 vcc_lo, 0x5e000000, v28
                                        ; implicit-def: $vgpr26
                                        ; implicit-def: $vgpr27
	s_delay_alu instid0(VALU_DEP_2) | instskip(NEXT) | instid1(VALU_DEP_1)
	v_cmp_ngt_f32_e64 s7, 0x20000000, v29
	s_and_b32 s7, vcc_lo, s7
	s_delay_alu instid0(SALU_CYCLE_1) | instskip(NEXT) | instid1(SALU_CYCLE_1)
	s_and_saveexec_b32 s31, s7
	s_xor_b32 s31, exec_lo, s31
	s_cbranch_execz .LBB63_176
; %bb.175:                              ;   in Loop: Header=BB63_4 Depth=1
	s_waitcnt lgkmcnt(0)
	v_frexp_mant_f32_e32 v26, v24
	v_min_f32_e32 v23, v23, v25
	v_frexp_exp_i32_f32_e32 v24, v24
	s_delay_alu instid0(VALU_DEP_3) | instskip(SKIP_1) | instid1(VALU_DEP_1)
	v_rcp_f32_e32 v25, v26
	v_mul_f32_e32 v26, v29, v29
	v_fmac_f32_e32 v26, v28, v28
	v_frexp_mant_f32_e32 v27, v23
	v_frexp_exp_i32_f32_e32 v23, v23
	s_delay_alu instid0(VALU_DEP_3) | instskip(SKIP_4) | instid1(VALU_DEP_2)
	v_cmp_gt_f32_e32 vcc_lo, 0x800000, v26
	s_waitcnt_depctr 0xfff
	v_mul_f32_e32 v25, v27, v25
	v_sub_nc_u32_e32 v23, v23, v24
	v_cndmask_b32_e64 v24, 1.0, 0x4f800000, vcc_lo
	v_ldexp_f32 v27, v25, v23
	s_delay_alu instid0(VALU_DEP_1) | instskip(NEXT) | instid1(VALU_DEP_1)
	v_dual_mul_f32 v23, v26, v24 :: v_dual_mul_f32 v24, v27, v27
	v_log_f32_e32 v23, v23
	s_delay_alu instid0(VALU_DEP_1) | instskip(SKIP_3) | instid1(VALU_DEP_2)
	v_fmaak_f32 v25, s26, v24, 0xbc7a590c
	s_waitcnt_depctr 0xfff
	v_mul_f32_e32 v26, 0x3f317217, v23
	v_cmp_gt_f32_e64 s7, 0x7f800000, |v23|
	v_fma_f32 v28, 0x3f317217, v23, -v26
	s_delay_alu instid0(VALU_DEP_1) | instskip(NEXT) | instid1(VALU_DEP_1)
	v_fmac_f32_e32 v28, 0x3377d1cf, v23
	v_dual_fmaak_f32 v25, v24, v25, 0x3d29fb3f :: v_dual_add_f32 v26, v26, v28
	s_delay_alu instid0(VALU_DEP_1) | instskip(SKIP_1) | instid1(VALU_DEP_1)
	v_cndmask_b32_e64 v23, v23, v26, s7
	v_cndmask_b32_e64 v26, 0, 0x41b17218, vcc_lo
	v_sub_f32_e32 v23, v23, v26
	s_delay_alu instid0(VALU_DEP_1) | instskip(NEXT) | instid1(VALU_DEP_1)
	v_dual_fmaak_f32 v25, v24, v25, 0xbd97d4d7 :: v_dual_mul_f32 v26, 0.5, v23
	v_fmaak_f32 v25, v24, v25, 0x3dd931b2
                                        ; implicit-def: $vgpr23
	s_delay_alu instid0(VALU_DEP_1) | instskip(NEXT) | instid1(VALU_DEP_1)
	v_fmaak_f32 v25, v24, v25, 0xbe1160e6
	v_fmaak_f32 v25, v24, v25, 0x3e4cb8bf
	s_delay_alu instid0(VALU_DEP_1) | instskip(NEXT) | instid1(VALU_DEP_1)
	v_fmaak_f32 v25, v24, v25, 0xbeaaaa62
	v_mul_f32_e32 v24, v24, v25
                                        ; implicit-def: $vgpr25
	s_delay_alu instid0(VALU_DEP_1)
	v_fmac_f32_e32 v27, v27, v24
                                        ; implicit-def: $vgpr24
.LBB63_176:                             ;   in Loop: Header=BB63_4 Depth=1
	s_and_not1_saveexec_b32 s7, s31
	s_cbranch_execz .LBB63_178
; %bb.177:                              ;   in Loop: Header=BB63_4 Depth=1
	s_waitcnt lgkmcnt(0)
	v_cvt_f64_f32_e32 v[26:27], v24
	v_cmp_neq_f32_e32 vcc_lo, 0x7f800000, v24
	v_min_f32_e32 v23, v23, v25
	s_delay_alu instid0(VALU_DEP_1) | instskip(SKIP_2) | instid1(VALU_DEP_1)
	v_frexp_exp_i32_f32_e32 v29, v23
	v_frexp_mant_f32_e32 v23, v23
	v_frexp_exp_i32_f64_e32 v26, v[26:27]
	v_sub_nc_u32_e32 v27, 0, v26
	s_delay_alu instid0(VALU_DEP_1) | instskip(SKIP_1) | instid1(VALU_DEP_2)
	v_ldexp_f32 v28, |v9|, v27
	v_ldexp_f32 v27, |v10|, v27
	v_mul_f32_e32 v28, v28, v28
	s_delay_alu instid0(VALU_DEP_1) | instskip(SKIP_1) | instid1(VALU_DEP_2)
	v_fmac_f32_e32 v28, v27, v27
	v_frexp_mant_f32_e32 v27, v24
	v_sqrt_f32_e32 v28, v28
	s_delay_alu instid0(VALU_DEP_1) | instskip(SKIP_1) | instid1(VALU_DEP_1)
	v_rcp_f32_e32 v25, v27
	v_frexp_exp_i32_f32_e32 v27, v24
	v_sub_nc_u32_e32 v27, v29, v27
	s_waitcnt_depctr 0xfff
	v_ldexp_f32 v26, v28, v26
	s_delay_alu instid0(VALU_DEP_1) | instskip(NEXT) | instid1(VALU_DEP_1)
	v_dual_mul_f32 v23, v23, v25 :: v_dual_cndmask_b32 v24, 0x7f800000, v26
	v_ldexp_f32 v27, v23, v27
	s_delay_alu instid0(VALU_DEP_2) | instskip(SKIP_1) | instid1(VALU_DEP_1)
	v_cmp_gt_f32_e32 vcc_lo, 0x800000, v24
	v_cndmask_b32_e64 v23, 1.0, 0x4f800000, vcc_lo
	v_mul_f32_e32 v23, v24, v23
	s_delay_alu instid0(VALU_DEP_1) | instskip(SKIP_2) | instid1(VALU_DEP_1)
	v_log_f32_e32 v23, v23
	s_waitcnt_depctr 0xfff
	v_mul_f32_e32 v26, 0x3f317217, v23
	v_fma_f32 v28, 0x3f317217, v23, -v26
	s_delay_alu instid0(VALU_DEP_1) | instskip(NEXT) | instid1(VALU_DEP_1)
	v_fmac_f32_e32 v28, 0x3377d1cf, v23
	v_dual_mul_f32 v25, v27, v27 :: v_dual_add_f32 v26, v26, v28
	s_delay_alu instid0(VALU_DEP_1) | instskip(SKIP_2) | instid1(VALU_DEP_3)
	v_fmaak_f32 v24, s26, v25, 0xbc7a590c
	v_cndmask_b32_e64 v28, 0, 0x41b17218, vcc_lo
	v_cmp_gt_f32_e64 vcc_lo, 0x7f800000, |v23|
	v_dual_fmaak_f32 v24, v25, v24, 0x3d29fb3f :: v_dual_cndmask_b32 v23, v23, v26
	s_delay_alu instid0(VALU_DEP_1) | instskip(NEXT) | instid1(VALU_DEP_2)
	v_fmaak_f32 v24, v25, v24, 0xbd97d4d7
	v_sub_f32_e32 v26, v23, v28
	s_delay_alu instid0(VALU_DEP_2) | instskip(NEXT) | instid1(VALU_DEP_1)
	v_fmaak_f32 v24, v25, v24, 0x3dd931b2
	v_fmaak_f32 v24, v25, v24, 0xbe1160e6
	s_delay_alu instid0(VALU_DEP_1) | instskip(NEXT) | instid1(VALU_DEP_1)
	v_fmaak_f32 v24, v25, v24, 0x3e4cb8bf
	v_fmaak_f32 v24, v25, v24, 0xbeaaaa62
	s_delay_alu instid0(VALU_DEP_1) | instskip(NEXT) | instid1(VALU_DEP_1)
	v_mul_f32_e32 v24, v25, v24
	v_fmac_f32_e32 v27, v27, v24
.LBB63_178:                             ;   in Loop: Header=BB63_4 Depth=1
	s_or_b32 exec_lo, exec_lo, s7
                                        ; implicit-def: $vgpr23
                                        ; implicit-def: $vgpr25
                                        ; implicit-def: $vgpr24
.LBB63_179:                             ;   in Loop: Header=BB63_4 Depth=1
	s_and_not1_saveexec_b32 s30, s30
	s_cbranch_execz .LBB63_181
; %bb.180:                              ;   in Loop: Header=BB63_4 Depth=1
	v_div_scale_f32 v26, null, 0x402df854, 0x402df854, v10
	v_div_scale_f32 v27, null, 0x402df854, 0x402df854, v9
	v_div_scale_f32 v32, vcc_lo, v10, 0x402df854, v10
	s_delay_alu instid0(VALU_DEP_3) | instskip(NEXT) | instid1(VALU_DEP_2)
	v_rcp_f32_e32 v28, v26
	v_rcp_f32_e32 v29, v27
	v_min_f32_e32 v23, v23, v25
	s_waitcnt_depctr 0xfff
	v_fma_f32 v30, -v26, v28, 1.0
	v_fma_f32 v31, -v27, v29, 1.0
	s_delay_alu instid0(VALU_DEP_1) | instskip(SKIP_1) | instid1(VALU_DEP_2)
	v_dual_fmac_f32 v28, v30, v28 :: v_dual_fmac_f32 v29, v31, v29
	v_div_scale_f32 v30, s7, v9, 0x402df854, v9
	v_mul_f32_e32 v31, v32, v28
	s_delay_alu instid0(VALU_DEP_2) | instskip(NEXT) | instid1(VALU_DEP_2)
	v_mul_f32_e32 v33, v30, v29
	v_fma_f32 v34, -v26, v31, v32
	s_delay_alu instid0(VALU_DEP_2) | instskip(NEXT) | instid1(VALU_DEP_2)
	v_fma_f32 v35, -v27, v33, v30
	v_fmac_f32_e32 v31, v34, v28
	s_delay_alu instid0(VALU_DEP_2) | instskip(NEXT) | instid1(VALU_DEP_2)
	v_fmac_f32_e32 v33, v35, v29
	v_fma_f32 v26, -v26, v31, v32
	s_delay_alu instid0(VALU_DEP_2) | instskip(NEXT) | instid1(VALU_DEP_2)
	v_fma_f32 v27, -v27, v33, v30
	v_div_fmas_f32 v26, v26, v28, v31
	s_mov_b32 vcc_lo, s7
	s_delay_alu instid0(VALU_DEP_2) | instskip(NEXT) | instid1(VALU_DEP_2)
	v_div_fmas_f32 v27, v27, v29, v33
	v_div_fixup_f32 v28, v26, 0x402df854, v10
	s_delay_alu instid0(VALU_DEP_2) | instskip(NEXT) | instid1(VALU_DEP_1)
	v_div_fixup_f32 v29, v27, 0x402df854, v9
	v_max_f32_e64 v30, |v28|, |v29|
	s_delay_alu instid0(VALU_DEP_1) | instskip(SKIP_1) | instid1(VALU_DEP_2)
	v_cvt_f64_f32_e32 v[26:27], v30
	v_cmp_neq_f32_e32 vcc_lo, 0x7f800000, v30
	v_frexp_exp_i32_f64_e32 v26, v[26:27]
	s_delay_alu instid0(VALU_DEP_1) | instskip(NEXT) | instid1(VALU_DEP_1)
	v_sub_nc_u32_e32 v27, 0, v26
	v_ldexp_f32 v29, |v29|, v27
	v_ldexp_f32 v27, |v28|, v27
	s_delay_alu instid0(VALU_DEP_2) | instskip(NEXT) | instid1(VALU_DEP_1)
	v_mul_f32_e32 v28, v29, v29
	v_fmac_f32_e32 v28, v27, v27
	s_delay_alu instid0(VALU_DEP_1) | instskip(SKIP_3) | instid1(VALU_DEP_2)
	v_sqrt_f32_e32 v27, v28
	s_waitcnt lgkmcnt(0)
	v_frexp_mant_f32_e32 v28, v24
	v_frexp_exp_i32_f32_e32 v24, v24
	v_rcp_f32_e32 v25, v28
	s_waitcnt_depctr 0xfff
	v_ldexp_f32 v26, v27, v26
	v_frexp_exp_i32_f32_e32 v27, v23
	v_frexp_mant_f32_e32 v23, v23
	s_delay_alu instid0(VALU_DEP_3) | instskip(NEXT) | instid1(VALU_DEP_3)
	v_cndmask_b32_e32 v26, 0x7f800000, v26, vcc_lo
	v_sub_nc_u32_e32 v24, v27, v24
	s_delay_alu instid0(VALU_DEP_3) | instskip(NEXT) | instid1(VALU_DEP_3)
	v_mul_f32_e32 v23, v23, v25
	v_cmp_gt_f32_e32 vcc_lo, 0x800000, v26
	s_delay_alu instid0(VALU_DEP_2) | instskip(SKIP_1) | instid1(VALU_DEP_1)
	v_ldexp_f32 v27, v23, v24
	v_cndmask_b32_e64 v25, 1.0, 0x4f800000, vcc_lo
	v_dual_mul_f32 v24, v27, v27 :: v_dual_mul_f32 v23, v26, v25
	s_delay_alu instid0(VALU_DEP_1) | instskip(SKIP_2) | instid1(VALU_DEP_1)
	v_log_f32_e32 v23, v23
	s_waitcnt_depctr 0xfff
	v_mul_f32_e32 v26, 0x3f317217, v23
	v_fma_f32 v28, 0x3f317217, v23, -v26
	s_delay_alu instid0(VALU_DEP_1) | instskip(NEXT) | instid1(VALU_DEP_1)
	v_fmac_f32_e32 v28, 0x3377d1cf, v23
	v_add_f32_e32 v26, v26, v28
	v_cndmask_b32_e64 v28, 0, 0x41b17218, vcc_lo
	v_cmp_gt_f32_e64 vcc_lo, 0x7f800000, |v23|
	s_delay_alu instid0(VALU_DEP_3) | instskip(NEXT) | instid1(VALU_DEP_1)
	v_cndmask_b32_e32 v23, v23, v26, vcc_lo
	v_sub_f32_e32 v23, v23, v28
	s_delay_alu instid0(VALU_DEP_1) | instskip(NEXT) | instid1(VALU_DEP_1)
	v_dual_fmaak_f32 v25, s26, v24, 0xbc7a590c :: v_dual_add_f32 v26, 1.0, v23
	v_fmaak_f32 v25, v24, v25, 0x3d29fb3f
	s_delay_alu instid0(VALU_DEP_1) | instskip(NEXT) | instid1(VALU_DEP_1)
	v_fmaak_f32 v25, v24, v25, 0xbd97d4d7
	v_fmaak_f32 v25, v24, v25, 0x3dd931b2
	s_delay_alu instid0(VALU_DEP_1) | instskip(NEXT) | instid1(VALU_DEP_1)
	v_fmaak_f32 v25, v24, v25, 0xbe1160e6
	;; [unrolled: 3-line block ×3, first 2 shown]
	v_mul_f32_e32 v24, v24, v25
	s_delay_alu instid0(VALU_DEP_1)
	v_fmac_f32_e32 v27, v27, v24
.LBB63_181:                             ;   in Loop: Header=BB63_4 Depth=1
	s_or_b32 exec_lo, exec_lo, s30
	s_delay_alu instid0(VALU_DEP_1) | instskip(NEXT) | instid1(VALU_DEP_1)
	v_sub_f32_e32 v23, 0x3fc90fdb, v27
                                        ; implicit-def: $vgpr25
                                        ; implicit-def: $vgpr24
	v_cndmask_b32_e64 v27, v27, v23, s6
                                        ; implicit-def: $vgpr23
.LBB63_182:                             ;   in Loop: Header=BB63_4 Depth=1
	s_and_not1_saveexec_b32 s29, s29
	s_cbranch_execz .LBB63_192
; %bb.183:                              ;   in Loop: Header=BB63_4 Depth=1
	v_cmp_lt_f32_e64 s6, |v10|, |v9|
                                        ; implicit-def: $vgpr26
                                        ; implicit-def: $vgpr27
	s_mov_b32 s7, exec_lo
	s_delay_alu instid0(VALU_DEP_1) | instskip(NEXT) | instid1(VALU_DEP_1)
	v_cndmask_b32_e64 v28, |v10|, |v9|, s6
	v_cmpx_nlt_f32_e32 0x7effffff, v28
	s_xor_b32 s30, exec_lo, s7
	s_cbranch_execz .LBB63_189
; %bb.184:                              ;   in Loop: Header=BB63_4 Depth=1
	v_cndmask_b32_e64 v29, |v9|, |v10|, s6
	v_cmp_nlt_f32_e32 vcc_lo, 0x5e000000, v28
                                        ; implicit-def: $vgpr26
                                        ; implicit-def: $vgpr27
	s_delay_alu instid0(VALU_DEP_2) | instskip(NEXT) | instid1(VALU_DEP_1)
	v_cmp_ngt_f32_e64 s7, 0x20000000, v29
	s_and_b32 s7, vcc_lo, s7
	s_delay_alu instid0(SALU_CYCLE_1) | instskip(NEXT) | instid1(SALU_CYCLE_1)
	s_and_saveexec_b32 s31, s7
	s_xor_b32 s31, exec_lo, s31
	s_cbranch_execz .LBB63_186
; %bb.185:                              ;   in Loop: Header=BB63_4 Depth=1
	s_waitcnt lgkmcnt(0)
	v_frexp_mant_f32_e32 v26, v24
	v_min_f32_e32 v23, v23, v25
	v_frexp_exp_i32_f32_e32 v24, v24
	s_delay_alu instid0(VALU_DEP_3) | instskip(SKIP_1) | instid1(VALU_DEP_1)
	v_rcp_f32_e32 v25, v26
	v_mul_f32_e32 v26, v29, v29
	v_fmac_f32_e32 v26, v28, v28
	v_frexp_mant_f32_e32 v27, v23
	v_frexp_exp_i32_f32_e32 v23, v23
	s_delay_alu instid0(VALU_DEP_3) | instskip(SKIP_4) | instid1(VALU_DEP_2)
	v_cmp_gt_f32_e32 vcc_lo, 0x800000, v26
	s_waitcnt_depctr 0xfff
	v_mul_f32_e32 v25, v27, v25
	v_sub_nc_u32_e32 v23, v23, v24
	v_cndmask_b32_e64 v24, 1.0, 0x4f800000, vcc_lo
	v_ldexp_f32 v27, v25, v23
	s_delay_alu instid0(VALU_DEP_1) | instskip(NEXT) | instid1(VALU_DEP_1)
	v_dual_mul_f32 v23, v26, v24 :: v_dual_mul_f32 v24, v27, v27
	v_log_f32_e32 v23, v23
	s_delay_alu instid0(VALU_DEP_1) | instskip(SKIP_3) | instid1(VALU_DEP_2)
	v_fmaak_f32 v25, s26, v24, 0xbc7a590c
	s_waitcnt_depctr 0xfff
	v_mul_f32_e32 v26, 0x3f317217, v23
	v_cmp_gt_f32_e64 s7, 0x7f800000, |v23|
	v_fma_f32 v28, 0x3f317217, v23, -v26
	s_delay_alu instid0(VALU_DEP_1) | instskip(NEXT) | instid1(VALU_DEP_1)
	v_fmac_f32_e32 v28, 0x3377d1cf, v23
	v_dual_fmaak_f32 v25, v24, v25, 0x3d29fb3f :: v_dual_add_f32 v26, v26, v28
	s_delay_alu instid0(VALU_DEP_1) | instskip(SKIP_1) | instid1(VALU_DEP_1)
	v_cndmask_b32_e64 v23, v23, v26, s7
	v_cndmask_b32_e64 v26, 0, 0x41b17218, vcc_lo
	v_sub_f32_e32 v23, v23, v26
	s_delay_alu instid0(VALU_DEP_1) | instskip(NEXT) | instid1(VALU_DEP_1)
	v_dual_fmaak_f32 v25, v24, v25, 0xbd97d4d7 :: v_dual_mul_f32 v26, 0.5, v23
	v_fmaak_f32 v25, v24, v25, 0x3dd931b2
                                        ; implicit-def: $vgpr23
	s_delay_alu instid0(VALU_DEP_1) | instskip(NEXT) | instid1(VALU_DEP_1)
	v_fmaak_f32 v25, v24, v25, 0xbe1160e6
	v_fmaak_f32 v25, v24, v25, 0x3e4cb8bf
	s_delay_alu instid0(VALU_DEP_1) | instskip(NEXT) | instid1(VALU_DEP_1)
	v_fmaak_f32 v25, v24, v25, 0xbeaaaa62
	v_mul_f32_e32 v24, v24, v25
                                        ; implicit-def: $vgpr25
	s_delay_alu instid0(VALU_DEP_1)
	v_fmac_f32_e32 v27, v27, v24
                                        ; implicit-def: $vgpr24
.LBB63_186:                             ;   in Loop: Header=BB63_4 Depth=1
	s_and_not1_saveexec_b32 s7, s31
	s_cbranch_execz .LBB63_188
; %bb.187:                              ;   in Loop: Header=BB63_4 Depth=1
	s_waitcnt lgkmcnt(0)
	v_cvt_f64_f32_e32 v[26:27], v24
	v_cmp_neq_f32_e32 vcc_lo, 0x7f800000, v24
	v_min_f32_e32 v23, v23, v25
	s_delay_alu instid0(VALU_DEP_1) | instskip(SKIP_2) | instid1(VALU_DEP_1)
	v_frexp_exp_i32_f32_e32 v29, v23
	v_frexp_mant_f32_e32 v23, v23
	v_frexp_exp_i32_f64_e32 v26, v[26:27]
	v_sub_nc_u32_e32 v27, 0, v26
	s_delay_alu instid0(VALU_DEP_1) | instskip(SKIP_1) | instid1(VALU_DEP_2)
	v_ldexp_f32 v28, |v9|, v27
	v_ldexp_f32 v27, |v10|, v27
	v_mul_f32_e32 v28, v28, v28
	s_delay_alu instid0(VALU_DEP_1) | instskip(SKIP_1) | instid1(VALU_DEP_2)
	v_fmac_f32_e32 v28, v27, v27
	v_frexp_mant_f32_e32 v27, v24
	v_sqrt_f32_e32 v28, v28
	s_delay_alu instid0(VALU_DEP_1) | instskip(SKIP_1) | instid1(VALU_DEP_1)
	v_rcp_f32_e32 v25, v27
	v_frexp_exp_i32_f32_e32 v27, v24
	v_sub_nc_u32_e32 v27, v29, v27
	s_waitcnt_depctr 0xfff
	v_ldexp_f32 v26, v28, v26
	s_delay_alu instid0(VALU_DEP_1) | instskip(NEXT) | instid1(VALU_DEP_1)
	v_dual_mul_f32 v23, v23, v25 :: v_dual_cndmask_b32 v24, 0x7f800000, v26
	v_ldexp_f32 v27, v23, v27
	s_delay_alu instid0(VALU_DEP_2) | instskip(SKIP_1) | instid1(VALU_DEP_1)
	v_cmp_gt_f32_e32 vcc_lo, 0x800000, v24
	v_cndmask_b32_e64 v23, 1.0, 0x4f800000, vcc_lo
	v_mul_f32_e32 v23, v24, v23
	s_delay_alu instid0(VALU_DEP_1) | instskip(SKIP_2) | instid1(VALU_DEP_1)
	v_log_f32_e32 v23, v23
	s_waitcnt_depctr 0xfff
	v_mul_f32_e32 v26, 0x3f317217, v23
	v_fma_f32 v28, 0x3f317217, v23, -v26
	s_delay_alu instid0(VALU_DEP_1) | instskip(NEXT) | instid1(VALU_DEP_1)
	v_fmac_f32_e32 v28, 0x3377d1cf, v23
	v_dual_mul_f32 v25, v27, v27 :: v_dual_add_f32 v26, v26, v28
	s_delay_alu instid0(VALU_DEP_1) | instskip(SKIP_2) | instid1(VALU_DEP_3)
	v_fmaak_f32 v24, s26, v25, 0xbc7a590c
	v_cndmask_b32_e64 v28, 0, 0x41b17218, vcc_lo
	v_cmp_gt_f32_e64 vcc_lo, 0x7f800000, |v23|
	v_dual_fmaak_f32 v24, v25, v24, 0x3d29fb3f :: v_dual_cndmask_b32 v23, v23, v26
	s_delay_alu instid0(VALU_DEP_1) | instskip(NEXT) | instid1(VALU_DEP_2)
	v_fmaak_f32 v24, v25, v24, 0xbd97d4d7
	v_sub_f32_e32 v26, v23, v28
	s_delay_alu instid0(VALU_DEP_2) | instskip(NEXT) | instid1(VALU_DEP_1)
	v_fmaak_f32 v24, v25, v24, 0x3dd931b2
	v_fmaak_f32 v24, v25, v24, 0xbe1160e6
	s_delay_alu instid0(VALU_DEP_1) | instskip(NEXT) | instid1(VALU_DEP_1)
	v_fmaak_f32 v24, v25, v24, 0x3e4cb8bf
	v_fmaak_f32 v24, v25, v24, 0xbeaaaa62
	s_delay_alu instid0(VALU_DEP_1) | instskip(NEXT) | instid1(VALU_DEP_1)
	v_mul_f32_e32 v24, v25, v24
	v_fmac_f32_e32 v27, v27, v24
.LBB63_188:                             ;   in Loop: Header=BB63_4 Depth=1
	s_or_b32 exec_lo, exec_lo, s7
                                        ; implicit-def: $vgpr23
                                        ; implicit-def: $vgpr25
                                        ; implicit-def: $vgpr24
.LBB63_189:                             ;   in Loop: Header=BB63_4 Depth=1
	s_and_not1_saveexec_b32 s30, s30
	s_cbranch_execz .LBB63_191
; %bb.190:                              ;   in Loop: Header=BB63_4 Depth=1
	v_div_scale_f32 v26, null, 0xc02df854, 0xc02df854, v10
	v_div_scale_f32 v27, null, 0xc02df854, 0xc02df854, v9
	v_div_scale_f32 v32, vcc_lo, v10, 0xc02df854, v10
	s_delay_alu instid0(VALU_DEP_3) | instskip(NEXT) | instid1(VALU_DEP_2)
	v_rcp_f32_e32 v28, v26
	v_rcp_f32_e32 v29, v27
	v_min_f32_e32 v23, v23, v25
	s_waitcnt_depctr 0xfff
	v_fma_f32 v30, -v26, v28, 1.0
	v_fma_f32 v31, -v27, v29, 1.0
	s_delay_alu instid0(VALU_DEP_1) | instskip(SKIP_1) | instid1(VALU_DEP_2)
	v_dual_fmac_f32 v28, v30, v28 :: v_dual_fmac_f32 v29, v31, v29
	v_div_scale_f32 v30, s7, v9, 0xc02df854, v9
	v_mul_f32_e32 v31, v32, v28
	s_delay_alu instid0(VALU_DEP_2) | instskip(NEXT) | instid1(VALU_DEP_2)
	v_mul_f32_e32 v33, v30, v29
	v_fma_f32 v34, -v26, v31, v32
	s_delay_alu instid0(VALU_DEP_2) | instskip(NEXT) | instid1(VALU_DEP_2)
	v_fma_f32 v35, -v27, v33, v30
	v_fmac_f32_e32 v31, v34, v28
	s_delay_alu instid0(VALU_DEP_2) | instskip(NEXT) | instid1(VALU_DEP_2)
	v_fmac_f32_e32 v33, v35, v29
	v_fma_f32 v26, -v26, v31, v32
	s_delay_alu instid0(VALU_DEP_2) | instskip(NEXT) | instid1(VALU_DEP_2)
	v_fma_f32 v27, -v27, v33, v30
	v_div_fmas_f32 v26, v26, v28, v31
	s_mov_b32 vcc_lo, s7
	s_delay_alu instid0(VALU_DEP_2) | instskip(NEXT) | instid1(VALU_DEP_2)
	v_div_fmas_f32 v27, v27, v29, v33
	v_div_fixup_f32 v28, v26, 0xc02df854, v10
	s_delay_alu instid0(VALU_DEP_2) | instskip(NEXT) | instid1(VALU_DEP_1)
	v_div_fixup_f32 v29, v27, 0xc02df854, v9
	v_max_f32_e64 v30, |v28|, |v29|
	s_delay_alu instid0(VALU_DEP_1) | instskip(SKIP_1) | instid1(VALU_DEP_2)
	v_cvt_f64_f32_e32 v[26:27], v30
	v_cmp_neq_f32_e32 vcc_lo, 0x7f800000, v30
	v_frexp_exp_i32_f64_e32 v26, v[26:27]
	s_delay_alu instid0(VALU_DEP_1) | instskip(NEXT) | instid1(VALU_DEP_1)
	v_sub_nc_u32_e32 v27, 0, v26
	v_ldexp_f32 v29, |v29|, v27
	v_ldexp_f32 v27, |v28|, v27
	s_delay_alu instid0(VALU_DEP_2) | instskip(NEXT) | instid1(VALU_DEP_1)
	v_mul_f32_e32 v28, v29, v29
	v_fmac_f32_e32 v28, v27, v27
	s_delay_alu instid0(VALU_DEP_1) | instskip(SKIP_3) | instid1(VALU_DEP_2)
	v_sqrt_f32_e32 v27, v28
	s_waitcnt lgkmcnt(0)
	v_frexp_mant_f32_e32 v28, v24
	v_frexp_exp_i32_f32_e32 v24, v24
	v_rcp_f32_e32 v25, v28
	s_waitcnt_depctr 0xfff
	v_ldexp_f32 v26, v27, v26
	v_frexp_exp_i32_f32_e32 v27, v23
	v_frexp_mant_f32_e32 v23, v23
	s_delay_alu instid0(VALU_DEP_3) | instskip(NEXT) | instid1(VALU_DEP_3)
	v_cndmask_b32_e32 v26, 0x7f800000, v26, vcc_lo
	v_sub_nc_u32_e32 v24, v27, v24
	s_delay_alu instid0(VALU_DEP_3) | instskip(NEXT) | instid1(VALU_DEP_3)
	v_mul_f32_e32 v23, v23, v25
	v_cmp_gt_f32_e32 vcc_lo, 0x800000, v26
	s_delay_alu instid0(VALU_DEP_2) | instskip(SKIP_1) | instid1(VALU_DEP_1)
	v_ldexp_f32 v27, v23, v24
	v_cndmask_b32_e64 v25, 1.0, 0x4f800000, vcc_lo
	v_dual_mul_f32 v24, v27, v27 :: v_dual_mul_f32 v23, v26, v25
	s_delay_alu instid0(VALU_DEP_1) | instskip(SKIP_2) | instid1(VALU_DEP_1)
	v_log_f32_e32 v23, v23
	s_waitcnt_depctr 0xfff
	v_mul_f32_e32 v26, 0x3f317217, v23
	v_fma_f32 v28, 0x3f317217, v23, -v26
	s_delay_alu instid0(VALU_DEP_1) | instskip(NEXT) | instid1(VALU_DEP_1)
	v_fmac_f32_e32 v28, 0x3377d1cf, v23
	v_add_f32_e32 v26, v26, v28
	v_cndmask_b32_e64 v28, 0, 0x41b17218, vcc_lo
	v_cmp_gt_f32_e64 vcc_lo, 0x7f800000, |v23|
	s_delay_alu instid0(VALU_DEP_3) | instskip(NEXT) | instid1(VALU_DEP_1)
	v_cndmask_b32_e32 v23, v23, v26, vcc_lo
	v_sub_f32_e32 v23, v23, v28
	s_delay_alu instid0(VALU_DEP_1) | instskip(NEXT) | instid1(VALU_DEP_1)
	v_dual_fmaak_f32 v25, s26, v24, 0xbc7a590c :: v_dual_add_f32 v26, 1.0, v23
	v_fmaak_f32 v25, v24, v25, 0x3d29fb3f
	s_delay_alu instid0(VALU_DEP_1) | instskip(NEXT) | instid1(VALU_DEP_1)
	v_fmaak_f32 v25, v24, v25, 0xbd97d4d7
	v_fmaak_f32 v25, v24, v25, 0x3dd931b2
	s_delay_alu instid0(VALU_DEP_1) | instskip(NEXT) | instid1(VALU_DEP_1)
	v_fmaak_f32 v25, v24, v25, 0xbe1160e6
	;; [unrolled: 3-line block ×3, first 2 shown]
	v_mul_f32_e32 v24, v24, v25
	s_delay_alu instid0(VALU_DEP_1)
	v_fmac_f32_e32 v27, v27, v24
.LBB63_191:                             ;   in Loop: Header=BB63_4 Depth=1
	s_or_b32 exec_lo, exec_lo, s30
	s_delay_alu instid0(VALU_DEP_1) | instskip(NEXT) | instid1(VALU_DEP_1)
	v_sub_f32_e32 v23, 0x3fc90fdb, v27
	v_cndmask_b32_e64 v27, v27, v23, s6
.LBB63_192:                             ;   in Loop: Header=BB63_4 Depth=1
	s_or_b32 exec_lo, exec_lo, s29
	v_cmp_neq_f32_e32 vcc_lo, 0, v9
	v_cmp_class_f32_e64 s6, v10, 0x204
	v_cmp_class_f32_e64 s7, v9, 0x204
	s_waitcnt lgkmcnt(0)
	v_dual_add_f32 v24, 0x3f317218, v26 :: v_dual_cndmask_b32 v23, 0, v27
	v_cmp_o_f32_e32 vcc_lo, v9, v10
	s_delay_alu instid0(VALU_DEP_3) | instskip(NEXT) | instid1(VALU_DEP_2)
	s_and_b32 s6, s6, s7
	v_bfi_b32 v10, 0x7fffffff, v24, v10
	s_delay_alu instid0(VALU_DEP_3) | instskip(NEXT) | instid1(VALU_DEP_1)
	v_cndmask_b32_e64 v23, v23, 0x3f490fdb, s6
	v_cndmask_b32_e32 v23, 0x7fc00000, v23, vcc_lo
	s_delay_alu instid0(VALU_DEP_1)
	v_bfi_b32 v9, 0x7fffffff, v23, v9
.LBB63_193:                             ;   in Loop: Header=BB63_4 Depth=1
	s_or_b32 exec_lo, exec_lo, s28
.LBB63_194:                             ;   in Loop: Header=BB63_4 Depth=1
	s_and_not1_saveexec_b32 s6, s27
	s_cbranch_execz .LBB63_208
; %bb.195:                              ;   in Loop: Header=BB63_4 Depth=1
	v_cmp_neq_f32_e64 s7, 0x7f800000, |v10|
                                        ; implicit-def: $vgpr23
                                        ; implicit-def: $vgpr24
	s_delay_alu instid0(VALU_DEP_1) | instskip(NEXT) | instid1(SALU_CYCLE_1)
	s_and_saveexec_b32 s27, s7
	s_xor_b32 s7, exec_lo, s27
	s_cbranch_execz .LBB63_205
; %bb.196:                              ;   in Loop: Header=BB63_4 Depth=1
	v_cmp_neq_f32_e64 s27, 0x7f800000, |v9|
                                        ; implicit-def: $vgpr23
                                        ; implicit-def: $vgpr24
	s_delay_alu instid0(VALU_DEP_1) | instskip(NEXT) | instid1(SALU_CYCLE_1)
	s_and_saveexec_b32 s28, s27
	s_xor_b32 s27, exec_lo, s28
	s_cbranch_execz .LBB63_202
; %bb.197:                              ;   in Loop: Header=BB63_4 Depth=1
	s_mov_b32 s28, exec_lo
                                        ; implicit-def: $vgpr23
	v_cmpx_neq_f32_e32 0, v9
	s_xor_b32 s28, exec_lo, s28
; %bb.198:                              ;   in Loop: Header=BB63_4 Depth=1
	v_add_f32_e32 v10, 0, v10
	s_delay_alu instid0(VALU_DEP_1)
	v_add_f32_e32 v23, v9, v10
                                        ; implicit-def: $vgpr10
; %bb.199:                              ;   in Loop: Header=BB63_4 Depth=1
	s_or_saveexec_b32 s28, s28
	s_waitcnt lgkmcnt(0)
	s_delay_alu instid0(VALU_DEP_1)
	v_mov_b32_e32 v24, v23
	s_xor_b32 exec_lo, exec_lo, s28
; %bb.200:                              ;   in Loop: Header=BB63_4 Depth=1
	v_dual_add_f32 v24, v10, v10 :: v_dual_mov_b32 v23, v9
; %bb.201:                              ;   in Loop: Header=BB63_4 Depth=1
	s_or_b32 exec_lo, exec_lo, s28
                                        ; implicit-def: $vgpr10
.LBB63_202:                             ;   in Loop: Header=BB63_4 Depth=1
	s_and_not1_saveexec_b32 s27, s27
	s_cbranch_execz .LBB63_204
; %bb.203:                              ;   in Loop: Header=BB63_4 Depth=1
	s_waitcnt lgkmcnt(0)
	v_dual_add_f32 v23, v10, v10 :: v_dual_mov_b32 v24, v9
.LBB63_204:                             ;   in Loop: Header=BB63_4 Depth=1
	s_or_b32 exec_lo, exec_lo, s27
                                        ; implicit-def: $vgpr9
.LBB63_205:                             ;   in Loop: Header=BB63_4 Depth=1
	s_and_not1_saveexec_b32 s7, s7
	s_cbranch_execz .LBB63_207
; %bb.206:                              ;   in Loop: Header=BB63_4 Depth=1
	s_waitcnt lgkmcnt(0)
	v_dual_add_f32 v23, v9, v9 :: v_dual_mov_b32 v24, v10
.LBB63_207:                             ;   in Loop: Header=BB63_4 Depth=1
	s_or_b32 exec_lo, exec_lo, s7
	s_waitcnt lgkmcnt(0)
	s_delay_alu instid0(VALU_DEP_1)
	v_dual_mov_b32 v10, v24 :: v_dual_mov_b32 v9, v23
.LBB63_208:                             ;   in Loop: Header=BB63_4 Depth=1
	s_or_b32 exec_lo, exec_lo, s6
	v_cmp_o_f32_e32 vcc_lo, v6, v6
	v_cmp_o_f32_e64 s6, v5, v5
	s_delay_alu instid0(VALU_DEP_1) | instskip(NEXT) | instid1(SALU_CYCLE_1)
	s_and_b32 s6, vcc_lo, s6
	s_and_saveexec_b32 s7, s6
	s_delay_alu instid0(SALU_CYCLE_1)
	s_xor_b32 s27, exec_lo, s7
	s_cbranch_execz .LBB63_292
; %bb.209:                              ;   in Loop: Header=BB63_4 Depth=1
	v_max_f32_e64 v25, |v5|, |v5|
	v_max_f32_e64 v23, |v6|, |v6|
	s_mov_b32 s6, exec_lo
	s_waitcnt lgkmcnt(0)
	s_delay_alu instid0(VALU_DEP_1) | instskip(NEXT) | instid1(VALU_DEP_1)
	v_max_f32_e32 v24, v23, v25
	v_cmpx_nlt_f32_e32 0x4b000000, v24
	s_xor_b32 s28, exec_lo, s6
	s_cbranch_execz .LBB63_269
; %bb.210:                              ;   in Loop: Header=BB63_4 Depth=1
	v_cmp_neq_f32_e32 vcc_lo, 0, v6
	v_cmp_neq_f32_e64 s6, 0, v5
	s_delay_alu instid0(VALU_DEP_1) | instskip(NEXT) | instid1(SALU_CYCLE_1)
	s_or_b32 s6, vcc_lo, s6
	s_and_saveexec_b32 s29, s6
	s_cbranch_execz .LBB63_268
; %bb.211:                              ;   in Loop: Header=BB63_4 Depth=1
	v_dual_mov_b32 v25, s13 :: v_dual_mov_b32 v24, s12
	v_cmp_ngt_f32_e64 s6, 0x395db3d7, |v6|
	v_cmp_ngt_f32_e64 s7, 0x395db3d7, |v5|
	flat_store_b32 v[24:25], v21 dlc
	s_waitcnt_vscnt null, 0x0
	flat_load_b32 v24, v[24:25] glc dlc
	s_waitcnt vmcnt(0)
	s_or_b32 s6, s6, s7
	s_waitcnt lgkmcnt(0)
	v_dual_add_f32 v26, 1.0, v24 :: v_dual_mov_b32 v25, s15
	v_mov_b32_e32 v24, s14
	flat_store_b32 v[24:25], v26 dlc
	s_waitcnt_vscnt null, 0x0
	flat_load_b32 v24, v[24:25] glc dlc
	s_waitcnt vmcnt(0)
	s_and_saveexec_b32 s30, s6
	s_cbranch_execz .LBB63_267
; %bb.212:                              ;   in Loop: Header=BB63_4 Depth=1
	v_add_f32_e64 v25, |v5|, 1.0
	s_waitcnt lgkmcnt(0)
	v_add_f32_e64 v24, |v5|, -1.0
	s_mov_b32 s6, exec_lo
	s_delay_alu instid0(VALU_DEP_2) | instskip(NEXT) | instid1(VALU_DEP_2)
	v_max_f32_e64 v30, v23, |v25|
	v_max_f32_e64 v23, v23, |v24|
	s_delay_alu instid0(VALU_DEP_2) | instskip(NEXT) | instid1(VALU_DEP_2)
	v_cvt_f64_f32_e32 v[26:27], v30
	v_cvt_f64_f32_e32 v[28:29], v23
	v_cmp_neq_f32_e32 vcc_lo, 0x7f800000, v30
	s_delay_alu instid0(VALU_DEP_3) | instskip(NEXT) | instid1(VALU_DEP_3)
	v_frexp_exp_i32_f64_e32 v26, v[26:27]
	v_frexp_exp_i32_f64_e32 v27, v[28:29]
	s_delay_alu instid0(VALU_DEP_2) | instskip(NEXT) | instid1(VALU_DEP_2)
	v_sub_nc_u32_e32 v28, 0, v26
	v_sub_nc_u32_e32 v29, 0, v27
	s_delay_alu instid0(VALU_DEP_2) | instskip(NEXT) | instid1(VALU_DEP_2)
	v_ldexp_f32 v31, |v25|, v28
	v_ldexp_f32 v32, |v24|, v29
	v_ldexp_f32 v28, |v6|, v28
	v_ldexp_f32 v29, |v6|, v29
	s_delay_alu instid0(VALU_DEP_3) | instskip(NEXT) | instid1(VALU_DEP_1)
	v_dual_mul_f32 v31, v31, v31 :: v_dual_mul_f32 v32, v32, v32
	v_dual_fmac_f32 v31, v28, v28 :: v_dual_fmac_f32 v32, v29, v29
	s_delay_alu instid0(VALU_DEP_1) | instskip(NEXT) | instid1(VALU_DEP_1)
	v_sqrt_f32_e32 v28, v31
	v_sqrt_f32_e32 v29, v32
	s_waitcnt_depctr 0xfff
	v_ldexp_f32 v26, v28, v26
	v_ldexp_f32 v27, v29, v27
                                        ; implicit-def: $vgpr29
	s_delay_alu instid0(VALU_DEP_2) | instskip(SKIP_1) | instid1(VALU_DEP_3)
	v_cndmask_b32_e32 v28, 0x7f800000, v26, vcc_lo
	v_cmp_neq_f32_e32 vcc_lo, 0x7f800000, v23
	v_cndmask_b32_e32 v26, 0x7f800000, v27, vcc_lo
	s_delay_alu instid0(VALU_DEP_1) | instskip(NEXT) | instid1(VALU_DEP_1)
	v_add_f32_e32 v23, v28, v26
	v_mul_f32_e32 v23, 0.5, v23
	s_delay_alu instid0(VALU_DEP_1) | instskip(SKIP_1) | instid1(VALU_DEP_1)
	v_cmp_ngt_f32_e32 vcc_lo, 1.0, v23
	v_cndmask_b32_e32 v23, 1.0, v23, vcc_lo
	v_cmpx_ngt_f32_e32 0x41200000, v23
	s_xor_b32 s7, exec_lo, s6
	s_cbranch_execz .LBB63_214
; %bb.213:                              ;   in Loop: Header=BB63_4 Depth=1
	v_fma_f32 v27, v23, v23, -1.0
	s_delay_alu instid0(VALU_DEP_1) | instskip(SKIP_1) | instid1(VALU_DEP_2)
	v_mul_f32_e32 v29, 0x4f800000, v27
	v_cmp_gt_f32_e32 vcc_lo, 0xf800000, v27
	v_cndmask_b32_e32 v27, v27, v29, vcc_lo
	s_delay_alu instid0(VALU_DEP_1) | instskip(SKIP_3) | instid1(VALU_DEP_2)
	v_sqrt_f32_e32 v29, v27
	s_waitcnt_depctr 0xfff
	v_add_nc_u32_e32 v30, -1, v29
	v_add_nc_u32_e32 v31, 1, v29
	v_fma_f32 v32, -v30, v29, v27
	s_delay_alu instid0(VALU_DEP_2) | instskip(NEXT) | instid1(VALU_DEP_2)
	v_fma_f32 v33, -v31, v29, v27
	v_cmp_ge_f32_e64 s6, 0, v32
	s_delay_alu instid0(VALU_DEP_1) | instskip(NEXT) | instid1(VALU_DEP_3)
	v_cndmask_b32_e64 v29, v29, v30, s6
	v_cmp_lt_f32_e64 s6, 0, v33
	s_delay_alu instid0(VALU_DEP_1) | instskip(NEXT) | instid1(VALU_DEP_1)
	v_cndmask_b32_e64 v29, v29, v31, s6
	v_mul_f32_e32 v30, 0x37800000, v29
	s_delay_alu instid0(VALU_DEP_1) | instskip(SKIP_1) | instid1(VALU_DEP_2)
	v_cndmask_b32_e32 v29, v29, v30, vcc_lo
	v_cmp_class_f32_e64 vcc_lo, v27, 0x260
	v_cndmask_b32_e32 v27, v29, v27, vcc_lo
	s_delay_alu instid0(VALU_DEP_1) | instskip(NEXT) | instid1(VALU_DEP_1)
	v_add_f32_e32 v27, v23, v27
	v_cmp_gt_f32_e32 vcc_lo, 0x800000, v27
	s_delay_alu instid0(VALU_DEP_4) | instskip(NEXT) | instid1(VALU_DEP_1)
	v_cndmask_b32_e64 v29, 1.0, 0x4f800000, vcc_lo
	v_mul_f32_e32 v27, v27, v29
	s_delay_alu instid0(VALU_DEP_1) | instskip(SKIP_3) | instid1(VALU_DEP_2)
	v_log_f32_e32 v27, v27
	s_waitcnt_depctr 0xfff
	v_mul_f32_e32 v29, 0x3f317217, v27
	v_cmp_gt_f32_e64 s6, 0x7f800000, |v27|
	v_fma_f32 v30, 0x3f317217, v27, -v29
	s_delay_alu instid0(VALU_DEP_1) | instskip(NEXT) | instid1(VALU_DEP_1)
	v_fmac_f32_e32 v30, 0x3377d1cf, v27
	v_add_f32_e32 v29, v29, v30
	s_delay_alu instid0(VALU_DEP_1) | instskip(SKIP_1) | instid1(VALU_DEP_1)
	v_cndmask_b32_e64 v27, v27, v29, s6
	v_cndmask_b32_e64 v29, 0, 0x41b17218, vcc_lo
	v_sub_f32_e32 v29, v27, v29
.LBB63_214:                             ;   in Loop: Header=BB63_4 Depth=1
	s_or_saveexec_b32 s7, s7
	v_and_b32_e32 v27, 0x7fffffff, v6
	s_xor_b32 exec_lo, exec_lo, s7
	s_cbranch_execz .LBB63_236
; %bb.215:                              ;   in Loop: Header=BB63_4 Depth=1
	v_cmp_neq_f32_e64 s6, |v5|, 1.0
	v_cmp_ngt_f32_e64 s31, 0x25000000, |v6|
                                        ; implicit-def: $vgpr29
	s_delay_alu instid0(VALU_DEP_1) | instskip(NEXT) | instid1(SALU_CYCLE_1)
	s_or_b32 s6, s31, s6
	s_and_saveexec_b32 s31, s6
	s_delay_alu instid0(SALU_CYCLE_1)
	s_xor_b32 s31, exec_lo, s31
	s_cbranch_execz .LBB63_233
; %bb.216:                              ;   in Loop: Header=BB63_4 Depth=1
	v_mul_f32_e64 v29, 0x34000000, |v24|
	s_delay_alu instid0(VALU_DEP_1) | instskip(NEXT) | instid1(VALU_DEP_1)
	v_cmp_le_f32_e64 s6, v29, |v6|
                                        ; implicit-def: $vgpr29
	s_and_saveexec_b32 s33, s6
	s_delay_alu instid0(SALU_CYCLE_1)
	s_xor_b32 s33, exec_lo, s33
	s_cbranch_execz .LBB63_226
; %bb.217:                              ;   in Loop: Header=BB63_4 Depth=1
	v_mov_b32_e32 v29, v27
	s_mov_b32 s6, exec_lo
	v_cmpx_neq_f32_e32 0, v25
	s_cbranch_execz .LBB63_219
; %bb.218:                              ;   in Loop: Header=BB63_4 Depth=1
	v_dual_mul_f32 v29, v6, v6 :: v_dual_add_f32 v30, v25, v28
	s_delay_alu instid0(VALU_DEP_1) | instskip(NEXT) | instid1(VALU_DEP_1)
	v_div_scale_f32 v31, null, v30, v30, v29
	v_rcp_f32_e32 v32, v31
	s_waitcnt_depctr 0xfff
	v_fma_f32 v33, -v31, v32, 1.0
	s_delay_alu instid0(VALU_DEP_1) | instskip(SKIP_1) | instid1(VALU_DEP_1)
	v_fmac_f32_e32 v32, v33, v32
	v_div_scale_f32 v33, vcc_lo, v29, v30, v29
	v_mul_f32_e32 v34, v33, v32
	s_delay_alu instid0(VALU_DEP_1) | instskip(NEXT) | instid1(VALU_DEP_1)
	v_fma_f32 v35, -v31, v34, v33
	v_fmac_f32_e32 v34, v35, v32
	s_delay_alu instid0(VALU_DEP_1) | instskip(NEXT) | instid1(VALU_DEP_1)
	v_fma_f32 v31, -v31, v34, v33
	v_div_fmas_f32 v31, v31, v32, v34
	s_delay_alu instid0(VALU_DEP_1)
	v_div_fixup_f32 v29, v31, v30, v29
.LBB63_219:                             ;   in Loop: Header=BB63_4 Depth=1
	s_or_b32 exec_lo, exec_lo, s6
	v_sub_f32_e64 v31, 1.0, |v5|
	s_mov_b32 s6, exec_lo
                                        ; implicit-def: $vgpr30
	s_delay_alu instid0(VALU_DEP_1)
	v_cmpx_ngt_f32_e32 0, v31
	s_xor_b32 s6, exec_lo, s6
	s_cbranch_execz .LBB63_223
; %bb.220:                              ;   in Loop: Header=BB63_4 Depth=1
	v_mov_b32_e32 v30, v27
	s_mov_b32 s34, exec_lo
	v_cmpx_neq_f32_e32 0, v31
	s_cbranch_execz .LBB63_222
; %bb.221:                              ;   in Loop: Header=BB63_4 Depth=1
	v_mul_f32_e32 v30, v6, v6
	v_add_f32_e32 v31, v31, v26
	s_delay_alu instid0(VALU_DEP_1) | instskip(NEXT) | instid1(VALU_DEP_1)
	v_div_scale_f32 v32, null, v31, v31, v30
	v_rcp_f32_e32 v33, v32
	s_waitcnt_depctr 0xfff
	v_fma_f32 v34, -v32, v33, 1.0
	s_delay_alu instid0(VALU_DEP_1) | instskip(SKIP_1) | instid1(VALU_DEP_1)
	v_fmac_f32_e32 v33, v34, v33
	v_div_scale_f32 v34, vcc_lo, v30, v31, v30
	v_mul_f32_e32 v35, v34, v33
	s_delay_alu instid0(VALU_DEP_1) | instskip(NEXT) | instid1(VALU_DEP_1)
	v_fma_f32 v36, -v32, v35, v34
	v_fmac_f32_e32 v35, v36, v33
	s_delay_alu instid0(VALU_DEP_1) | instskip(NEXT) | instid1(VALU_DEP_1)
	v_fma_f32 v32, -v32, v35, v34
	v_div_fmas_f32 v32, v32, v33, v35
	s_delay_alu instid0(VALU_DEP_1)
	v_div_fixup_f32 v30, v32, v31, v30
.LBB63_222:                             ;   in Loop: Header=BB63_4 Depth=1
	s_or_b32 exec_lo, exec_lo, s34
                                        ; implicit-def: $vgpr31
.LBB63_223:                             ;   in Loop: Header=BB63_4 Depth=1
	s_and_not1_saveexec_b32 s6, s6
; %bb.224:                              ;   in Loop: Header=BB63_4 Depth=1
	v_sub_f32_e32 v30, v26, v31
; %bb.225:                              ;   in Loop: Header=BB63_4 Depth=1
	s_or_b32 exec_lo, exec_lo, s6
	s_delay_alu instid0(VALU_DEP_1) | instskip(NEXT) | instid1(VALU_DEP_1)
	v_dual_mul_f32 v30, 0.5, v30 :: v_dual_add_f32 v31, 1.0, v23
	v_fmac_f32_e32 v30, 0.5, v29
	s_delay_alu instid0(VALU_DEP_1) | instskip(NEXT) | instid1(VALU_DEP_1)
	v_mul_f32_e32 v29, v31, v30
	v_mul_f32_e32 v31, 0x4f800000, v29
	v_cmp_gt_f32_e32 vcc_lo, 0xf800000, v29
	s_delay_alu instid0(VALU_DEP_2) | instskip(NEXT) | instid1(VALU_DEP_1)
	v_cndmask_b32_e32 v29, v29, v31, vcc_lo
	v_sqrt_f32_e32 v31, v29
	s_waitcnt_depctr 0xfff
	v_add_nc_u32_e32 v32, -1, v31
	v_add_nc_u32_e32 v33, 1, v31
	s_delay_alu instid0(VALU_DEP_2) | instskip(NEXT) | instid1(VALU_DEP_2)
	v_fma_f32 v34, -v32, v31, v29
	v_fma_f32 v35, -v33, v31, v29
	s_delay_alu instid0(VALU_DEP_2) | instskip(NEXT) | instid1(VALU_DEP_1)
	v_cmp_ge_f32_e64 s6, 0, v34
	v_cndmask_b32_e64 v31, v31, v32, s6
	s_delay_alu instid0(VALU_DEP_3) | instskip(NEXT) | instid1(VALU_DEP_1)
	v_cmp_lt_f32_e64 s6, 0, v35
	v_cndmask_b32_e64 v31, v31, v33, s6
	s_delay_alu instid0(VALU_DEP_1) | instskip(NEXT) | instid1(VALU_DEP_1)
	v_mul_f32_e32 v32, 0x37800000, v31
	v_cndmask_b32_e32 v31, v31, v32, vcc_lo
	v_cmp_class_f32_e64 vcc_lo, v29, 0x260
	s_delay_alu instid0(VALU_DEP_2) | instskip(NEXT) | instid1(VALU_DEP_1)
	v_cndmask_b32_e32 v29, v31, v29, vcc_lo
	v_add_f32_e32 v31, v30, v29
	s_delay_alu instid0(VALU_DEP_1) | instskip(NEXT) | instid1(VALU_DEP_1)
	v_add_f32_e32 v32, 1.0, v31
	v_cvt_f64_f32_e32 v[29:30], v32
	s_delay_alu instid0(VALU_DEP_1) | instskip(SKIP_1) | instid1(VALU_DEP_1)
	v_frexp_exp_i32_f64_e32 v29, v[29:30]
	v_frexp_mant_f32_e32 v30, v32
	v_cmp_gt_f32_e32 vcc_lo, 0x3f2aaaab, v30
	v_add_f32_e32 v30, -1.0, v32
	s_delay_alu instid0(VALU_DEP_1) | instskip(NEXT) | instid1(VALU_DEP_1)
	v_sub_f32_e32 v34, v30, v32
	v_add_f32_e32 v34, 1.0, v34
	v_subrev_co_ci_u32_e32 v29, vcc_lo, 0, v29, vcc_lo
	s_delay_alu instid0(VALU_DEP_1) | instskip(SKIP_1) | instid1(VALU_DEP_2)
	v_sub_nc_u32_e32 v33, 0, v29
	v_cvt_f32_i32_e32 v29, v29
	v_ldexp_f32 v32, v32, v33
	s_delay_alu instid0(VALU_DEP_1) | instskip(NEXT) | instid1(VALU_DEP_1)
	v_dual_sub_f32 v30, v31, v30 :: v_dual_add_f32 v35, 1.0, v32
	v_add_f32_e32 v30, v30, v34
	s_delay_alu instid0(VALU_DEP_2) | instskip(NEXT) | instid1(VALU_DEP_2)
	v_add_f32_e32 v34, -1.0, v35
	v_ldexp_f32 v30, v30, v33
	v_add_f32_e32 v33, -1.0, v32
	v_cmp_eq_f32_e32 vcc_lo, 0x7f800000, v31
	s_delay_alu instid0(VALU_DEP_4) | instskip(NEXT) | instid1(VALU_DEP_3)
	v_sub_f32_e32 v34, v32, v34
	v_add_f32_e32 v36, 1.0, v33
	s_delay_alu instid0(VALU_DEP_2) | instskip(NEXT) | instid1(VALU_DEP_2)
	v_add_f32_e32 v34, v30, v34
	v_sub_f32_e32 v32, v32, v36
	s_delay_alu instid0(VALU_DEP_1) | instskip(NEXT) | instid1(VALU_DEP_1)
	v_add_f32_e32 v30, v30, v32
	v_add_f32_e32 v37, v33, v30
	s_delay_alu instid0(VALU_DEP_1) | instskip(NEXT) | instid1(VALU_DEP_1)
	v_dual_add_f32 v36, v35, v34 :: v_dual_sub_f32 v33, v37, v33
	v_rcp_f32_e32 v32, v36
	v_sub_f32_e32 v35, v36, v35
	s_delay_alu instid0(VALU_DEP_1) | instskip(SKIP_2) | instid1(VALU_DEP_1)
	v_sub_f32_e32 v34, v34, v35
	s_waitcnt_depctr 0xfff
	v_mul_f32_e32 v38, v37, v32
	v_mul_f32_e32 v39, v36, v38
	s_delay_alu instid0(VALU_DEP_1) | instskip(NEXT) | instid1(VALU_DEP_1)
	v_fma_f32 v35, v38, v36, -v39
	v_fmac_f32_e32 v35, v38, v34
	v_sub_f32_e32 v30, v30, v33
	s_delay_alu instid0(VALU_DEP_2) | instskip(NEXT) | instid1(VALU_DEP_1)
	v_add_f32_e32 v40, v39, v35
	v_sub_f32_e32 v41, v37, v40
	v_sub_f32_e32 v33, v40, v39
	s_delay_alu instid0(VALU_DEP_2) | instskip(NEXT) | instid1(VALU_DEP_2)
	v_sub_f32_e32 v37, v37, v41
	v_sub_f32_e32 v33, v33, v35
	s_delay_alu instid0(VALU_DEP_2) | instskip(NEXT) | instid1(VALU_DEP_1)
	v_sub_f32_e32 v37, v37, v40
	v_add_f32_e32 v30, v30, v37
	s_delay_alu instid0(VALU_DEP_1) | instskip(NEXT) | instid1(VALU_DEP_1)
	v_add_f32_e32 v30, v33, v30
	v_add_f32_e32 v33, v41, v30
	s_delay_alu instid0(VALU_DEP_1) | instskip(NEXT) | instid1(VALU_DEP_1)
	v_mul_f32_e32 v35, v32, v33
	v_dual_sub_f32 v40, v41, v33 :: v_dual_mul_f32 v37, v36, v35
	s_delay_alu instid0(VALU_DEP_1) | instskip(NEXT) | instid1(VALU_DEP_2)
	v_add_f32_e32 v30, v30, v40
	v_fma_f32 v36, v35, v36, -v37
	s_delay_alu instid0(VALU_DEP_1) | instskip(NEXT) | instid1(VALU_DEP_1)
	v_fmac_f32_e32 v36, v35, v34
	v_add_f32_e32 v34, v37, v36
	s_delay_alu instid0(VALU_DEP_1) | instskip(NEXT) | instid1(VALU_DEP_1)
	v_sub_f32_e32 v39, v33, v34
	v_sub_f32_e32 v33, v33, v39
	s_delay_alu instid0(VALU_DEP_1) | instskip(NEXT) | instid1(VALU_DEP_1)
	v_sub_f32_e32 v33, v33, v34
	v_add_f32_e32 v30, v30, v33
	v_add_f32_e32 v33, v38, v35
	v_sub_f32_e32 v37, v34, v37
	s_delay_alu instid0(VALU_DEP_1) | instskip(NEXT) | instid1(VALU_DEP_1)
	v_sub_f32_e32 v34, v37, v36
	v_add_f32_e32 v30, v34, v30
	s_delay_alu instid0(VALU_DEP_4) | instskip(NEXT) | instid1(VALU_DEP_2)
	v_sub_f32_e32 v34, v33, v38
	v_add_f32_e32 v30, v39, v30
	s_delay_alu instid0(VALU_DEP_2) | instskip(NEXT) | instid1(VALU_DEP_2)
	v_sub_f32_e32 v34, v35, v34
	v_mul_f32_e32 v30, v32, v30
	s_delay_alu instid0(VALU_DEP_1) | instskip(NEXT) | instid1(VALU_DEP_1)
	v_add_f32_e32 v30, v34, v30
	v_add_f32_e32 v32, v33, v30
	s_delay_alu instid0(VALU_DEP_1) | instskip(NEXT) | instid1(VALU_DEP_1)
	v_mul_f32_e32 v34, v32, v32
	v_fmaak_f32 v35, s24, v34, 0x3ecc95a3
	v_mul_f32_e32 v36, v32, v34
	s_delay_alu instid0(VALU_DEP_2) | instskip(SKIP_2) | instid1(VALU_DEP_3)
	v_fmaak_f32 v34, v34, v35, 0x3f2aaada
	v_ldexp_f32 v35, v32, 1
	v_sub_f32_e32 v32, v32, v33
	v_mul_f32_e32 v34, v36, v34
	v_mul_f32_e32 v36, 0x3f317218, v29
	s_delay_alu instid0(VALU_DEP_2) | instskip(NEXT) | instid1(VALU_DEP_1)
	v_dual_sub_f32 v30, v30, v32 :: v_dual_add_f32 v33, v35, v34
	v_ldexp_f32 v30, v30, 1
	s_delay_alu instid0(VALU_DEP_2) | instskip(NEXT) | instid1(VALU_DEP_4)
	v_sub_f32_e32 v32, v33, v35
	v_fma_f32 v35, 0x3f317218, v29, -v36
	s_delay_alu instid0(VALU_DEP_1) | instskip(NEXT) | instid1(VALU_DEP_1)
	v_dual_sub_f32 v32, v34, v32 :: v_dual_fmac_f32 v35, 0xb102e308, v29
	v_dual_add_f32 v29, v30, v32 :: v_dual_add_f32 v30, v36, v35
	s_delay_alu instid0(VALU_DEP_1) | instskip(NEXT) | instid1(VALU_DEP_2)
	v_add_f32_e32 v32, v33, v29
	v_sub_f32_e32 v36, v30, v36
	s_delay_alu instid0(VALU_DEP_2) | instskip(NEXT) | instid1(VALU_DEP_2)
	v_dual_add_f32 v34, v30, v32 :: v_dual_sub_f32 v33, v32, v33
	v_sub_f32_e32 v35, v35, v36
	s_delay_alu instid0(VALU_DEP_2) | instskip(NEXT) | instid1(VALU_DEP_3)
	v_sub_f32_e32 v37, v34, v30
	v_sub_f32_e32 v29, v29, v33
	s_delay_alu instid0(VALU_DEP_2) | instskip(SKIP_1) | instid1(VALU_DEP_2)
	v_sub_f32_e32 v38, v34, v37
	v_sub_f32_e32 v32, v32, v37
	v_dual_add_f32 v33, v35, v29 :: v_dual_sub_f32 v30, v30, v38
	s_delay_alu instid0(VALU_DEP_1) | instskip(NEXT) | instid1(VALU_DEP_2)
	v_add_f32_e32 v30, v32, v30
	v_sub_f32_e32 v32, v33, v35
	s_delay_alu instid0(VALU_DEP_2) | instskip(NEXT) | instid1(VALU_DEP_2)
	v_add_f32_e32 v30, v33, v30
	v_sub_f32_e32 v33, v33, v32
	s_delay_alu instid0(VALU_DEP_2) | instskip(NEXT) | instid1(VALU_DEP_1)
	v_dual_sub_f32 v29, v29, v32 :: v_dual_add_f32 v36, v34, v30
	v_dual_sub_f32 v33, v35, v33 :: v_dual_sub_f32 v32, v36, v34
	s_delay_alu instid0(VALU_DEP_1) | instskip(NEXT) | instid1(VALU_DEP_1)
	v_dual_add_f32 v29, v29, v33 :: v_dual_sub_f32 v30, v30, v32
	v_add_f32_e32 v29, v29, v30
	s_delay_alu instid0(VALU_DEP_1) | instskip(NEXT) | instid1(VALU_DEP_1)
	v_add_f32_e32 v29, v36, v29
	v_cndmask_b32_e32 v29, v29, v31, vcc_lo
	v_cmp_ngt_f32_e32 vcc_lo, -1.0, v31
	s_delay_alu instid0(VALU_DEP_2) | instskip(SKIP_1) | instid1(VALU_DEP_2)
	v_cndmask_b32_e32 v29, 0x7fc00000, v29, vcc_lo
	v_cmp_neq_f32_e32 vcc_lo, -1.0, v31
	v_cndmask_b32_e32 v29, 0xff800000, v29, vcc_lo
	v_cmp_gt_f32_e64 vcc_lo, 0x33800000, |v31|
	s_delay_alu instid0(VALU_DEP_2)
	v_cndmask_b32_e32 v29, v29, v31, vcc_lo
.LBB63_226:                             ;   in Loop: Header=BB63_4 Depth=1
	s_and_not1_saveexec_b32 s33, s33
	s_cbranch_execz .LBB63_232
; %bb.227:                              ;   in Loop: Header=BB63_4 Depth=1
	s_mov_b32 s34, exec_lo
                                        ; implicit-def: $vgpr29
	v_cmpx_nlt_f32_e64 |v5|, 1.0
	s_xor_b32 s34, exec_lo, s34
	s_cbranch_execz .LBB63_229
; %bb.228:                              ;   in Loop: Header=BB63_4 Depth=1
	v_mul_f32_e32 v29, v24, v25
	s_delay_alu instid0(VALU_DEP_1) | instskip(SKIP_1) | instid1(VALU_DEP_2)
	v_mul_f32_e32 v30, 0x4f800000, v29
	v_cmp_gt_f32_e32 vcc_lo, 0xf800000, v29
	v_cndmask_b32_e32 v29, v29, v30, vcc_lo
	s_delay_alu instid0(VALU_DEP_1) | instskip(SKIP_3) | instid1(VALU_DEP_2)
	v_sqrt_f32_e32 v30, v29
	s_waitcnt_depctr 0xfff
	v_add_nc_u32_e32 v31, -1, v30
	v_add_nc_u32_e32 v32, 1, v30
	v_fma_f32 v33, -v31, v30, v29
	s_delay_alu instid0(VALU_DEP_2) | instskip(NEXT) | instid1(VALU_DEP_2)
	v_fma_f32 v34, -v32, v30, v29
	v_cmp_ge_f32_e64 s6, 0, v33
	s_delay_alu instid0(VALU_DEP_1) | instskip(NEXT) | instid1(VALU_DEP_3)
	v_cndmask_b32_e64 v30, v30, v31, s6
	v_cmp_lt_f32_e64 s6, 0, v34
	s_delay_alu instid0(VALU_DEP_1) | instskip(NEXT) | instid1(VALU_DEP_1)
	v_cndmask_b32_e64 v30, v30, v32, s6
	v_mul_f32_e32 v31, 0x37800000, v30
	s_delay_alu instid0(VALU_DEP_1) | instskip(SKIP_1) | instid1(VALU_DEP_2)
	v_cndmask_b32_e32 v30, v30, v31, vcc_lo
	v_cmp_class_f32_e64 vcc_lo, v29, 0x260
	v_cndmask_b32_e32 v29, v30, v29, vcc_lo
	s_delay_alu instid0(VALU_DEP_1) | instskip(NEXT) | instid1(VALU_DEP_1)
	v_add_f32_e32 v31, v24, v29
	v_add_f32_e32 v32, 1.0, v31
	s_delay_alu instid0(VALU_DEP_1) | instskip(NEXT) | instid1(VALU_DEP_1)
	v_cvt_f64_f32_e32 v[29:30], v32
	v_frexp_exp_i32_f64_e32 v29, v[29:30]
	v_frexp_mant_f32_e32 v30, v32
	s_delay_alu instid0(VALU_DEP_1) | instskip(SKIP_1) | instid1(VALU_DEP_1)
	v_cmp_gt_f32_e32 vcc_lo, 0x3f2aaaab, v30
	v_add_f32_e32 v30, -1.0, v32
	v_sub_f32_e32 v34, v30, v32
	s_delay_alu instid0(VALU_DEP_1) | instskip(SKIP_2) | instid1(VALU_DEP_2)
	v_add_f32_e32 v34, 1.0, v34
	v_subrev_co_ci_u32_e32 v29, vcc_lo, 0, v29, vcc_lo
	v_cmp_eq_f32_e32 vcc_lo, 0x7f800000, v31
	v_sub_nc_u32_e32 v33, 0, v29
	v_cvt_f32_i32_e32 v29, v29
	s_delay_alu instid0(VALU_DEP_2) | instskip(NEXT) | instid1(VALU_DEP_1)
	v_ldexp_f32 v32, v32, v33
	v_dual_sub_f32 v30, v31, v30 :: v_dual_add_f32 v35, 1.0, v32
	s_delay_alu instid0(VALU_DEP_1) | instskip(NEXT) | instid1(VALU_DEP_1)
	v_add_f32_e32 v30, v30, v34
	v_ldexp_f32 v30, v30, v33
	s_delay_alu instid0(VALU_DEP_3) | instskip(NEXT) | instid1(VALU_DEP_1)
	v_dual_add_f32 v33, -1.0, v32 :: v_dual_add_f32 v34, -1.0, v35
	v_add_f32_e32 v36, 1.0, v33
	s_delay_alu instid0(VALU_DEP_2) | instskip(NEXT) | instid1(VALU_DEP_2)
	v_sub_f32_e32 v34, v32, v34
	v_sub_f32_e32 v32, v32, v36
	s_delay_alu instid0(VALU_DEP_2) | instskip(NEXT) | instid1(VALU_DEP_2)
	v_add_f32_e32 v34, v30, v34
	v_add_f32_e32 v30, v30, v32
	s_delay_alu instid0(VALU_DEP_1) | instskip(NEXT) | instid1(VALU_DEP_1)
	v_add_f32_e32 v37, v33, v30
	v_dual_sub_f32 v33, v37, v33 :: v_dual_add_f32 v36, v35, v34
	s_delay_alu instid0(VALU_DEP_1) | instskip(SKIP_1) | instid1(VALU_DEP_1)
	v_rcp_f32_e32 v32, v36
	v_sub_f32_e32 v35, v36, v35
	v_sub_f32_e32 v34, v34, v35
	s_waitcnt_depctr 0xfff
	v_mul_f32_e32 v38, v37, v32
	s_delay_alu instid0(VALU_DEP_1) | instskip(NEXT) | instid1(VALU_DEP_1)
	v_mul_f32_e32 v39, v36, v38
	v_fma_f32 v35, v38, v36, -v39
	s_delay_alu instid0(VALU_DEP_1) | instskip(SKIP_1) | instid1(VALU_DEP_2)
	v_fmac_f32_e32 v35, v38, v34
	v_sub_f32_e32 v30, v30, v33
	v_add_f32_e32 v40, v39, v35
	s_delay_alu instid0(VALU_DEP_1) | instskip(SKIP_1) | instid1(VALU_DEP_2)
	v_sub_f32_e32 v41, v37, v40
	v_sub_f32_e32 v33, v40, v39
	;; [unrolled: 1-line block ×3, first 2 shown]
	s_delay_alu instid0(VALU_DEP_2) | instskip(NEXT) | instid1(VALU_DEP_2)
	v_sub_f32_e32 v33, v33, v35
	v_sub_f32_e32 v37, v37, v40
	s_delay_alu instid0(VALU_DEP_1) | instskip(NEXT) | instid1(VALU_DEP_1)
	v_add_f32_e32 v30, v30, v37
	v_add_f32_e32 v30, v33, v30
	s_delay_alu instid0(VALU_DEP_1) | instskip(NEXT) | instid1(VALU_DEP_1)
	v_add_f32_e32 v33, v41, v30
	v_mul_f32_e32 v35, v32, v33
	s_delay_alu instid0(VALU_DEP_1) | instskip(NEXT) | instid1(VALU_DEP_1)
	v_dual_sub_f32 v40, v41, v33 :: v_dual_mul_f32 v37, v36, v35
	v_fma_f32 v36, v35, v36, -v37
	s_delay_alu instid0(VALU_DEP_1) | instskip(NEXT) | instid1(VALU_DEP_1)
	v_fmac_f32_e32 v36, v35, v34
	v_add_f32_e32 v34, v37, v36
	s_delay_alu instid0(VALU_DEP_1) | instskip(SKIP_1) | instid1(VALU_DEP_1)
	v_sub_f32_e32 v37, v34, v37
	v_dual_sub_f32 v39, v33, v34 :: v_dual_add_f32 v30, v30, v40
	v_sub_f32_e32 v33, v33, v39
	s_delay_alu instid0(VALU_DEP_1) | instskip(NEXT) | instid1(VALU_DEP_4)
	v_sub_f32_e32 v33, v33, v34
	v_sub_f32_e32 v34, v37, v36
	s_delay_alu instid0(VALU_DEP_2) | instskip(SKIP_1) | instid1(VALU_DEP_2)
	v_add_f32_e32 v30, v30, v33
	v_add_f32_e32 v33, v38, v35
	;; [unrolled: 1-line block ×3, first 2 shown]
	s_delay_alu instid0(VALU_DEP_2) | instskip(NEXT) | instid1(VALU_DEP_2)
	v_sub_f32_e32 v34, v33, v38
	v_add_f32_e32 v30, v39, v30
	s_delay_alu instid0(VALU_DEP_2) | instskip(NEXT) | instid1(VALU_DEP_2)
	v_sub_f32_e32 v34, v35, v34
	v_mul_f32_e32 v30, v32, v30
	s_delay_alu instid0(VALU_DEP_1) | instskip(NEXT) | instid1(VALU_DEP_1)
	v_add_f32_e32 v30, v34, v30
	v_add_f32_e32 v32, v33, v30
	s_delay_alu instid0(VALU_DEP_1) | instskip(NEXT) | instid1(VALU_DEP_1)
	v_mul_f32_e32 v34, v32, v32
	v_fmaak_f32 v35, s24, v34, 0x3ecc95a3
	v_mul_f32_e32 v36, v32, v34
	s_delay_alu instid0(VALU_DEP_2) | instskip(SKIP_2) | instid1(VALU_DEP_3)
	v_fmaak_f32 v34, v34, v35, 0x3f2aaada
	v_ldexp_f32 v35, v32, 1
	v_sub_f32_e32 v32, v32, v33
	v_mul_f32_e32 v34, v36, v34
	v_mul_f32_e32 v36, 0x3f317218, v29
	s_delay_alu instid0(VALU_DEP_2) | instskip(NEXT) | instid1(VALU_DEP_1)
	v_dual_sub_f32 v30, v30, v32 :: v_dual_add_f32 v33, v35, v34
	v_ldexp_f32 v30, v30, 1
	s_delay_alu instid0(VALU_DEP_2) | instskip(NEXT) | instid1(VALU_DEP_4)
	v_sub_f32_e32 v32, v33, v35
	v_fma_f32 v35, 0x3f317218, v29, -v36
	s_delay_alu instid0(VALU_DEP_1) | instskip(NEXT) | instid1(VALU_DEP_1)
	v_dual_sub_f32 v32, v34, v32 :: v_dual_fmac_f32 v35, 0xb102e308, v29
	v_dual_add_f32 v29, v30, v32 :: v_dual_add_f32 v30, v36, v35
	s_delay_alu instid0(VALU_DEP_1) | instskip(NEXT) | instid1(VALU_DEP_2)
	v_add_f32_e32 v32, v33, v29
	v_sub_f32_e32 v36, v30, v36
	s_delay_alu instid0(VALU_DEP_2) | instskip(NEXT) | instid1(VALU_DEP_2)
	v_dual_add_f32 v34, v30, v32 :: v_dual_sub_f32 v33, v32, v33
	v_sub_f32_e32 v35, v35, v36
	s_delay_alu instid0(VALU_DEP_2) | instskip(NEXT) | instid1(VALU_DEP_3)
	v_sub_f32_e32 v37, v34, v30
	v_sub_f32_e32 v29, v29, v33
	s_delay_alu instid0(VALU_DEP_2) | instskip(SKIP_1) | instid1(VALU_DEP_2)
	v_sub_f32_e32 v38, v34, v37
	v_sub_f32_e32 v32, v32, v37
	v_dual_add_f32 v33, v35, v29 :: v_dual_sub_f32 v30, v30, v38
	s_delay_alu instid0(VALU_DEP_1) | instskip(NEXT) | instid1(VALU_DEP_2)
	v_add_f32_e32 v30, v32, v30
	v_sub_f32_e32 v32, v33, v35
	s_delay_alu instid0(VALU_DEP_2) | instskip(NEXT) | instid1(VALU_DEP_2)
	v_add_f32_e32 v30, v33, v30
	v_sub_f32_e32 v33, v33, v32
	s_delay_alu instid0(VALU_DEP_2) | instskip(NEXT) | instid1(VALU_DEP_1)
	v_dual_sub_f32 v29, v29, v32 :: v_dual_add_f32 v36, v34, v30
	v_dual_sub_f32 v33, v35, v33 :: v_dual_sub_f32 v32, v36, v34
	s_delay_alu instid0(VALU_DEP_1) | instskip(NEXT) | instid1(VALU_DEP_1)
	v_dual_add_f32 v29, v29, v33 :: v_dual_sub_f32 v30, v30, v32
	v_add_f32_e32 v29, v29, v30
	s_delay_alu instid0(VALU_DEP_1) | instskip(NEXT) | instid1(VALU_DEP_1)
	v_add_f32_e32 v29, v36, v29
	v_cndmask_b32_e32 v29, v29, v31, vcc_lo
	v_cmp_ngt_f32_e32 vcc_lo, -1.0, v31
	s_delay_alu instid0(VALU_DEP_2) | instskip(SKIP_1) | instid1(VALU_DEP_2)
	v_cndmask_b32_e32 v29, 0x7fc00000, v29, vcc_lo
	v_cmp_neq_f32_e32 vcc_lo, -1.0, v31
	v_cndmask_b32_e32 v29, 0xff800000, v29, vcc_lo
	v_cmp_gt_f32_e64 vcc_lo, 0x33800000, |v31|
	s_delay_alu instid0(VALU_DEP_2)
	v_cndmask_b32_e32 v29, v29, v31, vcc_lo
.LBB63_229:                             ;   in Loop: Header=BB63_4 Depth=1
	s_and_not1_saveexec_b32 s34, s34
	s_cbranch_execz .LBB63_231
; %bb.230:                              ;   in Loop: Header=BB63_4 Depth=1
	v_sub_f32_e64 v29, 1.0, |v5|
	s_delay_alu instid0(VALU_DEP_1) | instskip(NEXT) | instid1(VALU_DEP_1)
	v_mul_f32_e32 v29, v29, v25
	v_mul_f32_e32 v30, 0x4f800000, v29
	v_cmp_gt_f32_e32 vcc_lo, 0xf800000, v29
	s_delay_alu instid0(VALU_DEP_2) | instskip(NEXT) | instid1(VALU_DEP_1)
	v_cndmask_b32_e32 v29, v29, v30, vcc_lo
	v_sqrt_f32_e32 v30, v29
	s_waitcnt_depctr 0xfff
	v_add_nc_u32_e32 v31, -1, v30
	v_add_nc_u32_e32 v32, 1, v30
	s_delay_alu instid0(VALU_DEP_2) | instskip(NEXT) | instid1(VALU_DEP_2)
	v_fma_f32 v33, -v31, v30, v29
	v_fma_f32 v34, -v32, v30, v29
	s_delay_alu instid0(VALU_DEP_2) | instskip(NEXT) | instid1(VALU_DEP_1)
	v_cmp_ge_f32_e64 s6, 0, v33
	v_cndmask_b32_e64 v30, v30, v31, s6
	s_delay_alu instid0(VALU_DEP_3) | instskip(NEXT) | instid1(VALU_DEP_1)
	v_cmp_lt_f32_e64 s6, 0, v34
	v_cndmask_b32_e64 v30, v30, v32, s6
	s_delay_alu instid0(VALU_DEP_1) | instskip(NEXT) | instid1(VALU_DEP_1)
	v_mul_f32_e32 v31, 0x37800000, v30
	v_cndmask_b32_e32 v30, v30, v31, vcc_lo
	v_cmp_class_f32_e64 vcc_lo, v29, 0x260
	v_and_b32_e32 v31, 0x7fffffff, v6
	s_delay_alu instid0(VALU_DEP_3) | instskip(NEXT) | instid1(VALU_DEP_1)
	v_cndmask_b32_e32 v29, v30, v29, vcc_lo
	v_div_scale_f32 v30, null, v29, v29, v31
	v_div_scale_f32 v31, vcc_lo, v31, v29, v31
	s_delay_alu instid0(VALU_DEP_2) | instskip(SKIP_2) | instid1(VALU_DEP_1)
	v_rcp_f32_e32 v32, v30
	s_waitcnt_depctr 0xfff
	v_fma_f32 v33, -v30, v32, 1.0
	v_fmac_f32_e32 v32, v33, v32
	s_delay_alu instid0(VALU_DEP_1) | instskip(NEXT) | instid1(VALU_DEP_1)
	v_mul_f32_e32 v33, v31, v32
	v_fma_f32 v34, -v30, v33, v31
	s_delay_alu instid0(VALU_DEP_1) | instskip(NEXT) | instid1(VALU_DEP_1)
	v_fmac_f32_e32 v33, v34, v32
	v_fma_f32 v30, -v30, v33, v31
	s_delay_alu instid0(VALU_DEP_1) | instskip(NEXT) | instid1(VALU_DEP_1)
	v_div_fmas_f32 v30, v30, v32, v33
	v_div_fixup_f32 v29, v30, v29, |v6|
.LBB63_231:                             ;   in Loop: Header=BB63_4 Depth=1
	s_or_b32 exec_lo, exec_lo, s34
.LBB63_232:                             ;   in Loop: Header=BB63_4 Depth=1
	s_delay_alu instid0(SALU_CYCLE_1)
	s_or_b32 exec_lo, exec_lo, s33
.LBB63_233:                             ;   in Loop: Header=BB63_4 Depth=1
	s_and_not1_saveexec_b32 s31, s31
	s_cbranch_execz .LBB63_235
; %bb.234:                              ;   in Loop: Header=BB63_4 Depth=1
	v_mul_f32_e64 v29, 0x4f800000, |v6|
	v_cmp_gt_f32_e64 vcc_lo, 0xf800000, |v6|
	s_delay_alu instid0(VALU_DEP_1) | instskip(NEXT) | instid1(VALU_DEP_1)
	v_cndmask_b32_e64 v29, |v6|, v29, vcc_lo
	v_sqrt_f32_e32 v30, v29
	s_waitcnt_depctr 0xfff
	v_add_nc_u32_e32 v31, -1, v30
	v_add_nc_u32_e32 v32, 1, v30
	s_delay_alu instid0(VALU_DEP_2) | instskip(NEXT) | instid1(VALU_DEP_2)
	v_fma_f32 v33, -v31, v30, v29
	v_fma_f32 v34, -v32, v30, v29
	s_delay_alu instid0(VALU_DEP_2) | instskip(NEXT) | instid1(VALU_DEP_1)
	v_cmp_ge_f32_e64 s6, 0, v33
	v_cndmask_b32_e64 v30, v30, v31, s6
	s_delay_alu instid0(VALU_DEP_3) | instskip(NEXT) | instid1(VALU_DEP_1)
	v_cmp_lt_f32_e64 s6, 0, v34
	v_cndmask_b32_e64 v30, v30, v32, s6
	s_delay_alu instid0(VALU_DEP_1) | instskip(NEXT) | instid1(VALU_DEP_1)
	v_mul_f32_e32 v31, 0x37800000, v30
	v_cndmask_b32_e32 v30, v30, v31, vcc_lo
	v_cmp_class_f32_e64 vcc_lo, v29, 0x260
	s_delay_alu instid0(VALU_DEP_2)
	v_cndmask_b32_e32 v29, v30, v29, vcc_lo
.LBB63_235:                             ;   in Loop: Header=BB63_4 Depth=1
	s_or_b32 exec_lo, exec_lo, s31
.LBB63_236:                             ;   in Loop: Header=BB63_4 Depth=1
	s_delay_alu instid0(SALU_CYCLE_1) | instskip(NEXT) | instid1(SALU_CYCLE_1)
	s_or_b32 exec_lo, exec_lo, s7
	s_mov_b32 s31, exec_lo
                                        ; implicit-def: $sgpr6
                                        ; implicit-def: $vgpr30
                                        ; implicit-def: $vgpr32
                                        ; implicit-def: $vgpr31
	v_cmpx_ngt_f32_e64 0x21000000, |v5|
	s_xor_b32 s31, exec_lo, s31
	s_cbranch_execz .LBB63_260
; %bb.237:                              ;   in Loop: Header=BB63_4 Depth=1
	v_and_b32_e32 v31, 0x7fffffff, v5
	s_mov_b32 s6, 0
	s_mov_b32 s33, exec_lo
	s_delay_alu instid0(VALU_DEP_1) | instskip(NEXT) | instid1(VALU_DEP_1)
	v_div_scale_f32 v30, null, v23, v23, v31
	v_rcp_f32_e32 v32, v30
	s_waitcnt_depctr 0xfff
	v_fma_f32 v33, -v30, v32, 1.0
	s_delay_alu instid0(VALU_DEP_1) | instskip(SKIP_1) | instid1(VALU_DEP_1)
	v_fmac_f32_e32 v32, v33, v32
	v_div_scale_f32 v33, vcc_lo, v31, v23, v31
	v_mul_f32_e32 v34, v33, v32
	s_delay_alu instid0(VALU_DEP_1) | instskip(NEXT) | instid1(VALU_DEP_1)
	v_fma_f32 v35, -v30, v34, v33
	v_fmac_f32_e32 v34, v35, v32
	s_delay_alu instid0(VALU_DEP_1) | instskip(NEXT) | instid1(VALU_DEP_1)
	v_fma_f32 v30, -v30, v34, v33
	v_div_fmas_f32 v30, v30, v32, v34
                                        ; implicit-def: $vgpr32
	s_delay_alu instid0(VALU_DEP_1) | instskip(NEXT) | instid1(VALU_DEP_1)
	v_div_fixup_f32 v30, v30, v23, |v5|
	v_cmpx_lt_f32_e32 0x3f244674, v30
	s_cbranch_execz .LBB63_259
; %bb.238:                              ;   in Loop: Header=BB63_4 Depth=1
	v_cmp_neq_f32_e64 s6, |v5|, 1.0
	v_cmp_ngt_f32_e64 s7, 0x30800000, |v6|
                                        ; implicit-def: $sgpr34
                                        ; implicit-def: $vgpr32
	s_delay_alu instid0(VALU_DEP_1) | instskip(NEXT) | instid1(SALU_CYCLE_1)
	s_or_b32 s6, s7, s6
	s_and_saveexec_b32 s7, s6
	s_delay_alu instid0(SALU_CYCLE_1)
	s_xor_b32 s7, exec_lo, s7
	s_cbranch_execz .LBB63_256
; %bb.239:                              ;   in Loop: Header=BB63_4 Depth=1
	v_mul_f32_e64 v32, 0x34000000, |v24|
                                        ; implicit-def: $sgpr34
	s_delay_alu instid0(VALU_DEP_1) | instskip(NEXT) | instid1(VALU_DEP_1)
	v_cmp_le_f32_e64 s6, v32, |v6|
                                        ; implicit-def: $vgpr32
	s_and_saveexec_b32 s35, s6
	s_delay_alu instid0(SALU_CYCLE_1)
	s_xor_b32 s35, exec_lo, s35
	s_cbranch_execz .LBB63_249
; %bb.240:                              ;   in Loop: Header=BB63_4 Depth=1
	v_mov_b32_e32 v32, v27
	s_mov_b32 s6, exec_lo
	v_cmpx_neq_f32_e32 0, v25
	s_cbranch_execz .LBB63_242
; %bb.241:                              ;   in Loop: Header=BB63_4 Depth=1
	v_dual_mul_f32 v32, v6, v6 :: v_dual_add_f32 v25, v25, v28
	s_delay_alu instid0(VALU_DEP_1) | instskip(NEXT) | instid1(VALU_DEP_1)
	v_div_scale_f32 v28, null, v25, v25, v32
	v_rcp_f32_e32 v33, v28
	s_waitcnt_depctr 0xfff
	v_fma_f32 v34, -v28, v33, 1.0
	s_delay_alu instid0(VALU_DEP_1) | instskip(SKIP_1) | instid1(VALU_DEP_1)
	v_fmac_f32_e32 v33, v34, v33
	v_div_scale_f32 v34, vcc_lo, v32, v25, v32
	v_mul_f32_e32 v35, v34, v33
	s_delay_alu instid0(VALU_DEP_1) | instskip(NEXT) | instid1(VALU_DEP_1)
	v_fma_f32 v36, -v28, v35, v34
	v_fmac_f32_e32 v35, v36, v33
	s_delay_alu instid0(VALU_DEP_1) | instskip(NEXT) | instid1(VALU_DEP_1)
	v_fma_f32 v28, -v28, v35, v34
	v_div_fmas_f32 v28, v28, v33, v35
	s_delay_alu instid0(VALU_DEP_1)
	v_div_fixup_f32 v32, v28, v25, v32
.LBB63_242:                             ;   in Loop: Header=BB63_4 Depth=1
	s_or_b32 exec_lo, exec_lo, s6
	s_delay_alu instid0(SALU_CYCLE_1)
	s_mov_b32 s6, exec_lo
	v_cmpx_ngt_f32_e32 0, v24
	s_xor_b32 s6, exec_lo, s6
	s_cbranch_execz .LBB63_246
; %bb.243:                              ;   in Loop: Header=BB63_4 Depth=1
	s_mov_b32 s34, exec_lo
	v_cmpx_neq_f32_e32 0, v24
	s_cbranch_execz .LBB63_245
; %bb.244:                              ;   in Loop: Header=BB63_4 Depth=1
	v_mul_f32_e32 v25, v6, v6
	v_add_f32_e32 v24, v24, v26
	s_delay_alu instid0(VALU_DEP_1) | instskip(NEXT) | instid1(VALU_DEP_1)
	v_div_scale_f32 v26, null, v24, v24, v25
	v_rcp_f32_e32 v27, v26
	s_waitcnt_depctr 0xfff
	v_fma_f32 v28, -v26, v27, 1.0
	s_delay_alu instid0(VALU_DEP_1) | instskip(SKIP_1) | instid1(VALU_DEP_1)
	v_fmac_f32_e32 v27, v28, v27
	v_div_scale_f32 v28, vcc_lo, v25, v24, v25
	v_mul_f32_e32 v33, v28, v27
	s_delay_alu instid0(VALU_DEP_1) | instskip(NEXT) | instid1(VALU_DEP_1)
	v_fma_f32 v34, -v26, v33, v28
	v_fmac_f32_e32 v33, v34, v27
	s_delay_alu instid0(VALU_DEP_1) | instskip(NEXT) | instid1(VALU_DEP_1)
	v_fma_f32 v26, -v26, v33, v28
	v_div_fmas_f32 v26, v26, v27, v33
	s_delay_alu instid0(VALU_DEP_1)
	v_div_fixup_f32 v27, v26, v24, v25
.LBB63_245:                             ;   in Loop: Header=BB63_4 Depth=1
	s_or_b32 exec_lo, exec_lo, s34
                                        ; implicit-def: $vgpr26
                                        ; implicit-def: $vgpr24
.LBB63_246:                             ;   in Loop: Header=BB63_4 Depth=1
	s_and_not1_saveexec_b32 s6, s6
; %bb.247:                              ;   in Loop: Header=BB63_4 Depth=1
	v_sub_f32_e32 v27, v26, v24
; %bb.248:                              ;   in Loop: Header=BB63_4 Depth=1
	s_or_b32 exec_lo, exec_lo, s6
	s_delay_alu instid0(VALU_DEP_1) | instskip(SKIP_2) | instid1(VALU_DEP_2)
	v_mul_f32_e32 v24, 0.5, v27
	v_add_f32_e64 v23, |v5|, v23
	s_mov_b32 s34, -1
	v_fmac_f32_e32 v24, 0.5, v32
	s_delay_alu instid0(VALU_DEP_1) | instskip(NEXT) | instid1(VALU_DEP_1)
	v_mul_f32_e32 v23, v23, v24
	v_mul_f32_e32 v24, 0x4f800000, v23
	v_cmp_gt_f32_e32 vcc_lo, 0xf800000, v23
	s_delay_alu instid0(VALU_DEP_2) | instskip(NEXT) | instid1(VALU_DEP_1)
	v_cndmask_b32_e32 v23, v23, v24, vcc_lo
	v_sqrt_f32_e32 v24, v23
	s_waitcnt_depctr 0xfff
	v_add_nc_u32_e32 v25, -1, v24
	v_add_nc_u32_e32 v26, 1, v24
	s_delay_alu instid0(VALU_DEP_2) | instskip(NEXT) | instid1(VALU_DEP_2)
	v_fma_f32 v27, -v25, v24, v23
	v_fma_f32 v28, -v26, v24, v23
	s_delay_alu instid0(VALU_DEP_2) | instskip(NEXT) | instid1(VALU_DEP_1)
	v_cmp_ge_f32_e64 s6, 0, v27
	v_cndmask_b32_e64 v24, v24, v25, s6
	s_delay_alu instid0(VALU_DEP_3) | instskip(NEXT) | instid1(VALU_DEP_1)
	v_cmp_lt_f32_e64 s6, 0, v28
	v_cndmask_b32_e64 v24, v24, v26, s6
	s_delay_alu instid0(VALU_DEP_1) | instskip(NEXT) | instid1(VALU_DEP_1)
	v_mul_f32_e32 v25, 0x37800000, v24
	v_cndmask_b32_e32 v24, v24, v25, vcc_lo
	v_cmp_class_f32_e64 vcc_lo, v23, 0x260
                                        ; implicit-def: $vgpr25
	s_delay_alu instid0(VALU_DEP_2)
	v_cndmask_b32_e32 v32, v24, v23, vcc_lo
                                        ; implicit-def: $vgpr24
.LBB63_249:                             ;   in Loop: Header=BB63_4 Depth=1
	s_and_not1_saveexec_b32 s35, s35
	s_cbranch_execz .LBB63_255
; %bb.250:                              ;   in Loop: Header=BB63_4 Depth=1
	s_mov_b32 s37, exec_lo
                                        ; implicit-def: $vgpr32
                                        ; implicit-def: $sgpr36
	v_cmpx_ngt_f32_e64 |v5|, 1.0
	s_xor_b32 s37, exec_lo, s37
	s_cbranch_execz .LBB63_252
; %bb.251:                              ;   in Loop: Header=BB63_4 Depth=1
	v_sub_f32_e64 v23, 1.0, |v5|
	s_mov_b32 s36, -1
	s_delay_alu instid0(VALU_DEP_1) | instskip(NEXT) | instid1(VALU_DEP_1)
	v_mul_f32_e32 v23, v23, v25
	v_mul_f32_e32 v24, 0x4f800000, v23
	v_cmp_gt_f32_e32 vcc_lo, 0xf800000, v23
	s_delay_alu instid0(VALU_DEP_2) | instskip(NEXT) | instid1(VALU_DEP_1)
	v_cndmask_b32_e32 v23, v23, v24, vcc_lo
	v_sqrt_f32_e32 v24, v23
	s_waitcnt_depctr 0xfff
	v_add_nc_u32_e32 v25, -1, v24
	v_add_nc_u32_e32 v26, 1, v24
	s_delay_alu instid0(VALU_DEP_2) | instskip(NEXT) | instid1(VALU_DEP_2)
	v_fma_f32 v27, -v25, v24, v23
	v_fma_f32 v28, -v26, v24, v23
	s_delay_alu instid0(VALU_DEP_2) | instskip(NEXT) | instid1(VALU_DEP_1)
	v_cmp_ge_f32_e64 s6, 0, v27
	v_cndmask_b32_e64 v24, v24, v25, s6
	s_delay_alu instid0(VALU_DEP_3) | instskip(NEXT) | instid1(VALU_DEP_1)
	v_cmp_lt_f32_e64 s6, 0, v28
	v_cndmask_b32_e64 v24, v24, v26, s6
	s_delay_alu instid0(VALU_DEP_1) | instskip(NEXT) | instid1(VALU_DEP_1)
	v_mul_f32_e32 v25, 0x37800000, v24
	v_cndmask_b32_e32 v24, v24, v25, vcc_lo
	v_cmp_class_f32_e64 vcc_lo, v23, 0x260
                                        ; implicit-def: $vgpr25
	s_delay_alu instid0(VALU_DEP_2)
	v_cndmask_b32_e32 v32, v24, v23, vcc_lo
                                        ; implicit-def: $vgpr24
.LBB63_252:                             ;   in Loop: Header=BB63_4 Depth=1
	s_and_not1_saveexec_b32 s37, s37
	s_cbranch_execz .LBB63_254
; %bb.253:                              ;   in Loop: Header=BB63_4 Depth=1
	v_mul_f32_e32 v23, v25, v24
	s_or_b32 s36, s36, exec_lo
	s_delay_alu instid0(VALU_DEP_1) | instskip(SKIP_1) | instid1(VALU_DEP_2)
	v_mul_f32_e32 v24, 0x4f800000, v23
	v_cmp_gt_f32_e32 vcc_lo, 0xf800000, v23
	v_cndmask_b32_e32 v23, v23, v24, vcc_lo
	s_delay_alu instid0(VALU_DEP_1) | instskip(SKIP_3) | instid1(VALU_DEP_2)
	v_sqrt_f32_e32 v24, v23
	s_waitcnt_depctr 0xfff
	v_add_nc_u32_e32 v25, -1, v24
	v_add_nc_u32_e32 v26, 1, v24
	v_fma_f32 v27, -v25, v24, v23
	s_delay_alu instid0(VALU_DEP_2) | instskip(NEXT) | instid1(VALU_DEP_2)
	v_fma_f32 v28, -v26, v24, v23
	v_cmp_ge_f32_e64 s6, 0, v27
	s_delay_alu instid0(VALU_DEP_1) | instskip(NEXT) | instid1(VALU_DEP_3)
	v_cndmask_b32_e64 v24, v24, v25, s6
	v_cmp_lt_f32_e64 s6, 0, v28
	s_delay_alu instid0(VALU_DEP_1) | instskip(SKIP_1) | instid1(VALU_DEP_2)
	v_cndmask_b32_e64 v24, v24, v26, s6
	v_mul_f32_e64 v26, 0x57800000, |v6|
	v_mul_f32_e32 v25, 0x37800000, v24
	s_delay_alu instid0(VALU_DEP_1) | instskip(SKIP_1) | instid1(VALU_DEP_4)
	v_cndmask_b32_e32 v24, v24, v25, vcc_lo
	v_cmp_class_f32_e64 vcc_lo, v23, 0x260
	v_mul_f32_e64 v25, |v5|, v26
	s_delay_alu instid0(VALU_DEP_3) | instskip(NEXT) | instid1(VALU_DEP_1)
	v_cndmask_b32_e32 v23, v24, v23, vcc_lo
	v_div_scale_f32 v24, null, v23, v23, v25
	v_div_scale_f32 v28, vcc_lo, v25, v23, v25
	s_delay_alu instid0(VALU_DEP_2) | instskip(SKIP_2) | instid1(VALU_DEP_1)
	v_rcp_f32_e32 v26, v24
	s_waitcnt_depctr 0xfff
	v_fma_f32 v27, -v24, v26, 1.0
	v_fmac_f32_e32 v26, v27, v26
	s_delay_alu instid0(VALU_DEP_1) | instskip(NEXT) | instid1(VALU_DEP_1)
	v_mul_f32_e32 v27, v28, v26
	v_fma_f32 v31, -v24, v27, v28
	s_delay_alu instid0(VALU_DEP_1) | instskip(SKIP_1) | instid1(VALU_DEP_2)
	v_fmac_f32_e32 v27, v31, v26
	v_mul_f32_e64 v31, 0x57800000, |v5|
	v_fma_f32 v24, -v24, v27, v28
	s_delay_alu instid0(VALU_DEP_1) | instskip(NEXT) | instid1(VALU_DEP_1)
	v_div_fmas_f32 v24, v24, v26, v27
	v_div_fixup_f32 v32, v24, v23, v25
.LBB63_254:                             ;   in Loop: Header=BB63_4 Depth=1
	s_or_b32 exec_lo, exec_lo, s37
	s_delay_alu instid0(SALU_CYCLE_1) | instskip(SKIP_1) | instid1(SALU_CYCLE_1)
	s_and_not1_b32 s6, s34, exec_lo
	s_and_b32 s34, s36, exec_lo
	s_or_b32 s34, s6, s34
.LBB63_255:                             ;   in Loop: Header=BB63_4 Depth=1
	s_or_b32 exec_lo, exec_lo, s35
	s_delay_alu instid0(SALU_CYCLE_1)
	s_and_b32 s34, s34, exec_lo
                                        ; implicit-def: $vgpr23
.LBB63_256:                             ;   in Loop: Header=BB63_4 Depth=1
	s_and_not1_saveexec_b32 s35, s7
	s_cbranch_execz .LBB63_258
; %bb.257:                              ;   in Loop: Header=BB63_4 Depth=1
	v_add_f32_e32 v23, 1.0, v23
	v_mul_f32_e64 v24, 0x4f800000, |v6|
	v_cmp_gt_f32_e64 vcc_lo, 0xf800000, |v6|
	s_or_b32 s34, s34, exec_lo
	s_delay_alu instid0(VALU_DEP_3) | instskip(NEXT) | instid1(VALU_DEP_2)
	v_mul_f32_e32 v23, 0.5, v23
	v_cndmask_b32_e64 v24, |v6|, v24, vcc_lo
	s_delay_alu instid0(VALU_DEP_2) | instskip(SKIP_1) | instid1(VALU_DEP_1)
	v_mul_f32_e32 v25, 0x4f800000, v23
	v_cmp_gt_f32_e64 s6, 0xf800000, v23
	v_cndmask_b32_e64 v23, v23, v25, s6
	s_delay_alu instid0(VALU_DEP_4) | instskip(NEXT) | instid1(VALU_DEP_1)
	v_sqrt_f32_e32 v25, v24
	v_sqrt_f32_e32 v26, v23
	s_waitcnt_depctr 0xfff
	v_add_nc_u32_e32 v27, -1, v25
	v_add_nc_u32_e32 v31, 1, v25
	v_add_nc_u32_e32 v28, -1, v26
	s_delay_alu instid0(VALU_DEP_3) | instskip(SKIP_1) | instid1(VALU_DEP_4)
	v_fma_f32 v32, -v27, v25, v24
	v_add_nc_u32_e32 v33, 1, v26
	v_fma_f32 v35, -v31, v25, v24
	s_delay_alu instid0(VALU_DEP_4) | instskip(NEXT) | instid1(VALU_DEP_4)
	v_fma_f32 v34, -v28, v26, v23
	v_cmp_ge_f32_e64 s7, 0, v32
	s_delay_alu instid0(VALU_DEP_1) | instskip(NEXT) | instid1(VALU_DEP_3)
	v_cndmask_b32_e64 v25, v25, v27, s7
	v_cmp_ge_f32_e64 s7, 0, v34
	v_fma_f32 v27, -v33, v26, v23
	s_delay_alu instid0(VALU_DEP_2) | instskip(SKIP_1) | instid1(VALU_DEP_1)
	v_cndmask_b32_e64 v26, v26, v28, s7
	v_cmp_lt_f32_e64 s7, 0, v35
	v_cndmask_b32_e64 v25, v25, v31, s7
	s_delay_alu instid0(VALU_DEP_4) | instskip(SKIP_1) | instid1(VALU_DEP_3)
	v_cmp_lt_f32_e64 s7, 0, v27
	v_mov_b32_e32 v31, 1.0
	v_mul_f32_e32 v27, 0x37800000, v25
	s_delay_alu instid0(VALU_DEP_3) | instskip(NEXT) | instid1(VALU_DEP_1)
	v_cndmask_b32_e64 v26, v26, v33, s7
	v_dual_cndmask_b32 v25, v25, v27 :: v_dual_mul_f32 v28, 0x37800000, v26
	v_cmp_class_f32_e64 vcc_lo, v24, 0x260
	s_delay_alu instid0(VALU_DEP_2) | instskip(NEXT) | instid1(VALU_DEP_3)
	v_cndmask_b32_e64 v26, v26, v28, s6
	v_cndmask_b32_e32 v24, v25, v24, vcc_lo
	v_cmp_class_f32_e64 vcc_lo, v23, 0x260
	s_delay_alu instid0(VALU_DEP_3) | instskip(NEXT) | instid1(VALU_DEP_1)
	v_cndmask_b32_e32 v23, v26, v23, vcc_lo
	v_mul_f32_e32 v32, v24, v23
.LBB63_258:                             ;   in Loop: Header=BB63_4 Depth=1
	s_or_b32 exec_lo, exec_lo, s35
	s_delay_alu instid0(SALU_CYCLE_1)
	s_and_b32 s6, s34, exec_lo
.LBB63_259:                             ;   in Loop: Header=BB63_4 Depth=1
	s_or_b32 exec_lo, exec_lo, s33
	s_delay_alu instid0(SALU_CYCLE_1)
	s_and_b32 s6, s6, exec_lo
                                        ; implicit-def: $vgpr23
.LBB63_260:                             ;   in Loop: Header=BB63_4 Depth=1
	s_and_not1_saveexec_b32 s7, s31
; %bb.261:                              ;   in Loop: Header=BB63_4 Depth=1
	v_mul_f32_e32 v32, 0x4b800000, v23
	v_mul_f32_e64 v31, 0x4b800000, |v5|
	s_or_b32 s6, s6, exec_lo
                                        ; implicit-def: $vgpr30
; %bb.262:                              ;   in Loop: Header=BB63_4 Depth=1
	s_or_b32 exec_lo, exec_lo, s7
	s_xor_b32 s6, s6, -1
                                        ; implicit-def: $vgpr23
	s_delay_alu instid0(SALU_CYCLE_1) | instskip(NEXT) | instid1(SALU_CYCLE_1)
	s_and_saveexec_b32 s7, s6
	s_xor_b32 s6, exec_lo, s7
	s_cbranch_execz .LBB63_264
; %bb.263:                              ;   in Loop: Header=BB63_4 Depth=1
	v_fma_f32 v23, |v30|, -0.5, 0.5
	v_mul_f32_e32 v24, v30, v30
	v_cmp_ge_f32_e64 vcc_lo, |v30|, 0.5
                                        ; implicit-def: $vgpr31
                                        ; implicit-def: $vgpr32
	s_delay_alu instid0(VALU_DEP_2) | instskip(SKIP_1) | instid1(VALU_DEP_2)
	v_cndmask_b32_e32 v23, v24, v23, vcc_lo
	v_cmp_lt_f32_e64 vcc_lo, |v30|, 0.5
	v_fmaak_f32 v24, s25, v23, 0x3c5fc5da
	v_sqrt_f32_e32 v25, v23
	s_delay_alu instid0(VALU_DEP_1) | instskip(NEXT) | instid1(VALU_DEP_1)
	v_fmaak_f32 v24, v23, v24, 0x3d034c3c
	v_fmaak_f32 v24, v23, v24, 0x3d3641b1
	s_delay_alu instid0(VALU_DEP_1) | instskip(NEXT) | instid1(VALU_DEP_1)
	v_fmaak_f32 v24, v23, v24, 0x3d999bc8
	v_fmaak_f32 v24, v23, v24, 0x3e2aaaac
	s_delay_alu instid0(VALU_DEP_1) | instskip(SKIP_3) | instid1(VALU_DEP_2)
	v_mul_f32_e32 v23, v23, v24
	s_waitcnt_depctr 0xfff
	v_fmac_f32_e32 v25, v25, v23
	v_fma_f32 v23, |v30|, v23, |v30|
	v_add_f32_e32 v24, v25, v25
	s_delay_alu instid0(VALU_DEP_1) | instskip(NEXT) | instid1(VALU_DEP_1)
	v_sub_f32_e32 v24, 0x3fc90fdb, v24
	v_cndmask_b32_e32 v23, v24, v23, vcc_lo
	s_delay_alu instid0(VALU_DEP_1)
	v_bfi_b32 v23, 0x7fffffff, v23, v30
.LBB63_264:                             ;   in Loop: Header=BB63_4 Depth=1
	s_and_not1_saveexec_b32 s31, s6
	s_cbranch_execz .LBB63_266
; %bb.265:                              ;   in Loop: Header=BB63_4 Depth=1
	v_max_f32_e32 v23, v31, v31
	v_max_f32_e64 v24, |v32|, |v32|
	v_cmp_gt_f32_e64 vcc_lo, v31, |v32|
	v_cmp_eq_f32_e64 s7, 0, v31
	v_cmp_class_f32_e64 s33, v32, 0x204
	v_cmp_eq_f32_e64 s6, 0x7f800000, v31
	v_max_f32_e32 v25, v24, v23
	v_min_f32_e32 v23, v24, v23
	s_delay_alu instid0(VALU_DEP_2) | instskip(SKIP_1) | instid1(VALU_DEP_2)
	v_frexp_mant_f32_e32 v26, v25
	v_frexp_exp_i32_f32_e32 v25, v25
	v_rcp_f32_e32 v24, v26
	s_delay_alu instid0(VALU_DEP_3) | instskip(SKIP_1) | instid1(VALU_DEP_2)
	v_frexp_exp_i32_f32_e32 v26, v23
	v_frexp_mant_f32_e32 v23, v23
	v_sub_nc_u32_e32 v25, v26, v25
	s_waitcnt_depctr 0xfff
	v_mul_f32_e32 v23, v23, v24
	s_delay_alu instid0(VALU_DEP_1) | instskip(NEXT) | instid1(VALU_DEP_1)
	v_ldexp_f32 v23, v23, v25
	v_mul_f32_e32 v24, v23, v23
	s_delay_alu instid0(VALU_DEP_1) | instskip(NEXT) | instid1(VALU_DEP_1)
	v_fmaak_f32 v25, s26, v24, 0xbc7a590c
	v_fmaak_f32 v25, v24, v25, 0x3d29fb3f
	s_delay_alu instid0(VALU_DEP_1) | instskip(NEXT) | instid1(VALU_DEP_1)
	v_fmaak_f32 v25, v24, v25, 0xbd97d4d7
	v_fmaak_f32 v25, v24, v25, 0x3dd931b2
	;; [unrolled: 3-line block ×3, first 2 shown]
	s_delay_alu instid0(VALU_DEP_1) | instskip(NEXT) | instid1(VALU_DEP_1)
	v_fmaak_f32 v25, v24, v25, 0xbeaaaa62
	v_mul_f32_e32 v24, v24, v25
	s_delay_alu instid0(VALU_DEP_1) | instskip(NEXT) | instid1(VALU_DEP_1)
	v_fmac_f32_e32 v23, v23, v24
	v_sub_f32_e32 v24, 0x3fc90fdb, v23
	s_delay_alu instid0(VALU_DEP_1) | instskip(SKIP_1) | instid1(VALU_DEP_2)
	v_cndmask_b32_e32 v23, v23, v24, vcc_lo
	v_cmp_gt_i32_e32 vcc_lo, 0, v32
	v_sub_f32_e32 v24, 0x40490fdb, v23
	v_cndmask_b32_e64 v25, 0, 0x40490fdb, vcc_lo
	v_cmp_gt_f32_e32 vcc_lo, 0, v32
	s_delay_alu instid0(VALU_DEP_3) | instskip(SKIP_2) | instid1(VALU_DEP_2)
	v_cndmask_b32_e32 v23, v23, v24, vcc_lo
	v_cndmask_b32_e32 v24, 0x3f490fdb, v22, vcc_lo
	s_and_b32 vcc_lo, s6, s33
	v_cndmask_b32_e64 v23, v23, v25, s7
	s_delay_alu instid0(VALU_DEP_1) | instskip(SKIP_1) | instid1(VALU_DEP_2)
	v_cndmask_b32_e32 v23, v23, v24, vcc_lo
	v_cmp_o_f32_e32 vcc_lo, v32, v31
	v_cndmask_b32_e64 v23, 0x7fc00000, |v23|, vcc_lo
.LBB63_266:                             ;   in Loop: Header=BB63_4 Depth=1
	s_or_b32 exec_lo, exec_lo, s31
	v_bfi_b32 v6, 0x7fffffff, v29, v6
	s_delay_alu instid0(VALU_DEP_2)
	v_bfi_b32 v5, 0x7fffffff, v23, v5
.LBB63_267:                             ;   in Loop: Header=BB63_4 Depth=1
	s_or_b32 exec_lo, exec_lo, s30
.LBB63_268:                             ;   in Loop: Header=BB63_4 Depth=1
	s_delay_alu instid0(SALU_CYCLE_1)
	s_or_b32 exec_lo, exec_lo, s29
                                        ; implicit-def: $vgpr23
                                        ; implicit-def: $vgpr25
                                        ; implicit-def: $vgpr24
.LBB63_269:                             ;   in Loop: Header=BB63_4 Depth=1
	s_and_not1_saveexec_b32 s28, s28
	s_cbranch_execz .LBB63_291
; %bb.270:                              ;   in Loop: Header=BB63_4 Depth=1
                                        ; implicit-def: $vgpr26
                                        ; implicit-def: $vgpr27
	s_mov_b32 s6, exec_lo
	v_cmpx_lt_i32_e32 -1, v6
	s_xor_b32 s29, exec_lo, s6
	s_cbranch_execz .LBB63_280
; %bb.271:                              ;   in Loop: Header=BB63_4 Depth=1
	v_cmp_lt_f32_e64 s6, |v6|, |v5|
                                        ; implicit-def: $vgpr26
                                        ; implicit-def: $vgpr27
	s_mov_b32 s7, exec_lo
	s_delay_alu instid0(VALU_DEP_1) | instskip(NEXT) | instid1(VALU_DEP_1)
	v_cndmask_b32_e64 v28, |v6|, |v5|, s6
	v_cmpx_nlt_f32_e32 0x7effffff, v28
	s_xor_b32 s30, exec_lo, s7
	s_cbranch_execz .LBB63_277
; %bb.272:                              ;   in Loop: Header=BB63_4 Depth=1
	v_cndmask_b32_e64 v29, |v5|, |v6|, s6
	v_cmp_nlt_f32_e32 vcc_lo, 0x5e000000, v28
                                        ; implicit-def: $vgpr26
                                        ; implicit-def: $vgpr27
	s_delay_alu instid0(VALU_DEP_2) | instskip(NEXT) | instid1(VALU_DEP_1)
	v_cmp_ngt_f32_e64 s7, 0x20000000, v29
	s_and_b32 s7, vcc_lo, s7
	s_delay_alu instid0(SALU_CYCLE_1) | instskip(NEXT) | instid1(SALU_CYCLE_1)
	s_and_saveexec_b32 s31, s7
	s_xor_b32 s31, exec_lo, s31
	s_cbranch_execz .LBB63_274
; %bb.273:                              ;   in Loop: Header=BB63_4 Depth=1
	s_waitcnt lgkmcnt(0)
	v_frexp_mant_f32_e32 v26, v24
	v_min_f32_e32 v23, v23, v25
	v_frexp_exp_i32_f32_e32 v24, v24
	s_delay_alu instid0(VALU_DEP_3) | instskip(SKIP_1) | instid1(VALU_DEP_1)
	v_rcp_f32_e32 v25, v26
	v_mul_f32_e32 v26, v29, v29
	v_fmac_f32_e32 v26, v28, v28
	v_frexp_mant_f32_e32 v27, v23
	v_frexp_exp_i32_f32_e32 v23, v23
	s_delay_alu instid0(VALU_DEP_3) | instskip(SKIP_4) | instid1(VALU_DEP_2)
	v_cmp_gt_f32_e32 vcc_lo, 0x800000, v26
	s_waitcnt_depctr 0xfff
	v_mul_f32_e32 v25, v27, v25
	v_sub_nc_u32_e32 v23, v23, v24
	v_cndmask_b32_e64 v24, 1.0, 0x4f800000, vcc_lo
	v_ldexp_f32 v27, v25, v23
	s_delay_alu instid0(VALU_DEP_1) | instskip(NEXT) | instid1(VALU_DEP_1)
	v_dual_mul_f32 v23, v26, v24 :: v_dual_mul_f32 v24, v27, v27
	v_log_f32_e32 v23, v23
	s_delay_alu instid0(VALU_DEP_1) | instskip(SKIP_3) | instid1(VALU_DEP_2)
	v_fmaak_f32 v25, s26, v24, 0xbc7a590c
	s_waitcnt_depctr 0xfff
	v_mul_f32_e32 v26, 0x3f317217, v23
	v_cmp_gt_f32_e64 s7, 0x7f800000, |v23|
	v_fma_f32 v28, 0x3f317217, v23, -v26
	s_delay_alu instid0(VALU_DEP_1) | instskip(NEXT) | instid1(VALU_DEP_1)
	v_fmac_f32_e32 v28, 0x3377d1cf, v23
	v_dual_fmaak_f32 v25, v24, v25, 0x3d29fb3f :: v_dual_add_f32 v26, v26, v28
	s_delay_alu instid0(VALU_DEP_1) | instskip(SKIP_1) | instid1(VALU_DEP_1)
	v_cndmask_b32_e64 v23, v23, v26, s7
	v_cndmask_b32_e64 v26, 0, 0x41b17218, vcc_lo
	v_sub_f32_e32 v23, v23, v26
	s_delay_alu instid0(VALU_DEP_1) | instskip(NEXT) | instid1(VALU_DEP_1)
	v_dual_fmaak_f32 v25, v24, v25, 0xbd97d4d7 :: v_dual_mul_f32 v26, 0.5, v23
	v_fmaak_f32 v25, v24, v25, 0x3dd931b2
                                        ; implicit-def: $vgpr23
	s_delay_alu instid0(VALU_DEP_1) | instskip(NEXT) | instid1(VALU_DEP_1)
	v_fmaak_f32 v25, v24, v25, 0xbe1160e6
	v_fmaak_f32 v25, v24, v25, 0x3e4cb8bf
	s_delay_alu instid0(VALU_DEP_1) | instskip(NEXT) | instid1(VALU_DEP_1)
	v_fmaak_f32 v25, v24, v25, 0xbeaaaa62
	v_mul_f32_e32 v24, v24, v25
                                        ; implicit-def: $vgpr25
	s_delay_alu instid0(VALU_DEP_1)
	v_fmac_f32_e32 v27, v27, v24
                                        ; implicit-def: $vgpr24
.LBB63_274:                             ;   in Loop: Header=BB63_4 Depth=1
	s_and_not1_saveexec_b32 s7, s31
	s_cbranch_execz .LBB63_276
; %bb.275:                              ;   in Loop: Header=BB63_4 Depth=1
	s_waitcnt lgkmcnt(0)
	v_cvt_f64_f32_e32 v[26:27], v24
	v_cmp_neq_f32_e32 vcc_lo, 0x7f800000, v24
	v_min_f32_e32 v23, v23, v25
	s_delay_alu instid0(VALU_DEP_1) | instskip(SKIP_2) | instid1(VALU_DEP_1)
	v_frexp_exp_i32_f32_e32 v29, v23
	v_frexp_mant_f32_e32 v23, v23
	v_frexp_exp_i32_f64_e32 v26, v[26:27]
	v_sub_nc_u32_e32 v27, 0, v26
	s_delay_alu instid0(VALU_DEP_1) | instskip(SKIP_1) | instid1(VALU_DEP_2)
	v_ldexp_f32 v28, |v5|, v27
	v_ldexp_f32 v27, |v6|, v27
	v_mul_f32_e32 v28, v28, v28
	s_delay_alu instid0(VALU_DEP_1) | instskip(SKIP_1) | instid1(VALU_DEP_2)
	v_fmac_f32_e32 v28, v27, v27
	v_frexp_mant_f32_e32 v27, v24
	v_sqrt_f32_e32 v28, v28
	s_delay_alu instid0(VALU_DEP_1) | instskip(SKIP_1) | instid1(VALU_DEP_1)
	v_rcp_f32_e32 v25, v27
	v_frexp_exp_i32_f32_e32 v27, v24
	v_sub_nc_u32_e32 v27, v29, v27
	s_waitcnt_depctr 0xfff
	v_ldexp_f32 v26, v28, v26
	s_delay_alu instid0(VALU_DEP_1) | instskip(NEXT) | instid1(VALU_DEP_1)
	v_dual_mul_f32 v23, v23, v25 :: v_dual_cndmask_b32 v24, 0x7f800000, v26
	v_ldexp_f32 v27, v23, v27
	s_delay_alu instid0(VALU_DEP_2) | instskip(SKIP_1) | instid1(VALU_DEP_1)
	v_cmp_gt_f32_e32 vcc_lo, 0x800000, v24
	v_cndmask_b32_e64 v23, 1.0, 0x4f800000, vcc_lo
	v_mul_f32_e32 v23, v24, v23
	s_delay_alu instid0(VALU_DEP_1) | instskip(SKIP_2) | instid1(VALU_DEP_1)
	v_log_f32_e32 v23, v23
	s_waitcnt_depctr 0xfff
	v_mul_f32_e32 v26, 0x3f317217, v23
	v_fma_f32 v28, 0x3f317217, v23, -v26
	s_delay_alu instid0(VALU_DEP_1) | instskip(NEXT) | instid1(VALU_DEP_1)
	v_fmac_f32_e32 v28, 0x3377d1cf, v23
	v_dual_mul_f32 v25, v27, v27 :: v_dual_add_f32 v26, v26, v28
	s_delay_alu instid0(VALU_DEP_1) | instskip(SKIP_2) | instid1(VALU_DEP_3)
	v_fmaak_f32 v24, s26, v25, 0xbc7a590c
	v_cndmask_b32_e64 v28, 0, 0x41b17218, vcc_lo
	v_cmp_gt_f32_e64 vcc_lo, 0x7f800000, |v23|
	v_dual_fmaak_f32 v24, v25, v24, 0x3d29fb3f :: v_dual_cndmask_b32 v23, v23, v26
	s_delay_alu instid0(VALU_DEP_1) | instskip(NEXT) | instid1(VALU_DEP_2)
	v_fmaak_f32 v24, v25, v24, 0xbd97d4d7
	v_sub_f32_e32 v26, v23, v28
	s_delay_alu instid0(VALU_DEP_2) | instskip(NEXT) | instid1(VALU_DEP_1)
	v_fmaak_f32 v24, v25, v24, 0x3dd931b2
	v_fmaak_f32 v24, v25, v24, 0xbe1160e6
	s_delay_alu instid0(VALU_DEP_1) | instskip(NEXT) | instid1(VALU_DEP_1)
	v_fmaak_f32 v24, v25, v24, 0x3e4cb8bf
	v_fmaak_f32 v24, v25, v24, 0xbeaaaa62
	s_delay_alu instid0(VALU_DEP_1) | instskip(NEXT) | instid1(VALU_DEP_1)
	v_mul_f32_e32 v24, v25, v24
	v_fmac_f32_e32 v27, v27, v24
.LBB63_276:                             ;   in Loop: Header=BB63_4 Depth=1
	s_or_b32 exec_lo, exec_lo, s7
                                        ; implicit-def: $vgpr23
                                        ; implicit-def: $vgpr25
                                        ; implicit-def: $vgpr24
.LBB63_277:                             ;   in Loop: Header=BB63_4 Depth=1
	s_and_not1_saveexec_b32 s30, s30
	s_cbranch_execz .LBB63_279
; %bb.278:                              ;   in Loop: Header=BB63_4 Depth=1
	v_div_scale_f32 v26, null, 0x402df854, 0x402df854, v6
	v_div_scale_f32 v27, null, 0x402df854, 0x402df854, v5
	v_div_scale_f32 v32, vcc_lo, v6, 0x402df854, v6
	s_delay_alu instid0(VALU_DEP_3) | instskip(NEXT) | instid1(VALU_DEP_2)
	v_rcp_f32_e32 v28, v26
	v_rcp_f32_e32 v29, v27
	v_min_f32_e32 v23, v23, v25
	s_waitcnt_depctr 0xfff
	v_fma_f32 v30, -v26, v28, 1.0
	v_fma_f32 v31, -v27, v29, 1.0
	s_delay_alu instid0(VALU_DEP_1) | instskip(SKIP_1) | instid1(VALU_DEP_2)
	v_dual_fmac_f32 v28, v30, v28 :: v_dual_fmac_f32 v29, v31, v29
	v_div_scale_f32 v30, s7, v5, 0x402df854, v5
	v_mul_f32_e32 v31, v32, v28
	s_delay_alu instid0(VALU_DEP_2) | instskip(NEXT) | instid1(VALU_DEP_2)
	v_mul_f32_e32 v33, v30, v29
	v_fma_f32 v34, -v26, v31, v32
	s_delay_alu instid0(VALU_DEP_2) | instskip(NEXT) | instid1(VALU_DEP_2)
	v_fma_f32 v35, -v27, v33, v30
	v_fmac_f32_e32 v31, v34, v28
	s_delay_alu instid0(VALU_DEP_2) | instskip(NEXT) | instid1(VALU_DEP_2)
	v_fmac_f32_e32 v33, v35, v29
	v_fma_f32 v26, -v26, v31, v32
	s_delay_alu instid0(VALU_DEP_2) | instskip(NEXT) | instid1(VALU_DEP_2)
	v_fma_f32 v27, -v27, v33, v30
	v_div_fmas_f32 v26, v26, v28, v31
	s_mov_b32 vcc_lo, s7
	s_delay_alu instid0(VALU_DEP_2) | instskip(NEXT) | instid1(VALU_DEP_2)
	v_div_fmas_f32 v27, v27, v29, v33
	v_div_fixup_f32 v28, v26, 0x402df854, v6
	s_delay_alu instid0(VALU_DEP_2) | instskip(NEXT) | instid1(VALU_DEP_1)
	v_div_fixup_f32 v29, v27, 0x402df854, v5
	v_max_f32_e64 v30, |v28|, |v29|
	s_delay_alu instid0(VALU_DEP_1) | instskip(SKIP_1) | instid1(VALU_DEP_2)
	v_cvt_f64_f32_e32 v[26:27], v30
	v_cmp_neq_f32_e32 vcc_lo, 0x7f800000, v30
	v_frexp_exp_i32_f64_e32 v26, v[26:27]
	s_delay_alu instid0(VALU_DEP_1) | instskip(NEXT) | instid1(VALU_DEP_1)
	v_sub_nc_u32_e32 v27, 0, v26
	v_ldexp_f32 v29, |v29|, v27
	v_ldexp_f32 v27, |v28|, v27
	s_delay_alu instid0(VALU_DEP_2) | instskip(NEXT) | instid1(VALU_DEP_1)
	v_mul_f32_e32 v28, v29, v29
	v_fmac_f32_e32 v28, v27, v27
	s_delay_alu instid0(VALU_DEP_1) | instskip(SKIP_3) | instid1(VALU_DEP_2)
	v_sqrt_f32_e32 v27, v28
	s_waitcnt lgkmcnt(0)
	v_frexp_mant_f32_e32 v28, v24
	v_frexp_exp_i32_f32_e32 v24, v24
	v_rcp_f32_e32 v25, v28
	s_waitcnt_depctr 0xfff
	v_ldexp_f32 v26, v27, v26
	v_frexp_exp_i32_f32_e32 v27, v23
	v_frexp_mant_f32_e32 v23, v23
	s_delay_alu instid0(VALU_DEP_3) | instskip(NEXT) | instid1(VALU_DEP_3)
	v_cndmask_b32_e32 v26, 0x7f800000, v26, vcc_lo
	v_sub_nc_u32_e32 v24, v27, v24
	s_delay_alu instid0(VALU_DEP_3) | instskip(NEXT) | instid1(VALU_DEP_3)
	v_mul_f32_e32 v23, v23, v25
	v_cmp_gt_f32_e32 vcc_lo, 0x800000, v26
	s_delay_alu instid0(VALU_DEP_2) | instskip(SKIP_1) | instid1(VALU_DEP_1)
	v_ldexp_f32 v27, v23, v24
	v_cndmask_b32_e64 v25, 1.0, 0x4f800000, vcc_lo
	v_dual_mul_f32 v24, v27, v27 :: v_dual_mul_f32 v23, v26, v25
	s_delay_alu instid0(VALU_DEP_1) | instskip(SKIP_2) | instid1(VALU_DEP_1)
	v_log_f32_e32 v23, v23
	s_waitcnt_depctr 0xfff
	v_mul_f32_e32 v26, 0x3f317217, v23
	v_fma_f32 v28, 0x3f317217, v23, -v26
	s_delay_alu instid0(VALU_DEP_1) | instskip(NEXT) | instid1(VALU_DEP_1)
	v_fmac_f32_e32 v28, 0x3377d1cf, v23
	v_add_f32_e32 v26, v26, v28
	v_cndmask_b32_e64 v28, 0, 0x41b17218, vcc_lo
	v_cmp_gt_f32_e64 vcc_lo, 0x7f800000, |v23|
	s_delay_alu instid0(VALU_DEP_3) | instskip(NEXT) | instid1(VALU_DEP_1)
	v_cndmask_b32_e32 v23, v23, v26, vcc_lo
	v_sub_f32_e32 v23, v23, v28
	s_delay_alu instid0(VALU_DEP_1) | instskip(NEXT) | instid1(VALU_DEP_1)
	v_dual_fmaak_f32 v25, s26, v24, 0xbc7a590c :: v_dual_add_f32 v26, 1.0, v23
	v_fmaak_f32 v25, v24, v25, 0x3d29fb3f
	s_delay_alu instid0(VALU_DEP_1) | instskip(NEXT) | instid1(VALU_DEP_1)
	v_fmaak_f32 v25, v24, v25, 0xbd97d4d7
	v_fmaak_f32 v25, v24, v25, 0x3dd931b2
	s_delay_alu instid0(VALU_DEP_1) | instskip(NEXT) | instid1(VALU_DEP_1)
	v_fmaak_f32 v25, v24, v25, 0xbe1160e6
	;; [unrolled: 3-line block ×3, first 2 shown]
	v_mul_f32_e32 v24, v24, v25
	s_delay_alu instid0(VALU_DEP_1)
	v_fmac_f32_e32 v27, v27, v24
.LBB63_279:                             ;   in Loop: Header=BB63_4 Depth=1
	s_or_b32 exec_lo, exec_lo, s30
	s_delay_alu instid0(VALU_DEP_1) | instskip(NEXT) | instid1(VALU_DEP_1)
	v_sub_f32_e32 v23, 0x3fc90fdb, v27
                                        ; implicit-def: $vgpr25
                                        ; implicit-def: $vgpr24
	v_cndmask_b32_e64 v27, v27, v23, s6
                                        ; implicit-def: $vgpr23
.LBB63_280:                             ;   in Loop: Header=BB63_4 Depth=1
	s_and_not1_saveexec_b32 s29, s29
	s_cbranch_execz .LBB63_290
; %bb.281:                              ;   in Loop: Header=BB63_4 Depth=1
	v_cmp_lt_f32_e64 s6, |v6|, |v5|
                                        ; implicit-def: $vgpr26
                                        ; implicit-def: $vgpr27
	s_mov_b32 s7, exec_lo
	s_delay_alu instid0(VALU_DEP_1) | instskip(NEXT) | instid1(VALU_DEP_1)
	v_cndmask_b32_e64 v28, |v6|, |v5|, s6
	v_cmpx_nlt_f32_e32 0x7effffff, v28
	s_xor_b32 s30, exec_lo, s7
	s_cbranch_execz .LBB63_287
; %bb.282:                              ;   in Loop: Header=BB63_4 Depth=1
	v_cndmask_b32_e64 v29, |v5|, |v6|, s6
	v_cmp_nlt_f32_e32 vcc_lo, 0x5e000000, v28
                                        ; implicit-def: $vgpr26
                                        ; implicit-def: $vgpr27
	s_delay_alu instid0(VALU_DEP_2) | instskip(NEXT) | instid1(VALU_DEP_1)
	v_cmp_ngt_f32_e64 s7, 0x20000000, v29
	s_and_b32 s7, vcc_lo, s7
	s_delay_alu instid0(SALU_CYCLE_1) | instskip(NEXT) | instid1(SALU_CYCLE_1)
	s_and_saveexec_b32 s31, s7
	s_xor_b32 s31, exec_lo, s31
	s_cbranch_execz .LBB63_284
; %bb.283:                              ;   in Loop: Header=BB63_4 Depth=1
	s_waitcnt lgkmcnt(0)
	v_frexp_mant_f32_e32 v26, v24
	v_min_f32_e32 v23, v23, v25
	v_frexp_exp_i32_f32_e32 v24, v24
	s_delay_alu instid0(VALU_DEP_3) | instskip(SKIP_1) | instid1(VALU_DEP_1)
	v_rcp_f32_e32 v25, v26
	v_mul_f32_e32 v26, v29, v29
	v_fmac_f32_e32 v26, v28, v28
	v_frexp_mant_f32_e32 v27, v23
	v_frexp_exp_i32_f32_e32 v23, v23
	s_delay_alu instid0(VALU_DEP_3) | instskip(SKIP_4) | instid1(VALU_DEP_2)
	v_cmp_gt_f32_e32 vcc_lo, 0x800000, v26
	s_waitcnt_depctr 0xfff
	v_mul_f32_e32 v25, v27, v25
	v_sub_nc_u32_e32 v23, v23, v24
	v_cndmask_b32_e64 v24, 1.0, 0x4f800000, vcc_lo
	v_ldexp_f32 v27, v25, v23
	s_delay_alu instid0(VALU_DEP_1) | instskip(NEXT) | instid1(VALU_DEP_1)
	v_dual_mul_f32 v23, v26, v24 :: v_dual_mul_f32 v24, v27, v27
	v_log_f32_e32 v23, v23
	s_delay_alu instid0(VALU_DEP_1) | instskip(SKIP_3) | instid1(VALU_DEP_2)
	v_fmaak_f32 v25, s26, v24, 0xbc7a590c
	s_waitcnt_depctr 0xfff
	v_mul_f32_e32 v26, 0x3f317217, v23
	v_cmp_gt_f32_e64 s7, 0x7f800000, |v23|
	v_fma_f32 v28, 0x3f317217, v23, -v26
	s_delay_alu instid0(VALU_DEP_1) | instskip(NEXT) | instid1(VALU_DEP_1)
	v_fmac_f32_e32 v28, 0x3377d1cf, v23
	v_dual_fmaak_f32 v25, v24, v25, 0x3d29fb3f :: v_dual_add_f32 v26, v26, v28
	s_delay_alu instid0(VALU_DEP_1) | instskip(SKIP_1) | instid1(VALU_DEP_1)
	v_cndmask_b32_e64 v23, v23, v26, s7
	v_cndmask_b32_e64 v26, 0, 0x41b17218, vcc_lo
	v_sub_f32_e32 v23, v23, v26
	s_delay_alu instid0(VALU_DEP_1) | instskip(NEXT) | instid1(VALU_DEP_1)
	v_dual_fmaak_f32 v25, v24, v25, 0xbd97d4d7 :: v_dual_mul_f32 v26, 0.5, v23
	v_fmaak_f32 v25, v24, v25, 0x3dd931b2
                                        ; implicit-def: $vgpr23
	s_delay_alu instid0(VALU_DEP_1) | instskip(NEXT) | instid1(VALU_DEP_1)
	v_fmaak_f32 v25, v24, v25, 0xbe1160e6
	v_fmaak_f32 v25, v24, v25, 0x3e4cb8bf
	s_delay_alu instid0(VALU_DEP_1) | instskip(NEXT) | instid1(VALU_DEP_1)
	v_fmaak_f32 v25, v24, v25, 0xbeaaaa62
	v_mul_f32_e32 v24, v24, v25
                                        ; implicit-def: $vgpr25
	s_delay_alu instid0(VALU_DEP_1)
	v_fmac_f32_e32 v27, v27, v24
                                        ; implicit-def: $vgpr24
.LBB63_284:                             ;   in Loop: Header=BB63_4 Depth=1
	s_and_not1_saveexec_b32 s7, s31
	s_cbranch_execz .LBB63_286
; %bb.285:                              ;   in Loop: Header=BB63_4 Depth=1
	s_waitcnt lgkmcnt(0)
	v_cvt_f64_f32_e32 v[26:27], v24
	v_cmp_neq_f32_e32 vcc_lo, 0x7f800000, v24
	v_min_f32_e32 v23, v23, v25
	s_delay_alu instid0(VALU_DEP_1) | instskip(SKIP_2) | instid1(VALU_DEP_1)
	v_frexp_exp_i32_f32_e32 v29, v23
	v_frexp_mant_f32_e32 v23, v23
	v_frexp_exp_i32_f64_e32 v26, v[26:27]
	v_sub_nc_u32_e32 v27, 0, v26
	s_delay_alu instid0(VALU_DEP_1) | instskip(SKIP_1) | instid1(VALU_DEP_2)
	v_ldexp_f32 v28, |v5|, v27
	v_ldexp_f32 v27, |v6|, v27
	v_mul_f32_e32 v28, v28, v28
	s_delay_alu instid0(VALU_DEP_1) | instskip(SKIP_1) | instid1(VALU_DEP_2)
	v_fmac_f32_e32 v28, v27, v27
	v_frexp_mant_f32_e32 v27, v24
	v_sqrt_f32_e32 v28, v28
	s_delay_alu instid0(VALU_DEP_1) | instskip(SKIP_1) | instid1(VALU_DEP_1)
	v_rcp_f32_e32 v25, v27
	v_frexp_exp_i32_f32_e32 v27, v24
	v_sub_nc_u32_e32 v27, v29, v27
	s_waitcnt_depctr 0xfff
	v_ldexp_f32 v26, v28, v26
	s_delay_alu instid0(VALU_DEP_1) | instskip(NEXT) | instid1(VALU_DEP_1)
	v_dual_mul_f32 v23, v23, v25 :: v_dual_cndmask_b32 v24, 0x7f800000, v26
	v_ldexp_f32 v27, v23, v27
	s_delay_alu instid0(VALU_DEP_2) | instskip(SKIP_1) | instid1(VALU_DEP_1)
	v_cmp_gt_f32_e32 vcc_lo, 0x800000, v24
	v_cndmask_b32_e64 v23, 1.0, 0x4f800000, vcc_lo
	v_mul_f32_e32 v23, v24, v23
	s_delay_alu instid0(VALU_DEP_1) | instskip(SKIP_2) | instid1(VALU_DEP_1)
	v_log_f32_e32 v23, v23
	s_waitcnt_depctr 0xfff
	v_mul_f32_e32 v26, 0x3f317217, v23
	v_fma_f32 v28, 0x3f317217, v23, -v26
	s_delay_alu instid0(VALU_DEP_1) | instskip(NEXT) | instid1(VALU_DEP_1)
	v_fmac_f32_e32 v28, 0x3377d1cf, v23
	v_dual_mul_f32 v25, v27, v27 :: v_dual_add_f32 v26, v26, v28
	s_delay_alu instid0(VALU_DEP_1) | instskip(SKIP_2) | instid1(VALU_DEP_3)
	v_fmaak_f32 v24, s26, v25, 0xbc7a590c
	v_cndmask_b32_e64 v28, 0, 0x41b17218, vcc_lo
	v_cmp_gt_f32_e64 vcc_lo, 0x7f800000, |v23|
	v_dual_fmaak_f32 v24, v25, v24, 0x3d29fb3f :: v_dual_cndmask_b32 v23, v23, v26
	s_delay_alu instid0(VALU_DEP_1) | instskip(NEXT) | instid1(VALU_DEP_2)
	v_fmaak_f32 v24, v25, v24, 0xbd97d4d7
	v_sub_f32_e32 v26, v23, v28
	s_delay_alu instid0(VALU_DEP_2) | instskip(NEXT) | instid1(VALU_DEP_1)
	v_fmaak_f32 v24, v25, v24, 0x3dd931b2
	v_fmaak_f32 v24, v25, v24, 0xbe1160e6
	s_delay_alu instid0(VALU_DEP_1) | instskip(NEXT) | instid1(VALU_DEP_1)
	v_fmaak_f32 v24, v25, v24, 0x3e4cb8bf
	v_fmaak_f32 v24, v25, v24, 0xbeaaaa62
	s_delay_alu instid0(VALU_DEP_1) | instskip(NEXT) | instid1(VALU_DEP_1)
	v_mul_f32_e32 v24, v25, v24
	v_fmac_f32_e32 v27, v27, v24
.LBB63_286:                             ;   in Loop: Header=BB63_4 Depth=1
	s_or_b32 exec_lo, exec_lo, s7
                                        ; implicit-def: $vgpr23
                                        ; implicit-def: $vgpr25
                                        ; implicit-def: $vgpr24
.LBB63_287:                             ;   in Loop: Header=BB63_4 Depth=1
	s_and_not1_saveexec_b32 s30, s30
	s_cbranch_execz .LBB63_289
; %bb.288:                              ;   in Loop: Header=BB63_4 Depth=1
	v_div_scale_f32 v26, null, 0xc02df854, 0xc02df854, v6
	v_div_scale_f32 v27, null, 0xc02df854, 0xc02df854, v5
	v_div_scale_f32 v32, vcc_lo, v6, 0xc02df854, v6
	s_delay_alu instid0(VALU_DEP_3) | instskip(NEXT) | instid1(VALU_DEP_2)
	v_rcp_f32_e32 v28, v26
	v_rcp_f32_e32 v29, v27
	v_min_f32_e32 v23, v23, v25
	s_waitcnt_depctr 0xfff
	v_fma_f32 v30, -v26, v28, 1.0
	v_fma_f32 v31, -v27, v29, 1.0
	s_delay_alu instid0(VALU_DEP_1) | instskip(SKIP_1) | instid1(VALU_DEP_2)
	v_dual_fmac_f32 v28, v30, v28 :: v_dual_fmac_f32 v29, v31, v29
	v_div_scale_f32 v30, s7, v5, 0xc02df854, v5
	v_mul_f32_e32 v31, v32, v28
	s_delay_alu instid0(VALU_DEP_2) | instskip(NEXT) | instid1(VALU_DEP_2)
	v_mul_f32_e32 v33, v30, v29
	v_fma_f32 v34, -v26, v31, v32
	s_delay_alu instid0(VALU_DEP_2) | instskip(NEXT) | instid1(VALU_DEP_2)
	v_fma_f32 v35, -v27, v33, v30
	v_fmac_f32_e32 v31, v34, v28
	s_delay_alu instid0(VALU_DEP_2) | instskip(NEXT) | instid1(VALU_DEP_2)
	v_fmac_f32_e32 v33, v35, v29
	v_fma_f32 v26, -v26, v31, v32
	s_delay_alu instid0(VALU_DEP_2) | instskip(NEXT) | instid1(VALU_DEP_2)
	v_fma_f32 v27, -v27, v33, v30
	v_div_fmas_f32 v26, v26, v28, v31
	s_mov_b32 vcc_lo, s7
	s_delay_alu instid0(VALU_DEP_2) | instskip(NEXT) | instid1(VALU_DEP_2)
	v_div_fmas_f32 v27, v27, v29, v33
	v_div_fixup_f32 v28, v26, 0xc02df854, v6
	s_delay_alu instid0(VALU_DEP_2) | instskip(NEXT) | instid1(VALU_DEP_1)
	v_div_fixup_f32 v29, v27, 0xc02df854, v5
	v_max_f32_e64 v30, |v28|, |v29|
	s_delay_alu instid0(VALU_DEP_1) | instskip(SKIP_1) | instid1(VALU_DEP_2)
	v_cvt_f64_f32_e32 v[26:27], v30
	v_cmp_neq_f32_e32 vcc_lo, 0x7f800000, v30
	v_frexp_exp_i32_f64_e32 v26, v[26:27]
	s_delay_alu instid0(VALU_DEP_1) | instskip(NEXT) | instid1(VALU_DEP_1)
	v_sub_nc_u32_e32 v27, 0, v26
	v_ldexp_f32 v29, |v29|, v27
	v_ldexp_f32 v27, |v28|, v27
	s_delay_alu instid0(VALU_DEP_2) | instskip(NEXT) | instid1(VALU_DEP_1)
	v_mul_f32_e32 v28, v29, v29
	v_fmac_f32_e32 v28, v27, v27
	s_delay_alu instid0(VALU_DEP_1) | instskip(SKIP_3) | instid1(VALU_DEP_2)
	v_sqrt_f32_e32 v27, v28
	s_waitcnt lgkmcnt(0)
	v_frexp_mant_f32_e32 v28, v24
	v_frexp_exp_i32_f32_e32 v24, v24
	v_rcp_f32_e32 v25, v28
	s_waitcnt_depctr 0xfff
	v_ldexp_f32 v26, v27, v26
	v_frexp_exp_i32_f32_e32 v27, v23
	v_frexp_mant_f32_e32 v23, v23
	s_delay_alu instid0(VALU_DEP_3) | instskip(NEXT) | instid1(VALU_DEP_3)
	v_cndmask_b32_e32 v26, 0x7f800000, v26, vcc_lo
	v_sub_nc_u32_e32 v24, v27, v24
	s_delay_alu instid0(VALU_DEP_3) | instskip(NEXT) | instid1(VALU_DEP_3)
	v_mul_f32_e32 v23, v23, v25
	v_cmp_gt_f32_e32 vcc_lo, 0x800000, v26
	s_delay_alu instid0(VALU_DEP_2) | instskip(SKIP_1) | instid1(VALU_DEP_1)
	v_ldexp_f32 v27, v23, v24
	v_cndmask_b32_e64 v25, 1.0, 0x4f800000, vcc_lo
	v_dual_mul_f32 v24, v27, v27 :: v_dual_mul_f32 v23, v26, v25
	s_delay_alu instid0(VALU_DEP_1) | instskip(SKIP_2) | instid1(VALU_DEP_1)
	v_log_f32_e32 v23, v23
	s_waitcnt_depctr 0xfff
	v_mul_f32_e32 v26, 0x3f317217, v23
	v_fma_f32 v28, 0x3f317217, v23, -v26
	s_delay_alu instid0(VALU_DEP_1) | instskip(NEXT) | instid1(VALU_DEP_1)
	v_fmac_f32_e32 v28, 0x3377d1cf, v23
	v_add_f32_e32 v26, v26, v28
	v_cndmask_b32_e64 v28, 0, 0x41b17218, vcc_lo
	v_cmp_gt_f32_e64 vcc_lo, 0x7f800000, |v23|
	s_delay_alu instid0(VALU_DEP_3) | instskip(NEXT) | instid1(VALU_DEP_1)
	v_cndmask_b32_e32 v23, v23, v26, vcc_lo
	v_sub_f32_e32 v23, v23, v28
	s_delay_alu instid0(VALU_DEP_1) | instskip(NEXT) | instid1(VALU_DEP_1)
	v_dual_fmaak_f32 v25, s26, v24, 0xbc7a590c :: v_dual_add_f32 v26, 1.0, v23
	v_fmaak_f32 v25, v24, v25, 0x3d29fb3f
	s_delay_alu instid0(VALU_DEP_1) | instskip(NEXT) | instid1(VALU_DEP_1)
	v_fmaak_f32 v25, v24, v25, 0xbd97d4d7
	v_fmaak_f32 v25, v24, v25, 0x3dd931b2
	s_delay_alu instid0(VALU_DEP_1) | instskip(NEXT) | instid1(VALU_DEP_1)
	v_fmaak_f32 v25, v24, v25, 0xbe1160e6
	;; [unrolled: 3-line block ×3, first 2 shown]
	v_mul_f32_e32 v24, v24, v25
	s_delay_alu instid0(VALU_DEP_1)
	v_fmac_f32_e32 v27, v27, v24
.LBB63_289:                             ;   in Loop: Header=BB63_4 Depth=1
	s_or_b32 exec_lo, exec_lo, s30
	s_delay_alu instid0(VALU_DEP_1) | instskip(NEXT) | instid1(VALU_DEP_1)
	v_sub_f32_e32 v23, 0x3fc90fdb, v27
	v_cndmask_b32_e64 v27, v27, v23, s6
.LBB63_290:                             ;   in Loop: Header=BB63_4 Depth=1
	s_or_b32 exec_lo, exec_lo, s29
	v_cmp_neq_f32_e32 vcc_lo, 0, v5
	v_cmp_class_f32_e64 s6, v6, 0x204
	v_cmp_class_f32_e64 s7, v5, 0x204
	s_waitcnt lgkmcnt(0)
	v_dual_add_f32 v24, 0x3f317218, v26 :: v_dual_cndmask_b32 v23, 0, v27
	v_cmp_o_f32_e32 vcc_lo, v5, v6
	s_delay_alu instid0(VALU_DEP_3) | instskip(NEXT) | instid1(VALU_DEP_2)
	s_and_b32 s6, s6, s7
	v_bfi_b32 v6, 0x7fffffff, v24, v6
	s_delay_alu instid0(VALU_DEP_3) | instskip(NEXT) | instid1(VALU_DEP_1)
	v_cndmask_b32_e64 v23, v23, 0x3f490fdb, s6
	v_cndmask_b32_e32 v23, 0x7fc00000, v23, vcc_lo
	s_delay_alu instid0(VALU_DEP_1)
	v_bfi_b32 v5, 0x7fffffff, v23, v5
.LBB63_291:                             ;   in Loop: Header=BB63_4 Depth=1
	s_or_b32 exec_lo, exec_lo, s28
.LBB63_292:                             ;   in Loop: Header=BB63_4 Depth=1
	s_and_not1_saveexec_b32 s6, s27
	s_cbranch_execz .LBB63_306
; %bb.293:                              ;   in Loop: Header=BB63_4 Depth=1
	v_cmp_neq_f32_e64 s7, 0x7f800000, |v6|
                                        ; implicit-def: $vgpr23
                                        ; implicit-def: $vgpr24
	s_delay_alu instid0(VALU_DEP_1) | instskip(NEXT) | instid1(SALU_CYCLE_1)
	s_and_saveexec_b32 s27, s7
	s_xor_b32 s7, exec_lo, s27
	s_cbranch_execz .LBB63_303
; %bb.294:                              ;   in Loop: Header=BB63_4 Depth=1
	v_cmp_neq_f32_e64 s27, 0x7f800000, |v5|
                                        ; implicit-def: $vgpr23
                                        ; implicit-def: $vgpr24
	s_delay_alu instid0(VALU_DEP_1) | instskip(NEXT) | instid1(SALU_CYCLE_1)
	s_and_saveexec_b32 s28, s27
	s_xor_b32 s27, exec_lo, s28
	s_cbranch_execz .LBB63_300
; %bb.295:                              ;   in Loop: Header=BB63_4 Depth=1
	s_mov_b32 s28, exec_lo
                                        ; implicit-def: $vgpr23
	v_cmpx_neq_f32_e32 0, v5
	s_xor_b32 s28, exec_lo, s28
; %bb.296:                              ;   in Loop: Header=BB63_4 Depth=1
	v_add_f32_e32 v6, 0, v6
	s_delay_alu instid0(VALU_DEP_1)
	v_add_f32_e32 v23, v5, v6
                                        ; implicit-def: $vgpr6
; %bb.297:                              ;   in Loop: Header=BB63_4 Depth=1
	s_or_saveexec_b32 s28, s28
	s_waitcnt lgkmcnt(0)
	s_delay_alu instid0(VALU_DEP_1)
	v_mov_b32_e32 v24, v23
	s_xor_b32 exec_lo, exec_lo, s28
; %bb.298:                              ;   in Loop: Header=BB63_4 Depth=1
	v_dual_add_f32 v24, v6, v6 :: v_dual_mov_b32 v23, v5
; %bb.299:                              ;   in Loop: Header=BB63_4 Depth=1
	s_or_b32 exec_lo, exec_lo, s28
                                        ; implicit-def: $vgpr6
.LBB63_300:                             ;   in Loop: Header=BB63_4 Depth=1
	s_and_not1_saveexec_b32 s27, s27
	s_cbranch_execz .LBB63_302
; %bb.301:                              ;   in Loop: Header=BB63_4 Depth=1
	s_waitcnt lgkmcnt(0)
	v_dual_add_f32 v23, v6, v6 :: v_dual_mov_b32 v24, v5
.LBB63_302:                             ;   in Loop: Header=BB63_4 Depth=1
	s_or_b32 exec_lo, exec_lo, s27
                                        ; implicit-def: $vgpr5
.LBB63_303:                             ;   in Loop: Header=BB63_4 Depth=1
	s_and_not1_saveexec_b32 s7, s7
	s_cbranch_execz .LBB63_305
; %bb.304:                              ;   in Loop: Header=BB63_4 Depth=1
	s_waitcnt lgkmcnt(0)
	v_dual_add_f32 v23, v5, v5 :: v_dual_mov_b32 v24, v6
.LBB63_305:                             ;   in Loop: Header=BB63_4 Depth=1
	s_or_b32 exec_lo, exec_lo, s7
	s_waitcnt lgkmcnt(0)
	s_delay_alu instid0(VALU_DEP_1)
	v_dual_mov_b32 v6, v24 :: v_dual_mov_b32 v5, v23
.LBB63_306:                             ;   in Loop: Header=BB63_4 Depth=1
	s_or_b32 exec_lo, exec_lo, s6
	v_cmp_o_f32_e32 vcc_lo, v12, v12
	v_cmp_o_f32_e64 s6, v11, v11
	s_delay_alu instid0(VALU_DEP_1) | instskip(NEXT) | instid1(SALU_CYCLE_1)
	s_and_b32 s6, vcc_lo, s6
	s_and_saveexec_b32 s7, s6
	s_delay_alu instid0(SALU_CYCLE_1)
	s_xor_b32 s27, exec_lo, s7
	s_cbranch_execnz .LBB63_312
; %bb.307:                              ;   in Loop: Header=BB63_4 Depth=1
	s_and_not1_saveexec_b32 s6, s27
	s_cbranch_execnz .LBB63_395
.LBB63_308:                             ;   in Loop: Header=BB63_4 Depth=1
	s_or_b32 exec_lo, exec_lo, s6
	s_and_saveexec_b32 s6, s2
	s_delay_alu instid0(SALU_CYCLE_1)
	s_xor_b32 s2, exec_lo, s6
	s_cbranch_execnz .LBB63_408
.LBB63_309:                             ;   in Loop: Header=BB63_4 Depth=1
	s_or_b32 exec_lo, exec_lo, s2
	s_and_saveexec_b32 s2, s3
	s_cbranch_execnz .LBB63_409
.LBB63_310:                             ;   in Loop: Header=BB63_4 Depth=1
	s_or_b32 exec_lo, exec_lo, s2
	s_and_saveexec_b32 s2, s4
	s_cbranch_execnz .LBB63_410
.LBB63_311:                             ;   in Loop: Header=BB63_4 Depth=1
	s_or_b32 exec_lo, exec_lo, s2
	s_and_saveexec_b32 s2, s5
	s_cbranch_execz .LBB63_3
	s_branch .LBB63_411
.LBB63_312:                             ;   in Loop: Header=BB63_4 Depth=1
	v_max_f32_e64 v25, |v11|, |v11|
	v_max_f32_e64 v23, |v12|, |v12|
	s_mov_b32 s6, exec_lo
	s_waitcnt lgkmcnt(0)
	s_delay_alu instid0(VALU_DEP_1) | instskip(NEXT) | instid1(VALU_DEP_1)
	v_max_f32_e32 v24, v23, v25
	v_cmpx_nlt_f32_e32 0x4b000000, v24
	s_xor_b32 s28, exec_lo, s6
	s_cbranch_execz .LBB63_372
; %bb.313:                              ;   in Loop: Header=BB63_4 Depth=1
	v_cmp_neq_f32_e32 vcc_lo, 0, v12
	v_cmp_neq_f32_e64 s6, 0, v11
	s_delay_alu instid0(VALU_DEP_1) | instskip(NEXT) | instid1(SALU_CYCLE_1)
	s_or_b32 s6, vcc_lo, s6
	s_and_saveexec_b32 s29, s6
	s_cbranch_execz .LBB63_371
; %bb.314:                              ;   in Loop: Header=BB63_4 Depth=1
	v_dual_mov_b32 v25, s13 :: v_dual_mov_b32 v24, s12
	v_cmp_ngt_f32_e64 s6, 0x395db3d7, |v12|
	v_cmp_ngt_f32_e64 s7, 0x395db3d7, |v11|
	flat_store_b32 v[24:25], v21 dlc
	s_waitcnt_vscnt null, 0x0
	flat_load_b32 v24, v[24:25] glc dlc
	s_waitcnt vmcnt(0)
	s_or_b32 s6, s6, s7
	s_waitcnt lgkmcnt(0)
	v_dual_add_f32 v26, 1.0, v24 :: v_dual_mov_b32 v25, s15
	v_mov_b32_e32 v24, s14
	flat_store_b32 v[24:25], v26 dlc
	s_waitcnt_vscnt null, 0x0
	flat_load_b32 v24, v[24:25] glc dlc
	s_waitcnt vmcnt(0)
	s_and_saveexec_b32 s30, s6
	s_cbranch_execz .LBB63_370
; %bb.315:                              ;   in Loop: Header=BB63_4 Depth=1
	v_add_f32_e64 v25, |v11|, 1.0
	s_waitcnt lgkmcnt(0)
	v_add_f32_e64 v24, |v11|, -1.0
	s_mov_b32 s6, exec_lo
	s_delay_alu instid0(VALU_DEP_2) | instskip(NEXT) | instid1(VALU_DEP_2)
	v_max_f32_e64 v30, v23, |v25|
	v_max_f32_e64 v23, v23, |v24|
	s_delay_alu instid0(VALU_DEP_2) | instskip(NEXT) | instid1(VALU_DEP_2)
	v_cvt_f64_f32_e32 v[26:27], v30
	v_cvt_f64_f32_e32 v[28:29], v23
	v_cmp_neq_f32_e32 vcc_lo, 0x7f800000, v30
	s_delay_alu instid0(VALU_DEP_3) | instskip(NEXT) | instid1(VALU_DEP_3)
	v_frexp_exp_i32_f64_e32 v26, v[26:27]
	v_frexp_exp_i32_f64_e32 v27, v[28:29]
	s_delay_alu instid0(VALU_DEP_2) | instskip(NEXT) | instid1(VALU_DEP_2)
	v_sub_nc_u32_e32 v28, 0, v26
	v_sub_nc_u32_e32 v29, 0, v27
	s_delay_alu instid0(VALU_DEP_2) | instskip(NEXT) | instid1(VALU_DEP_2)
	v_ldexp_f32 v31, |v25|, v28
	v_ldexp_f32 v32, |v24|, v29
	;; [unrolled: 1-line block ×4, first 2 shown]
	s_delay_alu instid0(VALU_DEP_3) | instskip(NEXT) | instid1(VALU_DEP_1)
	v_dual_mul_f32 v31, v31, v31 :: v_dual_mul_f32 v32, v32, v32
	v_dual_fmac_f32 v31, v28, v28 :: v_dual_fmac_f32 v32, v29, v29
	s_delay_alu instid0(VALU_DEP_1) | instskip(NEXT) | instid1(VALU_DEP_1)
	v_sqrt_f32_e32 v28, v31
	v_sqrt_f32_e32 v29, v32
	s_waitcnt_depctr 0xfff
	v_ldexp_f32 v26, v28, v26
	v_ldexp_f32 v27, v29, v27
                                        ; implicit-def: $vgpr29
	s_delay_alu instid0(VALU_DEP_2) | instskip(SKIP_1) | instid1(VALU_DEP_3)
	v_cndmask_b32_e32 v28, 0x7f800000, v26, vcc_lo
	v_cmp_neq_f32_e32 vcc_lo, 0x7f800000, v23
	v_cndmask_b32_e32 v26, 0x7f800000, v27, vcc_lo
	s_delay_alu instid0(VALU_DEP_1) | instskip(NEXT) | instid1(VALU_DEP_1)
	v_add_f32_e32 v23, v28, v26
	v_mul_f32_e32 v23, 0.5, v23
	s_delay_alu instid0(VALU_DEP_1) | instskip(SKIP_1) | instid1(VALU_DEP_1)
	v_cmp_ngt_f32_e32 vcc_lo, 1.0, v23
	v_cndmask_b32_e32 v23, 1.0, v23, vcc_lo
	v_cmpx_ngt_f32_e32 0x41200000, v23
	s_xor_b32 s7, exec_lo, s6
	s_cbranch_execz .LBB63_317
; %bb.316:                              ;   in Loop: Header=BB63_4 Depth=1
	v_fma_f32 v27, v23, v23, -1.0
	s_delay_alu instid0(VALU_DEP_1) | instskip(SKIP_1) | instid1(VALU_DEP_2)
	v_mul_f32_e32 v29, 0x4f800000, v27
	v_cmp_gt_f32_e32 vcc_lo, 0xf800000, v27
	v_cndmask_b32_e32 v27, v27, v29, vcc_lo
	s_delay_alu instid0(VALU_DEP_1) | instskip(SKIP_3) | instid1(VALU_DEP_2)
	v_sqrt_f32_e32 v29, v27
	s_waitcnt_depctr 0xfff
	v_add_nc_u32_e32 v30, -1, v29
	v_add_nc_u32_e32 v31, 1, v29
	v_fma_f32 v32, -v30, v29, v27
	s_delay_alu instid0(VALU_DEP_2) | instskip(NEXT) | instid1(VALU_DEP_2)
	v_fma_f32 v33, -v31, v29, v27
	v_cmp_ge_f32_e64 s6, 0, v32
	s_delay_alu instid0(VALU_DEP_1) | instskip(NEXT) | instid1(VALU_DEP_3)
	v_cndmask_b32_e64 v29, v29, v30, s6
	v_cmp_lt_f32_e64 s6, 0, v33
	s_delay_alu instid0(VALU_DEP_1) | instskip(NEXT) | instid1(VALU_DEP_1)
	v_cndmask_b32_e64 v29, v29, v31, s6
	v_mul_f32_e32 v30, 0x37800000, v29
	s_delay_alu instid0(VALU_DEP_1) | instskip(SKIP_1) | instid1(VALU_DEP_2)
	v_cndmask_b32_e32 v29, v29, v30, vcc_lo
	v_cmp_class_f32_e64 vcc_lo, v27, 0x260
	v_cndmask_b32_e32 v27, v29, v27, vcc_lo
	s_delay_alu instid0(VALU_DEP_1) | instskip(NEXT) | instid1(VALU_DEP_1)
	v_add_f32_e32 v27, v23, v27
	v_cmp_gt_f32_e32 vcc_lo, 0x800000, v27
	s_delay_alu instid0(VALU_DEP_4) | instskip(NEXT) | instid1(VALU_DEP_1)
	v_cndmask_b32_e64 v29, 1.0, 0x4f800000, vcc_lo
	v_mul_f32_e32 v27, v27, v29
	s_delay_alu instid0(VALU_DEP_1) | instskip(SKIP_3) | instid1(VALU_DEP_2)
	v_log_f32_e32 v27, v27
	s_waitcnt_depctr 0xfff
	v_mul_f32_e32 v29, 0x3f317217, v27
	v_cmp_gt_f32_e64 s6, 0x7f800000, |v27|
	v_fma_f32 v30, 0x3f317217, v27, -v29
	s_delay_alu instid0(VALU_DEP_1) | instskip(NEXT) | instid1(VALU_DEP_1)
	v_fmac_f32_e32 v30, 0x3377d1cf, v27
	v_add_f32_e32 v29, v29, v30
	s_delay_alu instid0(VALU_DEP_1) | instskip(SKIP_1) | instid1(VALU_DEP_1)
	v_cndmask_b32_e64 v27, v27, v29, s6
	v_cndmask_b32_e64 v29, 0, 0x41b17218, vcc_lo
	v_sub_f32_e32 v29, v27, v29
.LBB63_317:                             ;   in Loop: Header=BB63_4 Depth=1
	s_or_saveexec_b32 s7, s7
	v_and_b32_e32 v27, 0x7fffffff, v12
	s_xor_b32 exec_lo, exec_lo, s7
	s_cbranch_execz .LBB63_339
; %bb.318:                              ;   in Loop: Header=BB63_4 Depth=1
	v_cmp_neq_f32_e64 s6, |v11|, 1.0
	v_cmp_ngt_f32_e64 s31, 0x25000000, |v12|
                                        ; implicit-def: $vgpr29
	s_delay_alu instid0(VALU_DEP_1) | instskip(NEXT) | instid1(SALU_CYCLE_1)
	s_or_b32 s6, s31, s6
	s_and_saveexec_b32 s31, s6
	s_delay_alu instid0(SALU_CYCLE_1)
	s_xor_b32 s31, exec_lo, s31
	s_cbranch_execz .LBB63_336
; %bb.319:                              ;   in Loop: Header=BB63_4 Depth=1
	v_mul_f32_e64 v29, 0x34000000, |v24|
	s_delay_alu instid0(VALU_DEP_1) | instskip(NEXT) | instid1(VALU_DEP_1)
	v_cmp_le_f32_e64 s6, v29, |v12|
                                        ; implicit-def: $vgpr29
	s_and_saveexec_b32 s33, s6
	s_delay_alu instid0(SALU_CYCLE_1)
	s_xor_b32 s33, exec_lo, s33
	s_cbranch_execz .LBB63_329
; %bb.320:                              ;   in Loop: Header=BB63_4 Depth=1
	v_mov_b32_e32 v29, v27
	s_mov_b32 s6, exec_lo
	v_cmpx_neq_f32_e32 0, v25
	s_cbranch_execz .LBB63_322
; %bb.321:                              ;   in Loop: Header=BB63_4 Depth=1
	v_mul_f32_e32 v29, v12, v12
	v_add_f32_e32 v30, v25, v28
	s_delay_alu instid0(VALU_DEP_1) | instskip(NEXT) | instid1(VALU_DEP_1)
	v_div_scale_f32 v31, null, v30, v30, v29
	v_rcp_f32_e32 v32, v31
	s_waitcnt_depctr 0xfff
	v_fma_f32 v33, -v31, v32, 1.0
	s_delay_alu instid0(VALU_DEP_1) | instskip(SKIP_1) | instid1(VALU_DEP_1)
	v_fmac_f32_e32 v32, v33, v32
	v_div_scale_f32 v33, vcc_lo, v29, v30, v29
	v_mul_f32_e32 v34, v33, v32
	s_delay_alu instid0(VALU_DEP_1) | instskip(NEXT) | instid1(VALU_DEP_1)
	v_fma_f32 v35, -v31, v34, v33
	v_fmac_f32_e32 v34, v35, v32
	s_delay_alu instid0(VALU_DEP_1) | instskip(NEXT) | instid1(VALU_DEP_1)
	v_fma_f32 v31, -v31, v34, v33
	v_div_fmas_f32 v31, v31, v32, v34
	s_delay_alu instid0(VALU_DEP_1)
	v_div_fixup_f32 v29, v31, v30, v29
.LBB63_322:                             ;   in Loop: Header=BB63_4 Depth=1
	s_or_b32 exec_lo, exec_lo, s6
	v_sub_f32_e64 v31, 1.0, |v11|
	s_mov_b32 s6, exec_lo
                                        ; implicit-def: $vgpr30
	s_delay_alu instid0(VALU_DEP_1)
	v_cmpx_ngt_f32_e32 0, v31
	s_xor_b32 s6, exec_lo, s6
	s_cbranch_execz .LBB63_326
; %bb.323:                              ;   in Loop: Header=BB63_4 Depth=1
	v_mov_b32_e32 v30, v27
	s_mov_b32 s34, exec_lo
	v_cmpx_neq_f32_e32 0, v31
	s_cbranch_execz .LBB63_325
; %bb.324:                              ;   in Loop: Header=BB63_4 Depth=1
	v_dual_mul_f32 v30, v12, v12 :: v_dual_add_f32 v31, v31, v26
	s_delay_alu instid0(VALU_DEP_1) | instskip(NEXT) | instid1(VALU_DEP_1)
	v_div_scale_f32 v32, null, v31, v31, v30
	v_rcp_f32_e32 v33, v32
	s_waitcnt_depctr 0xfff
	v_fma_f32 v34, -v32, v33, 1.0
	s_delay_alu instid0(VALU_DEP_1) | instskip(SKIP_1) | instid1(VALU_DEP_1)
	v_fmac_f32_e32 v33, v34, v33
	v_div_scale_f32 v34, vcc_lo, v30, v31, v30
	v_mul_f32_e32 v35, v34, v33
	s_delay_alu instid0(VALU_DEP_1) | instskip(NEXT) | instid1(VALU_DEP_1)
	v_fma_f32 v36, -v32, v35, v34
	v_fmac_f32_e32 v35, v36, v33
	s_delay_alu instid0(VALU_DEP_1) | instskip(NEXT) | instid1(VALU_DEP_1)
	v_fma_f32 v32, -v32, v35, v34
	v_div_fmas_f32 v32, v32, v33, v35
	s_delay_alu instid0(VALU_DEP_1)
	v_div_fixup_f32 v30, v32, v31, v30
.LBB63_325:                             ;   in Loop: Header=BB63_4 Depth=1
	s_or_b32 exec_lo, exec_lo, s34
                                        ; implicit-def: $vgpr31
.LBB63_326:                             ;   in Loop: Header=BB63_4 Depth=1
	s_and_not1_saveexec_b32 s6, s6
; %bb.327:                              ;   in Loop: Header=BB63_4 Depth=1
	v_sub_f32_e32 v30, v26, v31
; %bb.328:                              ;   in Loop: Header=BB63_4 Depth=1
	s_or_b32 exec_lo, exec_lo, s6
	s_delay_alu instid0(VALU_DEP_1) | instskip(NEXT) | instid1(VALU_DEP_1)
	v_dual_mul_f32 v30, 0.5, v30 :: v_dual_add_f32 v31, 1.0, v23
	v_fmac_f32_e32 v30, 0.5, v29
	s_delay_alu instid0(VALU_DEP_1) | instskip(NEXT) | instid1(VALU_DEP_1)
	v_mul_f32_e32 v29, v31, v30
	v_mul_f32_e32 v31, 0x4f800000, v29
	v_cmp_gt_f32_e32 vcc_lo, 0xf800000, v29
	s_delay_alu instid0(VALU_DEP_2) | instskip(NEXT) | instid1(VALU_DEP_1)
	v_cndmask_b32_e32 v29, v29, v31, vcc_lo
	v_sqrt_f32_e32 v31, v29
	s_waitcnt_depctr 0xfff
	v_add_nc_u32_e32 v32, -1, v31
	v_add_nc_u32_e32 v33, 1, v31
	s_delay_alu instid0(VALU_DEP_2) | instskip(NEXT) | instid1(VALU_DEP_2)
	v_fma_f32 v34, -v32, v31, v29
	v_fma_f32 v35, -v33, v31, v29
	s_delay_alu instid0(VALU_DEP_2) | instskip(NEXT) | instid1(VALU_DEP_1)
	v_cmp_ge_f32_e64 s6, 0, v34
	v_cndmask_b32_e64 v31, v31, v32, s6
	s_delay_alu instid0(VALU_DEP_3) | instskip(NEXT) | instid1(VALU_DEP_1)
	v_cmp_lt_f32_e64 s6, 0, v35
	v_cndmask_b32_e64 v31, v31, v33, s6
	s_delay_alu instid0(VALU_DEP_1) | instskip(NEXT) | instid1(VALU_DEP_1)
	v_mul_f32_e32 v32, 0x37800000, v31
	v_cndmask_b32_e32 v31, v31, v32, vcc_lo
	v_cmp_class_f32_e64 vcc_lo, v29, 0x260
	s_delay_alu instid0(VALU_DEP_2) | instskip(NEXT) | instid1(VALU_DEP_1)
	v_cndmask_b32_e32 v29, v31, v29, vcc_lo
	v_add_f32_e32 v31, v30, v29
	s_delay_alu instid0(VALU_DEP_1) | instskip(NEXT) | instid1(VALU_DEP_1)
	v_add_f32_e32 v32, 1.0, v31
	v_cvt_f64_f32_e32 v[29:30], v32
	s_delay_alu instid0(VALU_DEP_1) | instskip(SKIP_1) | instid1(VALU_DEP_1)
	v_frexp_exp_i32_f64_e32 v29, v[29:30]
	v_frexp_mant_f32_e32 v30, v32
	v_cmp_gt_f32_e32 vcc_lo, 0x3f2aaaab, v30
	v_add_f32_e32 v30, -1.0, v32
	s_delay_alu instid0(VALU_DEP_1) | instskip(NEXT) | instid1(VALU_DEP_1)
	v_sub_f32_e32 v34, v30, v32
	v_add_f32_e32 v34, 1.0, v34
	v_subrev_co_ci_u32_e32 v29, vcc_lo, 0, v29, vcc_lo
	s_delay_alu instid0(VALU_DEP_1) | instskip(SKIP_1) | instid1(VALU_DEP_2)
	v_sub_nc_u32_e32 v33, 0, v29
	v_cvt_f32_i32_e32 v29, v29
	v_ldexp_f32 v32, v32, v33
	s_delay_alu instid0(VALU_DEP_1) | instskip(NEXT) | instid1(VALU_DEP_1)
	v_dual_sub_f32 v30, v31, v30 :: v_dual_add_f32 v35, 1.0, v32
	v_add_f32_e32 v30, v30, v34
	s_delay_alu instid0(VALU_DEP_2) | instskip(NEXT) | instid1(VALU_DEP_2)
	v_add_f32_e32 v34, -1.0, v35
	v_ldexp_f32 v30, v30, v33
	v_add_f32_e32 v33, -1.0, v32
	v_cmp_eq_f32_e32 vcc_lo, 0x7f800000, v31
	s_delay_alu instid0(VALU_DEP_4) | instskip(NEXT) | instid1(VALU_DEP_3)
	v_sub_f32_e32 v34, v32, v34
	v_add_f32_e32 v36, 1.0, v33
	s_delay_alu instid0(VALU_DEP_2) | instskip(NEXT) | instid1(VALU_DEP_2)
	v_add_f32_e32 v34, v30, v34
	v_sub_f32_e32 v32, v32, v36
	s_delay_alu instid0(VALU_DEP_1) | instskip(NEXT) | instid1(VALU_DEP_1)
	v_add_f32_e32 v30, v30, v32
	v_add_f32_e32 v37, v33, v30
	s_delay_alu instid0(VALU_DEP_1) | instskip(NEXT) | instid1(VALU_DEP_1)
	v_dual_add_f32 v36, v35, v34 :: v_dual_sub_f32 v33, v37, v33
	v_rcp_f32_e32 v32, v36
	v_sub_f32_e32 v35, v36, v35
	s_delay_alu instid0(VALU_DEP_1) | instskip(SKIP_2) | instid1(VALU_DEP_1)
	v_sub_f32_e32 v34, v34, v35
	s_waitcnt_depctr 0xfff
	v_mul_f32_e32 v38, v37, v32
	v_mul_f32_e32 v39, v36, v38
	s_delay_alu instid0(VALU_DEP_1) | instskip(NEXT) | instid1(VALU_DEP_1)
	v_fma_f32 v35, v38, v36, -v39
	v_fmac_f32_e32 v35, v38, v34
	v_sub_f32_e32 v30, v30, v33
	s_delay_alu instid0(VALU_DEP_2) | instskip(NEXT) | instid1(VALU_DEP_1)
	v_add_f32_e32 v40, v39, v35
	v_sub_f32_e32 v41, v37, v40
	v_sub_f32_e32 v33, v40, v39
	s_delay_alu instid0(VALU_DEP_2) | instskip(NEXT) | instid1(VALU_DEP_2)
	v_sub_f32_e32 v37, v37, v41
	v_sub_f32_e32 v33, v33, v35
	s_delay_alu instid0(VALU_DEP_2) | instskip(NEXT) | instid1(VALU_DEP_1)
	v_sub_f32_e32 v37, v37, v40
	v_add_f32_e32 v30, v30, v37
	s_delay_alu instid0(VALU_DEP_1) | instskip(NEXT) | instid1(VALU_DEP_1)
	v_add_f32_e32 v30, v33, v30
	v_add_f32_e32 v33, v41, v30
	s_delay_alu instid0(VALU_DEP_1) | instskip(NEXT) | instid1(VALU_DEP_1)
	v_mul_f32_e32 v35, v32, v33
	v_dual_sub_f32 v40, v41, v33 :: v_dual_mul_f32 v37, v36, v35
	s_delay_alu instid0(VALU_DEP_1) | instskip(NEXT) | instid1(VALU_DEP_2)
	v_add_f32_e32 v30, v30, v40
	v_fma_f32 v36, v35, v36, -v37
	s_delay_alu instid0(VALU_DEP_1) | instskip(NEXT) | instid1(VALU_DEP_1)
	v_fmac_f32_e32 v36, v35, v34
	v_add_f32_e32 v34, v37, v36
	s_delay_alu instid0(VALU_DEP_1) | instskip(NEXT) | instid1(VALU_DEP_1)
	v_sub_f32_e32 v39, v33, v34
	v_sub_f32_e32 v33, v33, v39
	s_delay_alu instid0(VALU_DEP_1) | instskip(NEXT) | instid1(VALU_DEP_1)
	v_sub_f32_e32 v33, v33, v34
	v_add_f32_e32 v30, v30, v33
	v_add_f32_e32 v33, v38, v35
	v_sub_f32_e32 v37, v34, v37
	s_delay_alu instid0(VALU_DEP_1) | instskip(NEXT) | instid1(VALU_DEP_1)
	v_sub_f32_e32 v34, v37, v36
	v_add_f32_e32 v30, v34, v30
	s_delay_alu instid0(VALU_DEP_4) | instskip(NEXT) | instid1(VALU_DEP_2)
	v_sub_f32_e32 v34, v33, v38
	v_add_f32_e32 v30, v39, v30
	s_delay_alu instid0(VALU_DEP_2) | instskip(NEXT) | instid1(VALU_DEP_2)
	v_sub_f32_e32 v34, v35, v34
	v_mul_f32_e32 v30, v32, v30
	s_delay_alu instid0(VALU_DEP_1) | instskip(NEXT) | instid1(VALU_DEP_1)
	v_add_f32_e32 v30, v34, v30
	v_add_f32_e32 v32, v33, v30
	s_delay_alu instid0(VALU_DEP_1) | instskip(NEXT) | instid1(VALU_DEP_1)
	v_mul_f32_e32 v34, v32, v32
	v_fmaak_f32 v35, s24, v34, 0x3ecc95a3
	v_mul_f32_e32 v36, v32, v34
	s_delay_alu instid0(VALU_DEP_2) | instskip(SKIP_2) | instid1(VALU_DEP_3)
	v_fmaak_f32 v34, v34, v35, 0x3f2aaada
	v_ldexp_f32 v35, v32, 1
	v_sub_f32_e32 v32, v32, v33
	v_mul_f32_e32 v34, v36, v34
	v_mul_f32_e32 v36, 0x3f317218, v29
	s_delay_alu instid0(VALU_DEP_2) | instskip(NEXT) | instid1(VALU_DEP_1)
	v_dual_sub_f32 v30, v30, v32 :: v_dual_add_f32 v33, v35, v34
	v_ldexp_f32 v30, v30, 1
	s_delay_alu instid0(VALU_DEP_2) | instskip(NEXT) | instid1(VALU_DEP_4)
	v_sub_f32_e32 v32, v33, v35
	v_fma_f32 v35, 0x3f317218, v29, -v36
	s_delay_alu instid0(VALU_DEP_1) | instskip(NEXT) | instid1(VALU_DEP_1)
	v_dual_sub_f32 v32, v34, v32 :: v_dual_fmac_f32 v35, 0xb102e308, v29
	v_dual_add_f32 v29, v30, v32 :: v_dual_add_f32 v30, v36, v35
	s_delay_alu instid0(VALU_DEP_1) | instskip(NEXT) | instid1(VALU_DEP_2)
	v_add_f32_e32 v32, v33, v29
	v_sub_f32_e32 v36, v30, v36
	s_delay_alu instid0(VALU_DEP_2) | instskip(NEXT) | instid1(VALU_DEP_2)
	v_dual_add_f32 v34, v30, v32 :: v_dual_sub_f32 v33, v32, v33
	v_sub_f32_e32 v35, v35, v36
	s_delay_alu instid0(VALU_DEP_2) | instskip(NEXT) | instid1(VALU_DEP_3)
	v_sub_f32_e32 v37, v34, v30
	v_sub_f32_e32 v29, v29, v33
	s_delay_alu instid0(VALU_DEP_2) | instskip(SKIP_1) | instid1(VALU_DEP_2)
	v_sub_f32_e32 v38, v34, v37
	v_sub_f32_e32 v32, v32, v37
	v_dual_add_f32 v33, v35, v29 :: v_dual_sub_f32 v30, v30, v38
	s_delay_alu instid0(VALU_DEP_1) | instskip(NEXT) | instid1(VALU_DEP_2)
	v_add_f32_e32 v30, v32, v30
	v_sub_f32_e32 v32, v33, v35
	s_delay_alu instid0(VALU_DEP_2) | instskip(NEXT) | instid1(VALU_DEP_2)
	v_add_f32_e32 v30, v33, v30
	v_sub_f32_e32 v33, v33, v32
	s_delay_alu instid0(VALU_DEP_2) | instskip(NEXT) | instid1(VALU_DEP_1)
	v_dual_sub_f32 v29, v29, v32 :: v_dual_add_f32 v36, v34, v30
	v_dual_sub_f32 v33, v35, v33 :: v_dual_sub_f32 v32, v36, v34
	s_delay_alu instid0(VALU_DEP_1) | instskip(NEXT) | instid1(VALU_DEP_1)
	v_dual_add_f32 v29, v29, v33 :: v_dual_sub_f32 v30, v30, v32
	v_add_f32_e32 v29, v29, v30
	s_delay_alu instid0(VALU_DEP_1) | instskip(NEXT) | instid1(VALU_DEP_1)
	v_add_f32_e32 v29, v36, v29
	v_cndmask_b32_e32 v29, v29, v31, vcc_lo
	v_cmp_ngt_f32_e32 vcc_lo, -1.0, v31
	s_delay_alu instid0(VALU_DEP_2) | instskip(SKIP_1) | instid1(VALU_DEP_2)
	v_cndmask_b32_e32 v29, 0x7fc00000, v29, vcc_lo
	v_cmp_neq_f32_e32 vcc_lo, -1.0, v31
	v_cndmask_b32_e32 v29, 0xff800000, v29, vcc_lo
	v_cmp_gt_f32_e64 vcc_lo, 0x33800000, |v31|
	s_delay_alu instid0(VALU_DEP_2)
	v_cndmask_b32_e32 v29, v29, v31, vcc_lo
.LBB63_329:                             ;   in Loop: Header=BB63_4 Depth=1
	s_and_not1_saveexec_b32 s33, s33
	s_cbranch_execz .LBB63_335
; %bb.330:                              ;   in Loop: Header=BB63_4 Depth=1
	s_mov_b32 s34, exec_lo
                                        ; implicit-def: $vgpr29
	v_cmpx_nlt_f32_e64 |v11|, 1.0
	s_xor_b32 s34, exec_lo, s34
	s_cbranch_execz .LBB63_332
; %bb.331:                              ;   in Loop: Header=BB63_4 Depth=1
	v_mul_f32_e32 v29, v24, v25
	s_delay_alu instid0(VALU_DEP_1) | instskip(SKIP_1) | instid1(VALU_DEP_2)
	v_mul_f32_e32 v30, 0x4f800000, v29
	v_cmp_gt_f32_e32 vcc_lo, 0xf800000, v29
	v_cndmask_b32_e32 v29, v29, v30, vcc_lo
	s_delay_alu instid0(VALU_DEP_1) | instskip(SKIP_3) | instid1(VALU_DEP_2)
	v_sqrt_f32_e32 v30, v29
	s_waitcnt_depctr 0xfff
	v_add_nc_u32_e32 v31, -1, v30
	v_add_nc_u32_e32 v32, 1, v30
	v_fma_f32 v33, -v31, v30, v29
	s_delay_alu instid0(VALU_DEP_2) | instskip(NEXT) | instid1(VALU_DEP_2)
	v_fma_f32 v34, -v32, v30, v29
	v_cmp_ge_f32_e64 s6, 0, v33
	s_delay_alu instid0(VALU_DEP_1) | instskip(NEXT) | instid1(VALU_DEP_3)
	v_cndmask_b32_e64 v30, v30, v31, s6
	v_cmp_lt_f32_e64 s6, 0, v34
	s_delay_alu instid0(VALU_DEP_1) | instskip(NEXT) | instid1(VALU_DEP_1)
	v_cndmask_b32_e64 v30, v30, v32, s6
	v_mul_f32_e32 v31, 0x37800000, v30
	s_delay_alu instid0(VALU_DEP_1) | instskip(SKIP_1) | instid1(VALU_DEP_2)
	v_cndmask_b32_e32 v30, v30, v31, vcc_lo
	v_cmp_class_f32_e64 vcc_lo, v29, 0x260
	v_cndmask_b32_e32 v29, v30, v29, vcc_lo
	s_delay_alu instid0(VALU_DEP_1) | instskip(NEXT) | instid1(VALU_DEP_1)
	v_add_f32_e32 v31, v24, v29
	v_add_f32_e32 v32, 1.0, v31
	s_delay_alu instid0(VALU_DEP_1) | instskip(NEXT) | instid1(VALU_DEP_1)
	v_cvt_f64_f32_e32 v[29:30], v32
	v_frexp_exp_i32_f64_e32 v29, v[29:30]
	v_frexp_mant_f32_e32 v30, v32
	s_delay_alu instid0(VALU_DEP_1) | instskip(SKIP_1) | instid1(VALU_DEP_1)
	v_cmp_gt_f32_e32 vcc_lo, 0x3f2aaaab, v30
	v_add_f32_e32 v30, -1.0, v32
	v_sub_f32_e32 v34, v30, v32
	s_delay_alu instid0(VALU_DEP_1) | instskip(SKIP_2) | instid1(VALU_DEP_2)
	v_add_f32_e32 v34, 1.0, v34
	v_subrev_co_ci_u32_e32 v29, vcc_lo, 0, v29, vcc_lo
	v_cmp_eq_f32_e32 vcc_lo, 0x7f800000, v31
	v_sub_nc_u32_e32 v33, 0, v29
	v_cvt_f32_i32_e32 v29, v29
	s_delay_alu instid0(VALU_DEP_2) | instskip(NEXT) | instid1(VALU_DEP_1)
	v_ldexp_f32 v32, v32, v33
	v_dual_sub_f32 v30, v31, v30 :: v_dual_add_f32 v35, 1.0, v32
	s_delay_alu instid0(VALU_DEP_1) | instskip(NEXT) | instid1(VALU_DEP_1)
	v_add_f32_e32 v30, v30, v34
	v_ldexp_f32 v30, v30, v33
	s_delay_alu instid0(VALU_DEP_3) | instskip(NEXT) | instid1(VALU_DEP_1)
	v_dual_add_f32 v33, -1.0, v32 :: v_dual_add_f32 v34, -1.0, v35
	v_add_f32_e32 v36, 1.0, v33
	s_delay_alu instid0(VALU_DEP_2) | instskip(NEXT) | instid1(VALU_DEP_2)
	v_sub_f32_e32 v34, v32, v34
	v_sub_f32_e32 v32, v32, v36
	s_delay_alu instid0(VALU_DEP_2) | instskip(NEXT) | instid1(VALU_DEP_2)
	v_add_f32_e32 v34, v30, v34
	v_add_f32_e32 v30, v30, v32
	s_delay_alu instid0(VALU_DEP_1) | instskip(NEXT) | instid1(VALU_DEP_1)
	v_add_f32_e32 v37, v33, v30
	v_dual_sub_f32 v33, v37, v33 :: v_dual_add_f32 v36, v35, v34
	s_delay_alu instid0(VALU_DEP_1) | instskip(SKIP_1) | instid1(VALU_DEP_1)
	v_rcp_f32_e32 v32, v36
	v_sub_f32_e32 v35, v36, v35
	v_sub_f32_e32 v34, v34, v35
	s_waitcnt_depctr 0xfff
	v_mul_f32_e32 v38, v37, v32
	s_delay_alu instid0(VALU_DEP_1) | instskip(NEXT) | instid1(VALU_DEP_1)
	v_mul_f32_e32 v39, v36, v38
	v_fma_f32 v35, v38, v36, -v39
	s_delay_alu instid0(VALU_DEP_1) | instskip(SKIP_1) | instid1(VALU_DEP_2)
	v_fmac_f32_e32 v35, v38, v34
	v_sub_f32_e32 v30, v30, v33
	v_add_f32_e32 v40, v39, v35
	s_delay_alu instid0(VALU_DEP_1) | instskip(SKIP_1) | instid1(VALU_DEP_2)
	v_sub_f32_e32 v41, v37, v40
	v_sub_f32_e32 v33, v40, v39
	;; [unrolled: 1-line block ×3, first 2 shown]
	s_delay_alu instid0(VALU_DEP_2) | instskip(NEXT) | instid1(VALU_DEP_2)
	v_sub_f32_e32 v33, v33, v35
	v_sub_f32_e32 v37, v37, v40
	s_delay_alu instid0(VALU_DEP_1) | instskip(NEXT) | instid1(VALU_DEP_1)
	v_add_f32_e32 v30, v30, v37
	v_add_f32_e32 v30, v33, v30
	s_delay_alu instid0(VALU_DEP_1) | instskip(NEXT) | instid1(VALU_DEP_1)
	v_add_f32_e32 v33, v41, v30
	v_mul_f32_e32 v35, v32, v33
	s_delay_alu instid0(VALU_DEP_1) | instskip(NEXT) | instid1(VALU_DEP_1)
	v_dual_sub_f32 v40, v41, v33 :: v_dual_mul_f32 v37, v36, v35
	v_fma_f32 v36, v35, v36, -v37
	s_delay_alu instid0(VALU_DEP_1) | instskip(NEXT) | instid1(VALU_DEP_1)
	v_fmac_f32_e32 v36, v35, v34
	v_add_f32_e32 v34, v37, v36
	s_delay_alu instid0(VALU_DEP_1) | instskip(SKIP_1) | instid1(VALU_DEP_1)
	v_sub_f32_e32 v37, v34, v37
	v_dual_sub_f32 v39, v33, v34 :: v_dual_add_f32 v30, v30, v40
	v_sub_f32_e32 v33, v33, v39
	s_delay_alu instid0(VALU_DEP_1) | instskip(NEXT) | instid1(VALU_DEP_4)
	v_sub_f32_e32 v33, v33, v34
	v_sub_f32_e32 v34, v37, v36
	s_delay_alu instid0(VALU_DEP_2) | instskip(SKIP_1) | instid1(VALU_DEP_2)
	v_add_f32_e32 v30, v30, v33
	v_add_f32_e32 v33, v38, v35
	;; [unrolled: 1-line block ×3, first 2 shown]
	s_delay_alu instid0(VALU_DEP_2) | instskip(NEXT) | instid1(VALU_DEP_2)
	v_sub_f32_e32 v34, v33, v38
	v_add_f32_e32 v30, v39, v30
	s_delay_alu instid0(VALU_DEP_2) | instskip(NEXT) | instid1(VALU_DEP_2)
	v_sub_f32_e32 v34, v35, v34
	v_mul_f32_e32 v30, v32, v30
	s_delay_alu instid0(VALU_DEP_1) | instskip(NEXT) | instid1(VALU_DEP_1)
	v_add_f32_e32 v30, v34, v30
	v_add_f32_e32 v32, v33, v30
	s_delay_alu instid0(VALU_DEP_1) | instskip(NEXT) | instid1(VALU_DEP_1)
	v_mul_f32_e32 v34, v32, v32
	v_fmaak_f32 v35, s24, v34, 0x3ecc95a3
	v_mul_f32_e32 v36, v32, v34
	s_delay_alu instid0(VALU_DEP_2) | instskip(SKIP_2) | instid1(VALU_DEP_3)
	v_fmaak_f32 v34, v34, v35, 0x3f2aaada
	v_ldexp_f32 v35, v32, 1
	v_sub_f32_e32 v32, v32, v33
	v_mul_f32_e32 v34, v36, v34
	v_mul_f32_e32 v36, 0x3f317218, v29
	s_delay_alu instid0(VALU_DEP_2) | instskip(NEXT) | instid1(VALU_DEP_1)
	v_dual_sub_f32 v30, v30, v32 :: v_dual_add_f32 v33, v35, v34
	v_ldexp_f32 v30, v30, 1
	s_delay_alu instid0(VALU_DEP_2) | instskip(NEXT) | instid1(VALU_DEP_4)
	v_sub_f32_e32 v32, v33, v35
	v_fma_f32 v35, 0x3f317218, v29, -v36
	s_delay_alu instid0(VALU_DEP_1) | instskip(NEXT) | instid1(VALU_DEP_1)
	v_dual_sub_f32 v32, v34, v32 :: v_dual_fmac_f32 v35, 0xb102e308, v29
	v_dual_add_f32 v29, v30, v32 :: v_dual_add_f32 v30, v36, v35
	s_delay_alu instid0(VALU_DEP_1) | instskip(NEXT) | instid1(VALU_DEP_2)
	v_add_f32_e32 v32, v33, v29
	v_sub_f32_e32 v36, v30, v36
	s_delay_alu instid0(VALU_DEP_2) | instskip(NEXT) | instid1(VALU_DEP_2)
	v_dual_add_f32 v34, v30, v32 :: v_dual_sub_f32 v33, v32, v33
	v_sub_f32_e32 v35, v35, v36
	s_delay_alu instid0(VALU_DEP_2) | instskip(NEXT) | instid1(VALU_DEP_3)
	v_sub_f32_e32 v37, v34, v30
	v_sub_f32_e32 v29, v29, v33
	s_delay_alu instid0(VALU_DEP_2) | instskip(SKIP_1) | instid1(VALU_DEP_2)
	v_sub_f32_e32 v38, v34, v37
	v_sub_f32_e32 v32, v32, v37
	v_dual_add_f32 v33, v35, v29 :: v_dual_sub_f32 v30, v30, v38
	s_delay_alu instid0(VALU_DEP_1) | instskip(NEXT) | instid1(VALU_DEP_2)
	v_add_f32_e32 v30, v32, v30
	v_sub_f32_e32 v32, v33, v35
	s_delay_alu instid0(VALU_DEP_2) | instskip(NEXT) | instid1(VALU_DEP_2)
	v_add_f32_e32 v30, v33, v30
	v_sub_f32_e32 v33, v33, v32
	s_delay_alu instid0(VALU_DEP_2) | instskip(NEXT) | instid1(VALU_DEP_1)
	v_dual_sub_f32 v29, v29, v32 :: v_dual_add_f32 v36, v34, v30
	v_dual_sub_f32 v33, v35, v33 :: v_dual_sub_f32 v32, v36, v34
	s_delay_alu instid0(VALU_DEP_1) | instskip(NEXT) | instid1(VALU_DEP_1)
	v_dual_add_f32 v29, v29, v33 :: v_dual_sub_f32 v30, v30, v32
	v_add_f32_e32 v29, v29, v30
	s_delay_alu instid0(VALU_DEP_1) | instskip(NEXT) | instid1(VALU_DEP_1)
	v_add_f32_e32 v29, v36, v29
	v_cndmask_b32_e32 v29, v29, v31, vcc_lo
	v_cmp_ngt_f32_e32 vcc_lo, -1.0, v31
	s_delay_alu instid0(VALU_DEP_2) | instskip(SKIP_1) | instid1(VALU_DEP_2)
	v_cndmask_b32_e32 v29, 0x7fc00000, v29, vcc_lo
	v_cmp_neq_f32_e32 vcc_lo, -1.0, v31
	v_cndmask_b32_e32 v29, 0xff800000, v29, vcc_lo
	v_cmp_gt_f32_e64 vcc_lo, 0x33800000, |v31|
	s_delay_alu instid0(VALU_DEP_2)
	v_cndmask_b32_e32 v29, v29, v31, vcc_lo
.LBB63_332:                             ;   in Loop: Header=BB63_4 Depth=1
	s_and_not1_saveexec_b32 s34, s34
	s_cbranch_execz .LBB63_334
; %bb.333:                              ;   in Loop: Header=BB63_4 Depth=1
	v_sub_f32_e64 v29, 1.0, |v11|
	s_delay_alu instid0(VALU_DEP_1) | instskip(NEXT) | instid1(VALU_DEP_1)
	v_mul_f32_e32 v29, v29, v25
	v_mul_f32_e32 v30, 0x4f800000, v29
	v_cmp_gt_f32_e32 vcc_lo, 0xf800000, v29
	s_delay_alu instid0(VALU_DEP_2) | instskip(NEXT) | instid1(VALU_DEP_1)
	v_cndmask_b32_e32 v29, v29, v30, vcc_lo
	v_sqrt_f32_e32 v30, v29
	s_waitcnt_depctr 0xfff
	v_add_nc_u32_e32 v31, -1, v30
	v_add_nc_u32_e32 v32, 1, v30
	s_delay_alu instid0(VALU_DEP_2) | instskip(NEXT) | instid1(VALU_DEP_2)
	v_fma_f32 v33, -v31, v30, v29
	v_fma_f32 v34, -v32, v30, v29
	s_delay_alu instid0(VALU_DEP_2) | instskip(NEXT) | instid1(VALU_DEP_1)
	v_cmp_ge_f32_e64 s6, 0, v33
	v_cndmask_b32_e64 v30, v30, v31, s6
	s_delay_alu instid0(VALU_DEP_3) | instskip(NEXT) | instid1(VALU_DEP_1)
	v_cmp_lt_f32_e64 s6, 0, v34
	v_cndmask_b32_e64 v30, v30, v32, s6
	s_delay_alu instid0(VALU_DEP_1) | instskip(NEXT) | instid1(VALU_DEP_1)
	v_mul_f32_e32 v31, 0x37800000, v30
	v_cndmask_b32_e32 v30, v30, v31, vcc_lo
	v_cmp_class_f32_e64 vcc_lo, v29, 0x260
	v_and_b32_e32 v31, 0x7fffffff, v12
	s_delay_alu instid0(VALU_DEP_3) | instskip(NEXT) | instid1(VALU_DEP_1)
	v_cndmask_b32_e32 v29, v30, v29, vcc_lo
	v_div_scale_f32 v30, null, v29, v29, v31
	v_div_scale_f32 v31, vcc_lo, v31, v29, v31
	s_delay_alu instid0(VALU_DEP_2) | instskip(SKIP_2) | instid1(VALU_DEP_1)
	v_rcp_f32_e32 v32, v30
	s_waitcnt_depctr 0xfff
	v_fma_f32 v33, -v30, v32, 1.0
	v_fmac_f32_e32 v32, v33, v32
	s_delay_alu instid0(VALU_DEP_1) | instskip(NEXT) | instid1(VALU_DEP_1)
	v_mul_f32_e32 v33, v31, v32
	v_fma_f32 v34, -v30, v33, v31
	s_delay_alu instid0(VALU_DEP_1) | instskip(NEXT) | instid1(VALU_DEP_1)
	v_fmac_f32_e32 v33, v34, v32
	v_fma_f32 v30, -v30, v33, v31
	s_delay_alu instid0(VALU_DEP_1) | instskip(NEXT) | instid1(VALU_DEP_1)
	v_div_fmas_f32 v30, v30, v32, v33
	v_div_fixup_f32 v29, v30, v29, |v12|
.LBB63_334:                             ;   in Loop: Header=BB63_4 Depth=1
	s_or_b32 exec_lo, exec_lo, s34
.LBB63_335:                             ;   in Loop: Header=BB63_4 Depth=1
	s_delay_alu instid0(SALU_CYCLE_1)
	s_or_b32 exec_lo, exec_lo, s33
.LBB63_336:                             ;   in Loop: Header=BB63_4 Depth=1
	s_and_not1_saveexec_b32 s31, s31
	s_cbranch_execz .LBB63_338
; %bb.337:                              ;   in Loop: Header=BB63_4 Depth=1
	v_mul_f32_e64 v29, 0x4f800000, |v12|
	v_cmp_gt_f32_e64 vcc_lo, 0xf800000, |v12|
	s_delay_alu instid0(VALU_DEP_1) | instskip(NEXT) | instid1(VALU_DEP_1)
	v_cndmask_b32_e64 v29, |v12|, v29, vcc_lo
	v_sqrt_f32_e32 v30, v29
	s_waitcnt_depctr 0xfff
	v_add_nc_u32_e32 v31, -1, v30
	v_add_nc_u32_e32 v32, 1, v30
	s_delay_alu instid0(VALU_DEP_2) | instskip(NEXT) | instid1(VALU_DEP_2)
	v_fma_f32 v33, -v31, v30, v29
	v_fma_f32 v34, -v32, v30, v29
	s_delay_alu instid0(VALU_DEP_2) | instskip(NEXT) | instid1(VALU_DEP_1)
	v_cmp_ge_f32_e64 s6, 0, v33
	v_cndmask_b32_e64 v30, v30, v31, s6
	s_delay_alu instid0(VALU_DEP_3) | instskip(NEXT) | instid1(VALU_DEP_1)
	v_cmp_lt_f32_e64 s6, 0, v34
	v_cndmask_b32_e64 v30, v30, v32, s6
	s_delay_alu instid0(VALU_DEP_1) | instskip(NEXT) | instid1(VALU_DEP_1)
	v_mul_f32_e32 v31, 0x37800000, v30
	v_cndmask_b32_e32 v30, v30, v31, vcc_lo
	v_cmp_class_f32_e64 vcc_lo, v29, 0x260
	s_delay_alu instid0(VALU_DEP_2)
	v_cndmask_b32_e32 v29, v30, v29, vcc_lo
.LBB63_338:                             ;   in Loop: Header=BB63_4 Depth=1
	s_or_b32 exec_lo, exec_lo, s31
.LBB63_339:                             ;   in Loop: Header=BB63_4 Depth=1
	s_delay_alu instid0(SALU_CYCLE_1) | instskip(NEXT) | instid1(SALU_CYCLE_1)
	s_or_b32 exec_lo, exec_lo, s7
	s_mov_b32 s31, exec_lo
                                        ; implicit-def: $sgpr6
                                        ; implicit-def: $vgpr30
                                        ; implicit-def: $vgpr32
                                        ; implicit-def: $vgpr31
	v_cmpx_ngt_f32_e64 0x21000000, |v11|
	s_xor_b32 s31, exec_lo, s31
	s_cbranch_execz .LBB63_363
; %bb.340:                              ;   in Loop: Header=BB63_4 Depth=1
	v_and_b32_e32 v31, 0x7fffffff, v11
	s_mov_b32 s6, 0
	s_mov_b32 s33, exec_lo
	s_delay_alu instid0(VALU_DEP_1) | instskip(NEXT) | instid1(VALU_DEP_1)
	v_div_scale_f32 v30, null, v23, v23, v31
	v_rcp_f32_e32 v32, v30
	s_waitcnt_depctr 0xfff
	v_fma_f32 v33, -v30, v32, 1.0
	s_delay_alu instid0(VALU_DEP_1) | instskip(SKIP_1) | instid1(VALU_DEP_1)
	v_fmac_f32_e32 v32, v33, v32
	v_div_scale_f32 v33, vcc_lo, v31, v23, v31
	v_mul_f32_e32 v34, v33, v32
	s_delay_alu instid0(VALU_DEP_1) | instskip(NEXT) | instid1(VALU_DEP_1)
	v_fma_f32 v35, -v30, v34, v33
	v_fmac_f32_e32 v34, v35, v32
	s_delay_alu instid0(VALU_DEP_1) | instskip(NEXT) | instid1(VALU_DEP_1)
	v_fma_f32 v30, -v30, v34, v33
	v_div_fmas_f32 v30, v30, v32, v34
                                        ; implicit-def: $vgpr32
	s_delay_alu instid0(VALU_DEP_1) | instskip(NEXT) | instid1(VALU_DEP_1)
	v_div_fixup_f32 v30, v30, v23, |v11|
	v_cmpx_lt_f32_e32 0x3f244674, v30
	s_cbranch_execz .LBB63_362
; %bb.341:                              ;   in Loop: Header=BB63_4 Depth=1
	v_cmp_neq_f32_e64 s6, |v11|, 1.0
	v_cmp_ngt_f32_e64 s7, 0x30800000, |v12|
                                        ; implicit-def: $sgpr34
                                        ; implicit-def: $vgpr32
	s_delay_alu instid0(VALU_DEP_1) | instskip(NEXT) | instid1(SALU_CYCLE_1)
	s_or_b32 s6, s7, s6
	s_and_saveexec_b32 s7, s6
	s_delay_alu instid0(SALU_CYCLE_1)
	s_xor_b32 s7, exec_lo, s7
	s_cbranch_execz .LBB63_359
; %bb.342:                              ;   in Loop: Header=BB63_4 Depth=1
	v_mul_f32_e64 v32, 0x34000000, |v24|
                                        ; implicit-def: $sgpr34
	s_delay_alu instid0(VALU_DEP_1) | instskip(NEXT) | instid1(VALU_DEP_1)
	v_cmp_le_f32_e64 s6, v32, |v12|
                                        ; implicit-def: $vgpr32
	s_and_saveexec_b32 s35, s6
	s_delay_alu instid0(SALU_CYCLE_1)
	s_xor_b32 s35, exec_lo, s35
	s_cbranch_execz .LBB63_352
; %bb.343:                              ;   in Loop: Header=BB63_4 Depth=1
	v_mov_b32_e32 v32, v27
	s_mov_b32 s6, exec_lo
	v_cmpx_neq_f32_e32 0, v25
	s_cbranch_execz .LBB63_345
; %bb.344:                              ;   in Loop: Header=BB63_4 Depth=1
	v_mul_f32_e32 v32, v12, v12
	v_add_f32_e32 v25, v25, v28
	s_delay_alu instid0(VALU_DEP_1) | instskip(NEXT) | instid1(VALU_DEP_1)
	v_div_scale_f32 v28, null, v25, v25, v32
	v_rcp_f32_e32 v33, v28
	s_waitcnt_depctr 0xfff
	v_fma_f32 v34, -v28, v33, 1.0
	s_delay_alu instid0(VALU_DEP_1) | instskip(SKIP_1) | instid1(VALU_DEP_1)
	v_fmac_f32_e32 v33, v34, v33
	v_div_scale_f32 v34, vcc_lo, v32, v25, v32
	v_mul_f32_e32 v35, v34, v33
	s_delay_alu instid0(VALU_DEP_1) | instskip(NEXT) | instid1(VALU_DEP_1)
	v_fma_f32 v36, -v28, v35, v34
	v_fmac_f32_e32 v35, v36, v33
	s_delay_alu instid0(VALU_DEP_1) | instskip(NEXT) | instid1(VALU_DEP_1)
	v_fma_f32 v28, -v28, v35, v34
	v_div_fmas_f32 v28, v28, v33, v35
	s_delay_alu instid0(VALU_DEP_1)
	v_div_fixup_f32 v32, v28, v25, v32
.LBB63_345:                             ;   in Loop: Header=BB63_4 Depth=1
	s_or_b32 exec_lo, exec_lo, s6
	s_delay_alu instid0(SALU_CYCLE_1)
	s_mov_b32 s6, exec_lo
	v_cmpx_ngt_f32_e32 0, v24
	s_xor_b32 s6, exec_lo, s6
	s_cbranch_execz .LBB63_349
; %bb.346:                              ;   in Loop: Header=BB63_4 Depth=1
	s_mov_b32 s34, exec_lo
	v_cmpx_neq_f32_e32 0, v24
	s_cbranch_execz .LBB63_348
; %bb.347:                              ;   in Loop: Header=BB63_4 Depth=1
	v_mul_f32_e32 v25, v12, v12
	v_add_f32_e32 v24, v24, v26
	s_delay_alu instid0(VALU_DEP_1) | instskip(NEXT) | instid1(VALU_DEP_1)
	v_div_scale_f32 v26, null, v24, v24, v25
	v_rcp_f32_e32 v27, v26
	s_waitcnt_depctr 0xfff
	v_fma_f32 v28, -v26, v27, 1.0
	s_delay_alu instid0(VALU_DEP_1) | instskip(SKIP_1) | instid1(VALU_DEP_1)
	v_fmac_f32_e32 v27, v28, v27
	v_div_scale_f32 v28, vcc_lo, v25, v24, v25
	v_mul_f32_e32 v33, v28, v27
	s_delay_alu instid0(VALU_DEP_1) | instskip(NEXT) | instid1(VALU_DEP_1)
	v_fma_f32 v34, -v26, v33, v28
	v_fmac_f32_e32 v33, v34, v27
	s_delay_alu instid0(VALU_DEP_1) | instskip(NEXT) | instid1(VALU_DEP_1)
	v_fma_f32 v26, -v26, v33, v28
	v_div_fmas_f32 v26, v26, v27, v33
	s_delay_alu instid0(VALU_DEP_1)
	v_div_fixup_f32 v27, v26, v24, v25
.LBB63_348:                             ;   in Loop: Header=BB63_4 Depth=1
	s_or_b32 exec_lo, exec_lo, s34
                                        ; implicit-def: $vgpr26
                                        ; implicit-def: $vgpr24
.LBB63_349:                             ;   in Loop: Header=BB63_4 Depth=1
	s_and_not1_saveexec_b32 s6, s6
; %bb.350:                              ;   in Loop: Header=BB63_4 Depth=1
	v_sub_f32_e32 v27, v26, v24
; %bb.351:                              ;   in Loop: Header=BB63_4 Depth=1
	s_or_b32 exec_lo, exec_lo, s6
	s_delay_alu instid0(VALU_DEP_1) | instskip(SKIP_2) | instid1(VALU_DEP_2)
	v_mul_f32_e32 v24, 0.5, v27
	v_add_f32_e64 v23, |v11|, v23
	s_mov_b32 s34, -1
	v_fmac_f32_e32 v24, 0.5, v32
	s_delay_alu instid0(VALU_DEP_1) | instskip(NEXT) | instid1(VALU_DEP_1)
	v_mul_f32_e32 v23, v23, v24
	v_mul_f32_e32 v24, 0x4f800000, v23
	v_cmp_gt_f32_e32 vcc_lo, 0xf800000, v23
	s_delay_alu instid0(VALU_DEP_2) | instskip(NEXT) | instid1(VALU_DEP_1)
	v_cndmask_b32_e32 v23, v23, v24, vcc_lo
	v_sqrt_f32_e32 v24, v23
	s_waitcnt_depctr 0xfff
	v_add_nc_u32_e32 v25, -1, v24
	v_add_nc_u32_e32 v26, 1, v24
	s_delay_alu instid0(VALU_DEP_2) | instskip(NEXT) | instid1(VALU_DEP_2)
	v_fma_f32 v27, -v25, v24, v23
	v_fma_f32 v28, -v26, v24, v23
	s_delay_alu instid0(VALU_DEP_2) | instskip(NEXT) | instid1(VALU_DEP_1)
	v_cmp_ge_f32_e64 s6, 0, v27
	v_cndmask_b32_e64 v24, v24, v25, s6
	s_delay_alu instid0(VALU_DEP_3) | instskip(NEXT) | instid1(VALU_DEP_1)
	v_cmp_lt_f32_e64 s6, 0, v28
	v_cndmask_b32_e64 v24, v24, v26, s6
	s_delay_alu instid0(VALU_DEP_1) | instskip(NEXT) | instid1(VALU_DEP_1)
	v_mul_f32_e32 v25, 0x37800000, v24
	v_cndmask_b32_e32 v24, v24, v25, vcc_lo
	v_cmp_class_f32_e64 vcc_lo, v23, 0x260
                                        ; implicit-def: $vgpr25
	s_delay_alu instid0(VALU_DEP_2)
	v_cndmask_b32_e32 v32, v24, v23, vcc_lo
                                        ; implicit-def: $vgpr24
.LBB63_352:                             ;   in Loop: Header=BB63_4 Depth=1
	s_and_not1_saveexec_b32 s35, s35
	s_cbranch_execz .LBB63_358
; %bb.353:                              ;   in Loop: Header=BB63_4 Depth=1
	s_mov_b32 s37, exec_lo
                                        ; implicit-def: $vgpr32
                                        ; implicit-def: $sgpr36
	v_cmpx_ngt_f32_e64 |v11|, 1.0
	s_xor_b32 s37, exec_lo, s37
	s_cbranch_execz .LBB63_355
; %bb.354:                              ;   in Loop: Header=BB63_4 Depth=1
	v_sub_f32_e64 v23, 1.0, |v11|
	s_mov_b32 s36, -1
	s_delay_alu instid0(VALU_DEP_1) | instskip(NEXT) | instid1(VALU_DEP_1)
	v_mul_f32_e32 v23, v23, v25
	v_mul_f32_e32 v24, 0x4f800000, v23
	v_cmp_gt_f32_e32 vcc_lo, 0xf800000, v23
	s_delay_alu instid0(VALU_DEP_2) | instskip(NEXT) | instid1(VALU_DEP_1)
	v_cndmask_b32_e32 v23, v23, v24, vcc_lo
	v_sqrt_f32_e32 v24, v23
	s_waitcnt_depctr 0xfff
	v_add_nc_u32_e32 v25, -1, v24
	v_add_nc_u32_e32 v26, 1, v24
	s_delay_alu instid0(VALU_DEP_2) | instskip(NEXT) | instid1(VALU_DEP_2)
	v_fma_f32 v27, -v25, v24, v23
	v_fma_f32 v28, -v26, v24, v23
	s_delay_alu instid0(VALU_DEP_2) | instskip(NEXT) | instid1(VALU_DEP_1)
	v_cmp_ge_f32_e64 s6, 0, v27
	v_cndmask_b32_e64 v24, v24, v25, s6
	s_delay_alu instid0(VALU_DEP_3) | instskip(NEXT) | instid1(VALU_DEP_1)
	v_cmp_lt_f32_e64 s6, 0, v28
	v_cndmask_b32_e64 v24, v24, v26, s6
	s_delay_alu instid0(VALU_DEP_1) | instskip(NEXT) | instid1(VALU_DEP_1)
	v_mul_f32_e32 v25, 0x37800000, v24
	v_cndmask_b32_e32 v24, v24, v25, vcc_lo
	v_cmp_class_f32_e64 vcc_lo, v23, 0x260
                                        ; implicit-def: $vgpr25
	s_delay_alu instid0(VALU_DEP_2)
	v_cndmask_b32_e32 v32, v24, v23, vcc_lo
                                        ; implicit-def: $vgpr24
.LBB63_355:                             ;   in Loop: Header=BB63_4 Depth=1
	s_and_not1_saveexec_b32 s37, s37
	s_cbranch_execz .LBB63_357
; %bb.356:                              ;   in Loop: Header=BB63_4 Depth=1
	v_mul_f32_e32 v23, v25, v24
	s_or_b32 s36, s36, exec_lo
	s_delay_alu instid0(VALU_DEP_1) | instskip(SKIP_1) | instid1(VALU_DEP_2)
	v_mul_f32_e32 v24, 0x4f800000, v23
	v_cmp_gt_f32_e32 vcc_lo, 0xf800000, v23
	v_cndmask_b32_e32 v23, v23, v24, vcc_lo
	s_delay_alu instid0(VALU_DEP_1) | instskip(SKIP_3) | instid1(VALU_DEP_2)
	v_sqrt_f32_e32 v24, v23
	s_waitcnt_depctr 0xfff
	v_add_nc_u32_e32 v25, -1, v24
	v_add_nc_u32_e32 v26, 1, v24
	v_fma_f32 v27, -v25, v24, v23
	s_delay_alu instid0(VALU_DEP_2) | instskip(NEXT) | instid1(VALU_DEP_2)
	v_fma_f32 v28, -v26, v24, v23
	v_cmp_ge_f32_e64 s6, 0, v27
	s_delay_alu instid0(VALU_DEP_1) | instskip(NEXT) | instid1(VALU_DEP_3)
	v_cndmask_b32_e64 v24, v24, v25, s6
	v_cmp_lt_f32_e64 s6, 0, v28
	s_delay_alu instid0(VALU_DEP_1) | instskip(SKIP_1) | instid1(VALU_DEP_2)
	v_cndmask_b32_e64 v24, v24, v26, s6
	v_mul_f32_e64 v26, 0x57800000, |v12|
	v_mul_f32_e32 v25, 0x37800000, v24
	s_delay_alu instid0(VALU_DEP_1) | instskip(SKIP_1) | instid1(VALU_DEP_4)
	v_cndmask_b32_e32 v24, v24, v25, vcc_lo
	v_cmp_class_f32_e64 vcc_lo, v23, 0x260
	v_mul_f32_e64 v25, |v11|, v26
	s_delay_alu instid0(VALU_DEP_3) | instskip(NEXT) | instid1(VALU_DEP_1)
	v_cndmask_b32_e32 v23, v24, v23, vcc_lo
	v_div_scale_f32 v24, null, v23, v23, v25
	v_div_scale_f32 v28, vcc_lo, v25, v23, v25
	s_delay_alu instid0(VALU_DEP_2) | instskip(SKIP_2) | instid1(VALU_DEP_1)
	v_rcp_f32_e32 v26, v24
	s_waitcnt_depctr 0xfff
	v_fma_f32 v27, -v24, v26, 1.0
	v_fmac_f32_e32 v26, v27, v26
	s_delay_alu instid0(VALU_DEP_1) | instskip(NEXT) | instid1(VALU_DEP_1)
	v_mul_f32_e32 v27, v28, v26
	v_fma_f32 v31, -v24, v27, v28
	s_delay_alu instid0(VALU_DEP_1) | instskip(SKIP_1) | instid1(VALU_DEP_2)
	v_fmac_f32_e32 v27, v31, v26
	v_mul_f32_e64 v31, 0x57800000, |v11|
	v_fma_f32 v24, -v24, v27, v28
	s_delay_alu instid0(VALU_DEP_1) | instskip(NEXT) | instid1(VALU_DEP_1)
	v_div_fmas_f32 v24, v24, v26, v27
	v_div_fixup_f32 v32, v24, v23, v25
.LBB63_357:                             ;   in Loop: Header=BB63_4 Depth=1
	s_or_b32 exec_lo, exec_lo, s37
	s_delay_alu instid0(SALU_CYCLE_1) | instskip(SKIP_1) | instid1(SALU_CYCLE_1)
	s_and_not1_b32 s6, s34, exec_lo
	s_and_b32 s34, s36, exec_lo
	s_or_b32 s34, s6, s34
.LBB63_358:                             ;   in Loop: Header=BB63_4 Depth=1
	s_or_b32 exec_lo, exec_lo, s35
	s_delay_alu instid0(SALU_CYCLE_1)
	s_and_b32 s34, s34, exec_lo
                                        ; implicit-def: $vgpr23
.LBB63_359:                             ;   in Loop: Header=BB63_4 Depth=1
	s_and_not1_saveexec_b32 s35, s7
	s_cbranch_execz .LBB63_361
; %bb.360:                              ;   in Loop: Header=BB63_4 Depth=1
	v_add_f32_e32 v23, 1.0, v23
	v_mul_f32_e64 v24, 0x4f800000, |v12|
	v_cmp_gt_f32_e64 vcc_lo, 0xf800000, |v12|
	s_or_b32 s34, s34, exec_lo
	s_delay_alu instid0(VALU_DEP_3) | instskip(NEXT) | instid1(VALU_DEP_2)
	v_mul_f32_e32 v23, 0.5, v23
	v_cndmask_b32_e64 v24, |v12|, v24, vcc_lo
	s_delay_alu instid0(VALU_DEP_2) | instskip(SKIP_1) | instid1(VALU_DEP_1)
	v_mul_f32_e32 v25, 0x4f800000, v23
	v_cmp_gt_f32_e64 s6, 0xf800000, v23
	v_cndmask_b32_e64 v23, v23, v25, s6
	s_delay_alu instid0(VALU_DEP_4) | instskip(NEXT) | instid1(VALU_DEP_1)
	v_sqrt_f32_e32 v25, v24
	v_sqrt_f32_e32 v26, v23
	s_waitcnt_depctr 0xfff
	v_add_nc_u32_e32 v27, -1, v25
	v_add_nc_u32_e32 v31, 1, v25
	v_add_nc_u32_e32 v28, -1, v26
	s_delay_alu instid0(VALU_DEP_3) | instskip(SKIP_1) | instid1(VALU_DEP_4)
	v_fma_f32 v32, -v27, v25, v24
	v_add_nc_u32_e32 v33, 1, v26
	v_fma_f32 v35, -v31, v25, v24
	s_delay_alu instid0(VALU_DEP_4) | instskip(NEXT) | instid1(VALU_DEP_4)
	v_fma_f32 v34, -v28, v26, v23
	v_cmp_ge_f32_e64 s7, 0, v32
	s_delay_alu instid0(VALU_DEP_1) | instskip(NEXT) | instid1(VALU_DEP_3)
	v_cndmask_b32_e64 v25, v25, v27, s7
	v_cmp_ge_f32_e64 s7, 0, v34
	v_fma_f32 v27, -v33, v26, v23
	s_delay_alu instid0(VALU_DEP_2) | instskip(SKIP_1) | instid1(VALU_DEP_1)
	v_cndmask_b32_e64 v26, v26, v28, s7
	v_cmp_lt_f32_e64 s7, 0, v35
	v_cndmask_b32_e64 v25, v25, v31, s7
	s_delay_alu instid0(VALU_DEP_4) | instskip(SKIP_1) | instid1(VALU_DEP_3)
	v_cmp_lt_f32_e64 s7, 0, v27
	v_mov_b32_e32 v31, 1.0
	v_mul_f32_e32 v27, 0x37800000, v25
	s_delay_alu instid0(VALU_DEP_3) | instskip(NEXT) | instid1(VALU_DEP_1)
	v_cndmask_b32_e64 v26, v26, v33, s7
	v_dual_cndmask_b32 v25, v25, v27 :: v_dual_mul_f32 v28, 0x37800000, v26
	v_cmp_class_f32_e64 vcc_lo, v24, 0x260
	s_delay_alu instid0(VALU_DEP_2) | instskip(NEXT) | instid1(VALU_DEP_3)
	v_cndmask_b32_e64 v26, v26, v28, s6
	v_cndmask_b32_e32 v24, v25, v24, vcc_lo
	v_cmp_class_f32_e64 vcc_lo, v23, 0x260
	s_delay_alu instid0(VALU_DEP_3) | instskip(NEXT) | instid1(VALU_DEP_1)
	v_cndmask_b32_e32 v23, v26, v23, vcc_lo
	v_mul_f32_e32 v32, v24, v23
.LBB63_361:                             ;   in Loop: Header=BB63_4 Depth=1
	s_or_b32 exec_lo, exec_lo, s35
	s_delay_alu instid0(SALU_CYCLE_1)
	s_and_b32 s6, s34, exec_lo
.LBB63_362:                             ;   in Loop: Header=BB63_4 Depth=1
	s_or_b32 exec_lo, exec_lo, s33
	s_delay_alu instid0(SALU_CYCLE_1)
	s_and_b32 s6, s6, exec_lo
                                        ; implicit-def: $vgpr23
.LBB63_363:                             ;   in Loop: Header=BB63_4 Depth=1
	s_and_not1_saveexec_b32 s7, s31
; %bb.364:                              ;   in Loop: Header=BB63_4 Depth=1
	v_mul_f32_e32 v32, 0x4b800000, v23
	v_mul_f32_e64 v31, 0x4b800000, |v11|
	s_or_b32 s6, s6, exec_lo
                                        ; implicit-def: $vgpr30
; %bb.365:                              ;   in Loop: Header=BB63_4 Depth=1
	s_or_b32 exec_lo, exec_lo, s7
	s_xor_b32 s6, s6, -1
                                        ; implicit-def: $vgpr23
	s_delay_alu instid0(SALU_CYCLE_1) | instskip(NEXT) | instid1(SALU_CYCLE_1)
	s_and_saveexec_b32 s7, s6
	s_xor_b32 s6, exec_lo, s7
	s_cbranch_execz .LBB63_367
; %bb.366:                              ;   in Loop: Header=BB63_4 Depth=1
	v_fma_f32 v23, |v30|, -0.5, 0.5
	v_mul_f32_e32 v24, v30, v30
	v_cmp_ge_f32_e64 vcc_lo, |v30|, 0.5
                                        ; implicit-def: $vgpr31
                                        ; implicit-def: $vgpr32
	s_delay_alu instid0(VALU_DEP_2) | instskip(SKIP_1) | instid1(VALU_DEP_2)
	v_cndmask_b32_e32 v23, v24, v23, vcc_lo
	v_cmp_lt_f32_e64 vcc_lo, |v30|, 0.5
	v_fmaak_f32 v24, s25, v23, 0x3c5fc5da
	v_sqrt_f32_e32 v25, v23
	s_delay_alu instid0(VALU_DEP_1) | instskip(NEXT) | instid1(VALU_DEP_1)
	v_fmaak_f32 v24, v23, v24, 0x3d034c3c
	v_fmaak_f32 v24, v23, v24, 0x3d3641b1
	s_delay_alu instid0(VALU_DEP_1) | instskip(NEXT) | instid1(VALU_DEP_1)
	v_fmaak_f32 v24, v23, v24, 0x3d999bc8
	v_fmaak_f32 v24, v23, v24, 0x3e2aaaac
	s_delay_alu instid0(VALU_DEP_1) | instskip(SKIP_3) | instid1(VALU_DEP_2)
	v_mul_f32_e32 v23, v23, v24
	s_waitcnt_depctr 0xfff
	v_fmac_f32_e32 v25, v25, v23
	v_fma_f32 v23, |v30|, v23, |v30|
	v_add_f32_e32 v24, v25, v25
	s_delay_alu instid0(VALU_DEP_1) | instskip(NEXT) | instid1(VALU_DEP_1)
	v_sub_f32_e32 v24, 0x3fc90fdb, v24
	v_cndmask_b32_e32 v23, v24, v23, vcc_lo
	s_delay_alu instid0(VALU_DEP_1)
	v_bfi_b32 v23, 0x7fffffff, v23, v30
.LBB63_367:                             ;   in Loop: Header=BB63_4 Depth=1
	s_and_not1_saveexec_b32 s31, s6
	s_cbranch_execz .LBB63_369
; %bb.368:                              ;   in Loop: Header=BB63_4 Depth=1
	v_max_f32_e32 v23, v31, v31
	v_max_f32_e64 v24, |v32|, |v32|
	v_cmp_gt_f32_e64 vcc_lo, v31, |v32|
	v_cmp_eq_f32_e64 s7, 0, v31
	v_cmp_class_f32_e64 s33, v32, 0x204
	v_cmp_eq_f32_e64 s6, 0x7f800000, v31
	v_max_f32_e32 v25, v24, v23
	v_min_f32_e32 v23, v24, v23
	s_delay_alu instid0(VALU_DEP_2) | instskip(SKIP_1) | instid1(VALU_DEP_2)
	v_frexp_mant_f32_e32 v26, v25
	v_frexp_exp_i32_f32_e32 v25, v25
	v_rcp_f32_e32 v24, v26
	s_delay_alu instid0(VALU_DEP_3) | instskip(SKIP_1) | instid1(VALU_DEP_2)
	v_frexp_exp_i32_f32_e32 v26, v23
	v_frexp_mant_f32_e32 v23, v23
	v_sub_nc_u32_e32 v25, v26, v25
	s_waitcnt_depctr 0xfff
	v_mul_f32_e32 v23, v23, v24
	s_delay_alu instid0(VALU_DEP_1) | instskip(NEXT) | instid1(VALU_DEP_1)
	v_ldexp_f32 v23, v23, v25
	v_mul_f32_e32 v24, v23, v23
	s_delay_alu instid0(VALU_DEP_1) | instskip(NEXT) | instid1(VALU_DEP_1)
	v_fmaak_f32 v25, s26, v24, 0xbc7a590c
	v_fmaak_f32 v25, v24, v25, 0x3d29fb3f
	s_delay_alu instid0(VALU_DEP_1) | instskip(NEXT) | instid1(VALU_DEP_1)
	v_fmaak_f32 v25, v24, v25, 0xbd97d4d7
	v_fmaak_f32 v25, v24, v25, 0x3dd931b2
	s_delay_alu instid0(VALU_DEP_1) | instskip(NEXT) | instid1(VALU_DEP_1)
	v_fmaak_f32 v25, v24, v25, 0xbe1160e6
	v_fmaak_f32 v25, v24, v25, 0x3e4cb8bf
	s_delay_alu instid0(VALU_DEP_1) | instskip(NEXT) | instid1(VALU_DEP_1)
	v_fmaak_f32 v25, v24, v25, 0xbeaaaa62
	v_mul_f32_e32 v24, v24, v25
	s_delay_alu instid0(VALU_DEP_1) | instskip(NEXT) | instid1(VALU_DEP_1)
	v_fmac_f32_e32 v23, v23, v24
	v_sub_f32_e32 v24, 0x3fc90fdb, v23
	s_delay_alu instid0(VALU_DEP_1) | instskip(SKIP_1) | instid1(VALU_DEP_2)
	v_cndmask_b32_e32 v23, v23, v24, vcc_lo
	v_cmp_gt_i32_e32 vcc_lo, 0, v32
	v_sub_f32_e32 v24, 0x40490fdb, v23
	v_cndmask_b32_e64 v25, 0, 0x40490fdb, vcc_lo
	v_cmp_gt_f32_e32 vcc_lo, 0, v32
	s_delay_alu instid0(VALU_DEP_3) | instskip(SKIP_2) | instid1(VALU_DEP_2)
	v_cndmask_b32_e32 v23, v23, v24, vcc_lo
	v_cndmask_b32_e32 v24, 0x3f490fdb, v22, vcc_lo
	s_and_b32 vcc_lo, s6, s33
	v_cndmask_b32_e64 v23, v23, v25, s7
	s_delay_alu instid0(VALU_DEP_1) | instskip(SKIP_1) | instid1(VALU_DEP_2)
	v_cndmask_b32_e32 v23, v23, v24, vcc_lo
	v_cmp_o_f32_e32 vcc_lo, v32, v31
	v_cndmask_b32_e64 v23, 0x7fc00000, |v23|, vcc_lo
.LBB63_369:                             ;   in Loop: Header=BB63_4 Depth=1
	s_or_b32 exec_lo, exec_lo, s31
	v_bfi_b32 v12, 0x7fffffff, v29, v12
	s_delay_alu instid0(VALU_DEP_2)
	v_bfi_b32 v11, 0x7fffffff, v23, v11
.LBB63_370:                             ;   in Loop: Header=BB63_4 Depth=1
	s_or_b32 exec_lo, exec_lo, s30
.LBB63_371:                             ;   in Loop: Header=BB63_4 Depth=1
	s_delay_alu instid0(SALU_CYCLE_1)
	s_or_b32 exec_lo, exec_lo, s29
                                        ; implicit-def: $vgpr23
                                        ; implicit-def: $vgpr25
                                        ; implicit-def: $vgpr24
.LBB63_372:                             ;   in Loop: Header=BB63_4 Depth=1
	s_and_not1_saveexec_b32 s28, s28
	s_cbranch_execz .LBB63_394
; %bb.373:                              ;   in Loop: Header=BB63_4 Depth=1
                                        ; implicit-def: $vgpr26
                                        ; implicit-def: $vgpr27
	s_mov_b32 s6, exec_lo
	v_cmpx_lt_i32_e32 -1, v12
	s_xor_b32 s29, exec_lo, s6
	s_cbranch_execz .LBB63_383
; %bb.374:                              ;   in Loop: Header=BB63_4 Depth=1
	v_cmp_lt_f32_e64 s6, |v12|, |v11|
                                        ; implicit-def: $vgpr26
                                        ; implicit-def: $vgpr27
	s_mov_b32 s7, exec_lo
	s_delay_alu instid0(VALU_DEP_1) | instskip(NEXT) | instid1(VALU_DEP_1)
	v_cndmask_b32_e64 v28, |v12|, |v11|, s6
	v_cmpx_nlt_f32_e32 0x7effffff, v28
	s_xor_b32 s30, exec_lo, s7
	s_cbranch_execz .LBB63_380
; %bb.375:                              ;   in Loop: Header=BB63_4 Depth=1
	v_cndmask_b32_e64 v29, |v11|, |v12|, s6
	v_cmp_nlt_f32_e32 vcc_lo, 0x5e000000, v28
                                        ; implicit-def: $vgpr26
                                        ; implicit-def: $vgpr27
	s_delay_alu instid0(VALU_DEP_2) | instskip(NEXT) | instid1(VALU_DEP_1)
	v_cmp_ngt_f32_e64 s7, 0x20000000, v29
	s_and_b32 s7, vcc_lo, s7
	s_delay_alu instid0(SALU_CYCLE_1) | instskip(NEXT) | instid1(SALU_CYCLE_1)
	s_and_saveexec_b32 s31, s7
	s_xor_b32 s31, exec_lo, s31
	s_cbranch_execz .LBB63_377
; %bb.376:                              ;   in Loop: Header=BB63_4 Depth=1
	s_waitcnt lgkmcnt(0)
	v_frexp_mant_f32_e32 v26, v24
	v_min_f32_e32 v23, v23, v25
	v_frexp_exp_i32_f32_e32 v24, v24
	s_delay_alu instid0(VALU_DEP_3) | instskip(SKIP_1) | instid1(VALU_DEP_1)
	v_rcp_f32_e32 v25, v26
	v_mul_f32_e32 v26, v29, v29
	v_fmac_f32_e32 v26, v28, v28
	v_frexp_mant_f32_e32 v27, v23
	v_frexp_exp_i32_f32_e32 v23, v23
	s_delay_alu instid0(VALU_DEP_3) | instskip(SKIP_4) | instid1(VALU_DEP_2)
	v_cmp_gt_f32_e32 vcc_lo, 0x800000, v26
	s_waitcnt_depctr 0xfff
	v_mul_f32_e32 v25, v27, v25
	v_sub_nc_u32_e32 v23, v23, v24
	v_cndmask_b32_e64 v24, 1.0, 0x4f800000, vcc_lo
	v_ldexp_f32 v27, v25, v23
	s_delay_alu instid0(VALU_DEP_1) | instskip(NEXT) | instid1(VALU_DEP_1)
	v_dual_mul_f32 v23, v26, v24 :: v_dual_mul_f32 v24, v27, v27
	v_log_f32_e32 v23, v23
	s_delay_alu instid0(VALU_DEP_1) | instskip(SKIP_3) | instid1(VALU_DEP_2)
	v_fmaak_f32 v25, s26, v24, 0xbc7a590c
	s_waitcnt_depctr 0xfff
	v_mul_f32_e32 v26, 0x3f317217, v23
	v_cmp_gt_f32_e64 s7, 0x7f800000, |v23|
	v_fma_f32 v28, 0x3f317217, v23, -v26
	s_delay_alu instid0(VALU_DEP_1) | instskip(NEXT) | instid1(VALU_DEP_1)
	v_fmac_f32_e32 v28, 0x3377d1cf, v23
	v_dual_fmaak_f32 v25, v24, v25, 0x3d29fb3f :: v_dual_add_f32 v26, v26, v28
	s_delay_alu instid0(VALU_DEP_1) | instskip(SKIP_1) | instid1(VALU_DEP_1)
	v_cndmask_b32_e64 v23, v23, v26, s7
	v_cndmask_b32_e64 v26, 0, 0x41b17218, vcc_lo
	v_sub_f32_e32 v23, v23, v26
	s_delay_alu instid0(VALU_DEP_1) | instskip(NEXT) | instid1(VALU_DEP_1)
	v_dual_fmaak_f32 v25, v24, v25, 0xbd97d4d7 :: v_dual_mul_f32 v26, 0.5, v23
	v_fmaak_f32 v25, v24, v25, 0x3dd931b2
                                        ; implicit-def: $vgpr23
	s_delay_alu instid0(VALU_DEP_1) | instskip(NEXT) | instid1(VALU_DEP_1)
	v_fmaak_f32 v25, v24, v25, 0xbe1160e6
	v_fmaak_f32 v25, v24, v25, 0x3e4cb8bf
	s_delay_alu instid0(VALU_DEP_1) | instskip(NEXT) | instid1(VALU_DEP_1)
	v_fmaak_f32 v25, v24, v25, 0xbeaaaa62
	v_mul_f32_e32 v24, v24, v25
                                        ; implicit-def: $vgpr25
	s_delay_alu instid0(VALU_DEP_1)
	v_fmac_f32_e32 v27, v27, v24
                                        ; implicit-def: $vgpr24
.LBB63_377:                             ;   in Loop: Header=BB63_4 Depth=1
	s_and_not1_saveexec_b32 s7, s31
	s_cbranch_execz .LBB63_379
; %bb.378:                              ;   in Loop: Header=BB63_4 Depth=1
	s_waitcnt lgkmcnt(0)
	v_cvt_f64_f32_e32 v[26:27], v24
	v_cmp_neq_f32_e32 vcc_lo, 0x7f800000, v24
	v_min_f32_e32 v23, v23, v25
	s_delay_alu instid0(VALU_DEP_1) | instskip(SKIP_2) | instid1(VALU_DEP_1)
	v_frexp_exp_i32_f32_e32 v29, v23
	v_frexp_mant_f32_e32 v23, v23
	v_frexp_exp_i32_f64_e32 v26, v[26:27]
	v_sub_nc_u32_e32 v27, 0, v26
	s_delay_alu instid0(VALU_DEP_1) | instskip(SKIP_1) | instid1(VALU_DEP_2)
	v_ldexp_f32 v28, |v11|, v27
	v_ldexp_f32 v27, |v12|, v27
	v_mul_f32_e32 v28, v28, v28
	s_delay_alu instid0(VALU_DEP_1) | instskip(SKIP_1) | instid1(VALU_DEP_2)
	v_fmac_f32_e32 v28, v27, v27
	v_frexp_mant_f32_e32 v27, v24
	v_sqrt_f32_e32 v28, v28
	s_delay_alu instid0(VALU_DEP_1) | instskip(SKIP_1) | instid1(VALU_DEP_1)
	v_rcp_f32_e32 v25, v27
	v_frexp_exp_i32_f32_e32 v27, v24
	v_sub_nc_u32_e32 v27, v29, v27
	s_waitcnt_depctr 0xfff
	v_ldexp_f32 v26, v28, v26
	s_delay_alu instid0(VALU_DEP_1) | instskip(NEXT) | instid1(VALU_DEP_1)
	v_dual_mul_f32 v23, v23, v25 :: v_dual_cndmask_b32 v24, 0x7f800000, v26
	v_ldexp_f32 v27, v23, v27
	s_delay_alu instid0(VALU_DEP_2) | instskip(SKIP_1) | instid1(VALU_DEP_1)
	v_cmp_gt_f32_e32 vcc_lo, 0x800000, v24
	v_cndmask_b32_e64 v23, 1.0, 0x4f800000, vcc_lo
	v_mul_f32_e32 v23, v24, v23
	s_delay_alu instid0(VALU_DEP_1) | instskip(SKIP_2) | instid1(VALU_DEP_1)
	v_log_f32_e32 v23, v23
	s_waitcnt_depctr 0xfff
	v_mul_f32_e32 v26, 0x3f317217, v23
	v_fma_f32 v28, 0x3f317217, v23, -v26
	s_delay_alu instid0(VALU_DEP_1) | instskip(NEXT) | instid1(VALU_DEP_1)
	v_fmac_f32_e32 v28, 0x3377d1cf, v23
	v_dual_mul_f32 v25, v27, v27 :: v_dual_add_f32 v26, v26, v28
	s_delay_alu instid0(VALU_DEP_1) | instskip(SKIP_2) | instid1(VALU_DEP_3)
	v_fmaak_f32 v24, s26, v25, 0xbc7a590c
	v_cndmask_b32_e64 v28, 0, 0x41b17218, vcc_lo
	v_cmp_gt_f32_e64 vcc_lo, 0x7f800000, |v23|
	v_dual_fmaak_f32 v24, v25, v24, 0x3d29fb3f :: v_dual_cndmask_b32 v23, v23, v26
	s_delay_alu instid0(VALU_DEP_1) | instskip(NEXT) | instid1(VALU_DEP_2)
	v_fmaak_f32 v24, v25, v24, 0xbd97d4d7
	v_sub_f32_e32 v26, v23, v28
	s_delay_alu instid0(VALU_DEP_2) | instskip(NEXT) | instid1(VALU_DEP_1)
	v_fmaak_f32 v24, v25, v24, 0x3dd931b2
	v_fmaak_f32 v24, v25, v24, 0xbe1160e6
	s_delay_alu instid0(VALU_DEP_1) | instskip(NEXT) | instid1(VALU_DEP_1)
	v_fmaak_f32 v24, v25, v24, 0x3e4cb8bf
	v_fmaak_f32 v24, v25, v24, 0xbeaaaa62
	s_delay_alu instid0(VALU_DEP_1) | instskip(NEXT) | instid1(VALU_DEP_1)
	v_mul_f32_e32 v24, v25, v24
	v_fmac_f32_e32 v27, v27, v24
.LBB63_379:                             ;   in Loop: Header=BB63_4 Depth=1
	s_or_b32 exec_lo, exec_lo, s7
                                        ; implicit-def: $vgpr23
                                        ; implicit-def: $vgpr25
                                        ; implicit-def: $vgpr24
.LBB63_380:                             ;   in Loop: Header=BB63_4 Depth=1
	s_and_not1_saveexec_b32 s30, s30
	s_cbranch_execz .LBB63_382
; %bb.381:                              ;   in Loop: Header=BB63_4 Depth=1
	v_div_scale_f32 v26, null, 0x402df854, 0x402df854, v12
	v_div_scale_f32 v27, null, 0x402df854, 0x402df854, v11
	v_div_scale_f32 v32, vcc_lo, v12, 0x402df854, v12
	s_delay_alu instid0(VALU_DEP_3) | instskip(NEXT) | instid1(VALU_DEP_2)
	v_rcp_f32_e32 v28, v26
	v_rcp_f32_e32 v29, v27
	v_min_f32_e32 v23, v23, v25
	s_waitcnt_depctr 0xfff
	v_fma_f32 v30, -v26, v28, 1.0
	v_fma_f32 v31, -v27, v29, 1.0
	s_delay_alu instid0(VALU_DEP_1) | instskip(SKIP_1) | instid1(VALU_DEP_2)
	v_dual_fmac_f32 v28, v30, v28 :: v_dual_fmac_f32 v29, v31, v29
	v_div_scale_f32 v30, s7, v11, 0x402df854, v11
	v_mul_f32_e32 v31, v32, v28
	s_delay_alu instid0(VALU_DEP_2) | instskip(NEXT) | instid1(VALU_DEP_2)
	v_mul_f32_e32 v33, v30, v29
	v_fma_f32 v34, -v26, v31, v32
	s_delay_alu instid0(VALU_DEP_2) | instskip(NEXT) | instid1(VALU_DEP_2)
	v_fma_f32 v35, -v27, v33, v30
	v_fmac_f32_e32 v31, v34, v28
	s_delay_alu instid0(VALU_DEP_2) | instskip(NEXT) | instid1(VALU_DEP_2)
	v_fmac_f32_e32 v33, v35, v29
	v_fma_f32 v26, -v26, v31, v32
	s_delay_alu instid0(VALU_DEP_2) | instskip(NEXT) | instid1(VALU_DEP_2)
	v_fma_f32 v27, -v27, v33, v30
	v_div_fmas_f32 v26, v26, v28, v31
	s_mov_b32 vcc_lo, s7
	s_delay_alu instid0(VALU_DEP_2) | instskip(NEXT) | instid1(VALU_DEP_2)
	v_div_fmas_f32 v27, v27, v29, v33
	v_div_fixup_f32 v28, v26, 0x402df854, v12
	s_delay_alu instid0(VALU_DEP_2) | instskip(NEXT) | instid1(VALU_DEP_1)
	v_div_fixup_f32 v29, v27, 0x402df854, v11
	v_max_f32_e64 v30, |v28|, |v29|
	s_delay_alu instid0(VALU_DEP_1) | instskip(SKIP_1) | instid1(VALU_DEP_2)
	v_cvt_f64_f32_e32 v[26:27], v30
	v_cmp_neq_f32_e32 vcc_lo, 0x7f800000, v30
	v_frexp_exp_i32_f64_e32 v26, v[26:27]
	s_delay_alu instid0(VALU_DEP_1) | instskip(NEXT) | instid1(VALU_DEP_1)
	v_sub_nc_u32_e32 v27, 0, v26
	v_ldexp_f32 v29, |v29|, v27
	v_ldexp_f32 v27, |v28|, v27
	s_delay_alu instid0(VALU_DEP_2) | instskip(NEXT) | instid1(VALU_DEP_1)
	v_mul_f32_e32 v28, v29, v29
	v_fmac_f32_e32 v28, v27, v27
	s_delay_alu instid0(VALU_DEP_1) | instskip(SKIP_3) | instid1(VALU_DEP_2)
	v_sqrt_f32_e32 v27, v28
	s_waitcnt lgkmcnt(0)
	v_frexp_mant_f32_e32 v28, v24
	v_frexp_exp_i32_f32_e32 v24, v24
	v_rcp_f32_e32 v25, v28
	s_waitcnt_depctr 0xfff
	v_ldexp_f32 v26, v27, v26
	v_frexp_exp_i32_f32_e32 v27, v23
	v_frexp_mant_f32_e32 v23, v23
	s_delay_alu instid0(VALU_DEP_3) | instskip(NEXT) | instid1(VALU_DEP_3)
	v_cndmask_b32_e32 v26, 0x7f800000, v26, vcc_lo
	v_sub_nc_u32_e32 v24, v27, v24
	s_delay_alu instid0(VALU_DEP_3) | instskip(NEXT) | instid1(VALU_DEP_3)
	v_mul_f32_e32 v23, v23, v25
	v_cmp_gt_f32_e32 vcc_lo, 0x800000, v26
	s_delay_alu instid0(VALU_DEP_2) | instskip(SKIP_1) | instid1(VALU_DEP_1)
	v_ldexp_f32 v27, v23, v24
	v_cndmask_b32_e64 v25, 1.0, 0x4f800000, vcc_lo
	v_dual_mul_f32 v24, v27, v27 :: v_dual_mul_f32 v23, v26, v25
	s_delay_alu instid0(VALU_DEP_1) | instskip(SKIP_2) | instid1(VALU_DEP_1)
	v_log_f32_e32 v23, v23
	s_waitcnt_depctr 0xfff
	v_mul_f32_e32 v26, 0x3f317217, v23
	v_fma_f32 v28, 0x3f317217, v23, -v26
	s_delay_alu instid0(VALU_DEP_1) | instskip(NEXT) | instid1(VALU_DEP_1)
	v_fmac_f32_e32 v28, 0x3377d1cf, v23
	v_add_f32_e32 v26, v26, v28
	v_cndmask_b32_e64 v28, 0, 0x41b17218, vcc_lo
	v_cmp_gt_f32_e64 vcc_lo, 0x7f800000, |v23|
	s_delay_alu instid0(VALU_DEP_3) | instskip(NEXT) | instid1(VALU_DEP_1)
	v_cndmask_b32_e32 v23, v23, v26, vcc_lo
	v_sub_f32_e32 v23, v23, v28
	s_delay_alu instid0(VALU_DEP_1) | instskip(NEXT) | instid1(VALU_DEP_1)
	v_dual_fmaak_f32 v25, s26, v24, 0xbc7a590c :: v_dual_add_f32 v26, 1.0, v23
	v_fmaak_f32 v25, v24, v25, 0x3d29fb3f
	s_delay_alu instid0(VALU_DEP_1) | instskip(NEXT) | instid1(VALU_DEP_1)
	v_fmaak_f32 v25, v24, v25, 0xbd97d4d7
	v_fmaak_f32 v25, v24, v25, 0x3dd931b2
	s_delay_alu instid0(VALU_DEP_1) | instskip(NEXT) | instid1(VALU_DEP_1)
	v_fmaak_f32 v25, v24, v25, 0xbe1160e6
	;; [unrolled: 3-line block ×3, first 2 shown]
	v_mul_f32_e32 v24, v24, v25
	s_delay_alu instid0(VALU_DEP_1)
	v_fmac_f32_e32 v27, v27, v24
.LBB63_382:                             ;   in Loop: Header=BB63_4 Depth=1
	s_or_b32 exec_lo, exec_lo, s30
	s_delay_alu instid0(VALU_DEP_1) | instskip(NEXT) | instid1(VALU_DEP_1)
	v_sub_f32_e32 v23, 0x3fc90fdb, v27
                                        ; implicit-def: $vgpr25
                                        ; implicit-def: $vgpr24
	v_cndmask_b32_e64 v27, v27, v23, s6
                                        ; implicit-def: $vgpr23
.LBB63_383:                             ;   in Loop: Header=BB63_4 Depth=1
	s_and_not1_saveexec_b32 s29, s29
	s_cbranch_execz .LBB63_393
; %bb.384:                              ;   in Loop: Header=BB63_4 Depth=1
	v_cmp_lt_f32_e64 s6, |v12|, |v11|
                                        ; implicit-def: $vgpr26
                                        ; implicit-def: $vgpr27
	s_mov_b32 s7, exec_lo
	s_delay_alu instid0(VALU_DEP_1) | instskip(NEXT) | instid1(VALU_DEP_1)
	v_cndmask_b32_e64 v28, |v12|, |v11|, s6
	v_cmpx_nlt_f32_e32 0x7effffff, v28
	s_xor_b32 s30, exec_lo, s7
	s_cbranch_execz .LBB63_390
; %bb.385:                              ;   in Loop: Header=BB63_4 Depth=1
	v_cndmask_b32_e64 v29, |v11|, |v12|, s6
	v_cmp_nlt_f32_e32 vcc_lo, 0x5e000000, v28
                                        ; implicit-def: $vgpr26
                                        ; implicit-def: $vgpr27
	s_delay_alu instid0(VALU_DEP_2) | instskip(NEXT) | instid1(VALU_DEP_1)
	v_cmp_ngt_f32_e64 s7, 0x20000000, v29
	s_and_b32 s7, vcc_lo, s7
	s_delay_alu instid0(SALU_CYCLE_1) | instskip(NEXT) | instid1(SALU_CYCLE_1)
	s_and_saveexec_b32 s31, s7
	s_xor_b32 s31, exec_lo, s31
	s_cbranch_execz .LBB63_387
; %bb.386:                              ;   in Loop: Header=BB63_4 Depth=1
	s_waitcnt lgkmcnt(0)
	v_frexp_mant_f32_e32 v26, v24
	v_min_f32_e32 v23, v23, v25
	v_frexp_exp_i32_f32_e32 v24, v24
	s_delay_alu instid0(VALU_DEP_3) | instskip(SKIP_1) | instid1(VALU_DEP_1)
	v_rcp_f32_e32 v25, v26
	v_mul_f32_e32 v26, v29, v29
	v_fmac_f32_e32 v26, v28, v28
	v_frexp_mant_f32_e32 v27, v23
	v_frexp_exp_i32_f32_e32 v23, v23
	s_delay_alu instid0(VALU_DEP_3) | instskip(SKIP_4) | instid1(VALU_DEP_2)
	v_cmp_gt_f32_e32 vcc_lo, 0x800000, v26
	s_waitcnt_depctr 0xfff
	v_mul_f32_e32 v25, v27, v25
	v_sub_nc_u32_e32 v23, v23, v24
	v_cndmask_b32_e64 v24, 1.0, 0x4f800000, vcc_lo
	v_ldexp_f32 v27, v25, v23
	s_delay_alu instid0(VALU_DEP_1) | instskip(NEXT) | instid1(VALU_DEP_1)
	v_dual_mul_f32 v23, v26, v24 :: v_dual_mul_f32 v24, v27, v27
	v_log_f32_e32 v23, v23
	s_delay_alu instid0(VALU_DEP_1) | instskip(SKIP_3) | instid1(VALU_DEP_2)
	v_fmaak_f32 v25, s26, v24, 0xbc7a590c
	s_waitcnt_depctr 0xfff
	v_mul_f32_e32 v26, 0x3f317217, v23
	v_cmp_gt_f32_e64 s7, 0x7f800000, |v23|
	v_fma_f32 v28, 0x3f317217, v23, -v26
	s_delay_alu instid0(VALU_DEP_1) | instskip(NEXT) | instid1(VALU_DEP_1)
	v_fmac_f32_e32 v28, 0x3377d1cf, v23
	v_dual_fmaak_f32 v25, v24, v25, 0x3d29fb3f :: v_dual_add_f32 v26, v26, v28
	s_delay_alu instid0(VALU_DEP_1) | instskip(SKIP_1) | instid1(VALU_DEP_1)
	v_cndmask_b32_e64 v23, v23, v26, s7
	v_cndmask_b32_e64 v26, 0, 0x41b17218, vcc_lo
	v_sub_f32_e32 v23, v23, v26
	s_delay_alu instid0(VALU_DEP_1) | instskip(NEXT) | instid1(VALU_DEP_1)
	v_dual_fmaak_f32 v25, v24, v25, 0xbd97d4d7 :: v_dual_mul_f32 v26, 0.5, v23
	v_fmaak_f32 v25, v24, v25, 0x3dd931b2
                                        ; implicit-def: $vgpr23
	s_delay_alu instid0(VALU_DEP_1) | instskip(NEXT) | instid1(VALU_DEP_1)
	v_fmaak_f32 v25, v24, v25, 0xbe1160e6
	v_fmaak_f32 v25, v24, v25, 0x3e4cb8bf
	s_delay_alu instid0(VALU_DEP_1) | instskip(NEXT) | instid1(VALU_DEP_1)
	v_fmaak_f32 v25, v24, v25, 0xbeaaaa62
	v_mul_f32_e32 v24, v24, v25
                                        ; implicit-def: $vgpr25
	s_delay_alu instid0(VALU_DEP_1)
	v_fmac_f32_e32 v27, v27, v24
                                        ; implicit-def: $vgpr24
.LBB63_387:                             ;   in Loop: Header=BB63_4 Depth=1
	s_and_not1_saveexec_b32 s7, s31
	s_cbranch_execz .LBB63_389
; %bb.388:                              ;   in Loop: Header=BB63_4 Depth=1
	s_waitcnt lgkmcnt(0)
	v_cvt_f64_f32_e32 v[26:27], v24
	v_cmp_neq_f32_e32 vcc_lo, 0x7f800000, v24
	v_min_f32_e32 v23, v23, v25
	s_delay_alu instid0(VALU_DEP_1) | instskip(SKIP_2) | instid1(VALU_DEP_1)
	v_frexp_exp_i32_f32_e32 v29, v23
	v_frexp_mant_f32_e32 v23, v23
	v_frexp_exp_i32_f64_e32 v26, v[26:27]
	v_sub_nc_u32_e32 v27, 0, v26
	s_delay_alu instid0(VALU_DEP_1) | instskip(SKIP_1) | instid1(VALU_DEP_2)
	v_ldexp_f32 v28, |v11|, v27
	v_ldexp_f32 v27, |v12|, v27
	v_mul_f32_e32 v28, v28, v28
	s_delay_alu instid0(VALU_DEP_1) | instskip(SKIP_1) | instid1(VALU_DEP_2)
	v_fmac_f32_e32 v28, v27, v27
	v_frexp_mant_f32_e32 v27, v24
	v_sqrt_f32_e32 v28, v28
	s_delay_alu instid0(VALU_DEP_1) | instskip(SKIP_1) | instid1(VALU_DEP_1)
	v_rcp_f32_e32 v25, v27
	v_frexp_exp_i32_f32_e32 v27, v24
	v_sub_nc_u32_e32 v27, v29, v27
	s_waitcnt_depctr 0xfff
	v_ldexp_f32 v26, v28, v26
	s_delay_alu instid0(VALU_DEP_1) | instskip(NEXT) | instid1(VALU_DEP_1)
	v_dual_mul_f32 v23, v23, v25 :: v_dual_cndmask_b32 v24, 0x7f800000, v26
	v_ldexp_f32 v27, v23, v27
	s_delay_alu instid0(VALU_DEP_2) | instskip(SKIP_1) | instid1(VALU_DEP_1)
	v_cmp_gt_f32_e32 vcc_lo, 0x800000, v24
	v_cndmask_b32_e64 v23, 1.0, 0x4f800000, vcc_lo
	v_mul_f32_e32 v23, v24, v23
	s_delay_alu instid0(VALU_DEP_1) | instskip(SKIP_2) | instid1(VALU_DEP_1)
	v_log_f32_e32 v23, v23
	s_waitcnt_depctr 0xfff
	v_mul_f32_e32 v26, 0x3f317217, v23
	v_fma_f32 v28, 0x3f317217, v23, -v26
	s_delay_alu instid0(VALU_DEP_1) | instskip(NEXT) | instid1(VALU_DEP_1)
	v_fmac_f32_e32 v28, 0x3377d1cf, v23
	v_dual_mul_f32 v25, v27, v27 :: v_dual_add_f32 v26, v26, v28
	s_delay_alu instid0(VALU_DEP_1) | instskip(SKIP_2) | instid1(VALU_DEP_3)
	v_fmaak_f32 v24, s26, v25, 0xbc7a590c
	v_cndmask_b32_e64 v28, 0, 0x41b17218, vcc_lo
	v_cmp_gt_f32_e64 vcc_lo, 0x7f800000, |v23|
	v_dual_fmaak_f32 v24, v25, v24, 0x3d29fb3f :: v_dual_cndmask_b32 v23, v23, v26
	s_delay_alu instid0(VALU_DEP_1) | instskip(NEXT) | instid1(VALU_DEP_2)
	v_fmaak_f32 v24, v25, v24, 0xbd97d4d7
	v_sub_f32_e32 v26, v23, v28
	s_delay_alu instid0(VALU_DEP_2) | instskip(NEXT) | instid1(VALU_DEP_1)
	v_fmaak_f32 v24, v25, v24, 0x3dd931b2
	v_fmaak_f32 v24, v25, v24, 0xbe1160e6
	s_delay_alu instid0(VALU_DEP_1) | instskip(NEXT) | instid1(VALU_DEP_1)
	v_fmaak_f32 v24, v25, v24, 0x3e4cb8bf
	v_fmaak_f32 v24, v25, v24, 0xbeaaaa62
	s_delay_alu instid0(VALU_DEP_1) | instskip(NEXT) | instid1(VALU_DEP_1)
	v_mul_f32_e32 v24, v25, v24
	v_fmac_f32_e32 v27, v27, v24
.LBB63_389:                             ;   in Loop: Header=BB63_4 Depth=1
	s_or_b32 exec_lo, exec_lo, s7
                                        ; implicit-def: $vgpr23
                                        ; implicit-def: $vgpr25
                                        ; implicit-def: $vgpr24
.LBB63_390:                             ;   in Loop: Header=BB63_4 Depth=1
	s_and_not1_saveexec_b32 s30, s30
	s_cbranch_execz .LBB63_392
; %bb.391:                              ;   in Loop: Header=BB63_4 Depth=1
	v_div_scale_f32 v26, null, 0xc02df854, 0xc02df854, v12
	v_div_scale_f32 v27, null, 0xc02df854, 0xc02df854, v11
	v_div_scale_f32 v32, vcc_lo, v12, 0xc02df854, v12
	s_delay_alu instid0(VALU_DEP_3) | instskip(NEXT) | instid1(VALU_DEP_2)
	v_rcp_f32_e32 v28, v26
	v_rcp_f32_e32 v29, v27
	v_min_f32_e32 v23, v23, v25
	s_waitcnt_depctr 0xfff
	v_fma_f32 v30, -v26, v28, 1.0
	v_fma_f32 v31, -v27, v29, 1.0
	s_delay_alu instid0(VALU_DEP_1) | instskip(SKIP_1) | instid1(VALU_DEP_2)
	v_dual_fmac_f32 v28, v30, v28 :: v_dual_fmac_f32 v29, v31, v29
	v_div_scale_f32 v30, s7, v11, 0xc02df854, v11
	v_mul_f32_e32 v31, v32, v28
	s_delay_alu instid0(VALU_DEP_2) | instskip(NEXT) | instid1(VALU_DEP_2)
	v_mul_f32_e32 v33, v30, v29
	v_fma_f32 v34, -v26, v31, v32
	s_delay_alu instid0(VALU_DEP_2) | instskip(NEXT) | instid1(VALU_DEP_2)
	v_fma_f32 v35, -v27, v33, v30
	v_fmac_f32_e32 v31, v34, v28
	s_delay_alu instid0(VALU_DEP_2) | instskip(NEXT) | instid1(VALU_DEP_2)
	v_fmac_f32_e32 v33, v35, v29
	v_fma_f32 v26, -v26, v31, v32
	s_delay_alu instid0(VALU_DEP_2) | instskip(NEXT) | instid1(VALU_DEP_2)
	v_fma_f32 v27, -v27, v33, v30
	v_div_fmas_f32 v26, v26, v28, v31
	s_mov_b32 vcc_lo, s7
	s_delay_alu instid0(VALU_DEP_2) | instskip(NEXT) | instid1(VALU_DEP_2)
	v_div_fmas_f32 v27, v27, v29, v33
	v_div_fixup_f32 v28, v26, 0xc02df854, v12
	s_delay_alu instid0(VALU_DEP_2) | instskip(NEXT) | instid1(VALU_DEP_1)
	v_div_fixup_f32 v29, v27, 0xc02df854, v11
	v_max_f32_e64 v30, |v28|, |v29|
	s_delay_alu instid0(VALU_DEP_1) | instskip(SKIP_1) | instid1(VALU_DEP_2)
	v_cvt_f64_f32_e32 v[26:27], v30
	v_cmp_neq_f32_e32 vcc_lo, 0x7f800000, v30
	v_frexp_exp_i32_f64_e32 v26, v[26:27]
	s_delay_alu instid0(VALU_DEP_1) | instskip(NEXT) | instid1(VALU_DEP_1)
	v_sub_nc_u32_e32 v27, 0, v26
	v_ldexp_f32 v29, |v29|, v27
	v_ldexp_f32 v27, |v28|, v27
	s_delay_alu instid0(VALU_DEP_2) | instskip(NEXT) | instid1(VALU_DEP_1)
	v_mul_f32_e32 v28, v29, v29
	v_fmac_f32_e32 v28, v27, v27
	s_delay_alu instid0(VALU_DEP_1) | instskip(SKIP_3) | instid1(VALU_DEP_2)
	v_sqrt_f32_e32 v27, v28
	s_waitcnt lgkmcnt(0)
	v_frexp_mant_f32_e32 v28, v24
	v_frexp_exp_i32_f32_e32 v24, v24
	v_rcp_f32_e32 v25, v28
	s_waitcnt_depctr 0xfff
	v_ldexp_f32 v26, v27, v26
	v_frexp_exp_i32_f32_e32 v27, v23
	v_frexp_mant_f32_e32 v23, v23
	s_delay_alu instid0(VALU_DEP_3) | instskip(NEXT) | instid1(VALU_DEP_3)
	v_cndmask_b32_e32 v26, 0x7f800000, v26, vcc_lo
	v_sub_nc_u32_e32 v24, v27, v24
	s_delay_alu instid0(VALU_DEP_3) | instskip(NEXT) | instid1(VALU_DEP_3)
	v_mul_f32_e32 v23, v23, v25
	v_cmp_gt_f32_e32 vcc_lo, 0x800000, v26
	s_delay_alu instid0(VALU_DEP_2) | instskip(SKIP_1) | instid1(VALU_DEP_1)
	v_ldexp_f32 v27, v23, v24
	v_cndmask_b32_e64 v25, 1.0, 0x4f800000, vcc_lo
	v_dual_mul_f32 v24, v27, v27 :: v_dual_mul_f32 v23, v26, v25
	s_delay_alu instid0(VALU_DEP_1) | instskip(SKIP_2) | instid1(VALU_DEP_1)
	v_log_f32_e32 v23, v23
	s_waitcnt_depctr 0xfff
	v_mul_f32_e32 v26, 0x3f317217, v23
	v_fma_f32 v28, 0x3f317217, v23, -v26
	s_delay_alu instid0(VALU_DEP_1) | instskip(NEXT) | instid1(VALU_DEP_1)
	v_fmac_f32_e32 v28, 0x3377d1cf, v23
	v_add_f32_e32 v26, v26, v28
	v_cndmask_b32_e64 v28, 0, 0x41b17218, vcc_lo
	v_cmp_gt_f32_e64 vcc_lo, 0x7f800000, |v23|
	s_delay_alu instid0(VALU_DEP_3) | instskip(NEXT) | instid1(VALU_DEP_1)
	v_cndmask_b32_e32 v23, v23, v26, vcc_lo
	v_sub_f32_e32 v23, v23, v28
	s_delay_alu instid0(VALU_DEP_1) | instskip(NEXT) | instid1(VALU_DEP_1)
	v_dual_fmaak_f32 v25, s26, v24, 0xbc7a590c :: v_dual_add_f32 v26, 1.0, v23
	v_fmaak_f32 v25, v24, v25, 0x3d29fb3f
	s_delay_alu instid0(VALU_DEP_1) | instskip(NEXT) | instid1(VALU_DEP_1)
	v_fmaak_f32 v25, v24, v25, 0xbd97d4d7
	v_fmaak_f32 v25, v24, v25, 0x3dd931b2
	s_delay_alu instid0(VALU_DEP_1) | instskip(NEXT) | instid1(VALU_DEP_1)
	v_fmaak_f32 v25, v24, v25, 0xbe1160e6
	;; [unrolled: 3-line block ×3, first 2 shown]
	v_mul_f32_e32 v24, v24, v25
	s_delay_alu instid0(VALU_DEP_1)
	v_fmac_f32_e32 v27, v27, v24
.LBB63_392:                             ;   in Loop: Header=BB63_4 Depth=1
	s_or_b32 exec_lo, exec_lo, s30
	s_delay_alu instid0(VALU_DEP_1) | instskip(NEXT) | instid1(VALU_DEP_1)
	v_sub_f32_e32 v23, 0x3fc90fdb, v27
	v_cndmask_b32_e64 v27, v27, v23, s6
.LBB63_393:                             ;   in Loop: Header=BB63_4 Depth=1
	s_or_b32 exec_lo, exec_lo, s29
	v_cmp_neq_f32_e32 vcc_lo, 0, v11
	v_cmp_class_f32_e64 s6, v12, 0x204
	v_cmp_class_f32_e64 s7, v11, 0x204
	s_waitcnt lgkmcnt(0)
	v_dual_add_f32 v24, 0x3f317218, v26 :: v_dual_cndmask_b32 v23, 0, v27
	v_cmp_o_f32_e32 vcc_lo, v11, v12
	s_delay_alu instid0(VALU_DEP_3) | instskip(NEXT) | instid1(VALU_DEP_2)
	s_and_b32 s6, s6, s7
	v_bfi_b32 v12, 0x7fffffff, v24, v12
	s_delay_alu instid0(VALU_DEP_3) | instskip(NEXT) | instid1(VALU_DEP_1)
	v_cndmask_b32_e64 v23, v23, 0x3f490fdb, s6
	v_cndmask_b32_e32 v23, 0x7fc00000, v23, vcc_lo
	s_delay_alu instid0(VALU_DEP_1)
	v_bfi_b32 v11, 0x7fffffff, v23, v11
.LBB63_394:                             ;   in Loop: Header=BB63_4 Depth=1
	s_or_b32 exec_lo, exec_lo, s28
	s_and_not1_saveexec_b32 s6, s27
	s_cbranch_execz .LBB63_308
.LBB63_395:                             ;   in Loop: Header=BB63_4 Depth=1
	v_cmp_neq_f32_e64 s7, 0x7f800000, |v12|
                                        ; implicit-def: $vgpr23
                                        ; implicit-def: $vgpr24
	s_delay_alu instid0(VALU_DEP_1) | instskip(NEXT) | instid1(SALU_CYCLE_1)
	s_and_saveexec_b32 s27, s7
	s_xor_b32 s7, exec_lo, s27
	s_cbranch_execz .LBB63_405
; %bb.396:                              ;   in Loop: Header=BB63_4 Depth=1
	v_cmp_neq_f32_e64 s27, 0x7f800000, |v11|
                                        ; implicit-def: $vgpr23
                                        ; implicit-def: $vgpr24
	s_delay_alu instid0(VALU_DEP_1) | instskip(NEXT) | instid1(SALU_CYCLE_1)
	s_and_saveexec_b32 s28, s27
	s_xor_b32 s27, exec_lo, s28
	s_cbranch_execz .LBB63_402
; %bb.397:                              ;   in Loop: Header=BB63_4 Depth=1
	s_mov_b32 s28, exec_lo
                                        ; implicit-def: $vgpr23
	v_cmpx_neq_f32_e32 0, v11
	s_xor_b32 s28, exec_lo, s28
; %bb.398:                              ;   in Loop: Header=BB63_4 Depth=1
	v_add_f32_e32 v12, 0, v12
	s_delay_alu instid0(VALU_DEP_1)
	v_add_f32_e32 v23, v11, v12
                                        ; implicit-def: $vgpr12
; %bb.399:                              ;   in Loop: Header=BB63_4 Depth=1
	s_or_saveexec_b32 s28, s28
	s_waitcnt lgkmcnt(0)
	s_delay_alu instid0(VALU_DEP_1)
	v_mov_b32_e32 v24, v23
	s_xor_b32 exec_lo, exec_lo, s28
; %bb.400:                              ;   in Loop: Header=BB63_4 Depth=1
	v_dual_add_f32 v24, v12, v12 :: v_dual_mov_b32 v23, v11
; %bb.401:                              ;   in Loop: Header=BB63_4 Depth=1
	s_or_b32 exec_lo, exec_lo, s28
                                        ; implicit-def: $vgpr12
.LBB63_402:                             ;   in Loop: Header=BB63_4 Depth=1
	s_and_not1_saveexec_b32 s27, s27
	s_cbranch_execz .LBB63_404
; %bb.403:                              ;   in Loop: Header=BB63_4 Depth=1
	s_waitcnt lgkmcnt(0)
	v_dual_add_f32 v23, v12, v12 :: v_dual_mov_b32 v24, v11
.LBB63_404:                             ;   in Loop: Header=BB63_4 Depth=1
	s_or_b32 exec_lo, exec_lo, s27
                                        ; implicit-def: $vgpr11
.LBB63_405:                             ;   in Loop: Header=BB63_4 Depth=1
	s_and_not1_saveexec_b32 s7, s7
	s_cbranch_execz .LBB63_407
; %bb.406:                              ;   in Loop: Header=BB63_4 Depth=1
	s_waitcnt lgkmcnt(0)
	v_dual_add_f32 v23, v11, v11 :: v_dual_mov_b32 v24, v12
.LBB63_407:                             ;   in Loop: Header=BB63_4 Depth=1
	s_or_b32 exec_lo, exec_lo, s7
	s_waitcnt lgkmcnt(0)
	s_delay_alu instid0(VALU_DEP_1) | instskip(SKIP_2) | instid1(SALU_CYCLE_1)
	v_dual_mov_b32 v12, v24 :: v_dual_mov_b32 v11, v23
	s_or_b32 exec_lo, exec_lo, s6
	s_and_saveexec_b32 s6, s2
	s_xor_b32 s2, exec_lo, s6
	s_cbranch_execz .LBB63_309
.LBB63_408:                             ;   in Loop: Header=BB63_4 Depth=1
	v_add_co_u32 v23, s6, s20, v1
	s_waitcnt lgkmcnt(0)
	v_add_co_ci_u32_e64 v24, null, s21, 0, s6
	global_store_b64 v[23:24], v[7:8], off
	s_or_b32 exec_lo, exec_lo, s2
	s_and_saveexec_b32 s2, s3
	s_cbranch_execz .LBB63_310
.LBB63_409:                             ;   in Loop: Header=BB63_4 Depth=1
	v_add_co_u32 v7, s3, s20, v16
	s_delay_alu instid0(VALU_DEP_1)
	v_add_co_ci_u32_e64 v8, null, s21, 0, s3
	global_store_b64 v[7:8], v[9:10], off
	s_or_b32 exec_lo, exec_lo, s2
	s_and_saveexec_b32 s2, s4
	s_cbranch_execz .LBB63_311
.LBB63_410:                             ;   in Loop: Header=BB63_4 Depth=1
	v_add_co_u32 v7, vcc_lo, s20, v18
	v_add_co_ci_u32_e32 v8, vcc_lo, s21, v17, vcc_lo
	global_store_b64 v[7:8], v[5:6], off offset:-4
	s_or_b32 exec_lo, exec_lo, s2
	s_and_saveexec_b32 s2, s5
	s_cbranch_execz .LBB63_3
.LBB63_411:                             ;   in Loop: Header=BB63_4 Depth=1
	v_add_co_u32 v5, vcc_lo, s20, v3
	v_add_co_ci_u32_e32 v6, vcc_lo, s21, v4, vcc_lo
	global_store_b64 v[5:6], v[11:12], off offset:-4
	s_branch .LBB63_3
.LBB63_412:
	s_cbranch_execz .LBB63_414
	s_branch .LBB63_809
.LBB63_413:
.LBB63_414:
	v_dual_mov_b32 v2, 0 :: v_dual_lshlrev_b32 v1, 2, v0
	s_mov_b32 s12, 0
	s_mov_b32 s2, exec_lo
	s_delay_alu instid0(VALU_DEP_1)
	v_cmpx_gt_i64_e64 s[10:11], v[1:2]
	s_cbranch_execz .LBB63_809
; %bb.415:
	v_dual_mov_b32 v1, v2 :: v_dual_mov_b32 v16, 0xd800000
	v_mov_b32_e32 v17, 0x4016cbe4
	s_mov_b64 s[4:5], src_private_base
	s_add_u32 s2, s0, 0xd30
	s_addc_u32 s3, s1, 0
	s_mov_b32 s4, 0
	s_mov_b32 s6, 4
	;; [unrolled: 1-line block ×6, first 2 shown]
	s_branch .LBB63_418
.LBB63_416:                             ;   in Loop: Header=BB63_418 Depth=1
	s_or_b32 exec_lo, exec_lo, s1
.LBB63_417:                             ;   in Loop: Header=BB63_418 Depth=1
	s_delay_alu instid0(SALU_CYCLE_1)
	s_or_b32 exec_lo, exec_lo, s0
	s_clause 0x1
	global_store_b128 v[14:15], v[6:9], off
	global_store_b128 v[14:15], v[10:13], off offset:16
	s_load_b32 s0, s[2:3], 0xc
	s_waitcnt lgkmcnt(0)
	s_and_b32 s0, s0, 0xffff
	s_delay_alu instid0(SALU_CYCLE_1) | instskip(SKIP_1) | instid1(VALU_DEP_1)
	v_add_co_u32 v0, vcc_lo, v0, s0
	v_add_co_ci_u32_e32 v1, vcc_lo, 0, v1, vcc_lo
	v_lshlrev_b64 v[2:3], 2, v[0:1]
	s_delay_alu instid0(VALU_DEP_1) | instskip(SKIP_1) | instid1(VALU_DEP_1)
	v_cmp_le_i64_e32 vcc_lo, s[10:11], v[2:3]
	v_cmp_lt_u64_e64 s0, 0xffff, v[2:3]
	s_or_b32 s0, vcc_lo, s0
	s_delay_alu instid0(SALU_CYCLE_1) | instskip(NEXT) | instid1(SALU_CYCLE_1)
	s_and_b32 s0, exec_lo, s0
	s_or_b32 s12, s0, s12
	s_delay_alu instid0(SALU_CYCLE_1)
	s_and_not1_b32 exec_lo, exec_lo, s12
	s_cbranch_execz .LBB63_809
.LBB63_418:                             ; =>This Inner Loop Header: Depth=1
	v_lshlrev_b64 v[2:3], 5, v[0:1]
                                        ; implicit-def: $vgpr6
	s_delay_alu instid0(VALU_DEP_1) | instskip(NEXT) | instid1(VALU_DEP_2)
	v_add_co_u32 v14, vcc_lo, s8, v2
	v_add_co_ci_u32_e32 v15, vcc_lo, s9, v3, vcc_lo
	s_clause 0x1
	global_load_b128 v[10:13], v[14:15], off
	global_load_b128 v[2:5], v[14:15], off offset:16
	s_waitcnt vmcnt(1)
	v_cmp_o_f32_e32 vcc_lo, v11, v11
	v_cmp_o_f32_e64 s0, v10, v10
	s_delay_alu instid0(VALU_DEP_1) | instskip(NEXT) | instid1(SALU_CYCLE_1)
	s_and_b32 s0, vcc_lo, s0
	s_and_saveexec_b32 s1, s0
	s_delay_alu instid0(SALU_CYCLE_1)
	s_xor_b32 s16, exec_lo, s1
	s_cbranch_execz .LBB63_502
; %bb.419:                              ;   in Loop: Header=BB63_418 Depth=1
	v_max_f32_e64 v9, |v11|, |v11|
	v_max_f32_e64 v18, |v10|, |v10|
                                        ; implicit-def: $vgpr6
	s_mov_b32 s0, exec_lo
	s_delay_alu instid0(VALU_DEP_1) | instskip(NEXT) | instid1(VALU_DEP_1)
	v_max_f32_e32 v8, v18, v9
	v_cmpx_nlt_f32_e32 0x4b000000, v8
	s_xor_b32 s17, exec_lo, s0
	s_cbranch_execz .LBB63_479
; %bb.420:                              ;   in Loop: Header=BB63_418 Depth=1
	v_cmp_neq_f32_e32 vcc_lo, 0, v11
	v_cmp_neq_f32_e64 s0, 0, v10
	v_dual_mov_b32 v6, v10 :: v_dual_mov_b32 v7, v11
	s_delay_alu instid0(VALU_DEP_2) | instskip(NEXT) | instid1(SALU_CYCLE_1)
	s_or_b32 s0, vcc_lo, s0
	s_and_saveexec_b32 s18, s0
	s_cbranch_execz .LBB63_478
; %bb.421:                              ;   in Loop: Header=BB63_418 Depth=1
	v_dual_mov_b32 v7, s5 :: v_dual_mov_b32 v6, s4
	v_cmp_ngt_f32_e64 s0, 0x395db3d7, |v11|
	v_cmp_ngt_f32_e64 s1, 0x395db3d7, |v10|
	flat_store_b32 v[6:7], v16 dlc
	s_waitcnt_vscnt null, 0x0
	flat_load_b32 v6, v[6:7] glc dlc
	s_waitcnt vmcnt(0)
	s_or_b32 s0, s1, s0
	s_waitcnt lgkmcnt(0)
	v_add_f32_e32 v8, 1.0, v6
	v_dual_mov_b32 v6, s6 :: v_dual_mov_b32 v7, s7
	flat_store_b32 v[6:7], v8 dlc
	s_waitcnt_vscnt null, 0x0
	flat_load_b32 v6, v[6:7] glc dlc
	s_waitcnt vmcnt(0) lgkmcnt(0)
	v_dual_mov_b32 v7, v11 :: v_dual_mov_b32 v6, v10
	s_and_saveexec_b32 s19, s0
	s_cbranch_execz .LBB63_477
; %bb.422:                              ;   in Loop: Header=BB63_418 Depth=1
	v_add_f32_e64 v8, |v10|, 1.0
	v_add_f32_e64 v7, |v10|, -1.0
	s_mov_b32 s0, exec_lo
	s_delay_alu instid0(VALU_DEP_2) | instskip(NEXT) | instid1(VALU_DEP_2)
	v_max_f32_e64 v6, v9, |v8|
	v_max_f32_e64 v9, v9, |v7|
	s_delay_alu instid0(VALU_DEP_2) | instskip(NEXT) | instid1(VALU_DEP_2)
	v_cvt_f64_f32_e32 v[18:19], v6
	v_cvt_f64_f32_e32 v[20:21], v9
	v_cmp_neq_f32_e32 vcc_lo, 0x7f800000, v6
	s_delay_alu instid0(VALU_DEP_3) | instskip(NEXT) | instid1(VALU_DEP_3)
	v_frexp_exp_i32_f64_e32 v18, v[18:19]
	v_frexp_exp_i32_f64_e32 v19, v[20:21]
	s_delay_alu instid0(VALU_DEP_2) | instskip(NEXT) | instid1(VALU_DEP_2)
	v_sub_nc_u32_e32 v20, 0, v18
	v_sub_nc_u32_e32 v21, 0, v19
	s_delay_alu instid0(VALU_DEP_2) | instskip(NEXT) | instid1(VALU_DEP_2)
	v_ldexp_f32 v22, |v8|, v20
	v_ldexp_f32 v23, |v7|, v21
	;; [unrolled: 1-line block ×4, first 2 shown]
	s_delay_alu instid0(VALU_DEP_3) | instskip(NEXT) | instid1(VALU_DEP_1)
	v_dual_mul_f32 v22, v22, v22 :: v_dual_mul_f32 v23, v23, v23
	v_dual_fmac_f32 v22, v20, v20 :: v_dual_fmac_f32 v23, v21, v21
	s_delay_alu instid0(VALU_DEP_1) | instskip(NEXT) | instid1(VALU_DEP_1)
	v_sqrt_f32_e32 v20, v22
	v_sqrt_f32_e32 v21, v23
	s_waitcnt_depctr 0xfff
	v_ldexp_f32 v18, v20, v18
	v_ldexp_f32 v20, v21, v19
	s_delay_alu instid0(VALU_DEP_2) | instskip(SKIP_1) | instid1(VALU_DEP_3)
	v_cndmask_b32_e32 v19, 0x7f800000, v18, vcc_lo
	v_cmp_neq_f32_e32 vcc_lo, 0x7f800000, v9
	v_cndmask_b32_e32 v9, 0x7f800000, v20, vcc_lo
                                        ; implicit-def: $vgpr20
	s_delay_alu instid0(VALU_DEP_1) | instskip(NEXT) | instid1(VALU_DEP_1)
	v_add_f32_e32 v6, v19, v9
	v_mul_f32_e32 v6, 0.5, v6
	s_delay_alu instid0(VALU_DEP_1) | instskip(SKIP_1) | instid1(VALU_DEP_1)
	v_cmp_ngt_f32_e32 vcc_lo, 1.0, v6
	v_cndmask_b32_e32 v6, 1.0, v6, vcc_lo
	v_cmpx_ngt_f32_e32 0x41200000, v6
	s_xor_b32 s1, exec_lo, s0
	s_cbranch_execz .LBB63_424
; %bb.423:                              ;   in Loop: Header=BB63_418 Depth=1
	v_fma_f32 v18, v6, v6, -1.0
	s_delay_alu instid0(VALU_DEP_1) | instskip(SKIP_1) | instid1(VALU_DEP_2)
	v_mul_f32_e32 v20, 0x4f800000, v18
	v_cmp_gt_f32_e32 vcc_lo, 0xf800000, v18
	v_cndmask_b32_e32 v18, v18, v20, vcc_lo
	s_delay_alu instid0(VALU_DEP_1) | instskip(SKIP_3) | instid1(VALU_DEP_2)
	v_sqrt_f32_e32 v20, v18
	s_waitcnt_depctr 0xfff
	v_add_nc_u32_e32 v21, -1, v20
	v_add_nc_u32_e32 v22, 1, v20
	v_fma_f32 v23, -v21, v20, v18
	s_delay_alu instid0(VALU_DEP_2) | instskip(NEXT) | instid1(VALU_DEP_2)
	v_fma_f32 v24, -v22, v20, v18
	v_cmp_ge_f32_e64 s0, 0, v23
	s_delay_alu instid0(VALU_DEP_1) | instskip(NEXT) | instid1(VALU_DEP_3)
	v_cndmask_b32_e64 v20, v20, v21, s0
	v_cmp_lt_f32_e64 s0, 0, v24
	s_delay_alu instid0(VALU_DEP_1) | instskip(NEXT) | instid1(VALU_DEP_1)
	v_cndmask_b32_e64 v20, v20, v22, s0
	v_mul_f32_e32 v21, 0x37800000, v20
	s_delay_alu instid0(VALU_DEP_1) | instskip(SKIP_1) | instid1(VALU_DEP_2)
	v_cndmask_b32_e32 v20, v20, v21, vcc_lo
	v_cmp_class_f32_e64 vcc_lo, v18, 0x260
	v_cndmask_b32_e32 v18, v20, v18, vcc_lo
	s_delay_alu instid0(VALU_DEP_1) | instskip(NEXT) | instid1(VALU_DEP_1)
	v_add_f32_e32 v18, v6, v18
	v_cmp_gt_f32_e32 vcc_lo, 0x800000, v18
	s_delay_alu instid0(VALU_DEP_4) | instskip(NEXT) | instid1(VALU_DEP_1)
	v_cndmask_b32_e64 v20, 1.0, 0x4f800000, vcc_lo
	v_mul_f32_e32 v18, v18, v20
	s_delay_alu instid0(VALU_DEP_1) | instskip(SKIP_3) | instid1(VALU_DEP_2)
	v_log_f32_e32 v18, v18
	s_waitcnt_depctr 0xfff
	v_mul_f32_e32 v20, 0x3f317217, v18
	v_cmp_gt_f32_e64 s0, 0x7f800000, |v18|
	v_fma_f32 v21, 0x3f317217, v18, -v20
	s_delay_alu instid0(VALU_DEP_1) | instskip(NEXT) | instid1(VALU_DEP_1)
	v_fmac_f32_e32 v21, 0x3377d1cf, v18
	v_add_f32_e32 v20, v20, v21
	s_delay_alu instid0(VALU_DEP_1) | instskip(SKIP_1) | instid1(VALU_DEP_1)
	v_cndmask_b32_e64 v18, v18, v20, s0
	v_cndmask_b32_e64 v20, 0, 0x41b17218, vcc_lo
	v_sub_f32_e32 v20, v18, v20
.LBB63_424:                             ;   in Loop: Header=BB63_418 Depth=1
	s_or_saveexec_b32 s1, s1
	v_and_b32_e32 v18, 0x7fffffff, v11
	s_xor_b32 exec_lo, exec_lo, s1
	s_cbranch_execz .LBB63_446
; %bb.425:                              ;   in Loop: Header=BB63_418 Depth=1
	v_cmp_neq_f32_e64 s0, |v10|, 1.0
	v_cmp_ngt_f32_e64 s20, 0x25000000, |v11|
                                        ; implicit-def: $vgpr20
	s_delay_alu instid0(VALU_DEP_1) | instskip(NEXT) | instid1(SALU_CYCLE_1)
	s_or_b32 s0, s0, s20
	s_and_saveexec_b32 s20, s0
	s_delay_alu instid0(SALU_CYCLE_1)
	s_xor_b32 s20, exec_lo, s20
	s_cbranch_execz .LBB63_443
; %bb.426:                              ;   in Loop: Header=BB63_418 Depth=1
	v_mul_f32_e64 v20, 0x34000000, |v7|
	s_delay_alu instid0(VALU_DEP_1) | instskip(NEXT) | instid1(VALU_DEP_1)
	v_cmp_le_f32_e64 s0, v20, |v11|
                                        ; implicit-def: $vgpr20
	s_and_saveexec_b32 s21, s0
	s_delay_alu instid0(SALU_CYCLE_1)
	s_xor_b32 s21, exec_lo, s21
	s_cbranch_execz .LBB63_436
; %bb.427:                              ;   in Loop: Header=BB63_418 Depth=1
	v_mov_b32_e32 v20, v18
	s_mov_b32 s0, exec_lo
	v_cmpx_neq_f32_e32 0, v8
	s_cbranch_execz .LBB63_429
; %bb.428:                              ;   in Loop: Header=BB63_418 Depth=1
	v_mul_f32_e32 v20, v11, v11
	v_add_f32_e32 v21, v8, v19
	s_delay_alu instid0(VALU_DEP_1) | instskip(NEXT) | instid1(VALU_DEP_1)
	v_div_scale_f32 v22, null, v21, v21, v20
	v_rcp_f32_e32 v23, v22
	s_waitcnt_depctr 0xfff
	v_fma_f32 v24, -v22, v23, 1.0
	s_delay_alu instid0(VALU_DEP_1) | instskip(SKIP_1) | instid1(VALU_DEP_1)
	v_fmac_f32_e32 v23, v24, v23
	v_div_scale_f32 v24, vcc_lo, v20, v21, v20
	v_mul_f32_e32 v25, v24, v23
	s_delay_alu instid0(VALU_DEP_1) | instskip(NEXT) | instid1(VALU_DEP_1)
	v_fma_f32 v26, -v22, v25, v24
	v_fmac_f32_e32 v25, v26, v23
	s_delay_alu instid0(VALU_DEP_1) | instskip(NEXT) | instid1(VALU_DEP_1)
	v_fma_f32 v22, -v22, v25, v24
	v_div_fmas_f32 v22, v22, v23, v25
	s_delay_alu instid0(VALU_DEP_1)
	v_div_fixup_f32 v20, v22, v21, v20
.LBB63_429:                             ;   in Loop: Header=BB63_418 Depth=1
	s_or_b32 exec_lo, exec_lo, s0
	v_sub_f32_e64 v22, 1.0, |v10|
	s_mov_b32 s0, exec_lo
                                        ; implicit-def: $vgpr21
	s_delay_alu instid0(VALU_DEP_1)
	v_cmpx_ngt_f32_e32 0, v22
	s_xor_b32 s0, exec_lo, s0
	s_cbranch_execz .LBB63_433
; %bb.430:                              ;   in Loop: Header=BB63_418 Depth=1
	v_mov_b32_e32 v21, v18
	s_mov_b32 s22, exec_lo
	v_cmpx_neq_f32_e32 0, v22
	s_cbranch_execz .LBB63_432
; %bb.431:                              ;   in Loop: Header=BB63_418 Depth=1
	v_dual_mul_f32 v21, v11, v11 :: v_dual_add_f32 v22, v22, v9
	s_delay_alu instid0(VALU_DEP_1) | instskip(NEXT) | instid1(VALU_DEP_1)
	v_div_scale_f32 v23, null, v22, v22, v21
	v_rcp_f32_e32 v24, v23
	s_waitcnt_depctr 0xfff
	v_fma_f32 v25, -v23, v24, 1.0
	s_delay_alu instid0(VALU_DEP_1) | instskip(SKIP_1) | instid1(VALU_DEP_1)
	v_fmac_f32_e32 v24, v25, v24
	v_div_scale_f32 v25, vcc_lo, v21, v22, v21
	v_mul_f32_e32 v26, v25, v24
	s_delay_alu instid0(VALU_DEP_1) | instskip(NEXT) | instid1(VALU_DEP_1)
	v_fma_f32 v27, -v23, v26, v25
	v_fmac_f32_e32 v26, v27, v24
	s_delay_alu instid0(VALU_DEP_1) | instskip(NEXT) | instid1(VALU_DEP_1)
	v_fma_f32 v23, -v23, v26, v25
	v_div_fmas_f32 v23, v23, v24, v26
	s_delay_alu instid0(VALU_DEP_1)
	v_div_fixup_f32 v21, v23, v22, v21
.LBB63_432:                             ;   in Loop: Header=BB63_418 Depth=1
	s_or_b32 exec_lo, exec_lo, s22
                                        ; implicit-def: $vgpr22
.LBB63_433:                             ;   in Loop: Header=BB63_418 Depth=1
	s_and_not1_saveexec_b32 s0, s0
; %bb.434:                              ;   in Loop: Header=BB63_418 Depth=1
	v_sub_f32_e32 v21, v9, v22
; %bb.435:                              ;   in Loop: Header=BB63_418 Depth=1
	s_or_b32 exec_lo, exec_lo, s0
	s_delay_alu instid0(VALU_DEP_1) | instskip(NEXT) | instid1(VALU_DEP_1)
	v_dual_mul_f32 v21, 0.5, v21 :: v_dual_add_f32 v22, 1.0, v6
	v_fmac_f32_e32 v21, 0.5, v20
	s_delay_alu instid0(VALU_DEP_1) | instskip(NEXT) | instid1(VALU_DEP_1)
	v_mul_f32_e32 v20, v22, v21
	v_mul_f32_e32 v22, 0x4f800000, v20
	v_cmp_gt_f32_e32 vcc_lo, 0xf800000, v20
	s_delay_alu instid0(VALU_DEP_2) | instskip(NEXT) | instid1(VALU_DEP_1)
	v_cndmask_b32_e32 v20, v20, v22, vcc_lo
	v_sqrt_f32_e32 v22, v20
	s_waitcnt_depctr 0xfff
	v_add_nc_u32_e32 v23, -1, v22
	v_add_nc_u32_e32 v24, 1, v22
	s_delay_alu instid0(VALU_DEP_2) | instskip(NEXT) | instid1(VALU_DEP_2)
	v_fma_f32 v25, -v23, v22, v20
	v_fma_f32 v26, -v24, v22, v20
	s_delay_alu instid0(VALU_DEP_2) | instskip(NEXT) | instid1(VALU_DEP_1)
	v_cmp_ge_f32_e64 s0, 0, v25
	v_cndmask_b32_e64 v22, v22, v23, s0
	s_delay_alu instid0(VALU_DEP_3) | instskip(NEXT) | instid1(VALU_DEP_1)
	v_cmp_lt_f32_e64 s0, 0, v26
	v_cndmask_b32_e64 v22, v22, v24, s0
	s_delay_alu instid0(VALU_DEP_1) | instskip(NEXT) | instid1(VALU_DEP_1)
	v_mul_f32_e32 v23, 0x37800000, v22
	v_cndmask_b32_e32 v22, v22, v23, vcc_lo
	v_cmp_class_f32_e64 vcc_lo, v20, 0x260
	s_delay_alu instid0(VALU_DEP_2) | instskip(NEXT) | instid1(VALU_DEP_1)
	v_cndmask_b32_e32 v20, v22, v20, vcc_lo
	v_add_f32_e32 v22, v21, v20
	s_delay_alu instid0(VALU_DEP_1) | instskip(NEXT) | instid1(VALU_DEP_1)
	v_add_f32_e32 v23, 1.0, v22
	v_cvt_f64_f32_e32 v[20:21], v23
	s_delay_alu instid0(VALU_DEP_1) | instskip(SKIP_1) | instid1(VALU_DEP_1)
	v_frexp_exp_i32_f64_e32 v20, v[20:21]
	v_frexp_mant_f32_e32 v21, v23
	v_cmp_gt_f32_e32 vcc_lo, 0x3f2aaaab, v21
	v_add_f32_e32 v21, -1.0, v23
	s_delay_alu instid0(VALU_DEP_1) | instskip(NEXT) | instid1(VALU_DEP_1)
	v_sub_f32_e32 v25, v21, v23
	v_add_f32_e32 v25, 1.0, v25
	v_subrev_co_ci_u32_e32 v20, vcc_lo, 0, v20, vcc_lo
	s_delay_alu instid0(VALU_DEP_1) | instskip(SKIP_1) | instid1(VALU_DEP_2)
	v_sub_nc_u32_e32 v24, 0, v20
	v_cvt_f32_i32_e32 v20, v20
	v_ldexp_f32 v23, v23, v24
	s_delay_alu instid0(VALU_DEP_1) | instskip(NEXT) | instid1(VALU_DEP_1)
	v_dual_sub_f32 v21, v22, v21 :: v_dual_add_f32 v26, 1.0, v23
	v_add_f32_e32 v21, v21, v25
	s_delay_alu instid0(VALU_DEP_2) | instskip(NEXT) | instid1(VALU_DEP_2)
	v_add_f32_e32 v25, -1.0, v26
	v_ldexp_f32 v21, v21, v24
	v_add_f32_e32 v24, -1.0, v23
	v_cmp_eq_f32_e32 vcc_lo, 0x7f800000, v22
	s_delay_alu instid0(VALU_DEP_4) | instskip(NEXT) | instid1(VALU_DEP_3)
	v_sub_f32_e32 v25, v23, v25
	v_add_f32_e32 v27, 1.0, v24
	s_delay_alu instid0(VALU_DEP_2) | instskip(NEXT) | instid1(VALU_DEP_2)
	v_add_f32_e32 v25, v21, v25
	v_sub_f32_e32 v23, v23, v27
	s_delay_alu instid0(VALU_DEP_1) | instskip(NEXT) | instid1(VALU_DEP_1)
	v_add_f32_e32 v21, v21, v23
	v_add_f32_e32 v28, v24, v21
	s_delay_alu instid0(VALU_DEP_1) | instskip(NEXT) | instid1(VALU_DEP_1)
	v_dual_add_f32 v27, v26, v25 :: v_dual_sub_f32 v24, v28, v24
	v_rcp_f32_e32 v23, v27
	v_sub_f32_e32 v26, v27, v26
	s_delay_alu instid0(VALU_DEP_1) | instskip(SKIP_2) | instid1(VALU_DEP_1)
	v_sub_f32_e32 v25, v25, v26
	s_waitcnt_depctr 0xfff
	v_mul_f32_e32 v29, v28, v23
	v_mul_f32_e32 v30, v27, v29
	s_delay_alu instid0(VALU_DEP_1) | instskip(NEXT) | instid1(VALU_DEP_1)
	v_fma_f32 v26, v29, v27, -v30
	v_fmac_f32_e32 v26, v29, v25
	v_sub_f32_e32 v21, v21, v24
	s_delay_alu instid0(VALU_DEP_2) | instskip(NEXT) | instid1(VALU_DEP_1)
	v_add_f32_e32 v31, v30, v26
	v_sub_f32_e32 v32, v28, v31
	v_sub_f32_e32 v24, v31, v30
	s_delay_alu instid0(VALU_DEP_2) | instskip(NEXT) | instid1(VALU_DEP_2)
	v_sub_f32_e32 v28, v28, v32
	v_sub_f32_e32 v24, v24, v26
	s_delay_alu instid0(VALU_DEP_2) | instskip(NEXT) | instid1(VALU_DEP_1)
	v_sub_f32_e32 v28, v28, v31
	v_add_f32_e32 v21, v21, v28
	s_delay_alu instid0(VALU_DEP_1) | instskip(NEXT) | instid1(VALU_DEP_1)
	v_add_f32_e32 v21, v24, v21
	v_add_f32_e32 v24, v32, v21
	s_delay_alu instid0(VALU_DEP_1) | instskip(NEXT) | instid1(VALU_DEP_1)
	v_mul_f32_e32 v26, v23, v24
	v_dual_sub_f32 v31, v32, v24 :: v_dual_mul_f32 v28, v27, v26
	s_delay_alu instid0(VALU_DEP_1) | instskip(NEXT) | instid1(VALU_DEP_2)
	v_add_f32_e32 v21, v21, v31
	v_fma_f32 v27, v26, v27, -v28
	s_delay_alu instid0(VALU_DEP_1) | instskip(NEXT) | instid1(VALU_DEP_1)
	v_fmac_f32_e32 v27, v26, v25
	v_add_f32_e32 v25, v28, v27
	s_delay_alu instid0(VALU_DEP_1) | instskip(NEXT) | instid1(VALU_DEP_1)
	v_sub_f32_e32 v30, v24, v25
	v_sub_f32_e32 v24, v24, v30
	s_delay_alu instid0(VALU_DEP_1) | instskip(NEXT) | instid1(VALU_DEP_1)
	v_sub_f32_e32 v24, v24, v25
	v_add_f32_e32 v21, v21, v24
	v_add_f32_e32 v24, v29, v26
	v_sub_f32_e32 v28, v25, v28
	s_delay_alu instid0(VALU_DEP_1) | instskip(NEXT) | instid1(VALU_DEP_1)
	v_sub_f32_e32 v25, v28, v27
	v_add_f32_e32 v21, v25, v21
	s_delay_alu instid0(VALU_DEP_4) | instskip(NEXT) | instid1(VALU_DEP_2)
	v_sub_f32_e32 v25, v24, v29
	v_add_f32_e32 v21, v30, v21
	s_delay_alu instid0(VALU_DEP_2) | instskip(NEXT) | instid1(VALU_DEP_2)
	v_sub_f32_e32 v25, v26, v25
	v_mul_f32_e32 v21, v23, v21
	s_delay_alu instid0(VALU_DEP_1) | instskip(NEXT) | instid1(VALU_DEP_1)
	v_add_f32_e32 v21, v25, v21
	v_add_f32_e32 v23, v24, v21
	s_delay_alu instid0(VALU_DEP_1) | instskip(NEXT) | instid1(VALU_DEP_1)
	v_mul_f32_e32 v25, v23, v23
	v_fmaak_f32 v26, s13, v25, 0x3ecc95a3
	v_mul_f32_e32 v27, v23, v25
	s_delay_alu instid0(VALU_DEP_2) | instskip(SKIP_2) | instid1(VALU_DEP_3)
	v_fmaak_f32 v25, v25, v26, 0x3f2aaada
	v_ldexp_f32 v26, v23, 1
	v_sub_f32_e32 v23, v23, v24
	v_mul_f32_e32 v25, v27, v25
	v_mul_f32_e32 v27, 0x3f317218, v20
	s_delay_alu instid0(VALU_DEP_2) | instskip(NEXT) | instid1(VALU_DEP_1)
	v_dual_sub_f32 v21, v21, v23 :: v_dual_add_f32 v24, v26, v25
	v_ldexp_f32 v21, v21, 1
	s_delay_alu instid0(VALU_DEP_2) | instskip(NEXT) | instid1(VALU_DEP_4)
	v_sub_f32_e32 v23, v24, v26
	v_fma_f32 v26, 0x3f317218, v20, -v27
	s_delay_alu instid0(VALU_DEP_1) | instskip(NEXT) | instid1(VALU_DEP_1)
	v_dual_sub_f32 v23, v25, v23 :: v_dual_fmac_f32 v26, 0xb102e308, v20
	v_dual_add_f32 v20, v21, v23 :: v_dual_add_f32 v21, v27, v26
	s_delay_alu instid0(VALU_DEP_1) | instskip(NEXT) | instid1(VALU_DEP_2)
	v_add_f32_e32 v23, v24, v20
	v_sub_f32_e32 v27, v21, v27
	s_delay_alu instid0(VALU_DEP_2) | instskip(NEXT) | instid1(VALU_DEP_2)
	v_dual_add_f32 v25, v21, v23 :: v_dual_sub_f32 v24, v23, v24
	v_sub_f32_e32 v26, v26, v27
	s_delay_alu instid0(VALU_DEP_2) | instskip(NEXT) | instid1(VALU_DEP_3)
	v_sub_f32_e32 v28, v25, v21
	v_sub_f32_e32 v20, v20, v24
	s_delay_alu instid0(VALU_DEP_2) | instskip(SKIP_1) | instid1(VALU_DEP_2)
	v_sub_f32_e32 v29, v25, v28
	v_sub_f32_e32 v23, v23, v28
	v_dual_add_f32 v24, v26, v20 :: v_dual_sub_f32 v21, v21, v29
	s_delay_alu instid0(VALU_DEP_1) | instskip(NEXT) | instid1(VALU_DEP_2)
	v_add_f32_e32 v21, v23, v21
	v_sub_f32_e32 v23, v24, v26
	s_delay_alu instid0(VALU_DEP_2) | instskip(NEXT) | instid1(VALU_DEP_2)
	v_add_f32_e32 v21, v24, v21
	v_sub_f32_e32 v24, v24, v23
	s_delay_alu instid0(VALU_DEP_2) | instskip(NEXT) | instid1(VALU_DEP_1)
	v_dual_sub_f32 v20, v20, v23 :: v_dual_add_f32 v27, v25, v21
	v_dual_sub_f32 v24, v26, v24 :: v_dual_sub_f32 v23, v27, v25
	s_delay_alu instid0(VALU_DEP_1) | instskip(NEXT) | instid1(VALU_DEP_1)
	v_dual_add_f32 v20, v20, v24 :: v_dual_sub_f32 v21, v21, v23
	v_add_f32_e32 v20, v20, v21
	s_delay_alu instid0(VALU_DEP_1) | instskip(NEXT) | instid1(VALU_DEP_1)
	v_add_f32_e32 v20, v27, v20
	v_cndmask_b32_e32 v20, v20, v22, vcc_lo
	v_cmp_ngt_f32_e32 vcc_lo, -1.0, v22
	s_delay_alu instid0(VALU_DEP_2) | instskip(SKIP_1) | instid1(VALU_DEP_2)
	v_cndmask_b32_e32 v20, 0x7fc00000, v20, vcc_lo
	v_cmp_neq_f32_e32 vcc_lo, -1.0, v22
	v_cndmask_b32_e32 v20, 0xff800000, v20, vcc_lo
	v_cmp_gt_f32_e64 vcc_lo, 0x33800000, |v22|
	s_delay_alu instid0(VALU_DEP_2)
	v_cndmask_b32_e32 v20, v20, v22, vcc_lo
.LBB63_436:                             ;   in Loop: Header=BB63_418 Depth=1
	s_and_not1_saveexec_b32 s21, s21
	s_cbranch_execz .LBB63_442
; %bb.437:                              ;   in Loop: Header=BB63_418 Depth=1
	s_mov_b32 s22, exec_lo
                                        ; implicit-def: $vgpr20
	v_cmpx_nlt_f32_e64 |v10|, 1.0
	s_xor_b32 s22, exec_lo, s22
	s_cbranch_execz .LBB63_439
; %bb.438:                              ;   in Loop: Header=BB63_418 Depth=1
	v_mul_f32_e32 v20, v7, v8
	s_delay_alu instid0(VALU_DEP_1) | instskip(SKIP_1) | instid1(VALU_DEP_2)
	v_mul_f32_e32 v21, 0x4f800000, v20
	v_cmp_gt_f32_e32 vcc_lo, 0xf800000, v20
	v_cndmask_b32_e32 v20, v20, v21, vcc_lo
	s_delay_alu instid0(VALU_DEP_1) | instskip(SKIP_3) | instid1(VALU_DEP_2)
	v_sqrt_f32_e32 v21, v20
	s_waitcnt_depctr 0xfff
	v_add_nc_u32_e32 v22, -1, v21
	v_add_nc_u32_e32 v23, 1, v21
	v_fma_f32 v24, -v22, v21, v20
	s_delay_alu instid0(VALU_DEP_2) | instskip(NEXT) | instid1(VALU_DEP_2)
	v_fma_f32 v25, -v23, v21, v20
	v_cmp_ge_f32_e64 s0, 0, v24
	s_delay_alu instid0(VALU_DEP_1) | instskip(NEXT) | instid1(VALU_DEP_3)
	v_cndmask_b32_e64 v21, v21, v22, s0
	v_cmp_lt_f32_e64 s0, 0, v25
	s_delay_alu instid0(VALU_DEP_1) | instskip(NEXT) | instid1(VALU_DEP_1)
	v_cndmask_b32_e64 v21, v21, v23, s0
	v_mul_f32_e32 v22, 0x37800000, v21
	s_delay_alu instid0(VALU_DEP_1) | instskip(SKIP_1) | instid1(VALU_DEP_2)
	v_cndmask_b32_e32 v21, v21, v22, vcc_lo
	v_cmp_class_f32_e64 vcc_lo, v20, 0x260
	v_cndmask_b32_e32 v20, v21, v20, vcc_lo
	s_delay_alu instid0(VALU_DEP_1) | instskip(NEXT) | instid1(VALU_DEP_1)
	v_add_f32_e32 v22, v7, v20
	v_add_f32_e32 v23, 1.0, v22
	s_delay_alu instid0(VALU_DEP_1) | instskip(NEXT) | instid1(VALU_DEP_1)
	v_cvt_f64_f32_e32 v[20:21], v23
	v_frexp_exp_i32_f64_e32 v20, v[20:21]
	v_frexp_mant_f32_e32 v21, v23
	s_delay_alu instid0(VALU_DEP_1) | instskip(SKIP_1) | instid1(VALU_DEP_1)
	v_cmp_gt_f32_e32 vcc_lo, 0x3f2aaaab, v21
	v_add_f32_e32 v21, -1.0, v23
	v_sub_f32_e32 v25, v21, v23
	s_delay_alu instid0(VALU_DEP_1) | instskip(SKIP_2) | instid1(VALU_DEP_2)
	v_add_f32_e32 v25, 1.0, v25
	v_subrev_co_ci_u32_e32 v20, vcc_lo, 0, v20, vcc_lo
	v_cmp_eq_f32_e32 vcc_lo, 0x7f800000, v22
	v_sub_nc_u32_e32 v24, 0, v20
	v_cvt_f32_i32_e32 v20, v20
	s_delay_alu instid0(VALU_DEP_2) | instskip(NEXT) | instid1(VALU_DEP_1)
	v_ldexp_f32 v23, v23, v24
	v_dual_sub_f32 v21, v22, v21 :: v_dual_add_f32 v26, 1.0, v23
	s_delay_alu instid0(VALU_DEP_1) | instskip(NEXT) | instid1(VALU_DEP_1)
	v_add_f32_e32 v21, v21, v25
	v_ldexp_f32 v21, v21, v24
	s_delay_alu instid0(VALU_DEP_3) | instskip(NEXT) | instid1(VALU_DEP_1)
	v_dual_add_f32 v24, -1.0, v23 :: v_dual_add_f32 v25, -1.0, v26
	v_add_f32_e32 v27, 1.0, v24
	s_delay_alu instid0(VALU_DEP_2) | instskip(NEXT) | instid1(VALU_DEP_2)
	v_sub_f32_e32 v25, v23, v25
	v_sub_f32_e32 v23, v23, v27
	s_delay_alu instid0(VALU_DEP_2) | instskip(NEXT) | instid1(VALU_DEP_2)
	v_add_f32_e32 v25, v21, v25
	v_add_f32_e32 v21, v21, v23
	s_delay_alu instid0(VALU_DEP_1) | instskip(NEXT) | instid1(VALU_DEP_1)
	v_add_f32_e32 v28, v24, v21
	v_dual_sub_f32 v24, v28, v24 :: v_dual_add_f32 v27, v26, v25
	s_delay_alu instid0(VALU_DEP_1) | instskip(SKIP_1) | instid1(VALU_DEP_1)
	v_rcp_f32_e32 v23, v27
	v_sub_f32_e32 v26, v27, v26
	v_sub_f32_e32 v25, v25, v26
	s_waitcnt_depctr 0xfff
	v_mul_f32_e32 v29, v28, v23
	s_delay_alu instid0(VALU_DEP_1) | instskip(NEXT) | instid1(VALU_DEP_1)
	v_mul_f32_e32 v30, v27, v29
	v_fma_f32 v26, v29, v27, -v30
	s_delay_alu instid0(VALU_DEP_1) | instskip(SKIP_1) | instid1(VALU_DEP_2)
	v_fmac_f32_e32 v26, v29, v25
	v_sub_f32_e32 v21, v21, v24
	v_add_f32_e32 v31, v30, v26
	s_delay_alu instid0(VALU_DEP_1) | instskip(SKIP_1) | instid1(VALU_DEP_2)
	v_sub_f32_e32 v32, v28, v31
	v_sub_f32_e32 v24, v31, v30
	;; [unrolled: 1-line block ×3, first 2 shown]
	s_delay_alu instid0(VALU_DEP_2) | instskip(NEXT) | instid1(VALU_DEP_2)
	v_sub_f32_e32 v24, v24, v26
	v_sub_f32_e32 v28, v28, v31
	s_delay_alu instid0(VALU_DEP_1) | instskip(NEXT) | instid1(VALU_DEP_1)
	v_add_f32_e32 v21, v21, v28
	v_add_f32_e32 v21, v24, v21
	s_delay_alu instid0(VALU_DEP_1) | instskip(NEXT) | instid1(VALU_DEP_1)
	v_add_f32_e32 v24, v32, v21
	v_mul_f32_e32 v26, v23, v24
	s_delay_alu instid0(VALU_DEP_1) | instskip(NEXT) | instid1(VALU_DEP_1)
	v_dual_sub_f32 v31, v32, v24 :: v_dual_mul_f32 v28, v27, v26
	v_fma_f32 v27, v26, v27, -v28
	s_delay_alu instid0(VALU_DEP_1) | instskip(NEXT) | instid1(VALU_DEP_1)
	v_fmac_f32_e32 v27, v26, v25
	v_add_f32_e32 v25, v28, v27
	s_delay_alu instid0(VALU_DEP_1) | instskip(SKIP_1) | instid1(VALU_DEP_1)
	v_sub_f32_e32 v28, v25, v28
	v_dual_sub_f32 v30, v24, v25 :: v_dual_add_f32 v21, v21, v31
	v_sub_f32_e32 v24, v24, v30
	s_delay_alu instid0(VALU_DEP_1) | instskip(NEXT) | instid1(VALU_DEP_4)
	v_sub_f32_e32 v24, v24, v25
	v_sub_f32_e32 v25, v28, v27
	s_delay_alu instid0(VALU_DEP_2) | instskip(SKIP_1) | instid1(VALU_DEP_2)
	v_add_f32_e32 v21, v21, v24
	v_add_f32_e32 v24, v29, v26
	v_add_f32_e32 v21, v25, v21
	s_delay_alu instid0(VALU_DEP_2) | instskip(NEXT) | instid1(VALU_DEP_2)
	v_sub_f32_e32 v25, v24, v29
	v_add_f32_e32 v21, v30, v21
	s_delay_alu instid0(VALU_DEP_2) | instskip(NEXT) | instid1(VALU_DEP_2)
	v_sub_f32_e32 v25, v26, v25
	v_mul_f32_e32 v21, v23, v21
	s_delay_alu instid0(VALU_DEP_1) | instskip(NEXT) | instid1(VALU_DEP_1)
	v_add_f32_e32 v21, v25, v21
	v_add_f32_e32 v23, v24, v21
	s_delay_alu instid0(VALU_DEP_1) | instskip(NEXT) | instid1(VALU_DEP_1)
	v_mul_f32_e32 v25, v23, v23
	v_fmaak_f32 v26, s13, v25, 0x3ecc95a3
	v_mul_f32_e32 v27, v23, v25
	s_delay_alu instid0(VALU_DEP_2) | instskip(SKIP_2) | instid1(VALU_DEP_3)
	v_fmaak_f32 v25, v25, v26, 0x3f2aaada
	v_ldexp_f32 v26, v23, 1
	v_sub_f32_e32 v23, v23, v24
	v_mul_f32_e32 v25, v27, v25
	v_mul_f32_e32 v27, 0x3f317218, v20
	s_delay_alu instid0(VALU_DEP_2) | instskip(NEXT) | instid1(VALU_DEP_1)
	v_dual_sub_f32 v21, v21, v23 :: v_dual_add_f32 v24, v26, v25
	v_ldexp_f32 v21, v21, 1
	s_delay_alu instid0(VALU_DEP_2) | instskip(NEXT) | instid1(VALU_DEP_4)
	v_sub_f32_e32 v23, v24, v26
	v_fma_f32 v26, 0x3f317218, v20, -v27
	s_delay_alu instid0(VALU_DEP_1) | instskip(NEXT) | instid1(VALU_DEP_1)
	v_dual_sub_f32 v23, v25, v23 :: v_dual_fmac_f32 v26, 0xb102e308, v20
	v_dual_add_f32 v20, v21, v23 :: v_dual_add_f32 v21, v27, v26
	s_delay_alu instid0(VALU_DEP_1) | instskip(NEXT) | instid1(VALU_DEP_2)
	v_add_f32_e32 v23, v24, v20
	v_sub_f32_e32 v27, v21, v27
	s_delay_alu instid0(VALU_DEP_2) | instskip(NEXT) | instid1(VALU_DEP_2)
	v_dual_add_f32 v25, v21, v23 :: v_dual_sub_f32 v24, v23, v24
	v_sub_f32_e32 v26, v26, v27
	s_delay_alu instid0(VALU_DEP_2) | instskip(NEXT) | instid1(VALU_DEP_3)
	v_sub_f32_e32 v28, v25, v21
	v_sub_f32_e32 v20, v20, v24
	s_delay_alu instid0(VALU_DEP_2) | instskip(SKIP_1) | instid1(VALU_DEP_2)
	v_sub_f32_e32 v29, v25, v28
	v_sub_f32_e32 v23, v23, v28
	v_dual_add_f32 v24, v26, v20 :: v_dual_sub_f32 v21, v21, v29
	s_delay_alu instid0(VALU_DEP_1) | instskip(NEXT) | instid1(VALU_DEP_2)
	v_add_f32_e32 v21, v23, v21
	v_sub_f32_e32 v23, v24, v26
	s_delay_alu instid0(VALU_DEP_2) | instskip(NEXT) | instid1(VALU_DEP_2)
	v_add_f32_e32 v21, v24, v21
	v_sub_f32_e32 v24, v24, v23
	s_delay_alu instid0(VALU_DEP_2) | instskip(NEXT) | instid1(VALU_DEP_1)
	v_dual_sub_f32 v20, v20, v23 :: v_dual_add_f32 v27, v25, v21
	v_dual_sub_f32 v24, v26, v24 :: v_dual_sub_f32 v23, v27, v25
	s_delay_alu instid0(VALU_DEP_1) | instskip(NEXT) | instid1(VALU_DEP_1)
	v_dual_add_f32 v20, v20, v24 :: v_dual_sub_f32 v21, v21, v23
	v_add_f32_e32 v20, v20, v21
	s_delay_alu instid0(VALU_DEP_1) | instskip(NEXT) | instid1(VALU_DEP_1)
	v_add_f32_e32 v20, v27, v20
	v_cndmask_b32_e32 v20, v20, v22, vcc_lo
	v_cmp_ngt_f32_e32 vcc_lo, -1.0, v22
	s_delay_alu instid0(VALU_DEP_2) | instskip(SKIP_1) | instid1(VALU_DEP_2)
	v_cndmask_b32_e32 v20, 0x7fc00000, v20, vcc_lo
	v_cmp_neq_f32_e32 vcc_lo, -1.0, v22
	v_cndmask_b32_e32 v20, 0xff800000, v20, vcc_lo
	v_cmp_gt_f32_e64 vcc_lo, 0x33800000, |v22|
	s_delay_alu instid0(VALU_DEP_2)
	v_cndmask_b32_e32 v20, v20, v22, vcc_lo
.LBB63_439:                             ;   in Loop: Header=BB63_418 Depth=1
	s_and_not1_saveexec_b32 s22, s22
	s_cbranch_execz .LBB63_441
; %bb.440:                              ;   in Loop: Header=BB63_418 Depth=1
	v_sub_f32_e64 v20, 1.0, |v10|
	s_delay_alu instid0(VALU_DEP_1) | instskip(NEXT) | instid1(VALU_DEP_1)
	v_mul_f32_e32 v20, v20, v8
	v_mul_f32_e32 v21, 0x4f800000, v20
	v_cmp_gt_f32_e32 vcc_lo, 0xf800000, v20
	s_delay_alu instid0(VALU_DEP_2) | instskip(NEXT) | instid1(VALU_DEP_1)
	v_cndmask_b32_e32 v20, v20, v21, vcc_lo
	v_sqrt_f32_e32 v21, v20
	s_waitcnt_depctr 0xfff
	v_add_nc_u32_e32 v22, -1, v21
	v_add_nc_u32_e32 v23, 1, v21
	s_delay_alu instid0(VALU_DEP_2) | instskip(NEXT) | instid1(VALU_DEP_2)
	v_fma_f32 v24, -v22, v21, v20
	v_fma_f32 v25, -v23, v21, v20
	s_delay_alu instid0(VALU_DEP_2) | instskip(NEXT) | instid1(VALU_DEP_1)
	v_cmp_ge_f32_e64 s0, 0, v24
	v_cndmask_b32_e64 v21, v21, v22, s0
	s_delay_alu instid0(VALU_DEP_3) | instskip(NEXT) | instid1(VALU_DEP_1)
	v_cmp_lt_f32_e64 s0, 0, v25
	v_cndmask_b32_e64 v21, v21, v23, s0
	s_delay_alu instid0(VALU_DEP_1) | instskip(NEXT) | instid1(VALU_DEP_1)
	v_mul_f32_e32 v22, 0x37800000, v21
	v_cndmask_b32_e32 v21, v21, v22, vcc_lo
	v_cmp_class_f32_e64 vcc_lo, v20, 0x260
	v_and_b32_e32 v22, 0x7fffffff, v11
	s_delay_alu instid0(VALU_DEP_3) | instskip(NEXT) | instid1(VALU_DEP_1)
	v_cndmask_b32_e32 v20, v21, v20, vcc_lo
	v_div_scale_f32 v21, null, v20, v20, v22
	v_div_scale_f32 v22, vcc_lo, v22, v20, v22
	s_delay_alu instid0(VALU_DEP_2) | instskip(SKIP_2) | instid1(VALU_DEP_1)
	v_rcp_f32_e32 v23, v21
	s_waitcnt_depctr 0xfff
	v_fma_f32 v24, -v21, v23, 1.0
	v_fmac_f32_e32 v23, v24, v23
	s_delay_alu instid0(VALU_DEP_1) | instskip(NEXT) | instid1(VALU_DEP_1)
	v_mul_f32_e32 v24, v22, v23
	v_fma_f32 v25, -v21, v24, v22
	s_delay_alu instid0(VALU_DEP_1) | instskip(NEXT) | instid1(VALU_DEP_1)
	v_fmac_f32_e32 v24, v25, v23
	v_fma_f32 v21, -v21, v24, v22
	s_delay_alu instid0(VALU_DEP_1) | instskip(NEXT) | instid1(VALU_DEP_1)
	v_div_fmas_f32 v21, v21, v23, v24
	v_div_fixup_f32 v20, v21, v20, |v11|
.LBB63_441:                             ;   in Loop: Header=BB63_418 Depth=1
	s_or_b32 exec_lo, exec_lo, s22
.LBB63_442:                             ;   in Loop: Header=BB63_418 Depth=1
	s_delay_alu instid0(SALU_CYCLE_1)
	s_or_b32 exec_lo, exec_lo, s21
.LBB63_443:                             ;   in Loop: Header=BB63_418 Depth=1
	s_and_not1_saveexec_b32 s20, s20
	s_cbranch_execz .LBB63_445
; %bb.444:                              ;   in Loop: Header=BB63_418 Depth=1
	v_mul_f32_e64 v20, 0x4f800000, |v11|
	v_cmp_gt_f32_e64 vcc_lo, 0xf800000, |v11|
	s_delay_alu instid0(VALU_DEP_1) | instskip(NEXT) | instid1(VALU_DEP_1)
	v_cndmask_b32_e64 v20, |v11|, v20, vcc_lo
	v_sqrt_f32_e32 v21, v20
	s_waitcnt_depctr 0xfff
	v_add_nc_u32_e32 v22, -1, v21
	v_add_nc_u32_e32 v23, 1, v21
	s_delay_alu instid0(VALU_DEP_2) | instskip(NEXT) | instid1(VALU_DEP_2)
	v_fma_f32 v24, -v22, v21, v20
	v_fma_f32 v25, -v23, v21, v20
	s_delay_alu instid0(VALU_DEP_2) | instskip(NEXT) | instid1(VALU_DEP_1)
	v_cmp_ge_f32_e64 s0, 0, v24
	v_cndmask_b32_e64 v21, v21, v22, s0
	s_delay_alu instid0(VALU_DEP_3) | instskip(NEXT) | instid1(VALU_DEP_1)
	v_cmp_lt_f32_e64 s0, 0, v25
	v_cndmask_b32_e64 v21, v21, v23, s0
	s_delay_alu instid0(VALU_DEP_1) | instskip(NEXT) | instid1(VALU_DEP_1)
	v_mul_f32_e32 v22, 0x37800000, v21
	v_cndmask_b32_e32 v21, v21, v22, vcc_lo
	v_cmp_class_f32_e64 vcc_lo, v20, 0x260
	s_delay_alu instid0(VALU_DEP_2)
	v_cndmask_b32_e32 v20, v21, v20, vcc_lo
.LBB63_445:                             ;   in Loop: Header=BB63_418 Depth=1
	s_or_b32 exec_lo, exec_lo, s20
.LBB63_446:                             ;   in Loop: Header=BB63_418 Depth=1
	s_delay_alu instid0(SALU_CYCLE_1) | instskip(NEXT) | instid1(SALU_CYCLE_1)
	s_or_b32 exec_lo, exec_lo, s1
	s_mov_b32 s20, exec_lo
                                        ; implicit-def: $sgpr0
                                        ; implicit-def: $vgpr21
                                        ; implicit-def: $vgpr23
                                        ; implicit-def: $vgpr22
	v_cmpx_ngt_f32_e64 0x21000000, |v10|
	s_xor_b32 s20, exec_lo, s20
	s_cbranch_execz .LBB63_470
; %bb.447:                              ;   in Loop: Header=BB63_418 Depth=1
	v_and_b32_e32 v22, 0x7fffffff, v10
	s_mov_b32 s0, 0
	s_mov_b32 s21, exec_lo
	s_delay_alu instid0(VALU_DEP_1) | instskip(NEXT) | instid1(VALU_DEP_1)
	v_div_scale_f32 v21, null, v6, v6, v22
	v_rcp_f32_e32 v23, v21
	s_waitcnt_depctr 0xfff
	v_fma_f32 v24, -v21, v23, 1.0
	s_delay_alu instid0(VALU_DEP_1) | instskip(SKIP_1) | instid1(VALU_DEP_1)
	v_fmac_f32_e32 v23, v24, v23
	v_div_scale_f32 v24, vcc_lo, v22, v6, v22
	v_mul_f32_e32 v25, v24, v23
	s_delay_alu instid0(VALU_DEP_1) | instskip(NEXT) | instid1(VALU_DEP_1)
	v_fma_f32 v26, -v21, v25, v24
	v_fmac_f32_e32 v25, v26, v23
	s_delay_alu instid0(VALU_DEP_1) | instskip(NEXT) | instid1(VALU_DEP_1)
	v_fma_f32 v21, -v21, v25, v24
	v_div_fmas_f32 v21, v21, v23, v25
                                        ; implicit-def: $vgpr23
	s_delay_alu instid0(VALU_DEP_1) | instskip(NEXT) | instid1(VALU_DEP_1)
	v_div_fixup_f32 v21, v21, v6, |v10|
	v_cmpx_lt_f32_e32 0x3f244674, v21
	s_cbranch_execz .LBB63_469
; %bb.448:                              ;   in Loop: Header=BB63_418 Depth=1
	v_cmp_neq_f32_e64 s0, |v10|, 1.0
	v_cmp_ngt_f32_e64 s1, 0x30800000, |v11|
                                        ; implicit-def: $sgpr22
                                        ; implicit-def: $vgpr23
	s_delay_alu instid0(VALU_DEP_1) | instskip(NEXT) | instid1(SALU_CYCLE_1)
	s_or_b32 s0, s0, s1
	s_and_saveexec_b32 s1, s0
	s_delay_alu instid0(SALU_CYCLE_1)
	s_xor_b32 s1, exec_lo, s1
	s_cbranch_execz .LBB63_466
; %bb.449:                              ;   in Loop: Header=BB63_418 Depth=1
	v_mul_f32_e64 v23, 0x34000000, |v7|
                                        ; implicit-def: $sgpr22
	s_delay_alu instid0(VALU_DEP_1) | instskip(NEXT) | instid1(VALU_DEP_1)
	v_cmp_le_f32_e64 s0, v23, |v11|
                                        ; implicit-def: $vgpr23
	s_and_saveexec_b32 s23, s0
	s_delay_alu instid0(SALU_CYCLE_1)
	s_xor_b32 s23, exec_lo, s23
	s_cbranch_execz .LBB63_459
; %bb.450:                              ;   in Loop: Header=BB63_418 Depth=1
	v_mov_b32_e32 v23, v18
	s_mov_b32 s0, exec_lo
	v_cmpx_neq_f32_e32 0, v8
	s_cbranch_execz .LBB63_452
; %bb.451:                              ;   in Loop: Header=BB63_418 Depth=1
	v_mul_f32_e32 v23, v11, v11
	v_add_f32_e32 v8, v8, v19
	s_delay_alu instid0(VALU_DEP_1) | instskip(NEXT) | instid1(VALU_DEP_1)
	v_div_scale_f32 v19, null, v8, v8, v23
	v_rcp_f32_e32 v24, v19
	s_waitcnt_depctr 0xfff
	v_fma_f32 v25, -v19, v24, 1.0
	s_delay_alu instid0(VALU_DEP_1) | instskip(SKIP_1) | instid1(VALU_DEP_1)
	v_fmac_f32_e32 v24, v25, v24
	v_div_scale_f32 v25, vcc_lo, v23, v8, v23
	v_mul_f32_e32 v26, v25, v24
	s_delay_alu instid0(VALU_DEP_1) | instskip(NEXT) | instid1(VALU_DEP_1)
	v_fma_f32 v27, -v19, v26, v25
	v_fmac_f32_e32 v26, v27, v24
	s_delay_alu instid0(VALU_DEP_1) | instskip(NEXT) | instid1(VALU_DEP_1)
	v_fma_f32 v19, -v19, v26, v25
	v_div_fmas_f32 v19, v19, v24, v26
	s_delay_alu instid0(VALU_DEP_1)
	v_div_fixup_f32 v23, v19, v8, v23
.LBB63_452:                             ;   in Loop: Header=BB63_418 Depth=1
	s_or_b32 exec_lo, exec_lo, s0
	s_delay_alu instid0(SALU_CYCLE_1)
	s_mov_b32 s0, exec_lo
	v_cmpx_ngt_f32_e32 0, v7
	s_xor_b32 s0, exec_lo, s0
	s_cbranch_execz .LBB63_456
; %bb.453:                              ;   in Loop: Header=BB63_418 Depth=1
	s_mov_b32 s22, exec_lo
	v_cmpx_neq_f32_e32 0, v7
	s_cbranch_execz .LBB63_455
; %bb.454:                              ;   in Loop: Header=BB63_418 Depth=1
	v_mul_f32_e32 v8, v11, v11
	v_add_f32_e32 v7, v7, v9
	s_delay_alu instid0(VALU_DEP_1) | instskip(NEXT) | instid1(VALU_DEP_1)
	v_div_scale_f32 v9, null, v7, v7, v8
	v_rcp_f32_e32 v18, v9
	s_waitcnt_depctr 0xfff
	v_fma_f32 v19, -v9, v18, 1.0
	s_delay_alu instid0(VALU_DEP_1) | instskip(SKIP_1) | instid1(VALU_DEP_1)
	v_fmac_f32_e32 v18, v19, v18
	v_div_scale_f32 v19, vcc_lo, v8, v7, v8
	v_mul_f32_e32 v24, v19, v18
	s_delay_alu instid0(VALU_DEP_1) | instskip(NEXT) | instid1(VALU_DEP_1)
	v_fma_f32 v25, -v9, v24, v19
	v_fmac_f32_e32 v24, v25, v18
	s_delay_alu instid0(VALU_DEP_1) | instskip(NEXT) | instid1(VALU_DEP_1)
	v_fma_f32 v9, -v9, v24, v19
	v_div_fmas_f32 v9, v9, v18, v24
	s_delay_alu instid0(VALU_DEP_1)
	v_div_fixup_f32 v18, v9, v7, v8
.LBB63_455:                             ;   in Loop: Header=BB63_418 Depth=1
	s_or_b32 exec_lo, exec_lo, s22
                                        ; implicit-def: $vgpr9
                                        ; implicit-def: $vgpr7
.LBB63_456:                             ;   in Loop: Header=BB63_418 Depth=1
	s_and_not1_saveexec_b32 s0, s0
; %bb.457:                              ;   in Loop: Header=BB63_418 Depth=1
	v_sub_f32_e32 v18, v9, v7
; %bb.458:                              ;   in Loop: Header=BB63_418 Depth=1
	s_or_b32 exec_lo, exec_lo, s0
	s_delay_alu instid0(VALU_DEP_1) | instskip(SKIP_2) | instid1(VALU_DEP_2)
	v_mul_f32_e32 v7, 0.5, v18
	v_add_f32_e64 v6, |v10|, v6
	s_mov_b32 s22, -1
	v_fmac_f32_e32 v7, 0.5, v23
	s_delay_alu instid0(VALU_DEP_1) | instskip(NEXT) | instid1(VALU_DEP_1)
	v_mul_f32_e32 v6, v6, v7
	v_mul_f32_e32 v7, 0x4f800000, v6
	v_cmp_gt_f32_e32 vcc_lo, 0xf800000, v6
	s_delay_alu instid0(VALU_DEP_2) | instskip(NEXT) | instid1(VALU_DEP_1)
	v_cndmask_b32_e32 v6, v6, v7, vcc_lo
	v_sqrt_f32_e32 v7, v6
	s_waitcnt_depctr 0xfff
	v_add_nc_u32_e32 v8, -1, v7
	v_add_nc_u32_e32 v9, 1, v7
	s_delay_alu instid0(VALU_DEP_2) | instskip(NEXT) | instid1(VALU_DEP_2)
	v_fma_f32 v18, -v8, v7, v6
	v_fma_f32 v19, -v9, v7, v6
	s_delay_alu instid0(VALU_DEP_2) | instskip(NEXT) | instid1(VALU_DEP_1)
	v_cmp_ge_f32_e64 s0, 0, v18
	v_cndmask_b32_e64 v7, v7, v8, s0
	s_delay_alu instid0(VALU_DEP_3) | instskip(NEXT) | instid1(VALU_DEP_1)
	v_cmp_lt_f32_e64 s0, 0, v19
	v_cndmask_b32_e64 v7, v7, v9, s0
	s_delay_alu instid0(VALU_DEP_1) | instskip(NEXT) | instid1(VALU_DEP_1)
	v_mul_f32_e32 v8, 0x37800000, v7
	v_cndmask_b32_e32 v7, v7, v8, vcc_lo
	v_cmp_class_f32_e64 vcc_lo, v6, 0x260
                                        ; implicit-def: $vgpr8
	s_delay_alu instid0(VALU_DEP_2)
	v_cndmask_b32_e32 v23, v7, v6, vcc_lo
                                        ; implicit-def: $vgpr7
.LBB63_459:                             ;   in Loop: Header=BB63_418 Depth=1
	s_and_not1_saveexec_b32 s23, s23
	s_cbranch_execz .LBB63_465
; %bb.460:                              ;   in Loop: Header=BB63_418 Depth=1
	s_mov_b32 s25, exec_lo
                                        ; implicit-def: $vgpr23
                                        ; implicit-def: $sgpr24
	v_cmpx_ngt_f32_e64 |v10|, 1.0
	s_xor_b32 s25, exec_lo, s25
	s_cbranch_execz .LBB63_462
; %bb.461:                              ;   in Loop: Header=BB63_418 Depth=1
	v_sub_f32_e64 v6, 1.0, |v10|
	s_mov_b32 s24, -1
	s_delay_alu instid0(VALU_DEP_1) | instskip(NEXT) | instid1(VALU_DEP_1)
	v_mul_f32_e32 v6, v6, v8
	v_mul_f32_e32 v7, 0x4f800000, v6
	v_cmp_gt_f32_e32 vcc_lo, 0xf800000, v6
	s_delay_alu instid0(VALU_DEP_2) | instskip(NEXT) | instid1(VALU_DEP_1)
	v_cndmask_b32_e32 v6, v6, v7, vcc_lo
	v_sqrt_f32_e32 v7, v6
	s_waitcnt_depctr 0xfff
	v_add_nc_u32_e32 v8, -1, v7
	v_add_nc_u32_e32 v9, 1, v7
	s_delay_alu instid0(VALU_DEP_2) | instskip(NEXT) | instid1(VALU_DEP_2)
	v_fma_f32 v18, -v8, v7, v6
	v_fma_f32 v19, -v9, v7, v6
	s_delay_alu instid0(VALU_DEP_2) | instskip(NEXT) | instid1(VALU_DEP_1)
	v_cmp_ge_f32_e64 s0, 0, v18
	v_cndmask_b32_e64 v7, v7, v8, s0
	s_delay_alu instid0(VALU_DEP_3) | instskip(NEXT) | instid1(VALU_DEP_1)
	v_cmp_lt_f32_e64 s0, 0, v19
	v_cndmask_b32_e64 v7, v7, v9, s0
	s_delay_alu instid0(VALU_DEP_1) | instskip(NEXT) | instid1(VALU_DEP_1)
	v_mul_f32_e32 v8, 0x37800000, v7
	v_cndmask_b32_e32 v7, v7, v8, vcc_lo
	v_cmp_class_f32_e64 vcc_lo, v6, 0x260
                                        ; implicit-def: $vgpr8
	s_delay_alu instid0(VALU_DEP_2)
	v_cndmask_b32_e32 v23, v7, v6, vcc_lo
                                        ; implicit-def: $vgpr7
.LBB63_462:                             ;   in Loop: Header=BB63_418 Depth=1
	s_and_not1_saveexec_b32 s25, s25
	s_cbranch_execz .LBB63_464
; %bb.463:                              ;   in Loop: Header=BB63_418 Depth=1
	v_mul_f32_e32 v6, v8, v7
	s_or_b32 s24, s24, exec_lo
	s_delay_alu instid0(VALU_DEP_1) | instskip(SKIP_1) | instid1(VALU_DEP_2)
	v_mul_f32_e32 v7, 0x4f800000, v6
	v_cmp_gt_f32_e32 vcc_lo, 0xf800000, v6
	v_cndmask_b32_e32 v6, v6, v7, vcc_lo
	s_delay_alu instid0(VALU_DEP_1) | instskip(SKIP_3) | instid1(VALU_DEP_2)
	v_sqrt_f32_e32 v7, v6
	s_waitcnt_depctr 0xfff
	v_add_nc_u32_e32 v8, -1, v7
	v_add_nc_u32_e32 v9, 1, v7
	v_fma_f32 v18, -v8, v7, v6
	s_delay_alu instid0(VALU_DEP_2) | instskip(NEXT) | instid1(VALU_DEP_2)
	v_fma_f32 v19, -v9, v7, v6
	v_cmp_ge_f32_e64 s0, 0, v18
	s_delay_alu instid0(VALU_DEP_1) | instskip(NEXT) | instid1(VALU_DEP_3)
	v_cndmask_b32_e64 v7, v7, v8, s0
	v_cmp_lt_f32_e64 s0, 0, v19
	s_delay_alu instid0(VALU_DEP_1) | instskip(SKIP_1) | instid1(VALU_DEP_2)
	v_cndmask_b32_e64 v7, v7, v9, s0
	v_mul_f32_e64 v9, 0x57800000, |v11|
	v_mul_f32_e32 v8, 0x37800000, v7
	s_delay_alu instid0(VALU_DEP_1) | instskip(SKIP_1) | instid1(VALU_DEP_4)
	v_cndmask_b32_e32 v7, v7, v8, vcc_lo
	v_cmp_class_f32_e64 vcc_lo, v6, 0x260
	v_mul_f32_e64 v8, |v10|, v9
	s_delay_alu instid0(VALU_DEP_3) | instskip(NEXT) | instid1(VALU_DEP_1)
	v_cndmask_b32_e32 v6, v7, v6, vcc_lo
	v_div_scale_f32 v7, null, v6, v6, v8
	v_div_scale_f32 v19, vcc_lo, v8, v6, v8
	s_delay_alu instid0(VALU_DEP_2) | instskip(SKIP_2) | instid1(VALU_DEP_1)
	v_rcp_f32_e32 v9, v7
	s_waitcnt_depctr 0xfff
	v_fma_f32 v18, -v7, v9, 1.0
	v_fmac_f32_e32 v9, v18, v9
	s_delay_alu instid0(VALU_DEP_1) | instskip(NEXT) | instid1(VALU_DEP_1)
	v_mul_f32_e32 v18, v19, v9
	v_fma_f32 v22, -v7, v18, v19
	s_delay_alu instid0(VALU_DEP_1) | instskip(SKIP_1) | instid1(VALU_DEP_2)
	v_fmac_f32_e32 v18, v22, v9
	v_mul_f32_e64 v22, 0x57800000, |v10|
	v_fma_f32 v7, -v7, v18, v19
	s_delay_alu instid0(VALU_DEP_1) | instskip(NEXT) | instid1(VALU_DEP_1)
	v_div_fmas_f32 v7, v7, v9, v18
	v_div_fixup_f32 v23, v7, v6, v8
.LBB63_464:                             ;   in Loop: Header=BB63_418 Depth=1
	s_or_b32 exec_lo, exec_lo, s25
	s_delay_alu instid0(SALU_CYCLE_1) | instskip(SKIP_1) | instid1(SALU_CYCLE_1)
	s_and_not1_b32 s0, s22, exec_lo
	s_and_b32 s22, s24, exec_lo
	s_or_b32 s22, s0, s22
.LBB63_465:                             ;   in Loop: Header=BB63_418 Depth=1
	s_or_b32 exec_lo, exec_lo, s23
	s_delay_alu instid0(SALU_CYCLE_1)
	s_and_b32 s22, s22, exec_lo
                                        ; implicit-def: $vgpr6
.LBB63_466:                             ;   in Loop: Header=BB63_418 Depth=1
	s_and_not1_saveexec_b32 s23, s1
	s_cbranch_execz .LBB63_468
; %bb.467:                              ;   in Loop: Header=BB63_418 Depth=1
	v_add_f32_e32 v6, 1.0, v6
	v_mul_f32_e64 v7, 0x4f800000, |v11|
	v_cmp_gt_f32_e64 vcc_lo, 0xf800000, |v11|
	s_or_b32 s22, s22, exec_lo
	s_delay_alu instid0(VALU_DEP_3) | instskip(NEXT) | instid1(VALU_DEP_2)
	v_mul_f32_e32 v6, 0.5, v6
	v_cndmask_b32_e64 v7, |v11|, v7, vcc_lo
	s_delay_alu instid0(VALU_DEP_2) | instskip(SKIP_1) | instid1(VALU_DEP_1)
	v_mul_f32_e32 v8, 0x4f800000, v6
	v_cmp_gt_f32_e64 s0, 0xf800000, v6
	v_cndmask_b32_e64 v6, v6, v8, s0
	s_delay_alu instid0(VALU_DEP_4) | instskip(NEXT) | instid1(VALU_DEP_1)
	v_sqrt_f32_e32 v8, v7
	v_sqrt_f32_e32 v9, v6
	s_waitcnt_depctr 0xfff
	v_add_nc_u32_e32 v18, -1, v8
	v_add_nc_u32_e32 v22, 1, v8
	v_add_nc_u32_e32 v19, -1, v9
	s_delay_alu instid0(VALU_DEP_3) | instskip(SKIP_1) | instid1(VALU_DEP_4)
	v_fma_f32 v23, -v18, v8, v7
	v_add_nc_u32_e32 v24, 1, v9
	v_fma_f32 v26, -v22, v8, v7
	s_delay_alu instid0(VALU_DEP_4) | instskip(NEXT) | instid1(VALU_DEP_4)
	v_fma_f32 v25, -v19, v9, v6
	v_cmp_ge_f32_e64 s1, 0, v23
	s_delay_alu instid0(VALU_DEP_1) | instskip(NEXT) | instid1(VALU_DEP_3)
	v_cndmask_b32_e64 v8, v8, v18, s1
	v_cmp_ge_f32_e64 s1, 0, v25
	v_fma_f32 v18, -v24, v9, v6
	s_delay_alu instid0(VALU_DEP_2) | instskip(SKIP_1) | instid1(VALU_DEP_1)
	v_cndmask_b32_e64 v9, v9, v19, s1
	v_cmp_lt_f32_e64 s1, 0, v26
	v_cndmask_b32_e64 v8, v8, v22, s1
	s_delay_alu instid0(VALU_DEP_4) | instskip(SKIP_1) | instid1(VALU_DEP_3)
	v_cmp_lt_f32_e64 s1, 0, v18
	v_mov_b32_e32 v22, 1.0
	v_mul_f32_e32 v18, 0x37800000, v8
	s_delay_alu instid0(VALU_DEP_3) | instskip(NEXT) | instid1(VALU_DEP_1)
	v_cndmask_b32_e64 v9, v9, v24, s1
	v_dual_cndmask_b32 v8, v8, v18 :: v_dual_mul_f32 v19, 0x37800000, v9
	v_cmp_class_f32_e64 vcc_lo, v7, 0x260
	s_delay_alu instid0(VALU_DEP_2) | instskip(NEXT) | instid1(VALU_DEP_3)
	v_cndmask_b32_e64 v9, v9, v19, s0
	v_cndmask_b32_e32 v7, v8, v7, vcc_lo
	v_cmp_class_f32_e64 vcc_lo, v6, 0x260
	s_delay_alu instid0(VALU_DEP_3) | instskip(NEXT) | instid1(VALU_DEP_1)
	v_cndmask_b32_e32 v6, v9, v6, vcc_lo
	v_mul_f32_e32 v23, v7, v6
.LBB63_468:                             ;   in Loop: Header=BB63_418 Depth=1
	s_or_b32 exec_lo, exec_lo, s23
	s_delay_alu instid0(SALU_CYCLE_1)
	s_and_b32 s0, s22, exec_lo
.LBB63_469:                             ;   in Loop: Header=BB63_418 Depth=1
	s_or_b32 exec_lo, exec_lo, s21
	s_delay_alu instid0(SALU_CYCLE_1)
	s_and_b32 s0, s0, exec_lo
                                        ; implicit-def: $vgpr6
.LBB63_470:                             ;   in Loop: Header=BB63_418 Depth=1
	s_and_not1_saveexec_b32 s1, s20
; %bb.471:                              ;   in Loop: Header=BB63_418 Depth=1
	v_mul_f32_e32 v23, 0x4b800000, v6
	v_mul_f32_e64 v22, 0x4b800000, |v10|
	s_or_b32 s0, s0, exec_lo
                                        ; implicit-def: $vgpr21
; %bb.472:                              ;   in Loop: Header=BB63_418 Depth=1
	s_or_b32 exec_lo, exec_lo, s1
	s_xor_b32 s0, s0, -1
                                        ; implicit-def: $vgpr6
	s_delay_alu instid0(SALU_CYCLE_1) | instskip(NEXT) | instid1(SALU_CYCLE_1)
	s_and_saveexec_b32 s1, s0
	s_xor_b32 s0, exec_lo, s1
	s_cbranch_execz .LBB63_474
; %bb.473:                              ;   in Loop: Header=BB63_418 Depth=1
	v_fma_f32 v6, |v21|, -0.5, 0.5
	v_mul_f32_e32 v7, v21, v21
	v_cmp_ge_f32_e64 vcc_lo, |v21|, 0.5
                                        ; implicit-def: $vgpr22
                                        ; implicit-def: $vgpr23
	s_delay_alu instid0(VALU_DEP_2) | instskip(SKIP_1) | instid1(VALU_DEP_2)
	v_cndmask_b32_e32 v6, v7, v6, vcc_lo
	v_cmp_lt_f32_e64 vcc_lo, |v21|, 0.5
	v_fmaak_f32 v7, s14, v6, 0x3c5fc5da
	v_sqrt_f32_e32 v8, v6
	s_delay_alu instid0(VALU_DEP_1) | instskip(NEXT) | instid1(VALU_DEP_1)
	v_fmaak_f32 v7, v6, v7, 0x3d034c3c
	v_fmaak_f32 v7, v6, v7, 0x3d3641b1
	s_delay_alu instid0(VALU_DEP_1) | instskip(NEXT) | instid1(VALU_DEP_1)
	v_fmaak_f32 v7, v6, v7, 0x3d999bc8
	v_fmaak_f32 v7, v6, v7, 0x3e2aaaac
	s_delay_alu instid0(VALU_DEP_1) | instskip(SKIP_3) | instid1(VALU_DEP_2)
	v_mul_f32_e32 v6, v6, v7
	s_waitcnt_depctr 0xfff
	v_fmac_f32_e32 v8, v8, v6
	v_fma_f32 v6, |v21|, v6, |v21|
	v_add_f32_e32 v7, v8, v8
	s_delay_alu instid0(VALU_DEP_1) | instskip(NEXT) | instid1(VALU_DEP_1)
	v_sub_f32_e32 v7, 0x3fc90fdb, v7
	v_cndmask_b32_e32 v6, v7, v6, vcc_lo
	s_delay_alu instid0(VALU_DEP_1)
	v_bfi_b32 v6, 0x7fffffff, v6, v21
.LBB63_474:                             ;   in Loop: Header=BB63_418 Depth=1
	s_and_not1_saveexec_b32 s20, s0
	s_cbranch_execz .LBB63_476
; %bb.475:                              ;   in Loop: Header=BB63_418 Depth=1
	v_max_f32_e32 v6, v22, v22
	v_max_f32_e64 v7, |v23|, |v23|
	v_cmp_gt_f32_e64 vcc_lo, v22, |v23|
	v_cmp_eq_f32_e64 s1, 0, v22
	v_cmp_class_f32_e64 s21, v23, 0x204
	v_cmp_eq_f32_e64 s0, 0x7f800000, v22
	v_max_f32_e32 v8, v7, v6
	v_min_f32_e32 v6, v7, v6
	s_delay_alu instid0(VALU_DEP_2) | instskip(SKIP_1) | instid1(VALU_DEP_2)
	v_frexp_mant_f32_e32 v9, v8
	v_frexp_exp_i32_f32_e32 v8, v8
	v_rcp_f32_e32 v7, v9
	s_delay_alu instid0(VALU_DEP_3) | instskip(SKIP_1) | instid1(VALU_DEP_2)
	v_frexp_exp_i32_f32_e32 v9, v6
	v_frexp_mant_f32_e32 v6, v6
	v_sub_nc_u32_e32 v8, v9, v8
	s_waitcnt_depctr 0xfff
	v_mul_f32_e32 v6, v6, v7
	s_delay_alu instid0(VALU_DEP_1) | instskip(NEXT) | instid1(VALU_DEP_1)
	v_ldexp_f32 v6, v6, v8
	v_mul_f32_e32 v7, v6, v6
	s_delay_alu instid0(VALU_DEP_1) | instskip(NEXT) | instid1(VALU_DEP_1)
	v_fmaak_f32 v8, s15, v7, 0xbc7a590c
	v_fmaak_f32 v8, v7, v8, 0x3d29fb3f
	s_delay_alu instid0(VALU_DEP_1) | instskip(NEXT) | instid1(VALU_DEP_1)
	v_fmaak_f32 v8, v7, v8, 0xbd97d4d7
	v_fmaak_f32 v8, v7, v8, 0x3dd931b2
	;; [unrolled: 3-line block ×3, first 2 shown]
	s_delay_alu instid0(VALU_DEP_1) | instskip(NEXT) | instid1(VALU_DEP_1)
	v_fmaak_f32 v8, v7, v8, 0xbeaaaa62
	v_mul_f32_e32 v7, v7, v8
	s_delay_alu instid0(VALU_DEP_1) | instskip(NEXT) | instid1(VALU_DEP_1)
	v_fmac_f32_e32 v6, v6, v7
	v_sub_f32_e32 v7, 0x3fc90fdb, v6
	s_delay_alu instid0(VALU_DEP_1) | instskip(SKIP_1) | instid1(VALU_DEP_2)
	v_cndmask_b32_e32 v6, v6, v7, vcc_lo
	v_cmp_gt_i32_e32 vcc_lo, 0, v23
	v_sub_f32_e32 v7, 0x40490fdb, v6
	v_cndmask_b32_e64 v8, 0, 0x40490fdb, vcc_lo
	v_cmp_gt_f32_e32 vcc_lo, 0, v23
	s_delay_alu instid0(VALU_DEP_3) | instskip(SKIP_2) | instid1(VALU_DEP_2)
	v_cndmask_b32_e32 v6, v6, v7, vcc_lo
	v_cndmask_b32_e32 v7, 0x3f490fdb, v17, vcc_lo
	s_and_b32 vcc_lo, s0, s21
	v_cndmask_b32_e64 v6, v6, v8, s1
	s_delay_alu instid0(VALU_DEP_1) | instskip(SKIP_1) | instid1(VALU_DEP_2)
	v_cndmask_b32_e32 v6, v6, v7, vcc_lo
	v_cmp_o_f32_e32 vcc_lo, v23, v22
	v_cndmask_b32_e64 v6, 0x7fc00000, |v6|, vcc_lo
.LBB63_476:                             ;   in Loop: Header=BB63_418 Depth=1
	s_or_b32 exec_lo, exec_lo, s20
	v_bfi_b32 v7, 0x7fffffff, v20, v11
	s_delay_alu instid0(VALU_DEP_2)
	v_bfi_b32 v6, 0x7fffffff, v6, v10
.LBB63_477:                             ;   in Loop: Header=BB63_418 Depth=1
	s_or_b32 exec_lo, exec_lo, s19
.LBB63_478:                             ;   in Loop: Header=BB63_418 Depth=1
	s_delay_alu instid0(SALU_CYCLE_1)
	s_or_b32 exec_lo, exec_lo, s18
                                        ; implicit-def: $vgpr9
                                        ; implicit-def: $vgpr18
                                        ; implicit-def: $vgpr8
.LBB63_479:                             ;   in Loop: Header=BB63_418 Depth=1
	s_and_not1_saveexec_b32 s17, s17
	s_cbranch_execz .LBB63_501
; %bb.480:                              ;   in Loop: Header=BB63_418 Depth=1
                                        ; implicit-def: $vgpr6
                                        ; implicit-def: $vgpr7
	s_mov_b32 s0, exec_lo
	v_cmpx_lt_i32_e32 -1, v11
	s_xor_b32 s18, exec_lo, s0
	s_cbranch_execz .LBB63_490
; %bb.481:                              ;   in Loop: Header=BB63_418 Depth=1
	v_cmp_lt_f32_e64 s0, |v11|, |v10|
                                        ; implicit-def: $vgpr6
                                        ; implicit-def: $vgpr7
	s_mov_b32 s1, exec_lo
	s_delay_alu instid0(VALU_DEP_1) | instskip(NEXT) | instid1(VALU_DEP_1)
	v_cndmask_b32_e64 v19, |v11|, |v10|, s0
	v_cmpx_nlt_f32_e32 0x7effffff, v19
	s_xor_b32 s19, exec_lo, s1
	s_cbranch_execz .LBB63_487
; %bb.482:                              ;   in Loop: Header=BB63_418 Depth=1
	v_cndmask_b32_e64 v20, |v10|, |v11|, s0
	v_cmp_nlt_f32_e32 vcc_lo, 0x5e000000, v19
                                        ; implicit-def: $vgpr6
                                        ; implicit-def: $vgpr7
	s_delay_alu instid0(VALU_DEP_2) | instskip(NEXT) | instid1(VALU_DEP_1)
	v_cmp_ngt_f32_e64 s1, 0x20000000, v20
	s_and_b32 s1, vcc_lo, s1
	s_delay_alu instid0(SALU_CYCLE_1) | instskip(NEXT) | instid1(SALU_CYCLE_1)
	s_and_saveexec_b32 s20, s1
	s_xor_b32 s20, exec_lo, s20
	s_cbranch_execz .LBB63_484
; %bb.483:                              ;   in Loop: Header=BB63_418 Depth=1
	v_frexp_mant_f32_e32 v6, v8
	v_min_f32_e32 v7, v9, v18
	v_frexp_exp_i32_f32_e32 v8, v8
	s_delay_alu instid0(VALU_DEP_3) | instskip(NEXT) | instid1(VALU_DEP_2)
	v_rcp_f32_e32 v6, v6
	v_frexp_mant_f32_e32 v18, v7
	v_mul_f32_e32 v9, v20, v20
	v_frexp_exp_i32_f32_e32 v7, v7
	s_delay_alu instid0(VALU_DEP_1) | instskip(SKIP_2) | instid1(VALU_DEP_1)
	v_sub_nc_u32_e32 v7, v7, v8
	s_waitcnt_depctr 0xfff
	v_dual_mul_f32 v6, v18, v6 :: v_dual_fmac_f32 v9, v19, v19
	v_ldexp_f32 v7, v6, v7
	s_delay_alu instid0(VALU_DEP_2) | instskip(SKIP_1) | instid1(VALU_DEP_1)
	v_cmp_gt_f32_e32 vcc_lo, 0x800000, v9
	v_cndmask_b32_e64 v8, 1.0, 0x4f800000, vcc_lo
	v_mul_f32_e32 v6, v9, v8
	s_delay_alu instid0(VALU_DEP_4) | instskip(NEXT) | instid1(VALU_DEP_1)
	v_mul_f32_e32 v8, v7, v7
	v_fmaak_f32 v9, s15, v8, 0xbc7a590c
	s_delay_alu instid0(VALU_DEP_1) | instskip(NEXT) | instid1(VALU_DEP_4)
	v_fmaak_f32 v9, v8, v9, 0x3d29fb3f
	v_log_f32_e32 v6, v6
	s_waitcnt_depctr 0xfff
	v_mul_f32_e32 v18, 0x3f317217, v6
	v_cmp_gt_f32_e64 s1, 0x7f800000, |v6|
	s_delay_alu instid0(VALU_DEP_2) | instskip(NEXT) | instid1(VALU_DEP_1)
	v_fma_f32 v19, 0x3f317217, v6, -v18
	v_fmac_f32_e32 v19, 0x3377d1cf, v6
	s_delay_alu instid0(VALU_DEP_1) | instskip(NEXT) | instid1(VALU_DEP_1)
	v_add_f32_e32 v18, v18, v19
	v_cndmask_b32_e64 v6, v6, v18, s1
	v_cndmask_b32_e64 v18, 0, 0x41b17218, vcc_lo
	s_delay_alu instid0(VALU_DEP_1) | instskip(NEXT) | instid1(VALU_DEP_1)
	v_dual_sub_f32 v6, v6, v18 :: v_dual_fmaak_f32 v9, v8, v9, 0xbd97d4d7
                                        ; implicit-def: $vgpr18
	v_dual_mul_f32 v6, 0.5, v6 :: v_dual_fmaak_f32 v9, v8, v9, 0x3dd931b2
	s_delay_alu instid0(VALU_DEP_1) | instskip(NEXT) | instid1(VALU_DEP_1)
	v_fmaak_f32 v9, v8, v9, 0xbe1160e6
	v_fmaak_f32 v9, v8, v9, 0x3e4cb8bf
	s_delay_alu instid0(VALU_DEP_1) | instskip(NEXT) | instid1(VALU_DEP_1)
	v_fmaak_f32 v9, v8, v9, 0xbeaaaa62
	v_mul_f32_e32 v8, v8, v9
                                        ; implicit-def: $vgpr9
	s_delay_alu instid0(VALU_DEP_1)
	v_fmac_f32_e32 v7, v7, v8
                                        ; implicit-def: $vgpr8
.LBB63_484:                             ;   in Loop: Header=BB63_418 Depth=1
	s_and_not1_saveexec_b32 s1, s20
	s_cbranch_execz .LBB63_486
; %bb.485:                              ;   in Loop: Header=BB63_418 Depth=1
	v_cvt_f64_f32_e32 v[6:7], v8
	v_cmp_neq_f32_e32 vcc_lo, 0x7f800000, v8
	v_min_f32_e32 v9, v9, v18
	v_frexp_exp_i32_f32_e32 v18, v8
	s_delay_alu instid0(VALU_DEP_2) | instskip(SKIP_1) | instid1(VALU_DEP_2)
	v_frexp_exp_i32_f32_e32 v20, v9
	v_frexp_mant_f32_e32 v9, v9
	v_sub_nc_u32_e32 v18, v20, v18
	v_frexp_exp_i32_f64_e32 v6, v[6:7]
	s_delay_alu instid0(VALU_DEP_1) | instskip(NEXT) | instid1(VALU_DEP_1)
	v_sub_nc_u32_e32 v7, 0, v6
	v_ldexp_f32 v19, |v10|, v7
	v_ldexp_f32 v7, |v11|, v7
	s_delay_alu instid0(VALU_DEP_2) | instskip(NEXT) | instid1(VALU_DEP_1)
	v_mul_f32_e32 v19, v19, v19
	v_fmac_f32_e32 v19, v7, v7
	v_frexp_mant_f32_e32 v7, v8
	s_delay_alu instid0(VALU_DEP_2) | instskip(NEXT) | instid1(VALU_DEP_1)
	v_sqrt_f32_e32 v19, v19
	v_rcp_f32_e32 v7, v7
	s_waitcnt_depctr 0xfff
	v_ldexp_f32 v6, v19, v6
	s_delay_alu instid0(VALU_DEP_1) | instskip(NEXT) | instid1(VALU_DEP_1)
	v_dual_mul_f32 v7, v9, v7 :: v_dual_cndmask_b32 v6, 0x7f800000, v6
	v_ldexp_f32 v7, v7, v18
	s_delay_alu instid0(VALU_DEP_2) | instskip(SKIP_1) | instid1(VALU_DEP_1)
	v_cmp_gt_f32_e32 vcc_lo, 0x800000, v6
	v_cndmask_b32_e64 v8, 1.0, 0x4f800000, vcc_lo
	v_mul_f32_e32 v6, v6, v8
	s_delay_alu instid0(VALU_DEP_1) | instskip(SKIP_2) | instid1(VALU_DEP_1)
	v_log_f32_e32 v6, v6
	s_waitcnt_depctr 0xfff
	v_dual_mul_f32 v9, v7, v7 :: v_dual_mul_f32 v18, 0x3f317217, v6
	v_fmaak_f32 v8, s15, v9, 0xbc7a590c
	s_delay_alu instid0(VALU_DEP_2) | instskip(NEXT) | instid1(VALU_DEP_2)
	v_fma_f32 v19, 0x3f317217, v6, -v18
	v_fmaak_f32 v8, v9, v8, 0x3d29fb3f
	s_delay_alu instid0(VALU_DEP_1) | instskip(NEXT) | instid1(VALU_DEP_1)
	v_fmaak_f32 v8, v9, v8, 0xbd97d4d7
	v_fmaak_f32 v8, v9, v8, 0x3dd931b2
	s_delay_alu instid0(VALU_DEP_1) | instskip(NEXT) | instid1(VALU_DEP_1)
	v_fmaak_f32 v8, v9, v8, 0xbe1160e6
	;; [unrolled: 3-line block ×3, first 2 shown]
	v_dual_fmac_f32 v19, 0x3377d1cf, v6 :: v_dual_mul_f32 v8, v9, v8
	s_delay_alu instid0(VALU_DEP_1) | instskip(SKIP_2) | instid1(VALU_DEP_3)
	v_add_f32_e32 v18, v18, v19
	v_cndmask_b32_e64 v19, 0, 0x41b17218, vcc_lo
	v_cmp_gt_f32_e64 vcc_lo, 0x7f800000, |v6|
	v_dual_fmac_f32 v7, v7, v8 :: v_dual_cndmask_b32 v6, v6, v18
	s_delay_alu instid0(VALU_DEP_1)
	v_sub_f32_e32 v6, v6, v19
.LBB63_486:                             ;   in Loop: Header=BB63_418 Depth=1
	s_or_b32 exec_lo, exec_lo, s1
                                        ; implicit-def: $vgpr9
                                        ; implicit-def: $vgpr18
                                        ; implicit-def: $vgpr8
.LBB63_487:                             ;   in Loop: Header=BB63_418 Depth=1
	s_and_not1_saveexec_b32 s19, s19
	s_cbranch_execz .LBB63_489
; %bb.488:                              ;   in Loop: Header=BB63_418 Depth=1
	v_div_scale_f32 v6, null, 0x402df854, 0x402df854, v11
	v_div_scale_f32 v7, null, 0x402df854, 0x402df854, v10
	v_div_scale_f32 v23, vcc_lo, v11, 0x402df854, v11
	s_delay_alu instid0(VALU_DEP_3) | instskip(NEXT) | instid1(VALU_DEP_2)
	v_rcp_f32_e32 v19, v6
	v_rcp_f32_e32 v20, v7
	v_min_f32_e32 v9, v9, v18
	s_waitcnt_depctr 0xfff
	v_fma_f32 v21, -v6, v19, 1.0
	v_fma_f32 v22, -v7, v20, 1.0
	s_delay_alu instid0(VALU_DEP_1) | instskip(SKIP_1) | instid1(VALU_DEP_2)
	v_dual_fmac_f32 v19, v21, v19 :: v_dual_fmac_f32 v20, v22, v20
	v_div_scale_f32 v21, s1, v10, 0x402df854, v10
	v_mul_f32_e32 v22, v23, v19
	s_waitcnt lgkmcnt(0)
	s_delay_alu instid0(VALU_DEP_2) | instskip(NEXT) | instid1(VALU_DEP_2)
	v_mul_f32_e32 v24, v21, v20
	v_fma_f32 v25, -v6, v22, v23
	s_delay_alu instid0(VALU_DEP_2) | instskip(NEXT) | instid1(VALU_DEP_2)
	v_fma_f32 v26, -v7, v24, v21
	v_fmac_f32_e32 v22, v25, v19
	s_delay_alu instid0(VALU_DEP_2) | instskip(NEXT) | instid1(VALU_DEP_2)
	v_fmac_f32_e32 v24, v26, v20
	v_fma_f32 v6, -v6, v22, v23
	s_delay_alu instid0(VALU_DEP_2) | instskip(NEXT) | instid1(VALU_DEP_2)
	v_fma_f32 v7, -v7, v24, v21
	v_div_fmas_f32 v6, v6, v19, v22
	s_mov_b32 vcc_lo, s1
	s_delay_alu instid0(VALU_DEP_2) | instskip(NEXT) | instid1(VALU_DEP_2)
	v_div_fmas_f32 v7, v7, v20, v24
	v_div_fixup_f32 v19, v6, 0x402df854, v11
	s_delay_alu instid0(VALU_DEP_2) | instskip(NEXT) | instid1(VALU_DEP_1)
	v_div_fixup_f32 v20, v7, 0x402df854, v10
	v_max_f32_e64 v21, |v19|, |v20|
	s_delay_alu instid0(VALU_DEP_1) | instskip(SKIP_1) | instid1(VALU_DEP_2)
	v_cvt_f64_f32_e32 v[6:7], v21
	v_cmp_neq_f32_e32 vcc_lo, 0x7f800000, v21
	v_frexp_exp_i32_f64_e32 v6, v[6:7]
	s_delay_alu instid0(VALU_DEP_1) | instskip(NEXT) | instid1(VALU_DEP_1)
	v_sub_nc_u32_e32 v7, 0, v6
	v_ldexp_f32 v20, |v20|, v7
	v_ldexp_f32 v7, |v19|, v7
	s_delay_alu instid0(VALU_DEP_2) | instskip(NEXT) | instid1(VALU_DEP_1)
	v_mul_f32_e32 v19, v20, v20
	v_fmac_f32_e32 v19, v7, v7
	s_delay_alu instid0(VALU_DEP_1) | instskip(SKIP_2) | instid1(VALU_DEP_2)
	v_sqrt_f32_e32 v7, v19
	v_frexp_mant_f32_e32 v19, v8
	v_frexp_exp_i32_f32_e32 v8, v8
	v_rcp_f32_e32 v18, v19
	s_waitcnt_depctr 0xfff
	v_ldexp_f32 v6, v7, v6
	v_frexp_exp_i32_f32_e32 v7, v9
	v_frexp_mant_f32_e32 v9, v9
	s_delay_alu instid0(VALU_DEP_2) | instskip(NEXT) | instid1(VALU_DEP_2)
	v_sub_nc_u32_e32 v7, v7, v8
	v_mul_f32_e32 v8, v9, v18
	s_delay_alu instid0(VALU_DEP_1) | instskip(SKIP_1) | instid1(VALU_DEP_1)
	v_ldexp_f32 v7, v8, v7
	v_cndmask_b32_e32 v6, 0x7f800000, v6, vcc_lo
	v_cmp_gt_f32_e32 vcc_lo, 0x800000, v6
	v_cndmask_b32_e64 v9, 1.0, 0x4f800000, vcc_lo
	s_delay_alu instid0(VALU_DEP_1) | instskip(NEXT) | instid1(VALU_DEP_1)
	v_mul_f32_e32 v6, v6, v9
	v_log_f32_e32 v6, v6
	s_waitcnt_depctr 0xfff
	v_mul_f32_e32 v18, 0x3f317217, v6
	s_delay_alu instid0(VALU_DEP_1) | instskip(NEXT) | instid1(VALU_DEP_1)
	v_fma_f32 v19, 0x3f317217, v6, -v18
	v_dual_mul_f32 v8, v7, v7 :: v_dual_fmac_f32 v19, 0x3377d1cf, v6
	s_delay_alu instid0(VALU_DEP_1) | instskip(NEXT) | instid1(VALU_DEP_1)
	v_dual_fmaak_f32 v9, s15, v8, 0xbc7a590c :: v_dual_add_f32 v18, v18, v19
	v_fmaak_f32 v9, v8, v9, 0x3d29fb3f
	v_cndmask_b32_e64 v19, 0, 0x41b17218, vcc_lo
	v_cmp_gt_f32_e64 vcc_lo, 0x7f800000, |v6|
	s_delay_alu instid0(VALU_DEP_3) | instskip(NEXT) | instid1(VALU_DEP_1)
	v_dual_fmaak_f32 v9, v8, v9, 0xbd97d4d7 :: v_dual_cndmask_b32 v6, v6, v18
	v_dual_fmaak_f32 v9, v8, v9, 0x3dd931b2 :: v_dual_sub_f32 v6, v6, v19
	s_delay_alu instid0(VALU_DEP_1) | instskip(NEXT) | instid1(VALU_DEP_1)
	v_dual_fmaak_f32 v9, v8, v9, 0xbe1160e6 :: v_dual_add_f32 v6, 1.0, v6
	v_fmaak_f32 v9, v8, v9, 0x3e4cb8bf
	s_delay_alu instid0(VALU_DEP_1) | instskip(NEXT) | instid1(VALU_DEP_1)
	v_fmaak_f32 v9, v8, v9, 0xbeaaaa62
	v_mul_f32_e32 v8, v8, v9
	s_delay_alu instid0(VALU_DEP_1)
	v_fmac_f32_e32 v7, v7, v8
.LBB63_489:                             ;   in Loop: Header=BB63_418 Depth=1
	s_or_b32 exec_lo, exec_lo, s19
	s_delay_alu instid0(VALU_DEP_1) | instskip(NEXT) | instid1(VALU_DEP_1)
	v_sub_f32_e32 v8, 0x3fc90fdb, v7
                                        ; implicit-def: $vgpr9
                                        ; implicit-def: $vgpr18
	v_cndmask_b32_e64 v7, v7, v8, s0
                                        ; implicit-def: $vgpr8
.LBB63_490:                             ;   in Loop: Header=BB63_418 Depth=1
	s_and_not1_saveexec_b32 s18, s18
	s_cbranch_execz .LBB63_500
; %bb.491:                              ;   in Loop: Header=BB63_418 Depth=1
	v_cmp_lt_f32_e64 s0, |v11|, |v10|
                                        ; implicit-def: $vgpr6
                                        ; implicit-def: $vgpr7
	s_mov_b32 s1, exec_lo
	s_delay_alu instid0(VALU_DEP_1) | instskip(NEXT) | instid1(VALU_DEP_1)
	v_cndmask_b32_e64 v19, |v11|, |v10|, s0
	v_cmpx_nlt_f32_e32 0x7effffff, v19
	s_xor_b32 s19, exec_lo, s1
	s_cbranch_execz .LBB63_497
; %bb.492:                              ;   in Loop: Header=BB63_418 Depth=1
	v_cndmask_b32_e64 v20, |v10|, |v11|, s0
	v_cmp_nlt_f32_e32 vcc_lo, 0x5e000000, v19
                                        ; implicit-def: $vgpr6
                                        ; implicit-def: $vgpr7
	s_delay_alu instid0(VALU_DEP_2) | instskip(NEXT) | instid1(VALU_DEP_1)
	v_cmp_ngt_f32_e64 s1, 0x20000000, v20
	s_and_b32 s1, vcc_lo, s1
	s_delay_alu instid0(SALU_CYCLE_1) | instskip(NEXT) | instid1(SALU_CYCLE_1)
	s_and_saveexec_b32 s20, s1
	s_xor_b32 s20, exec_lo, s20
	s_cbranch_execz .LBB63_494
; %bb.493:                              ;   in Loop: Header=BB63_418 Depth=1
	v_frexp_mant_f32_e32 v6, v8
	v_min_f32_e32 v7, v9, v18
	v_frexp_exp_i32_f32_e32 v8, v8
	s_delay_alu instid0(VALU_DEP_3) | instskip(NEXT) | instid1(VALU_DEP_2)
	v_rcp_f32_e32 v6, v6
	v_frexp_mant_f32_e32 v18, v7
	v_mul_f32_e32 v9, v20, v20
	v_frexp_exp_i32_f32_e32 v7, v7
	s_delay_alu instid0(VALU_DEP_1) | instskip(SKIP_2) | instid1(VALU_DEP_1)
	v_sub_nc_u32_e32 v7, v7, v8
	s_waitcnt_depctr 0xfff
	v_dual_mul_f32 v6, v18, v6 :: v_dual_fmac_f32 v9, v19, v19
	v_ldexp_f32 v7, v6, v7
	s_delay_alu instid0(VALU_DEP_2) | instskip(SKIP_1) | instid1(VALU_DEP_1)
	v_cmp_gt_f32_e32 vcc_lo, 0x800000, v9
	v_cndmask_b32_e64 v8, 1.0, 0x4f800000, vcc_lo
	v_mul_f32_e32 v6, v9, v8
	s_delay_alu instid0(VALU_DEP_4) | instskip(NEXT) | instid1(VALU_DEP_1)
	v_mul_f32_e32 v8, v7, v7
	v_fmaak_f32 v9, s15, v8, 0xbc7a590c
	s_delay_alu instid0(VALU_DEP_1) | instskip(NEXT) | instid1(VALU_DEP_4)
	v_fmaak_f32 v9, v8, v9, 0x3d29fb3f
	v_log_f32_e32 v6, v6
	s_waitcnt_depctr 0xfff
	v_mul_f32_e32 v18, 0x3f317217, v6
	v_cmp_gt_f32_e64 s1, 0x7f800000, |v6|
	s_delay_alu instid0(VALU_DEP_2) | instskip(NEXT) | instid1(VALU_DEP_1)
	v_fma_f32 v19, 0x3f317217, v6, -v18
	v_fmac_f32_e32 v19, 0x3377d1cf, v6
	s_delay_alu instid0(VALU_DEP_1) | instskip(NEXT) | instid1(VALU_DEP_1)
	v_add_f32_e32 v18, v18, v19
	v_cndmask_b32_e64 v6, v6, v18, s1
	v_cndmask_b32_e64 v18, 0, 0x41b17218, vcc_lo
	s_delay_alu instid0(VALU_DEP_1) | instskip(NEXT) | instid1(VALU_DEP_1)
	v_dual_sub_f32 v6, v6, v18 :: v_dual_fmaak_f32 v9, v8, v9, 0xbd97d4d7
                                        ; implicit-def: $vgpr18
	v_dual_mul_f32 v6, 0.5, v6 :: v_dual_fmaak_f32 v9, v8, v9, 0x3dd931b2
	s_delay_alu instid0(VALU_DEP_1) | instskip(NEXT) | instid1(VALU_DEP_1)
	v_fmaak_f32 v9, v8, v9, 0xbe1160e6
	v_fmaak_f32 v9, v8, v9, 0x3e4cb8bf
	s_delay_alu instid0(VALU_DEP_1) | instskip(NEXT) | instid1(VALU_DEP_1)
	v_fmaak_f32 v9, v8, v9, 0xbeaaaa62
	v_mul_f32_e32 v8, v8, v9
                                        ; implicit-def: $vgpr9
	s_delay_alu instid0(VALU_DEP_1)
	v_fmac_f32_e32 v7, v7, v8
                                        ; implicit-def: $vgpr8
.LBB63_494:                             ;   in Loop: Header=BB63_418 Depth=1
	s_and_not1_saveexec_b32 s1, s20
	s_cbranch_execz .LBB63_496
; %bb.495:                              ;   in Loop: Header=BB63_418 Depth=1
	v_cvt_f64_f32_e32 v[6:7], v8
	v_cmp_neq_f32_e32 vcc_lo, 0x7f800000, v8
	v_min_f32_e32 v9, v9, v18
	v_frexp_exp_i32_f32_e32 v18, v8
	s_delay_alu instid0(VALU_DEP_2) | instskip(SKIP_1) | instid1(VALU_DEP_2)
	v_frexp_exp_i32_f32_e32 v20, v9
	v_frexp_mant_f32_e32 v9, v9
	v_sub_nc_u32_e32 v18, v20, v18
	v_frexp_exp_i32_f64_e32 v6, v[6:7]
	s_delay_alu instid0(VALU_DEP_1) | instskip(NEXT) | instid1(VALU_DEP_1)
	v_sub_nc_u32_e32 v7, 0, v6
	v_ldexp_f32 v19, |v10|, v7
	v_ldexp_f32 v7, |v11|, v7
	s_delay_alu instid0(VALU_DEP_2) | instskip(NEXT) | instid1(VALU_DEP_1)
	v_mul_f32_e32 v19, v19, v19
	v_fmac_f32_e32 v19, v7, v7
	v_frexp_mant_f32_e32 v7, v8
	s_delay_alu instid0(VALU_DEP_2) | instskip(NEXT) | instid1(VALU_DEP_1)
	v_sqrt_f32_e32 v19, v19
	v_rcp_f32_e32 v7, v7
	s_waitcnt_depctr 0xfff
	v_ldexp_f32 v6, v19, v6
	s_delay_alu instid0(VALU_DEP_1) | instskip(NEXT) | instid1(VALU_DEP_1)
	v_dual_mul_f32 v7, v9, v7 :: v_dual_cndmask_b32 v6, 0x7f800000, v6
	v_ldexp_f32 v7, v7, v18
	s_delay_alu instid0(VALU_DEP_2) | instskip(SKIP_1) | instid1(VALU_DEP_1)
	v_cmp_gt_f32_e32 vcc_lo, 0x800000, v6
	v_cndmask_b32_e64 v8, 1.0, 0x4f800000, vcc_lo
	v_mul_f32_e32 v6, v6, v8
	s_delay_alu instid0(VALU_DEP_1) | instskip(SKIP_2) | instid1(VALU_DEP_1)
	v_log_f32_e32 v6, v6
	s_waitcnt_depctr 0xfff
	v_dual_mul_f32 v9, v7, v7 :: v_dual_mul_f32 v18, 0x3f317217, v6
	v_fmaak_f32 v8, s15, v9, 0xbc7a590c
	s_delay_alu instid0(VALU_DEP_2) | instskip(NEXT) | instid1(VALU_DEP_2)
	v_fma_f32 v19, 0x3f317217, v6, -v18
	v_fmaak_f32 v8, v9, v8, 0x3d29fb3f
	s_delay_alu instid0(VALU_DEP_1) | instskip(NEXT) | instid1(VALU_DEP_1)
	v_fmaak_f32 v8, v9, v8, 0xbd97d4d7
	v_fmaak_f32 v8, v9, v8, 0x3dd931b2
	s_delay_alu instid0(VALU_DEP_1) | instskip(NEXT) | instid1(VALU_DEP_1)
	v_fmaak_f32 v8, v9, v8, 0xbe1160e6
	;; [unrolled: 3-line block ×3, first 2 shown]
	v_dual_fmac_f32 v19, 0x3377d1cf, v6 :: v_dual_mul_f32 v8, v9, v8
	s_delay_alu instid0(VALU_DEP_1) | instskip(SKIP_2) | instid1(VALU_DEP_3)
	v_add_f32_e32 v18, v18, v19
	v_cndmask_b32_e64 v19, 0, 0x41b17218, vcc_lo
	v_cmp_gt_f32_e64 vcc_lo, 0x7f800000, |v6|
	v_dual_fmac_f32 v7, v7, v8 :: v_dual_cndmask_b32 v6, v6, v18
	s_delay_alu instid0(VALU_DEP_1)
	v_sub_f32_e32 v6, v6, v19
.LBB63_496:                             ;   in Loop: Header=BB63_418 Depth=1
	s_or_b32 exec_lo, exec_lo, s1
                                        ; implicit-def: $vgpr9
                                        ; implicit-def: $vgpr18
                                        ; implicit-def: $vgpr8
.LBB63_497:                             ;   in Loop: Header=BB63_418 Depth=1
	s_and_not1_saveexec_b32 s19, s19
	s_cbranch_execz .LBB63_499
; %bb.498:                              ;   in Loop: Header=BB63_418 Depth=1
	v_div_scale_f32 v6, null, 0xc02df854, 0xc02df854, v11
	v_div_scale_f32 v7, null, 0xc02df854, 0xc02df854, v10
	v_div_scale_f32 v23, vcc_lo, v11, 0xc02df854, v11
	s_delay_alu instid0(VALU_DEP_3) | instskip(NEXT) | instid1(VALU_DEP_2)
	v_rcp_f32_e32 v19, v6
	v_rcp_f32_e32 v20, v7
	v_min_f32_e32 v9, v9, v18
	s_waitcnt_depctr 0xfff
	v_fma_f32 v21, -v6, v19, 1.0
	v_fma_f32 v22, -v7, v20, 1.0
	s_delay_alu instid0(VALU_DEP_1) | instskip(SKIP_1) | instid1(VALU_DEP_2)
	v_dual_fmac_f32 v19, v21, v19 :: v_dual_fmac_f32 v20, v22, v20
	v_div_scale_f32 v21, s1, v10, 0xc02df854, v10
	v_mul_f32_e32 v22, v23, v19
	s_waitcnt lgkmcnt(0)
	s_delay_alu instid0(VALU_DEP_2) | instskip(NEXT) | instid1(VALU_DEP_2)
	v_mul_f32_e32 v24, v21, v20
	v_fma_f32 v25, -v6, v22, v23
	s_delay_alu instid0(VALU_DEP_2) | instskip(NEXT) | instid1(VALU_DEP_2)
	v_fma_f32 v26, -v7, v24, v21
	v_fmac_f32_e32 v22, v25, v19
	s_delay_alu instid0(VALU_DEP_2) | instskip(NEXT) | instid1(VALU_DEP_2)
	v_fmac_f32_e32 v24, v26, v20
	v_fma_f32 v6, -v6, v22, v23
	s_delay_alu instid0(VALU_DEP_2) | instskip(NEXT) | instid1(VALU_DEP_2)
	v_fma_f32 v7, -v7, v24, v21
	v_div_fmas_f32 v6, v6, v19, v22
	s_mov_b32 vcc_lo, s1
	s_delay_alu instid0(VALU_DEP_2) | instskip(NEXT) | instid1(VALU_DEP_2)
	v_div_fmas_f32 v7, v7, v20, v24
	v_div_fixup_f32 v19, v6, 0xc02df854, v11
	s_delay_alu instid0(VALU_DEP_2) | instskip(NEXT) | instid1(VALU_DEP_1)
	v_div_fixup_f32 v20, v7, 0xc02df854, v10
	v_max_f32_e64 v21, |v19|, |v20|
	s_delay_alu instid0(VALU_DEP_1) | instskip(SKIP_1) | instid1(VALU_DEP_2)
	v_cvt_f64_f32_e32 v[6:7], v21
	v_cmp_neq_f32_e32 vcc_lo, 0x7f800000, v21
	v_frexp_exp_i32_f64_e32 v6, v[6:7]
	s_delay_alu instid0(VALU_DEP_1) | instskip(NEXT) | instid1(VALU_DEP_1)
	v_sub_nc_u32_e32 v7, 0, v6
	v_ldexp_f32 v20, |v20|, v7
	v_ldexp_f32 v7, |v19|, v7
	s_delay_alu instid0(VALU_DEP_2) | instskip(NEXT) | instid1(VALU_DEP_1)
	v_mul_f32_e32 v19, v20, v20
	v_fmac_f32_e32 v19, v7, v7
	s_delay_alu instid0(VALU_DEP_1) | instskip(SKIP_2) | instid1(VALU_DEP_2)
	v_sqrt_f32_e32 v7, v19
	v_frexp_mant_f32_e32 v19, v8
	v_frexp_exp_i32_f32_e32 v8, v8
	v_rcp_f32_e32 v18, v19
	s_waitcnt_depctr 0xfff
	v_ldexp_f32 v6, v7, v6
	v_frexp_exp_i32_f32_e32 v7, v9
	v_frexp_mant_f32_e32 v9, v9
	s_delay_alu instid0(VALU_DEP_2) | instskip(NEXT) | instid1(VALU_DEP_2)
	v_sub_nc_u32_e32 v7, v7, v8
	v_mul_f32_e32 v8, v9, v18
	s_delay_alu instid0(VALU_DEP_1) | instskip(SKIP_1) | instid1(VALU_DEP_1)
	v_ldexp_f32 v7, v8, v7
	v_cndmask_b32_e32 v6, 0x7f800000, v6, vcc_lo
	v_cmp_gt_f32_e32 vcc_lo, 0x800000, v6
	v_cndmask_b32_e64 v9, 1.0, 0x4f800000, vcc_lo
	s_delay_alu instid0(VALU_DEP_1) | instskip(NEXT) | instid1(VALU_DEP_1)
	v_mul_f32_e32 v6, v6, v9
	v_log_f32_e32 v6, v6
	s_waitcnt_depctr 0xfff
	v_mul_f32_e32 v18, 0x3f317217, v6
	s_delay_alu instid0(VALU_DEP_1) | instskip(NEXT) | instid1(VALU_DEP_1)
	v_fma_f32 v19, 0x3f317217, v6, -v18
	v_dual_mul_f32 v8, v7, v7 :: v_dual_fmac_f32 v19, 0x3377d1cf, v6
	s_delay_alu instid0(VALU_DEP_1) | instskip(NEXT) | instid1(VALU_DEP_1)
	v_dual_fmaak_f32 v9, s15, v8, 0xbc7a590c :: v_dual_add_f32 v18, v18, v19
	v_fmaak_f32 v9, v8, v9, 0x3d29fb3f
	v_cndmask_b32_e64 v19, 0, 0x41b17218, vcc_lo
	v_cmp_gt_f32_e64 vcc_lo, 0x7f800000, |v6|
	s_delay_alu instid0(VALU_DEP_3) | instskip(NEXT) | instid1(VALU_DEP_1)
	v_dual_fmaak_f32 v9, v8, v9, 0xbd97d4d7 :: v_dual_cndmask_b32 v6, v6, v18
	v_dual_fmaak_f32 v9, v8, v9, 0x3dd931b2 :: v_dual_sub_f32 v6, v6, v19
	s_delay_alu instid0(VALU_DEP_1) | instskip(NEXT) | instid1(VALU_DEP_1)
	v_dual_fmaak_f32 v9, v8, v9, 0xbe1160e6 :: v_dual_add_f32 v6, 1.0, v6
	v_fmaak_f32 v9, v8, v9, 0x3e4cb8bf
	s_delay_alu instid0(VALU_DEP_1) | instskip(NEXT) | instid1(VALU_DEP_1)
	v_fmaak_f32 v9, v8, v9, 0xbeaaaa62
	v_mul_f32_e32 v8, v8, v9
	s_delay_alu instid0(VALU_DEP_1)
	v_fmac_f32_e32 v7, v7, v8
.LBB63_499:                             ;   in Loop: Header=BB63_418 Depth=1
	s_or_b32 exec_lo, exec_lo, s19
	s_delay_alu instid0(VALU_DEP_1) | instskip(NEXT) | instid1(VALU_DEP_1)
	v_sub_f32_e32 v8, 0x3fc90fdb, v7
	v_cndmask_b32_e64 v7, v7, v8, s0
.LBB63_500:                             ;   in Loop: Header=BB63_418 Depth=1
	s_or_b32 exec_lo, exec_lo, s18
	v_cmp_neq_f32_e32 vcc_lo, 0, v10
	v_cmp_class_f32_e64 s0, v11, 0x204
	v_cmp_class_f32_e64 s1, v10, 0x204
	v_dual_add_f32 v6, 0x3f317218, v6 :: v_dual_cndmask_b32 v7, 0, v7
	v_cmp_o_f32_e32 vcc_lo, v10, v11
	s_delay_alu instid0(VALU_DEP_3)
	s_and_b32 s0, s1, s0
	s_delay_alu instid0(VALU_DEP_2) | instid1(SALU_CYCLE_1)
	v_cndmask_b32_e64 v7, v7, 0x3f490fdb, s0
	s_delay_alu instid0(VALU_DEP_1) | instskip(SKIP_1) | instid1(VALU_DEP_2)
	v_cndmask_b32_e32 v8, 0x7fc00000, v7, vcc_lo
	v_bfi_b32 v7, 0x7fffffff, v6, v11
	v_bfi_b32 v6, 0x7fffffff, v8, v10
.LBB63_501:                             ;   in Loop: Header=BB63_418 Depth=1
	s_or_b32 exec_lo, exec_lo, s17
.LBB63_502:                             ;   in Loop: Header=BB63_418 Depth=1
	s_and_not1_saveexec_b32 s0, s16
	s_cbranch_execz .LBB63_516
; %bb.503:                              ;   in Loop: Header=BB63_418 Depth=1
	v_cmp_neq_f32_e64 s1, 0x7f800000, |v11|
                                        ; implicit-def: $vgpr6
	s_delay_alu instid0(VALU_DEP_1) | instskip(NEXT) | instid1(SALU_CYCLE_1)
	s_and_saveexec_b32 s16, s1
	s_xor_b32 s1, exec_lo, s16
	s_cbranch_execz .LBB63_513
; %bb.504:                              ;   in Loop: Header=BB63_418 Depth=1
	v_cmp_neq_f32_e64 s16, 0x7f800000, |v10|
                                        ; implicit-def: $vgpr6
	s_delay_alu instid0(VALU_DEP_1) | instskip(NEXT) | instid1(SALU_CYCLE_1)
	s_and_saveexec_b32 s17, s16
	s_xor_b32 s16, exec_lo, s17
	s_cbranch_execz .LBB63_510
; %bb.505:                              ;   in Loop: Header=BB63_418 Depth=1
	s_mov_b32 s17, exec_lo
                                        ; implicit-def: $vgpr6
	v_cmpx_neq_f32_e32 0, v10
	s_xor_b32 s17, exec_lo, s17
; %bb.506:                              ;   in Loop: Header=BB63_418 Depth=1
	v_add_f32_e32 v6, 0, v11
	s_delay_alu instid0(VALU_DEP_1)
	v_add_f32_e32 v6, v10, v6
; %bb.507:                              ;   in Loop: Header=BB63_418 Depth=1
	s_or_saveexec_b32 s17, s17
	s_delay_alu instid0(VALU_DEP_1)
	v_mov_b32_e32 v7, v6
	s_xor_b32 exec_lo, exec_lo, s17
; %bb.508:                              ;   in Loop: Header=BB63_418 Depth=1
	v_dual_add_f32 v7, v11, v11 :: v_dual_mov_b32 v6, v10
; %bb.509:                              ;   in Loop: Header=BB63_418 Depth=1
	s_or_b32 exec_lo, exec_lo, s17
.LBB63_510:                             ;   in Loop: Header=BB63_418 Depth=1
	s_and_not1_saveexec_b32 s16, s16
; %bb.511:                              ;   in Loop: Header=BB63_418 Depth=1
	v_dual_add_f32 v6, v11, v11 :: v_dual_mov_b32 v7, v10
; %bb.512:                              ;   in Loop: Header=BB63_418 Depth=1
	s_or_b32 exec_lo, exec_lo, s16
.LBB63_513:                             ;   in Loop: Header=BB63_418 Depth=1
	s_and_not1_saveexec_b32 s1, s1
; %bb.514:                              ;   in Loop: Header=BB63_418 Depth=1
	v_dual_add_f32 v6, v10, v10 :: v_dual_mov_b32 v7, v11
; %bb.515:                              ;   in Loop: Header=BB63_418 Depth=1
	s_or_b32 exec_lo, exec_lo, s1
.LBB63_516:                             ;   in Loop: Header=BB63_418 Depth=1
	s_delay_alu instid0(SALU_CYCLE_1) | instskip(SKIP_2) | instid1(VALU_DEP_1)
	s_or_b32 exec_lo, exec_lo, s0
	v_cmp_o_f32_e32 vcc_lo, v13, v13
	v_cmp_o_f32_e64 s0, v12, v12
	s_and_b32 s0, vcc_lo, s0
	s_delay_alu instid0(SALU_CYCLE_1) | instskip(NEXT) | instid1(SALU_CYCLE_1)
	s_and_saveexec_b32 s1, s0
	s_xor_b32 s16, exec_lo, s1
	s_cbranch_execz .LBB63_600
; %bb.517:                              ;   in Loop: Header=BB63_418 Depth=1
	v_max_f32_e64 v11, |v13|, |v13|
	v_max_f32_e64 v18, |v12|, |v12|
	s_mov_b32 s0, exec_lo
	s_delay_alu instid0(VALU_DEP_1) | instskip(NEXT) | instid1(VALU_DEP_1)
	v_max_f32_e32 v10, v18, v11
	v_cmpx_nlt_f32_e32 0x4b000000, v10
	s_xor_b32 s17, exec_lo, s0
	s_cbranch_execz .LBB63_577
; %bb.518:                              ;   in Loop: Header=BB63_418 Depth=1
	v_cmp_neq_f32_e32 vcc_lo, 0, v13
	v_cmp_neq_f32_e64 s0, 0, v12
	s_delay_alu instid0(VALU_DEP_1) | instskip(NEXT) | instid1(SALU_CYCLE_1)
	s_or_b32 s0, vcc_lo, s0
	s_and_saveexec_b32 s18, s0
	s_cbranch_execz .LBB63_576
; %bb.519:                              ;   in Loop: Header=BB63_418 Depth=1
	v_dual_mov_b32 v9, s5 :: v_dual_mov_b32 v8, s4
	v_cmp_ngt_f32_e64 s0, 0x395db3d7, |v13|
	v_cmp_ngt_f32_e64 s1, 0x395db3d7, |v12|
	flat_store_b32 v[8:9], v16 dlc
	s_waitcnt_vscnt null, 0x0
	flat_load_b32 v8, v[8:9] glc dlc
	s_waitcnt vmcnt(0)
	s_or_b32 s0, s1, s0
	s_waitcnt lgkmcnt(0)
	v_dual_add_f32 v10, 1.0, v8 :: v_dual_mov_b32 v9, s7
	v_mov_b32_e32 v8, s6
	flat_store_b32 v[8:9], v10 dlc
	s_waitcnt_vscnt null, 0x0
	flat_load_b32 v8, v[8:9] glc dlc
	s_waitcnt vmcnt(0)
	s_and_saveexec_b32 s19, s0
	s_cbranch_execz .LBB63_575
; %bb.520:                              ;   in Loop: Header=BB63_418 Depth=1
	v_add_f32_e64 v10, |v12|, 1.0
	v_add_f32_e64 v9, |v12|, -1.0
	s_mov_b32 s0, exec_lo
	s_waitcnt lgkmcnt(0)
	s_delay_alu instid0(VALU_DEP_2) | instskip(NEXT) | instid1(VALU_DEP_2)
	v_max_f32_e64 v8, v11, |v10|
	v_max_f32_e64 v11, v11, |v9|
	s_delay_alu instid0(VALU_DEP_2) | instskip(NEXT) | instid1(VALU_DEP_2)
	v_cvt_f64_f32_e32 v[18:19], v8
	v_cvt_f64_f32_e32 v[20:21], v11
	v_cmp_neq_f32_e32 vcc_lo, 0x7f800000, v8
	s_delay_alu instid0(VALU_DEP_3) | instskip(NEXT) | instid1(VALU_DEP_3)
	v_frexp_exp_i32_f64_e32 v18, v[18:19]
	v_frexp_exp_i32_f64_e32 v19, v[20:21]
	s_delay_alu instid0(VALU_DEP_2) | instskip(NEXT) | instid1(VALU_DEP_2)
	v_sub_nc_u32_e32 v20, 0, v18
	v_sub_nc_u32_e32 v21, 0, v19
	s_delay_alu instid0(VALU_DEP_2) | instskip(NEXT) | instid1(VALU_DEP_2)
	v_ldexp_f32 v22, |v10|, v20
	v_ldexp_f32 v23, |v9|, v21
	;; [unrolled: 1-line block ×4, first 2 shown]
	s_delay_alu instid0(VALU_DEP_3) | instskip(NEXT) | instid1(VALU_DEP_1)
	v_dual_mul_f32 v22, v22, v22 :: v_dual_mul_f32 v23, v23, v23
	v_dual_fmac_f32 v22, v20, v20 :: v_dual_fmac_f32 v23, v21, v21
	s_delay_alu instid0(VALU_DEP_1) | instskip(NEXT) | instid1(VALU_DEP_1)
	v_sqrt_f32_e32 v20, v22
	v_sqrt_f32_e32 v21, v23
	s_waitcnt_depctr 0xfff
	v_ldexp_f32 v18, v20, v18
	v_ldexp_f32 v20, v21, v19
	s_delay_alu instid0(VALU_DEP_2) | instskip(SKIP_1) | instid1(VALU_DEP_3)
	v_cndmask_b32_e32 v19, 0x7f800000, v18, vcc_lo
	v_cmp_neq_f32_e32 vcc_lo, 0x7f800000, v11
	v_cndmask_b32_e32 v11, 0x7f800000, v20, vcc_lo
                                        ; implicit-def: $vgpr20
	s_delay_alu instid0(VALU_DEP_1) | instskip(NEXT) | instid1(VALU_DEP_1)
	v_add_f32_e32 v8, v19, v11
	v_mul_f32_e32 v8, 0.5, v8
	s_delay_alu instid0(VALU_DEP_1) | instskip(SKIP_1) | instid1(VALU_DEP_1)
	v_cmp_ngt_f32_e32 vcc_lo, 1.0, v8
	v_cndmask_b32_e32 v8, 1.0, v8, vcc_lo
	v_cmpx_ngt_f32_e32 0x41200000, v8
	s_xor_b32 s1, exec_lo, s0
	s_cbranch_execz .LBB63_522
; %bb.521:                              ;   in Loop: Header=BB63_418 Depth=1
	v_fma_f32 v18, v8, v8, -1.0
	s_delay_alu instid0(VALU_DEP_1) | instskip(SKIP_1) | instid1(VALU_DEP_2)
	v_mul_f32_e32 v20, 0x4f800000, v18
	v_cmp_gt_f32_e32 vcc_lo, 0xf800000, v18
	v_cndmask_b32_e32 v18, v18, v20, vcc_lo
	s_delay_alu instid0(VALU_DEP_1) | instskip(SKIP_3) | instid1(VALU_DEP_2)
	v_sqrt_f32_e32 v20, v18
	s_waitcnt_depctr 0xfff
	v_add_nc_u32_e32 v21, -1, v20
	v_add_nc_u32_e32 v22, 1, v20
	v_fma_f32 v23, -v21, v20, v18
	s_delay_alu instid0(VALU_DEP_2) | instskip(NEXT) | instid1(VALU_DEP_2)
	v_fma_f32 v24, -v22, v20, v18
	v_cmp_ge_f32_e64 s0, 0, v23
	s_delay_alu instid0(VALU_DEP_1) | instskip(NEXT) | instid1(VALU_DEP_3)
	v_cndmask_b32_e64 v20, v20, v21, s0
	v_cmp_lt_f32_e64 s0, 0, v24
	s_delay_alu instid0(VALU_DEP_1) | instskip(NEXT) | instid1(VALU_DEP_1)
	v_cndmask_b32_e64 v20, v20, v22, s0
	v_mul_f32_e32 v21, 0x37800000, v20
	s_delay_alu instid0(VALU_DEP_1) | instskip(SKIP_1) | instid1(VALU_DEP_2)
	v_cndmask_b32_e32 v20, v20, v21, vcc_lo
	v_cmp_class_f32_e64 vcc_lo, v18, 0x260
	v_cndmask_b32_e32 v18, v20, v18, vcc_lo
	s_delay_alu instid0(VALU_DEP_1) | instskip(NEXT) | instid1(VALU_DEP_1)
	v_add_f32_e32 v18, v8, v18
	v_cmp_gt_f32_e32 vcc_lo, 0x800000, v18
	s_delay_alu instid0(VALU_DEP_4) | instskip(NEXT) | instid1(VALU_DEP_1)
	v_cndmask_b32_e64 v20, 1.0, 0x4f800000, vcc_lo
	v_mul_f32_e32 v18, v18, v20
	s_delay_alu instid0(VALU_DEP_1) | instskip(SKIP_3) | instid1(VALU_DEP_2)
	v_log_f32_e32 v18, v18
	s_waitcnt_depctr 0xfff
	v_mul_f32_e32 v20, 0x3f317217, v18
	v_cmp_gt_f32_e64 s0, 0x7f800000, |v18|
	v_fma_f32 v21, 0x3f317217, v18, -v20
	s_delay_alu instid0(VALU_DEP_1) | instskip(NEXT) | instid1(VALU_DEP_1)
	v_fmac_f32_e32 v21, 0x3377d1cf, v18
	v_add_f32_e32 v20, v20, v21
	s_delay_alu instid0(VALU_DEP_1) | instskip(SKIP_1) | instid1(VALU_DEP_1)
	v_cndmask_b32_e64 v18, v18, v20, s0
	v_cndmask_b32_e64 v20, 0, 0x41b17218, vcc_lo
	v_sub_f32_e32 v20, v18, v20
.LBB63_522:                             ;   in Loop: Header=BB63_418 Depth=1
	s_or_saveexec_b32 s1, s1
	v_and_b32_e32 v18, 0x7fffffff, v13
	s_xor_b32 exec_lo, exec_lo, s1
	s_cbranch_execz .LBB63_544
; %bb.523:                              ;   in Loop: Header=BB63_418 Depth=1
	v_cmp_neq_f32_e64 s0, |v12|, 1.0
	v_cmp_ngt_f32_e64 s20, 0x25000000, |v13|
                                        ; implicit-def: $vgpr20
	s_delay_alu instid0(VALU_DEP_1) | instskip(NEXT) | instid1(SALU_CYCLE_1)
	s_or_b32 s0, s0, s20
	s_and_saveexec_b32 s20, s0
	s_delay_alu instid0(SALU_CYCLE_1)
	s_xor_b32 s20, exec_lo, s20
	s_cbranch_execz .LBB63_541
; %bb.524:                              ;   in Loop: Header=BB63_418 Depth=1
	v_mul_f32_e64 v20, 0x34000000, |v9|
	s_delay_alu instid0(VALU_DEP_1) | instskip(NEXT) | instid1(VALU_DEP_1)
	v_cmp_le_f32_e64 s0, v20, |v13|
                                        ; implicit-def: $vgpr20
	s_and_saveexec_b32 s21, s0
	s_delay_alu instid0(SALU_CYCLE_1)
	s_xor_b32 s21, exec_lo, s21
	s_cbranch_execz .LBB63_534
; %bb.525:                              ;   in Loop: Header=BB63_418 Depth=1
	v_mov_b32_e32 v20, v18
	s_mov_b32 s0, exec_lo
	v_cmpx_neq_f32_e32 0, v10
	s_cbranch_execz .LBB63_527
; %bb.526:                              ;   in Loop: Header=BB63_418 Depth=1
	v_dual_mul_f32 v20, v13, v13 :: v_dual_add_f32 v21, v10, v19
	s_delay_alu instid0(VALU_DEP_1) | instskip(NEXT) | instid1(VALU_DEP_1)
	v_div_scale_f32 v22, null, v21, v21, v20
	v_rcp_f32_e32 v23, v22
	s_waitcnt_depctr 0xfff
	v_fma_f32 v24, -v22, v23, 1.0
	s_delay_alu instid0(VALU_DEP_1) | instskip(SKIP_1) | instid1(VALU_DEP_1)
	v_fmac_f32_e32 v23, v24, v23
	v_div_scale_f32 v24, vcc_lo, v20, v21, v20
	v_mul_f32_e32 v25, v24, v23
	s_delay_alu instid0(VALU_DEP_1) | instskip(NEXT) | instid1(VALU_DEP_1)
	v_fma_f32 v26, -v22, v25, v24
	v_fmac_f32_e32 v25, v26, v23
	s_delay_alu instid0(VALU_DEP_1) | instskip(NEXT) | instid1(VALU_DEP_1)
	v_fma_f32 v22, -v22, v25, v24
	v_div_fmas_f32 v22, v22, v23, v25
	s_delay_alu instid0(VALU_DEP_1)
	v_div_fixup_f32 v20, v22, v21, v20
.LBB63_527:                             ;   in Loop: Header=BB63_418 Depth=1
	s_or_b32 exec_lo, exec_lo, s0
	v_sub_f32_e64 v22, 1.0, |v12|
	s_mov_b32 s0, exec_lo
                                        ; implicit-def: $vgpr21
	s_delay_alu instid0(VALU_DEP_1)
	v_cmpx_ngt_f32_e32 0, v22
	s_xor_b32 s0, exec_lo, s0
	s_cbranch_execz .LBB63_531
; %bb.528:                              ;   in Loop: Header=BB63_418 Depth=1
	v_mov_b32_e32 v21, v18
	s_mov_b32 s22, exec_lo
	v_cmpx_neq_f32_e32 0, v22
	s_cbranch_execz .LBB63_530
; %bb.529:                              ;   in Loop: Header=BB63_418 Depth=1
	v_dual_mul_f32 v21, v13, v13 :: v_dual_add_f32 v22, v22, v11
	s_delay_alu instid0(VALU_DEP_1) | instskip(NEXT) | instid1(VALU_DEP_1)
	v_div_scale_f32 v23, null, v22, v22, v21
	v_rcp_f32_e32 v24, v23
	s_waitcnt_depctr 0xfff
	v_fma_f32 v25, -v23, v24, 1.0
	s_delay_alu instid0(VALU_DEP_1) | instskip(SKIP_1) | instid1(VALU_DEP_1)
	v_fmac_f32_e32 v24, v25, v24
	v_div_scale_f32 v25, vcc_lo, v21, v22, v21
	v_mul_f32_e32 v26, v25, v24
	s_delay_alu instid0(VALU_DEP_1) | instskip(NEXT) | instid1(VALU_DEP_1)
	v_fma_f32 v27, -v23, v26, v25
	v_fmac_f32_e32 v26, v27, v24
	s_delay_alu instid0(VALU_DEP_1) | instskip(NEXT) | instid1(VALU_DEP_1)
	v_fma_f32 v23, -v23, v26, v25
	v_div_fmas_f32 v23, v23, v24, v26
	s_delay_alu instid0(VALU_DEP_1)
	v_div_fixup_f32 v21, v23, v22, v21
.LBB63_530:                             ;   in Loop: Header=BB63_418 Depth=1
	s_or_b32 exec_lo, exec_lo, s22
                                        ; implicit-def: $vgpr22
.LBB63_531:                             ;   in Loop: Header=BB63_418 Depth=1
	s_and_not1_saveexec_b32 s0, s0
; %bb.532:                              ;   in Loop: Header=BB63_418 Depth=1
	v_sub_f32_e32 v21, v11, v22
; %bb.533:                              ;   in Loop: Header=BB63_418 Depth=1
	s_or_b32 exec_lo, exec_lo, s0
	s_delay_alu instid0(VALU_DEP_1) | instskip(NEXT) | instid1(VALU_DEP_1)
	v_dual_mul_f32 v21, 0.5, v21 :: v_dual_add_f32 v22, 1.0, v8
	v_fmac_f32_e32 v21, 0.5, v20
	s_delay_alu instid0(VALU_DEP_1) | instskip(NEXT) | instid1(VALU_DEP_1)
	v_mul_f32_e32 v20, v22, v21
	v_mul_f32_e32 v22, 0x4f800000, v20
	v_cmp_gt_f32_e32 vcc_lo, 0xf800000, v20
	s_delay_alu instid0(VALU_DEP_2) | instskip(NEXT) | instid1(VALU_DEP_1)
	v_cndmask_b32_e32 v20, v20, v22, vcc_lo
	v_sqrt_f32_e32 v22, v20
	s_waitcnt_depctr 0xfff
	v_add_nc_u32_e32 v23, -1, v22
	v_add_nc_u32_e32 v24, 1, v22
	s_delay_alu instid0(VALU_DEP_2) | instskip(NEXT) | instid1(VALU_DEP_2)
	v_fma_f32 v25, -v23, v22, v20
	v_fma_f32 v26, -v24, v22, v20
	s_delay_alu instid0(VALU_DEP_2) | instskip(NEXT) | instid1(VALU_DEP_1)
	v_cmp_ge_f32_e64 s0, 0, v25
	v_cndmask_b32_e64 v22, v22, v23, s0
	s_delay_alu instid0(VALU_DEP_3) | instskip(NEXT) | instid1(VALU_DEP_1)
	v_cmp_lt_f32_e64 s0, 0, v26
	v_cndmask_b32_e64 v22, v22, v24, s0
	s_delay_alu instid0(VALU_DEP_1) | instskip(NEXT) | instid1(VALU_DEP_1)
	v_mul_f32_e32 v23, 0x37800000, v22
	v_cndmask_b32_e32 v22, v22, v23, vcc_lo
	v_cmp_class_f32_e64 vcc_lo, v20, 0x260
	s_delay_alu instid0(VALU_DEP_2) | instskip(NEXT) | instid1(VALU_DEP_1)
	v_cndmask_b32_e32 v20, v22, v20, vcc_lo
	v_add_f32_e32 v22, v21, v20
	s_delay_alu instid0(VALU_DEP_1) | instskip(NEXT) | instid1(VALU_DEP_1)
	v_add_f32_e32 v23, 1.0, v22
	v_cvt_f64_f32_e32 v[20:21], v23
	s_delay_alu instid0(VALU_DEP_1) | instskip(SKIP_1) | instid1(VALU_DEP_1)
	v_frexp_exp_i32_f64_e32 v20, v[20:21]
	v_frexp_mant_f32_e32 v21, v23
	v_cmp_gt_f32_e32 vcc_lo, 0x3f2aaaab, v21
	v_add_f32_e32 v21, -1.0, v23
	s_delay_alu instid0(VALU_DEP_1) | instskip(NEXT) | instid1(VALU_DEP_1)
	v_sub_f32_e32 v25, v21, v23
	v_add_f32_e32 v25, 1.0, v25
	v_subrev_co_ci_u32_e32 v20, vcc_lo, 0, v20, vcc_lo
	s_delay_alu instid0(VALU_DEP_1) | instskip(SKIP_1) | instid1(VALU_DEP_2)
	v_sub_nc_u32_e32 v24, 0, v20
	v_cvt_f32_i32_e32 v20, v20
	v_ldexp_f32 v23, v23, v24
	s_delay_alu instid0(VALU_DEP_1) | instskip(NEXT) | instid1(VALU_DEP_1)
	v_dual_sub_f32 v21, v22, v21 :: v_dual_add_f32 v26, 1.0, v23
	v_add_f32_e32 v21, v21, v25
	s_delay_alu instid0(VALU_DEP_2) | instskip(NEXT) | instid1(VALU_DEP_2)
	v_add_f32_e32 v25, -1.0, v26
	v_ldexp_f32 v21, v21, v24
	v_add_f32_e32 v24, -1.0, v23
	v_cmp_eq_f32_e32 vcc_lo, 0x7f800000, v22
	s_delay_alu instid0(VALU_DEP_4) | instskip(NEXT) | instid1(VALU_DEP_3)
	v_sub_f32_e32 v25, v23, v25
	v_add_f32_e32 v27, 1.0, v24
	s_delay_alu instid0(VALU_DEP_2) | instskip(NEXT) | instid1(VALU_DEP_2)
	v_add_f32_e32 v25, v21, v25
	v_sub_f32_e32 v23, v23, v27
	s_delay_alu instid0(VALU_DEP_1) | instskip(NEXT) | instid1(VALU_DEP_1)
	v_add_f32_e32 v21, v21, v23
	v_add_f32_e32 v28, v24, v21
	s_delay_alu instid0(VALU_DEP_1) | instskip(NEXT) | instid1(VALU_DEP_1)
	v_dual_add_f32 v27, v26, v25 :: v_dual_sub_f32 v24, v28, v24
	v_rcp_f32_e32 v23, v27
	v_sub_f32_e32 v26, v27, v26
	s_delay_alu instid0(VALU_DEP_1) | instskip(SKIP_2) | instid1(VALU_DEP_1)
	v_sub_f32_e32 v25, v25, v26
	s_waitcnt_depctr 0xfff
	v_mul_f32_e32 v29, v28, v23
	v_mul_f32_e32 v30, v27, v29
	s_delay_alu instid0(VALU_DEP_1) | instskip(NEXT) | instid1(VALU_DEP_1)
	v_fma_f32 v26, v29, v27, -v30
	v_fmac_f32_e32 v26, v29, v25
	v_sub_f32_e32 v21, v21, v24
	s_delay_alu instid0(VALU_DEP_2) | instskip(NEXT) | instid1(VALU_DEP_1)
	v_add_f32_e32 v31, v30, v26
	v_sub_f32_e32 v32, v28, v31
	v_sub_f32_e32 v24, v31, v30
	s_delay_alu instid0(VALU_DEP_2) | instskip(NEXT) | instid1(VALU_DEP_2)
	v_sub_f32_e32 v28, v28, v32
	v_sub_f32_e32 v24, v24, v26
	s_delay_alu instid0(VALU_DEP_2) | instskip(NEXT) | instid1(VALU_DEP_1)
	v_sub_f32_e32 v28, v28, v31
	v_add_f32_e32 v21, v21, v28
	s_delay_alu instid0(VALU_DEP_1) | instskip(NEXT) | instid1(VALU_DEP_1)
	v_add_f32_e32 v21, v24, v21
	v_add_f32_e32 v24, v32, v21
	s_delay_alu instid0(VALU_DEP_1) | instskip(NEXT) | instid1(VALU_DEP_1)
	v_mul_f32_e32 v26, v23, v24
	v_dual_sub_f32 v31, v32, v24 :: v_dual_mul_f32 v28, v27, v26
	s_delay_alu instid0(VALU_DEP_1) | instskip(NEXT) | instid1(VALU_DEP_2)
	v_add_f32_e32 v21, v21, v31
	v_fma_f32 v27, v26, v27, -v28
	s_delay_alu instid0(VALU_DEP_1) | instskip(NEXT) | instid1(VALU_DEP_1)
	v_fmac_f32_e32 v27, v26, v25
	v_add_f32_e32 v25, v28, v27
	s_delay_alu instid0(VALU_DEP_1) | instskip(NEXT) | instid1(VALU_DEP_1)
	v_sub_f32_e32 v30, v24, v25
	v_sub_f32_e32 v24, v24, v30
	s_delay_alu instid0(VALU_DEP_1) | instskip(NEXT) | instid1(VALU_DEP_1)
	v_sub_f32_e32 v24, v24, v25
	v_add_f32_e32 v21, v21, v24
	v_add_f32_e32 v24, v29, v26
	v_sub_f32_e32 v28, v25, v28
	s_delay_alu instid0(VALU_DEP_1) | instskip(NEXT) | instid1(VALU_DEP_1)
	v_sub_f32_e32 v25, v28, v27
	v_add_f32_e32 v21, v25, v21
	s_delay_alu instid0(VALU_DEP_4) | instskip(NEXT) | instid1(VALU_DEP_2)
	v_sub_f32_e32 v25, v24, v29
	v_add_f32_e32 v21, v30, v21
	s_delay_alu instid0(VALU_DEP_2) | instskip(NEXT) | instid1(VALU_DEP_2)
	v_sub_f32_e32 v25, v26, v25
	v_mul_f32_e32 v21, v23, v21
	s_delay_alu instid0(VALU_DEP_1) | instskip(NEXT) | instid1(VALU_DEP_1)
	v_add_f32_e32 v21, v25, v21
	v_add_f32_e32 v23, v24, v21
	s_delay_alu instid0(VALU_DEP_1) | instskip(NEXT) | instid1(VALU_DEP_1)
	v_mul_f32_e32 v25, v23, v23
	v_fmaak_f32 v26, s13, v25, 0x3ecc95a3
	v_mul_f32_e32 v27, v23, v25
	s_delay_alu instid0(VALU_DEP_2) | instskip(SKIP_2) | instid1(VALU_DEP_3)
	v_fmaak_f32 v25, v25, v26, 0x3f2aaada
	v_ldexp_f32 v26, v23, 1
	v_sub_f32_e32 v23, v23, v24
	v_mul_f32_e32 v25, v27, v25
	v_mul_f32_e32 v27, 0x3f317218, v20
	s_delay_alu instid0(VALU_DEP_2) | instskip(NEXT) | instid1(VALU_DEP_1)
	v_dual_sub_f32 v21, v21, v23 :: v_dual_add_f32 v24, v26, v25
	v_ldexp_f32 v21, v21, 1
	s_delay_alu instid0(VALU_DEP_2) | instskip(NEXT) | instid1(VALU_DEP_4)
	v_sub_f32_e32 v23, v24, v26
	v_fma_f32 v26, 0x3f317218, v20, -v27
	s_delay_alu instid0(VALU_DEP_1) | instskip(NEXT) | instid1(VALU_DEP_1)
	v_dual_sub_f32 v23, v25, v23 :: v_dual_fmac_f32 v26, 0xb102e308, v20
	v_dual_add_f32 v20, v21, v23 :: v_dual_add_f32 v21, v27, v26
	s_delay_alu instid0(VALU_DEP_1) | instskip(NEXT) | instid1(VALU_DEP_2)
	v_add_f32_e32 v23, v24, v20
	v_sub_f32_e32 v27, v21, v27
	s_delay_alu instid0(VALU_DEP_2) | instskip(NEXT) | instid1(VALU_DEP_2)
	v_dual_add_f32 v25, v21, v23 :: v_dual_sub_f32 v24, v23, v24
	v_sub_f32_e32 v26, v26, v27
	s_delay_alu instid0(VALU_DEP_2) | instskip(NEXT) | instid1(VALU_DEP_3)
	v_sub_f32_e32 v28, v25, v21
	v_sub_f32_e32 v20, v20, v24
	s_delay_alu instid0(VALU_DEP_2) | instskip(SKIP_1) | instid1(VALU_DEP_2)
	v_sub_f32_e32 v29, v25, v28
	v_sub_f32_e32 v23, v23, v28
	v_dual_add_f32 v24, v26, v20 :: v_dual_sub_f32 v21, v21, v29
	s_delay_alu instid0(VALU_DEP_1) | instskip(NEXT) | instid1(VALU_DEP_2)
	v_add_f32_e32 v21, v23, v21
	v_sub_f32_e32 v23, v24, v26
	s_delay_alu instid0(VALU_DEP_2) | instskip(NEXT) | instid1(VALU_DEP_2)
	v_add_f32_e32 v21, v24, v21
	v_sub_f32_e32 v24, v24, v23
	s_delay_alu instid0(VALU_DEP_2) | instskip(NEXT) | instid1(VALU_DEP_1)
	v_dual_sub_f32 v20, v20, v23 :: v_dual_add_f32 v27, v25, v21
	v_dual_sub_f32 v24, v26, v24 :: v_dual_sub_f32 v23, v27, v25
	s_delay_alu instid0(VALU_DEP_1) | instskip(NEXT) | instid1(VALU_DEP_1)
	v_dual_add_f32 v20, v20, v24 :: v_dual_sub_f32 v21, v21, v23
	v_add_f32_e32 v20, v20, v21
	s_delay_alu instid0(VALU_DEP_1) | instskip(NEXT) | instid1(VALU_DEP_1)
	v_add_f32_e32 v20, v27, v20
	v_cndmask_b32_e32 v20, v20, v22, vcc_lo
	v_cmp_ngt_f32_e32 vcc_lo, -1.0, v22
	s_delay_alu instid0(VALU_DEP_2) | instskip(SKIP_1) | instid1(VALU_DEP_2)
	v_cndmask_b32_e32 v20, 0x7fc00000, v20, vcc_lo
	v_cmp_neq_f32_e32 vcc_lo, -1.0, v22
	v_cndmask_b32_e32 v20, 0xff800000, v20, vcc_lo
	v_cmp_gt_f32_e64 vcc_lo, 0x33800000, |v22|
	s_delay_alu instid0(VALU_DEP_2)
	v_cndmask_b32_e32 v20, v20, v22, vcc_lo
.LBB63_534:                             ;   in Loop: Header=BB63_418 Depth=1
	s_and_not1_saveexec_b32 s21, s21
	s_cbranch_execz .LBB63_540
; %bb.535:                              ;   in Loop: Header=BB63_418 Depth=1
	s_mov_b32 s22, exec_lo
                                        ; implicit-def: $vgpr20
	v_cmpx_nlt_f32_e64 |v12|, 1.0
	s_xor_b32 s22, exec_lo, s22
	s_cbranch_execz .LBB63_537
; %bb.536:                              ;   in Loop: Header=BB63_418 Depth=1
	v_mul_f32_e32 v20, v9, v10
	s_delay_alu instid0(VALU_DEP_1) | instskip(SKIP_1) | instid1(VALU_DEP_2)
	v_mul_f32_e32 v21, 0x4f800000, v20
	v_cmp_gt_f32_e32 vcc_lo, 0xf800000, v20
	v_cndmask_b32_e32 v20, v20, v21, vcc_lo
	s_delay_alu instid0(VALU_DEP_1) | instskip(SKIP_3) | instid1(VALU_DEP_2)
	v_sqrt_f32_e32 v21, v20
	s_waitcnt_depctr 0xfff
	v_add_nc_u32_e32 v22, -1, v21
	v_add_nc_u32_e32 v23, 1, v21
	v_fma_f32 v24, -v22, v21, v20
	s_delay_alu instid0(VALU_DEP_2) | instskip(NEXT) | instid1(VALU_DEP_2)
	v_fma_f32 v25, -v23, v21, v20
	v_cmp_ge_f32_e64 s0, 0, v24
	s_delay_alu instid0(VALU_DEP_1) | instskip(NEXT) | instid1(VALU_DEP_3)
	v_cndmask_b32_e64 v21, v21, v22, s0
	v_cmp_lt_f32_e64 s0, 0, v25
	s_delay_alu instid0(VALU_DEP_1) | instskip(NEXT) | instid1(VALU_DEP_1)
	v_cndmask_b32_e64 v21, v21, v23, s0
	v_mul_f32_e32 v22, 0x37800000, v21
	s_delay_alu instid0(VALU_DEP_1) | instskip(SKIP_1) | instid1(VALU_DEP_2)
	v_cndmask_b32_e32 v21, v21, v22, vcc_lo
	v_cmp_class_f32_e64 vcc_lo, v20, 0x260
	v_cndmask_b32_e32 v20, v21, v20, vcc_lo
	s_delay_alu instid0(VALU_DEP_1) | instskip(NEXT) | instid1(VALU_DEP_1)
	v_add_f32_e32 v22, v9, v20
	v_add_f32_e32 v23, 1.0, v22
	s_delay_alu instid0(VALU_DEP_1) | instskip(NEXT) | instid1(VALU_DEP_1)
	v_cvt_f64_f32_e32 v[20:21], v23
	v_frexp_exp_i32_f64_e32 v20, v[20:21]
	v_frexp_mant_f32_e32 v21, v23
	s_delay_alu instid0(VALU_DEP_1) | instskip(SKIP_1) | instid1(VALU_DEP_1)
	v_cmp_gt_f32_e32 vcc_lo, 0x3f2aaaab, v21
	v_add_f32_e32 v21, -1.0, v23
	v_sub_f32_e32 v25, v21, v23
	s_delay_alu instid0(VALU_DEP_1) | instskip(SKIP_2) | instid1(VALU_DEP_2)
	v_add_f32_e32 v25, 1.0, v25
	v_subrev_co_ci_u32_e32 v20, vcc_lo, 0, v20, vcc_lo
	v_cmp_eq_f32_e32 vcc_lo, 0x7f800000, v22
	v_sub_nc_u32_e32 v24, 0, v20
	v_cvt_f32_i32_e32 v20, v20
	s_delay_alu instid0(VALU_DEP_2) | instskip(NEXT) | instid1(VALU_DEP_1)
	v_ldexp_f32 v23, v23, v24
	v_dual_sub_f32 v21, v22, v21 :: v_dual_add_f32 v26, 1.0, v23
	s_delay_alu instid0(VALU_DEP_1) | instskip(NEXT) | instid1(VALU_DEP_1)
	v_add_f32_e32 v21, v21, v25
	v_ldexp_f32 v21, v21, v24
	s_delay_alu instid0(VALU_DEP_3) | instskip(NEXT) | instid1(VALU_DEP_1)
	v_dual_add_f32 v24, -1.0, v23 :: v_dual_add_f32 v25, -1.0, v26
	v_add_f32_e32 v27, 1.0, v24
	s_delay_alu instid0(VALU_DEP_2) | instskip(NEXT) | instid1(VALU_DEP_2)
	v_sub_f32_e32 v25, v23, v25
	v_sub_f32_e32 v23, v23, v27
	s_delay_alu instid0(VALU_DEP_2) | instskip(NEXT) | instid1(VALU_DEP_2)
	v_add_f32_e32 v25, v21, v25
	v_add_f32_e32 v21, v21, v23
	s_delay_alu instid0(VALU_DEP_1) | instskip(NEXT) | instid1(VALU_DEP_1)
	v_add_f32_e32 v28, v24, v21
	v_dual_sub_f32 v24, v28, v24 :: v_dual_add_f32 v27, v26, v25
	s_delay_alu instid0(VALU_DEP_1) | instskip(SKIP_1) | instid1(VALU_DEP_1)
	v_rcp_f32_e32 v23, v27
	v_sub_f32_e32 v26, v27, v26
	v_sub_f32_e32 v25, v25, v26
	s_waitcnt_depctr 0xfff
	v_mul_f32_e32 v29, v28, v23
	s_delay_alu instid0(VALU_DEP_1) | instskip(NEXT) | instid1(VALU_DEP_1)
	v_mul_f32_e32 v30, v27, v29
	v_fma_f32 v26, v29, v27, -v30
	s_delay_alu instid0(VALU_DEP_1) | instskip(SKIP_1) | instid1(VALU_DEP_2)
	v_fmac_f32_e32 v26, v29, v25
	v_sub_f32_e32 v21, v21, v24
	v_add_f32_e32 v31, v30, v26
	s_delay_alu instid0(VALU_DEP_1) | instskip(SKIP_1) | instid1(VALU_DEP_2)
	v_sub_f32_e32 v32, v28, v31
	v_sub_f32_e32 v24, v31, v30
	;; [unrolled: 1-line block ×3, first 2 shown]
	s_delay_alu instid0(VALU_DEP_2) | instskip(NEXT) | instid1(VALU_DEP_2)
	v_sub_f32_e32 v24, v24, v26
	v_sub_f32_e32 v28, v28, v31
	s_delay_alu instid0(VALU_DEP_1) | instskip(NEXT) | instid1(VALU_DEP_1)
	v_add_f32_e32 v21, v21, v28
	v_add_f32_e32 v21, v24, v21
	s_delay_alu instid0(VALU_DEP_1) | instskip(NEXT) | instid1(VALU_DEP_1)
	v_add_f32_e32 v24, v32, v21
	v_mul_f32_e32 v26, v23, v24
	s_delay_alu instid0(VALU_DEP_1) | instskip(NEXT) | instid1(VALU_DEP_1)
	v_dual_sub_f32 v31, v32, v24 :: v_dual_mul_f32 v28, v27, v26
	v_fma_f32 v27, v26, v27, -v28
	s_delay_alu instid0(VALU_DEP_1) | instskip(NEXT) | instid1(VALU_DEP_1)
	v_fmac_f32_e32 v27, v26, v25
	v_add_f32_e32 v25, v28, v27
	s_delay_alu instid0(VALU_DEP_1) | instskip(SKIP_1) | instid1(VALU_DEP_1)
	v_sub_f32_e32 v28, v25, v28
	v_dual_sub_f32 v30, v24, v25 :: v_dual_add_f32 v21, v21, v31
	v_sub_f32_e32 v24, v24, v30
	s_delay_alu instid0(VALU_DEP_1) | instskip(NEXT) | instid1(VALU_DEP_4)
	v_sub_f32_e32 v24, v24, v25
	v_sub_f32_e32 v25, v28, v27
	s_delay_alu instid0(VALU_DEP_2) | instskip(SKIP_1) | instid1(VALU_DEP_2)
	v_add_f32_e32 v21, v21, v24
	v_add_f32_e32 v24, v29, v26
	;; [unrolled: 1-line block ×3, first 2 shown]
	s_delay_alu instid0(VALU_DEP_2) | instskip(NEXT) | instid1(VALU_DEP_2)
	v_sub_f32_e32 v25, v24, v29
	v_add_f32_e32 v21, v30, v21
	s_delay_alu instid0(VALU_DEP_2) | instskip(NEXT) | instid1(VALU_DEP_2)
	v_sub_f32_e32 v25, v26, v25
	v_mul_f32_e32 v21, v23, v21
	s_delay_alu instid0(VALU_DEP_1) | instskip(NEXT) | instid1(VALU_DEP_1)
	v_add_f32_e32 v21, v25, v21
	v_add_f32_e32 v23, v24, v21
	s_delay_alu instid0(VALU_DEP_1) | instskip(NEXT) | instid1(VALU_DEP_1)
	v_mul_f32_e32 v25, v23, v23
	v_fmaak_f32 v26, s13, v25, 0x3ecc95a3
	v_mul_f32_e32 v27, v23, v25
	s_delay_alu instid0(VALU_DEP_2) | instskip(SKIP_2) | instid1(VALU_DEP_3)
	v_fmaak_f32 v25, v25, v26, 0x3f2aaada
	v_ldexp_f32 v26, v23, 1
	v_sub_f32_e32 v23, v23, v24
	v_mul_f32_e32 v25, v27, v25
	v_mul_f32_e32 v27, 0x3f317218, v20
	s_delay_alu instid0(VALU_DEP_2) | instskip(NEXT) | instid1(VALU_DEP_1)
	v_dual_sub_f32 v21, v21, v23 :: v_dual_add_f32 v24, v26, v25
	v_ldexp_f32 v21, v21, 1
	s_delay_alu instid0(VALU_DEP_2) | instskip(NEXT) | instid1(VALU_DEP_4)
	v_sub_f32_e32 v23, v24, v26
	v_fma_f32 v26, 0x3f317218, v20, -v27
	s_delay_alu instid0(VALU_DEP_1) | instskip(NEXT) | instid1(VALU_DEP_1)
	v_dual_sub_f32 v23, v25, v23 :: v_dual_fmac_f32 v26, 0xb102e308, v20
	v_dual_add_f32 v20, v21, v23 :: v_dual_add_f32 v21, v27, v26
	s_delay_alu instid0(VALU_DEP_1) | instskip(NEXT) | instid1(VALU_DEP_2)
	v_add_f32_e32 v23, v24, v20
	v_sub_f32_e32 v27, v21, v27
	s_delay_alu instid0(VALU_DEP_2) | instskip(NEXT) | instid1(VALU_DEP_2)
	v_dual_add_f32 v25, v21, v23 :: v_dual_sub_f32 v24, v23, v24
	v_sub_f32_e32 v26, v26, v27
	s_delay_alu instid0(VALU_DEP_2) | instskip(NEXT) | instid1(VALU_DEP_3)
	v_sub_f32_e32 v28, v25, v21
	v_sub_f32_e32 v20, v20, v24
	s_delay_alu instid0(VALU_DEP_2) | instskip(SKIP_1) | instid1(VALU_DEP_2)
	v_sub_f32_e32 v29, v25, v28
	v_sub_f32_e32 v23, v23, v28
	v_dual_add_f32 v24, v26, v20 :: v_dual_sub_f32 v21, v21, v29
	s_delay_alu instid0(VALU_DEP_1) | instskip(NEXT) | instid1(VALU_DEP_2)
	v_add_f32_e32 v21, v23, v21
	v_sub_f32_e32 v23, v24, v26
	s_delay_alu instid0(VALU_DEP_2) | instskip(NEXT) | instid1(VALU_DEP_2)
	v_add_f32_e32 v21, v24, v21
	v_sub_f32_e32 v24, v24, v23
	s_delay_alu instid0(VALU_DEP_2) | instskip(NEXT) | instid1(VALU_DEP_1)
	v_dual_sub_f32 v20, v20, v23 :: v_dual_add_f32 v27, v25, v21
	v_dual_sub_f32 v24, v26, v24 :: v_dual_sub_f32 v23, v27, v25
	s_delay_alu instid0(VALU_DEP_1) | instskip(NEXT) | instid1(VALU_DEP_1)
	v_dual_add_f32 v20, v20, v24 :: v_dual_sub_f32 v21, v21, v23
	v_add_f32_e32 v20, v20, v21
	s_delay_alu instid0(VALU_DEP_1) | instskip(NEXT) | instid1(VALU_DEP_1)
	v_add_f32_e32 v20, v27, v20
	v_cndmask_b32_e32 v20, v20, v22, vcc_lo
	v_cmp_ngt_f32_e32 vcc_lo, -1.0, v22
	s_delay_alu instid0(VALU_DEP_2) | instskip(SKIP_1) | instid1(VALU_DEP_2)
	v_cndmask_b32_e32 v20, 0x7fc00000, v20, vcc_lo
	v_cmp_neq_f32_e32 vcc_lo, -1.0, v22
	v_cndmask_b32_e32 v20, 0xff800000, v20, vcc_lo
	v_cmp_gt_f32_e64 vcc_lo, 0x33800000, |v22|
	s_delay_alu instid0(VALU_DEP_2)
	v_cndmask_b32_e32 v20, v20, v22, vcc_lo
.LBB63_537:                             ;   in Loop: Header=BB63_418 Depth=1
	s_and_not1_saveexec_b32 s22, s22
	s_cbranch_execz .LBB63_539
; %bb.538:                              ;   in Loop: Header=BB63_418 Depth=1
	v_sub_f32_e64 v20, 1.0, |v12|
	s_delay_alu instid0(VALU_DEP_1) | instskip(NEXT) | instid1(VALU_DEP_1)
	v_mul_f32_e32 v20, v20, v10
	v_mul_f32_e32 v21, 0x4f800000, v20
	v_cmp_gt_f32_e32 vcc_lo, 0xf800000, v20
	s_delay_alu instid0(VALU_DEP_2) | instskip(NEXT) | instid1(VALU_DEP_1)
	v_cndmask_b32_e32 v20, v20, v21, vcc_lo
	v_sqrt_f32_e32 v21, v20
	s_waitcnt_depctr 0xfff
	v_add_nc_u32_e32 v22, -1, v21
	v_add_nc_u32_e32 v23, 1, v21
	s_delay_alu instid0(VALU_DEP_2) | instskip(NEXT) | instid1(VALU_DEP_2)
	v_fma_f32 v24, -v22, v21, v20
	v_fma_f32 v25, -v23, v21, v20
	s_delay_alu instid0(VALU_DEP_2) | instskip(NEXT) | instid1(VALU_DEP_1)
	v_cmp_ge_f32_e64 s0, 0, v24
	v_cndmask_b32_e64 v21, v21, v22, s0
	s_delay_alu instid0(VALU_DEP_3) | instskip(NEXT) | instid1(VALU_DEP_1)
	v_cmp_lt_f32_e64 s0, 0, v25
	v_cndmask_b32_e64 v21, v21, v23, s0
	s_delay_alu instid0(VALU_DEP_1) | instskip(NEXT) | instid1(VALU_DEP_1)
	v_mul_f32_e32 v22, 0x37800000, v21
	v_cndmask_b32_e32 v21, v21, v22, vcc_lo
	v_cmp_class_f32_e64 vcc_lo, v20, 0x260
	v_and_b32_e32 v22, 0x7fffffff, v13
	s_delay_alu instid0(VALU_DEP_3) | instskip(NEXT) | instid1(VALU_DEP_1)
	v_cndmask_b32_e32 v20, v21, v20, vcc_lo
	v_div_scale_f32 v21, null, v20, v20, v22
	v_div_scale_f32 v22, vcc_lo, v22, v20, v22
	s_delay_alu instid0(VALU_DEP_2) | instskip(SKIP_2) | instid1(VALU_DEP_1)
	v_rcp_f32_e32 v23, v21
	s_waitcnt_depctr 0xfff
	v_fma_f32 v24, -v21, v23, 1.0
	v_fmac_f32_e32 v23, v24, v23
	s_delay_alu instid0(VALU_DEP_1) | instskip(NEXT) | instid1(VALU_DEP_1)
	v_mul_f32_e32 v24, v22, v23
	v_fma_f32 v25, -v21, v24, v22
	s_delay_alu instid0(VALU_DEP_1) | instskip(NEXT) | instid1(VALU_DEP_1)
	v_fmac_f32_e32 v24, v25, v23
	v_fma_f32 v21, -v21, v24, v22
	s_delay_alu instid0(VALU_DEP_1) | instskip(NEXT) | instid1(VALU_DEP_1)
	v_div_fmas_f32 v21, v21, v23, v24
	v_div_fixup_f32 v20, v21, v20, |v13|
.LBB63_539:                             ;   in Loop: Header=BB63_418 Depth=1
	s_or_b32 exec_lo, exec_lo, s22
.LBB63_540:                             ;   in Loop: Header=BB63_418 Depth=1
	s_delay_alu instid0(SALU_CYCLE_1)
	s_or_b32 exec_lo, exec_lo, s21
.LBB63_541:                             ;   in Loop: Header=BB63_418 Depth=1
	s_and_not1_saveexec_b32 s20, s20
	s_cbranch_execz .LBB63_543
; %bb.542:                              ;   in Loop: Header=BB63_418 Depth=1
	v_mul_f32_e64 v20, 0x4f800000, |v13|
	v_cmp_gt_f32_e64 vcc_lo, 0xf800000, |v13|
	s_delay_alu instid0(VALU_DEP_1) | instskip(NEXT) | instid1(VALU_DEP_1)
	v_cndmask_b32_e64 v20, |v13|, v20, vcc_lo
	v_sqrt_f32_e32 v21, v20
	s_waitcnt_depctr 0xfff
	v_add_nc_u32_e32 v22, -1, v21
	v_add_nc_u32_e32 v23, 1, v21
	s_delay_alu instid0(VALU_DEP_2) | instskip(NEXT) | instid1(VALU_DEP_2)
	v_fma_f32 v24, -v22, v21, v20
	v_fma_f32 v25, -v23, v21, v20
	s_delay_alu instid0(VALU_DEP_2) | instskip(NEXT) | instid1(VALU_DEP_1)
	v_cmp_ge_f32_e64 s0, 0, v24
	v_cndmask_b32_e64 v21, v21, v22, s0
	s_delay_alu instid0(VALU_DEP_3) | instskip(NEXT) | instid1(VALU_DEP_1)
	v_cmp_lt_f32_e64 s0, 0, v25
	v_cndmask_b32_e64 v21, v21, v23, s0
	s_delay_alu instid0(VALU_DEP_1) | instskip(NEXT) | instid1(VALU_DEP_1)
	v_mul_f32_e32 v22, 0x37800000, v21
	v_cndmask_b32_e32 v21, v21, v22, vcc_lo
	v_cmp_class_f32_e64 vcc_lo, v20, 0x260
	s_delay_alu instid0(VALU_DEP_2)
	v_cndmask_b32_e32 v20, v21, v20, vcc_lo
.LBB63_543:                             ;   in Loop: Header=BB63_418 Depth=1
	s_or_b32 exec_lo, exec_lo, s20
.LBB63_544:                             ;   in Loop: Header=BB63_418 Depth=1
	s_delay_alu instid0(SALU_CYCLE_1) | instskip(NEXT) | instid1(SALU_CYCLE_1)
	s_or_b32 exec_lo, exec_lo, s1
	s_mov_b32 s20, exec_lo
                                        ; implicit-def: $sgpr0
                                        ; implicit-def: $vgpr21
                                        ; implicit-def: $vgpr23
                                        ; implicit-def: $vgpr22
	v_cmpx_ngt_f32_e64 0x21000000, |v12|
	s_xor_b32 s20, exec_lo, s20
	s_cbranch_execz .LBB63_568
; %bb.545:                              ;   in Loop: Header=BB63_418 Depth=1
	v_and_b32_e32 v22, 0x7fffffff, v12
	s_mov_b32 s0, 0
	s_mov_b32 s21, exec_lo
	s_delay_alu instid0(VALU_DEP_1) | instskip(NEXT) | instid1(VALU_DEP_1)
	v_div_scale_f32 v21, null, v8, v8, v22
	v_rcp_f32_e32 v23, v21
	s_waitcnt_depctr 0xfff
	v_fma_f32 v24, -v21, v23, 1.0
	s_delay_alu instid0(VALU_DEP_1) | instskip(SKIP_1) | instid1(VALU_DEP_1)
	v_fmac_f32_e32 v23, v24, v23
	v_div_scale_f32 v24, vcc_lo, v22, v8, v22
	v_mul_f32_e32 v25, v24, v23
	s_delay_alu instid0(VALU_DEP_1) | instskip(NEXT) | instid1(VALU_DEP_1)
	v_fma_f32 v26, -v21, v25, v24
	v_fmac_f32_e32 v25, v26, v23
	s_delay_alu instid0(VALU_DEP_1) | instskip(NEXT) | instid1(VALU_DEP_1)
	v_fma_f32 v21, -v21, v25, v24
	v_div_fmas_f32 v21, v21, v23, v25
                                        ; implicit-def: $vgpr23
	s_delay_alu instid0(VALU_DEP_1) | instskip(NEXT) | instid1(VALU_DEP_1)
	v_div_fixup_f32 v21, v21, v8, |v12|
	v_cmpx_lt_f32_e32 0x3f244674, v21
	s_cbranch_execz .LBB63_567
; %bb.546:                              ;   in Loop: Header=BB63_418 Depth=1
	v_cmp_neq_f32_e64 s0, |v12|, 1.0
	v_cmp_ngt_f32_e64 s1, 0x30800000, |v13|
                                        ; implicit-def: $sgpr22
                                        ; implicit-def: $vgpr23
	s_delay_alu instid0(VALU_DEP_1) | instskip(NEXT) | instid1(SALU_CYCLE_1)
	s_or_b32 s0, s0, s1
	s_and_saveexec_b32 s1, s0
	s_delay_alu instid0(SALU_CYCLE_1)
	s_xor_b32 s1, exec_lo, s1
	s_cbranch_execz .LBB63_564
; %bb.547:                              ;   in Loop: Header=BB63_418 Depth=1
	v_mul_f32_e64 v23, 0x34000000, |v9|
                                        ; implicit-def: $sgpr22
	s_delay_alu instid0(VALU_DEP_1) | instskip(NEXT) | instid1(VALU_DEP_1)
	v_cmp_le_f32_e64 s0, v23, |v13|
                                        ; implicit-def: $vgpr23
	s_and_saveexec_b32 s23, s0
	s_delay_alu instid0(SALU_CYCLE_1)
	s_xor_b32 s23, exec_lo, s23
	s_cbranch_execz .LBB63_557
; %bb.548:                              ;   in Loop: Header=BB63_418 Depth=1
	v_mov_b32_e32 v23, v18
	s_mov_b32 s0, exec_lo
	v_cmpx_neq_f32_e32 0, v10
	s_cbranch_execz .LBB63_550
; %bb.549:                              ;   in Loop: Header=BB63_418 Depth=1
	v_dual_mul_f32 v23, v13, v13 :: v_dual_add_f32 v10, v10, v19
	s_delay_alu instid0(VALU_DEP_1) | instskip(NEXT) | instid1(VALU_DEP_1)
	v_div_scale_f32 v19, null, v10, v10, v23
	v_rcp_f32_e32 v24, v19
	s_waitcnt_depctr 0xfff
	v_fma_f32 v25, -v19, v24, 1.0
	s_delay_alu instid0(VALU_DEP_1) | instskip(SKIP_1) | instid1(VALU_DEP_1)
	v_fmac_f32_e32 v24, v25, v24
	v_div_scale_f32 v25, vcc_lo, v23, v10, v23
	v_mul_f32_e32 v26, v25, v24
	s_delay_alu instid0(VALU_DEP_1) | instskip(NEXT) | instid1(VALU_DEP_1)
	v_fma_f32 v27, -v19, v26, v25
	v_fmac_f32_e32 v26, v27, v24
	s_delay_alu instid0(VALU_DEP_1) | instskip(NEXT) | instid1(VALU_DEP_1)
	v_fma_f32 v19, -v19, v26, v25
	v_div_fmas_f32 v19, v19, v24, v26
	s_delay_alu instid0(VALU_DEP_1)
	v_div_fixup_f32 v23, v19, v10, v23
.LBB63_550:                             ;   in Loop: Header=BB63_418 Depth=1
	s_or_b32 exec_lo, exec_lo, s0
	s_delay_alu instid0(SALU_CYCLE_1)
	s_mov_b32 s0, exec_lo
	v_cmpx_ngt_f32_e32 0, v9
	s_xor_b32 s0, exec_lo, s0
	s_cbranch_execz .LBB63_554
; %bb.551:                              ;   in Loop: Header=BB63_418 Depth=1
	s_mov_b32 s22, exec_lo
	v_cmpx_neq_f32_e32 0, v9
	s_cbranch_execz .LBB63_553
; %bb.552:                              ;   in Loop: Header=BB63_418 Depth=1
	v_mul_f32_e32 v10, v13, v13
	v_add_f32_e32 v9, v9, v11
	s_delay_alu instid0(VALU_DEP_1) | instskip(NEXT) | instid1(VALU_DEP_1)
	v_div_scale_f32 v11, null, v9, v9, v10
	v_rcp_f32_e32 v18, v11
	s_waitcnt_depctr 0xfff
	v_fma_f32 v19, -v11, v18, 1.0
	s_delay_alu instid0(VALU_DEP_1) | instskip(SKIP_1) | instid1(VALU_DEP_1)
	v_fmac_f32_e32 v18, v19, v18
	v_div_scale_f32 v19, vcc_lo, v10, v9, v10
	v_mul_f32_e32 v24, v19, v18
	s_delay_alu instid0(VALU_DEP_1) | instskip(NEXT) | instid1(VALU_DEP_1)
	v_fma_f32 v25, -v11, v24, v19
	v_fmac_f32_e32 v24, v25, v18
	s_delay_alu instid0(VALU_DEP_1) | instskip(NEXT) | instid1(VALU_DEP_1)
	v_fma_f32 v11, -v11, v24, v19
	v_div_fmas_f32 v11, v11, v18, v24
	s_delay_alu instid0(VALU_DEP_1)
	v_div_fixup_f32 v18, v11, v9, v10
.LBB63_553:                             ;   in Loop: Header=BB63_418 Depth=1
	s_or_b32 exec_lo, exec_lo, s22
                                        ; implicit-def: $vgpr11
                                        ; implicit-def: $vgpr9
.LBB63_554:                             ;   in Loop: Header=BB63_418 Depth=1
	s_and_not1_saveexec_b32 s0, s0
; %bb.555:                              ;   in Loop: Header=BB63_418 Depth=1
	v_sub_f32_e32 v18, v11, v9
; %bb.556:                              ;   in Loop: Header=BB63_418 Depth=1
	s_or_b32 exec_lo, exec_lo, s0
	s_delay_alu instid0(VALU_DEP_1) | instskip(SKIP_2) | instid1(VALU_DEP_2)
	v_mul_f32_e32 v9, 0.5, v18
	v_add_f32_e64 v8, |v12|, v8
	s_mov_b32 s22, -1
	v_fmac_f32_e32 v9, 0.5, v23
	s_delay_alu instid0(VALU_DEP_1) | instskip(NEXT) | instid1(VALU_DEP_1)
	v_mul_f32_e32 v8, v8, v9
	v_mul_f32_e32 v9, 0x4f800000, v8
	v_cmp_gt_f32_e32 vcc_lo, 0xf800000, v8
	s_delay_alu instid0(VALU_DEP_2) | instskip(NEXT) | instid1(VALU_DEP_1)
	v_cndmask_b32_e32 v8, v8, v9, vcc_lo
	v_sqrt_f32_e32 v9, v8
	s_waitcnt_depctr 0xfff
	v_add_nc_u32_e32 v10, -1, v9
	v_add_nc_u32_e32 v11, 1, v9
	s_delay_alu instid0(VALU_DEP_2) | instskip(NEXT) | instid1(VALU_DEP_2)
	v_fma_f32 v18, -v10, v9, v8
	v_fma_f32 v19, -v11, v9, v8
	s_delay_alu instid0(VALU_DEP_2) | instskip(NEXT) | instid1(VALU_DEP_1)
	v_cmp_ge_f32_e64 s0, 0, v18
	v_cndmask_b32_e64 v9, v9, v10, s0
	s_delay_alu instid0(VALU_DEP_3) | instskip(NEXT) | instid1(VALU_DEP_1)
	v_cmp_lt_f32_e64 s0, 0, v19
	v_cndmask_b32_e64 v9, v9, v11, s0
	s_delay_alu instid0(VALU_DEP_1) | instskip(NEXT) | instid1(VALU_DEP_1)
	v_mul_f32_e32 v10, 0x37800000, v9
	v_cndmask_b32_e32 v9, v9, v10, vcc_lo
	v_cmp_class_f32_e64 vcc_lo, v8, 0x260
                                        ; implicit-def: $vgpr10
	s_delay_alu instid0(VALU_DEP_2)
	v_cndmask_b32_e32 v23, v9, v8, vcc_lo
                                        ; implicit-def: $vgpr9
.LBB63_557:                             ;   in Loop: Header=BB63_418 Depth=1
	s_and_not1_saveexec_b32 s23, s23
	s_cbranch_execz .LBB63_563
; %bb.558:                              ;   in Loop: Header=BB63_418 Depth=1
	s_mov_b32 s25, exec_lo
                                        ; implicit-def: $vgpr23
                                        ; implicit-def: $sgpr24
	v_cmpx_ngt_f32_e64 |v12|, 1.0
	s_xor_b32 s25, exec_lo, s25
	s_cbranch_execz .LBB63_560
; %bb.559:                              ;   in Loop: Header=BB63_418 Depth=1
	v_sub_f32_e64 v8, 1.0, |v12|
	s_mov_b32 s24, -1
	s_delay_alu instid0(VALU_DEP_1) | instskip(NEXT) | instid1(VALU_DEP_1)
	v_mul_f32_e32 v8, v8, v10
	v_mul_f32_e32 v9, 0x4f800000, v8
	v_cmp_gt_f32_e32 vcc_lo, 0xf800000, v8
	s_delay_alu instid0(VALU_DEP_2) | instskip(NEXT) | instid1(VALU_DEP_1)
	v_cndmask_b32_e32 v8, v8, v9, vcc_lo
	v_sqrt_f32_e32 v9, v8
	s_waitcnt_depctr 0xfff
	v_add_nc_u32_e32 v10, -1, v9
	v_add_nc_u32_e32 v11, 1, v9
	s_delay_alu instid0(VALU_DEP_2) | instskip(NEXT) | instid1(VALU_DEP_2)
	v_fma_f32 v18, -v10, v9, v8
	v_fma_f32 v19, -v11, v9, v8
	s_delay_alu instid0(VALU_DEP_2) | instskip(NEXT) | instid1(VALU_DEP_1)
	v_cmp_ge_f32_e64 s0, 0, v18
	v_cndmask_b32_e64 v9, v9, v10, s0
	s_delay_alu instid0(VALU_DEP_3) | instskip(NEXT) | instid1(VALU_DEP_1)
	v_cmp_lt_f32_e64 s0, 0, v19
	v_cndmask_b32_e64 v9, v9, v11, s0
	s_delay_alu instid0(VALU_DEP_1) | instskip(NEXT) | instid1(VALU_DEP_1)
	v_mul_f32_e32 v10, 0x37800000, v9
	v_cndmask_b32_e32 v9, v9, v10, vcc_lo
	v_cmp_class_f32_e64 vcc_lo, v8, 0x260
                                        ; implicit-def: $vgpr10
	s_delay_alu instid0(VALU_DEP_2)
	v_cndmask_b32_e32 v23, v9, v8, vcc_lo
                                        ; implicit-def: $vgpr9
.LBB63_560:                             ;   in Loop: Header=BB63_418 Depth=1
	s_and_not1_saveexec_b32 s25, s25
	s_cbranch_execz .LBB63_562
; %bb.561:                              ;   in Loop: Header=BB63_418 Depth=1
	v_mul_f32_e32 v8, v10, v9
	s_or_b32 s24, s24, exec_lo
	s_delay_alu instid0(VALU_DEP_1) | instskip(SKIP_1) | instid1(VALU_DEP_2)
	v_mul_f32_e32 v9, 0x4f800000, v8
	v_cmp_gt_f32_e32 vcc_lo, 0xf800000, v8
	v_cndmask_b32_e32 v8, v8, v9, vcc_lo
	s_delay_alu instid0(VALU_DEP_1) | instskip(SKIP_3) | instid1(VALU_DEP_2)
	v_sqrt_f32_e32 v9, v8
	s_waitcnt_depctr 0xfff
	v_add_nc_u32_e32 v10, -1, v9
	v_add_nc_u32_e32 v11, 1, v9
	v_fma_f32 v18, -v10, v9, v8
	s_delay_alu instid0(VALU_DEP_2) | instskip(NEXT) | instid1(VALU_DEP_2)
	v_fma_f32 v19, -v11, v9, v8
	v_cmp_ge_f32_e64 s0, 0, v18
	s_delay_alu instid0(VALU_DEP_1) | instskip(NEXT) | instid1(VALU_DEP_3)
	v_cndmask_b32_e64 v9, v9, v10, s0
	v_cmp_lt_f32_e64 s0, 0, v19
	s_delay_alu instid0(VALU_DEP_1) | instskip(SKIP_1) | instid1(VALU_DEP_2)
	v_cndmask_b32_e64 v9, v9, v11, s0
	v_mul_f32_e64 v11, 0x57800000, |v13|
	v_mul_f32_e32 v10, 0x37800000, v9
	s_delay_alu instid0(VALU_DEP_1) | instskip(SKIP_1) | instid1(VALU_DEP_4)
	v_cndmask_b32_e32 v9, v9, v10, vcc_lo
	v_cmp_class_f32_e64 vcc_lo, v8, 0x260
	v_mul_f32_e64 v10, |v12|, v11
	s_delay_alu instid0(VALU_DEP_3) | instskip(NEXT) | instid1(VALU_DEP_1)
	v_cndmask_b32_e32 v8, v9, v8, vcc_lo
	v_div_scale_f32 v9, null, v8, v8, v10
	v_div_scale_f32 v19, vcc_lo, v10, v8, v10
	s_delay_alu instid0(VALU_DEP_2) | instskip(SKIP_2) | instid1(VALU_DEP_1)
	v_rcp_f32_e32 v11, v9
	s_waitcnt_depctr 0xfff
	v_fma_f32 v18, -v9, v11, 1.0
	v_fmac_f32_e32 v11, v18, v11
	s_delay_alu instid0(VALU_DEP_1) | instskip(NEXT) | instid1(VALU_DEP_1)
	v_mul_f32_e32 v18, v19, v11
	v_fma_f32 v22, -v9, v18, v19
	s_delay_alu instid0(VALU_DEP_1) | instskip(SKIP_1) | instid1(VALU_DEP_2)
	v_fmac_f32_e32 v18, v22, v11
	v_mul_f32_e64 v22, 0x57800000, |v12|
	v_fma_f32 v9, -v9, v18, v19
	s_delay_alu instid0(VALU_DEP_1) | instskip(NEXT) | instid1(VALU_DEP_1)
	v_div_fmas_f32 v9, v9, v11, v18
	v_div_fixup_f32 v23, v9, v8, v10
.LBB63_562:                             ;   in Loop: Header=BB63_418 Depth=1
	s_or_b32 exec_lo, exec_lo, s25
	s_delay_alu instid0(SALU_CYCLE_1) | instskip(SKIP_1) | instid1(SALU_CYCLE_1)
	s_and_not1_b32 s0, s22, exec_lo
	s_and_b32 s22, s24, exec_lo
	s_or_b32 s22, s0, s22
.LBB63_563:                             ;   in Loop: Header=BB63_418 Depth=1
	s_or_b32 exec_lo, exec_lo, s23
	s_delay_alu instid0(SALU_CYCLE_1)
	s_and_b32 s22, s22, exec_lo
                                        ; implicit-def: $vgpr8
.LBB63_564:                             ;   in Loop: Header=BB63_418 Depth=1
	s_and_not1_saveexec_b32 s23, s1
	s_cbranch_execz .LBB63_566
; %bb.565:                              ;   in Loop: Header=BB63_418 Depth=1
	v_add_f32_e32 v8, 1.0, v8
	v_mul_f32_e64 v9, 0x4f800000, |v13|
	v_cmp_gt_f32_e64 vcc_lo, 0xf800000, |v13|
	s_or_b32 s22, s22, exec_lo
	s_delay_alu instid0(VALU_DEP_3) | instskip(NEXT) | instid1(VALU_DEP_2)
	v_mul_f32_e32 v8, 0.5, v8
	v_cndmask_b32_e64 v9, |v13|, v9, vcc_lo
	s_delay_alu instid0(VALU_DEP_2) | instskip(SKIP_1) | instid1(VALU_DEP_1)
	v_mul_f32_e32 v10, 0x4f800000, v8
	v_cmp_gt_f32_e64 s0, 0xf800000, v8
	v_cndmask_b32_e64 v8, v8, v10, s0
	s_delay_alu instid0(VALU_DEP_4) | instskip(NEXT) | instid1(VALU_DEP_1)
	v_sqrt_f32_e32 v10, v9
	v_sqrt_f32_e32 v11, v8
	s_waitcnt_depctr 0xfff
	v_add_nc_u32_e32 v18, -1, v10
	v_add_nc_u32_e32 v22, 1, v10
	v_add_nc_u32_e32 v19, -1, v11
	s_delay_alu instid0(VALU_DEP_3) | instskip(SKIP_1) | instid1(VALU_DEP_4)
	v_fma_f32 v23, -v18, v10, v9
	v_add_nc_u32_e32 v24, 1, v11
	v_fma_f32 v26, -v22, v10, v9
	s_delay_alu instid0(VALU_DEP_4) | instskip(NEXT) | instid1(VALU_DEP_4)
	v_fma_f32 v25, -v19, v11, v8
	v_cmp_ge_f32_e64 s1, 0, v23
	s_delay_alu instid0(VALU_DEP_1) | instskip(NEXT) | instid1(VALU_DEP_3)
	v_cndmask_b32_e64 v10, v10, v18, s1
	v_cmp_ge_f32_e64 s1, 0, v25
	v_fma_f32 v18, -v24, v11, v8
	s_delay_alu instid0(VALU_DEP_2) | instskip(SKIP_1) | instid1(VALU_DEP_1)
	v_cndmask_b32_e64 v11, v11, v19, s1
	v_cmp_lt_f32_e64 s1, 0, v26
	v_cndmask_b32_e64 v10, v10, v22, s1
	s_delay_alu instid0(VALU_DEP_4) | instskip(SKIP_1) | instid1(VALU_DEP_3)
	v_cmp_lt_f32_e64 s1, 0, v18
	v_mov_b32_e32 v22, 1.0
	v_mul_f32_e32 v18, 0x37800000, v10
	s_delay_alu instid0(VALU_DEP_3) | instskip(NEXT) | instid1(VALU_DEP_1)
	v_cndmask_b32_e64 v11, v11, v24, s1
	v_dual_cndmask_b32 v10, v10, v18 :: v_dual_mul_f32 v19, 0x37800000, v11
	v_cmp_class_f32_e64 vcc_lo, v9, 0x260
	s_delay_alu instid0(VALU_DEP_2) | instskip(NEXT) | instid1(VALU_DEP_3)
	v_cndmask_b32_e64 v11, v11, v19, s0
	v_cndmask_b32_e32 v9, v10, v9, vcc_lo
	v_cmp_class_f32_e64 vcc_lo, v8, 0x260
	s_delay_alu instid0(VALU_DEP_3) | instskip(NEXT) | instid1(VALU_DEP_1)
	v_cndmask_b32_e32 v8, v11, v8, vcc_lo
	v_mul_f32_e32 v23, v9, v8
.LBB63_566:                             ;   in Loop: Header=BB63_418 Depth=1
	s_or_b32 exec_lo, exec_lo, s23
	s_delay_alu instid0(SALU_CYCLE_1)
	s_and_b32 s0, s22, exec_lo
.LBB63_567:                             ;   in Loop: Header=BB63_418 Depth=1
	s_or_b32 exec_lo, exec_lo, s21
	s_delay_alu instid0(SALU_CYCLE_1)
	s_and_b32 s0, s0, exec_lo
                                        ; implicit-def: $vgpr8
.LBB63_568:                             ;   in Loop: Header=BB63_418 Depth=1
	s_and_not1_saveexec_b32 s1, s20
; %bb.569:                              ;   in Loop: Header=BB63_418 Depth=1
	v_mul_f32_e32 v23, 0x4b800000, v8
	v_mul_f32_e64 v22, 0x4b800000, |v12|
	s_or_b32 s0, s0, exec_lo
                                        ; implicit-def: $vgpr21
; %bb.570:                              ;   in Loop: Header=BB63_418 Depth=1
	s_or_b32 exec_lo, exec_lo, s1
	s_xor_b32 s0, s0, -1
                                        ; implicit-def: $vgpr8
	s_delay_alu instid0(SALU_CYCLE_1) | instskip(NEXT) | instid1(SALU_CYCLE_1)
	s_and_saveexec_b32 s1, s0
	s_xor_b32 s0, exec_lo, s1
	s_cbranch_execz .LBB63_572
; %bb.571:                              ;   in Loop: Header=BB63_418 Depth=1
	v_fma_f32 v8, |v21|, -0.5, 0.5
	v_mul_f32_e32 v9, v21, v21
	v_cmp_ge_f32_e64 vcc_lo, |v21|, 0.5
                                        ; implicit-def: $vgpr22
                                        ; implicit-def: $vgpr23
	s_delay_alu instid0(VALU_DEP_2) | instskip(SKIP_1) | instid1(VALU_DEP_2)
	v_cndmask_b32_e32 v8, v9, v8, vcc_lo
	v_cmp_lt_f32_e64 vcc_lo, |v21|, 0.5
	v_fmaak_f32 v9, s14, v8, 0x3c5fc5da
	v_sqrt_f32_e32 v10, v8
	s_delay_alu instid0(VALU_DEP_1) | instskip(NEXT) | instid1(VALU_DEP_1)
	v_fmaak_f32 v9, v8, v9, 0x3d034c3c
	v_fmaak_f32 v9, v8, v9, 0x3d3641b1
	s_delay_alu instid0(VALU_DEP_1) | instskip(NEXT) | instid1(VALU_DEP_1)
	v_fmaak_f32 v9, v8, v9, 0x3d999bc8
	v_fmaak_f32 v9, v8, v9, 0x3e2aaaac
	s_delay_alu instid0(VALU_DEP_1) | instskip(SKIP_3) | instid1(VALU_DEP_2)
	v_mul_f32_e32 v8, v8, v9
	s_waitcnt_depctr 0xfff
	v_fmac_f32_e32 v10, v10, v8
	v_fma_f32 v8, |v21|, v8, |v21|
	v_add_f32_e32 v9, v10, v10
	s_delay_alu instid0(VALU_DEP_1) | instskip(NEXT) | instid1(VALU_DEP_1)
	v_sub_f32_e32 v9, 0x3fc90fdb, v9
	v_cndmask_b32_e32 v8, v9, v8, vcc_lo
	s_delay_alu instid0(VALU_DEP_1)
	v_bfi_b32 v8, 0x7fffffff, v8, v21
.LBB63_572:                             ;   in Loop: Header=BB63_418 Depth=1
	s_and_not1_saveexec_b32 s20, s0
	s_cbranch_execz .LBB63_574
; %bb.573:                              ;   in Loop: Header=BB63_418 Depth=1
	v_max_f32_e32 v8, v22, v22
	v_max_f32_e64 v9, |v23|, |v23|
	v_cmp_gt_f32_e64 vcc_lo, v22, |v23|
	v_cmp_eq_f32_e64 s1, 0, v22
	v_cmp_class_f32_e64 s21, v23, 0x204
	v_cmp_eq_f32_e64 s0, 0x7f800000, v22
	v_max_f32_e32 v10, v9, v8
	v_min_f32_e32 v8, v9, v8
	s_delay_alu instid0(VALU_DEP_2) | instskip(SKIP_1) | instid1(VALU_DEP_2)
	v_frexp_mant_f32_e32 v11, v10
	v_frexp_exp_i32_f32_e32 v10, v10
	v_rcp_f32_e32 v9, v11
	s_delay_alu instid0(VALU_DEP_3) | instskip(SKIP_1) | instid1(VALU_DEP_2)
	v_frexp_exp_i32_f32_e32 v11, v8
	v_frexp_mant_f32_e32 v8, v8
	v_sub_nc_u32_e32 v10, v11, v10
	s_waitcnt_depctr 0xfff
	v_mul_f32_e32 v8, v8, v9
	s_delay_alu instid0(VALU_DEP_1) | instskip(NEXT) | instid1(VALU_DEP_1)
	v_ldexp_f32 v8, v8, v10
	v_mul_f32_e32 v9, v8, v8
	s_delay_alu instid0(VALU_DEP_1) | instskip(NEXT) | instid1(VALU_DEP_1)
	v_fmaak_f32 v10, s15, v9, 0xbc7a590c
	v_fmaak_f32 v10, v9, v10, 0x3d29fb3f
	s_delay_alu instid0(VALU_DEP_1) | instskip(NEXT) | instid1(VALU_DEP_1)
	v_fmaak_f32 v10, v9, v10, 0xbd97d4d7
	v_fmaak_f32 v10, v9, v10, 0x3dd931b2
	;; [unrolled: 3-line block ×3, first 2 shown]
	s_delay_alu instid0(VALU_DEP_1) | instskip(NEXT) | instid1(VALU_DEP_1)
	v_fmaak_f32 v10, v9, v10, 0xbeaaaa62
	v_mul_f32_e32 v9, v9, v10
	s_delay_alu instid0(VALU_DEP_1) | instskip(NEXT) | instid1(VALU_DEP_1)
	v_fmac_f32_e32 v8, v8, v9
	v_sub_f32_e32 v9, 0x3fc90fdb, v8
	s_delay_alu instid0(VALU_DEP_1) | instskip(SKIP_1) | instid1(VALU_DEP_2)
	v_cndmask_b32_e32 v8, v8, v9, vcc_lo
	v_cmp_gt_i32_e32 vcc_lo, 0, v23
	v_sub_f32_e32 v9, 0x40490fdb, v8
	v_cndmask_b32_e64 v10, 0, 0x40490fdb, vcc_lo
	v_cmp_gt_f32_e32 vcc_lo, 0, v23
	s_delay_alu instid0(VALU_DEP_3) | instskip(SKIP_2) | instid1(VALU_DEP_2)
	v_cndmask_b32_e32 v8, v8, v9, vcc_lo
	v_cndmask_b32_e32 v9, 0x3f490fdb, v17, vcc_lo
	s_and_b32 vcc_lo, s0, s21
	v_cndmask_b32_e64 v8, v8, v10, s1
	s_delay_alu instid0(VALU_DEP_1) | instskip(SKIP_1) | instid1(VALU_DEP_2)
	v_cndmask_b32_e32 v8, v8, v9, vcc_lo
	v_cmp_o_f32_e32 vcc_lo, v23, v22
	v_cndmask_b32_e64 v8, 0x7fc00000, |v8|, vcc_lo
.LBB63_574:                             ;   in Loop: Header=BB63_418 Depth=1
	s_or_b32 exec_lo, exec_lo, s20
	v_bfi_b32 v13, 0x7fffffff, v20, v13
	s_delay_alu instid0(VALU_DEP_2)
	v_bfi_b32 v12, 0x7fffffff, v8, v12
.LBB63_575:                             ;   in Loop: Header=BB63_418 Depth=1
	s_or_b32 exec_lo, exec_lo, s19
.LBB63_576:                             ;   in Loop: Header=BB63_418 Depth=1
	s_delay_alu instid0(SALU_CYCLE_1) | instskip(SKIP_1) | instid1(VALU_DEP_1)
	s_or_b32 exec_lo, exec_lo, s18
	s_waitcnt lgkmcnt(0)
	v_dual_mov_b32 v8, v12 :: v_dual_mov_b32 v9, v13
                                        ; implicit-def: $vgpr10_vgpr11_vgpr12_vgpr13
                                        ; implicit-def: $vgpr11
                                        ; implicit-def: $vgpr18
                                        ; implicit-def: $vgpr10
.LBB63_577:                             ;   in Loop: Header=BB63_418 Depth=1
	s_and_not1_saveexec_b32 s17, s17
	s_cbranch_execz .LBB63_599
; %bb.578:                              ;   in Loop: Header=BB63_418 Depth=1
                                        ; implicit-def: $vgpr8
                                        ; implicit-def: $vgpr9
	s_mov_b32 s0, exec_lo
	v_cmpx_lt_i32_e32 -1, v13
	s_xor_b32 s18, exec_lo, s0
	s_cbranch_execz .LBB63_588
; %bb.579:                              ;   in Loop: Header=BB63_418 Depth=1
	v_cmp_lt_f32_e64 s0, |v13|, |v12|
                                        ; implicit-def: $vgpr8
                                        ; implicit-def: $vgpr9
	s_mov_b32 s1, exec_lo
	s_delay_alu instid0(VALU_DEP_1) | instskip(NEXT) | instid1(VALU_DEP_1)
	v_cndmask_b32_e64 v19, |v13|, |v12|, s0
	v_cmpx_nlt_f32_e32 0x7effffff, v19
	s_xor_b32 s19, exec_lo, s1
	s_cbranch_execz .LBB63_585
; %bb.580:                              ;   in Loop: Header=BB63_418 Depth=1
	v_cndmask_b32_e64 v20, |v12|, |v13|, s0
	v_cmp_nlt_f32_e32 vcc_lo, 0x5e000000, v19
                                        ; implicit-def: $vgpr8
                                        ; implicit-def: $vgpr9
	s_delay_alu instid0(VALU_DEP_2) | instskip(NEXT) | instid1(VALU_DEP_1)
	v_cmp_ngt_f32_e64 s1, 0x20000000, v20
	s_and_b32 s1, vcc_lo, s1
	s_delay_alu instid0(SALU_CYCLE_1) | instskip(NEXT) | instid1(SALU_CYCLE_1)
	s_and_saveexec_b32 s20, s1
	s_xor_b32 s20, exec_lo, s20
	s_cbranch_execz .LBB63_582
; %bb.581:                              ;   in Loop: Header=BB63_418 Depth=1
	v_frexp_mant_f32_e32 v8, v10
	v_frexp_exp_i32_f32_e32 v10, v10
	s_delay_alu instid0(VALU_DEP_2) | instskip(SKIP_1) | instid1(VALU_DEP_1)
	v_rcp_f32_e32 v8, v8
	v_min_f32_e32 v9, v11, v18
	v_frexp_mant_f32_e32 v18, v9
	s_waitcnt_depctr 0xfff
	v_mul_f32_e32 v8, v18, v8
	v_frexp_exp_i32_f32_e32 v9, v9
	s_delay_alu instid0(VALU_DEP_1) | instskip(NEXT) | instid1(VALU_DEP_1)
	v_sub_nc_u32_e32 v9, v9, v10
	v_ldexp_f32 v9, v8, v9
	v_mul_f32_e32 v11, v20, v20
	s_delay_alu instid0(VALU_DEP_1) | instskip(NEXT) | instid1(VALU_DEP_1)
	v_fmac_f32_e32 v11, v19, v19
	v_cmp_gt_f32_e32 vcc_lo, 0x800000, v11
	v_cndmask_b32_e64 v10, 1.0, 0x4f800000, vcc_lo
	s_delay_alu instid0(VALU_DEP_1) | instskip(SKIP_1) | instid1(VALU_DEP_1)
	v_mul_f32_e32 v8, v11, v10
	v_mul_f32_e32 v10, v9, v9
	v_fmaak_f32 v11, s15, v10, 0xbc7a590c
	s_delay_alu instid0(VALU_DEP_1) | instskip(NEXT) | instid1(VALU_DEP_4)
	v_fmaak_f32 v11, v10, v11, 0x3d29fb3f
	v_log_f32_e32 v8, v8
	s_waitcnt_depctr 0xfff
	v_mul_f32_e32 v18, 0x3f317217, v8
	v_cmp_gt_f32_e64 s1, 0x7f800000, |v8|
	s_delay_alu instid0(VALU_DEP_2) | instskip(NEXT) | instid1(VALU_DEP_1)
	v_fma_f32 v19, 0x3f317217, v8, -v18
	v_fmac_f32_e32 v19, 0x3377d1cf, v8
	s_delay_alu instid0(VALU_DEP_1) | instskip(NEXT) | instid1(VALU_DEP_1)
	v_add_f32_e32 v18, v18, v19
	v_cndmask_b32_e64 v8, v8, v18, s1
	v_cndmask_b32_e64 v18, 0, 0x41b17218, vcc_lo
	s_delay_alu instid0(VALU_DEP_1) | instskip(NEXT) | instid1(VALU_DEP_1)
	v_dual_fmaak_f32 v11, v10, v11, 0xbd97d4d7 :: v_dual_sub_f32 v8, v8, v18
	v_fmaak_f32 v11, v10, v11, 0x3dd931b2
                                        ; implicit-def: $vgpr18
	s_delay_alu instid0(VALU_DEP_1) | instskip(NEXT) | instid1(VALU_DEP_1)
	v_dual_mul_f32 v8, 0.5, v8 :: v_dual_fmaak_f32 v11, v10, v11, 0xbe1160e6
	v_fmaak_f32 v11, v10, v11, 0x3e4cb8bf
	s_delay_alu instid0(VALU_DEP_1) | instskip(NEXT) | instid1(VALU_DEP_1)
	v_fmaak_f32 v11, v10, v11, 0xbeaaaa62
	v_mul_f32_e32 v10, v10, v11
                                        ; implicit-def: $vgpr11
	s_delay_alu instid0(VALU_DEP_1)
	v_fmac_f32_e32 v9, v9, v10
                                        ; implicit-def: $vgpr10
.LBB63_582:                             ;   in Loop: Header=BB63_418 Depth=1
	s_and_not1_saveexec_b32 s1, s20
	s_cbranch_execz .LBB63_584
; %bb.583:                              ;   in Loop: Header=BB63_418 Depth=1
	v_cvt_f64_f32_e32 v[8:9], v10
	v_cmp_neq_f32_e32 vcc_lo, 0x7f800000, v10
	v_min_f32_e32 v11, v11, v18
	v_frexp_exp_i32_f32_e32 v18, v10
	s_delay_alu instid0(VALU_DEP_2) | instskip(SKIP_1) | instid1(VALU_DEP_2)
	v_frexp_exp_i32_f32_e32 v20, v11
	v_frexp_mant_f32_e32 v11, v11
	v_sub_nc_u32_e32 v18, v20, v18
	v_frexp_exp_i32_f64_e32 v8, v[8:9]
	s_delay_alu instid0(VALU_DEP_1) | instskip(NEXT) | instid1(VALU_DEP_1)
	v_sub_nc_u32_e32 v9, 0, v8
	v_ldexp_f32 v19, |v12|, v9
	v_ldexp_f32 v9, |v13|, v9
	s_delay_alu instid0(VALU_DEP_2) | instskip(NEXT) | instid1(VALU_DEP_1)
	v_mul_f32_e32 v19, v19, v19
	v_fmac_f32_e32 v19, v9, v9
	v_frexp_mant_f32_e32 v9, v10
	s_delay_alu instid0(VALU_DEP_2) | instskip(NEXT) | instid1(VALU_DEP_1)
	v_sqrt_f32_e32 v19, v19
	v_rcp_f32_e32 v9, v9
	s_waitcnt_depctr 0xfff
	v_ldexp_f32 v8, v19, v8
	s_delay_alu instid0(VALU_DEP_1) | instskip(NEXT) | instid1(VALU_DEP_1)
	v_dual_mul_f32 v9, v11, v9 :: v_dual_cndmask_b32 v8, 0x7f800000, v8
	v_ldexp_f32 v9, v9, v18
	s_delay_alu instid0(VALU_DEP_2) | instskip(SKIP_1) | instid1(VALU_DEP_1)
	v_cmp_gt_f32_e32 vcc_lo, 0x800000, v8
	v_cndmask_b32_e64 v10, 1.0, 0x4f800000, vcc_lo
	v_mul_f32_e32 v8, v8, v10
	s_delay_alu instid0(VALU_DEP_1) | instskip(SKIP_2) | instid1(VALU_DEP_1)
	v_log_f32_e32 v8, v8
	s_waitcnt_depctr 0xfff
	v_mul_f32_e32 v18, 0x3f317217, v8
	v_fma_f32 v19, 0x3f317217, v8, -v18
	s_delay_alu instid0(VALU_DEP_1) | instskip(NEXT) | instid1(VALU_DEP_1)
	v_fmac_f32_e32 v19, 0x3377d1cf, v8
	v_dual_mul_f32 v11, v9, v9 :: v_dual_add_f32 v18, v18, v19
	s_delay_alu instid0(VALU_DEP_1) | instskip(SKIP_2) | instid1(VALU_DEP_3)
	v_fmaak_f32 v10, s15, v11, 0xbc7a590c
	v_cndmask_b32_e64 v19, 0, 0x41b17218, vcc_lo
	v_cmp_gt_f32_e64 vcc_lo, 0x7f800000, |v8|
	v_fmaak_f32 v10, v11, v10, 0x3d29fb3f
	v_cndmask_b32_e32 v8, v8, v18, vcc_lo
	s_delay_alu instid0(VALU_DEP_2) | instskip(NEXT) | instid1(VALU_DEP_1)
	v_fmaak_f32 v10, v11, v10, 0xbd97d4d7
	v_fmaak_f32 v10, v11, v10, 0x3dd931b2
	s_delay_alu instid0(VALU_DEP_1) | instskip(NEXT) | instid1(VALU_DEP_1)
	v_fmaak_f32 v10, v11, v10, 0xbe1160e6
	v_fmaak_f32 v10, v11, v10, 0x3e4cb8bf
	s_delay_alu instid0(VALU_DEP_1) | instskip(NEXT) | instid1(VALU_DEP_1)
	v_fmaak_f32 v10, v11, v10, 0xbeaaaa62
	v_mul_f32_e32 v10, v11, v10
	s_delay_alu instid0(VALU_DEP_1)
	v_dual_sub_f32 v8, v8, v19 :: v_dual_fmac_f32 v9, v9, v10
.LBB63_584:                             ;   in Loop: Header=BB63_418 Depth=1
	s_or_b32 exec_lo, exec_lo, s1
                                        ; implicit-def: $vgpr11
                                        ; implicit-def: $vgpr18
                                        ; implicit-def: $vgpr10
.LBB63_585:                             ;   in Loop: Header=BB63_418 Depth=1
	s_and_not1_saveexec_b32 s19, s19
	s_cbranch_execz .LBB63_587
; %bb.586:                              ;   in Loop: Header=BB63_418 Depth=1
	v_div_scale_f32 v8, null, 0x402df854, 0x402df854, v13
	v_div_scale_f32 v9, null, 0x402df854, 0x402df854, v12
	v_div_scale_f32 v23, vcc_lo, v13, 0x402df854, v13
	s_delay_alu instid0(VALU_DEP_3) | instskip(NEXT) | instid1(VALU_DEP_2)
	v_rcp_f32_e32 v19, v8
	v_rcp_f32_e32 v20, v9
	v_min_f32_e32 v11, v11, v18
	s_waitcnt_depctr 0xfff
	v_fma_f32 v21, -v8, v19, 1.0
	v_fma_f32 v22, -v9, v20, 1.0
	s_delay_alu instid0(VALU_DEP_1) | instskip(SKIP_1) | instid1(VALU_DEP_2)
	v_dual_fmac_f32 v19, v21, v19 :: v_dual_fmac_f32 v20, v22, v20
	v_div_scale_f32 v21, s1, v12, 0x402df854, v12
	v_mul_f32_e32 v22, v23, v19
	s_waitcnt lgkmcnt(0)
	s_delay_alu instid0(VALU_DEP_2) | instskip(NEXT) | instid1(VALU_DEP_2)
	v_mul_f32_e32 v24, v21, v20
	v_fma_f32 v25, -v8, v22, v23
	s_delay_alu instid0(VALU_DEP_2) | instskip(NEXT) | instid1(VALU_DEP_2)
	v_fma_f32 v26, -v9, v24, v21
	v_fmac_f32_e32 v22, v25, v19
	s_delay_alu instid0(VALU_DEP_2) | instskip(NEXT) | instid1(VALU_DEP_2)
	v_fmac_f32_e32 v24, v26, v20
	v_fma_f32 v8, -v8, v22, v23
	s_delay_alu instid0(VALU_DEP_2) | instskip(NEXT) | instid1(VALU_DEP_2)
	v_fma_f32 v9, -v9, v24, v21
	v_div_fmas_f32 v8, v8, v19, v22
	s_mov_b32 vcc_lo, s1
	s_delay_alu instid0(VALU_DEP_2) | instskip(NEXT) | instid1(VALU_DEP_2)
	v_div_fmas_f32 v9, v9, v20, v24
	v_div_fixup_f32 v19, v8, 0x402df854, v13
	s_delay_alu instid0(VALU_DEP_2) | instskip(NEXT) | instid1(VALU_DEP_1)
	v_div_fixup_f32 v20, v9, 0x402df854, v12
	v_max_f32_e64 v21, |v19|, |v20|
	s_delay_alu instid0(VALU_DEP_1) | instskip(SKIP_1) | instid1(VALU_DEP_2)
	v_cvt_f64_f32_e32 v[8:9], v21
	v_cmp_neq_f32_e32 vcc_lo, 0x7f800000, v21
	v_frexp_exp_i32_f64_e32 v8, v[8:9]
	s_delay_alu instid0(VALU_DEP_1) | instskip(NEXT) | instid1(VALU_DEP_1)
	v_sub_nc_u32_e32 v9, 0, v8
	v_ldexp_f32 v20, |v20|, v9
	v_ldexp_f32 v9, |v19|, v9
	s_delay_alu instid0(VALU_DEP_2) | instskip(NEXT) | instid1(VALU_DEP_1)
	v_mul_f32_e32 v19, v20, v20
	v_fmac_f32_e32 v19, v9, v9
	s_delay_alu instid0(VALU_DEP_1) | instskip(SKIP_2) | instid1(VALU_DEP_2)
	v_sqrt_f32_e32 v9, v19
	v_frexp_mant_f32_e32 v19, v10
	v_frexp_exp_i32_f32_e32 v10, v10
	v_rcp_f32_e32 v18, v19
	s_waitcnt_depctr 0xfff
	v_ldexp_f32 v8, v9, v8
	v_frexp_exp_i32_f32_e32 v9, v11
	v_frexp_mant_f32_e32 v11, v11
	s_delay_alu instid0(VALU_DEP_2) | instskip(NEXT) | instid1(VALU_DEP_2)
	v_sub_nc_u32_e32 v9, v9, v10
	v_mul_f32_e32 v10, v11, v18
	s_delay_alu instid0(VALU_DEP_1) | instskip(SKIP_1) | instid1(VALU_DEP_2)
	v_ldexp_f32 v9, v10, v9
	v_cndmask_b32_e32 v8, 0x7f800000, v8, vcc_lo
	v_mul_f32_e32 v10, v9, v9
	s_delay_alu instid0(VALU_DEP_2) | instskip(SKIP_1) | instid1(VALU_DEP_1)
	v_cmp_gt_f32_e32 vcc_lo, 0x800000, v8
	v_cndmask_b32_e64 v11, 1.0, 0x4f800000, vcc_lo
	v_dual_mul_f32 v8, v8, v11 :: v_dual_fmaak_f32 v11, s15, v10, 0xbc7a590c
	s_delay_alu instid0(VALU_DEP_1) | instskip(SKIP_2) | instid1(VALU_DEP_1)
	v_log_f32_e32 v8, v8
	s_waitcnt_depctr 0xfff
	v_mul_f32_e32 v18, 0x3f317217, v8
	v_fma_f32 v19, 0x3f317217, v8, -v18
	s_delay_alu instid0(VALU_DEP_1) | instskip(NEXT) | instid1(VALU_DEP_1)
	v_fmac_f32_e32 v19, 0x3377d1cf, v8
	v_add_f32_e32 v18, v18, v19
	v_cndmask_b32_e64 v19, 0, 0x41b17218, vcc_lo
	v_cmp_gt_f32_e64 vcc_lo, 0x7f800000, |v8|
	s_delay_alu instid0(VALU_DEP_3) | instskip(NEXT) | instid1(VALU_DEP_1)
	v_dual_fmaak_f32 v11, v10, v11, 0x3d29fb3f :: v_dual_cndmask_b32 v8, v8, v18
	v_sub_f32_e32 v8, v8, v19
	s_delay_alu instid0(VALU_DEP_1) | instskip(NEXT) | instid1(VALU_DEP_1)
	v_dual_fmaak_f32 v11, v10, v11, 0xbd97d4d7 :: v_dual_add_f32 v8, 1.0, v8
	v_fmaak_f32 v11, v10, v11, 0x3dd931b2
	s_delay_alu instid0(VALU_DEP_1) | instskip(NEXT) | instid1(VALU_DEP_1)
	v_fmaak_f32 v11, v10, v11, 0xbe1160e6
	v_fmaak_f32 v11, v10, v11, 0x3e4cb8bf
	s_delay_alu instid0(VALU_DEP_1) | instskip(NEXT) | instid1(VALU_DEP_1)
	v_fmaak_f32 v11, v10, v11, 0xbeaaaa62
	v_mul_f32_e32 v10, v10, v11
	s_delay_alu instid0(VALU_DEP_1)
	v_fmac_f32_e32 v9, v9, v10
.LBB63_587:                             ;   in Loop: Header=BB63_418 Depth=1
	s_or_b32 exec_lo, exec_lo, s19
	s_delay_alu instid0(VALU_DEP_1) | instskip(NEXT) | instid1(VALU_DEP_1)
	v_sub_f32_e32 v10, 0x3fc90fdb, v9
                                        ; implicit-def: $vgpr11
                                        ; implicit-def: $vgpr18
	v_cndmask_b32_e64 v9, v9, v10, s0
                                        ; implicit-def: $vgpr10
.LBB63_588:                             ;   in Loop: Header=BB63_418 Depth=1
	s_and_not1_saveexec_b32 s18, s18
	s_cbranch_execz .LBB63_598
; %bb.589:                              ;   in Loop: Header=BB63_418 Depth=1
	v_cmp_lt_f32_e64 s0, |v13|, |v12|
                                        ; implicit-def: $vgpr8
                                        ; implicit-def: $vgpr9
	s_mov_b32 s1, exec_lo
	s_delay_alu instid0(VALU_DEP_1) | instskip(NEXT) | instid1(VALU_DEP_1)
	v_cndmask_b32_e64 v19, |v13|, |v12|, s0
	v_cmpx_nlt_f32_e32 0x7effffff, v19
	s_xor_b32 s19, exec_lo, s1
	s_cbranch_execz .LBB63_595
; %bb.590:                              ;   in Loop: Header=BB63_418 Depth=1
	v_cndmask_b32_e64 v20, |v12|, |v13|, s0
	v_cmp_nlt_f32_e32 vcc_lo, 0x5e000000, v19
                                        ; implicit-def: $vgpr8
                                        ; implicit-def: $vgpr9
	s_delay_alu instid0(VALU_DEP_2) | instskip(NEXT) | instid1(VALU_DEP_1)
	v_cmp_ngt_f32_e64 s1, 0x20000000, v20
	s_and_b32 s1, vcc_lo, s1
	s_delay_alu instid0(SALU_CYCLE_1) | instskip(NEXT) | instid1(SALU_CYCLE_1)
	s_and_saveexec_b32 s20, s1
	s_xor_b32 s20, exec_lo, s20
	s_cbranch_execz .LBB63_592
; %bb.591:                              ;   in Loop: Header=BB63_418 Depth=1
	v_frexp_mant_f32_e32 v8, v10
	v_frexp_exp_i32_f32_e32 v10, v10
	s_delay_alu instid0(VALU_DEP_2) | instskip(SKIP_1) | instid1(VALU_DEP_1)
	v_rcp_f32_e32 v8, v8
	v_min_f32_e32 v9, v11, v18
	v_frexp_mant_f32_e32 v18, v9
	s_waitcnt_depctr 0xfff
	v_mul_f32_e32 v8, v18, v8
	v_frexp_exp_i32_f32_e32 v9, v9
	s_delay_alu instid0(VALU_DEP_1) | instskip(NEXT) | instid1(VALU_DEP_1)
	v_sub_nc_u32_e32 v9, v9, v10
	v_ldexp_f32 v9, v8, v9
	v_mul_f32_e32 v11, v20, v20
	s_delay_alu instid0(VALU_DEP_1) | instskip(NEXT) | instid1(VALU_DEP_1)
	v_fmac_f32_e32 v11, v19, v19
	v_cmp_gt_f32_e32 vcc_lo, 0x800000, v11
	v_cndmask_b32_e64 v10, 1.0, 0x4f800000, vcc_lo
	s_delay_alu instid0(VALU_DEP_1) | instskip(SKIP_1) | instid1(VALU_DEP_1)
	v_mul_f32_e32 v8, v11, v10
	v_mul_f32_e32 v10, v9, v9
	v_fmaak_f32 v11, s15, v10, 0xbc7a590c
	s_delay_alu instid0(VALU_DEP_1) | instskip(NEXT) | instid1(VALU_DEP_4)
	v_fmaak_f32 v11, v10, v11, 0x3d29fb3f
	v_log_f32_e32 v8, v8
	s_waitcnt_depctr 0xfff
	v_mul_f32_e32 v18, 0x3f317217, v8
	v_cmp_gt_f32_e64 s1, 0x7f800000, |v8|
	s_delay_alu instid0(VALU_DEP_2) | instskip(NEXT) | instid1(VALU_DEP_1)
	v_fma_f32 v19, 0x3f317217, v8, -v18
	v_fmac_f32_e32 v19, 0x3377d1cf, v8
	s_delay_alu instid0(VALU_DEP_1) | instskip(NEXT) | instid1(VALU_DEP_1)
	v_add_f32_e32 v18, v18, v19
	v_cndmask_b32_e64 v8, v8, v18, s1
	v_cndmask_b32_e64 v18, 0, 0x41b17218, vcc_lo
	s_delay_alu instid0(VALU_DEP_1) | instskip(NEXT) | instid1(VALU_DEP_1)
	v_dual_fmaak_f32 v11, v10, v11, 0xbd97d4d7 :: v_dual_sub_f32 v8, v8, v18
	v_fmaak_f32 v11, v10, v11, 0x3dd931b2
                                        ; implicit-def: $vgpr18
	s_delay_alu instid0(VALU_DEP_1) | instskip(NEXT) | instid1(VALU_DEP_1)
	v_dual_mul_f32 v8, 0.5, v8 :: v_dual_fmaak_f32 v11, v10, v11, 0xbe1160e6
	v_fmaak_f32 v11, v10, v11, 0x3e4cb8bf
	s_delay_alu instid0(VALU_DEP_1) | instskip(NEXT) | instid1(VALU_DEP_1)
	v_fmaak_f32 v11, v10, v11, 0xbeaaaa62
	v_mul_f32_e32 v10, v10, v11
                                        ; implicit-def: $vgpr11
	s_delay_alu instid0(VALU_DEP_1)
	v_fmac_f32_e32 v9, v9, v10
                                        ; implicit-def: $vgpr10
.LBB63_592:                             ;   in Loop: Header=BB63_418 Depth=1
	s_and_not1_saveexec_b32 s1, s20
	s_cbranch_execz .LBB63_594
; %bb.593:                              ;   in Loop: Header=BB63_418 Depth=1
	v_cvt_f64_f32_e32 v[8:9], v10
	v_cmp_neq_f32_e32 vcc_lo, 0x7f800000, v10
	v_min_f32_e32 v11, v11, v18
	v_frexp_exp_i32_f32_e32 v18, v10
	s_delay_alu instid0(VALU_DEP_2) | instskip(SKIP_1) | instid1(VALU_DEP_2)
	v_frexp_exp_i32_f32_e32 v20, v11
	v_frexp_mant_f32_e32 v11, v11
	v_sub_nc_u32_e32 v18, v20, v18
	v_frexp_exp_i32_f64_e32 v8, v[8:9]
	s_delay_alu instid0(VALU_DEP_1) | instskip(NEXT) | instid1(VALU_DEP_1)
	v_sub_nc_u32_e32 v9, 0, v8
	v_ldexp_f32 v19, |v12|, v9
	v_ldexp_f32 v9, |v13|, v9
	s_delay_alu instid0(VALU_DEP_2) | instskip(NEXT) | instid1(VALU_DEP_1)
	v_mul_f32_e32 v19, v19, v19
	v_fmac_f32_e32 v19, v9, v9
	v_frexp_mant_f32_e32 v9, v10
	s_delay_alu instid0(VALU_DEP_2) | instskip(NEXT) | instid1(VALU_DEP_1)
	v_sqrt_f32_e32 v19, v19
	v_rcp_f32_e32 v9, v9
	s_waitcnt_depctr 0xfff
	v_ldexp_f32 v8, v19, v8
	s_delay_alu instid0(VALU_DEP_1) | instskip(NEXT) | instid1(VALU_DEP_1)
	v_dual_mul_f32 v9, v11, v9 :: v_dual_cndmask_b32 v8, 0x7f800000, v8
	v_ldexp_f32 v9, v9, v18
	s_delay_alu instid0(VALU_DEP_2) | instskip(SKIP_1) | instid1(VALU_DEP_1)
	v_cmp_gt_f32_e32 vcc_lo, 0x800000, v8
	v_cndmask_b32_e64 v10, 1.0, 0x4f800000, vcc_lo
	v_mul_f32_e32 v8, v8, v10
	s_delay_alu instid0(VALU_DEP_1) | instskip(SKIP_2) | instid1(VALU_DEP_1)
	v_log_f32_e32 v8, v8
	s_waitcnt_depctr 0xfff
	v_mul_f32_e32 v18, 0x3f317217, v8
	v_fma_f32 v19, 0x3f317217, v8, -v18
	s_delay_alu instid0(VALU_DEP_1) | instskip(NEXT) | instid1(VALU_DEP_1)
	v_fmac_f32_e32 v19, 0x3377d1cf, v8
	v_dual_mul_f32 v11, v9, v9 :: v_dual_add_f32 v18, v18, v19
	s_delay_alu instid0(VALU_DEP_1) | instskip(SKIP_2) | instid1(VALU_DEP_3)
	v_fmaak_f32 v10, s15, v11, 0xbc7a590c
	v_cndmask_b32_e64 v19, 0, 0x41b17218, vcc_lo
	v_cmp_gt_f32_e64 vcc_lo, 0x7f800000, |v8|
	v_fmaak_f32 v10, v11, v10, 0x3d29fb3f
	v_cndmask_b32_e32 v8, v8, v18, vcc_lo
	s_delay_alu instid0(VALU_DEP_2) | instskip(NEXT) | instid1(VALU_DEP_1)
	v_fmaak_f32 v10, v11, v10, 0xbd97d4d7
	v_fmaak_f32 v10, v11, v10, 0x3dd931b2
	s_delay_alu instid0(VALU_DEP_1) | instskip(NEXT) | instid1(VALU_DEP_1)
	v_fmaak_f32 v10, v11, v10, 0xbe1160e6
	v_fmaak_f32 v10, v11, v10, 0x3e4cb8bf
	s_delay_alu instid0(VALU_DEP_1) | instskip(NEXT) | instid1(VALU_DEP_1)
	v_fmaak_f32 v10, v11, v10, 0xbeaaaa62
	v_mul_f32_e32 v10, v11, v10
	s_delay_alu instid0(VALU_DEP_1)
	v_dual_sub_f32 v8, v8, v19 :: v_dual_fmac_f32 v9, v9, v10
.LBB63_594:                             ;   in Loop: Header=BB63_418 Depth=1
	s_or_b32 exec_lo, exec_lo, s1
                                        ; implicit-def: $vgpr11
                                        ; implicit-def: $vgpr18
                                        ; implicit-def: $vgpr10
.LBB63_595:                             ;   in Loop: Header=BB63_418 Depth=1
	s_and_not1_saveexec_b32 s19, s19
	s_cbranch_execz .LBB63_597
; %bb.596:                              ;   in Loop: Header=BB63_418 Depth=1
	v_div_scale_f32 v8, null, 0xc02df854, 0xc02df854, v13
	v_div_scale_f32 v9, null, 0xc02df854, 0xc02df854, v12
	v_div_scale_f32 v23, vcc_lo, v13, 0xc02df854, v13
	s_delay_alu instid0(VALU_DEP_3) | instskip(NEXT) | instid1(VALU_DEP_2)
	v_rcp_f32_e32 v19, v8
	v_rcp_f32_e32 v20, v9
	v_min_f32_e32 v11, v11, v18
	s_waitcnt_depctr 0xfff
	v_fma_f32 v21, -v8, v19, 1.0
	v_fma_f32 v22, -v9, v20, 1.0
	s_delay_alu instid0(VALU_DEP_1) | instskip(SKIP_1) | instid1(VALU_DEP_2)
	v_dual_fmac_f32 v19, v21, v19 :: v_dual_fmac_f32 v20, v22, v20
	v_div_scale_f32 v21, s1, v12, 0xc02df854, v12
	v_mul_f32_e32 v22, v23, v19
	s_waitcnt lgkmcnt(0)
	s_delay_alu instid0(VALU_DEP_2) | instskip(NEXT) | instid1(VALU_DEP_2)
	v_mul_f32_e32 v24, v21, v20
	v_fma_f32 v25, -v8, v22, v23
	s_delay_alu instid0(VALU_DEP_2) | instskip(NEXT) | instid1(VALU_DEP_2)
	v_fma_f32 v26, -v9, v24, v21
	v_fmac_f32_e32 v22, v25, v19
	s_delay_alu instid0(VALU_DEP_2) | instskip(NEXT) | instid1(VALU_DEP_2)
	v_fmac_f32_e32 v24, v26, v20
	v_fma_f32 v8, -v8, v22, v23
	s_delay_alu instid0(VALU_DEP_2) | instskip(NEXT) | instid1(VALU_DEP_2)
	v_fma_f32 v9, -v9, v24, v21
	v_div_fmas_f32 v8, v8, v19, v22
	s_mov_b32 vcc_lo, s1
	s_delay_alu instid0(VALU_DEP_2) | instskip(NEXT) | instid1(VALU_DEP_2)
	v_div_fmas_f32 v9, v9, v20, v24
	v_div_fixup_f32 v19, v8, 0xc02df854, v13
	s_delay_alu instid0(VALU_DEP_2) | instskip(NEXT) | instid1(VALU_DEP_1)
	v_div_fixup_f32 v20, v9, 0xc02df854, v12
	v_max_f32_e64 v21, |v19|, |v20|
	s_delay_alu instid0(VALU_DEP_1) | instskip(SKIP_1) | instid1(VALU_DEP_2)
	v_cvt_f64_f32_e32 v[8:9], v21
	v_cmp_neq_f32_e32 vcc_lo, 0x7f800000, v21
	v_frexp_exp_i32_f64_e32 v8, v[8:9]
	s_delay_alu instid0(VALU_DEP_1) | instskip(NEXT) | instid1(VALU_DEP_1)
	v_sub_nc_u32_e32 v9, 0, v8
	v_ldexp_f32 v20, |v20|, v9
	v_ldexp_f32 v9, |v19|, v9
	s_delay_alu instid0(VALU_DEP_2) | instskip(NEXT) | instid1(VALU_DEP_1)
	v_mul_f32_e32 v19, v20, v20
	v_fmac_f32_e32 v19, v9, v9
	s_delay_alu instid0(VALU_DEP_1) | instskip(SKIP_2) | instid1(VALU_DEP_2)
	v_sqrt_f32_e32 v9, v19
	v_frexp_mant_f32_e32 v19, v10
	v_frexp_exp_i32_f32_e32 v10, v10
	v_rcp_f32_e32 v18, v19
	s_waitcnt_depctr 0xfff
	v_ldexp_f32 v8, v9, v8
	v_frexp_exp_i32_f32_e32 v9, v11
	v_frexp_mant_f32_e32 v11, v11
	s_delay_alu instid0(VALU_DEP_2) | instskip(NEXT) | instid1(VALU_DEP_2)
	v_sub_nc_u32_e32 v9, v9, v10
	v_mul_f32_e32 v10, v11, v18
	s_delay_alu instid0(VALU_DEP_1) | instskip(SKIP_1) | instid1(VALU_DEP_2)
	v_ldexp_f32 v9, v10, v9
	v_cndmask_b32_e32 v8, 0x7f800000, v8, vcc_lo
	v_mul_f32_e32 v10, v9, v9
	s_delay_alu instid0(VALU_DEP_2) | instskip(SKIP_1) | instid1(VALU_DEP_1)
	v_cmp_gt_f32_e32 vcc_lo, 0x800000, v8
	v_cndmask_b32_e64 v11, 1.0, 0x4f800000, vcc_lo
	v_dual_mul_f32 v8, v8, v11 :: v_dual_fmaak_f32 v11, s15, v10, 0xbc7a590c
	s_delay_alu instid0(VALU_DEP_1) | instskip(SKIP_2) | instid1(VALU_DEP_1)
	v_log_f32_e32 v8, v8
	s_waitcnt_depctr 0xfff
	v_mul_f32_e32 v18, 0x3f317217, v8
	v_fma_f32 v19, 0x3f317217, v8, -v18
	s_delay_alu instid0(VALU_DEP_1) | instskip(NEXT) | instid1(VALU_DEP_1)
	v_fmac_f32_e32 v19, 0x3377d1cf, v8
	v_add_f32_e32 v18, v18, v19
	v_cndmask_b32_e64 v19, 0, 0x41b17218, vcc_lo
	v_cmp_gt_f32_e64 vcc_lo, 0x7f800000, |v8|
	s_delay_alu instid0(VALU_DEP_3) | instskip(NEXT) | instid1(VALU_DEP_1)
	v_dual_fmaak_f32 v11, v10, v11, 0x3d29fb3f :: v_dual_cndmask_b32 v8, v8, v18
	v_sub_f32_e32 v8, v8, v19
	s_delay_alu instid0(VALU_DEP_1) | instskip(NEXT) | instid1(VALU_DEP_1)
	v_dual_fmaak_f32 v11, v10, v11, 0xbd97d4d7 :: v_dual_add_f32 v8, 1.0, v8
	v_fmaak_f32 v11, v10, v11, 0x3dd931b2
	s_delay_alu instid0(VALU_DEP_1) | instskip(NEXT) | instid1(VALU_DEP_1)
	v_fmaak_f32 v11, v10, v11, 0xbe1160e6
	v_fmaak_f32 v11, v10, v11, 0x3e4cb8bf
	s_delay_alu instid0(VALU_DEP_1) | instskip(NEXT) | instid1(VALU_DEP_1)
	v_fmaak_f32 v11, v10, v11, 0xbeaaaa62
	v_mul_f32_e32 v10, v10, v11
	s_delay_alu instid0(VALU_DEP_1)
	v_fmac_f32_e32 v9, v9, v10
.LBB63_597:                             ;   in Loop: Header=BB63_418 Depth=1
	s_or_b32 exec_lo, exec_lo, s19
	s_delay_alu instid0(VALU_DEP_1) | instskip(NEXT) | instid1(VALU_DEP_1)
	v_sub_f32_e32 v10, 0x3fc90fdb, v9
	v_cndmask_b32_e64 v9, v9, v10, s0
.LBB63_598:                             ;   in Loop: Header=BB63_418 Depth=1
	s_or_b32 exec_lo, exec_lo, s18
	v_cmp_neq_f32_e32 vcc_lo, 0, v12
	v_cmp_class_f32_e64 s0, v13, 0x204
	v_cmp_class_f32_e64 s1, v12, 0x204
	v_dual_add_f32 v8, 0x3f317218, v8 :: v_dual_cndmask_b32 v9, 0, v9
	v_cmp_o_f32_e32 vcc_lo, v12, v13
	s_delay_alu instid0(VALU_DEP_3)
	s_and_b32 s0, s1, s0
	s_delay_alu instid0(VALU_DEP_2) | instid1(SALU_CYCLE_1)
	v_cndmask_b32_e64 v9, v9, 0x3f490fdb, s0
	s_delay_alu instid0(VALU_DEP_1) | instskip(SKIP_1) | instid1(VALU_DEP_2)
	v_cndmask_b32_e32 v10, 0x7fc00000, v9, vcc_lo
	v_bfi_b32 v9, 0x7fffffff, v8, v13
	v_bfi_b32 v8, 0x7fffffff, v10, v12
.LBB63_599:                             ;   in Loop: Header=BB63_418 Depth=1
	s_or_b32 exec_lo, exec_lo, s17
                                        ; implicit-def: $vgpr13
.LBB63_600:                             ;   in Loop: Header=BB63_418 Depth=1
	s_and_not1_saveexec_b32 s0, s16
	s_cbranch_execz .LBB63_614
; %bb.601:                              ;   in Loop: Header=BB63_418 Depth=1
	v_cmp_neq_f32_e64 s1, 0x7f800000, |v13|
	s_delay_alu instid0(VALU_DEP_1) | instskip(NEXT) | instid1(SALU_CYCLE_1)
	s_and_saveexec_b32 s16, s1
	s_xor_b32 s1, exec_lo, s16
	s_cbranch_execz .LBB63_611
; %bb.602:                              ;   in Loop: Header=BB63_418 Depth=1
	v_cmp_neq_f32_e64 s16, 0x7f800000, |v12|
	s_delay_alu instid0(VALU_DEP_1) | instskip(NEXT) | instid1(SALU_CYCLE_1)
	s_and_saveexec_b32 s17, s16
	s_xor_b32 s16, exec_lo, s17
	s_cbranch_execz .LBB63_608
; %bb.603:                              ;   in Loop: Header=BB63_418 Depth=1
	s_mov_b32 s17, exec_lo
	v_cmpx_neq_f32_e32 0, v12
	s_xor_b32 s17, exec_lo, s17
; %bb.604:                              ;   in Loop: Header=BB63_418 Depth=1
	v_add_f32_e32 v8, 0, v13
	s_delay_alu instid0(VALU_DEP_1)
	v_add_f32_e32 v8, v12, v8
                                        ; implicit-def: $vgpr10_vgpr11_vgpr12_vgpr13
; %bb.605:                              ;   in Loop: Header=BB63_418 Depth=1
	s_or_saveexec_b32 s17, s17
	s_delay_alu instid0(VALU_DEP_1)
	v_mov_b32_e32 v9, v8
	s_xor_b32 exec_lo, exec_lo, s17
; %bb.606:                              ;   in Loop: Header=BB63_418 Depth=1
	v_dual_add_f32 v9, v13, v13 :: v_dual_mov_b32 v8, v12
; %bb.607:                              ;   in Loop: Header=BB63_418 Depth=1
	s_or_b32 exec_lo, exec_lo, s17
                                        ; implicit-def: $vgpr10_vgpr11_vgpr12_vgpr13
.LBB63_608:                             ;   in Loop: Header=BB63_418 Depth=1
	s_and_not1_saveexec_b32 s16, s16
; %bb.609:                              ;   in Loop: Header=BB63_418 Depth=1
	v_dual_add_f32 v8, v13, v13 :: v_dual_mov_b32 v9, v12
; %bb.610:                              ;   in Loop: Header=BB63_418 Depth=1
	s_or_b32 exec_lo, exec_lo, s16
                                        ; implicit-def: $vgpr10_vgpr11_vgpr12_vgpr13
.LBB63_611:                             ;   in Loop: Header=BB63_418 Depth=1
	s_and_not1_saveexec_b32 s1, s1
; %bb.612:                              ;   in Loop: Header=BB63_418 Depth=1
	v_dual_add_f32 v8, v12, v12 :: v_dual_mov_b32 v9, v13
; %bb.613:                              ;   in Loop: Header=BB63_418 Depth=1
	s_or_b32 exec_lo, exec_lo, s1
.LBB63_614:                             ;   in Loop: Header=BB63_418 Depth=1
	s_delay_alu instid0(SALU_CYCLE_1) | instskip(SKIP_3) | instid1(VALU_DEP_1)
	s_or_b32 exec_lo, exec_lo, s0
	s_waitcnt vmcnt(0)
	v_cmp_o_f32_e32 vcc_lo, v3, v3
	v_cmp_o_f32_e64 s0, v2, v2
                                        ; implicit-def: $vgpr10
	s_and_b32 s0, vcc_lo, s0
	s_delay_alu instid0(SALU_CYCLE_1) | instskip(NEXT) | instid1(SALU_CYCLE_1)
	s_and_saveexec_b32 s1, s0
	s_xor_b32 s16, exec_lo, s1
	s_cbranch_execz .LBB63_698
; %bb.615:                              ;   in Loop: Header=BB63_418 Depth=1
	v_max_f32_e64 v13, |v3|, |v3|
	v_max_f32_e64 v18, |v2|, |v2|
                                        ; implicit-def: $vgpr10
	s_mov_b32 s0, exec_lo
	s_delay_alu instid0(VALU_DEP_1) | instskip(NEXT) | instid1(VALU_DEP_1)
	v_max_f32_e32 v12, v18, v13
	v_cmpx_nlt_f32_e32 0x4b000000, v12
	s_xor_b32 s17, exec_lo, s0
	s_cbranch_execz .LBB63_675
; %bb.616:                              ;   in Loop: Header=BB63_418 Depth=1
	v_cmp_neq_f32_e32 vcc_lo, 0, v3
	v_cmp_neq_f32_e64 s0, 0, v2
	v_dual_mov_b32 v10, v2 :: v_dual_mov_b32 v11, v3
	s_delay_alu instid0(VALU_DEP_2) | instskip(NEXT) | instid1(SALU_CYCLE_1)
	s_or_b32 s0, vcc_lo, s0
	s_and_saveexec_b32 s18, s0
	s_cbranch_execz .LBB63_674
; %bb.617:                              ;   in Loop: Header=BB63_418 Depth=1
	v_dual_mov_b32 v11, s5 :: v_dual_mov_b32 v10, s4
	v_cmp_ngt_f32_e64 s0, 0x395db3d7, |v3|
	v_cmp_ngt_f32_e64 s1, 0x395db3d7, |v2|
	flat_store_b32 v[10:11], v16 dlc
	s_waitcnt_vscnt null, 0x0
	flat_load_b32 v10, v[10:11] glc dlc
	s_waitcnt vmcnt(0)
	s_or_b32 s0, s1, s0
	s_waitcnt lgkmcnt(0)
	v_dual_add_f32 v12, 1.0, v10 :: v_dual_mov_b32 v11, s7
	v_mov_b32_e32 v10, s6
	flat_store_b32 v[10:11], v12 dlc
	s_waitcnt_vscnt null, 0x0
	flat_load_b32 v10, v[10:11] glc dlc
	s_waitcnt vmcnt(0) lgkmcnt(0)
	v_dual_mov_b32 v11, v3 :: v_dual_mov_b32 v10, v2
	s_and_saveexec_b32 s19, s0
	s_cbranch_execz .LBB63_673
; %bb.618:                              ;   in Loop: Header=BB63_418 Depth=1
	v_add_f32_e64 v12, |v2|, 1.0
	v_add_f32_e64 v11, |v2|, -1.0
	s_mov_b32 s0, exec_lo
	s_delay_alu instid0(VALU_DEP_2) | instskip(NEXT) | instid1(VALU_DEP_2)
	v_max_f32_e64 v10, v13, |v12|
	v_max_f32_e64 v13, v13, |v11|
	s_delay_alu instid0(VALU_DEP_2) | instskip(NEXT) | instid1(VALU_DEP_2)
	v_cvt_f64_f32_e32 v[18:19], v10
	v_cvt_f64_f32_e32 v[20:21], v13
	v_cmp_neq_f32_e32 vcc_lo, 0x7f800000, v10
	s_delay_alu instid0(VALU_DEP_3) | instskip(NEXT) | instid1(VALU_DEP_3)
	v_frexp_exp_i32_f64_e32 v18, v[18:19]
	v_frexp_exp_i32_f64_e32 v19, v[20:21]
	s_delay_alu instid0(VALU_DEP_2) | instskip(NEXT) | instid1(VALU_DEP_2)
	v_sub_nc_u32_e32 v20, 0, v18
	v_sub_nc_u32_e32 v21, 0, v19
	s_delay_alu instid0(VALU_DEP_2) | instskip(NEXT) | instid1(VALU_DEP_2)
	v_ldexp_f32 v22, |v12|, v20
	v_ldexp_f32 v23, |v11|, v21
	;; [unrolled: 1-line block ×4, first 2 shown]
	s_delay_alu instid0(VALU_DEP_3) | instskip(NEXT) | instid1(VALU_DEP_1)
	v_dual_mul_f32 v22, v22, v22 :: v_dual_mul_f32 v23, v23, v23
	v_dual_fmac_f32 v22, v20, v20 :: v_dual_fmac_f32 v23, v21, v21
	s_delay_alu instid0(VALU_DEP_1) | instskip(NEXT) | instid1(VALU_DEP_1)
	v_sqrt_f32_e32 v20, v22
	v_sqrt_f32_e32 v21, v23
	s_waitcnt_depctr 0xfff
	v_ldexp_f32 v18, v20, v18
	v_ldexp_f32 v20, v21, v19
	s_delay_alu instid0(VALU_DEP_2) | instskip(SKIP_1) | instid1(VALU_DEP_3)
	v_cndmask_b32_e32 v19, 0x7f800000, v18, vcc_lo
	v_cmp_neq_f32_e32 vcc_lo, 0x7f800000, v13
	v_cndmask_b32_e32 v13, 0x7f800000, v20, vcc_lo
                                        ; implicit-def: $vgpr20
	s_delay_alu instid0(VALU_DEP_1) | instskip(NEXT) | instid1(VALU_DEP_1)
	v_add_f32_e32 v10, v19, v13
	v_mul_f32_e32 v10, 0.5, v10
	s_delay_alu instid0(VALU_DEP_1) | instskip(SKIP_1) | instid1(VALU_DEP_1)
	v_cmp_ngt_f32_e32 vcc_lo, 1.0, v10
	v_cndmask_b32_e32 v10, 1.0, v10, vcc_lo
	v_cmpx_ngt_f32_e32 0x41200000, v10
	s_xor_b32 s1, exec_lo, s0
	s_cbranch_execz .LBB63_620
; %bb.619:                              ;   in Loop: Header=BB63_418 Depth=1
	v_fma_f32 v18, v10, v10, -1.0
	s_delay_alu instid0(VALU_DEP_1) | instskip(SKIP_1) | instid1(VALU_DEP_2)
	v_mul_f32_e32 v20, 0x4f800000, v18
	v_cmp_gt_f32_e32 vcc_lo, 0xf800000, v18
	v_cndmask_b32_e32 v18, v18, v20, vcc_lo
	s_delay_alu instid0(VALU_DEP_1) | instskip(SKIP_3) | instid1(VALU_DEP_2)
	v_sqrt_f32_e32 v20, v18
	s_waitcnt_depctr 0xfff
	v_add_nc_u32_e32 v21, -1, v20
	v_add_nc_u32_e32 v22, 1, v20
	v_fma_f32 v23, -v21, v20, v18
	s_delay_alu instid0(VALU_DEP_2) | instskip(NEXT) | instid1(VALU_DEP_2)
	v_fma_f32 v24, -v22, v20, v18
	v_cmp_ge_f32_e64 s0, 0, v23
	s_delay_alu instid0(VALU_DEP_1) | instskip(NEXT) | instid1(VALU_DEP_3)
	v_cndmask_b32_e64 v20, v20, v21, s0
	v_cmp_lt_f32_e64 s0, 0, v24
	s_delay_alu instid0(VALU_DEP_1) | instskip(NEXT) | instid1(VALU_DEP_1)
	v_cndmask_b32_e64 v20, v20, v22, s0
	v_mul_f32_e32 v21, 0x37800000, v20
	s_delay_alu instid0(VALU_DEP_1) | instskip(SKIP_1) | instid1(VALU_DEP_2)
	v_cndmask_b32_e32 v20, v20, v21, vcc_lo
	v_cmp_class_f32_e64 vcc_lo, v18, 0x260
	v_cndmask_b32_e32 v18, v20, v18, vcc_lo
	s_delay_alu instid0(VALU_DEP_1) | instskip(NEXT) | instid1(VALU_DEP_1)
	v_add_f32_e32 v18, v10, v18
	v_cmp_gt_f32_e32 vcc_lo, 0x800000, v18
	s_delay_alu instid0(VALU_DEP_4) | instskip(NEXT) | instid1(VALU_DEP_1)
	v_cndmask_b32_e64 v20, 1.0, 0x4f800000, vcc_lo
	v_mul_f32_e32 v18, v18, v20
	s_delay_alu instid0(VALU_DEP_1) | instskip(SKIP_3) | instid1(VALU_DEP_2)
	v_log_f32_e32 v18, v18
	s_waitcnt_depctr 0xfff
	v_mul_f32_e32 v20, 0x3f317217, v18
	v_cmp_gt_f32_e64 s0, 0x7f800000, |v18|
	v_fma_f32 v21, 0x3f317217, v18, -v20
	s_delay_alu instid0(VALU_DEP_1) | instskip(NEXT) | instid1(VALU_DEP_1)
	v_fmac_f32_e32 v21, 0x3377d1cf, v18
	v_add_f32_e32 v20, v20, v21
	s_delay_alu instid0(VALU_DEP_1) | instskip(SKIP_1) | instid1(VALU_DEP_1)
	v_cndmask_b32_e64 v18, v18, v20, s0
	v_cndmask_b32_e64 v20, 0, 0x41b17218, vcc_lo
	v_sub_f32_e32 v20, v18, v20
.LBB63_620:                             ;   in Loop: Header=BB63_418 Depth=1
	s_or_saveexec_b32 s1, s1
	v_and_b32_e32 v18, 0x7fffffff, v3
	s_xor_b32 exec_lo, exec_lo, s1
	s_cbranch_execz .LBB63_642
; %bb.621:                              ;   in Loop: Header=BB63_418 Depth=1
	v_cmp_neq_f32_e64 s0, |v2|, 1.0
	v_cmp_ngt_f32_e64 s20, 0x25000000, |v3|
                                        ; implicit-def: $vgpr20
	s_delay_alu instid0(VALU_DEP_1) | instskip(NEXT) | instid1(SALU_CYCLE_1)
	s_or_b32 s0, s0, s20
	s_and_saveexec_b32 s20, s0
	s_delay_alu instid0(SALU_CYCLE_1)
	s_xor_b32 s20, exec_lo, s20
	s_cbranch_execz .LBB63_639
; %bb.622:                              ;   in Loop: Header=BB63_418 Depth=1
	v_mul_f32_e64 v20, 0x34000000, |v11|
	s_delay_alu instid0(VALU_DEP_1) | instskip(NEXT) | instid1(VALU_DEP_1)
	v_cmp_le_f32_e64 s0, v20, |v3|
                                        ; implicit-def: $vgpr20
	s_and_saveexec_b32 s21, s0
	s_delay_alu instid0(SALU_CYCLE_1)
	s_xor_b32 s21, exec_lo, s21
	s_cbranch_execz .LBB63_632
; %bb.623:                              ;   in Loop: Header=BB63_418 Depth=1
	v_mov_b32_e32 v20, v18
	s_mov_b32 s0, exec_lo
	v_cmpx_neq_f32_e32 0, v12
	s_cbranch_execz .LBB63_625
; %bb.624:                              ;   in Loop: Header=BB63_418 Depth=1
	v_mul_f32_e32 v20, v3, v3
	v_add_f32_e32 v21, v12, v19
	s_delay_alu instid0(VALU_DEP_1) | instskip(NEXT) | instid1(VALU_DEP_1)
	v_div_scale_f32 v22, null, v21, v21, v20
	v_rcp_f32_e32 v23, v22
	s_waitcnt_depctr 0xfff
	v_fma_f32 v24, -v22, v23, 1.0
	s_delay_alu instid0(VALU_DEP_1) | instskip(SKIP_1) | instid1(VALU_DEP_1)
	v_fmac_f32_e32 v23, v24, v23
	v_div_scale_f32 v24, vcc_lo, v20, v21, v20
	v_mul_f32_e32 v25, v24, v23
	s_delay_alu instid0(VALU_DEP_1) | instskip(NEXT) | instid1(VALU_DEP_1)
	v_fma_f32 v26, -v22, v25, v24
	v_fmac_f32_e32 v25, v26, v23
	s_delay_alu instid0(VALU_DEP_1) | instskip(NEXT) | instid1(VALU_DEP_1)
	v_fma_f32 v22, -v22, v25, v24
	v_div_fmas_f32 v22, v22, v23, v25
	s_delay_alu instid0(VALU_DEP_1)
	v_div_fixup_f32 v20, v22, v21, v20
.LBB63_625:                             ;   in Loop: Header=BB63_418 Depth=1
	s_or_b32 exec_lo, exec_lo, s0
	v_sub_f32_e64 v22, 1.0, |v2|
	s_mov_b32 s0, exec_lo
                                        ; implicit-def: $vgpr21
	s_delay_alu instid0(VALU_DEP_1)
	v_cmpx_ngt_f32_e32 0, v22
	s_xor_b32 s0, exec_lo, s0
	s_cbranch_execz .LBB63_629
; %bb.626:                              ;   in Loop: Header=BB63_418 Depth=1
	v_mov_b32_e32 v21, v18
	s_mov_b32 s22, exec_lo
	v_cmpx_neq_f32_e32 0, v22
	s_cbranch_execz .LBB63_628
; %bb.627:                              ;   in Loop: Header=BB63_418 Depth=1
	v_dual_mul_f32 v21, v3, v3 :: v_dual_add_f32 v22, v22, v13
	s_delay_alu instid0(VALU_DEP_1) | instskip(NEXT) | instid1(VALU_DEP_1)
	v_div_scale_f32 v23, null, v22, v22, v21
	v_rcp_f32_e32 v24, v23
	s_waitcnt_depctr 0xfff
	v_fma_f32 v25, -v23, v24, 1.0
	s_delay_alu instid0(VALU_DEP_1) | instskip(SKIP_1) | instid1(VALU_DEP_1)
	v_fmac_f32_e32 v24, v25, v24
	v_div_scale_f32 v25, vcc_lo, v21, v22, v21
	v_mul_f32_e32 v26, v25, v24
	s_delay_alu instid0(VALU_DEP_1) | instskip(NEXT) | instid1(VALU_DEP_1)
	v_fma_f32 v27, -v23, v26, v25
	v_fmac_f32_e32 v26, v27, v24
	s_delay_alu instid0(VALU_DEP_1) | instskip(NEXT) | instid1(VALU_DEP_1)
	v_fma_f32 v23, -v23, v26, v25
	v_div_fmas_f32 v23, v23, v24, v26
	s_delay_alu instid0(VALU_DEP_1)
	v_div_fixup_f32 v21, v23, v22, v21
.LBB63_628:                             ;   in Loop: Header=BB63_418 Depth=1
	s_or_b32 exec_lo, exec_lo, s22
                                        ; implicit-def: $vgpr22
.LBB63_629:                             ;   in Loop: Header=BB63_418 Depth=1
	s_and_not1_saveexec_b32 s0, s0
; %bb.630:                              ;   in Loop: Header=BB63_418 Depth=1
	v_sub_f32_e32 v21, v13, v22
; %bb.631:                              ;   in Loop: Header=BB63_418 Depth=1
	s_or_b32 exec_lo, exec_lo, s0
	s_delay_alu instid0(VALU_DEP_1) | instskip(NEXT) | instid1(VALU_DEP_1)
	v_dual_mul_f32 v21, 0.5, v21 :: v_dual_add_f32 v22, 1.0, v10
	v_fmac_f32_e32 v21, 0.5, v20
	s_delay_alu instid0(VALU_DEP_1) | instskip(NEXT) | instid1(VALU_DEP_1)
	v_mul_f32_e32 v20, v22, v21
	v_mul_f32_e32 v22, 0x4f800000, v20
	v_cmp_gt_f32_e32 vcc_lo, 0xf800000, v20
	s_delay_alu instid0(VALU_DEP_2) | instskip(NEXT) | instid1(VALU_DEP_1)
	v_cndmask_b32_e32 v20, v20, v22, vcc_lo
	v_sqrt_f32_e32 v22, v20
	s_waitcnt_depctr 0xfff
	v_add_nc_u32_e32 v23, -1, v22
	v_add_nc_u32_e32 v24, 1, v22
	s_delay_alu instid0(VALU_DEP_2) | instskip(NEXT) | instid1(VALU_DEP_2)
	v_fma_f32 v25, -v23, v22, v20
	v_fma_f32 v26, -v24, v22, v20
	s_delay_alu instid0(VALU_DEP_2) | instskip(NEXT) | instid1(VALU_DEP_1)
	v_cmp_ge_f32_e64 s0, 0, v25
	v_cndmask_b32_e64 v22, v22, v23, s0
	s_delay_alu instid0(VALU_DEP_3) | instskip(NEXT) | instid1(VALU_DEP_1)
	v_cmp_lt_f32_e64 s0, 0, v26
	v_cndmask_b32_e64 v22, v22, v24, s0
	s_delay_alu instid0(VALU_DEP_1) | instskip(NEXT) | instid1(VALU_DEP_1)
	v_mul_f32_e32 v23, 0x37800000, v22
	v_cndmask_b32_e32 v22, v22, v23, vcc_lo
	v_cmp_class_f32_e64 vcc_lo, v20, 0x260
	s_delay_alu instid0(VALU_DEP_2) | instskip(NEXT) | instid1(VALU_DEP_1)
	v_cndmask_b32_e32 v20, v22, v20, vcc_lo
	v_add_f32_e32 v22, v21, v20
	s_delay_alu instid0(VALU_DEP_1) | instskip(NEXT) | instid1(VALU_DEP_1)
	v_add_f32_e32 v23, 1.0, v22
	v_cvt_f64_f32_e32 v[20:21], v23
	s_delay_alu instid0(VALU_DEP_1) | instskip(SKIP_1) | instid1(VALU_DEP_1)
	v_frexp_exp_i32_f64_e32 v20, v[20:21]
	v_frexp_mant_f32_e32 v21, v23
	v_cmp_gt_f32_e32 vcc_lo, 0x3f2aaaab, v21
	v_add_f32_e32 v21, -1.0, v23
	s_delay_alu instid0(VALU_DEP_1) | instskip(NEXT) | instid1(VALU_DEP_1)
	v_sub_f32_e32 v25, v21, v23
	v_add_f32_e32 v25, 1.0, v25
	v_subrev_co_ci_u32_e32 v20, vcc_lo, 0, v20, vcc_lo
	s_delay_alu instid0(VALU_DEP_1) | instskip(SKIP_1) | instid1(VALU_DEP_2)
	v_sub_nc_u32_e32 v24, 0, v20
	v_cvt_f32_i32_e32 v20, v20
	v_ldexp_f32 v23, v23, v24
	s_delay_alu instid0(VALU_DEP_1) | instskip(NEXT) | instid1(VALU_DEP_1)
	v_dual_sub_f32 v21, v22, v21 :: v_dual_add_f32 v26, 1.0, v23
	v_add_f32_e32 v21, v21, v25
	s_delay_alu instid0(VALU_DEP_2) | instskip(NEXT) | instid1(VALU_DEP_2)
	v_add_f32_e32 v25, -1.0, v26
	v_ldexp_f32 v21, v21, v24
	v_add_f32_e32 v24, -1.0, v23
	v_cmp_eq_f32_e32 vcc_lo, 0x7f800000, v22
	s_delay_alu instid0(VALU_DEP_4) | instskip(NEXT) | instid1(VALU_DEP_3)
	v_sub_f32_e32 v25, v23, v25
	v_add_f32_e32 v27, 1.0, v24
	s_delay_alu instid0(VALU_DEP_2) | instskip(NEXT) | instid1(VALU_DEP_2)
	v_add_f32_e32 v25, v21, v25
	v_sub_f32_e32 v23, v23, v27
	s_delay_alu instid0(VALU_DEP_1) | instskip(NEXT) | instid1(VALU_DEP_1)
	v_add_f32_e32 v21, v21, v23
	v_add_f32_e32 v28, v24, v21
	s_delay_alu instid0(VALU_DEP_1) | instskip(NEXT) | instid1(VALU_DEP_1)
	v_dual_add_f32 v27, v26, v25 :: v_dual_sub_f32 v24, v28, v24
	v_rcp_f32_e32 v23, v27
	v_sub_f32_e32 v26, v27, v26
	s_delay_alu instid0(VALU_DEP_1) | instskip(SKIP_2) | instid1(VALU_DEP_1)
	v_sub_f32_e32 v25, v25, v26
	s_waitcnt_depctr 0xfff
	v_mul_f32_e32 v29, v28, v23
	v_mul_f32_e32 v30, v27, v29
	s_delay_alu instid0(VALU_DEP_1) | instskip(NEXT) | instid1(VALU_DEP_1)
	v_fma_f32 v26, v29, v27, -v30
	v_fmac_f32_e32 v26, v29, v25
	v_sub_f32_e32 v21, v21, v24
	s_delay_alu instid0(VALU_DEP_2) | instskip(NEXT) | instid1(VALU_DEP_1)
	v_add_f32_e32 v31, v30, v26
	v_sub_f32_e32 v32, v28, v31
	v_sub_f32_e32 v24, v31, v30
	s_delay_alu instid0(VALU_DEP_2) | instskip(NEXT) | instid1(VALU_DEP_2)
	v_sub_f32_e32 v28, v28, v32
	v_sub_f32_e32 v24, v24, v26
	s_delay_alu instid0(VALU_DEP_2) | instskip(NEXT) | instid1(VALU_DEP_1)
	v_sub_f32_e32 v28, v28, v31
	v_add_f32_e32 v21, v21, v28
	s_delay_alu instid0(VALU_DEP_1) | instskip(NEXT) | instid1(VALU_DEP_1)
	v_add_f32_e32 v21, v24, v21
	v_add_f32_e32 v24, v32, v21
	s_delay_alu instid0(VALU_DEP_1) | instskip(NEXT) | instid1(VALU_DEP_1)
	v_mul_f32_e32 v26, v23, v24
	v_dual_sub_f32 v31, v32, v24 :: v_dual_mul_f32 v28, v27, v26
	s_delay_alu instid0(VALU_DEP_1) | instskip(NEXT) | instid1(VALU_DEP_2)
	v_add_f32_e32 v21, v21, v31
	v_fma_f32 v27, v26, v27, -v28
	s_delay_alu instid0(VALU_DEP_1) | instskip(NEXT) | instid1(VALU_DEP_1)
	v_fmac_f32_e32 v27, v26, v25
	v_add_f32_e32 v25, v28, v27
	s_delay_alu instid0(VALU_DEP_1) | instskip(NEXT) | instid1(VALU_DEP_1)
	v_sub_f32_e32 v30, v24, v25
	v_sub_f32_e32 v24, v24, v30
	s_delay_alu instid0(VALU_DEP_1) | instskip(NEXT) | instid1(VALU_DEP_1)
	v_sub_f32_e32 v24, v24, v25
	v_add_f32_e32 v21, v21, v24
	v_add_f32_e32 v24, v29, v26
	v_sub_f32_e32 v28, v25, v28
	s_delay_alu instid0(VALU_DEP_1) | instskip(NEXT) | instid1(VALU_DEP_1)
	v_sub_f32_e32 v25, v28, v27
	v_add_f32_e32 v21, v25, v21
	s_delay_alu instid0(VALU_DEP_4) | instskip(NEXT) | instid1(VALU_DEP_2)
	v_sub_f32_e32 v25, v24, v29
	v_add_f32_e32 v21, v30, v21
	s_delay_alu instid0(VALU_DEP_2) | instskip(NEXT) | instid1(VALU_DEP_2)
	v_sub_f32_e32 v25, v26, v25
	v_mul_f32_e32 v21, v23, v21
	s_delay_alu instid0(VALU_DEP_1) | instskip(NEXT) | instid1(VALU_DEP_1)
	v_add_f32_e32 v21, v25, v21
	v_add_f32_e32 v23, v24, v21
	s_delay_alu instid0(VALU_DEP_1) | instskip(NEXT) | instid1(VALU_DEP_1)
	v_mul_f32_e32 v25, v23, v23
	v_fmaak_f32 v26, s13, v25, 0x3ecc95a3
	v_mul_f32_e32 v27, v23, v25
	s_delay_alu instid0(VALU_DEP_2) | instskip(SKIP_2) | instid1(VALU_DEP_3)
	v_fmaak_f32 v25, v25, v26, 0x3f2aaada
	v_ldexp_f32 v26, v23, 1
	v_sub_f32_e32 v23, v23, v24
	v_mul_f32_e32 v25, v27, v25
	v_mul_f32_e32 v27, 0x3f317218, v20
	s_delay_alu instid0(VALU_DEP_2) | instskip(NEXT) | instid1(VALU_DEP_1)
	v_dual_sub_f32 v21, v21, v23 :: v_dual_add_f32 v24, v26, v25
	v_ldexp_f32 v21, v21, 1
	s_delay_alu instid0(VALU_DEP_2) | instskip(NEXT) | instid1(VALU_DEP_4)
	v_sub_f32_e32 v23, v24, v26
	v_fma_f32 v26, 0x3f317218, v20, -v27
	s_delay_alu instid0(VALU_DEP_1) | instskip(NEXT) | instid1(VALU_DEP_1)
	v_dual_sub_f32 v23, v25, v23 :: v_dual_fmac_f32 v26, 0xb102e308, v20
	v_dual_add_f32 v20, v21, v23 :: v_dual_add_f32 v21, v27, v26
	s_delay_alu instid0(VALU_DEP_1) | instskip(NEXT) | instid1(VALU_DEP_2)
	v_add_f32_e32 v23, v24, v20
	v_sub_f32_e32 v27, v21, v27
	s_delay_alu instid0(VALU_DEP_2) | instskip(NEXT) | instid1(VALU_DEP_2)
	v_dual_add_f32 v25, v21, v23 :: v_dual_sub_f32 v24, v23, v24
	v_sub_f32_e32 v26, v26, v27
	s_delay_alu instid0(VALU_DEP_2) | instskip(NEXT) | instid1(VALU_DEP_3)
	v_sub_f32_e32 v28, v25, v21
	v_sub_f32_e32 v20, v20, v24
	s_delay_alu instid0(VALU_DEP_2) | instskip(SKIP_1) | instid1(VALU_DEP_2)
	v_sub_f32_e32 v29, v25, v28
	v_sub_f32_e32 v23, v23, v28
	v_dual_add_f32 v24, v26, v20 :: v_dual_sub_f32 v21, v21, v29
	s_delay_alu instid0(VALU_DEP_1) | instskip(NEXT) | instid1(VALU_DEP_2)
	v_add_f32_e32 v21, v23, v21
	v_sub_f32_e32 v23, v24, v26
	s_delay_alu instid0(VALU_DEP_2) | instskip(NEXT) | instid1(VALU_DEP_2)
	v_add_f32_e32 v21, v24, v21
	v_sub_f32_e32 v24, v24, v23
	s_delay_alu instid0(VALU_DEP_2) | instskip(NEXT) | instid1(VALU_DEP_1)
	v_dual_sub_f32 v20, v20, v23 :: v_dual_add_f32 v27, v25, v21
	v_dual_sub_f32 v24, v26, v24 :: v_dual_sub_f32 v23, v27, v25
	s_delay_alu instid0(VALU_DEP_1) | instskip(NEXT) | instid1(VALU_DEP_1)
	v_dual_add_f32 v20, v20, v24 :: v_dual_sub_f32 v21, v21, v23
	v_add_f32_e32 v20, v20, v21
	s_delay_alu instid0(VALU_DEP_1) | instskip(NEXT) | instid1(VALU_DEP_1)
	v_add_f32_e32 v20, v27, v20
	v_cndmask_b32_e32 v20, v20, v22, vcc_lo
	v_cmp_ngt_f32_e32 vcc_lo, -1.0, v22
	s_delay_alu instid0(VALU_DEP_2) | instskip(SKIP_1) | instid1(VALU_DEP_2)
	v_cndmask_b32_e32 v20, 0x7fc00000, v20, vcc_lo
	v_cmp_neq_f32_e32 vcc_lo, -1.0, v22
	v_cndmask_b32_e32 v20, 0xff800000, v20, vcc_lo
	v_cmp_gt_f32_e64 vcc_lo, 0x33800000, |v22|
	s_delay_alu instid0(VALU_DEP_2)
	v_cndmask_b32_e32 v20, v20, v22, vcc_lo
.LBB63_632:                             ;   in Loop: Header=BB63_418 Depth=1
	s_and_not1_saveexec_b32 s21, s21
	s_cbranch_execz .LBB63_638
; %bb.633:                              ;   in Loop: Header=BB63_418 Depth=1
	s_mov_b32 s22, exec_lo
                                        ; implicit-def: $vgpr20
	v_cmpx_nlt_f32_e64 |v2|, 1.0
	s_xor_b32 s22, exec_lo, s22
	s_cbranch_execz .LBB63_635
; %bb.634:                              ;   in Loop: Header=BB63_418 Depth=1
	v_mul_f32_e32 v20, v11, v12
	s_delay_alu instid0(VALU_DEP_1) | instskip(SKIP_1) | instid1(VALU_DEP_2)
	v_mul_f32_e32 v21, 0x4f800000, v20
	v_cmp_gt_f32_e32 vcc_lo, 0xf800000, v20
	v_cndmask_b32_e32 v20, v20, v21, vcc_lo
	s_delay_alu instid0(VALU_DEP_1) | instskip(SKIP_3) | instid1(VALU_DEP_2)
	v_sqrt_f32_e32 v21, v20
	s_waitcnt_depctr 0xfff
	v_add_nc_u32_e32 v22, -1, v21
	v_add_nc_u32_e32 v23, 1, v21
	v_fma_f32 v24, -v22, v21, v20
	s_delay_alu instid0(VALU_DEP_2) | instskip(NEXT) | instid1(VALU_DEP_2)
	v_fma_f32 v25, -v23, v21, v20
	v_cmp_ge_f32_e64 s0, 0, v24
	s_delay_alu instid0(VALU_DEP_1) | instskip(NEXT) | instid1(VALU_DEP_3)
	v_cndmask_b32_e64 v21, v21, v22, s0
	v_cmp_lt_f32_e64 s0, 0, v25
	s_delay_alu instid0(VALU_DEP_1) | instskip(NEXT) | instid1(VALU_DEP_1)
	v_cndmask_b32_e64 v21, v21, v23, s0
	v_mul_f32_e32 v22, 0x37800000, v21
	s_delay_alu instid0(VALU_DEP_1) | instskip(SKIP_1) | instid1(VALU_DEP_2)
	v_cndmask_b32_e32 v21, v21, v22, vcc_lo
	v_cmp_class_f32_e64 vcc_lo, v20, 0x260
	v_cndmask_b32_e32 v20, v21, v20, vcc_lo
	s_delay_alu instid0(VALU_DEP_1) | instskip(NEXT) | instid1(VALU_DEP_1)
	v_add_f32_e32 v22, v11, v20
	v_add_f32_e32 v23, 1.0, v22
	s_delay_alu instid0(VALU_DEP_1) | instskip(NEXT) | instid1(VALU_DEP_1)
	v_cvt_f64_f32_e32 v[20:21], v23
	v_frexp_exp_i32_f64_e32 v20, v[20:21]
	v_frexp_mant_f32_e32 v21, v23
	s_delay_alu instid0(VALU_DEP_1) | instskip(SKIP_1) | instid1(VALU_DEP_1)
	v_cmp_gt_f32_e32 vcc_lo, 0x3f2aaaab, v21
	v_add_f32_e32 v21, -1.0, v23
	v_sub_f32_e32 v25, v21, v23
	s_delay_alu instid0(VALU_DEP_1) | instskip(SKIP_2) | instid1(VALU_DEP_2)
	v_add_f32_e32 v25, 1.0, v25
	v_subrev_co_ci_u32_e32 v20, vcc_lo, 0, v20, vcc_lo
	v_cmp_eq_f32_e32 vcc_lo, 0x7f800000, v22
	v_sub_nc_u32_e32 v24, 0, v20
	v_cvt_f32_i32_e32 v20, v20
	s_delay_alu instid0(VALU_DEP_2) | instskip(NEXT) | instid1(VALU_DEP_1)
	v_ldexp_f32 v23, v23, v24
	v_dual_sub_f32 v21, v22, v21 :: v_dual_add_f32 v26, 1.0, v23
	s_delay_alu instid0(VALU_DEP_1) | instskip(NEXT) | instid1(VALU_DEP_1)
	v_add_f32_e32 v21, v21, v25
	v_ldexp_f32 v21, v21, v24
	s_delay_alu instid0(VALU_DEP_3) | instskip(NEXT) | instid1(VALU_DEP_1)
	v_dual_add_f32 v24, -1.0, v23 :: v_dual_add_f32 v25, -1.0, v26
	v_add_f32_e32 v27, 1.0, v24
	s_delay_alu instid0(VALU_DEP_2) | instskip(NEXT) | instid1(VALU_DEP_2)
	v_sub_f32_e32 v25, v23, v25
	v_sub_f32_e32 v23, v23, v27
	s_delay_alu instid0(VALU_DEP_2) | instskip(NEXT) | instid1(VALU_DEP_2)
	v_add_f32_e32 v25, v21, v25
	v_add_f32_e32 v21, v21, v23
	s_delay_alu instid0(VALU_DEP_1) | instskip(NEXT) | instid1(VALU_DEP_1)
	v_add_f32_e32 v28, v24, v21
	v_dual_sub_f32 v24, v28, v24 :: v_dual_add_f32 v27, v26, v25
	s_delay_alu instid0(VALU_DEP_1) | instskip(SKIP_1) | instid1(VALU_DEP_1)
	v_rcp_f32_e32 v23, v27
	v_sub_f32_e32 v26, v27, v26
	v_sub_f32_e32 v25, v25, v26
	s_waitcnt_depctr 0xfff
	v_mul_f32_e32 v29, v28, v23
	s_delay_alu instid0(VALU_DEP_1) | instskip(NEXT) | instid1(VALU_DEP_1)
	v_mul_f32_e32 v30, v27, v29
	v_fma_f32 v26, v29, v27, -v30
	s_delay_alu instid0(VALU_DEP_1) | instskip(SKIP_1) | instid1(VALU_DEP_2)
	v_fmac_f32_e32 v26, v29, v25
	v_sub_f32_e32 v21, v21, v24
	v_add_f32_e32 v31, v30, v26
	s_delay_alu instid0(VALU_DEP_1) | instskip(SKIP_1) | instid1(VALU_DEP_2)
	v_sub_f32_e32 v32, v28, v31
	v_sub_f32_e32 v24, v31, v30
	;; [unrolled: 1-line block ×3, first 2 shown]
	s_delay_alu instid0(VALU_DEP_2) | instskip(NEXT) | instid1(VALU_DEP_2)
	v_sub_f32_e32 v24, v24, v26
	v_sub_f32_e32 v28, v28, v31
	s_delay_alu instid0(VALU_DEP_1) | instskip(NEXT) | instid1(VALU_DEP_1)
	v_add_f32_e32 v21, v21, v28
	v_add_f32_e32 v21, v24, v21
	s_delay_alu instid0(VALU_DEP_1) | instskip(NEXT) | instid1(VALU_DEP_1)
	v_add_f32_e32 v24, v32, v21
	v_mul_f32_e32 v26, v23, v24
	s_delay_alu instid0(VALU_DEP_1) | instskip(NEXT) | instid1(VALU_DEP_1)
	v_dual_sub_f32 v31, v32, v24 :: v_dual_mul_f32 v28, v27, v26
	v_fma_f32 v27, v26, v27, -v28
	s_delay_alu instid0(VALU_DEP_1) | instskip(NEXT) | instid1(VALU_DEP_1)
	v_fmac_f32_e32 v27, v26, v25
	v_add_f32_e32 v25, v28, v27
	s_delay_alu instid0(VALU_DEP_1) | instskip(SKIP_1) | instid1(VALU_DEP_1)
	v_sub_f32_e32 v28, v25, v28
	v_dual_sub_f32 v30, v24, v25 :: v_dual_add_f32 v21, v21, v31
	v_sub_f32_e32 v24, v24, v30
	s_delay_alu instid0(VALU_DEP_1) | instskip(NEXT) | instid1(VALU_DEP_4)
	v_sub_f32_e32 v24, v24, v25
	v_sub_f32_e32 v25, v28, v27
	s_delay_alu instid0(VALU_DEP_2) | instskip(SKIP_1) | instid1(VALU_DEP_2)
	v_add_f32_e32 v21, v21, v24
	v_add_f32_e32 v24, v29, v26
	;; [unrolled: 1-line block ×3, first 2 shown]
	s_delay_alu instid0(VALU_DEP_2) | instskip(NEXT) | instid1(VALU_DEP_2)
	v_sub_f32_e32 v25, v24, v29
	v_add_f32_e32 v21, v30, v21
	s_delay_alu instid0(VALU_DEP_2) | instskip(NEXT) | instid1(VALU_DEP_2)
	v_sub_f32_e32 v25, v26, v25
	v_mul_f32_e32 v21, v23, v21
	s_delay_alu instid0(VALU_DEP_1) | instskip(NEXT) | instid1(VALU_DEP_1)
	v_add_f32_e32 v21, v25, v21
	v_add_f32_e32 v23, v24, v21
	s_delay_alu instid0(VALU_DEP_1) | instskip(NEXT) | instid1(VALU_DEP_1)
	v_mul_f32_e32 v25, v23, v23
	v_fmaak_f32 v26, s13, v25, 0x3ecc95a3
	v_mul_f32_e32 v27, v23, v25
	s_delay_alu instid0(VALU_DEP_2) | instskip(SKIP_2) | instid1(VALU_DEP_3)
	v_fmaak_f32 v25, v25, v26, 0x3f2aaada
	v_ldexp_f32 v26, v23, 1
	v_sub_f32_e32 v23, v23, v24
	v_mul_f32_e32 v25, v27, v25
	v_mul_f32_e32 v27, 0x3f317218, v20
	s_delay_alu instid0(VALU_DEP_2) | instskip(NEXT) | instid1(VALU_DEP_1)
	v_dual_sub_f32 v21, v21, v23 :: v_dual_add_f32 v24, v26, v25
	v_ldexp_f32 v21, v21, 1
	s_delay_alu instid0(VALU_DEP_2) | instskip(NEXT) | instid1(VALU_DEP_4)
	v_sub_f32_e32 v23, v24, v26
	v_fma_f32 v26, 0x3f317218, v20, -v27
	s_delay_alu instid0(VALU_DEP_1) | instskip(NEXT) | instid1(VALU_DEP_1)
	v_dual_sub_f32 v23, v25, v23 :: v_dual_fmac_f32 v26, 0xb102e308, v20
	v_dual_add_f32 v20, v21, v23 :: v_dual_add_f32 v21, v27, v26
	s_delay_alu instid0(VALU_DEP_1) | instskip(NEXT) | instid1(VALU_DEP_2)
	v_add_f32_e32 v23, v24, v20
	v_sub_f32_e32 v27, v21, v27
	s_delay_alu instid0(VALU_DEP_2) | instskip(NEXT) | instid1(VALU_DEP_2)
	v_dual_add_f32 v25, v21, v23 :: v_dual_sub_f32 v24, v23, v24
	v_sub_f32_e32 v26, v26, v27
	s_delay_alu instid0(VALU_DEP_2) | instskip(NEXT) | instid1(VALU_DEP_3)
	v_sub_f32_e32 v28, v25, v21
	v_sub_f32_e32 v20, v20, v24
	s_delay_alu instid0(VALU_DEP_2) | instskip(SKIP_1) | instid1(VALU_DEP_2)
	v_sub_f32_e32 v29, v25, v28
	v_sub_f32_e32 v23, v23, v28
	v_dual_add_f32 v24, v26, v20 :: v_dual_sub_f32 v21, v21, v29
	s_delay_alu instid0(VALU_DEP_1) | instskip(NEXT) | instid1(VALU_DEP_2)
	v_add_f32_e32 v21, v23, v21
	v_sub_f32_e32 v23, v24, v26
	s_delay_alu instid0(VALU_DEP_2) | instskip(NEXT) | instid1(VALU_DEP_2)
	v_add_f32_e32 v21, v24, v21
	v_sub_f32_e32 v24, v24, v23
	s_delay_alu instid0(VALU_DEP_2) | instskip(NEXT) | instid1(VALU_DEP_1)
	v_dual_sub_f32 v20, v20, v23 :: v_dual_add_f32 v27, v25, v21
	v_dual_sub_f32 v24, v26, v24 :: v_dual_sub_f32 v23, v27, v25
	s_delay_alu instid0(VALU_DEP_1) | instskip(NEXT) | instid1(VALU_DEP_1)
	v_dual_add_f32 v20, v20, v24 :: v_dual_sub_f32 v21, v21, v23
	v_add_f32_e32 v20, v20, v21
	s_delay_alu instid0(VALU_DEP_1) | instskip(NEXT) | instid1(VALU_DEP_1)
	v_add_f32_e32 v20, v27, v20
	v_cndmask_b32_e32 v20, v20, v22, vcc_lo
	v_cmp_ngt_f32_e32 vcc_lo, -1.0, v22
	s_delay_alu instid0(VALU_DEP_2) | instskip(SKIP_1) | instid1(VALU_DEP_2)
	v_cndmask_b32_e32 v20, 0x7fc00000, v20, vcc_lo
	v_cmp_neq_f32_e32 vcc_lo, -1.0, v22
	v_cndmask_b32_e32 v20, 0xff800000, v20, vcc_lo
	v_cmp_gt_f32_e64 vcc_lo, 0x33800000, |v22|
	s_delay_alu instid0(VALU_DEP_2)
	v_cndmask_b32_e32 v20, v20, v22, vcc_lo
.LBB63_635:                             ;   in Loop: Header=BB63_418 Depth=1
	s_and_not1_saveexec_b32 s22, s22
	s_cbranch_execz .LBB63_637
; %bb.636:                              ;   in Loop: Header=BB63_418 Depth=1
	v_sub_f32_e64 v20, 1.0, |v2|
	s_delay_alu instid0(VALU_DEP_1) | instskip(NEXT) | instid1(VALU_DEP_1)
	v_mul_f32_e32 v20, v20, v12
	v_mul_f32_e32 v21, 0x4f800000, v20
	v_cmp_gt_f32_e32 vcc_lo, 0xf800000, v20
	s_delay_alu instid0(VALU_DEP_2) | instskip(NEXT) | instid1(VALU_DEP_1)
	v_cndmask_b32_e32 v20, v20, v21, vcc_lo
	v_sqrt_f32_e32 v21, v20
	s_waitcnt_depctr 0xfff
	v_add_nc_u32_e32 v22, -1, v21
	v_add_nc_u32_e32 v23, 1, v21
	s_delay_alu instid0(VALU_DEP_2) | instskip(NEXT) | instid1(VALU_DEP_2)
	v_fma_f32 v24, -v22, v21, v20
	v_fma_f32 v25, -v23, v21, v20
	s_delay_alu instid0(VALU_DEP_2) | instskip(NEXT) | instid1(VALU_DEP_1)
	v_cmp_ge_f32_e64 s0, 0, v24
	v_cndmask_b32_e64 v21, v21, v22, s0
	s_delay_alu instid0(VALU_DEP_3) | instskip(NEXT) | instid1(VALU_DEP_1)
	v_cmp_lt_f32_e64 s0, 0, v25
	v_cndmask_b32_e64 v21, v21, v23, s0
	s_delay_alu instid0(VALU_DEP_1) | instskip(NEXT) | instid1(VALU_DEP_1)
	v_mul_f32_e32 v22, 0x37800000, v21
	v_cndmask_b32_e32 v21, v21, v22, vcc_lo
	v_cmp_class_f32_e64 vcc_lo, v20, 0x260
	v_and_b32_e32 v22, 0x7fffffff, v3
	s_delay_alu instid0(VALU_DEP_3) | instskip(NEXT) | instid1(VALU_DEP_1)
	v_cndmask_b32_e32 v20, v21, v20, vcc_lo
	v_div_scale_f32 v21, null, v20, v20, v22
	v_div_scale_f32 v22, vcc_lo, v22, v20, v22
	s_delay_alu instid0(VALU_DEP_2) | instskip(SKIP_2) | instid1(VALU_DEP_1)
	v_rcp_f32_e32 v23, v21
	s_waitcnt_depctr 0xfff
	v_fma_f32 v24, -v21, v23, 1.0
	v_fmac_f32_e32 v23, v24, v23
	s_delay_alu instid0(VALU_DEP_1) | instskip(NEXT) | instid1(VALU_DEP_1)
	v_mul_f32_e32 v24, v22, v23
	v_fma_f32 v25, -v21, v24, v22
	s_delay_alu instid0(VALU_DEP_1) | instskip(NEXT) | instid1(VALU_DEP_1)
	v_fmac_f32_e32 v24, v25, v23
	v_fma_f32 v21, -v21, v24, v22
	s_delay_alu instid0(VALU_DEP_1) | instskip(NEXT) | instid1(VALU_DEP_1)
	v_div_fmas_f32 v21, v21, v23, v24
	v_div_fixup_f32 v20, v21, v20, |v3|
.LBB63_637:                             ;   in Loop: Header=BB63_418 Depth=1
	s_or_b32 exec_lo, exec_lo, s22
.LBB63_638:                             ;   in Loop: Header=BB63_418 Depth=1
	s_delay_alu instid0(SALU_CYCLE_1)
	s_or_b32 exec_lo, exec_lo, s21
.LBB63_639:                             ;   in Loop: Header=BB63_418 Depth=1
	s_and_not1_saveexec_b32 s20, s20
	s_cbranch_execz .LBB63_641
; %bb.640:                              ;   in Loop: Header=BB63_418 Depth=1
	v_mul_f32_e64 v20, 0x4f800000, |v3|
	v_cmp_gt_f32_e64 vcc_lo, 0xf800000, |v3|
	s_delay_alu instid0(VALU_DEP_1) | instskip(NEXT) | instid1(VALU_DEP_1)
	v_cndmask_b32_e64 v20, |v3|, v20, vcc_lo
	v_sqrt_f32_e32 v21, v20
	s_waitcnt_depctr 0xfff
	v_add_nc_u32_e32 v22, -1, v21
	v_add_nc_u32_e32 v23, 1, v21
	s_delay_alu instid0(VALU_DEP_2) | instskip(NEXT) | instid1(VALU_DEP_2)
	v_fma_f32 v24, -v22, v21, v20
	v_fma_f32 v25, -v23, v21, v20
	s_delay_alu instid0(VALU_DEP_2) | instskip(NEXT) | instid1(VALU_DEP_1)
	v_cmp_ge_f32_e64 s0, 0, v24
	v_cndmask_b32_e64 v21, v21, v22, s0
	s_delay_alu instid0(VALU_DEP_3) | instskip(NEXT) | instid1(VALU_DEP_1)
	v_cmp_lt_f32_e64 s0, 0, v25
	v_cndmask_b32_e64 v21, v21, v23, s0
	s_delay_alu instid0(VALU_DEP_1) | instskip(NEXT) | instid1(VALU_DEP_1)
	v_mul_f32_e32 v22, 0x37800000, v21
	v_cndmask_b32_e32 v21, v21, v22, vcc_lo
	v_cmp_class_f32_e64 vcc_lo, v20, 0x260
	s_delay_alu instid0(VALU_DEP_2)
	v_cndmask_b32_e32 v20, v21, v20, vcc_lo
.LBB63_641:                             ;   in Loop: Header=BB63_418 Depth=1
	s_or_b32 exec_lo, exec_lo, s20
.LBB63_642:                             ;   in Loop: Header=BB63_418 Depth=1
	s_delay_alu instid0(SALU_CYCLE_1) | instskip(NEXT) | instid1(SALU_CYCLE_1)
	s_or_b32 exec_lo, exec_lo, s1
	s_mov_b32 s20, exec_lo
                                        ; implicit-def: $sgpr0
                                        ; implicit-def: $vgpr21
                                        ; implicit-def: $vgpr23
                                        ; implicit-def: $vgpr22
	v_cmpx_ngt_f32_e64 0x21000000, |v2|
	s_xor_b32 s20, exec_lo, s20
	s_cbranch_execz .LBB63_666
; %bb.643:                              ;   in Loop: Header=BB63_418 Depth=1
	v_and_b32_e32 v22, 0x7fffffff, v2
	s_mov_b32 s0, 0
	s_mov_b32 s21, exec_lo
	s_delay_alu instid0(VALU_DEP_1) | instskip(NEXT) | instid1(VALU_DEP_1)
	v_div_scale_f32 v21, null, v10, v10, v22
	v_rcp_f32_e32 v23, v21
	s_waitcnt_depctr 0xfff
	v_fma_f32 v24, -v21, v23, 1.0
	s_delay_alu instid0(VALU_DEP_1) | instskip(SKIP_1) | instid1(VALU_DEP_1)
	v_fmac_f32_e32 v23, v24, v23
	v_div_scale_f32 v24, vcc_lo, v22, v10, v22
	v_mul_f32_e32 v25, v24, v23
	s_delay_alu instid0(VALU_DEP_1) | instskip(NEXT) | instid1(VALU_DEP_1)
	v_fma_f32 v26, -v21, v25, v24
	v_fmac_f32_e32 v25, v26, v23
	s_delay_alu instid0(VALU_DEP_1) | instskip(NEXT) | instid1(VALU_DEP_1)
	v_fma_f32 v21, -v21, v25, v24
	v_div_fmas_f32 v21, v21, v23, v25
                                        ; implicit-def: $vgpr23
	s_delay_alu instid0(VALU_DEP_1) | instskip(NEXT) | instid1(VALU_DEP_1)
	v_div_fixup_f32 v21, v21, v10, |v2|
	v_cmpx_lt_f32_e32 0x3f244674, v21
	s_cbranch_execz .LBB63_665
; %bb.644:                              ;   in Loop: Header=BB63_418 Depth=1
	v_cmp_neq_f32_e64 s0, |v2|, 1.0
	v_cmp_ngt_f32_e64 s1, 0x30800000, |v3|
                                        ; implicit-def: $sgpr22
                                        ; implicit-def: $vgpr23
	s_delay_alu instid0(VALU_DEP_1) | instskip(NEXT) | instid1(SALU_CYCLE_1)
	s_or_b32 s0, s0, s1
	s_and_saveexec_b32 s1, s0
	s_delay_alu instid0(SALU_CYCLE_1)
	s_xor_b32 s1, exec_lo, s1
	s_cbranch_execz .LBB63_662
; %bb.645:                              ;   in Loop: Header=BB63_418 Depth=1
	v_mul_f32_e64 v23, 0x34000000, |v11|
                                        ; implicit-def: $sgpr22
	s_delay_alu instid0(VALU_DEP_1) | instskip(NEXT) | instid1(VALU_DEP_1)
	v_cmp_le_f32_e64 s0, v23, |v3|
                                        ; implicit-def: $vgpr23
	s_and_saveexec_b32 s23, s0
	s_delay_alu instid0(SALU_CYCLE_1)
	s_xor_b32 s23, exec_lo, s23
	s_cbranch_execz .LBB63_655
; %bb.646:                              ;   in Loop: Header=BB63_418 Depth=1
	v_mov_b32_e32 v23, v18
	s_mov_b32 s0, exec_lo
	v_cmpx_neq_f32_e32 0, v12
	s_cbranch_execz .LBB63_648
; %bb.647:                              ;   in Loop: Header=BB63_418 Depth=1
	v_mul_f32_e32 v23, v3, v3
	v_add_f32_e32 v12, v12, v19
	s_delay_alu instid0(VALU_DEP_1) | instskip(NEXT) | instid1(VALU_DEP_1)
	v_div_scale_f32 v19, null, v12, v12, v23
	v_rcp_f32_e32 v24, v19
	s_waitcnt_depctr 0xfff
	v_fma_f32 v25, -v19, v24, 1.0
	s_delay_alu instid0(VALU_DEP_1) | instskip(SKIP_1) | instid1(VALU_DEP_1)
	v_fmac_f32_e32 v24, v25, v24
	v_div_scale_f32 v25, vcc_lo, v23, v12, v23
	v_mul_f32_e32 v26, v25, v24
	s_delay_alu instid0(VALU_DEP_1) | instskip(NEXT) | instid1(VALU_DEP_1)
	v_fma_f32 v27, -v19, v26, v25
	v_fmac_f32_e32 v26, v27, v24
	s_delay_alu instid0(VALU_DEP_1) | instskip(NEXT) | instid1(VALU_DEP_1)
	v_fma_f32 v19, -v19, v26, v25
	v_div_fmas_f32 v19, v19, v24, v26
	s_delay_alu instid0(VALU_DEP_1)
	v_div_fixup_f32 v23, v19, v12, v23
.LBB63_648:                             ;   in Loop: Header=BB63_418 Depth=1
	s_or_b32 exec_lo, exec_lo, s0
	s_delay_alu instid0(SALU_CYCLE_1)
	s_mov_b32 s0, exec_lo
	v_cmpx_ngt_f32_e32 0, v11
	s_xor_b32 s0, exec_lo, s0
	s_cbranch_execz .LBB63_652
; %bb.649:                              ;   in Loop: Header=BB63_418 Depth=1
	s_mov_b32 s22, exec_lo
	v_cmpx_neq_f32_e32 0, v11
	s_cbranch_execz .LBB63_651
; %bb.650:                              ;   in Loop: Header=BB63_418 Depth=1
	v_mul_f32_e32 v12, v3, v3
	v_add_f32_e32 v11, v11, v13
	s_delay_alu instid0(VALU_DEP_1) | instskip(NEXT) | instid1(VALU_DEP_1)
	v_div_scale_f32 v13, null, v11, v11, v12
	v_rcp_f32_e32 v18, v13
	s_waitcnt_depctr 0xfff
	v_fma_f32 v19, -v13, v18, 1.0
	s_delay_alu instid0(VALU_DEP_1) | instskip(SKIP_1) | instid1(VALU_DEP_1)
	v_fmac_f32_e32 v18, v19, v18
	v_div_scale_f32 v19, vcc_lo, v12, v11, v12
	v_mul_f32_e32 v24, v19, v18
	s_delay_alu instid0(VALU_DEP_1) | instskip(NEXT) | instid1(VALU_DEP_1)
	v_fma_f32 v25, -v13, v24, v19
	v_fmac_f32_e32 v24, v25, v18
	s_delay_alu instid0(VALU_DEP_1) | instskip(NEXT) | instid1(VALU_DEP_1)
	v_fma_f32 v13, -v13, v24, v19
	v_div_fmas_f32 v13, v13, v18, v24
	s_delay_alu instid0(VALU_DEP_1)
	v_div_fixup_f32 v18, v13, v11, v12
.LBB63_651:                             ;   in Loop: Header=BB63_418 Depth=1
	s_or_b32 exec_lo, exec_lo, s22
                                        ; implicit-def: $vgpr13
                                        ; implicit-def: $vgpr11
.LBB63_652:                             ;   in Loop: Header=BB63_418 Depth=1
	s_and_not1_saveexec_b32 s0, s0
; %bb.653:                              ;   in Loop: Header=BB63_418 Depth=1
	v_sub_f32_e32 v18, v13, v11
; %bb.654:                              ;   in Loop: Header=BB63_418 Depth=1
	s_or_b32 exec_lo, exec_lo, s0
	s_delay_alu instid0(VALU_DEP_1) | instskip(SKIP_2) | instid1(VALU_DEP_2)
	v_mul_f32_e32 v11, 0.5, v18
	v_add_f32_e64 v10, |v2|, v10
	s_mov_b32 s22, -1
	v_fmac_f32_e32 v11, 0.5, v23
	s_delay_alu instid0(VALU_DEP_1) | instskip(NEXT) | instid1(VALU_DEP_1)
	v_mul_f32_e32 v10, v10, v11
	v_mul_f32_e32 v11, 0x4f800000, v10
	v_cmp_gt_f32_e32 vcc_lo, 0xf800000, v10
	s_delay_alu instid0(VALU_DEP_2) | instskip(NEXT) | instid1(VALU_DEP_1)
	v_cndmask_b32_e32 v10, v10, v11, vcc_lo
	v_sqrt_f32_e32 v11, v10
	s_waitcnt_depctr 0xfff
	v_add_nc_u32_e32 v12, -1, v11
	v_add_nc_u32_e32 v13, 1, v11
	s_delay_alu instid0(VALU_DEP_2) | instskip(NEXT) | instid1(VALU_DEP_2)
	v_fma_f32 v18, -v12, v11, v10
	v_fma_f32 v19, -v13, v11, v10
	s_delay_alu instid0(VALU_DEP_2) | instskip(NEXT) | instid1(VALU_DEP_1)
	v_cmp_ge_f32_e64 s0, 0, v18
	v_cndmask_b32_e64 v11, v11, v12, s0
	s_delay_alu instid0(VALU_DEP_3) | instskip(NEXT) | instid1(VALU_DEP_1)
	v_cmp_lt_f32_e64 s0, 0, v19
	v_cndmask_b32_e64 v11, v11, v13, s0
	s_delay_alu instid0(VALU_DEP_1) | instskip(NEXT) | instid1(VALU_DEP_1)
	v_mul_f32_e32 v12, 0x37800000, v11
	v_cndmask_b32_e32 v11, v11, v12, vcc_lo
	v_cmp_class_f32_e64 vcc_lo, v10, 0x260
                                        ; implicit-def: $vgpr12
	s_delay_alu instid0(VALU_DEP_2)
	v_cndmask_b32_e32 v23, v11, v10, vcc_lo
                                        ; implicit-def: $vgpr11
.LBB63_655:                             ;   in Loop: Header=BB63_418 Depth=1
	s_and_not1_saveexec_b32 s23, s23
	s_cbranch_execz .LBB63_661
; %bb.656:                              ;   in Loop: Header=BB63_418 Depth=1
	s_mov_b32 s25, exec_lo
                                        ; implicit-def: $vgpr23
                                        ; implicit-def: $sgpr24
	v_cmpx_ngt_f32_e64 |v2|, 1.0
	s_xor_b32 s25, exec_lo, s25
	s_cbranch_execz .LBB63_658
; %bb.657:                              ;   in Loop: Header=BB63_418 Depth=1
	v_sub_f32_e64 v10, 1.0, |v2|
	s_mov_b32 s24, -1
	s_delay_alu instid0(VALU_DEP_1) | instskip(NEXT) | instid1(VALU_DEP_1)
	v_mul_f32_e32 v10, v10, v12
	v_mul_f32_e32 v11, 0x4f800000, v10
	v_cmp_gt_f32_e32 vcc_lo, 0xf800000, v10
	s_delay_alu instid0(VALU_DEP_2) | instskip(NEXT) | instid1(VALU_DEP_1)
	v_cndmask_b32_e32 v10, v10, v11, vcc_lo
	v_sqrt_f32_e32 v11, v10
	s_waitcnt_depctr 0xfff
	v_add_nc_u32_e32 v12, -1, v11
	v_add_nc_u32_e32 v13, 1, v11
	s_delay_alu instid0(VALU_DEP_2) | instskip(NEXT) | instid1(VALU_DEP_2)
	v_fma_f32 v18, -v12, v11, v10
	v_fma_f32 v19, -v13, v11, v10
	s_delay_alu instid0(VALU_DEP_2) | instskip(NEXT) | instid1(VALU_DEP_1)
	v_cmp_ge_f32_e64 s0, 0, v18
	v_cndmask_b32_e64 v11, v11, v12, s0
	s_delay_alu instid0(VALU_DEP_3) | instskip(NEXT) | instid1(VALU_DEP_1)
	v_cmp_lt_f32_e64 s0, 0, v19
	v_cndmask_b32_e64 v11, v11, v13, s0
	s_delay_alu instid0(VALU_DEP_1) | instskip(NEXT) | instid1(VALU_DEP_1)
	v_mul_f32_e32 v12, 0x37800000, v11
	v_cndmask_b32_e32 v11, v11, v12, vcc_lo
	v_cmp_class_f32_e64 vcc_lo, v10, 0x260
                                        ; implicit-def: $vgpr12
	s_delay_alu instid0(VALU_DEP_2)
	v_cndmask_b32_e32 v23, v11, v10, vcc_lo
                                        ; implicit-def: $vgpr11
.LBB63_658:                             ;   in Loop: Header=BB63_418 Depth=1
	s_and_not1_saveexec_b32 s25, s25
	s_cbranch_execz .LBB63_660
; %bb.659:                              ;   in Loop: Header=BB63_418 Depth=1
	v_mul_f32_e32 v10, v12, v11
	s_or_b32 s24, s24, exec_lo
	s_delay_alu instid0(VALU_DEP_1) | instskip(SKIP_1) | instid1(VALU_DEP_2)
	v_mul_f32_e32 v11, 0x4f800000, v10
	v_cmp_gt_f32_e32 vcc_lo, 0xf800000, v10
	v_cndmask_b32_e32 v10, v10, v11, vcc_lo
	s_delay_alu instid0(VALU_DEP_1) | instskip(SKIP_3) | instid1(VALU_DEP_2)
	v_sqrt_f32_e32 v11, v10
	s_waitcnt_depctr 0xfff
	v_add_nc_u32_e32 v12, -1, v11
	v_add_nc_u32_e32 v13, 1, v11
	v_fma_f32 v18, -v12, v11, v10
	s_delay_alu instid0(VALU_DEP_2) | instskip(NEXT) | instid1(VALU_DEP_2)
	v_fma_f32 v19, -v13, v11, v10
	v_cmp_ge_f32_e64 s0, 0, v18
	s_delay_alu instid0(VALU_DEP_1) | instskip(NEXT) | instid1(VALU_DEP_3)
	v_cndmask_b32_e64 v11, v11, v12, s0
	v_cmp_lt_f32_e64 s0, 0, v19
	s_delay_alu instid0(VALU_DEP_1) | instskip(SKIP_1) | instid1(VALU_DEP_2)
	v_cndmask_b32_e64 v11, v11, v13, s0
	v_mul_f32_e64 v13, 0x57800000, |v3|
	v_mul_f32_e32 v12, 0x37800000, v11
	s_delay_alu instid0(VALU_DEP_1) | instskip(SKIP_1) | instid1(VALU_DEP_4)
	v_cndmask_b32_e32 v11, v11, v12, vcc_lo
	v_cmp_class_f32_e64 vcc_lo, v10, 0x260
	v_mul_f32_e64 v12, |v2|, v13
	s_delay_alu instid0(VALU_DEP_3) | instskip(NEXT) | instid1(VALU_DEP_1)
	v_cndmask_b32_e32 v10, v11, v10, vcc_lo
	v_div_scale_f32 v11, null, v10, v10, v12
	v_div_scale_f32 v19, vcc_lo, v12, v10, v12
	s_delay_alu instid0(VALU_DEP_2) | instskip(SKIP_2) | instid1(VALU_DEP_1)
	v_rcp_f32_e32 v13, v11
	s_waitcnt_depctr 0xfff
	v_fma_f32 v18, -v11, v13, 1.0
	v_fmac_f32_e32 v13, v18, v13
	s_delay_alu instid0(VALU_DEP_1) | instskip(NEXT) | instid1(VALU_DEP_1)
	v_mul_f32_e32 v18, v19, v13
	v_fma_f32 v22, -v11, v18, v19
	s_delay_alu instid0(VALU_DEP_1) | instskip(SKIP_1) | instid1(VALU_DEP_2)
	v_fmac_f32_e32 v18, v22, v13
	v_mul_f32_e64 v22, 0x57800000, |v2|
	v_fma_f32 v11, -v11, v18, v19
	s_delay_alu instid0(VALU_DEP_1) | instskip(NEXT) | instid1(VALU_DEP_1)
	v_div_fmas_f32 v11, v11, v13, v18
	v_div_fixup_f32 v23, v11, v10, v12
.LBB63_660:                             ;   in Loop: Header=BB63_418 Depth=1
	s_or_b32 exec_lo, exec_lo, s25
	s_delay_alu instid0(SALU_CYCLE_1) | instskip(SKIP_1) | instid1(SALU_CYCLE_1)
	s_and_not1_b32 s0, s22, exec_lo
	s_and_b32 s22, s24, exec_lo
	s_or_b32 s22, s0, s22
.LBB63_661:                             ;   in Loop: Header=BB63_418 Depth=1
	s_or_b32 exec_lo, exec_lo, s23
	s_delay_alu instid0(SALU_CYCLE_1)
	s_and_b32 s22, s22, exec_lo
                                        ; implicit-def: $vgpr10
.LBB63_662:                             ;   in Loop: Header=BB63_418 Depth=1
	s_and_not1_saveexec_b32 s23, s1
	s_cbranch_execz .LBB63_664
; %bb.663:                              ;   in Loop: Header=BB63_418 Depth=1
	v_add_f32_e32 v10, 1.0, v10
	v_mul_f32_e64 v11, 0x4f800000, |v3|
	v_cmp_gt_f32_e64 vcc_lo, 0xf800000, |v3|
	s_or_b32 s22, s22, exec_lo
	s_delay_alu instid0(VALU_DEP_3) | instskip(NEXT) | instid1(VALU_DEP_2)
	v_mul_f32_e32 v10, 0.5, v10
	v_cndmask_b32_e64 v11, |v3|, v11, vcc_lo
	s_delay_alu instid0(VALU_DEP_2) | instskip(SKIP_1) | instid1(VALU_DEP_1)
	v_mul_f32_e32 v12, 0x4f800000, v10
	v_cmp_gt_f32_e64 s0, 0xf800000, v10
	v_cndmask_b32_e64 v10, v10, v12, s0
	s_delay_alu instid0(VALU_DEP_4) | instskip(NEXT) | instid1(VALU_DEP_1)
	v_sqrt_f32_e32 v12, v11
	v_sqrt_f32_e32 v13, v10
	s_waitcnt_depctr 0xfff
	v_add_nc_u32_e32 v18, -1, v12
	v_add_nc_u32_e32 v22, 1, v12
	v_add_nc_u32_e32 v19, -1, v13
	s_delay_alu instid0(VALU_DEP_3) | instskip(SKIP_1) | instid1(VALU_DEP_4)
	v_fma_f32 v23, -v18, v12, v11
	v_add_nc_u32_e32 v24, 1, v13
	v_fma_f32 v26, -v22, v12, v11
	s_delay_alu instid0(VALU_DEP_4) | instskip(NEXT) | instid1(VALU_DEP_4)
	v_fma_f32 v25, -v19, v13, v10
	v_cmp_ge_f32_e64 s1, 0, v23
	s_delay_alu instid0(VALU_DEP_1) | instskip(NEXT) | instid1(VALU_DEP_3)
	v_cndmask_b32_e64 v12, v12, v18, s1
	v_cmp_ge_f32_e64 s1, 0, v25
	v_fma_f32 v18, -v24, v13, v10
	s_delay_alu instid0(VALU_DEP_2) | instskip(SKIP_1) | instid1(VALU_DEP_1)
	v_cndmask_b32_e64 v13, v13, v19, s1
	v_cmp_lt_f32_e64 s1, 0, v26
	v_cndmask_b32_e64 v12, v12, v22, s1
	s_delay_alu instid0(VALU_DEP_4) | instskip(SKIP_1) | instid1(VALU_DEP_3)
	v_cmp_lt_f32_e64 s1, 0, v18
	v_mov_b32_e32 v22, 1.0
	v_mul_f32_e32 v18, 0x37800000, v12
	s_delay_alu instid0(VALU_DEP_3) | instskip(NEXT) | instid1(VALU_DEP_1)
	v_cndmask_b32_e64 v13, v13, v24, s1
	v_dual_cndmask_b32 v12, v12, v18 :: v_dual_mul_f32 v19, 0x37800000, v13
	v_cmp_class_f32_e64 vcc_lo, v11, 0x260
	s_delay_alu instid0(VALU_DEP_2) | instskip(NEXT) | instid1(VALU_DEP_3)
	v_cndmask_b32_e64 v13, v13, v19, s0
	v_cndmask_b32_e32 v11, v12, v11, vcc_lo
	v_cmp_class_f32_e64 vcc_lo, v10, 0x260
	s_delay_alu instid0(VALU_DEP_3) | instskip(NEXT) | instid1(VALU_DEP_1)
	v_cndmask_b32_e32 v10, v13, v10, vcc_lo
	v_mul_f32_e32 v23, v11, v10
.LBB63_664:                             ;   in Loop: Header=BB63_418 Depth=1
	s_or_b32 exec_lo, exec_lo, s23
	s_delay_alu instid0(SALU_CYCLE_1)
	s_and_b32 s0, s22, exec_lo
.LBB63_665:                             ;   in Loop: Header=BB63_418 Depth=1
	s_or_b32 exec_lo, exec_lo, s21
	s_delay_alu instid0(SALU_CYCLE_1)
	s_and_b32 s0, s0, exec_lo
                                        ; implicit-def: $vgpr10
.LBB63_666:                             ;   in Loop: Header=BB63_418 Depth=1
	s_and_not1_saveexec_b32 s1, s20
; %bb.667:                              ;   in Loop: Header=BB63_418 Depth=1
	v_mul_f32_e32 v23, 0x4b800000, v10
	v_mul_f32_e64 v22, 0x4b800000, |v2|
	s_or_b32 s0, s0, exec_lo
                                        ; implicit-def: $vgpr21
; %bb.668:                              ;   in Loop: Header=BB63_418 Depth=1
	s_or_b32 exec_lo, exec_lo, s1
	s_xor_b32 s0, s0, -1
                                        ; implicit-def: $vgpr10
	s_delay_alu instid0(SALU_CYCLE_1) | instskip(NEXT) | instid1(SALU_CYCLE_1)
	s_and_saveexec_b32 s1, s0
	s_xor_b32 s0, exec_lo, s1
	s_cbranch_execz .LBB63_670
; %bb.669:                              ;   in Loop: Header=BB63_418 Depth=1
	v_fma_f32 v10, |v21|, -0.5, 0.5
	v_mul_f32_e32 v11, v21, v21
	v_cmp_ge_f32_e64 vcc_lo, |v21|, 0.5
                                        ; implicit-def: $vgpr22
                                        ; implicit-def: $vgpr23
	s_delay_alu instid0(VALU_DEP_2) | instskip(SKIP_1) | instid1(VALU_DEP_2)
	v_cndmask_b32_e32 v10, v11, v10, vcc_lo
	v_cmp_lt_f32_e64 vcc_lo, |v21|, 0.5
	v_fmaak_f32 v11, s14, v10, 0x3c5fc5da
	v_sqrt_f32_e32 v12, v10
	s_delay_alu instid0(VALU_DEP_1) | instskip(NEXT) | instid1(VALU_DEP_1)
	v_fmaak_f32 v11, v10, v11, 0x3d034c3c
	v_fmaak_f32 v11, v10, v11, 0x3d3641b1
	s_delay_alu instid0(VALU_DEP_1) | instskip(NEXT) | instid1(VALU_DEP_1)
	v_fmaak_f32 v11, v10, v11, 0x3d999bc8
	v_fmaak_f32 v11, v10, v11, 0x3e2aaaac
	s_delay_alu instid0(VALU_DEP_1) | instskip(SKIP_3) | instid1(VALU_DEP_2)
	v_mul_f32_e32 v10, v10, v11
	s_waitcnt_depctr 0xfff
	v_fmac_f32_e32 v12, v12, v10
	v_fma_f32 v10, |v21|, v10, |v21|
	v_add_f32_e32 v11, v12, v12
	s_delay_alu instid0(VALU_DEP_1) | instskip(NEXT) | instid1(VALU_DEP_1)
	v_sub_f32_e32 v11, 0x3fc90fdb, v11
	v_cndmask_b32_e32 v10, v11, v10, vcc_lo
	s_delay_alu instid0(VALU_DEP_1)
	v_bfi_b32 v10, 0x7fffffff, v10, v21
.LBB63_670:                             ;   in Loop: Header=BB63_418 Depth=1
	s_and_not1_saveexec_b32 s20, s0
	s_cbranch_execz .LBB63_672
; %bb.671:                              ;   in Loop: Header=BB63_418 Depth=1
	v_max_f32_e32 v10, v22, v22
	v_max_f32_e64 v11, |v23|, |v23|
	v_cmp_gt_f32_e64 vcc_lo, v22, |v23|
	v_cmp_eq_f32_e64 s1, 0, v22
	v_cmp_class_f32_e64 s21, v23, 0x204
	v_cmp_eq_f32_e64 s0, 0x7f800000, v22
	v_max_f32_e32 v12, v11, v10
	v_min_f32_e32 v10, v11, v10
	s_delay_alu instid0(VALU_DEP_2) | instskip(SKIP_1) | instid1(VALU_DEP_2)
	v_frexp_mant_f32_e32 v13, v12
	v_frexp_exp_i32_f32_e32 v12, v12
	v_rcp_f32_e32 v11, v13
	s_delay_alu instid0(VALU_DEP_3) | instskip(SKIP_1) | instid1(VALU_DEP_2)
	v_frexp_exp_i32_f32_e32 v13, v10
	v_frexp_mant_f32_e32 v10, v10
	v_sub_nc_u32_e32 v12, v13, v12
	s_waitcnt_depctr 0xfff
	v_mul_f32_e32 v10, v10, v11
	s_delay_alu instid0(VALU_DEP_1) | instskip(NEXT) | instid1(VALU_DEP_1)
	v_ldexp_f32 v10, v10, v12
	v_mul_f32_e32 v11, v10, v10
	s_delay_alu instid0(VALU_DEP_1) | instskip(NEXT) | instid1(VALU_DEP_1)
	v_fmaak_f32 v12, s15, v11, 0xbc7a590c
	v_fmaak_f32 v12, v11, v12, 0x3d29fb3f
	s_delay_alu instid0(VALU_DEP_1) | instskip(NEXT) | instid1(VALU_DEP_1)
	v_fmaak_f32 v12, v11, v12, 0xbd97d4d7
	v_fmaak_f32 v12, v11, v12, 0x3dd931b2
	;; [unrolled: 3-line block ×3, first 2 shown]
	s_delay_alu instid0(VALU_DEP_1) | instskip(NEXT) | instid1(VALU_DEP_1)
	v_fmaak_f32 v12, v11, v12, 0xbeaaaa62
	v_mul_f32_e32 v11, v11, v12
	s_delay_alu instid0(VALU_DEP_1) | instskip(NEXT) | instid1(VALU_DEP_1)
	v_fmac_f32_e32 v10, v10, v11
	v_sub_f32_e32 v11, 0x3fc90fdb, v10
	s_delay_alu instid0(VALU_DEP_1) | instskip(SKIP_1) | instid1(VALU_DEP_2)
	v_cndmask_b32_e32 v10, v10, v11, vcc_lo
	v_cmp_gt_i32_e32 vcc_lo, 0, v23
	v_sub_f32_e32 v11, 0x40490fdb, v10
	v_cndmask_b32_e64 v12, 0, 0x40490fdb, vcc_lo
	v_cmp_gt_f32_e32 vcc_lo, 0, v23
	s_delay_alu instid0(VALU_DEP_3) | instskip(SKIP_2) | instid1(VALU_DEP_2)
	v_cndmask_b32_e32 v10, v10, v11, vcc_lo
	v_cndmask_b32_e32 v11, 0x3f490fdb, v17, vcc_lo
	s_and_b32 vcc_lo, s0, s21
	v_cndmask_b32_e64 v10, v10, v12, s1
	s_delay_alu instid0(VALU_DEP_1) | instskip(SKIP_1) | instid1(VALU_DEP_2)
	v_cndmask_b32_e32 v10, v10, v11, vcc_lo
	v_cmp_o_f32_e32 vcc_lo, v23, v22
	v_cndmask_b32_e64 v10, 0x7fc00000, |v10|, vcc_lo
.LBB63_672:                             ;   in Loop: Header=BB63_418 Depth=1
	s_or_b32 exec_lo, exec_lo, s20
	v_bfi_b32 v11, 0x7fffffff, v20, v3
	s_delay_alu instid0(VALU_DEP_2)
	v_bfi_b32 v10, 0x7fffffff, v10, v2
.LBB63_673:                             ;   in Loop: Header=BB63_418 Depth=1
	s_or_b32 exec_lo, exec_lo, s19
.LBB63_674:                             ;   in Loop: Header=BB63_418 Depth=1
	s_delay_alu instid0(SALU_CYCLE_1)
	s_or_b32 exec_lo, exec_lo, s18
                                        ; implicit-def: $vgpr13
                                        ; implicit-def: $vgpr18
                                        ; implicit-def: $vgpr12
.LBB63_675:                             ;   in Loop: Header=BB63_418 Depth=1
	s_and_not1_saveexec_b32 s17, s17
	s_cbranch_execz .LBB63_697
; %bb.676:                              ;   in Loop: Header=BB63_418 Depth=1
                                        ; implicit-def: $vgpr10
                                        ; implicit-def: $vgpr11
	s_mov_b32 s0, exec_lo
	v_cmpx_lt_i32_e32 -1, v3
	s_xor_b32 s18, exec_lo, s0
	s_cbranch_execz .LBB63_686
; %bb.677:                              ;   in Loop: Header=BB63_418 Depth=1
	v_cmp_lt_f32_e64 s0, |v3|, |v2|
                                        ; implicit-def: $vgpr10
                                        ; implicit-def: $vgpr11
	s_mov_b32 s1, exec_lo
	s_delay_alu instid0(VALU_DEP_1) | instskip(NEXT) | instid1(VALU_DEP_1)
	v_cndmask_b32_e64 v19, |v3|, |v2|, s0
	v_cmpx_nlt_f32_e32 0x7effffff, v19
	s_xor_b32 s19, exec_lo, s1
	s_cbranch_execz .LBB63_683
; %bb.678:                              ;   in Loop: Header=BB63_418 Depth=1
	v_cndmask_b32_e64 v20, |v2|, |v3|, s0
	v_cmp_nlt_f32_e32 vcc_lo, 0x5e000000, v19
                                        ; implicit-def: $vgpr10
                                        ; implicit-def: $vgpr11
	s_delay_alu instid0(VALU_DEP_2) | instskip(NEXT) | instid1(VALU_DEP_1)
	v_cmp_ngt_f32_e64 s1, 0x20000000, v20
	s_and_b32 s1, vcc_lo, s1
	s_delay_alu instid0(SALU_CYCLE_1) | instskip(NEXT) | instid1(SALU_CYCLE_1)
	s_and_saveexec_b32 s20, s1
	s_xor_b32 s20, exec_lo, s20
	s_cbranch_execz .LBB63_680
; %bb.679:                              ;   in Loop: Header=BB63_418 Depth=1
	v_frexp_mant_f32_e32 v10, v12
	v_min_f32_e32 v11, v13, v18
	v_frexp_exp_i32_f32_e32 v12, v12
	s_delay_alu instid0(VALU_DEP_3) | instskip(NEXT) | instid1(VALU_DEP_2)
	v_rcp_f32_e32 v10, v10
	v_frexp_mant_f32_e32 v18, v11
	v_mul_f32_e32 v13, v20, v20
	v_frexp_exp_i32_f32_e32 v11, v11
	s_delay_alu instid0(VALU_DEP_1) | instskip(SKIP_2) | instid1(VALU_DEP_1)
	v_sub_nc_u32_e32 v11, v11, v12
	s_waitcnt_depctr 0xfff
	v_dual_mul_f32 v10, v18, v10 :: v_dual_fmac_f32 v13, v19, v19
	v_ldexp_f32 v11, v10, v11
	s_delay_alu instid0(VALU_DEP_2) | instskip(SKIP_1) | instid1(VALU_DEP_1)
	v_cmp_gt_f32_e32 vcc_lo, 0x800000, v13
	v_cndmask_b32_e64 v12, 1.0, 0x4f800000, vcc_lo
	v_mul_f32_e32 v10, v13, v12
	s_delay_alu instid0(VALU_DEP_4) | instskip(NEXT) | instid1(VALU_DEP_1)
	v_mul_f32_e32 v12, v11, v11
	v_fmaak_f32 v13, s15, v12, 0xbc7a590c
	s_delay_alu instid0(VALU_DEP_1) | instskip(NEXT) | instid1(VALU_DEP_4)
	v_fmaak_f32 v13, v12, v13, 0x3d29fb3f
	v_log_f32_e32 v10, v10
	s_waitcnt_depctr 0xfff
	v_mul_f32_e32 v18, 0x3f317217, v10
	v_cmp_gt_f32_e64 s1, 0x7f800000, |v10|
	s_delay_alu instid0(VALU_DEP_2) | instskip(NEXT) | instid1(VALU_DEP_1)
	v_fma_f32 v19, 0x3f317217, v10, -v18
	v_fmac_f32_e32 v19, 0x3377d1cf, v10
	s_delay_alu instid0(VALU_DEP_1) | instskip(NEXT) | instid1(VALU_DEP_1)
	v_add_f32_e32 v18, v18, v19
	v_cndmask_b32_e64 v10, v10, v18, s1
	v_cndmask_b32_e64 v18, 0, 0x41b17218, vcc_lo
	s_delay_alu instid0(VALU_DEP_1) | instskip(NEXT) | instid1(VALU_DEP_1)
	v_dual_sub_f32 v10, v10, v18 :: v_dual_fmaak_f32 v13, v12, v13, 0xbd97d4d7
                                        ; implicit-def: $vgpr18
	v_dual_mul_f32 v10, 0.5, v10 :: v_dual_fmaak_f32 v13, v12, v13, 0x3dd931b2
	s_delay_alu instid0(VALU_DEP_1) | instskip(NEXT) | instid1(VALU_DEP_1)
	v_fmaak_f32 v13, v12, v13, 0xbe1160e6
	v_fmaak_f32 v13, v12, v13, 0x3e4cb8bf
	s_delay_alu instid0(VALU_DEP_1) | instskip(NEXT) | instid1(VALU_DEP_1)
	v_fmaak_f32 v13, v12, v13, 0xbeaaaa62
	v_mul_f32_e32 v12, v12, v13
                                        ; implicit-def: $vgpr13
	s_delay_alu instid0(VALU_DEP_1)
	v_fmac_f32_e32 v11, v11, v12
                                        ; implicit-def: $vgpr12
.LBB63_680:                             ;   in Loop: Header=BB63_418 Depth=1
	s_and_not1_saveexec_b32 s1, s20
	s_cbranch_execz .LBB63_682
; %bb.681:                              ;   in Loop: Header=BB63_418 Depth=1
	v_cvt_f64_f32_e32 v[10:11], v12
	v_cmp_neq_f32_e32 vcc_lo, 0x7f800000, v12
	v_min_f32_e32 v13, v13, v18
	v_frexp_exp_i32_f32_e32 v18, v12
	s_delay_alu instid0(VALU_DEP_2) | instskip(SKIP_1) | instid1(VALU_DEP_2)
	v_frexp_exp_i32_f32_e32 v20, v13
	v_frexp_mant_f32_e32 v13, v13
	v_sub_nc_u32_e32 v18, v20, v18
	v_frexp_exp_i32_f64_e32 v10, v[10:11]
	s_delay_alu instid0(VALU_DEP_1) | instskip(NEXT) | instid1(VALU_DEP_1)
	v_sub_nc_u32_e32 v11, 0, v10
	v_ldexp_f32 v19, |v2|, v11
	v_ldexp_f32 v11, |v3|, v11
	s_delay_alu instid0(VALU_DEP_2) | instskip(NEXT) | instid1(VALU_DEP_1)
	v_mul_f32_e32 v19, v19, v19
	v_fmac_f32_e32 v19, v11, v11
	v_frexp_mant_f32_e32 v11, v12
	s_delay_alu instid0(VALU_DEP_2) | instskip(NEXT) | instid1(VALU_DEP_1)
	v_sqrt_f32_e32 v19, v19
	v_rcp_f32_e32 v11, v11
	s_waitcnt_depctr 0xfff
	v_ldexp_f32 v10, v19, v10
	s_delay_alu instid0(VALU_DEP_1) | instskip(NEXT) | instid1(VALU_DEP_1)
	v_dual_mul_f32 v11, v13, v11 :: v_dual_cndmask_b32 v10, 0x7f800000, v10
	v_ldexp_f32 v11, v11, v18
	s_delay_alu instid0(VALU_DEP_2) | instskip(SKIP_1) | instid1(VALU_DEP_1)
	v_cmp_gt_f32_e32 vcc_lo, 0x800000, v10
	v_cndmask_b32_e64 v12, 1.0, 0x4f800000, vcc_lo
	v_mul_f32_e32 v10, v10, v12
	s_delay_alu instid0(VALU_DEP_1) | instskip(SKIP_2) | instid1(VALU_DEP_1)
	v_log_f32_e32 v10, v10
	s_waitcnt_depctr 0xfff
	v_dual_mul_f32 v13, v11, v11 :: v_dual_mul_f32 v18, 0x3f317217, v10
	v_fmaak_f32 v12, s15, v13, 0xbc7a590c
	s_delay_alu instid0(VALU_DEP_2) | instskip(NEXT) | instid1(VALU_DEP_2)
	v_fma_f32 v19, 0x3f317217, v10, -v18
	v_fmaak_f32 v12, v13, v12, 0x3d29fb3f
	s_delay_alu instid0(VALU_DEP_1) | instskip(NEXT) | instid1(VALU_DEP_1)
	v_fmaak_f32 v12, v13, v12, 0xbd97d4d7
	v_fmaak_f32 v12, v13, v12, 0x3dd931b2
	s_delay_alu instid0(VALU_DEP_1) | instskip(NEXT) | instid1(VALU_DEP_1)
	v_fmaak_f32 v12, v13, v12, 0xbe1160e6
	;; [unrolled: 3-line block ×3, first 2 shown]
	v_dual_fmac_f32 v19, 0x3377d1cf, v10 :: v_dual_mul_f32 v12, v13, v12
	s_delay_alu instid0(VALU_DEP_1) | instskip(SKIP_2) | instid1(VALU_DEP_3)
	v_add_f32_e32 v18, v18, v19
	v_cndmask_b32_e64 v19, 0, 0x41b17218, vcc_lo
	v_cmp_gt_f32_e64 vcc_lo, 0x7f800000, |v10|
	v_dual_fmac_f32 v11, v11, v12 :: v_dual_cndmask_b32 v10, v10, v18
	s_delay_alu instid0(VALU_DEP_1)
	v_sub_f32_e32 v10, v10, v19
.LBB63_682:                             ;   in Loop: Header=BB63_418 Depth=1
	s_or_b32 exec_lo, exec_lo, s1
                                        ; implicit-def: $vgpr13
                                        ; implicit-def: $vgpr18
                                        ; implicit-def: $vgpr12
.LBB63_683:                             ;   in Loop: Header=BB63_418 Depth=1
	s_and_not1_saveexec_b32 s19, s19
	s_cbranch_execz .LBB63_685
; %bb.684:                              ;   in Loop: Header=BB63_418 Depth=1
	v_div_scale_f32 v10, null, 0x402df854, 0x402df854, v3
	v_div_scale_f32 v11, null, 0x402df854, 0x402df854, v2
	v_div_scale_f32 v23, vcc_lo, v3, 0x402df854, v3
	s_delay_alu instid0(VALU_DEP_3) | instskip(NEXT) | instid1(VALU_DEP_2)
	v_rcp_f32_e32 v19, v10
	v_rcp_f32_e32 v20, v11
	v_min_f32_e32 v13, v13, v18
	s_waitcnt_depctr 0xfff
	v_fma_f32 v21, -v10, v19, 1.0
	v_fma_f32 v22, -v11, v20, 1.0
	s_delay_alu instid0(VALU_DEP_1) | instskip(SKIP_1) | instid1(VALU_DEP_2)
	v_dual_fmac_f32 v19, v21, v19 :: v_dual_fmac_f32 v20, v22, v20
	v_div_scale_f32 v21, s1, v2, 0x402df854, v2
	v_mul_f32_e32 v22, v23, v19
	s_waitcnt lgkmcnt(0)
	s_delay_alu instid0(VALU_DEP_2) | instskip(NEXT) | instid1(VALU_DEP_2)
	v_mul_f32_e32 v24, v21, v20
	v_fma_f32 v25, -v10, v22, v23
	s_delay_alu instid0(VALU_DEP_2) | instskip(NEXT) | instid1(VALU_DEP_2)
	v_fma_f32 v26, -v11, v24, v21
	v_fmac_f32_e32 v22, v25, v19
	s_delay_alu instid0(VALU_DEP_2) | instskip(NEXT) | instid1(VALU_DEP_2)
	v_fmac_f32_e32 v24, v26, v20
	v_fma_f32 v10, -v10, v22, v23
	s_delay_alu instid0(VALU_DEP_2) | instskip(NEXT) | instid1(VALU_DEP_2)
	v_fma_f32 v11, -v11, v24, v21
	v_div_fmas_f32 v10, v10, v19, v22
	s_mov_b32 vcc_lo, s1
	s_delay_alu instid0(VALU_DEP_2) | instskip(NEXT) | instid1(VALU_DEP_2)
	v_div_fmas_f32 v11, v11, v20, v24
	v_div_fixup_f32 v19, v10, 0x402df854, v3
	s_delay_alu instid0(VALU_DEP_2) | instskip(NEXT) | instid1(VALU_DEP_1)
	v_div_fixup_f32 v20, v11, 0x402df854, v2
	v_max_f32_e64 v21, |v19|, |v20|
	s_delay_alu instid0(VALU_DEP_1) | instskip(SKIP_1) | instid1(VALU_DEP_2)
	v_cvt_f64_f32_e32 v[10:11], v21
	v_cmp_neq_f32_e32 vcc_lo, 0x7f800000, v21
	v_frexp_exp_i32_f64_e32 v10, v[10:11]
	s_delay_alu instid0(VALU_DEP_1) | instskip(NEXT) | instid1(VALU_DEP_1)
	v_sub_nc_u32_e32 v11, 0, v10
	v_ldexp_f32 v20, |v20|, v11
	v_ldexp_f32 v11, |v19|, v11
	s_delay_alu instid0(VALU_DEP_2) | instskip(NEXT) | instid1(VALU_DEP_1)
	v_mul_f32_e32 v19, v20, v20
	v_fmac_f32_e32 v19, v11, v11
	s_delay_alu instid0(VALU_DEP_1) | instskip(SKIP_2) | instid1(VALU_DEP_2)
	v_sqrt_f32_e32 v11, v19
	v_frexp_mant_f32_e32 v19, v12
	v_frexp_exp_i32_f32_e32 v12, v12
	v_rcp_f32_e32 v18, v19
	s_waitcnt_depctr 0xfff
	v_ldexp_f32 v10, v11, v10
	v_frexp_exp_i32_f32_e32 v11, v13
	v_frexp_mant_f32_e32 v13, v13
	s_delay_alu instid0(VALU_DEP_2) | instskip(NEXT) | instid1(VALU_DEP_2)
	v_sub_nc_u32_e32 v11, v11, v12
	v_mul_f32_e32 v12, v13, v18
	s_delay_alu instid0(VALU_DEP_1) | instskip(SKIP_1) | instid1(VALU_DEP_1)
	v_ldexp_f32 v11, v12, v11
	v_cndmask_b32_e32 v10, 0x7f800000, v10, vcc_lo
	v_cmp_gt_f32_e32 vcc_lo, 0x800000, v10
	v_cndmask_b32_e64 v13, 1.0, 0x4f800000, vcc_lo
	s_delay_alu instid0(VALU_DEP_1) | instskip(NEXT) | instid1(VALU_DEP_1)
	v_mul_f32_e32 v10, v10, v13
	v_log_f32_e32 v10, v10
	s_waitcnt_depctr 0xfff
	v_mul_f32_e32 v18, 0x3f317217, v10
	s_delay_alu instid0(VALU_DEP_1) | instskip(NEXT) | instid1(VALU_DEP_1)
	v_fma_f32 v19, 0x3f317217, v10, -v18
	v_dual_mul_f32 v12, v11, v11 :: v_dual_fmac_f32 v19, 0x3377d1cf, v10
	s_delay_alu instid0(VALU_DEP_1) | instskip(NEXT) | instid1(VALU_DEP_1)
	v_dual_fmaak_f32 v13, s15, v12, 0xbc7a590c :: v_dual_add_f32 v18, v18, v19
	v_fmaak_f32 v13, v12, v13, 0x3d29fb3f
	v_cndmask_b32_e64 v19, 0, 0x41b17218, vcc_lo
	v_cmp_gt_f32_e64 vcc_lo, 0x7f800000, |v10|
	s_delay_alu instid0(VALU_DEP_3) | instskip(NEXT) | instid1(VALU_DEP_1)
	v_dual_fmaak_f32 v13, v12, v13, 0xbd97d4d7 :: v_dual_cndmask_b32 v10, v10, v18
	v_dual_fmaak_f32 v13, v12, v13, 0x3dd931b2 :: v_dual_sub_f32 v10, v10, v19
	s_delay_alu instid0(VALU_DEP_1) | instskip(NEXT) | instid1(VALU_DEP_1)
	v_dual_fmaak_f32 v13, v12, v13, 0xbe1160e6 :: v_dual_add_f32 v10, 1.0, v10
	v_fmaak_f32 v13, v12, v13, 0x3e4cb8bf
	s_delay_alu instid0(VALU_DEP_1) | instskip(NEXT) | instid1(VALU_DEP_1)
	v_fmaak_f32 v13, v12, v13, 0xbeaaaa62
	v_mul_f32_e32 v12, v12, v13
	s_delay_alu instid0(VALU_DEP_1)
	v_fmac_f32_e32 v11, v11, v12
.LBB63_685:                             ;   in Loop: Header=BB63_418 Depth=1
	s_or_b32 exec_lo, exec_lo, s19
	s_delay_alu instid0(VALU_DEP_1) | instskip(NEXT) | instid1(VALU_DEP_1)
	v_sub_f32_e32 v12, 0x3fc90fdb, v11
                                        ; implicit-def: $vgpr13
                                        ; implicit-def: $vgpr18
	v_cndmask_b32_e64 v11, v11, v12, s0
                                        ; implicit-def: $vgpr12
.LBB63_686:                             ;   in Loop: Header=BB63_418 Depth=1
	s_and_not1_saveexec_b32 s18, s18
	s_cbranch_execz .LBB63_696
; %bb.687:                              ;   in Loop: Header=BB63_418 Depth=1
	v_cmp_lt_f32_e64 s0, |v3|, |v2|
                                        ; implicit-def: $vgpr10
                                        ; implicit-def: $vgpr11
	s_mov_b32 s1, exec_lo
	s_delay_alu instid0(VALU_DEP_1) | instskip(NEXT) | instid1(VALU_DEP_1)
	v_cndmask_b32_e64 v19, |v3|, |v2|, s0
	v_cmpx_nlt_f32_e32 0x7effffff, v19
	s_xor_b32 s19, exec_lo, s1
	s_cbranch_execz .LBB63_693
; %bb.688:                              ;   in Loop: Header=BB63_418 Depth=1
	v_cndmask_b32_e64 v20, |v2|, |v3|, s0
	v_cmp_nlt_f32_e32 vcc_lo, 0x5e000000, v19
                                        ; implicit-def: $vgpr10
                                        ; implicit-def: $vgpr11
	s_delay_alu instid0(VALU_DEP_2) | instskip(NEXT) | instid1(VALU_DEP_1)
	v_cmp_ngt_f32_e64 s1, 0x20000000, v20
	s_and_b32 s1, vcc_lo, s1
	s_delay_alu instid0(SALU_CYCLE_1) | instskip(NEXT) | instid1(SALU_CYCLE_1)
	s_and_saveexec_b32 s20, s1
	s_xor_b32 s20, exec_lo, s20
	s_cbranch_execz .LBB63_690
; %bb.689:                              ;   in Loop: Header=BB63_418 Depth=1
	v_frexp_mant_f32_e32 v10, v12
	v_min_f32_e32 v11, v13, v18
	v_frexp_exp_i32_f32_e32 v12, v12
	s_delay_alu instid0(VALU_DEP_3) | instskip(NEXT) | instid1(VALU_DEP_2)
	v_rcp_f32_e32 v10, v10
	v_frexp_mant_f32_e32 v18, v11
	v_mul_f32_e32 v13, v20, v20
	v_frexp_exp_i32_f32_e32 v11, v11
	s_delay_alu instid0(VALU_DEP_1) | instskip(SKIP_2) | instid1(VALU_DEP_1)
	v_sub_nc_u32_e32 v11, v11, v12
	s_waitcnt_depctr 0xfff
	v_dual_mul_f32 v10, v18, v10 :: v_dual_fmac_f32 v13, v19, v19
	v_ldexp_f32 v11, v10, v11
	s_delay_alu instid0(VALU_DEP_2) | instskip(SKIP_1) | instid1(VALU_DEP_1)
	v_cmp_gt_f32_e32 vcc_lo, 0x800000, v13
	v_cndmask_b32_e64 v12, 1.0, 0x4f800000, vcc_lo
	v_mul_f32_e32 v10, v13, v12
	s_delay_alu instid0(VALU_DEP_4) | instskip(NEXT) | instid1(VALU_DEP_1)
	v_mul_f32_e32 v12, v11, v11
	v_fmaak_f32 v13, s15, v12, 0xbc7a590c
	s_delay_alu instid0(VALU_DEP_1) | instskip(NEXT) | instid1(VALU_DEP_4)
	v_fmaak_f32 v13, v12, v13, 0x3d29fb3f
	v_log_f32_e32 v10, v10
	s_waitcnt_depctr 0xfff
	v_mul_f32_e32 v18, 0x3f317217, v10
	v_cmp_gt_f32_e64 s1, 0x7f800000, |v10|
	s_delay_alu instid0(VALU_DEP_2) | instskip(NEXT) | instid1(VALU_DEP_1)
	v_fma_f32 v19, 0x3f317217, v10, -v18
	v_fmac_f32_e32 v19, 0x3377d1cf, v10
	s_delay_alu instid0(VALU_DEP_1) | instskip(NEXT) | instid1(VALU_DEP_1)
	v_add_f32_e32 v18, v18, v19
	v_cndmask_b32_e64 v10, v10, v18, s1
	v_cndmask_b32_e64 v18, 0, 0x41b17218, vcc_lo
	s_delay_alu instid0(VALU_DEP_1) | instskip(NEXT) | instid1(VALU_DEP_1)
	v_dual_sub_f32 v10, v10, v18 :: v_dual_fmaak_f32 v13, v12, v13, 0xbd97d4d7
                                        ; implicit-def: $vgpr18
	v_dual_mul_f32 v10, 0.5, v10 :: v_dual_fmaak_f32 v13, v12, v13, 0x3dd931b2
	s_delay_alu instid0(VALU_DEP_1) | instskip(NEXT) | instid1(VALU_DEP_1)
	v_fmaak_f32 v13, v12, v13, 0xbe1160e6
	v_fmaak_f32 v13, v12, v13, 0x3e4cb8bf
	s_delay_alu instid0(VALU_DEP_1) | instskip(NEXT) | instid1(VALU_DEP_1)
	v_fmaak_f32 v13, v12, v13, 0xbeaaaa62
	v_mul_f32_e32 v12, v12, v13
                                        ; implicit-def: $vgpr13
	s_delay_alu instid0(VALU_DEP_1)
	v_fmac_f32_e32 v11, v11, v12
                                        ; implicit-def: $vgpr12
.LBB63_690:                             ;   in Loop: Header=BB63_418 Depth=1
	s_and_not1_saveexec_b32 s1, s20
	s_cbranch_execz .LBB63_692
; %bb.691:                              ;   in Loop: Header=BB63_418 Depth=1
	v_cvt_f64_f32_e32 v[10:11], v12
	v_cmp_neq_f32_e32 vcc_lo, 0x7f800000, v12
	v_min_f32_e32 v13, v13, v18
	v_frexp_exp_i32_f32_e32 v18, v12
	s_delay_alu instid0(VALU_DEP_2) | instskip(SKIP_1) | instid1(VALU_DEP_2)
	v_frexp_exp_i32_f32_e32 v20, v13
	v_frexp_mant_f32_e32 v13, v13
	v_sub_nc_u32_e32 v18, v20, v18
	v_frexp_exp_i32_f64_e32 v10, v[10:11]
	s_delay_alu instid0(VALU_DEP_1) | instskip(NEXT) | instid1(VALU_DEP_1)
	v_sub_nc_u32_e32 v11, 0, v10
	v_ldexp_f32 v19, |v2|, v11
	v_ldexp_f32 v11, |v3|, v11
	s_delay_alu instid0(VALU_DEP_2) | instskip(NEXT) | instid1(VALU_DEP_1)
	v_mul_f32_e32 v19, v19, v19
	v_fmac_f32_e32 v19, v11, v11
	v_frexp_mant_f32_e32 v11, v12
	s_delay_alu instid0(VALU_DEP_2) | instskip(NEXT) | instid1(VALU_DEP_1)
	v_sqrt_f32_e32 v19, v19
	v_rcp_f32_e32 v11, v11
	s_waitcnt_depctr 0xfff
	v_ldexp_f32 v10, v19, v10
	s_delay_alu instid0(VALU_DEP_1) | instskip(NEXT) | instid1(VALU_DEP_1)
	v_dual_mul_f32 v11, v13, v11 :: v_dual_cndmask_b32 v10, 0x7f800000, v10
	v_ldexp_f32 v11, v11, v18
	s_delay_alu instid0(VALU_DEP_2) | instskip(SKIP_1) | instid1(VALU_DEP_1)
	v_cmp_gt_f32_e32 vcc_lo, 0x800000, v10
	v_cndmask_b32_e64 v12, 1.0, 0x4f800000, vcc_lo
	v_mul_f32_e32 v10, v10, v12
	s_delay_alu instid0(VALU_DEP_1) | instskip(SKIP_2) | instid1(VALU_DEP_1)
	v_log_f32_e32 v10, v10
	s_waitcnt_depctr 0xfff
	v_dual_mul_f32 v13, v11, v11 :: v_dual_mul_f32 v18, 0x3f317217, v10
	v_fmaak_f32 v12, s15, v13, 0xbc7a590c
	s_delay_alu instid0(VALU_DEP_2) | instskip(NEXT) | instid1(VALU_DEP_2)
	v_fma_f32 v19, 0x3f317217, v10, -v18
	v_fmaak_f32 v12, v13, v12, 0x3d29fb3f
	s_delay_alu instid0(VALU_DEP_1) | instskip(NEXT) | instid1(VALU_DEP_1)
	v_fmaak_f32 v12, v13, v12, 0xbd97d4d7
	v_fmaak_f32 v12, v13, v12, 0x3dd931b2
	s_delay_alu instid0(VALU_DEP_1) | instskip(NEXT) | instid1(VALU_DEP_1)
	v_fmaak_f32 v12, v13, v12, 0xbe1160e6
	;; [unrolled: 3-line block ×3, first 2 shown]
	v_dual_fmac_f32 v19, 0x3377d1cf, v10 :: v_dual_mul_f32 v12, v13, v12
	s_delay_alu instid0(VALU_DEP_1) | instskip(SKIP_2) | instid1(VALU_DEP_3)
	v_add_f32_e32 v18, v18, v19
	v_cndmask_b32_e64 v19, 0, 0x41b17218, vcc_lo
	v_cmp_gt_f32_e64 vcc_lo, 0x7f800000, |v10|
	v_dual_fmac_f32 v11, v11, v12 :: v_dual_cndmask_b32 v10, v10, v18
	s_delay_alu instid0(VALU_DEP_1)
	v_sub_f32_e32 v10, v10, v19
.LBB63_692:                             ;   in Loop: Header=BB63_418 Depth=1
	s_or_b32 exec_lo, exec_lo, s1
                                        ; implicit-def: $vgpr13
                                        ; implicit-def: $vgpr18
                                        ; implicit-def: $vgpr12
.LBB63_693:                             ;   in Loop: Header=BB63_418 Depth=1
	s_and_not1_saveexec_b32 s19, s19
	s_cbranch_execz .LBB63_695
; %bb.694:                              ;   in Loop: Header=BB63_418 Depth=1
	v_div_scale_f32 v10, null, 0xc02df854, 0xc02df854, v3
	v_div_scale_f32 v11, null, 0xc02df854, 0xc02df854, v2
	v_div_scale_f32 v23, vcc_lo, v3, 0xc02df854, v3
	s_delay_alu instid0(VALU_DEP_3) | instskip(NEXT) | instid1(VALU_DEP_2)
	v_rcp_f32_e32 v19, v10
	v_rcp_f32_e32 v20, v11
	v_min_f32_e32 v13, v13, v18
	s_waitcnt_depctr 0xfff
	v_fma_f32 v21, -v10, v19, 1.0
	v_fma_f32 v22, -v11, v20, 1.0
	s_delay_alu instid0(VALU_DEP_1) | instskip(SKIP_1) | instid1(VALU_DEP_2)
	v_dual_fmac_f32 v19, v21, v19 :: v_dual_fmac_f32 v20, v22, v20
	v_div_scale_f32 v21, s1, v2, 0xc02df854, v2
	v_mul_f32_e32 v22, v23, v19
	s_waitcnt lgkmcnt(0)
	s_delay_alu instid0(VALU_DEP_2) | instskip(NEXT) | instid1(VALU_DEP_2)
	v_mul_f32_e32 v24, v21, v20
	v_fma_f32 v25, -v10, v22, v23
	s_delay_alu instid0(VALU_DEP_2) | instskip(NEXT) | instid1(VALU_DEP_2)
	v_fma_f32 v26, -v11, v24, v21
	v_fmac_f32_e32 v22, v25, v19
	s_delay_alu instid0(VALU_DEP_2) | instskip(NEXT) | instid1(VALU_DEP_2)
	v_fmac_f32_e32 v24, v26, v20
	v_fma_f32 v10, -v10, v22, v23
	s_delay_alu instid0(VALU_DEP_2) | instskip(NEXT) | instid1(VALU_DEP_2)
	v_fma_f32 v11, -v11, v24, v21
	v_div_fmas_f32 v10, v10, v19, v22
	s_mov_b32 vcc_lo, s1
	s_delay_alu instid0(VALU_DEP_2) | instskip(NEXT) | instid1(VALU_DEP_2)
	v_div_fmas_f32 v11, v11, v20, v24
	v_div_fixup_f32 v19, v10, 0xc02df854, v3
	s_delay_alu instid0(VALU_DEP_2) | instskip(NEXT) | instid1(VALU_DEP_1)
	v_div_fixup_f32 v20, v11, 0xc02df854, v2
	v_max_f32_e64 v21, |v19|, |v20|
	s_delay_alu instid0(VALU_DEP_1) | instskip(SKIP_1) | instid1(VALU_DEP_2)
	v_cvt_f64_f32_e32 v[10:11], v21
	v_cmp_neq_f32_e32 vcc_lo, 0x7f800000, v21
	v_frexp_exp_i32_f64_e32 v10, v[10:11]
	s_delay_alu instid0(VALU_DEP_1) | instskip(NEXT) | instid1(VALU_DEP_1)
	v_sub_nc_u32_e32 v11, 0, v10
	v_ldexp_f32 v20, |v20|, v11
	v_ldexp_f32 v11, |v19|, v11
	s_delay_alu instid0(VALU_DEP_2) | instskip(NEXT) | instid1(VALU_DEP_1)
	v_mul_f32_e32 v19, v20, v20
	v_fmac_f32_e32 v19, v11, v11
	s_delay_alu instid0(VALU_DEP_1) | instskip(SKIP_2) | instid1(VALU_DEP_2)
	v_sqrt_f32_e32 v11, v19
	v_frexp_mant_f32_e32 v19, v12
	v_frexp_exp_i32_f32_e32 v12, v12
	v_rcp_f32_e32 v18, v19
	s_waitcnt_depctr 0xfff
	v_ldexp_f32 v10, v11, v10
	v_frexp_exp_i32_f32_e32 v11, v13
	v_frexp_mant_f32_e32 v13, v13
	s_delay_alu instid0(VALU_DEP_2) | instskip(NEXT) | instid1(VALU_DEP_2)
	v_sub_nc_u32_e32 v11, v11, v12
	v_mul_f32_e32 v12, v13, v18
	s_delay_alu instid0(VALU_DEP_1) | instskip(SKIP_1) | instid1(VALU_DEP_1)
	v_ldexp_f32 v11, v12, v11
	v_cndmask_b32_e32 v10, 0x7f800000, v10, vcc_lo
	v_cmp_gt_f32_e32 vcc_lo, 0x800000, v10
	v_cndmask_b32_e64 v13, 1.0, 0x4f800000, vcc_lo
	s_delay_alu instid0(VALU_DEP_1) | instskip(NEXT) | instid1(VALU_DEP_1)
	v_mul_f32_e32 v10, v10, v13
	v_log_f32_e32 v10, v10
	s_waitcnt_depctr 0xfff
	v_mul_f32_e32 v18, 0x3f317217, v10
	s_delay_alu instid0(VALU_DEP_1) | instskip(NEXT) | instid1(VALU_DEP_1)
	v_fma_f32 v19, 0x3f317217, v10, -v18
	v_dual_mul_f32 v12, v11, v11 :: v_dual_fmac_f32 v19, 0x3377d1cf, v10
	s_delay_alu instid0(VALU_DEP_1) | instskip(NEXT) | instid1(VALU_DEP_1)
	v_dual_fmaak_f32 v13, s15, v12, 0xbc7a590c :: v_dual_add_f32 v18, v18, v19
	v_fmaak_f32 v13, v12, v13, 0x3d29fb3f
	v_cndmask_b32_e64 v19, 0, 0x41b17218, vcc_lo
	v_cmp_gt_f32_e64 vcc_lo, 0x7f800000, |v10|
	s_delay_alu instid0(VALU_DEP_3) | instskip(NEXT) | instid1(VALU_DEP_1)
	v_dual_fmaak_f32 v13, v12, v13, 0xbd97d4d7 :: v_dual_cndmask_b32 v10, v10, v18
	v_dual_fmaak_f32 v13, v12, v13, 0x3dd931b2 :: v_dual_sub_f32 v10, v10, v19
	s_delay_alu instid0(VALU_DEP_1) | instskip(NEXT) | instid1(VALU_DEP_1)
	v_dual_fmaak_f32 v13, v12, v13, 0xbe1160e6 :: v_dual_add_f32 v10, 1.0, v10
	v_fmaak_f32 v13, v12, v13, 0x3e4cb8bf
	s_delay_alu instid0(VALU_DEP_1) | instskip(NEXT) | instid1(VALU_DEP_1)
	v_fmaak_f32 v13, v12, v13, 0xbeaaaa62
	v_mul_f32_e32 v12, v12, v13
	s_delay_alu instid0(VALU_DEP_1)
	v_fmac_f32_e32 v11, v11, v12
.LBB63_695:                             ;   in Loop: Header=BB63_418 Depth=1
	s_or_b32 exec_lo, exec_lo, s19
	s_delay_alu instid0(VALU_DEP_1) | instskip(NEXT) | instid1(VALU_DEP_1)
	v_sub_f32_e32 v12, 0x3fc90fdb, v11
	v_cndmask_b32_e64 v11, v11, v12, s0
.LBB63_696:                             ;   in Loop: Header=BB63_418 Depth=1
	s_or_b32 exec_lo, exec_lo, s18
	v_cmp_neq_f32_e32 vcc_lo, 0, v2
	v_cmp_class_f32_e64 s0, v3, 0x204
	v_cmp_class_f32_e64 s1, v2, 0x204
	v_dual_add_f32 v10, 0x3f317218, v10 :: v_dual_cndmask_b32 v11, 0, v11
	v_cmp_o_f32_e32 vcc_lo, v2, v3
	s_delay_alu instid0(VALU_DEP_3)
	s_and_b32 s0, s1, s0
	s_delay_alu instid0(VALU_DEP_2) | instid1(SALU_CYCLE_1)
	v_cndmask_b32_e64 v11, v11, 0x3f490fdb, s0
	s_delay_alu instid0(VALU_DEP_1) | instskip(SKIP_1) | instid1(VALU_DEP_2)
	v_cndmask_b32_e32 v12, 0x7fc00000, v11, vcc_lo
	v_bfi_b32 v11, 0x7fffffff, v10, v3
	v_bfi_b32 v10, 0x7fffffff, v12, v2
.LBB63_697:                             ;   in Loop: Header=BB63_418 Depth=1
	s_or_b32 exec_lo, exec_lo, s17
.LBB63_698:                             ;   in Loop: Header=BB63_418 Depth=1
	s_and_not1_saveexec_b32 s0, s16
	s_cbranch_execz .LBB63_712
; %bb.699:                              ;   in Loop: Header=BB63_418 Depth=1
	v_cmp_neq_f32_e64 s1, 0x7f800000, |v3|
                                        ; implicit-def: $vgpr10
	s_delay_alu instid0(VALU_DEP_1) | instskip(NEXT) | instid1(SALU_CYCLE_1)
	s_and_saveexec_b32 s16, s1
	s_xor_b32 s1, exec_lo, s16
	s_cbranch_execz .LBB63_709
; %bb.700:                              ;   in Loop: Header=BB63_418 Depth=1
	v_cmp_neq_f32_e64 s16, 0x7f800000, |v2|
                                        ; implicit-def: $vgpr10
	s_delay_alu instid0(VALU_DEP_1) | instskip(NEXT) | instid1(SALU_CYCLE_1)
	s_and_saveexec_b32 s17, s16
	s_xor_b32 s16, exec_lo, s17
	s_cbranch_execz .LBB63_706
; %bb.701:                              ;   in Loop: Header=BB63_418 Depth=1
	s_mov_b32 s17, exec_lo
                                        ; implicit-def: $vgpr10
	v_cmpx_neq_f32_e32 0, v2
	s_xor_b32 s17, exec_lo, s17
; %bb.702:                              ;   in Loop: Header=BB63_418 Depth=1
	v_add_f32_e32 v10, 0, v3
	s_delay_alu instid0(VALU_DEP_1)
	v_add_f32_e32 v10, v2, v10
; %bb.703:                              ;   in Loop: Header=BB63_418 Depth=1
	s_or_saveexec_b32 s17, s17
	s_delay_alu instid0(VALU_DEP_1)
	v_mov_b32_e32 v11, v10
	s_xor_b32 exec_lo, exec_lo, s17
; %bb.704:                              ;   in Loop: Header=BB63_418 Depth=1
	v_dual_add_f32 v11, v3, v3 :: v_dual_mov_b32 v10, v2
; %bb.705:                              ;   in Loop: Header=BB63_418 Depth=1
	s_or_b32 exec_lo, exec_lo, s17
.LBB63_706:                             ;   in Loop: Header=BB63_418 Depth=1
	s_and_not1_saveexec_b32 s16, s16
; %bb.707:                              ;   in Loop: Header=BB63_418 Depth=1
	v_dual_add_f32 v10, v3, v3 :: v_dual_mov_b32 v11, v2
; %bb.708:                              ;   in Loop: Header=BB63_418 Depth=1
	s_or_b32 exec_lo, exec_lo, s16
.LBB63_709:                             ;   in Loop: Header=BB63_418 Depth=1
	s_and_not1_saveexec_b32 s1, s1
; %bb.710:                              ;   in Loop: Header=BB63_418 Depth=1
	v_dual_add_f32 v10, v2, v2 :: v_dual_mov_b32 v11, v3
; %bb.711:                              ;   in Loop: Header=BB63_418 Depth=1
	s_or_b32 exec_lo, exec_lo, s1
.LBB63_712:                             ;   in Loop: Header=BB63_418 Depth=1
	s_delay_alu instid0(SALU_CYCLE_1) | instskip(SKIP_2) | instid1(VALU_DEP_1)
	s_or_b32 exec_lo, exec_lo, s0
	v_cmp_o_f32_e32 vcc_lo, v5, v5
	v_cmp_o_f32_e64 s0, v4, v4
	s_and_b32 s0, vcc_lo, s0
	s_delay_alu instid0(SALU_CYCLE_1) | instskip(NEXT) | instid1(SALU_CYCLE_1)
	s_and_saveexec_b32 s1, s0
	s_xor_b32 s16, exec_lo, s1
	s_cbranch_execz .LBB63_796
; %bb.713:                              ;   in Loop: Header=BB63_418 Depth=1
	v_max_f32_e64 v2, |v5|, |v5|
	v_max_f32_e64 v18, |v4|, |v4|
	s_mov_b32 s0, exec_lo
	s_delay_alu instid0(VALU_DEP_1) | instskip(NEXT) | instid1(VALU_DEP_1)
	v_max_f32_e32 v3, v18, v2
	v_cmpx_nlt_f32_e32 0x4b000000, v3
	s_xor_b32 s17, exec_lo, s0
	s_cbranch_execz .LBB63_773
; %bb.714:                              ;   in Loop: Header=BB63_418 Depth=1
	v_cmp_neq_f32_e32 vcc_lo, 0, v5
	v_cmp_neq_f32_e64 s0, 0, v4
	s_delay_alu instid0(VALU_DEP_1) | instskip(NEXT) | instid1(SALU_CYCLE_1)
	s_or_b32 s0, vcc_lo, s0
	s_and_saveexec_b32 s18, s0
	s_cbranch_execz .LBB63_772
; %bb.715:                              ;   in Loop: Header=BB63_418 Depth=1
	v_dual_mov_b32 v13, s5 :: v_dual_mov_b32 v12, s4
	v_cmp_ngt_f32_e64 s0, 0x395db3d7, |v5|
	v_cmp_ngt_f32_e64 s1, 0x395db3d7, |v4|
	flat_store_b32 v[12:13], v16 dlc
	s_waitcnt_vscnt null, 0x0
	flat_load_b32 v3, v[12:13] glc dlc
	s_waitcnt vmcnt(0)
	v_mov_b32_e32 v13, s7
	s_or_b32 s0, s1, s0
	s_waitcnt lgkmcnt(0)
	v_dual_mov_b32 v12, s6 :: v_dual_add_f32 v3, 1.0, v3
	flat_store_b32 v[12:13], v3 dlc
	s_waitcnt_vscnt null, 0x0
	flat_load_b32 v3, v[12:13] glc dlc
	s_waitcnt vmcnt(0)
	s_and_saveexec_b32 s19, s0
	s_cbranch_execz .LBB63_771
; %bb.716:                              ;   in Loop: Header=BB63_418 Depth=1
	v_add_f32_e64 v12, |v4|, 1.0
	s_waitcnt lgkmcnt(0)
	v_add_f32_e64 v3, |v4|, -1.0
	s_mov_b32 s0, exec_lo
	s_delay_alu instid0(VALU_DEP_2) | instskip(NEXT) | instid1(VALU_DEP_2)
	v_max_f32_e64 v13, v2, |v12|
	v_max_f32_e64 v2, v2, |v3|
	s_delay_alu instid0(VALU_DEP_2) | instskip(NEXT) | instid1(VALU_DEP_2)
	v_cvt_f64_f32_e32 v[18:19], v13
	v_cvt_f64_f32_e32 v[20:21], v2
	v_cmp_neq_f32_e32 vcc_lo, 0x7f800000, v13
	s_delay_alu instid0(VALU_DEP_3) | instskip(NEXT) | instid1(VALU_DEP_3)
	v_frexp_exp_i32_f64_e32 v18, v[18:19]
	v_frexp_exp_i32_f64_e32 v19, v[20:21]
	s_delay_alu instid0(VALU_DEP_2) | instskip(NEXT) | instid1(VALU_DEP_2)
	v_sub_nc_u32_e32 v20, 0, v18
	v_sub_nc_u32_e32 v21, 0, v19
	s_delay_alu instid0(VALU_DEP_2) | instskip(NEXT) | instid1(VALU_DEP_2)
	v_ldexp_f32 v22, |v12|, v20
	v_ldexp_f32 v23, |v3|, v21
	;; [unrolled: 1-line block ×4, first 2 shown]
	s_delay_alu instid0(VALU_DEP_3) | instskip(NEXT) | instid1(VALU_DEP_1)
	v_dual_mul_f32 v22, v22, v22 :: v_dual_mul_f32 v23, v23, v23
	v_dual_fmac_f32 v22, v20, v20 :: v_dual_fmac_f32 v23, v21, v21
	s_delay_alu instid0(VALU_DEP_1) | instskip(NEXT) | instid1(VALU_DEP_1)
	v_sqrt_f32_e32 v20, v22
	v_sqrt_f32_e32 v21, v23
	s_waitcnt_depctr 0xfff
	v_ldexp_f32 v18, v20, v18
	v_ldexp_f32 v20, v21, v19
	s_delay_alu instid0(VALU_DEP_2) | instskip(SKIP_1) | instid1(VALU_DEP_3)
	v_cndmask_b32_e32 v19, 0x7f800000, v18, vcc_lo
	v_cmp_neq_f32_e32 vcc_lo, 0x7f800000, v2
	v_cndmask_b32_e32 v13, 0x7f800000, v20, vcc_lo
                                        ; implicit-def: $vgpr20
	s_delay_alu instid0(VALU_DEP_1) | instskip(NEXT) | instid1(VALU_DEP_1)
	v_add_f32_e32 v2, v19, v13
	v_mul_f32_e32 v2, 0.5, v2
	s_delay_alu instid0(VALU_DEP_1) | instskip(SKIP_1) | instid1(VALU_DEP_1)
	v_cmp_ngt_f32_e32 vcc_lo, 1.0, v2
	v_cndmask_b32_e32 v2, 1.0, v2, vcc_lo
	v_cmpx_ngt_f32_e32 0x41200000, v2
	s_xor_b32 s1, exec_lo, s0
	s_cbranch_execz .LBB63_718
; %bb.717:                              ;   in Loop: Header=BB63_418 Depth=1
	v_fma_f32 v18, v2, v2, -1.0
	s_delay_alu instid0(VALU_DEP_1) | instskip(SKIP_1) | instid1(VALU_DEP_2)
	v_mul_f32_e32 v20, 0x4f800000, v18
	v_cmp_gt_f32_e32 vcc_lo, 0xf800000, v18
	v_cndmask_b32_e32 v18, v18, v20, vcc_lo
	s_delay_alu instid0(VALU_DEP_1) | instskip(SKIP_3) | instid1(VALU_DEP_2)
	v_sqrt_f32_e32 v20, v18
	s_waitcnt_depctr 0xfff
	v_add_nc_u32_e32 v21, -1, v20
	v_add_nc_u32_e32 v22, 1, v20
	v_fma_f32 v23, -v21, v20, v18
	s_delay_alu instid0(VALU_DEP_2) | instskip(NEXT) | instid1(VALU_DEP_2)
	v_fma_f32 v24, -v22, v20, v18
	v_cmp_ge_f32_e64 s0, 0, v23
	s_delay_alu instid0(VALU_DEP_1) | instskip(NEXT) | instid1(VALU_DEP_3)
	v_cndmask_b32_e64 v20, v20, v21, s0
	v_cmp_lt_f32_e64 s0, 0, v24
	s_delay_alu instid0(VALU_DEP_1) | instskip(NEXT) | instid1(VALU_DEP_1)
	v_cndmask_b32_e64 v20, v20, v22, s0
	v_mul_f32_e32 v21, 0x37800000, v20
	s_delay_alu instid0(VALU_DEP_1) | instskip(SKIP_1) | instid1(VALU_DEP_2)
	v_cndmask_b32_e32 v20, v20, v21, vcc_lo
	v_cmp_class_f32_e64 vcc_lo, v18, 0x260
	v_cndmask_b32_e32 v18, v20, v18, vcc_lo
	s_delay_alu instid0(VALU_DEP_1) | instskip(NEXT) | instid1(VALU_DEP_1)
	v_add_f32_e32 v18, v2, v18
	v_cmp_gt_f32_e32 vcc_lo, 0x800000, v18
	s_delay_alu instid0(VALU_DEP_4) | instskip(NEXT) | instid1(VALU_DEP_1)
	v_cndmask_b32_e64 v20, 1.0, 0x4f800000, vcc_lo
	v_mul_f32_e32 v18, v18, v20
	s_delay_alu instid0(VALU_DEP_1) | instskip(SKIP_3) | instid1(VALU_DEP_2)
	v_log_f32_e32 v18, v18
	s_waitcnt_depctr 0xfff
	v_mul_f32_e32 v20, 0x3f317217, v18
	v_cmp_gt_f32_e64 s0, 0x7f800000, |v18|
	v_fma_f32 v21, 0x3f317217, v18, -v20
	s_delay_alu instid0(VALU_DEP_1) | instskip(NEXT) | instid1(VALU_DEP_1)
	v_fmac_f32_e32 v21, 0x3377d1cf, v18
	v_add_f32_e32 v20, v20, v21
	s_delay_alu instid0(VALU_DEP_1) | instskip(SKIP_1) | instid1(VALU_DEP_1)
	v_cndmask_b32_e64 v18, v18, v20, s0
	v_cndmask_b32_e64 v20, 0, 0x41b17218, vcc_lo
	v_sub_f32_e32 v20, v18, v20
.LBB63_718:                             ;   in Loop: Header=BB63_418 Depth=1
	s_or_saveexec_b32 s1, s1
	v_and_b32_e32 v18, 0x7fffffff, v5
	s_xor_b32 exec_lo, exec_lo, s1
	s_cbranch_execz .LBB63_740
; %bb.719:                              ;   in Loop: Header=BB63_418 Depth=1
	v_cmp_neq_f32_e64 s0, |v4|, 1.0
	v_cmp_ngt_f32_e64 s20, 0x25000000, |v5|
                                        ; implicit-def: $vgpr20
	s_delay_alu instid0(VALU_DEP_1) | instskip(NEXT) | instid1(SALU_CYCLE_1)
	s_or_b32 s0, s0, s20
	s_and_saveexec_b32 s20, s0
	s_delay_alu instid0(SALU_CYCLE_1)
	s_xor_b32 s20, exec_lo, s20
	s_cbranch_execz .LBB63_737
; %bb.720:                              ;   in Loop: Header=BB63_418 Depth=1
	v_mul_f32_e64 v20, 0x34000000, |v3|
	s_delay_alu instid0(VALU_DEP_1) | instskip(NEXT) | instid1(VALU_DEP_1)
	v_cmp_le_f32_e64 s0, v20, |v5|
                                        ; implicit-def: $vgpr20
	s_and_saveexec_b32 s21, s0
	s_delay_alu instid0(SALU_CYCLE_1)
	s_xor_b32 s21, exec_lo, s21
	s_cbranch_execz .LBB63_730
; %bb.721:                              ;   in Loop: Header=BB63_418 Depth=1
	v_mov_b32_e32 v20, v18
	s_mov_b32 s0, exec_lo
	v_cmpx_neq_f32_e32 0, v12
	s_cbranch_execz .LBB63_723
; %bb.722:                              ;   in Loop: Header=BB63_418 Depth=1
	v_dual_mul_f32 v20, v5, v5 :: v_dual_add_f32 v21, v12, v19
	s_delay_alu instid0(VALU_DEP_1) | instskip(NEXT) | instid1(VALU_DEP_1)
	v_div_scale_f32 v22, null, v21, v21, v20
	v_rcp_f32_e32 v23, v22
	s_waitcnt_depctr 0xfff
	v_fma_f32 v24, -v22, v23, 1.0
	s_delay_alu instid0(VALU_DEP_1) | instskip(SKIP_1) | instid1(VALU_DEP_1)
	v_fmac_f32_e32 v23, v24, v23
	v_div_scale_f32 v24, vcc_lo, v20, v21, v20
	v_mul_f32_e32 v25, v24, v23
	s_delay_alu instid0(VALU_DEP_1) | instskip(NEXT) | instid1(VALU_DEP_1)
	v_fma_f32 v26, -v22, v25, v24
	v_fmac_f32_e32 v25, v26, v23
	s_delay_alu instid0(VALU_DEP_1) | instskip(NEXT) | instid1(VALU_DEP_1)
	v_fma_f32 v22, -v22, v25, v24
	v_div_fmas_f32 v22, v22, v23, v25
	s_delay_alu instid0(VALU_DEP_1)
	v_div_fixup_f32 v20, v22, v21, v20
.LBB63_723:                             ;   in Loop: Header=BB63_418 Depth=1
	s_or_b32 exec_lo, exec_lo, s0
	v_sub_f32_e64 v22, 1.0, |v4|
	s_mov_b32 s0, exec_lo
                                        ; implicit-def: $vgpr21
	s_delay_alu instid0(VALU_DEP_1)
	v_cmpx_ngt_f32_e32 0, v22
	s_xor_b32 s0, exec_lo, s0
	s_cbranch_execz .LBB63_727
; %bb.724:                              ;   in Loop: Header=BB63_418 Depth=1
	v_mov_b32_e32 v21, v18
	s_mov_b32 s22, exec_lo
	v_cmpx_neq_f32_e32 0, v22
	s_cbranch_execz .LBB63_726
; %bb.725:                              ;   in Loop: Header=BB63_418 Depth=1
	v_mul_f32_e32 v21, v5, v5
	v_add_f32_e32 v22, v22, v13
	s_delay_alu instid0(VALU_DEP_1) | instskip(NEXT) | instid1(VALU_DEP_1)
	v_div_scale_f32 v23, null, v22, v22, v21
	v_rcp_f32_e32 v24, v23
	s_waitcnt_depctr 0xfff
	v_fma_f32 v25, -v23, v24, 1.0
	s_delay_alu instid0(VALU_DEP_1) | instskip(SKIP_1) | instid1(VALU_DEP_1)
	v_fmac_f32_e32 v24, v25, v24
	v_div_scale_f32 v25, vcc_lo, v21, v22, v21
	v_mul_f32_e32 v26, v25, v24
	s_delay_alu instid0(VALU_DEP_1) | instskip(NEXT) | instid1(VALU_DEP_1)
	v_fma_f32 v27, -v23, v26, v25
	v_fmac_f32_e32 v26, v27, v24
	s_delay_alu instid0(VALU_DEP_1) | instskip(NEXT) | instid1(VALU_DEP_1)
	v_fma_f32 v23, -v23, v26, v25
	v_div_fmas_f32 v23, v23, v24, v26
	s_delay_alu instid0(VALU_DEP_1)
	v_div_fixup_f32 v21, v23, v22, v21
.LBB63_726:                             ;   in Loop: Header=BB63_418 Depth=1
	s_or_b32 exec_lo, exec_lo, s22
                                        ; implicit-def: $vgpr22
.LBB63_727:                             ;   in Loop: Header=BB63_418 Depth=1
	s_and_not1_saveexec_b32 s0, s0
; %bb.728:                              ;   in Loop: Header=BB63_418 Depth=1
	v_sub_f32_e32 v21, v13, v22
; %bb.729:                              ;   in Loop: Header=BB63_418 Depth=1
	s_or_b32 exec_lo, exec_lo, s0
	s_delay_alu instid0(VALU_DEP_1) | instskip(NEXT) | instid1(VALU_DEP_1)
	v_dual_mul_f32 v21, 0.5, v21 :: v_dual_add_f32 v22, 1.0, v2
	v_fmac_f32_e32 v21, 0.5, v20
	s_delay_alu instid0(VALU_DEP_1) | instskip(NEXT) | instid1(VALU_DEP_1)
	v_mul_f32_e32 v20, v22, v21
	v_mul_f32_e32 v22, 0x4f800000, v20
	v_cmp_gt_f32_e32 vcc_lo, 0xf800000, v20
	s_delay_alu instid0(VALU_DEP_2) | instskip(NEXT) | instid1(VALU_DEP_1)
	v_cndmask_b32_e32 v20, v20, v22, vcc_lo
	v_sqrt_f32_e32 v22, v20
	s_waitcnt_depctr 0xfff
	v_add_nc_u32_e32 v23, -1, v22
	v_add_nc_u32_e32 v24, 1, v22
	s_delay_alu instid0(VALU_DEP_2) | instskip(NEXT) | instid1(VALU_DEP_2)
	v_fma_f32 v25, -v23, v22, v20
	v_fma_f32 v26, -v24, v22, v20
	s_delay_alu instid0(VALU_DEP_2) | instskip(NEXT) | instid1(VALU_DEP_1)
	v_cmp_ge_f32_e64 s0, 0, v25
	v_cndmask_b32_e64 v22, v22, v23, s0
	s_delay_alu instid0(VALU_DEP_3) | instskip(NEXT) | instid1(VALU_DEP_1)
	v_cmp_lt_f32_e64 s0, 0, v26
	v_cndmask_b32_e64 v22, v22, v24, s0
	s_delay_alu instid0(VALU_DEP_1) | instskip(NEXT) | instid1(VALU_DEP_1)
	v_mul_f32_e32 v23, 0x37800000, v22
	v_cndmask_b32_e32 v22, v22, v23, vcc_lo
	v_cmp_class_f32_e64 vcc_lo, v20, 0x260
	s_delay_alu instid0(VALU_DEP_2) | instskip(NEXT) | instid1(VALU_DEP_1)
	v_cndmask_b32_e32 v20, v22, v20, vcc_lo
	v_add_f32_e32 v22, v21, v20
	s_delay_alu instid0(VALU_DEP_1) | instskip(NEXT) | instid1(VALU_DEP_1)
	v_add_f32_e32 v23, 1.0, v22
	v_cvt_f64_f32_e32 v[20:21], v23
	s_delay_alu instid0(VALU_DEP_1) | instskip(SKIP_1) | instid1(VALU_DEP_1)
	v_frexp_exp_i32_f64_e32 v20, v[20:21]
	v_frexp_mant_f32_e32 v21, v23
	v_cmp_gt_f32_e32 vcc_lo, 0x3f2aaaab, v21
	v_add_f32_e32 v21, -1.0, v23
	s_delay_alu instid0(VALU_DEP_1) | instskip(NEXT) | instid1(VALU_DEP_1)
	v_sub_f32_e32 v25, v21, v23
	v_add_f32_e32 v25, 1.0, v25
	v_subrev_co_ci_u32_e32 v20, vcc_lo, 0, v20, vcc_lo
	s_delay_alu instid0(VALU_DEP_1) | instskip(SKIP_1) | instid1(VALU_DEP_2)
	v_sub_nc_u32_e32 v24, 0, v20
	v_cvt_f32_i32_e32 v20, v20
	v_ldexp_f32 v23, v23, v24
	s_delay_alu instid0(VALU_DEP_1) | instskip(NEXT) | instid1(VALU_DEP_1)
	v_dual_sub_f32 v21, v22, v21 :: v_dual_add_f32 v26, 1.0, v23
	v_add_f32_e32 v21, v21, v25
	s_delay_alu instid0(VALU_DEP_2) | instskip(NEXT) | instid1(VALU_DEP_2)
	v_add_f32_e32 v25, -1.0, v26
	v_ldexp_f32 v21, v21, v24
	v_add_f32_e32 v24, -1.0, v23
	v_cmp_eq_f32_e32 vcc_lo, 0x7f800000, v22
	s_delay_alu instid0(VALU_DEP_4) | instskip(NEXT) | instid1(VALU_DEP_3)
	v_sub_f32_e32 v25, v23, v25
	v_add_f32_e32 v27, 1.0, v24
	s_delay_alu instid0(VALU_DEP_2) | instskip(NEXT) | instid1(VALU_DEP_2)
	v_add_f32_e32 v25, v21, v25
	v_sub_f32_e32 v23, v23, v27
	s_delay_alu instid0(VALU_DEP_1) | instskip(NEXT) | instid1(VALU_DEP_1)
	v_add_f32_e32 v21, v21, v23
	v_add_f32_e32 v28, v24, v21
	s_delay_alu instid0(VALU_DEP_1) | instskip(NEXT) | instid1(VALU_DEP_1)
	v_dual_add_f32 v27, v26, v25 :: v_dual_sub_f32 v24, v28, v24
	v_rcp_f32_e32 v23, v27
	v_sub_f32_e32 v26, v27, v26
	s_delay_alu instid0(VALU_DEP_1) | instskip(SKIP_2) | instid1(VALU_DEP_1)
	v_sub_f32_e32 v25, v25, v26
	s_waitcnt_depctr 0xfff
	v_mul_f32_e32 v29, v28, v23
	v_mul_f32_e32 v30, v27, v29
	s_delay_alu instid0(VALU_DEP_1) | instskip(NEXT) | instid1(VALU_DEP_1)
	v_fma_f32 v26, v29, v27, -v30
	v_fmac_f32_e32 v26, v29, v25
	v_sub_f32_e32 v21, v21, v24
	s_delay_alu instid0(VALU_DEP_2) | instskip(NEXT) | instid1(VALU_DEP_1)
	v_add_f32_e32 v31, v30, v26
	v_sub_f32_e32 v32, v28, v31
	v_sub_f32_e32 v24, v31, v30
	s_delay_alu instid0(VALU_DEP_2) | instskip(NEXT) | instid1(VALU_DEP_2)
	v_sub_f32_e32 v28, v28, v32
	v_sub_f32_e32 v24, v24, v26
	s_delay_alu instid0(VALU_DEP_2) | instskip(NEXT) | instid1(VALU_DEP_1)
	v_sub_f32_e32 v28, v28, v31
	v_add_f32_e32 v21, v21, v28
	s_delay_alu instid0(VALU_DEP_1) | instskip(NEXT) | instid1(VALU_DEP_1)
	v_add_f32_e32 v21, v24, v21
	v_add_f32_e32 v24, v32, v21
	s_delay_alu instid0(VALU_DEP_1) | instskip(NEXT) | instid1(VALU_DEP_1)
	v_mul_f32_e32 v26, v23, v24
	v_dual_sub_f32 v31, v32, v24 :: v_dual_mul_f32 v28, v27, v26
	s_delay_alu instid0(VALU_DEP_1) | instskip(NEXT) | instid1(VALU_DEP_2)
	v_add_f32_e32 v21, v21, v31
	v_fma_f32 v27, v26, v27, -v28
	s_delay_alu instid0(VALU_DEP_1) | instskip(NEXT) | instid1(VALU_DEP_1)
	v_fmac_f32_e32 v27, v26, v25
	v_add_f32_e32 v25, v28, v27
	s_delay_alu instid0(VALU_DEP_1) | instskip(NEXT) | instid1(VALU_DEP_1)
	v_sub_f32_e32 v30, v24, v25
	v_sub_f32_e32 v24, v24, v30
	s_delay_alu instid0(VALU_DEP_1) | instskip(NEXT) | instid1(VALU_DEP_1)
	v_sub_f32_e32 v24, v24, v25
	v_add_f32_e32 v21, v21, v24
	v_add_f32_e32 v24, v29, v26
	v_sub_f32_e32 v28, v25, v28
	s_delay_alu instid0(VALU_DEP_1) | instskip(NEXT) | instid1(VALU_DEP_1)
	v_sub_f32_e32 v25, v28, v27
	v_add_f32_e32 v21, v25, v21
	s_delay_alu instid0(VALU_DEP_4) | instskip(NEXT) | instid1(VALU_DEP_2)
	v_sub_f32_e32 v25, v24, v29
	v_add_f32_e32 v21, v30, v21
	s_delay_alu instid0(VALU_DEP_2) | instskip(NEXT) | instid1(VALU_DEP_2)
	v_sub_f32_e32 v25, v26, v25
	v_mul_f32_e32 v21, v23, v21
	s_delay_alu instid0(VALU_DEP_1) | instskip(NEXT) | instid1(VALU_DEP_1)
	v_add_f32_e32 v21, v25, v21
	v_add_f32_e32 v23, v24, v21
	s_delay_alu instid0(VALU_DEP_1) | instskip(NEXT) | instid1(VALU_DEP_1)
	v_mul_f32_e32 v25, v23, v23
	v_fmaak_f32 v26, s13, v25, 0x3ecc95a3
	v_mul_f32_e32 v27, v23, v25
	s_delay_alu instid0(VALU_DEP_2) | instskip(SKIP_2) | instid1(VALU_DEP_3)
	v_fmaak_f32 v25, v25, v26, 0x3f2aaada
	v_ldexp_f32 v26, v23, 1
	v_sub_f32_e32 v23, v23, v24
	v_mul_f32_e32 v25, v27, v25
	v_mul_f32_e32 v27, 0x3f317218, v20
	s_delay_alu instid0(VALU_DEP_2) | instskip(NEXT) | instid1(VALU_DEP_1)
	v_dual_sub_f32 v21, v21, v23 :: v_dual_add_f32 v24, v26, v25
	v_ldexp_f32 v21, v21, 1
	s_delay_alu instid0(VALU_DEP_2) | instskip(NEXT) | instid1(VALU_DEP_4)
	v_sub_f32_e32 v23, v24, v26
	v_fma_f32 v26, 0x3f317218, v20, -v27
	s_delay_alu instid0(VALU_DEP_1) | instskip(NEXT) | instid1(VALU_DEP_1)
	v_dual_sub_f32 v23, v25, v23 :: v_dual_fmac_f32 v26, 0xb102e308, v20
	v_dual_add_f32 v20, v21, v23 :: v_dual_add_f32 v21, v27, v26
	s_delay_alu instid0(VALU_DEP_1) | instskip(NEXT) | instid1(VALU_DEP_2)
	v_add_f32_e32 v23, v24, v20
	v_sub_f32_e32 v27, v21, v27
	s_delay_alu instid0(VALU_DEP_2) | instskip(NEXT) | instid1(VALU_DEP_2)
	v_dual_add_f32 v25, v21, v23 :: v_dual_sub_f32 v24, v23, v24
	v_sub_f32_e32 v26, v26, v27
	s_delay_alu instid0(VALU_DEP_2) | instskip(NEXT) | instid1(VALU_DEP_3)
	v_sub_f32_e32 v28, v25, v21
	v_sub_f32_e32 v20, v20, v24
	s_delay_alu instid0(VALU_DEP_2) | instskip(SKIP_1) | instid1(VALU_DEP_2)
	v_sub_f32_e32 v29, v25, v28
	v_sub_f32_e32 v23, v23, v28
	v_dual_add_f32 v24, v26, v20 :: v_dual_sub_f32 v21, v21, v29
	s_delay_alu instid0(VALU_DEP_1) | instskip(NEXT) | instid1(VALU_DEP_2)
	v_add_f32_e32 v21, v23, v21
	v_sub_f32_e32 v23, v24, v26
	s_delay_alu instid0(VALU_DEP_2) | instskip(NEXT) | instid1(VALU_DEP_2)
	v_add_f32_e32 v21, v24, v21
	v_sub_f32_e32 v24, v24, v23
	s_delay_alu instid0(VALU_DEP_2) | instskip(NEXT) | instid1(VALU_DEP_1)
	v_dual_sub_f32 v20, v20, v23 :: v_dual_add_f32 v27, v25, v21
	v_dual_sub_f32 v24, v26, v24 :: v_dual_sub_f32 v23, v27, v25
	s_delay_alu instid0(VALU_DEP_1) | instskip(NEXT) | instid1(VALU_DEP_1)
	v_dual_add_f32 v20, v20, v24 :: v_dual_sub_f32 v21, v21, v23
	v_add_f32_e32 v20, v20, v21
	s_delay_alu instid0(VALU_DEP_1) | instskip(NEXT) | instid1(VALU_DEP_1)
	v_add_f32_e32 v20, v27, v20
	v_cndmask_b32_e32 v20, v20, v22, vcc_lo
	v_cmp_ngt_f32_e32 vcc_lo, -1.0, v22
	s_delay_alu instid0(VALU_DEP_2) | instskip(SKIP_1) | instid1(VALU_DEP_2)
	v_cndmask_b32_e32 v20, 0x7fc00000, v20, vcc_lo
	v_cmp_neq_f32_e32 vcc_lo, -1.0, v22
	v_cndmask_b32_e32 v20, 0xff800000, v20, vcc_lo
	v_cmp_gt_f32_e64 vcc_lo, 0x33800000, |v22|
	s_delay_alu instid0(VALU_DEP_2)
	v_cndmask_b32_e32 v20, v20, v22, vcc_lo
.LBB63_730:                             ;   in Loop: Header=BB63_418 Depth=1
	s_and_not1_saveexec_b32 s21, s21
	s_cbranch_execz .LBB63_736
; %bb.731:                              ;   in Loop: Header=BB63_418 Depth=1
	s_mov_b32 s22, exec_lo
                                        ; implicit-def: $vgpr20
	v_cmpx_nlt_f32_e64 |v4|, 1.0
	s_xor_b32 s22, exec_lo, s22
	s_cbranch_execz .LBB63_733
; %bb.732:                              ;   in Loop: Header=BB63_418 Depth=1
	v_mul_f32_e32 v20, v3, v12
	s_delay_alu instid0(VALU_DEP_1) | instskip(SKIP_1) | instid1(VALU_DEP_2)
	v_mul_f32_e32 v21, 0x4f800000, v20
	v_cmp_gt_f32_e32 vcc_lo, 0xf800000, v20
	v_cndmask_b32_e32 v20, v20, v21, vcc_lo
	s_delay_alu instid0(VALU_DEP_1) | instskip(SKIP_3) | instid1(VALU_DEP_2)
	v_sqrt_f32_e32 v21, v20
	s_waitcnt_depctr 0xfff
	v_add_nc_u32_e32 v22, -1, v21
	v_add_nc_u32_e32 v23, 1, v21
	v_fma_f32 v24, -v22, v21, v20
	s_delay_alu instid0(VALU_DEP_2) | instskip(NEXT) | instid1(VALU_DEP_2)
	v_fma_f32 v25, -v23, v21, v20
	v_cmp_ge_f32_e64 s0, 0, v24
	s_delay_alu instid0(VALU_DEP_1) | instskip(NEXT) | instid1(VALU_DEP_3)
	v_cndmask_b32_e64 v21, v21, v22, s0
	v_cmp_lt_f32_e64 s0, 0, v25
	s_delay_alu instid0(VALU_DEP_1) | instskip(NEXT) | instid1(VALU_DEP_1)
	v_cndmask_b32_e64 v21, v21, v23, s0
	v_mul_f32_e32 v22, 0x37800000, v21
	s_delay_alu instid0(VALU_DEP_1) | instskip(SKIP_1) | instid1(VALU_DEP_2)
	v_cndmask_b32_e32 v21, v21, v22, vcc_lo
	v_cmp_class_f32_e64 vcc_lo, v20, 0x260
	v_cndmask_b32_e32 v20, v21, v20, vcc_lo
	s_delay_alu instid0(VALU_DEP_1) | instskip(NEXT) | instid1(VALU_DEP_1)
	v_add_f32_e32 v22, v3, v20
	v_add_f32_e32 v23, 1.0, v22
	s_delay_alu instid0(VALU_DEP_1) | instskip(NEXT) | instid1(VALU_DEP_1)
	v_cvt_f64_f32_e32 v[20:21], v23
	v_frexp_exp_i32_f64_e32 v20, v[20:21]
	v_frexp_mant_f32_e32 v21, v23
	s_delay_alu instid0(VALU_DEP_1) | instskip(SKIP_1) | instid1(VALU_DEP_1)
	v_cmp_gt_f32_e32 vcc_lo, 0x3f2aaaab, v21
	v_add_f32_e32 v21, -1.0, v23
	v_sub_f32_e32 v25, v21, v23
	s_delay_alu instid0(VALU_DEP_1) | instskip(SKIP_2) | instid1(VALU_DEP_2)
	v_add_f32_e32 v25, 1.0, v25
	v_subrev_co_ci_u32_e32 v20, vcc_lo, 0, v20, vcc_lo
	v_cmp_eq_f32_e32 vcc_lo, 0x7f800000, v22
	v_sub_nc_u32_e32 v24, 0, v20
	v_cvt_f32_i32_e32 v20, v20
	s_delay_alu instid0(VALU_DEP_2) | instskip(NEXT) | instid1(VALU_DEP_1)
	v_ldexp_f32 v23, v23, v24
	v_dual_sub_f32 v21, v22, v21 :: v_dual_add_f32 v26, 1.0, v23
	s_delay_alu instid0(VALU_DEP_1) | instskip(NEXT) | instid1(VALU_DEP_1)
	v_add_f32_e32 v21, v21, v25
	v_ldexp_f32 v21, v21, v24
	s_delay_alu instid0(VALU_DEP_3) | instskip(NEXT) | instid1(VALU_DEP_1)
	v_dual_add_f32 v24, -1.0, v23 :: v_dual_add_f32 v25, -1.0, v26
	v_add_f32_e32 v27, 1.0, v24
	s_delay_alu instid0(VALU_DEP_2) | instskip(NEXT) | instid1(VALU_DEP_2)
	v_sub_f32_e32 v25, v23, v25
	v_sub_f32_e32 v23, v23, v27
	s_delay_alu instid0(VALU_DEP_2) | instskip(NEXT) | instid1(VALU_DEP_2)
	v_add_f32_e32 v25, v21, v25
	v_add_f32_e32 v21, v21, v23
	s_delay_alu instid0(VALU_DEP_1) | instskip(NEXT) | instid1(VALU_DEP_1)
	v_add_f32_e32 v28, v24, v21
	v_dual_sub_f32 v24, v28, v24 :: v_dual_add_f32 v27, v26, v25
	s_delay_alu instid0(VALU_DEP_1) | instskip(SKIP_1) | instid1(VALU_DEP_1)
	v_rcp_f32_e32 v23, v27
	v_sub_f32_e32 v26, v27, v26
	v_sub_f32_e32 v25, v25, v26
	s_waitcnt_depctr 0xfff
	v_mul_f32_e32 v29, v28, v23
	s_delay_alu instid0(VALU_DEP_1) | instskip(NEXT) | instid1(VALU_DEP_1)
	v_mul_f32_e32 v30, v27, v29
	v_fma_f32 v26, v29, v27, -v30
	s_delay_alu instid0(VALU_DEP_1) | instskip(SKIP_1) | instid1(VALU_DEP_2)
	v_fmac_f32_e32 v26, v29, v25
	v_sub_f32_e32 v21, v21, v24
	v_add_f32_e32 v31, v30, v26
	s_delay_alu instid0(VALU_DEP_1) | instskip(SKIP_1) | instid1(VALU_DEP_2)
	v_sub_f32_e32 v32, v28, v31
	v_sub_f32_e32 v24, v31, v30
	;; [unrolled: 1-line block ×3, first 2 shown]
	s_delay_alu instid0(VALU_DEP_2) | instskip(NEXT) | instid1(VALU_DEP_2)
	v_sub_f32_e32 v24, v24, v26
	v_sub_f32_e32 v28, v28, v31
	s_delay_alu instid0(VALU_DEP_1) | instskip(NEXT) | instid1(VALU_DEP_1)
	v_add_f32_e32 v21, v21, v28
	v_add_f32_e32 v21, v24, v21
	s_delay_alu instid0(VALU_DEP_1) | instskip(NEXT) | instid1(VALU_DEP_1)
	v_add_f32_e32 v24, v32, v21
	v_mul_f32_e32 v26, v23, v24
	s_delay_alu instid0(VALU_DEP_1) | instskip(NEXT) | instid1(VALU_DEP_1)
	v_dual_sub_f32 v31, v32, v24 :: v_dual_mul_f32 v28, v27, v26
	v_fma_f32 v27, v26, v27, -v28
	s_delay_alu instid0(VALU_DEP_1) | instskip(NEXT) | instid1(VALU_DEP_1)
	v_fmac_f32_e32 v27, v26, v25
	v_add_f32_e32 v25, v28, v27
	s_delay_alu instid0(VALU_DEP_1) | instskip(SKIP_1) | instid1(VALU_DEP_1)
	v_sub_f32_e32 v28, v25, v28
	v_dual_sub_f32 v30, v24, v25 :: v_dual_add_f32 v21, v21, v31
	v_sub_f32_e32 v24, v24, v30
	s_delay_alu instid0(VALU_DEP_1) | instskip(NEXT) | instid1(VALU_DEP_4)
	v_sub_f32_e32 v24, v24, v25
	v_sub_f32_e32 v25, v28, v27
	s_delay_alu instid0(VALU_DEP_2) | instskip(SKIP_1) | instid1(VALU_DEP_2)
	v_add_f32_e32 v21, v21, v24
	v_add_f32_e32 v24, v29, v26
	;; [unrolled: 1-line block ×3, first 2 shown]
	s_delay_alu instid0(VALU_DEP_2) | instskip(NEXT) | instid1(VALU_DEP_2)
	v_sub_f32_e32 v25, v24, v29
	v_add_f32_e32 v21, v30, v21
	s_delay_alu instid0(VALU_DEP_2) | instskip(NEXT) | instid1(VALU_DEP_2)
	v_sub_f32_e32 v25, v26, v25
	v_mul_f32_e32 v21, v23, v21
	s_delay_alu instid0(VALU_DEP_1) | instskip(NEXT) | instid1(VALU_DEP_1)
	v_add_f32_e32 v21, v25, v21
	v_add_f32_e32 v23, v24, v21
	s_delay_alu instid0(VALU_DEP_1) | instskip(NEXT) | instid1(VALU_DEP_1)
	v_mul_f32_e32 v25, v23, v23
	v_fmaak_f32 v26, s13, v25, 0x3ecc95a3
	v_mul_f32_e32 v27, v23, v25
	s_delay_alu instid0(VALU_DEP_2) | instskip(SKIP_2) | instid1(VALU_DEP_3)
	v_fmaak_f32 v25, v25, v26, 0x3f2aaada
	v_ldexp_f32 v26, v23, 1
	v_sub_f32_e32 v23, v23, v24
	v_mul_f32_e32 v25, v27, v25
	v_mul_f32_e32 v27, 0x3f317218, v20
	s_delay_alu instid0(VALU_DEP_2) | instskip(NEXT) | instid1(VALU_DEP_1)
	v_dual_sub_f32 v21, v21, v23 :: v_dual_add_f32 v24, v26, v25
	v_ldexp_f32 v21, v21, 1
	s_delay_alu instid0(VALU_DEP_2) | instskip(NEXT) | instid1(VALU_DEP_4)
	v_sub_f32_e32 v23, v24, v26
	v_fma_f32 v26, 0x3f317218, v20, -v27
	s_delay_alu instid0(VALU_DEP_1) | instskip(NEXT) | instid1(VALU_DEP_1)
	v_dual_sub_f32 v23, v25, v23 :: v_dual_fmac_f32 v26, 0xb102e308, v20
	v_dual_add_f32 v20, v21, v23 :: v_dual_add_f32 v21, v27, v26
	s_delay_alu instid0(VALU_DEP_1) | instskip(NEXT) | instid1(VALU_DEP_2)
	v_add_f32_e32 v23, v24, v20
	v_sub_f32_e32 v27, v21, v27
	s_delay_alu instid0(VALU_DEP_2) | instskip(NEXT) | instid1(VALU_DEP_2)
	v_dual_add_f32 v25, v21, v23 :: v_dual_sub_f32 v24, v23, v24
	v_sub_f32_e32 v26, v26, v27
	s_delay_alu instid0(VALU_DEP_2) | instskip(NEXT) | instid1(VALU_DEP_3)
	v_sub_f32_e32 v28, v25, v21
	v_sub_f32_e32 v20, v20, v24
	s_delay_alu instid0(VALU_DEP_2) | instskip(SKIP_1) | instid1(VALU_DEP_2)
	v_sub_f32_e32 v29, v25, v28
	v_sub_f32_e32 v23, v23, v28
	v_dual_add_f32 v24, v26, v20 :: v_dual_sub_f32 v21, v21, v29
	s_delay_alu instid0(VALU_DEP_1) | instskip(NEXT) | instid1(VALU_DEP_2)
	v_add_f32_e32 v21, v23, v21
	v_sub_f32_e32 v23, v24, v26
	s_delay_alu instid0(VALU_DEP_2) | instskip(NEXT) | instid1(VALU_DEP_2)
	v_add_f32_e32 v21, v24, v21
	v_sub_f32_e32 v24, v24, v23
	s_delay_alu instid0(VALU_DEP_2) | instskip(NEXT) | instid1(VALU_DEP_1)
	v_dual_sub_f32 v20, v20, v23 :: v_dual_add_f32 v27, v25, v21
	v_dual_sub_f32 v24, v26, v24 :: v_dual_sub_f32 v23, v27, v25
	s_delay_alu instid0(VALU_DEP_1) | instskip(NEXT) | instid1(VALU_DEP_1)
	v_dual_add_f32 v20, v20, v24 :: v_dual_sub_f32 v21, v21, v23
	v_add_f32_e32 v20, v20, v21
	s_delay_alu instid0(VALU_DEP_1) | instskip(NEXT) | instid1(VALU_DEP_1)
	v_add_f32_e32 v20, v27, v20
	v_cndmask_b32_e32 v20, v20, v22, vcc_lo
	v_cmp_ngt_f32_e32 vcc_lo, -1.0, v22
	s_delay_alu instid0(VALU_DEP_2) | instskip(SKIP_1) | instid1(VALU_DEP_2)
	v_cndmask_b32_e32 v20, 0x7fc00000, v20, vcc_lo
	v_cmp_neq_f32_e32 vcc_lo, -1.0, v22
	v_cndmask_b32_e32 v20, 0xff800000, v20, vcc_lo
	v_cmp_gt_f32_e64 vcc_lo, 0x33800000, |v22|
	s_delay_alu instid0(VALU_DEP_2)
	v_cndmask_b32_e32 v20, v20, v22, vcc_lo
.LBB63_733:                             ;   in Loop: Header=BB63_418 Depth=1
	s_and_not1_saveexec_b32 s22, s22
	s_cbranch_execz .LBB63_735
; %bb.734:                              ;   in Loop: Header=BB63_418 Depth=1
	v_sub_f32_e64 v20, 1.0, |v4|
	s_delay_alu instid0(VALU_DEP_1) | instskip(NEXT) | instid1(VALU_DEP_1)
	v_mul_f32_e32 v20, v20, v12
	v_mul_f32_e32 v21, 0x4f800000, v20
	v_cmp_gt_f32_e32 vcc_lo, 0xf800000, v20
	s_delay_alu instid0(VALU_DEP_2) | instskip(NEXT) | instid1(VALU_DEP_1)
	v_cndmask_b32_e32 v20, v20, v21, vcc_lo
	v_sqrt_f32_e32 v21, v20
	s_waitcnt_depctr 0xfff
	v_add_nc_u32_e32 v22, -1, v21
	v_add_nc_u32_e32 v23, 1, v21
	s_delay_alu instid0(VALU_DEP_2) | instskip(NEXT) | instid1(VALU_DEP_2)
	v_fma_f32 v24, -v22, v21, v20
	v_fma_f32 v25, -v23, v21, v20
	s_delay_alu instid0(VALU_DEP_2) | instskip(NEXT) | instid1(VALU_DEP_1)
	v_cmp_ge_f32_e64 s0, 0, v24
	v_cndmask_b32_e64 v21, v21, v22, s0
	s_delay_alu instid0(VALU_DEP_3) | instskip(NEXT) | instid1(VALU_DEP_1)
	v_cmp_lt_f32_e64 s0, 0, v25
	v_cndmask_b32_e64 v21, v21, v23, s0
	s_delay_alu instid0(VALU_DEP_1) | instskip(NEXT) | instid1(VALU_DEP_1)
	v_mul_f32_e32 v22, 0x37800000, v21
	v_cndmask_b32_e32 v21, v21, v22, vcc_lo
	v_cmp_class_f32_e64 vcc_lo, v20, 0x260
	v_and_b32_e32 v22, 0x7fffffff, v5
	s_delay_alu instid0(VALU_DEP_3) | instskip(NEXT) | instid1(VALU_DEP_1)
	v_cndmask_b32_e32 v20, v21, v20, vcc_lo
	v_div_scale_f32 v21, null, v20, v20, v22
	v_div_scale_f32 v22, vcc_lo, v22, v20, v22
	s_delay_alu instid0(VALU_DEP_2) | instskip(SKIP_2) | instid1(VALU_DEP_1)
	v_rcp_f32_e32 v23, v21
	s_waitcnt_depctr 0xfff
	v_fma_f32 v24, -v21, v23, 1.0
	v_fmac_f32_e32 v23, v24, v23
	s_delay_alu instid0(VALU_DEP_1) | instskip(NEXT) | instid1(VALU_DEP_1)
	v_mul_f32_e32 v24, v22, v23
	v_fma_f32 v25, -v21, v24, v22
	s_delay_alu instid0(VALU_DEP_1) | instskip(NEXT) | instid1(VALU_DEP_1)
	v_fmac_f32_e32 v24, v25, v23
	v_fma_f32 v21, -v21, v24, v22
	s_delay_alu instid0(VALU_DEP_1) | instskip(NEXT) | instid1(VALU_DEP_1)
	v_div_fmas_f32 v21, v21, v23, v24
	v_div_fixup_f32 v20, v21, v20, |v5|
.LBB63_735:                             ;   in Loop: Header=BB63_418 Depth=1
	s_or_b32 exec_lo, exec_lo, s22
.LBB63_736:                             ;   in Loop: Header=BB63_418 Depth=1
	s_delay_alu instid0(SALU_CYCLE_1)
	s_or_b32 exec_lo, exec_lo, s21
.LBB63_737:                             ;   in Loop: Header=BB63_418 Depth=1
	s_and_not1_saveexec_b32 s20, s20
	s_cbranch_execz .LBB63_739
; %bb.738:                              ;   in Loop: Header=BB63_418 Depth=1
	v_mul_f32_e64 v20, 0x4f800000, |v5|
	v_cmp_gt_f32_e64 vcc_lo, 0xf800000, |v5|
	s_delay_alu instid0(VALU_DEP_1) | instskip(NEXT) | instid1(VALU_DEP_1)
	v_cndmask_b32_e64 v20, |v5|, v20, vcc_lo
	v_sqrt_f32_e32 v21, v20
	s_waitcnt_depctr 0xfff
	v_add_nc_u32_e32 v22, -1, v21
	v_add_nc_u32_e32 v23, 1, v21
	s_delay_alu instid0(VALU_DEP_2) | instskip(NEXT) | instid1(VALU_DEP_2)
	v_fma_f32 v24, -v22, v21, v20
	v_fma_f32 v25, -v23, v21, v20
	s_delay_alu instid0(VALU_DEP_2) | instskip(NEXT) | instid1(VALU_DEP_1)
	v_cmp_ge_f32_e64 s0, 0, v24
	v_cndmask_b32_e64 v21, v21, v22, s0
	s_delay_alu instid0(VALU_DEP_3) | instskip(NEXT) | instid1(VALU_DEP_1)
	v_cmp_lt_f32_e64 s0, 0, v25
	v_cndmask_b32_e64 v21, v21, v23, s0
	s_delay_alu instid0(VALU_DEP_1) | instskip(NEXT) | instid1(VALU_DEP_1)
	v_mul_f32_e32 v22, 0x37800000, v21
	v_cndmask_b32_e32 v21, v21, v22, vcc_lo
	v_cmp_class_f32_e64 vcc_lo, v20, 0x260
	s_delay_alu instid0(VALU_DEP_2)
	v_cndmask_b32_e32 v20, v21, v20, vcc_lo
.LBB63_739:                             ;   in Loop: Header=BB63_418 Depth=1
	s_or_b32 exec_lo, exec_lo, s20
.LBB63_740:                             ;   in Loop: Header=BB63_418 Depth=1
	s_delay_alu instid0(SALU_CYCLE_1) | instskip(NEXT) | instid1(SALU_CYCLE_1)
	s_or_b32 exec_lo, exec_lo, s1
	s_mov_b32 s20, exec_lo
                                        ; implicit-def: $sgpr0
                                        ; implicit-def: $vgpr21
                                        ; implicit-def: $vgpr23
                                        ; implicit-def: $vgpr22
	v_cmpx_ngt_f32_e64 0x21000000, |v4|
	s_xor_b32 s20, exec_lo, s20
	s_cbranch_execz .LBB63_764
; %bb.741:                              ;   in Loop: Header=BB63_418 Depth=1
	v_and_b32_e32 v22, 0x7fffffff, v4
	s_mov_b32 s0, 0
	s_mov_b32 s21, exec_lo
	s_delay_alu instid0(VALU_DEP_1) | instskip(NEXT) | instid1(VALU_DEP_1)
	v_div_scale_f32 v21, null, v2, v2, v22
	v_rcp_f32_e32 v23, v21
	s_waitcnt_depctr 0xfff
	v_fma_f32 v24, -v21, v23, 1.0
	s_delay_alu instid0(VALU_DEP_1) | instskip(SKIP_1) | instid1(VALU_DEP_1)
	v_fmac_f32_e32 v23, v24, v23
	v_div_scale_f32 v24, vcc_lo, v22, v2, v22
	v_mul_f32_e32 v25, v24, v23
	s_delay_alu instid0(VALU_DEP_1) | instskip(NEXT) | instid1(VALU_DEP_1)
	v_fma_f32 v26, -v21, v25, v24
	v_fmac_f32_e32 v25, v26, v23
	s_delay_alu instid0(VALU_DEP_1) | instskip(NEXT) | instid1(VALU_DEP_1)
	v_fma_f32 v21, -v21, v25, v24
	v_div_fmas_f32 v21, v21, v23, v25
                                        ; implicit-def: $vgpr23
	s_delay_alu instid0(VALU_DEP_1) | instskip(NEXT) | instid1(VALU_DEP_1)
	v_div_fixup_f32 v21, v21, v2, |v4|
	v_cmpx_lt_f32_e32 0x3f244674, v21
	s_cbranch_execz .LBB63_763
; %bb.742:                              ;   in Loop: Header=BB63_418 Depth=1
	v_cmp_neq_f32_e64 s0, |v4|, 1.0
	v_cmp_ngt_f32_e64 s1, 0x30800000, |v5|
                                        ; implicit-def: $sgpr22
                                        ; implicit-def: $vgpr23
	s_delay_alu instid0(VALU_DEP_1) | instskip(NEXT) | instid1(SALU_CYCLE_1)
	s_or_b32 s0, s0, s1
	s_and_saveexec_b32 s1, s0
	s_delay_alu instid0(SALU_CYCLE_1)
	s_xor_b32 s1, exec_lo, s1
	s_cbranch_execz .LBB63_760
; %bb.743:                              ;   in Loop: Header=BB63_418 Depth=1
	v_mul_f32_e64 v23, 0x34000000, |v3|
                                        ; implicit-def: $sgpr22
	s_delay_alu instid0(VALU_DEP_1) | instskip(NEXT) | instid1(VALU_DEP_1)
	v_cmp_le_f32_e64 s0, v23, |v5|
                                        ; implicit-def: $vgpr23
	s_and_saveexec_b32 s23, s0
	s_delay_alu instid0(SALU_CYCLE_1)
	s_xor_b32 s23, exec_lo, s23
	s_cbranch_execz .LBB63_753
; %bb.744:                              ;   in Loop: Header=BB63_418 Depth=1
	v_mov_b32_e32 v23, v18
	s_mov_b32 s0, exec_lo
	v_cmpx_neq_f32_e32 0, v12
	s_cbranch_execz .LBB63_746
; %bb.745:                              ;   in Loop: Header=BB63_418 Depth=1
	v_dual_mul_f32 v23, v5, v5 :: v_dual_add_f32 v12, v12, v19
	s_delay_alu instid0(VALU_DEP_1) | instskip(NEXT) | instid1(VALU_DEP_1)
	v_div_scale_f32 v19, null, v12, v12, v23
	v_rcp_f32_e32 v24, v19
	s_waitcnt_depctr 0xfff
	v_fma_f32 v25, -v19, v24, 1.0
	s_delay_alu instid0(VALU_DEP_1) | instskip(SKIP_1) | instid1(VALU_DEP_1)
	v_fmac_f32_e32 v24, v25, v24
	v_div_scale_f32 v25, vcc_lo, v23, v12, v23
	v_mul_f32_e32 v26, v25, v24
	s_delay_alu instid0(VALU_DEP_1) | instskip(NEXT) | instid1(VALU_DEP_1)
	v_fma_f32 v27, -v19, v26, v25
	v_fmac_f32_e32 v26, v27, v24
	s_delay_alu instid0(VALU_DEP_1) | instskip(NEXT) | instid1(VALU_DEP_1)
	v_fma_f32 v19, -v19, v26, v25
	v_div_fmas_f32 v19, v19, v24, v26
	s_delay_alu instid0(VALU_DEP_1)
	v_div_fixup_f32 v23, v19, v12, v23
.LBB63_746:                             ;   in Loop: Header=BB63_418 Depth=1
	s_or_b32 exec_lo, exec_lo, s0
	s_delay_alu instid0(SALU_CYCLE_1)
	s_mov_b32 s0, exec_lo
	v_cmpx_ngt_f32_e32 0, v3
	s_xor_b32 s0, exec_lo, s0
	s_cbranch_execz .LBB63_750
; %bb.747:                              ;   in Loop: Header=BB63_418 Depth=1
	s_mov_b32 s22, exec_lo
	v_cmpx_neq_f32_e32 0, v3
	s_cbranch_execz .LBB63_749
; %bb.748:                              ;   in Loop: Header=BB63_418 Depth=1
	v_mul_f32_e32 v12, v5, v5
	v_add_f32_e32 v3, v3, v13
	s_delay_alu instid0(VALU_DEP_1) | instskip(NEXT) | instid1(VALU_DEP_1)
	v_div_scale_f32 v13, null, v3, v3, v12
	v_rcp_f32_e32 v18, v13
	s_waitcnt_depctr 0xfff
	v_fma_f32 v19, -v13, v18, 1.0
	s_delay_alu instid0(VALU_DEP_1) | instskip(SKIP_1) | instid1(VALU_DEP_1)
	v_fmac_f32_e32 v18, v19, v18
	v_div_scale_f32 v19, vcc_lo, v12, v3, v12
	v_mul_f32_e32 v24, v19, v18
	s_delay_alu instid0(VALU_DEP_1) | instskip(NEXT) | instid1(VALU_DEP_1)
	v_fma_f32 v25, -v13, v24, v19
	v_fmac_f32_e32 v24, v25, v18
	s_delay_alu instid0(VALU_DEP_1) | instskip(NEXT) | instid1(VALU_DEP_1)
	v_fma_f32 v13, -v13, v24, v19
	v_div_fmas_f32 v13, v13, v18, v24
	s_delay_alu instid0(VALU_DEP_1)
	v_div_fixup_f32 v18, v13, v3, v12
.LBB63_749:                             ;   in Loop: Header=BB63_418 Depth=1
	s_or_b32 exec_lo, exec_lo, s22
                                        ; implicit-def: $vgpr13
                                        ; implicit-def: $vgpr3
.LBB63_750:                             ;   in Loop: Header=BB63_418 Depth=1
	s_and_not1_saveexec_b32 s0, s0
; %bb.751:                              ;   in Loop: Header=BB63_418 Depth=1
	v_sub_f32_e32 v18, v13, v3
; %bb.752:                              ;   in Loop: Header=BB63_418 Depth=1
	s_or_b32 exec_lo, exec_lo, s0
	s_delay_alu instid0(VALU_DEP_1) | instskip(SKIP_2) | instid1(VALU_DEP_2)
	v_mul_f32_e32 v3, 0.5, v18
	v_add_f32_e64 v2, |v4|, v2
	s_mov_b32 s22, -1
	v_fmac_f32_e32 v3, 0.5, v23
	s_delay_alu instid0(VALU_DEP_1) | instskip(NEXT) | instid1(VALU_DEP_1)
	v_mul_f32_e32 v2, v2, v3
	v_mul_f32_e32 v3, 0x4f800000, v2
	v_cmp_gt_f32_e32 vcc_lo, 0xf800000, v2
	s_delay_alu instid0(VALU_DEP_2) | instskip(NEXT) | instid1(VALU_DEP_1)
	v_cndmask_b32_e32 v2, v2, v3, vcc_lo
	v_sqrt_f32_e32 v3, v2
	s_waitcnt_depctr 0xfff
	v_add_nc_u32_e32 v12, -1, v3
	v_add_nc_u32_e32 v13, 1, v3
	s_delay_alu instid0(VALU_DEP_2) | instskip(NEXT) | instid1(VALU_DEP_2)
	v_fma_f32 v18, -v12, v3, v2
	v_fma_f32 v19, -v13, v3, v2
	s_delay_alu instid0(VALU_DEP_2) | instskip(NEXT) | instid1(VALU_DEP_1)
	v_cmp_ge_f32_e64 s0, 0, v18
	v_cndmask_b32_e64 v3, v3, v12, s0
	s_delay_alu instid0(VALU_DEP_3) | instskip(NEXT) | instid1(VALU_DEP_1)
	v_cmp_lt_f32_e64 s0, 0, v19
	v_cndmask_b32_e64 v3, v3, v13, s0
	s_delay_alu instid0(VALU_DEP_1) | instskip(NEXT) | instid1(VALU_DEP_1)
	v_mul_f32_e32 v12, 0x37800000, v3
	v_cndmask_b32_e32 v3, v3, v12, vcc_lo
	v_cmp_class_f32_e64 vcc_lo, v2, 0x260
                                        ; implicit-def: $vgpr12
	s_delay_alu instid0(VALU_DEP_2)
	v_cndmask_b32_e32 v23, v3, v2, vcc_lo
                                        ; implicit-def: $vgpr3
.LBB63_753:                             ;   in Loop: Header=BB63_418 Depth=1
	s_and_not1_saveexec_b32 s23, s23
	s_cbranch_execz .LBB63_759
; %bb.754:                              ;   in Loop: Header=BB63_418 Depth=1
	s_mov_b32 s25, exec_lo
                                        ; implicit-def: $vgpr23
                                        ; implicit-def: $sgpr24
	v_cmpx_ngt_f32_e64 |v4|, 1.0
	s_xor_b32 s25, exec_lo, s25
	s_cbranch_execz .LBB63_756
; %bb.755:                              ;   in Loop: Header=BB63_418 Depth=1
	v_sub_f32_e64 v2, 1.0, |v4|
	s_mov_b32 s24, -1
	s_delay_alu instid0(VALU_DEP_1) | instskip(NEXT) | instid1(VALU_DEP_1)
	v_mul_f32_e32 v2, v2, v12
	v_mul_f32_e32 v3, 0x4f800000, v2
	v_cmp_gt_f32_e32 vcc_lo, 0xf800000, v2
	s_delay_alu instid0(VALU_DEP_2) | instskip(NEXT) | instid1(VALU_DEP_1)
	v_cndmask_b32_e32 v2, v2, v3, vcc_lo
	v_sqrt_f32_e32 v3, v2
	s_waitcnt_depctr 0xfff
	v_add_nc_u32_e32 v12, -1, v3
	v_add_nc_u32_e32 v13, 1, v3
	s_delay_alu instid0(VALU_DEP_2) | instskip(NEXT) | instid1(VALU_DEP_2)
	v_fma_f32 v18, -v12, v3, v2
	v_fma_f32 v19, -v13, v3, v2
	s_delay_alu instid0(VALU_DEP_2) | instskip(NEXT) | instid1(VALU_DEP_1)
	v_cmp_ge_f32_e64 s0, 0, v18
	v_cndmask_b32_e64 v3, v3, v12, s0
	s_delay_alu instid0(VALU_DEP_3) | instskip(NEXT) | instid1(VALU_DEP_1)
	v_cmp_lt_f32_e64 s0, 0, v19
	v_cndmask_b32_e64 v3, v3, v13, s0
	s_delay_alu instid0(VALU_DEP_1) | instskip(NEXT) | instid1(VALU_DEP_1)
	v_mul_f32_e32 v12, 0x37800000, v3
	v_cndmask_b32_e32 v3, v3, v12, vcc_lo
	v_cmp_class_f32_e64 vcc_lo, v2, 0x260
                                        ; implicit-def: $vgpr12
	s_delay_alu instid0(VALU_DEP_2)
	v_cndmask_b32_e32 v23, v3, v2, vcc_lo
                                        ; implicit-def: $vgpr3
.LBB63_756:                             ;   in Loop: Header=BB63_418 Depth=1
	s_and_not1_saveexec_b32 s25, s25
	s_cbranch_execz .LBB63_758
; %bb.757:                              ;   in Loop: Header=BB63_418 Depth=1
	v_mul_f32_e32 v2, v12, v3
	s_or_b32 s24, s24, exec_lo
	s_delay_alu instid0(VALU_DEP_1) | instskip(SKIP_1) | instid1(VALU_DEP_2)
	v_mul_f32_e32 v3, 0x4f800000, v2
	v_cmp_gt_f32_e32 vcc_lo, 0xf800000, v2
	v_cndmask_b32_e32 v2, v2, v3, vcc_lo
	s_delay_alu instid0(VALU_DEP_1) | instskip(SKIP_3) | instid1(VALU_DEP_2)
	v_sqrt_f32_e32 v3, v2
	s_waitcnt_depctr 0xfff
	v_add_nc_u32_e32 v12, -1, v3
	v_add_nc_u32_e32 v13, 1, v3
	v_fma_f32 v18, -v12, v3, v2
	s_delay_alu instid0(VALU_DEP_2) | instskip(NEXT) | instid1(VALU_DEP_2)
	v_fma_f32 v19, -v13, v3, v2
	v_cmp_ge_f32_e64 s0, 0, v18
	s_delay_alu instid0(VALU_DEP_1) | instskip(NEXT) | instid1(VALU_DEP_3)
	v_cndmask_b32_e64 v3, v3, v12, s0
	v_cmp_lt_f32_e64 s0, 0, v19
	s_delay_alu instid0(VALU_DEP_1) | instskip(SKIP_1) | instid1(VALU_DEP_2)
	v_cndmask_b32_e64 v3, v3, v13, s0
	v_mul_f32_e64 v13, 0x57800000, |v5|
	v_mul_f32_e32 v12, 0x37800000, v3
	s_delay_alu instid0(VALU_DEP_1) | instskip(SKIP_1) | instid1(VALU_DEP_4)
	v_cndmask_b32_e32 v3, v3, v12, vcc_lo
	v_cmp_class_f32_e64 vcc_lo, v2, 0x260
	v_mul_f32_e64 v12, |v4|, v13
	s_delay_alu instid0(VALU_DEP_3) | instskip(NEXT) | instid1(VALU_DEP_1)
	v_cndmask_b32_e32 v2, v3, v2, vcc_lo
	v_div_scale_f32 v3, null, v2, v2, v12
	v_div_scale_f32 v19, vcc_lo, v12, v2, v12
	s_delay_alu instid0(VALU_DEP_2) | instskip(SKIP_2) | instid1(VALU_DEP_1)
	v_rcp_f32_e32 v13, v3
	s_waitcnt_depctr 0xfff
	v_fma_f32 v18, -v3, v13, 1.0
	v_fmac_f32_e32 v13, v18, v13
	s_delay_alu instid0(VALU_DEP_1) | instskip(NEXT) | instid1(VALU_DEP_1)
	v_mul_f32_e32 v18, v19, v13
	v_fma_f32 v22, -v3, v18, v19
	s_delay_alu instid0(VALU_DEP_1) | instskip(SKIP_1) | instid1(VALU_DEP_2)
	v_fmac_f32_e32 v18, v22, v13
	v_mul_f32_e64 v22, 0x57800000, |v4|
	v_fma_f32 v3, -v3, v18, v19
	s_delay_alu instid0(VALU_DEP_1) | instskip(NEXT) | instid1(VALU_DEP_1)
	v_div_fmas_f32 v3, v3, v13, v18
	v_div_fixup_f32 v23, v3, v2, v12
.LBB63_758:                             ;   in Loop: Header=BB63_418 Depth=1
	s_or_b32 exec_lo, exec_lo, s25
	s_delay_alu instid0(SALU_CYCLE_1) | instskip(SKIP_1) | instid1(SALU_CYCLE_1)
	s_and_not1_b32 s0, s22, exec_lo
	s_and_b32 s22, s24, exec_lo
	s_or_b32 s22, s0, s22
.LBB63_759:                             ;   in Loop: Header=BB63_418 Depth=1
	s_or_b32 exec_lo, exec_lo, s23
	s_delay_alu instid0(SALU_CYCLE_1)
	s_and_b32 s22, s22, exec_lo
                                        ; implicit-def: $vgpr2
.LBB63_760:                             ;   in Loop: Header=BB63_418 Depth=1
	s_and_not1_saveexec_b32 s23, s1
	s_cbranch_execz .LBB63_762
; %bb.761:                              ;   in Loop: Header=BB63_418 Depth=1
	v_add_f32_e32 v2, 1.0, v2
	v_mul_f32_e64 v3, 0x4f800000, |v5|
	v_cmp_gt_f32_e64 vcc_lo, 0xf800000, |v5|
	s_or_b32 s22, s22, exec_lo
	s_delay_alu instid0(VALU_DEP_3) | instskip(NEXT) | instid1(VALU_DEP_2)
	v_mul_f32_e32 v2, 0.5, v2
	v_cndmask_b32_e64 v3, |v5|, v3, vcc_lo
	s_delay_alu instid0(VALU_DEP_2) | instskip(SKIP_1) | instid1(VALU_DEP_1)
	v_mul_f32_e32 v12, 0x4f800000, v2
	v_cmp_gt_f32_e64 s0, 0xf800000, v2
	v_cndmask_b32_e64 v2, v2, v12, s0
	s_delay_alu instid0(VALU_DEP_4) | instskip(NEXT) | instid1(VALU_DEP_1)
	v_sqrt_f32_e32 v12, v3
	v_sqrt_f32_e32 v13, v2
	s_waitcnt_depctr 0xfff
	v_add_nc_u32_e32 v18, -1, v12
	v_add_nc_u32_e32 v22, 1, v12
	v_add_nc_u32_e32 v19, -1, v13
	s_delay_alu instid0(VALU_DEP_3) | instskip(SKIP_1) | instid1(VALU_DEP_4)
	v_fma_f32 v23, -v18, v12, v3
	v_add_nc_u32_e32 v24, 1, v13
	v_fma_f32 v26, -v22, v12, v3
	s_delay_alu instid0(VALU_DEP_4) | instskip(NEXT) | instid1(VALU_DEP_4)
	v_fma_f32 v25, -v19, v13, v2
	v_cmp_ge_f32_e64 s1, 0, v23
	s_delay_alu instid0(VALU_DEP_1) | instskip(NEXT) | instid1(VALU_DEP_3)
	v_cndmask_b32_e64 v12, v12, v18, s1
	v_cmp_ge_f32_e64 s1, 0, v25
	v_fma_f32 v18, -v24, v13, v2
	s_delay_alu instid0(VALU_DEP_2) | instskip(SKIP_1) | instid1(VALU_DEP_1)
	v_cndmask_b32_e64 v13, v13, v19, s1
	v_cmp_lt_f32_e64 s1, 0, v26
	v_cndmask_b32_e64 v12, v12, v22, s1
	s_delay_alu instid0(VALU_DEP_4) | instskip(SKIP_1) | instid1(VALU_DEP_3)
	v_cmp_lt_f32_e64 s1, 0, v18
	v_mov_b32_e32 v22, 1.0
	v_mul_f32_e32 v18, 0x37800000, v12
	s_delay_alu instid0(VALU_DEP_3) | instskip(NEXT) | instid1(VALU_DEP_1)
	v_cndmask_b32_e64 v13, v13, v24, s1
	v_dual_cndmask_b32 v12, v12, v18 :: v_dual_mul_f32 v19, 0x37800000, v13
	v_cmp_class_f32_e64 vcc_lo, v3, 0x260
	s_delay_alu instid0(VALU_DEP_2) | instskip(NEXT) | instid1(VALU_DEP_3)
	v_cndmask_b32_e64 v13, v13, v19, s0
	v_cndmask_b32_e32 v3, v12, v3, vcc_lo
	v_cmp_class_f32_e64 vcc_lo, v2, 0x260
	s_delay_alu instid0(VALU_DEP_3) | instskip(NEXT) | instid1(VALU_DEP_1)
	v_cndmask_b32_e32 v2, v13, v2, vcc_lo
	v_mul_f32_e32 v23, v3, v2
.LBB63_762:                             ;   in Loop: Header=BB63_418 Depth=1
	s_or_b32 exec_lo, exec_lo, s23
	s_delay_alu instid0(SALU_CYCLE_1)
	s_and_b32 s0, s22, exec_lo
.LBB63_763:                             ;   in Loop: Header=BB63_418 Depth=1
	s_or_b32 exec_lo, exec_lo, s21
	s_delay_alu instid0(SALU_CYCLE_1)
	s_and_b32 s0, s0, exec_lo
                                        ; implicit-def: $vgpr2
.LBB63_764:                             ;   in Loop: Header=BB63_418 Depth=1
	s_and_not1_saveexec_b32 s1, s20
; %bb.765:                              ;   in Loop: Header=BB63_418 Depth=1
	v_mul_f32_e32 v23, 0x4b800000, v2
	v_mul_f32_e64 v22, 0x4b800000, |v4|
	s_or_b32 s0, s0, exec_lo
                                        ; implicit-def: $vgpr21
; %bb.766:                              ;   in Loop: Header=BB63_418 Depth=1
	s_or_b32 exec_lo, exec_lo, s1
	s_xor_b32 s0, s0, -1
                                        ; implicit-def: $vgpr2
	s_delay_alu instid0(SALU_CYCLE_1) | instskip(NEXT) | instid1(SALU_CYCLE_1)
	s_and_saveexec_b32 s1, s0
	s_xor_b32 s0, exec_lo, s1
	s_cbranch_execz .LBB63_768
; %bb.767:                              ;   in Loop: Header=BB63_418 Depth=1
	v_fma_f32 v2, |v21|, -0.5, 0.5
	v_mul_f32_e32 v3, v21, v21
	v_cmp_ge_f32_e64 vcc_lo, |v21|, 0.5
                                        ; implicit-def: $vgpr22
                                        ; implicit-def: $vgpr23
	s_delay_alu instid0(VALU_DEP_2) | instskip(SKIP_1) | instid1(VALU_DEP_2)
	v_cndmask_b32_e32 v2, v3, v2, vcc_lo
	v_cmp_lt_f32_e64 vcc_lo, |v21|, 0.5
	v_fmaak_f32 v3, s14, v2, 0x3c5fc5da
	v_sqrt_f32_e32 v12, v2
	s_delay_alu instid0(VALU_DEP_1) | instskip(NEXT) | instid1(VALU_DEP_1)
	v_fmaak_f32 v3, v2, v3, 0x3d034c3c
	v_fmaak_f32 v3, v2, v3, 0x3d3641b1
	s_delay_alu instid0(VALU_DEP_1) | instskip(NEXT) | instid1(VALU_DEP_1)
	v_fmaak_f32 v3, v2, v3, 0x3d999bc8
	v_fmaak_f32 v3, v2, v3, 0x3e2aaaac
	s_delay_alu instid0(VALU_DEP_1) | instskip(SKIP_3) | instid1(VALU_DEP_2)
	v_mul_f32_e32 v2, v2, v3
	s_waitcnt_depctr 0xfff
	v_fmac_f32_e32 v12, v12, v2
	v_fma_f32 v2, |v21|, v2, |v21|
	v_add_f32_e32 v3, v12, v12
	s_delay_alu instid0(VALU_DEP_1) | instskip(NEXT) | instid1(VALU_DEP_1)
	v_sub_f32_e32 v3, 0x3fc90fdb, v3
	v_cndmask_b32_e32 v2, v3, v2, vcc_lo
	s_delay_alu instid0(VALU_DEP_1)
	v_bfi_b32 v2, 0x7fffffff, v2, v21
.LBB63_768:                             ;   in Loop: Header=BB63_418 Depth=1
	s_and_not1_saveexec_b32 s20, s0
	s_cbranch_execz .LBB63_770
; %bb.769:                              ;   in Loop: Header=BB63_418 Depth=1
	v_max_f32_e32 v2, v22, v22
	v_max_f32_e64 v3, |v23|, |v23|
	v_cmp_gt_f32_e64 vcc_lo, v22, |v23|
	v_cmp_eq_f32_e64 s1, 0, v22
	v_cmp_class_f32_e64 s21, v23, 0x204
	v_cmp_eq_f32_e64 s0, 0x7f800000, v22
	v_max_f32_e32 v12, v3, v2
	v_min_f32_e32 v2, v3, v2
	s_delay_alu instid0(VALU_DEP_2) | instskip(SKIP_1) | instid1(VALU_DEP_2)
	v_frexp_mant_f32_e32 v13, v12
	v_frexp_exp_i32_f32_e32 v12, v12
	v_rcp_f32_e32 v3, v13
	s_delay_alu instid0(VALU_DEP_3) | instskip(SKIP_1) | instid1(VALU_DEP_2)
	v_frexp_exp_i32_f32_e32 v13, v2
	v_frexp_mant_f32_e32 v2, v2
	v_sub_nc_u32_e32 v12, v13, v12
	s_waitcnt_depctr 0xfff
	v_mul_f32_e32 v2, v2, v3
	s_delay_alu instid0(VALU_DEP_1) | instskip(NEXT) | instid1(VALU_DEP_1)
	v_ldexp_f32 v2, v2, v12
	v_mul_f32_e32 v3, v2, v2
	s_delay_alu instid0(VALU_DEP_1) | instskip(NEXT) | instid1(VALU_DEP_1)
	v_fmaak_f32 v12, s15, v3, 0xbc7a590c
	v_fmaak_f32 v12, v3, v12, 0x3d29fb3f
	s_delay_alu instid0(VALU_DEP_1) | instskip(NEXT) | instid1(VALU_DEP_1)
	v_fmaak_f32 v12, v3, v12, 0xbd97d4d7
	v_fmaak_f32 v12, v3, v12, 0x3dd931b2
	;; [unrolled: 3-line block ×3, first 2 shown]
	s_delay_alu instid0(VALU_DEP_1) | instskip(NEXT) | instid1(VALU_DEP_1)
	v_fmaak_f32 v12, v3, v12, 0xbeaaaa62
	v_mul_f32_e32 v3, v3, v12
	s_delay_alu instid0(VALU_DEP_1) | instskip(NEXT) | instid1(VALU_DEP_1)
	v_fmac_f32_e32 v2, v2, v3
	v_sub_f32_e32 v3, 0x3fc90fdb, v2
	s_delay_alu instid0(VALU_DEP_1) | instskip(SKIP_1) | instid1(VALU_DEP_2)
	v_cndmask_b32_e32 v2, v2, v3, vcc_lo
	v_cmp_gt_i32_e32 vcc_lo, 0, v23
	v_sub_f32_e32 v3, 0x40490fdb, v2
	v_cndmask_b32_e64 v12, 0, 0x40490fdb, vcc_lo
	v_cmp_gt_f32_e32 vcc_lo, 0, v23
	s_delay_alu instid0(VALU_DEP_3) | instskip(SKIP_2) | instid1(VALU_DEP_2)
	v_cndmask_b32_e32 v2, v2, v3, vcc_lo
	v_cndmask_b32_e32 v3, 0x3f490fdb, v17, vcc_lo
	s_and_b32 vcc_lo, s0, s21
	v_cndmask_b32_e64 v2, v2, v12, s1
	s_delay_alu instid0(VALU_DEP_1) | instskip(SKIP_1) | instid1(VALU_DEP_2)
	v_cndmask_b32_e32 v2, v2, v3, vcc_lo
	v_cmp_o_f32_e32 vcc_lo, v23, v22
	v_cndmask_b32_e64 v2, 0x7fc00000, |v2|, vcc_lo
.LBB63_770:                             ;   in Loop: Header=BB63_418 Depth=1
	s_or_b32 exec_lo, exec_lo, s20
	v_bfi_b32 v5, 0x7fffffff, v20, v5
	s_delay_alu instid0(VALU_DEP_2)
	v_bfi_b32 v4, 0x7fffffff, v2, v4
.LBB63_771:                             ;   in Loop: Header=BB63_418 Depth=1
	s_or_b32 exec_lo, exec_lo, s19
.LBB63_772:                             ;   in Loop: Header=BB63_418 Depth=1
	s_delay_alu instid0(SALU_CYCLE_1) | instskip(NEXT) | instid1(VALU_DEP_1)
	s_or_b32 exec_lo, exec_lo, s18
	v_dual_mov_b32 v12, v4 :: v_dual_mov_b32 v13, v5
                                        ; implicit-def: $vgpr2_vgpr3_vgpr4_vgpr5
                                        ; implicit-def: $vgpr2
                                        ; implicit-def: $vgpr18
                                        ; implicit-def: $vgpr3
.LBB63_773:                             ;   in Loop: Header=BB63_418 Depth=1
	s_and_not1_saveexec_b32 s17, s17
	s_cbranch_execz .LBB63_795
; %bb.774:                              ;   in Loop: Header=BB63_418 Depth=1
                                        ; implicit-def: $vgpr12
                                        ; implicit-def: $vgpr13
	s_mov_b32 s0, exec_lo
	v_cmpx_lt_i32_e32 -1, v5
	s_xor_b32 s18, exec_lo, s0
	s_cbranch_execz .LBB63_784
; %bb.775:                              ;   in Loop: Header=BB63_418 Depth=1
	v_cmp_lt_f32_e64 s0, |v5|, |v4|
                                        ; implicit-def: $vgpr12
                                        ; implicit-def: $vgpr13
	s_mov_b32 s1, exec_lo
	s_delay_alu instid0(VALU_DEP_1) | instskip(NEXT) | instid1(VALU_DEP_1)
	v_cndmask_b32_e64 v19, |v5|, |v4|, s0
	v_cmpx_nlt_f32_e32 0x7effffff, v19
	s_xor_b32 s19, exec_lo, s1
	s_cbranch_execz .LBB63_781
; %bb.776:                              ;   in Loop: Header=BB63_418 Depth=1
	v_cndmask_b32_e64 v20, |v4|, |v5|, s0
	v_cmp_nlt_f32_e32 vcc_lo, 0x5e000000, v19
                                        ; implicit-def: $vgpr12
                                        ; implicit-def: $vgpr13
	s_delay_alu instid0(VALU_DEP_2) | instskip(NEXT) | instid1(VALU_DEP_1)
	v_cmp_ngt_f32_e64 s1, 0x20000000, v20
	s_and_b32 s1, vcc_lo, s1
	s_delay_alu instid0(SALU_CYCLE_1) | instskip(NEXT) | instid1(SALU_CYCLE_1)
	s_and_saveexec_b32 s20, s1
	s_xor_b32 s20, exec_lo, s20
	s_cbranch_execz .LBB63_778
; %bb.777:                              ;   in Loop: Header=BB63_418 Depth=1
	s_waitcnt lgkmcnt(0)
	v_frexp_mant_f32_e32 v12, v3
	v_min_f32_e32 v2, v2, v18
	v_mul_f32_e32 v18, v20, v20
	v_frexp_exp_i32_f32_e32 v3, v3
	s_delay_alu instid0(VALU_DEP_4) | instskip(NEXT) | instid1(VALU_DEP_3)
	v_rcp_f32_e32 v12, v12
	v_frexp_mant_f32_e32 v13, v2
	v_frexp_exp_i32_f32_e32 v2, v2
	v_fmac_f32_e32 v18, v19, v19
	s_delay_alu instid0(VALU_DEP_2) | instskip(NEXT) | instid1(VALU_DEP_2)
	v_sub_nc_u32_e32 v2, v2, v3
	v_cmp_gt_f32_e32 vcc_lo, 0x800000, v18
	s_waitcnt_depctr 0xfff
	v_mul_f32_e32 v12, v13, v12
	v_cndmask_b32_e64 v3, 1.0, 0x4f800000, vcc_lo
	s_delay_alu instid0(VALU_DEP_2) | instskip(NEXT) | instid1(VALU_DEP_1)
	v_ldexp_f32 v13, v12, v2
	v_dual_mul_f32 v2, v18, v3 :: v_dual_mul_f32 v3, v13, v13
	s_delay_alu instid0(VALU_DEP_1) | instskip(NEXT) | instid1(VALU_DEP_1)
	v_fmaak_f32 v12, s15, v3, 0xbc7a590c
	v_fmaak_f32 v12, v3, v12, 0x3d29fb3f
	s_delay_alu instid0(VALU_DEP_1) | instskip(NEXT) | instid1(VALU_DEP_1)
	v_fmaak_f32 v12, v3, v12, 0xbd97d4d7
	v_fmaak_f32 v12, v3, v12, 0x3dd931b2
	;; [unrolled: 3-line block ×3, first 2 shown]
	s_delay_alu instid0(VALU_DEP_1) | instskip(NEXT) | instid1(VALU_DEP_1)
	v_fmaak_f32 v12, v3, v12, 0xbeaaaa62
	v_mul_f32_e32 v3, v3, v12
	v_log_f32_e32 v2, v2
	s_delay_alu instid0(VALU_DEP_1) | instskip(SKIP_3) | instid1(VALU_DEP_2)
	v_fmac_f32_e32 v13, v13, v3
                                        ; implicit-def: $vgpr3
	s_waitcnt_depctr 0xfff
	v_mul_f32_e32 v18, 0x3f317217, v2
	v_cmp_gt_f32_e64 s1, 0x7f800000, |v2|
	v_fma_f32 v19, 0x3f317217, v2, -v18
	s_delay_alu instid0(VALU_DEP_1) | instskip(NEXT) | instid1(VALU_DEP_1)
	v_fmac_f32_e32 v19, 0x3377d1cf, v2
	v_add_f32_e32 v18, v18, v19
	s_delay_alu instid0(VALU_DEP_1) | instskip(SKIP_1) | instid1(VALU_DEP_1)
	v_cndmask_b32_e64 v2, v2, v18, s1
	v_cndmask_b32_e64 v18, 0, 0x41b17218, vcc_lo
	v_sub_f32_e32 v2, v2, v18
                                        ; implicit-def: $vgpr18
	s_delay_alu instid0(VALU_DEP_1)
	v_mul_f32_e32 v12, 0.5, v2
                                        ; implicit-def: $vgpr2
.LBB63_778:                             ;   in Loop: Header=BB63_418 Depth=1
	s_and_not1_saveexec_b32 s1, s20
	s_cbranch_execz .LBB63_780
; %bb.779:                              ;   in Loop: Header=BB63_418 Depth=1
	s_waitcnt lgkmcnt(0)
	v_cvt_f64_f32_e32 v[12:13], v3
	v_cmp_neq_f32_e32 vcc_lo, 0x7f800000, v3
	v_min_f32_e32 v2, v2, v18
	v_frexp_exp_i32_f32_e32 v18, v3
	s_delay_alu instid0(VALU_DEP_2) | instskip(SKIP_1) | instid1(VALU_DEP_2)
	v_frexp_exp_i32_f32_e32 v20, v2
	v_frexp_mant_f32_e32 v2, v2
	v_sub_nc_u32_e32 v18, v20, v18
	v_frexp_exp_i32_f64_e32 v12, v[12:13]
	s_delay_alu instid0(VALU_DEP_1) | instskip(NEXT) | instid1(VALU_DEP_1)
	v_sub_nc_u32_e32 v13, 0, v12
	v_ldexp_f32 v19, |v4|, v13
	v_ldexp_f32 v13, |v5|, v13
	s_delay_alu instid0(VALU_DEP_2) | instskip(NEXT) | instid1(VALU_DEP_1)
	v_mul_f32_e32 v19, v19, v19
	v_fmac_f32_e32 v19, v13, v13
	v_frexp_mant_f32_e32 v13, v3
	s_delay_alu instid0(VALU_DEP_2) | instskip(NEXT) | instid1(VALU_DEP_1)
	v_sqrt_f32_e32 v19, v19
	v_rcp_f32_e32 v13, v13
	s_waitcnt_depctr 0xfff
	v_ldexp_f32 v12, v19, v12
	s_delay_alu instid0(VALU_DEP_1) | instskip(NEXT) | instid1(VALU_DEP_1)
	v_dual_mul_f32 v2, v2, v13 :: v_dual_cndmask_b32 v3, 0x7f800000, v12
	v_ldexp_f32 v13, v2, v18
	s_delay_alu instid0(VALU_DEP_2) | instskip(SKIP_1) | instid1(VALU_DEP_1)
	v_cmp_gt_f32_e32 vcc_lo, 0x800000, v3
	v_cndmask_b32_e64 v2, 1.0, 0x4f800000, vcc_lo
	v_mul_f32_e32 v2, v3, v2
	s_delay_alu instid0(VALU_DEP_1) | instskip(SKIP_2) | instid1(VALU_DEP_1)
	v_log_f32_e32 v2, v2
	s_waitcnt_depctr 0xfff
	v_mul_f32_e32 v18, 0x3f317217, v2
	v_fma_f32 v19, 0x3f317217, v2, -v18
	s_delay_alu instid0(VALU_DEP_1) | instskip(NEXT) | instid1(VALU_DEP_1)
	v_dual_mul_f32 v12, v13, v13 :: v_dual_fmac_f32 v19, 0x3377d1cf, v2
	v_dual_fmaak_f32 v3, s15, v12, 0xbc7a590c :: v_dual_add_f32 v18, v18, v19
	v_cndmask_b32_e64 v19, 0, 0x41b17218, vcc_lo
	v_cmp_gt_f32_e64 vcc_lo, 0x7f800000, |v2|
	s_delay_alu instid0(VALU_DEP_3) | instskip(NEXT) | instid1(VALU_DEP_1)
	v_dual_fmaak_f32 v3, v12, v3, 0x3d29fb3f :: v_dual_cndmask_b32 v2, v2, v18
	v_fmaak_f32 v3, v12, v3, 0xbd97d4d7
	s_delay_alu instid0(VALU_DEP_1) | instskip(NEXT) | instid1(VALU_DEP_1)
	v_fmaak_f32 v3, v12, v3, 0x3dd931b2
	v_fmaak_f32 v3, v12, v3, 0xbe1160e6
	s_delay_alu instid0(VALU_DEP_1) | instskip(NEXT) | instid1(VALU_DEP_1)
	v_fmaak_f32 v3, v12, v3, 0x3e4cb8bf
	v_fmaak_f32 v3, v12, v3, 0xbeaaaa62
	s_delay_alu instid0(VALU_DEP_1) | instskip(SKIP_1) | instid1(VALU_DEP_2)
	v_mul_f32_e32 v3, v12, v3
	v_sub_f32_e32 v12, v2, v19
	v_fmac_f32_e32 v13, v13, v3
.LBB63_780:                             ;   in Loop: Header=BB63_418 Depth=1
	s_or_b32 exec_lo, exec_lo, s1
                                        ; implicit-def: $vgpr2
                                        ; implicit-def: $vgpr18
                                        ; implicit-def: $vgpr3
.LBB63_781:                             ;   in Loop: Header=BB63_418 Depth=1
	s_and_not1_saveexec_b32 s19, s19
	s_cbranch_execz .LBB63_783
; %bb.782:                              ;   in Loop: Header=BB63_418 Depth=1
	v_div_scale_f32 v12, null, 0x402df854, 0x402df854, v5
	v_div_scale_f32 v13, null, 0x402df854, 0x402df854, v4
	v_div_scale_f32 v23, vcc_lo, v5, 0x402df854, v5
	s_delay_alu instid0(VALU_DEP_3) | instskip(NEXT) | instid1(VALU_DEP_2)
	v_rcp_f32_e32 v19, v12
	v_rcp_f32_e32 v20, v13
	v_min_f32_e32 v2, v2, v18
	s_waitcnt_depctr 0xfff
	v_fma_f32 v21, -v12, v19, 1.0
	v_fma_f32 v22, -v13, v20, 1.0
	s_delay_alu instid0(VALU_DEP_1) | instskip(SKIP_1) | instid1(VALU_DEP_2)
	v_dual_fmac_f32 v19, v21, v19 :: v_dual_fmac_f32 v20, v22, v20
	v_div_scale_f32 v21, s1, v4, 0x402df854, v4
	v_mul_f32_e32 v22, v23, v19
	s_waitcnt lgkmcnt(0)
	s_delay_alu instid0(VALU_DEP_2) | instskip(NEXT) | instid1(VALU_DEP_2)
	v_mul_f32_e32 v24, v21, v20
	v_fma_f32 v25, -v12, v22, v23
	s_delay_alu instid0(VALU_DEP_2) | instskip(NEXT) | instid1(VALU_DEP_2)
	v_fma_f32 v26, -v13, v24, v21
	v_fmac_f32_e32 v22, v25, v19
	s_delay_alu instid0(VALU_DEP_2) | instskip(NEXT) | instid1(VALU_DEP_2)
	v_fmac_f32_e32 v24, v26, v20
	v_fma_f32 v12, -v12, v22, v23
	s_delay_alu instid0(VALU_DEP_2) | instskip(NEXT) | instid1(VALU_DEP_2)
	v_fma_f32 v13, -v13, v24, v21
	v_div_fmas_f32 v12, v12, v19, v22
	s_mov_b32 vcc_lo, s1
	s_delay_alu instid0(VALU_DEP_2) | instskip(NEXT) | instid1(VALU_DEP_2)
	v_div_fmas_f32 v13, v13, v20, v24
	v_div_fixup_f32 v19, v12, 0x402df854, v5
	s_delay_alu instid0(VALU_DEP_2) | instskip(NEXT) | instid1(VALU_DEP_1)
	v_div_fixup_f32 v20, v13, 0x402df854, v4
	v_max_f32_e64 v21, |v19|, |v20|
	s_delay_alu instid0(VALU_DEP_1) | instskip(SKIP_1) | instid1(VALU_DEP_2)
	v_cvt_f64_f32_e32 v[12:13], v21
	v_cmp_neq_f32_e32 vcc_lo, 0x7f800000, v21
	v_frexp_exp_i32_f64_e32 v12, v[12:13]
	s_delay_alu instid0(VALU_DEP_1) | instskip(NEXT) | instid1(VALU_DEP_1)
	v_sub_nc_u32_e32 v13, 0, v12
	v_ldexp_f32 v20, |v20|, v13
	v_ldexp_f32 v13, |v19|, v13
	s_delay_alu instid0(VALU_DEP_2) | instskip(NEXT) | instid1(VALU_DEP_1)
	v_mul_f32_e32 v19, v20, v20
	v_fmac_f32_e32 v19, v13, v13
	s_delay_alu instid0(VALU_DEP_1) | instskip(SKIP_2) | instid1(VALU_DEP_2)
	v_sqrt_f32_e32 v13, v19
	v_frexp_mant_f32_e32 v19, v3
	v_frexp_exp_i32_f32_e32 v3, v3
	v_rcp_f32_e32 v18, v19
	s_waitcnt_depctr 0xfff
	v_ldexp_f32 v12, v13, v12
	v_frexp_exp_i32_f32_e32 v13, v2
	v_frexp_mant_f32_e32 v2, v2
	s_delay_alu instid0(VALU_DEP_2) | instskip(NEXT) | instid1(VALU_DEP_2)
	v_sub_nc_u32_e32 v3, v13, v3
	v_mul_f32_e32 v2, v2, v18
	s_delay_alu instid0(VALU_DEP_1) | instskip(NEXT) | instid1(VALU_DEP_1)
	v_ldexp_f32 v13, v2, v3
	v_dual_cndmask_b32 v12, 0x7f800000, v12 :: v_dual_mul_f32 v3, v13, v13
	s_delay_alu instid0(VALU_DEP_1) | instskip(SKIP_1) | instid1(VALU_DEP_1)
	v_cmp_gt_f32_e32 vcc_lo, 0x800000, v12
	v_cndmask_b32_e64 v18, 1.0, 0x4f800000, vcc_lo
	v_mul_f32_e32 v2, v12, v18
	s_delay_alu instid0(VALU_DEP_4) | instskip(NEXT) | instid1(VALU_DEP_2)
	v_fmaak_f32 v12, s15, v3, 0xbc7a590c
	v_log_f32_e32 v2, v2
	s_delay_alu instid0(VALU_DEP_1) | instskip(NEXT) | instid1(VALU_DEP_1)
	v_fmaak_f32 v12, v3, v12, 0x3d29fb3f
	v_fmaak_f32 v12, v3, v12, 0xbd97d4d7
	s_waitcnt_depctr 0xfff
	v_mul_f32_e32 v18, 0x3f317217, v2
	v_fmaak_f32 v12, v3, v12, 0x3dd931b2
	s_delay_alu instid0(VALU_DEP_2) | instskip(NEXT) | instid1(VALU_DEP_2)
	v_fma_f32 v19, 0x3f317217, v2, -v18
	v_fmaak_f32 v12, v3, v12, 0xbe1160e6
	s_delay_alu instid0(VALU_DEP_2) | instskip(NEXT) | instid1(VALU_DEP_2)
	v_fmac_f32_e32 v19, 0x3377d1cf, v2
	v_fmaak_f32 v12, v3, v12, 0x3e4cb8bf
	s_delay_alu instid0(VALU_DEP_2) | instskip(SKIP_2) | instid1(VALU_DEP_4)
	v_add_f32_e32 v18, v18, v19
	v_cndmask_b32_e64 v19, 0, 0x41b17218, vcc_lo
	v_cmp_gt_f32_e64 vcc_lo, 0x7f800000, |v2|
	v_fmaak_f32 v12, v3, v12, 0xbeaaaa62
	s_delay_alu instid0(VALU_DEP_1) | instskip(NEXT) | instid1(VALU_DEP_1)
	v_dual_cndmask_b32 v2, v2, v18 :: v_dual_mul_f32 v3, v3, v12
	v_sub_f32_e32 v2, v2, v19
	s_delay_alu instid0(VALU_DEP_1)
	v_dual_fmac_f32 v13, v13, v3 :: v_dual_add_f32 v12, 1.0, v2
.LBB63_783:                             ;   in Loop: Header=BB63_418 Depth=1
	s_or_b32 exec_lo, exec_lo, s19
	s_delay_alu instid0(VALU_DEP_1) | instskip(NEXT) | instid1(VALU_DEP_1)
	v_sub_f32_e32 v2, 0x3fc90fdb, v13
                                        ; implicit-def: $vgpr18
                                        ; implicit-def: $vgpr3
	v_cndmask_b32_e64 v13, v13, v2, s0
                                        ; implicit-def: $vgpr2
.LBB63_784:                             ;   in Loop: Header=BB63_418 Depth=1
	s_and_not1_saveexec_b32 s18, s18
	s_cbranch_execz .LBB63_794
; %bb.785:                              ;   in Loop: Header=BB63_418 Depth=1
	v_cmp_lt_f32_e64 s0, |v5|, |v4|
                                        ; implicit-def: $vgpr12
                                        ; implicit-def: $vgpr13
	s_mov_b32 s1, exec_lo
	s_delay_alu instid0(VALU_DEP_1) | instskip(NEXT) | instid1(VALU_DEP_1)
	v_cndmask_b32_e64 v19, |v5|, |v4|, s0
	v_cmpx_nlt_f32_e32 0x7effffff, v19
	s_xor_b32 s19, exec_lo, s1
	s_cbranch_execz .LBB63_791
; %bb.786:                              ;   in Loop: Header=BB63_418 Depth=1
	v_cndmask_b32_e64 v20, |v4|, |v5|, s0
	v_cmp_nlt_f32_e32 vcc_lo, 0x5e000000, v19
                                        ; implicit-def: $vgpr12
                                        ; implicit-def: $vgpr13
	s_delay_alu instid0(VALU_DEP_2) | instskip(NEXT) | instid1(VALU_DEP_1)
	v_cmp_ngt_f32_e64 s1, 0x20000000, v20
	s_and_b32 s1, vcc_lo, s1
	s_delay_alu instid0(SALU_CYCLE_1) | instskip(NEXT) | instid1(SALU_CYCLE_1)
	s_and_saveexec_b32 s20, s1
	s_xor_b32 s20, exec_lo, s20
	s_cbranch_execz .LBB63_788
; %bb.787:                              ;   in Loop: Header=BB63_418 Depth=1
	s_waitcnt lgkmcnt(0)
	v_frexp_mant_f32_e32 v12, v3
	v_min_f32_e32 v2, v2, v18
	v_mul_f32_e32 v18, v20, v20
	v_frexp_exp_i32_f32_e32 v3, v3
	s_delay_alu instid0(VALU_DEP_4) | instskip(NEXT) | instid1(VALU_DEP_3)
	v_rcp_f32_e32 v12, v12
	v_frexp_mant_f32_e32 v13, v2
	v_frexp_exp_i32_f32_e32 v2, v2
	v_fmac_f32_e32 v18, v19, v19
	s_delay_alu instid0(VALU_DEP_2) | instskip(NEXT) | instid1(VALU_DEP_2)
	v_sub_nc_u32_e32 v2, v2, v3
	v_cmp_gt_f32_e32 vcc_lo, 0x800000, v18
	s_waitcnt_depctr 0xfff
	v_mul_f32_e32 v12, v13, v12
	v_cndmask_b32_e64 v3, 1.0, 0x4f800000, vcc_lo
	s_delay_alu instid0(VALU_DEP_2) | instskip(NEXT) | instid1(VALU_DEP_1)
	v_ldexp_f32 v13, v12, v2
	v_dual_mul_f32 v2, v18, v3 :: v_dual_mul_f32 v3, v13, v13
	s_delay_alu instid0(VALU_DEP_1) | instskip(NEXT) | instid1(VALU_DEP_1)
	v_fmaak_f32 v12, s15, v3, 0xbc7a590c
	v_fmaak_f32 v12, v3, v12, 0x3d29fb3f
	s_delay_alu instid0(VALU_DEP_1) | instskip(NEXT) | instid1(VALU_DEP_1)
	v_fmaak_f32 v12, v3, v12, 0xbd97d4d7
	v_fmaak_f32 v12, v3, v12, 0x3dd931b2
	;; [unrolled: 3-line block ×3, first 2 shown]
	s_delay_alu instid0(VALU_DEP_1) | instskip(NEXT) | instid1(VALU_DEP_1)
	v_fmaak_f32 v12, v3, v12, 0xbeaaaa62
	v_mul_f32_e32 v3, v3, v12
	v_log_f32_e32 v2, v2
	s_delay_alu instid0(VALU_DEP_1) | instskip(SKIP_3) | instid1(VALU_DEP_2)
	v_fmac_f32_e32 v13, v13, v3
                                        ; implicit-def: $vgpr3
	s_waitcnt_depctr 0xfff
	v_mul_f32_e32 v18, 0x3f317217, v2
	v_cmp_gt_f32_e64 s1, 0x7f800000, |v2|
	v_fma_f32 v19, 0x3f317217, v2, -v18
	s_delay_alu instid0(VALU_DEP_1) | instskip(NEXT) | instid1(VALU_DEP_1)
	v_fmac_f32_e32 v19, 0x3377d1cf, v2
	v_add_f32_e32 v18, v18, v19
	s_delay_alu instid0(VALU_DEP_1) | instskip(SKIP_1) | instid1(VALU_DEP_1)
	v_cndmask_b32_e64 v2, v2, v18, s1
	v_cndmask_b32_e64 v18, 0, 0x41b17218, vcc_lo
	v_sub_f32_e32 v2, v2, v18
                                        ; implicit-def: $vgpr18
	s_delay_alu instid0(VALU_DEP_1)
	v_mul_f32_e32 v12, 0.5, v2
                                        ; implicit-def: $vgpr2
.LBB63_788:                             ;   in Loop: Header=BB63_418 Depth=1
	s_and_not1_saveexec_b32 s1, s20
	s_cbranch_execz .LBB63_790
; %bb.789:                              ;   in Loop: Header=BB63_418 Depth=1
	s_waitcnt lgkmcnt(0)
	v_cvt_f64_f32_e32 v[12:13], v3
	v_cmp_neq_f32_e32 vcc_lo, 0x7f800000, v3
	v_min_f32_e32 v2, v2, v18
	v_frexp_exp_i32_f32_e32 v18, v3
	s_delay_alu instid0(VALU_DEP_2) | instskip(SKIP_1) | instid1(VALU_DEP_2)
	v_frexp_exp_i32_f32_e32 v20, v2
	v_frexp_mant_f32_e32 v2, v2
	v_sub_nc_u32_e32 v18, v20, v18
	v_frexp_exp_i32_f64_e32 v12, v[12:13]
	s_delay_alu instid0(VALU_DEP_1) | instskip(NEXT) | instid1(VALU_DEP_1)
	v_sub_nc_u32_e32 v13, 0, v12
	v_ldexp_f32 v19, |v4|, v13
	v_ldexp_f32 v13, |v5|, v13
	s_delay_alu instid0(VALU_DEP_2) | instskip(NEXT) | instid1(VALU_DEP_1)
	v_mul_f32_e32 v19, v19, v19
	v_fmac_f32_e32 v19, v13, v13
	v_frexp_mant_f32_e32 v13, v3
	s_delay_alu instid0(VALU_DEP_2) | instskip(NEXT) | instid1(VALU_DEP_1)
	v_sqrt_f32_e32 v19, v19
	v_rcp_f32_e32 v13, v13
	s_waitcnt_depctr 0xfff
	v_ldexp_f32 v12, v19, v12
	s_delay_alu instid0(VALU_DEP_1) | instskip(NEXT) | instid1(VALU_DEP_1)
	v_dual_mul_f32 v2, v2, v13 :: v_dual_cndmask_b32 v3, 0x7f800000, v12
	v_ldexp_f32 v13, v2, v18
	s_delay_alu instid0(VALU_DEP_2) | instskip(SKIP_1) | instid1(VALU_DEP_1)
	v_cmp_gt_f32_e32 vcc_lo, 0x800000, v3
	v_cndmask_b32_e64 v2, 1.0, 0x4f800000, vcc_lo
	v_mul_f32_e32 v2, v3, v2
	s_delay_alu instid0(VALU_DEP_1) | instskip(SKIP_2) | instid1(VALU_DEP_1)
	v_log_f32_e32 v2, v2
	s_waitcnt_depctr 0xfff
	v_mul_f32_e32 v18, 0x3f317217, v2
	v_fma_f32 v19, 0x3f317217, v2, -v18
	s_delay_alu instid0(VALU_DEP_1) | instskip(NEXT) | instid1(VALU_DEP_1)
	v_dual_mul_f32 v12, v13, v13 :: v_dual_fmac_f32 v19, 0x3377d1cf, v2
	v_dual_fmaak_f32 v3, s15, v12, 0xbc7a590c :: v_dual_add_f32 v18, v18, v19
	v_cndmask_b32_e64 v19, 0, 0x41b17218, vcc_lo
	v_cmp_gt_f32_e64 vcc_lo, 0x7f800000, |v2|
	s_delay_alu instid0(VALU_DEP_3) | instskip(NEXT) | instid1(VALU_DEP_1)
	v_dual_fmaak_f32 v3, v12, v3, 0x3d29fb3f :: v_dual_cndmask_b32 v2, v2, v18
	v_fmaak_f32 v3, v12, v3, 0xbd97d4d7
	s_delay_alu instid0(VALU_DEP_1) | instskip(NEXT) | instid1(VALU_DEP_1)
	v_fmaak_f32 v3, v12, v3, 0x3dd931b2
	v_fmaak_f32 v3, v12, v3, 0xbe1160e6
	s_delay_alu instid0(VALU_DEP_1) | instskip(NEXT) | instid1(VALU_DEP_1)
	v_fmaak_f32 v3, v12, v3, 0x3e4cb8bf
	v_fmaak_f32 v3, v12, v3, 0xbeaaaa62
	s_delay_alu instid0(VALU_DEP_1) | instskip(SKIP_1) | instid1(VALU_DEP_2)
	v_mul_f32_e32 v3, v12, v3
	v_sub_f32_e32 v12, v2, v19
	v_fmac_f32_e32 v13, v13, v3
.LBB63_790:                             ;   in Loop: Header=BB63_418 Depth=1
	s_or_b32 exec_lo, exec_lo, s1
                                        ; implicit-def: $vgpr2
                                        ; implicit-def: $vgpr18
                                        ; implicit-def: $vgpr3
.LBB63_791:                             ;   in Loop: Header=BB63_418 Depth=1
	s_and_not1_saveexec_b32 s19, s19
	s_cbranch_execz .LBB63_793
; %bb.792:                              ;   in Loop: Header=BB63_418 Depth=1
	v_div_scale_f32 v12, null, 0xc02df854, 0xc02df854, v5
	v_div_scale_f32 v13, null, 0xc02df854, 0xc02df854, v4
	v_div_scale_f32 v23, vcc_lo, v5, 0xc02df854, v5
	s_delay_alu instid0(VALU_DEP_3) | instskip(NEXT) | instid1(VALU_DEP_2)
	v_rcp_f32_e32 v19, v12
	v_rcp_f32_e32 v20, v13
	v_min_f32_e32 v2, v2, v18
	s_waitcnt_depctr 0xfff
	v_fma_f32 v21, -v12, v19, 1.0
	v_fma_f32 v22, -v13, v20, 1.0
	s_delay_alu instid0(VALU_DEP_1) | instskip(SKIP_1) | instid1(VALU_DEP_2)
	v_dual_fmac_f32 v19, v21, v19 :: v_dual_fmac_f32 v20, v22, v20
	v_div_scale_f32 v21, s1, v4, 0xc02df854, v4
	v_mul_f32_e32 v22, v23, v19
	s_waitcnt lgkmcnt(0)
	s_delay_alu instid0(VALU_DEP_2) | instskip(NEXT) | instid1(VALU_DEP_2)
	v_mul_f32_e32 v24, v21, v20
	v_fma_f32 v25, -v12, v22, v23
	s_delay_alu instid0(VALU_DEP_2) | instskip(NEXT) | instid1(VALU_DEP_2)
	v_fma_f32 v26, -v13, v24, v21
	v_fmac_f32_e32 v22, v25, v19
	s_delay_alu instid0(VALU_DEP_2) | instskip(NEXT) | instid1(VALU_DEP_2)
	v_fmac_f32_e32 v24, v26, v20
	v_fma_f32 v12, -v12, v22, v23
	s_delay_alu instid0(VALU_DEP_2) | instskip(NEXT) | instid1(VALU_DEP_2)
	v_fma_f32 v13, -v13, v24, v21
	v_div_fmas_f32 v12, v12, v19, v22
	s_mov_b32 vcc_lo, s1
	s_delay_alu instid0(VALU_DEP_2) | instskip(NEXT) | instid1(VALU_DEP_2)
	v_div_fmas_f32 v13, v13, v20, v24
	v_div_fixup_f32 v19, v12, 0xc02df854, v5
	s_delay_alu instid0(VALU_DEP_2) | instskip(NEXT) | instid1(VALU_DEP_1)
	v_div_fixup_f32 v20, v13, 0xc02df854, v4
	v_max_f32_e64 v21, |v19|, |v20|
	s_delay_alu instid0(VALU_DEP_1) | instskip(SKIP_1) | instid1(VALU_DEP_2)
	v_cvt_f64_f32_e32 v[12:13], v21
	v_cmp_neq_f32_e32 vcc_lo, 0x7f800000, v21
	v_frexp_exp_i32_f64_e32 v12, v[12:13]
	s_delay_alu instid0(VALU_DEP_1) | instskip(NEXT) | instid1(VALU_DEP_1)
	v_sub_nc_u32_e32 v13, 0, v12
	v_ldexp_f32 v20, |v20|, v13
	v_ldexp_f32 v13, |v19|, v13
	s_delay_alu instid0(VALU_DEP_2) | instskip(NEXT) | instid1(VALU_DEP_1)
	v_mul_f32_e32 v19, v20, v20
	v_fmac_f32_e32 v19, v13, v13
	s_delay_alu instid0(VALU_DEP_1) | instskip(SKIP_2) | instid1(VALU_DEP_2)
	v_sqrt_f32_e32 v13, v19
	v_frexp_mant_f32_e32 v19, v3
	v_frexp_exp_i32_f32_e32 v3, v3
	v_rcp_f32_e32 v18, v19
	s_waitcnt_depctr 0xfff
	v_ldexp_f32 v12, v13, v12
	v_frexp_exp_i32_f32_e32 v13, v2
	v_frexp_mant_f32_e32 v2, v2
	s_delay_alu instid0(VALU_DEP_2) | instskip(NEXT) | instid1(VALU_DEP_2)
	v_sub_nc_u32_e32 v3, v13, v3
	v_mul_f32_e32 v2, v2, v18
	s_delay_alu instid0(VALU_DEP_1) | instskip(NEXT) | instid1(VALU_DEP_1)
	v_ldexp_f32 v13, v2, v3
	v_dual_cndmask_b32 v12, 0x7f800000, v12 :: v_dual_mul_f32 v3, v13, v13
	s_delay_alu instid0(VALU_DEP_1) | instskip(SKIP_1) | instid1(VALU_DEP_1)
	v_cmp_gt_f32_e32 vcc_lo, 0x800000, v12
	v_cndmask_b32_e64 v18, 1.0, 0x4f800000, vcc_lo
	v_mul_f32_e32 v2, v12, v18
	s_delay_alu instid0(VALU_DEP_4) | instskip(NEXT) | instid1(VALU_DEP_2)
	v_fmaak_f32 v12, s15, v3, 0xbc7a590c
	v_log_f32_e32 v2, v2
	s_delay_alu instid0(VALU_DEP_1) | instskip(NEXT) | instid1(VALU_DEP_1)
	v_fmaak_f32 v12, v3, v12, 0x3d29fb3f
	v_fmaak_f32 v12, v3, v12, 0xbd97d4d7
	s_waitcnt_depctr 0xfff
	v_mul_f32_e32 v18, 0x3f317217, v2
	v_fmaak_f32 v12, v3, v12, 0x3dd931b2
	s_delay_alu instid0(VALU_DEP_2) | instskip(NEXT) | instid1(VALU_DEP_2)
	v_fma_f32 v19, 0x3f317217, v2, -v18
	v_fmaak_f32 v12, v3, v12, 0xbe1160e6
	s_delay_alu instid0(VALU_DEP_2) | instskip(NEXT) | instid1(VALU_DEP_2)
	v_fmac_f32_e32 v19, 0x3377d1cf, v2
	v_fmaak_f32 v12, v3, v12, 0x3e4cb8bf
	s_delay_alu instid0(VALU_DEP_2) | instskip(SKIP_2) | instid1(VALU_DEP_4)
	v_add_f32_e32 v18, v18, v19
	v_cndmask_b32_e64 v19, 0, 0x41b17218, vcc_lo
	v_cmp_gt_f32_e64 vcc_lo, 0x7f800000, |v2|
	v_fmaak_f32 v12, v3, v12, 0xbeaaaa62
	s_delay_alu instid0(VALU_DEP_1) | instskip(NEXT) | instid1(VALU_DEP_1)
	v_dual_cndmask_b32 v2, v2, v18 :: v_dual_mul_f32 v3, v3, v12
	v_sub_f32_e32 v2, v2, v19
	s_delay_alu instid0(VALU_DEP_1)
	v_dual_fmac_f32 v13, v13, v3 :: v_dual_add_f32 v12, 1.0, v2
.LBB63_793:                             ;   in Loop: Header=BB63_418 Depth=1
	s_or_b32 exec_lo, exec_lo, s19
	s_delay_alu instid0(VALU_DEP_1) | instskip(NEXT) | instid1(VALU_DEP_1)
	v_sub_f32_e32 v2, 0x3fc90fdb, v13
	v_cndmask_b32_e64 v13, v13, v2, s0
.LBB63_794:                             ;   in Loop: Header=BB63_418 Depth=1
	s_or_b32 exec_lo, exec_lo, s18
	v_cmp_neq_f32_e32 vcc_lo, 0, v4
	v_cmp_class_f32_e64 s0, v5, 0x204
	v_cmp_class_f32_e64 s1, v4, 0x204
	s_waitcnt lgkmcnt(0)
	v_dual_add_f32 v3, 0x3f317218, v12 :: v_dual_cndmask_b32 v2, 0, v13
	v_cmp_o_f32_e32 vcc_lo, v4, v5
	s_delay_alu instid0(VALU_DEP_3) | instskip(NEXT) | instid1(VALU_DEP_2)
	s_and_b32 s0, s1, s0
	v_bfi_b32 v13, 0x7fffffff, v3, v5
	s_delay_alu instid0(VALU_DEP_3) | instskip(NEXT) | instid1(VALU_DEP_1)
	v_cndmask_b32_e64 v2, v2, 0x3f490fdb, s0
	v_cndmask_b32_e32 v2, 0x7fc00000, v2, vcc_lo
	s_delay_alu instid0(VALU_DEP_1)
	v_bfi_b32 v12, 0x7fffffff, v2, v4
.LBB63_795:                             ;   in Loop: Header=BB63_418 Depth=1
	s_or_b32 exec_lo, exec_lo, s17
                                        ; implicit-def: $vgpr5
.LBB63_796:                             ;   in Loop: Header=BB63_418 Depth=1
	s_and_not1_saveexec_b32 s0, s16
	s_cbranch_execz .LBB63_417
; %bb.797:                              ;   in Loop: Header=BB63_418 Depth=1
	v_cmp_neq_f32_e64 s1, 0x7f800000, |v5|
	s_delay_alu instid0(VALU_DEP_1) | instskip(NEXT) | instid1(SALU_CYCLE_1)
	s_and_saveexec_b32 s16, s1
	s_xor_b32 s1, exec_lo, s16
	s_cbranch_execz .LBB63_807
; %bb.798:                              ;   in Loop: Header=BB63_418 Depth=1
	v_cmp_neq_f32_e64 s16, 0x7f800000, |v4|
	s_delay_alu instid0(VALU_DEP_1) | instskip(NEXT) | instid1(SALU_CYCLE_1)
	s_and_saveexec_b32 s17, s16
	s_xor_b32 s16, exec_lo, s17
	s_cbranch_execz .LBB63_804
; %bb.799:                              ;   in Loop: Header=BB63_418 Depth=1
	s_mov_b32 s17, exec_lo
	v_cmpx_neq_f32_e32 0, v4
	s_xor_b32 s17, exec_lo, s17
; %bb.800:                              ;   in Loop: Header=BB63_418 Depth=1
	v_add_f32_e32 v2, 0, v5
	s_delay_alu instid0(VALU_DEP_1)
	v_add_f32_e32 v12, v4, v2
                                        ; implicit-def: $vgpr2_vgpr3_vgpr4_vgpr5
; %bb.801:                              ;   in Loop: Header=BB63_418 Depth=1
	s_or_saveexec_b32 s17, s17
	s_delay_alu instid0(VALU_DEP_1)
	v_mov_b32_e32 v13, v12
	s_xor_b32 exec_lo, exec_lo, s17
; %bb.802:                              ;   in Loop: Header=BB63_418 Depth=1
	v_dual_add_f32 v13, v5, v5 :: v_dual_mov_b32 v12, v4
; %bb.803:                              ;   in Loop: Header=BB63_418 Depth=1
	s_or_b32 exec_lo, exec_lo, s17
                                        ; implicit-def: $vgpr2_vgpr3_vgpr4_vgpr5
.LBB63_804:                             ;   in Loop: Header=BB63_418 Depth=1
	s_and_not1_saveexec_b32 s16, s16
; %bb.805:                              ;   in Loop: Header=BB63_418 Depth=1
	v_dual_add_f32 v12, v5, v5 :: v_dual_mov_b32 v13, v4
; %bb.806:                              ;   in Loop: Header=BB63_418 Depth=1
	s_or_b32 exec_lo, exec_lo, s16
                                        ; implicit-def: $vgpr2_vgpr3_vgpr4_vgpr5
.LBB63_807:                             ;   in Loop: Header=BB63_418 Depth=1
	s_and_not1_saveexec_b32 s1, s1
	s_cbranch_execz .LBB63_416
; %bb.808:                              ;   in Loop: Header=BB63_418 Depth=1
	v_dual_add_f32 v12, v4, v4 :: v_dual_mov_b32 v13, v5
	s_branch .LBB63_416
.LBB63_809:
	s_nop 0
	s_sendmsg sendmsg(MSG_DEALLOC_VGPRS)
	s_endpgm
	.section	.rodata,"a",@progbits
	.p2align	6, 0x0
	.amdhsa_kernel _ZN2at6native12_GLOBAL__N_125multi_tensor_apply_kernelINS1_18TensorListMetadataILi1EEENS1_14UnaryOpFunctorIN3c107complexIfEELi1ELi1ELi0EEEJNS0_4AsinIS8_EEEEEvT_T0_DpT1_
		.amdhsa_group_segment_fixed_size 0
		.amdhsa_private_segment_fixed_size 12
		.amdhsa_kernarg_size 3632
		.amdhsa_user_sgpr_count 15
		.amdhsa_user_sgpr_dispatch_ptr 0
		.amdhsa_user_sgpr_queue_ptr 0
		.amdhsa_user_sgpr_kernarg_segment_ptr 1
		.amdhsa_user_sgpr_dispatch_id 0
		.amdhsa_user_sgpr_private_segment_size 0
		.amdhsa_wavefront_size32 1
		.amdhsa_uses_dynamic_stack 0
		.amdhsa_enable_private_segment 1
		.amdhsa_system_sgpr_workgroup_id_x 1
		.amdhsa_system_sgpr_workgroup_id_y 0
		.amdhsa_system_sgpr_workgroup_id_z 0
		.amdhsa_system_sgpr_workgroup_info 0
		.amdhsa_system_vgpr_workitem_id 0
		.amdhsa_next_free_vgpr 42
		.amdhsa_next_free_sgpr 38
		.amdhsa_reserve_vcc 1
		.amdhsa_float_round_mode_32 0
		.amdhsa_float_round_mode_16_64 0
		.amdhsa_float_denorm_mode_32 3
		.amdhsa_float_denorm_mode_16_64 3
		.amdhsa_dx10_clamp 1
		.amdhsa_ieee_mode 1
		.amdhsa_fp16_overflow 0
		.amdhsa_workgroup_processor_mode 1
		.amdhsa_memory_ordered 1
		.amdhsa_forward_progress 0
		.amdhsa_shared_vgpr_count 0
		.amdhsa_exception_fp_ieee_invalid_op 0
		.amdhsa_exception_fp_denorm_src 0
		.amdhsa_exception_fp_ieee_div_zero 0
		.amdhsa_exception_fp_ieee_overflow 0
		.amdhsa_exception_fp_ieee_underflow 0
		.amdhsa_exception_fp_ieee_inexact 0
		.amdhsa_exception_int_div_zero 0
	.end_amdhsa_kernel
	.section	.text._ZN2at6native12_GLOBAL__N_125multi_tensor_apply_kernelINS1_18TensorListMetadataILi1EEENS1_14UnaryOpFunctorIN3c107complexIfEELi1ELi1ELi0EEEJNS0_4AsinIS8_EEEEEvT_T0_DpT1_,"axG",@progbits,_ZN2at6native12_GLOBAL__N_125multi_tensor_apply_kernelINS1_18TensorListMetadataILi1EEENS1_14UnaryOpFunctorIN3c107complexIfEELi1ELi1ELi0EEEJNS0_4AsinIS8_EEEEEvT_T0_DpT1_,comdat
.Lfunc_end63:
	.size	_ZN2at6native12_GLOBAL__N_125multi_tensor_apply_kernelINS1_18TensorListMetadataILi1EEENS1_14UnaryOpFunctorIN3c107complexIfEELi1ELi1ELi0EEEJNS0_4AsinIS8_EEEEEvT_T0_DpT1_, .Lfunc_end63-_ZN2at6native12_GLOBAL__N_125multi_tensor_apply_kernelINS1_18TensorListMetadataILi1EEENS1_14UnaryOpFunctorIN3c107complexIfEELi1ELi1ELi0EEEJNS0_4AsinIS8_EEEEEvT_T0_DpT1_
                                        ; -- End function
	.section	.AMDGPU.csdata,"",@progbits
; Kernel info:
; codeLenInByte = 67044
; NumSgprs: 40
; NumVgprs: 42
; ScratchSize: 12
; MemoryBound: 1
; FloatMode: 240
; IeeeMode: 1
; LDSByteSize: 0 bytes/workgroup (compile time only)
; SGPRBlocks: 4
; VGPRBlocks: 5
; NumSGPRsForWavesPerEU: 40
; NumVGPRsForWavesPerEU: 42
; Occupancy: 16
; WaveLimiterHint : 0
; COMPUTE_PGM_RSRC2:SCRATCH_EN: 1
; COMPUTE_PGM_RSRC2:USER_SGPR: 15
; COMPUTE_PGM_RSRC2:TRAP_HANDLER: 0
; COMPUTE_PGM_RSRC2:TGID_X_EN: 1
; COMPUTE_PGM_RSRC2:TGID_Y_EN: 0
; COMPUTE_PGM_RSRC2:TGID_Z_EN: 0
; COMPUTE_PGM_RSRC2:TIDIG_COMP_CNT: 0
	.section	.text._ZN2at6native12_GLOBAL__N_125multi_tensor_apply_kernelINS1_18TensorListMetadataILi1EEENS1_14UnaryOpFunctorIN3c104HalfELi1ELi1ELi0EEEJNS0_4AsinIfEEEEEvT_T0_DpT1_,"axG",@progbits,_ZN2at6native12_GLOBAL__N_125multi_tensor_apply_kernelINS1_18TensorListMetadataILi1EEENS1_14UnaryOpFunctorIN3c104HalfELi1ELi1ELi0EEEJNS0_4AsinIfEEEEEvT_T0_DpT1_,comdat
	.globl	_ZN2at6native12_GLOBAL__N_125multi_tensor_apply_kernelINS1_18TensorListMetadataILi1EEENS1_14UnaryOpFunctorIN3c104HalfELi1ELi1ELi0EEEJNS0_4AsinIfEEEEEvT_T0_DpT1_ ; -- Begin function _ZN2at6native12_GLOBAL__N_125multi_tensor_apply_kernelINS1_18TensorListMetadataILi1EEENS1_14UnaryOpFunctorIN3c104HalfELi1ELi1ELi0EEEJNS0_4AsinIfEEEEEvT_T0_DpT1_
	.p2align	8
	.type	_ZN2at6native12_GLOBAL__N_125multi_tensor_apply_kernelINS1_18TensorListMetadataILi1EEENS1_14UnaryOpFunctorIN3c104HalfELi1ELi1ELi0EEEJNS0_4AsinIfEEEEEvT_T0_DpT1_,@function
_ZN2at6native12_GLOBAL__N_125multi_tensor_apply_kernelINS1_18TensorListMetadataILi1EEENS1_14UnaryOpFunctorIN3c104HalfELi1ELi1ELi0EEEJNS0_4AsinIfEEEEEvT_T0_DpT1_: ; @_ZN2at6native12_GLOBAL__N_125multi_tensor_apply_kernelINS1_18TensorListMetadataILi1EEENS1_14UnaryOpFunctorIN3c104HalfELi1ELi1ELi0EEEJNS0_4AsinIfEEEEEvT_T0_DpT1_
; %bb.0:
	v_mov_b32_e32 v1, s15
	s_add_u32 s2, s0, s15
	s_mul_hi_u32 s3, s15, 3
	s_mul_i32 s15, s15, 3
	s_addc_u32 s4, s1, 0
	global_load_u8 v1, v1, s[0:1] offset:1760
	s_add_u32 s2, s2, s15
	s_addc_u32 s3, s4, s3
	s_mov_b32 s13, 0
	s_load_b32 s2, s[2:3], 0x820
	s_waitcnt vmcnt(0)
	v_readfirstlane_b32 s5, v1
	s_delay_alu instid0(VALU_DEP_1)
	s_lshl_b32 s3, s5, 3
	s_clause 0x1
	s_load_b64 s[8:9], s[0:1], s3 offset:0x0
	s_load_b64 s[4:5], s[0:1], s3 offset:0x370
	s_waitcnt lgkmcnt(0)
	s_ashr_i32 s3, s2, 31
	s_delay_alu instid0(SALU_CYCLE_1)
	s_lshl_b64 s[10:11], s[2:3], 17
	s_lshl_b64 s[2:3], s[2:3], 16
	s_and_b32 s12, s8, 7
	s_sub_u32 s6, s4, s2
	s_subb_u32 s7, s5, s3
	s_and_b32 s2, s4, 3
	s_mov_b32 s3, s13
	s_delay_alu instid0(SALU_CYCLE_1) | instskip(NEXT) | instid1(SALU_CYCLE_1)
	s_or_b64 s[2:3], s[12:13], s[2:3]
	s_cmp_eq_u64 s[2:3], 0
	s_cbranch_scc1 .LBB64_21
; %bb.1:
	v_cmp_lt_i64_e64 s2, s[6:7], 1
	s_delay_alu instid0(VALU_DEP_1)
	s_and_b32 vcc_lo, exec_lo, s2
	s_cbranch_vccnz .LBB64_20
; %bb.2:
	s_load_b32 s2, s[0:1], 0xd3c
	v_cmp_gt_u64_e64 s3, 0x10000, s[6:7]
	v_lshlrev_b32_e32 v1, 1, v0
	s_mov_b32 s19, 0.5
	s_mov_b32 s20, -0.5
	s_mov_b32 s21, 0x3d1c21a7
	s_waitcnt lgkmcnt(0)
	s_and_b32 s2, s2, 0xffff
	s_and_b32 s3, s3, exec_lo
	v_add_co_u32 v5, s5, v0, s2
	s_cselect_b32 s13, s7, 0
	s_cselect_b32 s12, s6, 0x10000
	s_lshl_b32 s3, s2, 1
	s_mul_i32 s4, s2, 3
	s_lshl_b32 s16, s2, 2
	v_add_co_ci_u32_e64 v6, null, 0, 0, s5
	s_add_u32 s5, s8, s10
	s_mul_i32 s17, s2, 6
	s_addc_u32 s14, s9, s11
	s_lshl_b32 s18, s2, 3
	v_add_co_u32 v7, s2, s4, v0
	v_lshlrev_b32_e32 v3, 1, v5
	v_add_co_ci_u32_e64 v8, null, 0, 0, s2
	v_add_co_u32 v9, s2, s3, v0
	s_delay_alu instid0(VALU_DEP_1) | instskip(SKIP_1) | instid1(VALU_DEP_1)
	v_add_co_ci_u32_e64 v10, null, 0, 0, s2
	v_add_co_u32 v1, s2, s5, v1
	v_add_co_ci_u32_e64 v2, null, s14, 0, s2
	v_add_co_u32 v3, s2, s5, v3
	s_delay_alu instid0(VALU_DEP_1)
	v_add_co_ci_u32_e64 v4, null, s14, 0, s2
	s_mov_b64 s[14:15], 0
	s_branch .LBB64_4
.LBB64_3:                               ;   in Loop: Header=BB64_4 Depth=1
	s_or_b32 exec_lo, exec_lo, s2
	s_add_u32 s14, s14, s16
	s_addc_u32 s15, s15, 0
	v_add_co_u32 v1, vcc_lo, v1, s18
	v_cmp_lt_i64_e64 s2, s[14:15], s[6:7]
	v_cmp_gt_u64_e64 s3, 0x10000, s[14:15]
	v_add_co_ci_u32_e32 v2, vcc_lo, 0, v2, vcc_lo
	v_add_co_u32 v3, vcc_lo, v3, s18
	v_add_co_ci_u32_e32 v4, vcc_lo, 0, v4, vcc_lo
	s_delay_alu instid0(VALU_DEP_4) | instskip(NEXT) | instid1(SALU_CYCLE_1)
	s_and_b32 s2, s2, s3
	s_and_b32 vcc_lo, exec_lo, s2
	s_cbranch_vccz .LBB64_20
.LBB64_4:                               ; =>This Inner Loop Header: Depth=1
	s_waitcnt vmcnt(0)
	v_add_co_u32 v11, s2, v0, s14
	s_delay_alu instid0(VALU_DEP_1) | instskip(SKIP_1) | instid1(VALU_DEP_2)
	v_add_co_ci_u32_e64 v12, null, 0, s15, s2
	v_mov_b32_e32 v14, 0
	v_cmp_gt_u64_e64 s4, s[12:13], v[11:12]
	s_delay_alu instid0(VALU_DEP_1)
	s_and_saveexec_b32 s2, s4
	s_cbranch_execz .LBB64_6
; %bb.5:                                ;   in Loop: Header=BB64_4 Depth=1
	global_load_u16 v14, v[1:2], off
.LBB64_6:                               ;   in Loop: Header=BB64_4 Depth=1
	s_or_b32 exec_lo, exec_lo, s2
	v_add_co_u32 v11, vcc_lo, v5, s14
	v_add_co_ci_u32_e32 v12, vcc_lo, s15, v6, vcc_lo
	v_mov_b32_e32 v13, 0
	s_delay_alu instid0(VALU_DEP_2) | instskip(NEXT) | instid1(VALU_DEP_1)
	v_cmp_gt_u64_e64 s3, s[12:13], v[11:12]
	s_and_saveexec_b32 s2, s3
	s_cbranch_execz .LBB64_8
; %bb.7:                                ;   in Loop: Header=BB64_4 Depth=1
	global_load_u16 v13, v[3:4], off
.LBB64_8:                               ;   in Loop: Header=BB64_4 Depth=1
	s_or_b32 exec_lo, exec_lo, s2
	v_add_co_u32 v11, vcc_lo, v9, s14
	v_add_co_ci_u32_e32 v12, vcc_lo, s15, v10, vcc_lo
	s_delay_alu instid0(VALU_DEP_1) | instskip(SKIP_1) | instid1(VALU_DEP_2)
	v_cmp_gt_u64_e64 s2, s[12:13], v[11:12]
	v_dual_mov_b32 v11, 0 :: v_dual_mov_b32 v12, 0
	s_and_saveexec_b32 s5, s2
	s_cbranch_execz .LBB64_10
; %bb.9:                                ;   in Loop: Header=BB64_4 Depth=1
	v_add_co_u32 v15, vcc_lo, v1, s16
	v_add_co_ci_u32_e32 v16, vcc_lo, 0, v2, vcc_lo
	global_load_u16 v12, v[15:16], off
.LBB64_10:                              ;   in Loop: Header=BB64_4 Depth=1
	s_or_b32 exec_lo, exec_lo, s5
	v_add_co_u32 v15, vcc_lo, v7, s14
	v_add_co_ci_u32_e32 v16, vcc_lo, s15, v8, vcc_lo
	s_delay_alu instid0(VALU_DEP_1)
	v_cmp_gt_u64_e32 vcc_lo, s[12:13], v[15:16]
	s_and_saveexec_b32 s22, vcc_lo
	s_cbranch_execnz .LBB64_15
; %bb.11:                               ;   in Loop: Header=BB64_4 Depth=1
	s_or_b32 exec_lo, exec_lo, s22
	s_and_saveexec_b32 s5, s4
	s_cbranch_execnz .LBB64_16
.LBB64_12:                              ;   in Loop: Header=BB64_4 Depth=1
	s_or_b32 exec_lo, exec_lo, s5
	s_and_saveexec_b32 s4, s3
	s_cbranch_execnz .LBB64_17
.LBB64_13:                              ;   in Loop: Header=BB64_4 Depth=1
	s_or_b32 exec_lo, exec_lo, s4
	s_and_saveexec_b32 s3, s2
	s_cbranch_execnz .LBB64_18
.LBB64_14:                              ;   in Loop: Header=BB64_4 Depth=1
	s_or_b32 exec_lo, exec_lo, s3
	s_and_saveexec_b32 s2, vcc_lo
	s_cbranch_execz .LBB64_3
	s_branch .LBB64_19
.LBB64_15:                              ;   in Loop: Header=BB64_4 Depth=1
	v_add_co_u32 v15, s5, v1, s17
	s_delay_alu instid0(VALU_DEP_1)
	v_add_co_ci_u32_e64 v16, s5, 0, v2, s5
	global_load_u16 v11, v[15:16], off
	s_or_b32 exec_lo, exec_lo, s22
	s_and_saveexec_b32 s5, s4
	s_cbranch_execz .LBB64_12
.LBB64_16:                              ;   in Loop: Header=BB64_4 Depth=1
	s_waitcnt vmcnt(0)
	v_cvt_f32_f16_e32 v15, v14
	v_fma_mix_f32 v16, |v14|, s20, s19 op_sel_hi:[1,0,0]
	s_delay_alu instid0(VALU_DEP_2) | instskip(SKIP_1) | instid1(VALU_DEP_1)
	v_mul_f32_e32 v17, v15, v15
	v_cmp_ge_f32_e64 s4, |v15|, 0.5
	v_cndmask_b32_e64 v16, v17, v16, s4
	v_cmp_lt_f32_e64 s4, |v15|, 0.5
	s_delay_alu instid0(VALU_DEP_2) | instskip(SKIP_1) | instid1(VALU_DEP_1)
	v_fmaak_f32 v17, s21, v16, 0x3c5fc5da
	v_sqrt_f32_e32 v18, v16
	v_fmaak_f32 v17, v16, v17, 0x3d034c3c
	s_delay_alu instid0(VALU_DEP_1) | instskip(NEXT) | instid1(VALU_DEP_1)
	v_fmaak_f32 v17, v16, v17, 0x3d3641b1
	v_fmaak_f32 v17, v16, v17, 0x3d999bc8
	s_delay_alu instid0(VALU_DEP_1) | instskip(NEXT) | instid1(VALU_DEP_1)
	v_fmaak_f32 v17, v16, v17, 0x3e2aaaac
	v_mul_f32_e32 v16, v16, v17
	s_waitcnt_depctr 0xfff
	v_fmac_f32_e32 v18, v18, v16
	s_delay_alu instid0(VALU_DEP_1) | instskip(SKIP_1) | instid1(VALU_DEP_2)
	v_add_f32_e32 v17, v18, v18
	v_fma_mix_f32 v16, |v14|, v16, |v14| op_sel_hi:[1,0,1]
	v_sub_f32_e32 v17, 0x3fc90fdb, v17
	s_delay_alu instid0(VALU_DEP_1) | instskip(NEXT) | instid1(VALU_DEP_1)
	v_cndmask_b32_e64 v15, v17, v16, s4
	v_cvt_f16_f32_e32 v15, v15
	s_delay_alu instid0(VALU_DEP_1)
	v_bfi_b32 v14, 0x7fff, v15, v14
	global_store_b16 v[1:2], v14, off
	s_or_b32 exec_lo, exec_lo, s5
	s_and_saveexec_b32 s4, s3
	s_cbranch_execz .LBB64_13
.LBB64_17:                              ;   in Loop: Header=BB64_4 Depth=1
	s_waitcnt vmcnt(0)
	v_cvt_f32_f16_e32 v14, v13
	v_fma_mix_f32 v15, |v13|, s20, s19 op_sel_hi:[1,0,0]
	s_delay_alu instid0(VALU_DEP_2) | instskip(SKIP_1) | instid1(VALU_DEP_1)
	v_mul_f32_e32 v16, v14, v14
	v_cmp_ge_f32_e64 s3, |v14|, 0.5
	v_cndmask_b32_e64 v15, v16, v15, s3
	v_cmp_lt_f32_e64 s3, |v14|, 0.5
	s_delay_alu instid0(VALU_DEP_2) | instskip(SKIP_1) | instid1(VALU_DEP_1)
	v_fmaak_f32 v16, s21, v15, 0x3c5fc5da
	v_sqrt_f32_e32 v17, v15
	v_fmaak_f32 v16, v15, v16, 0x3d034c3c
	s_delay_alu instid0(VALU_DEP_1) | instskip(NEXT) | instid1(VALU_DEP_1)
	v_fmaak_f32 v16, v15, v16, 0x3d3641b1
	v_fmaak_f32 v16, v15, v16, 0x3d999bc8
	s_delay_alu instid0(VALU_DEP_1) | instskip(NEXT) | instid1(VALU_DEP_1)
	v_fmaak_f32 v16, v15, v16, 0x3e2aaaac
	v_mul_f32_e32 v15, v15, v16
	s_waitcnt_depctr 0xfff
	v_fmac_f32_e32 v17, v17, v15
	s_delay_alu instid0(VALU_DEP_1) | instskip(SKIP_1) | instid1(VALU_DEP_2)
	v_add_f32_e32 v16, v17, v17
	v_fma_mix_f32 v15, |v13|, v15, |v13| op_sel_hi:[1,0,1]
	v_sub_f32_e32 v16, 0x3fc90fdb, v16
	s_delay_alu instid0(VALU_DEP_1) | instskip(NEXT) | instid1(VALU_DEP_1)
	v_cndmask_b32_e64 v14, v16, v15, s3
	v_cvt_f16_f32_e32 v14, v14
	s_delay_alu instid0(VALU_DEP_1)
	v_bfi_b32 v13, 0x7fff, v14, v13
	global_store_b16 v[3:4], v13, off
	s_or_b32 exec_lo, exec_lo, s4
	s_and_saveexec_b32 s3, s2
	s_cbranch_execz .LBB64_14
.LBB64_18:                              ;   in Loop: Header=BB64_4 Depth=1
	s_waitcnt vmcnt(0)
	v_cvt_f32_f16_e32 v13, v12
	v_fma_mix_f32 v14, |v12|, s20, s19 op_sel_hi:[1,0,0]
	s_delay_alu instid0(VALU_DEP_2) | instskip(SKIP_1) | instid1(VALU_DEP_1)
	v_mul_f32_e32 v15, v13, v13
	v_cmp_ge_f32_e64 s2, |v13|, 0.5
	v_cndmask_b32_e64 v14, v15, v14, s2
	v_cmp_lt_f32_e64 s2, |v13|, 0.5
	s_delay_alu instid0(VALU_DEP_2) | instskip(SKIP_1) | instid1(VALU_DEP_1)
	v_fmaak_f32 v15, s21, v14, 0x3c5fc5da
	v_sqrt_f32_e32 v16, v14
	v_fmaak_f32 v15, v14, v15, 0x3d034c3c
	s_delay_alu instid0(VALU_DEP_1) | instskip(NEXT) | instid1(VALU_DEP_1)
	v_fmaak_f32 v15, v14, v15, 0x3d3641b1
	v_fmaak_f32 v15, v14, v15, 0x3d999bc8
	s_delay_alu instid0(VALU_DEP_1) | instskip(NEXT) | instid1(VALU_DEP_1)
	v_fmaak_f32 v15, v14, v15, 0x3e2aaaac
	v_mul_f32_e32 v14, v14, v15
	s_waitcnt_depctr 0xfff
	v_fmac_f32_e32 v16, v16, v14
	s_delay_alu instid0(VALU_DEP_1) | instskip(SKIP_1) | instid1(VALU_DEP_2)
	v_add_f32_e32 v15, v16, v16
	v_fma_mix_f32 v14, |v12|, v14, |v12| op_sel_hi:[1,0,1]
	v_sub_f32_e32 v15, 0x3fc90fdb, v15
	s_delay_alu instid0(VALU_DEP_1) | instskip(NEXT) | instid1(VALU_DEP_1)
	v_cndmask_b32_e64 v13, v15, v14, s2
	v_cvt_f16_f32_e32 v13, v13
	s_delay_alu instid0(VALU_DEP_1) | instskip(SKIP_1) | instid1(VALU_DEP_1)
	v_bfi_b32 v14, 0x7fff, v13, v12
	v_add_co_u32 v12, s2, v1, s16
	v_add_co_ci_u32_e64 v13, s2, 0, v2, s2
	global_store_b16 v[12:13], v14, off
	s_or_b32 exec_lo, exec_lo, s3
	s_and_saveexec_b32 s2, vcc_lo
	s_cbranch_execz .LBB64_3
.LBB64_19:                              ;   in Loop: Header=BB64_4 Depth=1
	s_waitcnt vmcnt(0)
	v_cvt_f32_f16_e32 v12, v11
	v_fma_mix_f32 v13, |v11|, s20, s19 op_sel_hi:[1,0,0]
	s_delay_alu instid0(VALU_DEP_2) | instskip(SKIP_1) | instid1(VALU_DEP_2)
	v_mul_f32_e32 v14, v12, v12
	v_cmp_ge_f32_e64 vcc_lo, |v12|, 0.5
	v_cndmask_b32_e32 v13, v14, v13, vcc_lo
	v_cmp_lt_f32_e64 vcc_lo, |v12|, 0.5
	s_delay_alu instid0(VALU_DEP_2) | instskip(SKIP_1) | instid1(VALU_DEP_1)
	v_fmaak_f32 v14, s21, v13, 0x3c5fc5da
	v_sqrt_f32_e32 v15, v13
	v_fmaak_f32 v14, v13, v14, 0x3d034c3c
	s_delay_alu instid0(VALU_DEP_1) | instskip(NEXT) | instid1(VALU_DEP_1)
	v_fmaak_f32 v14, v13, v14, 0x3d3641b1
	v_fmaak_f32 v14, v13, v14, 0x3d999bc8
	s_delay_alu instid0(VALU_DEP_1) | instskip(NEXT) | instid1(VALU_DEP_1)
	v_fmaak_f32 v14, v13, v14, 0x3e2aaaac
	v_mul_f32_e32 v13, v13, v14
	s_waitcnt_depctr 0xfff
	v_fmac_f32_e32 v15, v15, v13
	v_fma_mix_f32 v13, |v11|, v13, |v11| op_sel_hi:[1,0,1]
	s_delay_alu instid0(VALU_DEP_2) | instskip(NEXT) | instid1(VALU_DEP_1)
	v_add_f32_e32 v14, v15, v15
	v_sub_f32_e32 v14, 0x3fc90fdb, v14
	s_delay_alu instid0(VALU_DEP_1) | instskip(NEXT) | instid1(VALU_DEP_1)
	v_cndmask_b32_e32 v12, v14, v13, vcc_lo
	v_cvt_f16_f32_e32 v12, v12
	s_delay_alu instid0(VALU_DEP_1)
	v_bfi_b32 v13, 0x7fff, v12, v11
	v_add_co_u32 v11, vcc_lo, v1, s17
	v_add_co_ci_u32_e32 v12, vcc_lo, 0, v2, vcc_lo
	global_store_b16 v[11:12], v13, off
	s_branch .LBB64_3
.LBB64_20:
	s_cbranch_execz .LBB64_22
	s_branch .LBB64_25
.LBB64_21:
.LBB64_22:
	v_dual_mov_b32 v2, 0 :: v_dual_lshlrev_b32 v1, 2, v0
	s_mov_b32 s2, 0
	s_mov_b32 s3, exec_lo
	s_delay_alu instid0(VALU_DEP_1)
	v_cmpx_gt_i64_e64 s[6:7], v[1:2]
	s_cbranch_execz .LBB64_25
; %bb.23:
	s_load_b32 s0, s[0:1], 0xd3c
	v_lshlrev_b32_e32 v1, 3, v0
	s_mov_b32 s5, 0.5
	s_waitcnt lgkmcnt(0)
	s_and_b32 s0, s0, 0xffff
	s_delay_alu instid0(SALU_CYCLE_1) | instskip(SKIP_3) | instid1(VALU_DEP_1)
	s_lshl_b32 s3, s0, 2
	s_add_u32 s1, s8, s10
	s_addc_u32 s4, s9, s11
	v_add_co_u32 v3, s1, s1, v1
	v_add_co_ci_u32_e64 v4, null, s4, 0, s1
	v_add_lshl_u32 v1, v0, s0, 2
	s_delay_alu instid0(VALU_DEP_3) | instskip(NEXT) | instid1(VALU_DEP_3)
	v_add_co_u32 v3, vcc_lo, v3, 4
	v_add_co_ci_u32_e32 v4, vcc_lo, 0, v4, vcc_lo
	s_lshl_b32 s4, s0, 3
	s_mov_b32 s8, -0.5
	s_mov_b32 s9, 0x3d1c21a7
.LBB64_24:                              ; =>This Inner Loop Header: Depth=1
	global_load_b64 v[5:6], v[3:4], off offset:-4
	v_cmp_lt_u64_e64 s0, 0xffff, v[1:2]
	s_waitcnt vmcnt(0)
	v_cvt_f32_f16_e32 v8, v5
	v_lshrrev_b32_e32 v0, 16, v5
	v_lshrrev_b32_e32 v7, 16, v6
	v_fma_mix_f32 v9, |v5|, s8, s5 op_sel_hi:[1,0,0]
	v_cvt_f32_f16_e32 v11, v6
	v_mul_f32_e32 v14, v8, v8
	v_cmp_ge_f32_e64 vcc_lo, |v8|, 0.5
	v_fma_mix_f32 v12, |v6|, s8, s5 op_sel_hi:[1,0,0]
	v_cvt_f32_f16_e32 v15, v0
	v_mul_f32_e32 v16, v11, v11
	v_cvt_f32_f16_e32 v17, v7
	v_cndmask_b32_e32 v9, v14, v9, vcc_lo
	v_cmp_ge_f32_e64 vcc_lo, |v11|, 0.5
	v_fma_mix_f32 v10, |v5|, s8, s5 op_sel:[1,0,0] op_sel_hi:[1,0,0]
	v_fma_mix_f32 v13, |v6|, s8, s5 op_sel:[1,0,0] op_sel_hi:[1,0,0]
	s_delay_alu instid0(VALU_DEP_4)
	v_fmaak_f32 v18, s9, v9, 0x3c5fc5da
	v_cndmask_b32_e32 v12, v16, v12, vcc_lo
	v_mul_f32_e32 v16, v17, v17
	v_mul_f32_e32 v14, v15, v15
	v_cmp_ge_f32_e64 vcc_lo, |v15|, 0.5
	v_sqrt_f32_e32 v20, v9
	s_delay_alu instid0(VALU_DEP_2) | instskip(SKIP_3) | instid1(VALU_DEP_2)
	v_cndmask_b32_e32 v10, v14, v10, vcc_lo
	v_cmp_ge_f32_e64 vcc_lo, |v17|, 0.5
	v_dual_cndmask_b32 v13, v16, v13 :: v_dual_fmaak_f32 v16, v9, v18, 0x3d034c3c
	v_cmp_lt_f32_e64 vcc_lo, |v8|, 0.5
	v_fmaak_f32 v19, s9, v13, 0x3c5fc5da
	s_delay_alu instid0(VALU_DEP_3) | instskip(NEXT) | instid1(VALU_DEP_2)
	v_fmaak_f32 v16, v9, v16, 0x3d3641b1
	v_fmaak_f32 v19, v13, v19, 0x3d034c3c
	s_delay_alu instid0(VALU_DEP_2) | instskip(SKIP_1) | instid1(VALU_DEP_2)
	v_fmaak_f32 v16, v9, v16, 0x3d999bc8
	v_sqrt_f32_e32 v21, v12
	v_fmaak_f32 v19, v13, v19, 0x3d3641b1
	s_delay_alu instid0(VALU_DEP_2) | instskip(SKIP_1) | instid1(VALU_DEP_2)
	v_fmaak_f32 v16, v9, v16, 0x3e2aaaac
	v_sqrt_f32_e32 v22, v10
	v_fmaak_f32 v19, v13, v19, 0x3d999bc8
	s_delay_alu instid0(VALU_DEP_2) | instskip(SKIP_1) | instid1(VALU_DEP_1)
	v_mul_f32_e32 v9, v9, v16
	v_sqrt_f32_e32 v16, v13
	v_dual_fmaak_f32 v19, v13, v19, 0x3e2aaaac :: v_dual_fmac_f32 v20, v20, v9
	v_fmaak_f32 v14, s9, v12, 0x3c5fc5da
	v_fma_mix_f32 v9, |v5|, v9, |v5| op_sel_hi:[1,0,1]
	s_delay_alu instid0(VALU_DEP_3) | instskip(SKIP_4) | instid1(VALU_DEP_3)
	v_mul_f32_e32 v13, v13, v19
	s_waitcnt_depctr 0xfff
	v_fmac_f32_e32 v16, v16, v13
	v_fma_mix_f32 v13, |v6|, v13, |v6| op_sel:[1,0,1] op_sel_hi:[1,0,1]
	v_fmaak_f32 v14, v12, v14, 0x3d034c3c
	v_add_f32_e32 v16, v16, v16
	s_delay_alu instid0(VALU_DEP_2) | instskip(NEXT) | instid1(VALU_DEP_1)
	v_fmaak_f32 v14, v12, v14, 0x3d3641b1
	v_fmaak_f32 v14, v12, v14, 0x3d999bc8
	s_delay_alu instid0(VALU_DEP_1) | instskip(NEXT) | instid1(VALU_DEP_1)
	v_fmaak_f32 v14, v12, v14, 0x3e2aaaac
	v_mul_f32_e32 v12, v12, v14
	v_fmaak_f32 v18, s9, v10, 0x3c5fc5da
	v_add_f32_e32 v14, v20, v20
	s_delay_alu instid0(VALU_DEP_2) | instskip(NEXT) | instid1(VALU_DEP_2)
	v_dual_fmac_f32 v21, v21, v12 :: v_dual_fmaak_f32 v18, v10, v18, 0x3d034c3c
	v_sub_f32_e32 v14, 0x3fc90fdb, v14
	v_fma_mix_f32 v12, |v6|, v12, |v6| op_sel_hi:[1,0,1]
	s_delay_alu instid0(VALU_DEP_3) | instskip(NEXT) | instid1(VALU_DEP_3)
	v_fmaak_f32 v18, v10, v18, 0x3d3641b1
	v_cndmask_b32_e32 v8, v14, v9, vcc_lo
	v_cmp_lt_f32_e64 vcc_lo, |v11|, 0.5
	v_sub_f32_e32 v9, 0x3fc90fdb, v16
	s_delay_alu instid0(VALU_DEP_4) | instskip(NEXT) | instid1(VALU_DEP_4)
	v_fmaak_f32 v18, v10, v18, 0x3d999bc8
	v_cvt_f16_f32_e32 v8, v8
	s_delay_alu instid0(VALU_DEP_2) | instskip(NEXT) | instid1(VALU_DEP_1)
	v_fmaak_f32 v18, v10, v18, 0x3e2aaaac
	v_mul_f32_e32 v10, v10, v18
	v_add_f32_e32 v18, v21, v21
	s_delay_alu instid0(VALU_DEP_2) | instskip(NEXT) | instid1(VALU_DEP_2)
	v_fmac_f32_e32 v22, v22, v10
	v_sub_f32_e32 v18, 0x3fc90fdb, v18
	v_fma_mix_f32 v10, |v5|, v10, |v5| op_sel:[1,0,1] op_sel_hi:[1,0,1]
	v_bfi_b32 v5, 0x7fff, v8, v5
	s_delay_alu instid0(VALU_DEP_4) | instskip(NEXT) | instid1(VALU_DEP_4)
	v_add_f32_e32 v19, v22, v22
	v_cndmask_b32_e32 v11, v18, v12, vcc_lo
	v_cmp_lt_f32_e64 vcc_lo, |v17|, 0.5
	s_delay_alu instid0(VALU_DEP_3) | instskip(NEXT) | instid1(VALU_DEP_3)
	v_sub_f32_e32 v14, 0x3fc90fdb, v19
	v_cvt_f16_f32_e32 v11, v11
	v_cndmask_b32_e32 v9, v9, v13, vcc_lo
	v_cmp_lt_f32_e64 vcc_lo, |v15|, 0.5
	s_delay_alu instid0(VALU_DEP_3) | instskip(NEXT) | instid1(VALU_DEP_3)
	v_bfi_b32 v6, 0x7fff, v11, v6
	v_cvt_f16_f32_e32 v9, v9
	v_cndmask_b32_e32 v10, v14, v10, vcc_lo
	v_cmp_le_i64_e32 vcc_lo, s[6:7], v[1:2]
	v_add_co_u32 v1, s1, v1, s3
	s_delay_alu instid0(VALU_DEP_4) | instskip(NEXT) | instid1(VALU_DEP_4)
	v_bfi_b32 v7, 0x7fff, v9, v7
	v_cvt_f16_f32_e32 v10, v10
	v_add_co_ci_u32_e64 v2, s1, 0, v2, s1
	s_or_b32 s0, vcc_lo, s0
	s_delay_alu instid0(VALU_DEP_3) | instskip(NEXT) | instid1(VALU_DEP_3)
	v_pack_b32_f16 v6, v6, v7
	v_bfi_b32 v0, 0x7fff, v10, v0
	s_and_b32 s0, exec_lo, s0
	s_delay_alu instid0(SALU_CYCLE_1) | instskip(NEXT) | instid1(VALU_DEP_1)
	s_or_b32 s2, s0, s2
	v_pack_b32_f16 v5, v5, v0
	global_store_b64 v[3:4], v[5:6], off offset:-4
	v_add_co_u32 v3, vcc_lo, v3, s4
	v_add_co_ci_u32_e32 v4, vcc_lo, 0, v4, vcc_lo
	s_and_not1_b32 exec_lo, exec_lo, s2
	s_cbranch_execnz .LBB64_24
.LBB64_25:
	s_nop 0
	s_sendmsg sendmsg(MSG_DEALLOC_VGPRS)
	s_endpgm
	.section	.rodata,"a",@progbits
	.p2align	6, 0x0
	.amdhsa_kernel _ZN2at6native12_GLOBAL__N_125multi_tensor_apply_kernelINS1_18TensorListMetadataILi1EEENS1_14UnaryOpFunctorIN3c104HalfELi1ELi1ELi0EEEJNS0_4AsinIfEEEEEvT_T0_DpT1_
		.amdhsa_group_segment_fixed_size 0
		.amdhsa_private_segment_fixed_size 0
		.amdhsa_kernarg_size 3632
		.amdhsa_user_sgpr_count 15
		.amdhsa_user_sgpr_dispatch_ptr 0
		.amdhsa_user_sgpr_queue_ptr 0
		.amdhsa_user_sgpr_kernarg_segment_ptr 1
		.amdhsa_user_sgpr_dispatch_id 0
		.amdhsa_user_sgpr_private_segment_size 0
		.amdhsa_wavefront_size32 1
		.amdhsa_uses_dynamic_stack 0
		.amdhsa_enable_private_segment 0
		.amdhsa_system_sgpr_workgroup_id_x 1
		.amdhsa_system_sgpr_workgroup_id_y 0
		.amdhsa_system_sgpr_workgroup_id_z 0
		.amdhsa_system_sgpr_workgroup_info 0
		.amdhsa_system_vgpr_workitem_id 0
		.amdhsa_next_free_vgpr 23
		.amdhsa_next_free_sgpr 23
		.amdhsa_reserve_vcc 1
		.amdhsa_float_round_mode_32 0
		.amdhsa_float_round_mode_16_64 0
		.amdhsa_float_denorm_mode_32 3
		.amdhsa_float_denorm_mode_16_64 3
		.amdhsa_dx10_clamp 1
		.amdhsa_ieee_mode 1
		.amdhsa_fp16_overflow 0
		.amdhsa_workgroup_processor_mode 1
		.amdhsa_memory_ordered 1
		.amdhsa_forward_progress 0
		.amdhsa_shared_vgpr_count 0
		.amdhsa_exception_fp_ieee_invalid_op 0
		.amdhsa_exception_fp_denorm_src 0
		.amdhsa_exception_fp_ieee_div_zero 0
		.amdhsa_exception_fp_ieee_overflow 0
		.amdhsa_exception_fp_ieee_underflow 0
		.amdhsa_exception_fp_ieee_inexact 0
		.amdhsa_exception_int_div_zero 0
	.end_amdhsa_kernel
	.section	.text._ZN2at6native12_GLOBAL__N_125multi_tensor_apply_kernelINS1_18TensorListMetadataILi1EEENS1_14UnaryOpFunctorIN3c104HalfELi1ELi1ELi0EEEJNS0_4AsinIfEEEEEvT_T0_DpT1_,"axG",@progbits,_ZN2at6native12_GLOBAL__N_125multi_tensor_apply_kernelINS1_18TensorListMetadataILi1EEENS1_14UnaryOpFunctorIN3c104HalfELi1ELi1ELi0EEEJNS0_4AsinIfEEEEEvT_T0_DpT1_,comdat
.Lfunc_end64:
	.size	_ZN2at6native12_GLOBAL__N_125multi_tensor_apply_kernelINS1_18TensorListMetadataILi1EEENS1_14UnaryOpFunctorIN3c104HalfELi1ELi1ELi0EEEJNS0_4AsinIfEEEEEvT_T0_DpT1_, .Lfunc_end64-_ZN2at6native12_GLOBAL__N_125multi_tensor_apply_kernelINS1_18TensorListMetadataILi1EEENS1_14UnaryOpFunctorIN3c104HalfELi1ELi1ELi0EEEJNS0_4AsinIfEEEEEvT_T0_DpT1_
                                        ; -- End function
	.section	.AMDGPU.csdata,"",@progbits
; Kernel info:
; codeLenInByte = 2356
; NumSgprs: 25
; NumVgprs: 23
; ScratchSize: 0
; MemoryBound: 0
; FloatMode: 240
; IeeeMode: 1
; LDSByteSize: 0 bytes/workgroup (compile time only)
; SGPRBlocks: 3
; VGPRBlocks: 2
; NumSGPRsForWavesPerEU: 25
; NumVGPRsForWavesPerEU: 23
; Occupancy: 16
; WaveLimiterHint : 0
; COMPUTE_PGM_RSRC2:SCRATCH_EN: 0
; COMPUTE_PGM_RSRC2:USER_SGPR: 15
; COMPUTE_PGM_RSRC2:TRAP_HANDLER: 0
; COMPUTE_PGM_RSRC2:TGID_X_EN: 1
; COMPUTE_PGM_RSRC2:TGID_Y_EN: 0
; COMPUTE_PGM_RSRC2:TGID_Z_EN: 0
; COMPUTE_PGM_RSRC2:TIDIG_COMP_CNT: 0
	.section	.text._ZN2at6native12_GLOBAL__N_125multi_tensor_apply_kernelINS1_18TensorListMetadataILi1EEENS1_14UnaryOpFunctorIN3c108BFloat16ELi1ELi1ELi0EEEJNS0_4AsinIfEEEEEvT_T0_DpT1_,"axG",@progbits,_ZN2at6native12_GLOBAL__N_125multi_tensor_apply_kernelINS1_18TensorListMetadataILi1EEENS1_14UnaryOpFunctorIN3c108BFloat16ELi1ELi1ELi0EEEJNS0_4AsinIfEEEEEvT_T0_DpT1_,comdat
	.globl	_ZN2at6native12_GLOBAL__N_125multi_tensor_apply_kernelINS1_18TensorListMetadataILi1EEENS1_14UnaryOpFunctorIN3c108BFloat16ELi1ELi1ELi0EEEJNS0_4AsinIfEEEEEvT_T0_DpT1_ ; -- Begin function _ZN2at6native12_GLOBAL__N_125multi_tensor_apply_kernelINS1_18TensorListMetadataILi1EEENS1_14UnaryOpFunctorIN3c108BFloat16ELi1ELi1ELi0EEEJNS0_4AsinIfEEEEEvT_T0_DpT1_
	.p2align	8
	.type	_ZN2at6native12_GLOBAL__N_125multi_tensor_apply_kernelINS1_18TensorListMetadataILi1EEENS1_14UnaryOpFunctorIN3c108BFloat16ELi1ELi1ELi0EEEJNS0_4AsinIfEEEEEvT_T0_DpT1_,@function
_ZN2at6native12_GLOBAL__N_125multi_tensor_apply_kernelINS1_18TensorListMetadataILi1EEENS1_14UnaryOpFunctorIN3c108BFloat16ELi1ELi1ELi0EEEJNS0_4AsinIfEEEEEvT_T0_DpT1_: ; @_ZN2at6native12_GLOBAL__N_125multi_tensor_apply_kernelINS1_18TensorListMetadataILi1EEENS1_14UnaryOpFunctorIN3c108BFloat16ELi1ELi1ELi0EEEJNS0_4AsinIfEEEEEvT_T0_DpT1_
; %bb.0:
	v_mov_b32_e32 v1, s15
	s_add_u32 s2, s0, s15
	s_mul_hi_u32 s3, s15, 3
	s_mul_i32 s15, s15, 3
	s_addc_u32 s4, s1, 0
	global_load_u8 v1, v1, s[0:1] offset:1760
	s_add_u32 s2, s2, s15
	s_addc_u32 s3, s4, s3
	s_mov_b32 s13, 0
	s_load_b32 s2, s[2:3], 0x820
	s_waitcnt vmcnt(0)
	v_readfirstlane_b32 s5, v1
	s_delay_alu instid0(VALU_DEP_1)
	s_lshl_b32 s3, s5, 3
	s_clause 0x1
	s_load_b64 s[8:9], s[0:1], s3 offset:0x0
	s_load_b64 s[4:5], s[0:1], s3 offset:0x370
	s_waitcnt lgkmcnt(0)
	s_ashr_i32 s3, s2, 31
	s_delay_alu instid0(SALU_CYCLE_1)
	s_lshl_b64 s[10:11], s[2:3], 17
	s_lshl_b64 s[2:3], s[2:3], 16
	s_and_b32 s12, s8, 7
	s_sub_u32 s6, s4, s2
	s_subb_u32 s7, s5, s3
	s_and_b32 s2, s4, 3
	s_mov_b32 s3, s13
	s_delay_alu instid0(SALU_CYCLE_1) | instskip(NEXT) | instid1(SALU_CYCLE_1)
	s_or_b64 s[2:3], s[12:13], s[2:3]
	s_cmp_eq_u64 s[2:3], 0
	s_cbranch_scc1 .LBB65_21
; %bb.1:
	v_cmp_lt_i64_e64 s2, s[6:7], 1
	s_delay_alu instid0(VALU_DEP_1)
	s_and_b32 vcc_lo, exec_lo, s2
	s_cbranch_vccnz .LBB65_20
; %bb.2:
	s_load_b32 s2, s[0:1], 0xd3c
	v_cmp_gt_u64_e64 s3, 0x10000, s[6:7]
	v_lshlrev_b32_e32 v1, 1, v0
	s_mov_b32 s19, 0x3d1c21a7
	s_waitcnt lgkmcnt(0)
	s_and_b32 s2, s2, 0xffff
	s_delay_alu instid0(VALU_DEP_2)
	s_and_b32 s3, s3, exec_lo
	v_add_co_u32 v5, s5, v0, s2
	s_cselect_b32 s13, s7, 0
	s_cselect_b32 s12, s6, 0x10000
	s_lshl_b32 s3, s2, 1
	s_lshl_b32 s16, s2, 2
	v_lshlrev_b32_e32 v3, 1, v5
	v_add_co_ci_u32_e64 v6, null, 0, 0, s5
	s_add_u32 s5, s8, s10
	v_add_co_u32 v9, s3, s3, v0
	s_mul_i32 s4, s2, 3
	s_addc_u32 s14, s9, s11
	v_add_co_ci_u32_e64 v10, null, 0, 0, s3
	v_add_co_u32 v1, s3, s5, v1
	v_add_co_u32 v7, s4, s4, v0
	v_add_co_ci_u32_e64 v2, null, s14, 0, s3
	v_add_co_u32 v3, s3, s5, v3
	v_add_co_ci_u32_e64 v8, null, 0, 0, s4
	v_add_co_ci_u32_e64 v4, null, s14, 0, s3
	s_lshl_b32 s17, s2, 3
	s_mul_i32 s18, s2, 6
	s_mov_b64 s[14:15], 0
	s_branch .LBB65_4
.LBB65_3:                               ;   in Loop: Header=BB65_4 Depth=1
	s_or_b32 exec_lo, exec_lo, s2
	s_add_u32 s14, s14, s16
	s_addc_u32 s15, s15, 0
	v_add_co_u32 v1, vcc_lo, v1, s17
	v_cmp_lt_i64_e64 s2, s[14:15], s[6:7]
	v_cmp_gt_u64_e64 s3, 0x10000, s[14:15]
	v_add_co_ci_u32_e32 v2, vcc_lo, 0, v2, vcc_lo
	v_add_co_u32 v3, vcc_lo, v3, s17
	v_add_co_ci_u32_e32 v4, vcc_lo, 0, v4, vcc_lo
	s_delay_alu instid0(VALU_DEP_4) | instskip(NEXT) | instid1(SALU_CYCLE_1)
	s_and_b32 s2, s2, s3
	s_and_b32 vcc_lo, exec_lo, s2
	s_cbranch_vccz .LBB65_20
.LBB65_4:                               ; =>This Inner Loop Header: Depth=1
	s_waitcnt vmcnt(0)
	v_add_co_u32 v11, s2, v0, s14
	s_delay_alu instid0(VALU_DEP_1) | instskip(SKIP_1) | instid1(VALU_DEP_2)
	v_add_co_ci_u32_e64 v12, null, 0, s15, s2
	v_mov_b32_e32 v14, 0
	v_cmp_gt_u64_e64 s4, s[12:13], v[11:12]
	s_delay_alu instid0(VALU_DEP_1)
	s_and_saveexec_b32 s2, s4
	s_cbranch_execz .LBB65_6
; %bb.5:                                ;   in Loop: Header=BB65_4 Depth=1
	global_load_u16 v14, v[1:2], off
.LBB65_6:                               ;   in Loop: Header=BB65_4 Depth=1
	s_or_b32 exec_lo, exec_lo, s2
	v_add_co_u32 v11, vcc_lo, v5, s14
	v_add_co_ci_u32_e32 v12, vcc_lo, s15, v6, vcc_lo
	v_mov_b32_e32 v13, 0
	s_delay_alu instid0(VALU_DEP_2) | instskip(NEXT) | instid1(VALU_DEP_1)
	v_cmp_gt_u64_e64 s3, s[12:13], v[11:12]
	s_and_saveexec_b32 s2, s3
	s_cbranch_execz .LBB65_8
; %bb.7:                                ;   in Loop: Header=BB65_4 Depth=1
	global_load_u16 v13, v[3:4], off
.LBB65_8:                               ;   in Loop: Header=BB65_4 Depth=1
	s_or_b32 exec_lo, exec_lo, s2
	v_add_co_u32 v11, vcc_lo, v9, s14
	v_add_co_ci_u32_e32 v12, vcc_lo, s15, v10, vcc_lo
	s_delay_alu instid0(VALU_DEP_1) | instskip(SKIP_1) | instid1(VALU_DEP_2)
	v_cmp_gt_u64_e64 s2, s[12:13], v[11:12]
	v_dual_mov_b32 v11, 0 :: v_dual_mov_b32 v12, 0
	s_and_saveexec_b32 s5, s2
	s_cbranch_execz .LBB65_10
; %bb.9:                                ;   in Loop: Header=BB65_4 Depth=1
	v_add_co_u32 v15, vcc_lo, v1, s16
	v_add_co_ci_u32_e32 v16, vcc_lo, 0, v2, vcc_lo
	global_load_u16 v12, v[15:16], off
.LBB65_10:                              ;   in Loop: Header=BB65_4 Depth=1
	s_or_b32 exec_lo, exec_lo, s5
	v_add_co_u32 v15, vcc_lo, v7, s14
	v_add_co_ci_u32_e32 v16, vcc_lo, s15, v8, vcc_lo
	s_delay_alu instid0(VALU_DEP_1)
	v_cmp_gt_u64_e32 vcc_lo, s[12:13], v[15:16]
	s_and_saveexec_b32 s20, vcc_lo
	s_cbranch_execnz .LBB65_15
; %bb.11:                               ;   in Loop: Header=BB65_4 Depth=1
	s_or_b32 exec_lo, exec_lo, s20
	s_and_saveexec_b32 s5, s4
	s_cbranch_execnz .LBB65_16
.LBB65_12:                              ;   in Loop: Header=BB65_4 Depth=1
	s_or_b32 exec_lo, exec_lo, s5
	s_and_saveexec_b32 s4, s3
	s_cbranch_execnz .LBB65_17
.LBB65_13:                              ;   in Loop: Header=BB65_4 Depth=1
	s_or_b32 exec_lo, exec_lo, s4
	s_and_saveexec_b32 s3, s2
	s_cbranch_execnz .LBB65_18
.LBB65_14:                              ;   in Loop: Header=BB65_4 Depth=1
	s_or_b32 exec_lo, exec_lo, s3
	s_and_saveexec_b32 s2, vcc_lo
	s_cbranch_execz .LBB65_3
	s_branch .LBB65_19
.LBB65_15:                              ;   in Loop: Header=BB65_4 Depth=1
	v_add_co_u32 v15, s5, v1, s18
	s_delay_alu instid0(VALU_DEP_1)
	v_add_co_ci_u32_e64 v16, s5, 0, v2, s5
	global_load_u16 v11, v[15:16], off
	s_or_b32 exec_lo, exec_lo, s20
	s_and_saveexec_b32 s5, s4
	s_cbranch_execz .LBB65_12
.LBB65_16:                              ;   in Loop: Header=BB65_4 Depth=1
	s_waitcnt vmcnt(0)
	v_lshlrev_b32_e32 v14, 16, v14
	s_delay_alu instid0(VALU_DEP_1) | instskip(SKIP_2) | instid1(VALU_DEP_1)
	v_fma_f32 v15, |v14|, -0.5, 0.5
	v_mul_f32_e32 v16, v14, v14
	v_cmp_ge_f32_e64 s4, |v14|, 0.5
	v_cndmask_b32_e64 v15, v16, v15, s4
	s_delay_alu instid0(VALU_DEP_1) | instskip(SKIP_1) | instid1(VALU_DEP_1)
	v_fmaak_f32 v16, s19, v15, 0x3c5fc5da
	v_sqrt_f32_e32 v17, v15
	v_fmaak_f32 v16, v15, v16, 0x3d034c3c
	s_delay_alu instid0(VALU_DEP_1) | instskip(NEXT) | instid1(VALU_DEP_1)
	v_fmaak_f32 v16, v15, v16, 0x3d3641b1
	v_fmaak_f32 v16, v15, v16, 0x3d999bc8
	s_delay_alu instid0(VALU_DEP_1) | instskip(NEXT) | instid1(VALU_DEP_1)
	v_fmaak_f32 v16, v15, v16, 0x3e2aaaac
	v_mul_f32_e32 v15, v15, v16
	v_cmp_lt_f32_e64 s4, |v14|, 0.5
	s_delay_alu instid0(TRANS32_DEP_1) | instid1(VALU_DEP_2)
	v_fmac_f32_e32 v17, v17, v15
	v_fma_f32 v15, |v14|, v15, |v14|
	s_delay_alu instid0(VALU_DEP_2) | instskip(NEXT) | instid1(VALU_DEP_1)
	v_add_f32_e32 v16, v17, v17
	v_sub_f32_e32 v16, 0x3fc90fdb, v16
	s_delay_alu instid0(VALU_DEP_1) | instskip(NEXT) | instid1(VALU_DEP_1)
	v_cndmask_b32_e64 v15, v16, v15, s4
	v_bfi_b32 v14, 0x7fffffff, v15, v14
	s_delay_alu instid0(VALU_DEP_1) | instskip(SKIP_1) | instid1(VALU_DEP_2)
	v_bfe_u32 v15, v14, 16, 1
	v_cmp_o_f32_e64 s4, v14, v14
	v_add3_u32 v15, v14, v15, 0x7fff
	s_delay_alu instid0(VALU_DEP_1) | instskip(NEXT) | instid1(VALU_DEP_1)
	v_lshrrev_b32_e32 v15, 16, v15
	v_cndmask_b32_e64 v14, 0x7fc0, v15, s4
	global_store_b16 v[1:2], v14, off
	s_or_b32 exec_lo, exec_lo, s5
	s_and_saveexec_b32 s4, s3
	s_cbranch_execz .LBB65_13
.LBB65_17:                              ;   in Loop: Header=BB65_4 Depth=1
	s_waitcnt vmcnt(0)
	v_lshlrev_b32_e32 v13, 16, v13
	s_delay_alu instid0(VALU_DEP_1) | instskip(SKIP_2) | instid1(VALU_DEP_1)
	v_fma_f32 v14, |v13|, -0.5, 0.5
	v_mul_f32_e32 v15, v13, v13
	v_cmp_ge_f32_e64 s3, |v13|, 0.5
	v_cndmask_b32_e64 v14, v15, v14, s3
	s_delay_alu instid0(VALU_DEP_1) | instskip(SKIP_1) | instid1(VALU_DEP_1)
	v_fmaak_f32 v15, s19, v14, 0x3c5fc5da
	v_sqrt_f32_e32 v16, v14
	v_fmaak_f32 v15, v14, v15, 0x3d034c3c
	s_delay_alu instid0(VALU_DEP_1) | instskip(NEXT) | instid1(VALU_DEP_1)
	v_fmaak_f32 v15, v14, v15, 0x3d3641b1
	v_fmaak_f32 v15, v14, v15, 0x3d999bc8
	s_delay_alu instid0(VALU_DEP_1) | instskip(NEXT) | instid1(VALU_DEP_1)
	v_fmaak_f32 v15, v14, v15, 0x3e2aaaac
	v_mul_f32_e32 v14, v14, v15
	v_cmp_lt_f32_e64 s3, |v13|, 0.5
	s_delay_alu instid0(TRANS32_DEP_1) | instid1(VALU_DEP_2)
	v_fmac_f32_e32 v16, v16, v14
	v_fma_f32 v14, |v13|, v14, |v13|
	s_delay_alu instid0(VALU_DEP_2) | instskip(NEXT) | instid1(VALU_DEP_1)
	v_add_f32_e32 v15, v16, v16
	v_sub_f32_e32 v15, 0x3fc90fdb, v15
	s_delay_alu instid0(VALU_DEP_1) | instskip(NEXT) | instid1(VALU_DEP_1)
	v_cndmask_b32_e64 v14, v15, v14, s3
	v_bfi_b32 v13, 0x7fffffff, v14, v13
	s_delay_alu instid0(VALU_DEP_1) | instskip(SKIP_1) | instid1(VALU_DEP_2)
	v_bfe_u32 v14, v13, 16, 1
	v_cmp_o_f32_e64 s3, v13, v13
	v_add3_u32 v14, v13, v14, 0x7fff
	s_delay_alu instid0(VALU_DEP_1) | instskip(NEXT) | instid1(VALU_DEP_1)
	v_lshrrev_b32_e32 v14, 16, v14
	v_cndmask_b32_e64 v13, 0x7fc0, v14, s3
	global_store_b16 v[3:4], v13, off
	s_or_b32 exec_lo, exec_lo, s4
	s_and_saveexec_b32 s3, s2
	s_cbranch_execz .LBB65_14
.LBB65_18:                              ;   in Loop: Header=BB65_4 Depth=1
	s_waitcnt vmcnt(0)
	v_lshlrev_b32_e32 v12, 16, v12
	s_delay_alu instid0(VALU_DEP_1) | instskip(SKIP_2) | instid1(VALU_DEP_1)
	v_fma_f32 v13, |v12|, -0.5, 0.5
	v_mul_f32_e32 v14, v12, v12
	v_cmp_ge_f32_e64 s2, |v12|, 0.5
	v_cndmask_b32_e64 v13, v14, v13, s2
	s_delay_alu instid0(VALU_DEP_1) | instskip(SKIP_1) | instid1(VALU_DEP_1)
	v_fmaak_f32 v14, s19, v13, 0x3c5fc5da
	v_sqrt_f32_e32 v15, v13
	v_fmaak_f32 v14, v13, v14, 0x3d034c3c
	s_delay_alu instid0(VALU_DEP_1) | instskip(NEXT) | instid1(VALU_DEP_1)
	v_fmaak_f32 v14, v13, v14, 0x3d3641b1
	v_fmaak_f32 v14, v13, v14, 0x3d999bc8
	s_delay_alu instid0(VALU_DEP_1) | instskip(NEXT) | instid1(VALU_DEP_1)
	v_fmaak_f32 v14, v13, v14, 0x3e2aaaac
	v_mul_f32_e32 v13, v13, v14
	v_cmp_lt_f32_e64 s2, |v12|, 0.5
	s_delay_alu instid0(TRANS32_DEP_1) | instid1(VALU_DEP_2)
	v_fmac_f32_e32 v15, v15, v13
	v_fma_f32 v13, |v12|, v13, |v12|
	s_delay_alu instid0(VALU_DEP_2) | instskip(NEXT) | instid1(VALU_DEP_1)
	v_add_f32_e32 v14, v15, v15
	v_sub_f32_e32 v14, 0x3fc90fdb, v14
	s_delay_alu instid0(VALU_DEP_1) | instskip(NEXT) | instid1(VALU_DEP_1)
	v_cndmask_b32_e64 v13, v14, v13, s2
	v_bfi_b32 v12, 0x7fffffff, v13, v12
	s_delay_alu instid0(VALU_DEP_1) | instskip(SKIP_1) | instid1(VALU_DEP_2)
	v_bfe_u32 v13, v12, 16, 1
	v_cmp_o_f32_e64 s2, v12, v12
	v_add3_u32 v13, v12, v13, 0x7fff
	s_delay_alu instid0(VALU_DEP_1) | instskip(NEXT) | instid1(VALU_DEP_1)
	v_lshrrev_b32_e32 v13, 16, v13
	v_cndmask_b32_e64 v14, 0x7fc0, v13, s2
	v_add_co_u32 v12, s2, v1, s16
	s_delay_alu instid0(VALU_DEP_1)
	v_add_co_ci_u32_e64 v13, s2, 0, v2, s2
	global_store_b16 v[12:13], v14, off
	s_or_b32 exec_lo, exec_lo, s3
	s_and_saveexec_b32 s2, vcc_lo
	s_cbranch_execz .LBB65_3
.LBB65_19:                              ;   in Loop: Header=BB65_4 Depth=1
	s_waitcnt vmcnt(0)
	v_lshlrev_b32_e32 v11, 16, v11
	s_delay_alu instid0(VALU_DEP_1) | instskip(SKIP_2) | instid1(VALU_DEP_2)
	v_fma_f32 v12, |v11|, -0.5, 0.5
	v_mul_f32_e32 v13, v11, v11
	v_cmp_ge_f32_e64 vcc_lo, |v11|, 0.5
	v_cndmask_b32_e32 v12, v13, v12, vcc_lo
	v_cmp_lt_f32_e64 vcc_lo, |v11|, 0.5
	s_delay_alu instid0(VALU_DEP_2) | instskip(SKIP_1) | instid1(VALU_DEP_1)
	v_fmaak_f32 v13, s19, v12, 0x3c5fc5da
	v_sqrt_f32_e32 v14, v12
	v_fmaak_f32 v13, v12, v13, 0x3d034c3c
	s_delay_alu instid0(VALU_DEP_1) | instskip(NEXT) | instid1(VALU_DEP_1)
	v_fmaak_f32 v13, v12, v13, 0x3d3641b1
	v_fmaak_f32 v13, v12, v13, 0x3d999bc8
	s_delay_alu instid0(VALU_DEP_1) | instskip(NEXT) | instid1(VALU_DEP_1)
	v_fmaak_f32 v13, v12, v13, 0x3e2aaaac
	v_mul_f32_e32 v12, v12, v13
	s_waitcnt_depctr 0xfff
	v_fmac_f32_e32 v14, v14, v12
	s_delay_alu instid0(VALU_DEP_1) | instskip(SKIP_1) | instid1(VALU_DEP_2)
	v_add_f32_e32 v13, v14, v14
	v_fma_f32 v12, |v11|, v12, |v11|
	v_sub_f32_e32 v13, 0x3fc90fdb, v13
	s_delay_alu instid0(VALU_DEP_1) | instskip(NEXT) | instid1(VALU_DEP_1)
	v_cndmask_b32_e32 v12, v13, v12, vcc_lo
	v_bfi_b32 v11, 0x7fffffff, v12, v11
	s_delay_alu instid0(VALU_DEP_1) | instskip(SKIP_1) | instid1(VALU_DEP_2)
	v_bfe_u32 v12, v11, 16, 1
	v_cmp_o_f32_e32 vcc_lo, v11, v11
	v_add3_u32 v12, v11, v12, 0x7fff
	s_delay_alu instid0(VALU_DEP_1) | instskip(NEXT) | instid1(VALU_DEP_1)
	v_lshrrev_b32_e32 v12, 16, v12
	v_cndmask_b32_e32 v13, 0x7fc0, v12, vcc_lo
	v_add_co_u32 v11, vcc_lo, v1, s18
	v_add_co_ci_u32_e32 v12, vcc_lo, 0, v2, vcc_lo
	global_store_b16 v[11:12], v13, off
	s_branch .LBB65_3
.LBB65_20:
	s_cbranch_execz .LBB65_22
	s_branch .LBB65_25
.LBB65_21:
.LBB65_22:
	v_dual_mov_b32 v2, 0 :: v_dual_lshlrev_b32 v1, 2, v0
	s_mov_b32 s2, 0
	s_mov_b32 s3, exec_lo
	s_delay_alu instid0(VALU_DEP_1)
	v_cmpx_gt_i64_e64 s[6:7], v[1:2]
	s_cbranch_execz .LBB65_25
; %bb.23:
	s_load_b32 s0, s[0:1], 0xd3c
	v_lshlrev_b32_e32 v1, 3, v0
	s_mov_b32 s5, 0x3d1c21a7
	s_waitcnt lgkmcnt(0)
	s_and_b32 s0, s0, 0xffff
	s_add_u32 s1, s8, s10
	s_addc_u32 s3, s9, s11
	v_add_co_u32 v3, s1, s1, v1
	s_delay_alu instid0(VALU_DEP_1)
	v_add_co_ci_u32_e64 v4, null, s3, 0, s1
	v_add_lshl_u32 v1, v0, s0, 2
	s_lshl_b32 s3, s0, 3
	s_lshl_b32 s4, s0, 2
.LBB65_24:                              ; =>This Inner Loop Header: Depth=1
	global_load_b64 v[5:6], v[3:4], off
	v_cmp_lt_u64_e64 s0, 0xffff, v[1:2]
	s_waitcnt vmcnt(0)
	v_and_b32_e32 v7, 0xffff0000, v5
	v_lshlrev_b32_e32 v0, 16, v5
	v_alignbit_b32 v5, v6, v5, 16
	s_delay_alu instid0(VALU_DEP_3) | instskip(NEXT) | instid1(VALU_DEP_3)
	v_dual_mul_f32 v11, v7, v7 :: v_dual_and_b32 v6, 0xffff0000, v6
	v_mul_f32_e32 v9, v0, v0
	v_fma_f32 v8, |v0|, -0.5, 0.5
	v_cmp_ge_f32_e64 vcc_lo, |v0|, 0.5
	s_delay_alu instid0(VALU_DEP_4) | instskip(NEXT) | instid1(VALU_DEP_3)
	v_fma_f32 v12, |v6|, -0.5, 0.5
	v_cndmask_b32_e32 v8, v9, v8, vcc_lo
	v_fma_f32 v10, |v7|, -0.5, 0.5
	v_cmp_ge_f32_e64 vcc_lo, |v7|, 0.5
	s_delay_alu instid0(VALU_DEP_3) | instskip(NEXT) | instid1(VALU_DEP_2)
	v_sqrt_f32_e32 v16, v8
	v_cndmask_b32_e32 v9, v11, v10, vcc_lo
	v_mul_f32_e32 v13, v6, v6
	v_cmp_ge_f32_e64 vcc_lo, |v6|, 0.5
	s_delay_alu instid0(VALU_DEP_3) | instskip(NEXT) | instid1(VALU_DEP_3)
	v_fmaak_f32 v14, s5, v9, 0x3c5fc5da
	v_dual_cndmask_b32 v12, v13, v12 :: v_dual_and_b32 v5, 0xffff0000, v5
	s_delay_alu instid0(VALU_DEP_1) | instskip(SKIP_2) | instid1(VALU_DEP_4)
	v_fma_f32 v10, |v5|, -0.5, 0.5
	v_mul_f32_e32 v11, v5, v5
	v_cmp_ge_f32_e64 vcc_lo, |v5|, 0.5
	v_sqrt_f32_e32 v18, v12
	s_delay_alu instid0(VALU_DEP_2) | instskip(SKIP_2) | instid1(VALU_DEP_2)
	v_cndmask_b32_e32 v10, v11, v10, vcc_lo
	v_fmaak_f32 v13, s5, v8, 0x3c5fc5da
	v_cmp_lt_f32_e64 vcc_lo, |v0|, 0.5
	v_fmaak_f32 v13, v8, v13, 0x3d034c3c
	s_delay_alu instid0(VALU_DEP_1) | instskip(NEXT) | instid1(VALU_DEP_1)
	v_fmaak_f32 v13, v8, v13, 0x3d3641b1
	v_fmaak_f32 v13, v8, v13, 0x3d999bc8
	s_delay_alu instid0(VALU_DEP_1) | instskip(NEXT) | instid1(VALU_DEP_1)
	v_fmaak_f32 v13, v8, v13, 0x3e2aaaac
	v_mul_f32_e32 v8, v8, v13
	v_fmaak_f32 v14, v9, v14, 0x3d034c3c
	v_fmaak_f32 v15, s5, v10, 0x3c5fc5da
	v_sqrt_f32_e32 v17, v9
	v_sqrt_f32_e32 v13, v10
	v_fmac_f32_e32 v16, v16, v8
	v_fmaak_f32 v14, v9, v14, 0x3d3641b1
	v_fmaak_f32 v15, v10, v15, 0x3d034c3c
	v_fma_f32 v8, |v0|, v8, |v0|
	s_delay_alu instid0(VALU_DEP_3) | instskip(NEXT) | instid1(VALU_DEP_3)
	v_fmaak_f32 v14, v9, v14, 0x3d999bc8
	v_fmaak_f32 v15, v10, v15, 0x3d3641b1
	s_delay_alu instid0(VALU_DEP_2) | instskip(NEXT) | instid1(VALU_DEP_2)
	v_fmaak_f32 v14, v9, v14, 0x3e2aaaac
	v_fmaak_f32 v15, v10, v15, 0x3d999bc8
	s_delay_alu instid0(VALU_DEP_1) | instskip(NEXT) | instid1(VALU_DEP_1)
	v_dual_mul_f32 v9, v9, v14 :: v_dual_fmaak_f32 v14, v10, v15, 0x3e2aaaac
	v_fmac_f32_e32 v17, v17, v9
	s_delay_alu instid0(VALU_DEP_2) | instskip(NEXT) | instid1(VALU_DEP_1)
	v_dual_fmaak_f32 v11, s5, v12, 0x3c5fc5da :: v_dual_mul_f32 v10, v10, v14
	v_dual_add_f32 v14, v17, v17 :: v_dual_fmaak_f32 v11, v12, v11, 0x3d034c3c
	s_delay_alu instid0(VALU_DEP_1) | instskip(NEXT) | instid1(VALU_DEP_2)
	v_sub_f32_e32 v14, 0x3fc90fdb, v14
	v_fmaak_f32 v11, v12, v11, 0x3d3641b1
	s_delay_alu instid0(VALU_DEP_1) | instskip(NEXT) | instid1(VALU_DEP_1)
	v_fmaak_f32 v11, v12, v11, 0x3d999bc8
	v_fmaak_f32 v11, v12, v11, 0x3e2aaaac
	s_delay_alu instid0(VALU_DEP_1) | instskip(SKIP_1) | instid1(VALU_DEP_1)
	v_mul_f32_e32 v11, v12, v11
	v_add_f32_e32 v12, v16, v16
	v_sub_f32_e32 v12, 0x3fc90fdb, v12
	s_delay_alu instid0(VALU_DEP_3) | instskip(SKIP_2) | instid1(VALU_DEP_4)
	v_fmac_f32_e32 v18, v18, v11
	v_fma_f32 v9, |v7|, v9, |v7|
	v_fma_f32 v11, |v6|, v11, |v6|
	v_cndmask_b32_e32 v8, v12, v8, vcc_lo
	v_cmp_lt_f32_e64 vcc_lo, |v7|, 0.5
	s_delay_alu instid0(VALU_DEP_2) | instskip(SKIP_2) | instid1(VALU_DEP_2)
	v_bfi_b32 v0, 0x7fffffff, v8, v0
	v_cndmask_b32_e32 v9, v14, v9, vcc_lo
	v_cmp_lt_f32_e64 vcc_lo, |v6|, 0.5
	v_bfi_b32 v7, 0x7fffffff, v9, v7
	s_delay_alu instid0(VALU_DEP_4) | instskip(NEXT) | instid1(VALU_DEP_2)
	v_bfe_u32 v9, v0, 16, 1
	v_bfe_u32 v8, v7, 16, 1
	s_delay_alu instid0(VALU_DEP_2) | instskip(NEXT) | instid1(VALU_DEP_2)
	v_add3_u32 v9, v0, v9, 0x7fff
	v_add3_u32 v8, v7, v8, 0x7fff
	v_fmac_f32_e32 v13, v13, v10
	v_fma_f32 v10, |v5|, v10, |v5|
	s_delay_alu instid0(VALU_DEP_4) | instskip(NEXT) | instid1(VALU_DEP_3)
	v_lshrrev_b32_e32 v9, 16, v9
	v_dual_add_f32 v13, v13, v13 :: v_dual_and_b32 v8, 0xffff0000, v8
	s_delay_alu instid0(VALU_DEP_1) | instskip(NEXT) | instid1(VALU_DEP_1)
	v_dual_add_f32 v15, v18, v18 :: v_dual_sub_f32 v12, 0x3fc90fdb, v13
	v_sub_f32_e32 v15, 0x3fc90fdb, v15
	s_delay_alu instid0(VALU_DEP_1) | instskip(SKIP_1) | instid1(VALU_DEP_2)
	v_cndmask_b32_e32 v11, v15, v11, vcc_lo
	v_cmp_lt_f32_e64 vcc_lo, |v5|, 0.5
	v_bfi_b32 v6, 0x7fffffff, v11, v6
	v_cndmask_b32_e32 v10, v12, v10, vcc_lo
	v_cmp_o_f32_e32 vcc_lo, v7, v7
	s_delay_alu instid0(VALU_DEP_2) | instskip(NEXT) | instid1(VALU_DEP_4)
	v_bfi_b32 v5, 0x7fffffff, v10, v5
	v_bfe_u32 v10, v6, 16, 1
	v_cndmask_b32_e32 v7, 0x7fc00000, v8, vcc_lo
	v_cmp_o_f32_e32 vcc_lo, v0, v0
	s_delay_alu instid0(VALU_DEP_4) | instskip(NEXT) | instid1(VALU_DEP_4)
	v_bfe_u32 v11, v5, 16, 1
	v_add3_u32 v10, v6, v10, 0x7fff
	v_cndmask_b32_e32 v0, 0x7fc0, v9, vcc_lo
	v_cmp_o_f32_e32 vcc_lo, v6, v6
	s_delay_alu instid0(VALU_DEP_4) | instskip(NEXT) | instid1(VALU_DEP_4)
	v_add3_u32 v11, v5, v11, 0x7fff
	v_and_b32_e32 v10, 0xffff0000, v10
	s_delay_alu instid0(VALU_DEP_4) | instskip(NEXT) | instid1(VALU_DEP_3)
	v_or_b32_e32 v0, v0, v7
	v_lshrrev_b32_e32 v11, 16, v11
	s_delay_alu instid0(VALU_DEP_3) | instskip(SKIP_1) | instid1(VALU_DEP_3)
	v_cndmask_b32_e32 v6, 0x7fc00000, v10, vcc_lo
	v_cmp_o_f32_e32 vcc_lo, v5, v5
	v_cndmask_b32_e32 v5, 0x7fc0, v11, vcc_lo
	v_cmp_le_i64_e32 vcc_lo, s[6:7], v[1:2]
	v_add_co_u32 v1, s1, v1, s4
	s_delay_alu instid0(VALU_DEP_1) | instskip(NEXT) | instid1(VALU_DEP_4)
	v_add_co_ci_u32_e64 v2, s1, 0, v2, s1
	v_or3_b32 v6, 0, v5, v6
	v_or3_b32 v5, v0, 0, 0
	s_or_b32 s0, vcc_lo, s0
	s_delay_alu instid0(SALU_CYCLE_1) | instskip(SKIP_4) | instid1(SALU_CYCLE_1)
	s_and_b32 s0, exec_lo, s0
	global_store_b64 v[3:4], v[5:6], off
	v_add_co_u32 v3, vcc_lo, v3, s3
	v_add_co_ci_u32_e32 v4, vcc_lo, 0, v4, vcc_lo
	s_or_b32 s2, s0, s2
	s_and_not1_b32 exec_lo, exec_lo, s2
	s_cbranch_execnz .LBB65_24
.LBB65_25:
	s_nop 0
	s_sendmsg sendmsg(MSG_DEALLOC_VGPRS)
	s_endpgm
	.section	.rodata,"a",@progbits
	.p2align	6, 0x0
	.amdhsa_kernel _ZN2at6native12_GLOBAL__N_125multi_tensor_apply_kernelINS1_18TensorListMetadataILi1EEENS1_14UnaryOpFunctorIN3c108BFloat16ELi1ELi1ELi0EEEJNS0_4AsinIfEEEEEvT_T0_DpT1_
		.amdhsa_group_segment_fixed_size 0
		.amdhsa_private_segment_fixed_size 0
		.amdhsa_kernarg_size 3632
		.amdhsa_user_sgpr_count 15
		.amdhsa_user_sgpr_dispatch_ptr 0
		.amdhsa_user_sgpr_queue_ptr 0
		.amdhsa_user_sgpr_kernarg_segment_ptr 1
		.amdhsa_user_sgpr_dispatch_id 0
		.amdhsa_user_sgpr_private_segment_size 0
		.amdhsa_wavefront_size32 1
		.amdhsa_uses_dynamic_stack 0
		.amdhsa_enable_private_segment 0
		.amdhsa_system_sgpr_workgroup_id_x 1
		.amdhsa_system_sgpr_workgroup_id_y 0
		.amdhsa_system_sgpr_workgroup_id_z 0
		.amdhsa_system_sgpr_workgroup_info 0
		.amdhsa_system_vgpr_workitem_id 0
		.amdhsa_next_free_vgpr 19
		.amdhsa_next_free_sgpr 21
		.amdhsa_reserve_vcc 1
		.amdhsa_float_round_mode_32 0
		.amdhsa_float_round_mode_16_64 0
		.amdhsa_float_denorm_mode_32 3
		.amdhsa_float_denorm_mode_16_64 3
		.amdhsa_dx10_clamp 1
		.amdhsa_ieee_mode 1
		.amdhsa_fp16_overflow 0
		.amdhsa_workgroup_processor_mode 1
		.amdhsa_memory_ordered 1
		.amdhsa_forward_progress 0
		.amdhsa_shared_vgpr_count 0
		.amdhsa_exception_fp_ieee_invalid_op 0
		.amdhsa_exception_fp_denorm_src 0
		.amdhsa_exception_fp_ieee_div_zero 0
		.amdhsa_exception_fp_ieee_overflow 0
		.amdhsa_exception_fp_ieee_underflow 0
		.amdhsa_exception_fp_ieee_inexact 0
		.amdhsa_exception_int_div_zero 0
	.end_amdhsa_kernel
	.section	.text._ZN2at6native12_GLOBAL__N_125multi_tensor_apply_kernelINS1_18TensorListMetadataILi1EEENS1_14UnaryOpFunctorIN3c108BFloat16ELi1ELi1ELi0EEEJNS0_4AsinIfEEEEEvT_T0_DpT1_,"axG",@progbits,_ZN2at6native12_GLOBAL__N_125multi_tensor_apply_kernelINS1_18TensorListMetadataILi1EEENS1_14UnaryOpFunctorIN3c108BFloat16ELi1ELi1ELi0EEEJNS0_4AsinIfEEEEEvT_T0_DpT1_,comdat
.Lfunc_end65:
	.size	_ZN2at6native12_GLOBAL__N_125multi_tensor_apply_kernelINS1_18TensorListMetadataILi1EEENS1_14UnaryOpFunctorIN3c108BFloat16ELi1ELi1ELi0EEEJNS0_4AsinIfEEEEEvT_T0_DpT1_, .Lfunc_end65-_ZN2at6native12_GLOBAL__N_125multi_tensor_apply_kernelINS1_18TensorListMetadataILi1EEENS1_14UnaryOpFunctorIN3c108BFloat16ELi1ELi1ELi0EEEJNS0_4AsinIfEEEEEvT_T0_DpT1_
                                        ; -- End function
	.section	.AMDGPU.csdata,"",@progbits
; Kernel info:
; codeLenInByte = 2676
; NumSgprs: 23
; NumVgprs: 19
; ScratchSize: 0
; MemoryBound: 0
; FloatMode: 240
; IeeeMode: 1
; LDSByteSize: 0 bytes/workgroup (compile time only)
; SGPRBlocks: 2
; VGPRBlocks: 2
; NumSGPRsForWavesPerEU: 23
; NumVGPRsForWavesPerEU: 19
; Occupancy: 16
; WaveLimiterHint : 0
; COMPUTE_PGM_RSRC2:SCRATCH_EN: 0
; COMPUTE_PGM_RSRC2:USER_SGPR: 15
; COMPUTE_PGM_RSRC2:TRAP_HANDLER: 0
; COMPUTE_PGM_RSRC2:TGID_X_EN: 1
; COMPUTE_PGM_RSRC2:TGID_Y_EN: 0
; COMPUTE_PGM_RSRC2:TGID_Z_EN: 0
; COMPUTE_PGM_RSRC2:TIDIG_COMP_CNT: 0
	.section	.text._ZN2at6native12_GLOBAL__N_125multi_tensor_apply_kernelINS1_18TensorListMetadataILi2EEENS1_14UnaryOpFunctorIdLi2ELi1ELi1EEEJNS0_4AtanIdEEEEEvT_T0_DpT1_,"axG",@progbits,_ZN2at6native12_GLOBAL__N_125multi_tensor_apply_kernelINS1_18TensorListMetadataILi2EEENS1_14UnaryOpFunctorIdLi2ELi1ELi1EEEJNS0_4AtanIdEEEEEvT_T0_DpT1_,comdat
	.globl	_ZN2at6native12_GLOBAL__N_125multi_tensor_apply_kernelINS1_18TensorListMetadataILi2EEENS1_14UnaryOpFunctorIdLi2ELi1ELi1EEEJNS0_4AtanIdEEEEEvT_T0_DpT1_ ; -- Begin function _ZN2at6native12_GLOBAL__N_125multi_tensor_apply_kernelINS1_18TensorListMetadataILi2EEENS1_14UnaryOpFunctorIdLi2ELi1ELi1EEEJNS0_4AtanIdEEEEEvT_T0_DpT1_
	.p2align	8
	.type	_ZN2at6native12_GLOBAL__N_125multi_tensor_apply_kernelINS1_18TensorListMetadataILi2EEENS1_14UnaryOpFunctorIdLi2ELi1ELi1EEEJNS0_4AtanIdEEEEEvT_T0_DpT1_,@function
_ZN2at6native12_GLOBAL__N_125multi_tensor_apply_kernelINS1_18TensorListMetadataILi2EEENS1_14UnaryOpFunctorIdLi2ELi1ELi1EEEJNS0_4AtanIdEEEEEvT_T0_DpT1_: ; @_ZN2at6native12_GLOBAL__N_125multi_tensor_apply_kernelINS1_18TensorListMetadataILi2EEENS1_14UnaryOpFunctorIdLi2ELi1ELi1EEEJNS0_4AtanIdEEEEEvT_T0_DpT1_
; %bb.0:
	v_mov_b32_e32 v1, s15
	s_add_u32 s2, s0, s15
	s_mul_hi_u32 s3, s15, 3
	s_mul_i32 s15, s15, 3
	s_addc_u32 s4, s1, 0
	global_load_u8 v1, v1, s[0:1] offset:1536
	s_add_u32 s2, s2, s15
	s_addc_u32 s3, s4, s3
	s_mov_b32 s7, 0
	s_load_b32 s2, s[2:3], 0x740
	s_mov_b32 s11, s7
	s_mov_b32 s17, s7
	s_waitcnt vmcnt(0)
	v_readfirstlane_b32 s5, v1
	s_delay_alu instid0(VALU_DEP_1)
	s_lshl_b32 s3, s5, 3
	s_clause 0x2
	s_load_b64 s[14:15], s[0:1], s3 offset:0x0
	s_load_b64 s[12:13], s[0:1], s3 offset:0x200
	;; [unrolled: 1-line block ×3, first 2 shown]
	s_waitcnt lgkmcnt(0)
	s_ashr_i32 s3, s2, 31
	s_delay_alu instid0(SALU_CYCLE_1) | instskip(NEXT) | instid1(SALU_CYCLE_1)
	s_lshl_b64 s[8:9], s[2:3], 19
	s_add_u32 s33, s14, s8
	s_addc_u32 s62, s15, s9
	s_and_b32 s6, s33, 31
	s_add_u32 s63, s12, s8
	s_addc_u32 s64, s13, s9
	s_and_b32 s10, s4, 3
	s_and_b32 s16, s63, 31
	s_or_b64 s[6:7], s[6:7], s[10:11]
	s_lshl_b64 s[2:3], s[2:3], 16
	s_or_b64 s[6:7], s[16:17], s[6:7]
	s_sub_u32 s10, s4, s2
	s_subb_u32 s11, s5, s3
	s_cmp_eq_u64 s[6:7], 0
	s_mov_b32 s2, -1
	s_cbranch_scc0 .LBB66_5
; %bb.1:
	v_dual_mov_b32 v2, 0 :: v_dual_lshlrev_b32 v1, 2, v0
	s_mov_b32 s65, exec_lo
	s_delay_alu instid0(VALU_DEP_1)
	v_cmpx_gt_i64_e64 s[10:11], v[1:2]
	s_cbranch_execz .LBB66_4
; %bb.2:
	s_load_b32 s2, s[0:1], 0xc5c
	v_lshlrev_b32_e32 v3, 5, v0
	s_mov_b32 s16, 0xbd3237f4
	s_mov_b32 s18, 0xb5e68a13
	;; [unrolled: 1-line block ×18, first 2 shown]
	s_waitcnt lgkmcnt(0)
	s_and_b32 s2, s2, 0xffff
	s_mov_b32 s54, 0x999952cc
	v_add_lshl_u32 v1, v0, s2, 2
	s_mov_b32 s56, 0x55555523
	s_mov_b32 s58, 0xeeb562d6
	;; [unrolled: 1-line block ×26, first 2 shown]
	s_lshl_b32 s67, s2, 2
	s_lshl_b32 s68, s2, 5
.LBB66_3:                               ; =>This Inner Loop Header: Depth=1
	v_add_co_u32 v8, s2, s33, v3
	s_delay_alu instid0(VALU_DEP_1)
	v_add_co_ci_u32_e64 v9, null, s62, 0, s2
	v_cmp_le_i64_e64 s5, s[10:11], v[1:2]
	v_cmp_lt_u64_e64 s6, 0xffff, v[1:2]
	s_clause 0x1
	global_load_b128 v[4:7], v[8:9], off
	global_load_b128 v[8:11], v[8:9], off offset:16
	s_or_b32 s5, s5, s6
	s_add_u32 s33, s33, s68
	s_addc_u32 s62, s62, 0
	s_waitcnt vmcnt(1)
	v_dual_mov_b32 v12, v4 :: v_dual_and_b32 v13, 0x7fffffff, v5
	v_dual_mov_b32 v14, v6 :: v_dual_and_b32 v15, 0x7fffffff, v7
	s_waitcnt vmcnt(0)
	v_dual_mov_b32 v16, v8 :: v_dual_and_b32 v17, 0x7fffffff, v9
	s_delay_alu instid0(VALU_DEP_3) | instskip(SKIP_2) | instid1(VALU_DEP_4)
	v_div_scale_f64 v[20:21], null, v[12:13], v[12:13], 1.0
	v_dual_mov_b32 v18, v10 :: v_dual_and_b32 v19, 0x7fffffff, v11
	v_div_scale_f64 v[22:23], null, v[14:15], v[14:15], 1.0
	v_div_scale_f64 v[24:25], null, v[16:17], v[16:17], 1.0
	s_delay_alu instid0(VALU_DEP_3)
	v_div_scale_f64 v[26:27], null, v[18:19], v[18:19], 1.0
	v_div_scale_f64 v[44:45], vcc_lo, 1.0, v[12:13], 1.0
	v_div_scale_f64 v[46:47], s2, 1.0, v[14:15], 1.0
	v_div_scale_f64 v[48:49], s3, 1.0, v[16:17], 1.0
	;; [unrolled: 1-line block ×3, first 2 shown]
	v_rcp_f64_e32 v[28:29], v[20:21]
	v_rcp_f64_e32 v[30:31], v[22:23]
	;; [unrolled: 1-line block ×4, first 2 shown]
	v_fma_f64 v[36:37], -v[20:21], v[28:29], 1.0
	s_delay_alu instid0(TRANS32_DEP_3)
	v_fma_f64 v[38:39], -v[22:23], v[30:31], 1.0
	s_waitcnt_depctr 0xfff
	v_fma_f64 v[40:41], -v[24:25], v[32:33], 1.0
	v_fma_f64 v[42:43], -v[26:27], v[34:35], 1.0
	v_fma_f64 v[28:29], v[28:29], v[36:37], v[28:29]
	v_fma_f64 v[30:31], v[30:31], v[38:39], v[30:31]
	s_delay_alu instid0(VALU_DEP_4) | instskip(NEXT) | instid1(VALU_DEP_4)
	v_fma_f64 v[32:33], v[32:33], v[40:41], v[32:33]
	v_fma_f64 v[34:35], v[34:35], v[42:43], v[34:35]
	s_delay_alu instid0(VALU_DEP_4) | instskip(NEXT) | instid1(VALU_DEP_4)
	v_fma_f64 v[36:37], -v[20:21], v[28:29], 1.0
	v_fma_f64 v[38:39], -v[22:23], v[30:31], 1.0
	s_delay_alu instid0(VALU_DEP_4) | instskip(NEXT) | instid1(VALU_DEP_4)
	v_fma_f64 v[40:41], -v[24:25], v[32:33], 1.0
	v_fma_f64 v[42:43], -v[26:27], v[34:35], 1.0
	s_delay_alu instid0(VALU_DEP_4) | instskip(NEXT) | instid1(VALU_DEP_4)
	v_fma_f64 v[28:29], v[28:29], v[36:37], v[28:29]
	v_fma_f64 v[30:31], v[30:31], v[38:39], v[30:31]
	s_delay_alu instid0(VALU_DEP_4) | instskip(NEXT) | instid1(VALU_DEP_4)
	v_fma_f64 v[32:33], v[32:33], v[40:41], v[32:33]
	v_fma_f64 v[34:35], v[34:35], v[42:43], v[34:35]
	s_delay_alu instid0(VALU_DEP_4) | instskip(NEXT) | instid1(VALU_DEP_4)
	v_mul_f64 v[36:37], v[44:45], v[28:29]
	v_mul_f64 v[38:39], v[46:47], v[30:31]
	s_delay_alu instid0(VALU_DEP_4) | instskip(NEXT) | instid1(VALU_DEP_4)
	v_mul_f64 v[40:41], v[48:49], v[32:33]
	v_mul_f64 v[42:43], v[50:51], v[34:35]
	s_delay_alu instid0(VALU_DEP_4) | instskip(NEXT) | instid1(VALU_DEP_4)
	v_fma_f64 v[20:21], -v[20:21], v[36:37], v[44:45]
	v_fma_f64 v[22:23], -v[22:23], v[38:39], v[46:47]
	s_delay_alu instid0(VALU_DEP_4) | instskip(NEXT) | instid1(VALU_DEP_4)
	v_fma_f64 v[24:25], -v[24:25], v[40:41], v[48:49]
	v_fma_f64 v[26:27], -v[26:27], v[42:43], v[50:51]
	s_delay_alu instid0(VALU_DEP_4)
	v_div_fmas_f64 v[20:21], v[20:21], v[28:29], v[36:37]
	s_mov_b32 vcc_lo, s2
	v_cmp_gt_f64_e64 s2, |v[6:7]|, 1.0
	v_div_fmas_f64 v[22:23], v[22:23], v[30:31], v[38:39]
	s_mov_b32 vcc_lo, s3
	v_cmp_gt_f64_e64 s3, |v[8:9]|, 1.0
	v_div_fmas_f64 v[24:25], v[24:25], v[32:33], v[40:41]
	s_mov_b32 vcc_lo, s4
	v_cmp_gt_f64_e64 s4, |v[10:11]|, 1.0
	v_div_fmas_f64 v[26:27], v[26:27], v[34:35], v[42:43]
	v_cmp_gt_f64_e64 vcc_lo, |v[4:5]|, 1.0
	v_div_fixup_f64 v[20:21], v[20:21], |v[4:5]|, 1.0
	v_div_fixup_f64 v[22:23], v[22:23], |v[6:7]|, 1.0
	;; [unrolled: 1-line block ×4, first 2 shown]
	s_delay_alu instid0(VALU_DEP_4) | instskip(NEXT) | instid1(VALU_DEP_4)
	v_dual_cndmask_b32 v13, v13, v21 :: v_dual_cndmask_b32 v12, v4, v20
	v_cndmask_b32_e64 v15, v15, v23, s2
	v_cndmask_b32_e64 v14, v6, v22, s2
	s_delay_alu instid0(VALU_DEP_3)
	v_mul_f64 v[20:21], v[12:13], v[12:13]
	v_cndmask_b32_e64 v17, v17, v25, s3
	v_cndmask_b32_e64 v16, v8, v24, s3
	;; [unrolled: 1-line block ×4, first 2 shown]
	v_mul_f64 v[22:23], v[14:15], v[14:15]
	s_delay_alu instid0(VALU_DEP_4) | instskip(NEXT) | instid1(VALU_DEP_3)
	v_mul_f64 v[24:25], v[16:17], v[16:17]
	v_mul_f64 v[26:27], v[18:19], v[18:19]
	v_fma_f64 v[28:29], v[20:21], s[18:19], s[16:17]
	s_delay_alu instid0(VALU_DEP_4) | instskip(NEXT) | instid1(VALU_DEP_4)
	v_fma_f64 v[30:31], v[22:23], s[18:19], s[16:17]
	v_fma_f64 v[32:33], v[24:25], s[18:19], s[16:17]
	s_delay_alu instid0(VALU_DEP_4) | instskip(NEXT) | instid1(VALU_DEP_4)
	v_fma_f64 v[34:35], v[26:27], s[18:19], s[16:17]
	;; [unrolled: 3-line block ×38, first 2 shown]
	v_mul_f64 v[20:21], v[20:21], v[28:29]
	v_add_co_u32 v28, s7, s63, v3
	s_delay_alu instid0(VALU_DEP_1)
	v_add_co_ci_u32_e64 v29, null, s64, 0, s7
	v_add_co_u32 v1, s7, v1, s67
	v_mul_f64 v[22:23], v[22:23], v[30:31]
	v_mul_f64 v[24:25], v[24:25], v[32:33]
	s_add_u32 s63, s63, s68
	v_mul_f64 v[26:27], v[26:27], v[34:35]
	v_add_co_ci_u32_e64 v2, s7, 0, v2, s7
	s_addc_u32 s64, s64, 0
	v_fma_f64 v[12:13], v[12:13], v[20:21], v[12:13]
	v_fma_f64 v[14:15], v[14:15], v[22:23], v[14:15]
	;; [unrolled: 1-line block ×4, first 2 shown]
	s_delay_alu instid0(VALU_DEP_4) | instskip(NEXT) | instid1(VALU_DEP_4)
	v_fma_f64 v[20:21], s[60:61], s[58:59], -v[12:13]
	v_fma_f64 v[22:23], s[60:61], s[58:59], -v[14:15]
	s_delay_alu instid0(VALU_DEP_4) | instskip(NEXT) | instid1(VALU_DEP_4)
	v_fma_f64 v[24:25], s[60:61], s[58:59], -v[16:17]
	v_fma_f64 v[26:27], s[60:61], s[58:59], -v[18:19]
	s_delay_alu instid0(VALU_DEP_4) | instskip(SKIP_1) | instid1(VALU_DEP_1)
	v_cndmask_b32_e32 v4, v12, v20, vcc_lo
	v_cndmask_b32_e32 v10, v13, v21, vcc_lo
	v_bfi_b32 v5, 0x7fffffff, v10, v5
	v_cndmask_b32_e64 v12, v15, v23, s2
	v_cndmask_b32_e64 v6, v14, v22, s2
	;; [unrolled: 1-line block ×5, first 2 shown]
	v_bfi_b32 v7, 0x7fffffff, v12, v7
	v_cndmask_b32_e64 v10, v18, v26, s4
	v_bfi_b32 v9, 0x7fffffff, v13, v9
	v_bfi_b32 v11, 0x7fffffff, v14, v11
	s_and_b32 s2, exec_lo, s5
	s_clause 0x1
	global_store_b128 v[28:29], v[4:7], off
	global_store_b128 v[28:29], v[8:11], off offset:16
	s_or_b32 s66, s2, s66
	s_delay_alu instid0(SALU_CYCLE_1)
	s_and_not1_b32 exec_lo, exec_lo, s66
	s_cbranch_execnz .LBB66_3
.LBB66_4:
	s_or_b32 exec_lo, exec_lo, s65
	s_mov_b32 s2, 0
.LBB66_5:
	s_delay_alu instid0(SALU_CYCLE_1)
	s_and_not1_b32 vcc_lo, exec_lo, s2
	s_cbranch_vccnz .LBB66_25
; %bb.6:
	v_cmp_lt_i64_e64 s2, s[10:11], 1
	s_delay_alu instid0(VALU_DEP_1)
	s_and_b32 vcc_lo, exec_lo, s2
	s_cbranch_vccnz .LBB66_25
; %bb.7:
	s_load_b32 s0, s[0:1], 0xc5c
	v_dual_mov_b32 v2, 0 :: v_dual_lshlrev_b32 v1, 3, v0
	v_cmp_gt_u64_e64 s1, 0x10000, s[10:11]
	s_mov_b32 s6, 0xbd3237f4
	s_mov_b32 s16, 0x69efb384
	s_delay_alu instid0(VALU_DEP_2) | instskip(NEXT) | instid1(VALU_DEP_1)
	v_add_co_u32 v9, s2, s14, v1
	v_add_co_ci_u32_e64 v10, null, s15, 0, s2
	v_add_co_u32 v11, s2, s12, v1
	s_delay_alu instid0(VALU_DEP_1)
	v_add_co_ci_u32_e64 v12, null, s13, 0, s2
	s_mov_b32 s18, 0xaf56de9b
	s_mov_b32 s20, 0xa595c56f
	;; [unrolled: 1-line block ×6, first 2 shown]
	s_waitcnt lgkmcnt(0)
	s_and_b32 s0, s0, 0xffff
	s_and_b32 s1, s1, exec_lo
	v_mad_u64_u32 v[3:4], null, s0, 24, v[1:2]
	s_cselect_b32 s5, s11, 0
	s_cselect_b32 s4, s10, 0x10000
	s_lshl_b32 s3, s0, 4
	s_mul_i32 s2, s0, 3
	v_add_co_u32 v1, s3, s3, v1
	s_delay_alu instid0(VALU_DEP_2) | instskip(NEXT) | instid1(VALU_DEP_3)
	v_add_co_u32 v13, vcc_lo, s14, v3
	v_add_co_ci_u32_e32 v14, vcc_lo, s15, v4, vcc_lo
	v_add_co_u32 v17, s2, s2, v0
	v_add_co_u32 v15, vcc_lo, s12, v3
	v_add_co_ci_u32_e64 v2, null, 0, 0, s3
	v_add_co_ci_u32_e64 v18, null, 0, 0, s2
	v_add_co_u32 v21, s2, v0, s0
	v_add_co_ci_u32_e32 v16, vcc_lo, s13, v4, vcc_lo
	v_add_co_u32 v19, vcc_lo, s14, v1
	v_add_co_ci_u32_e32 v20, vcc_lo, s15, v2, vcc_lo
	v_add_co_u32 v22, vcc_lo, s12, v1
	v_lshlrev_b32_e32 v1, 3, v21
	s_lshl_b32 s1, s0, 1
	v_add_co_ci_u32_e32 v23, vcc_lo, s13, v2, vcc_lo
	v_add_co_u32 v25, s1, s1, v0
	s_delay_alu instid0(VALU_DEP_1) | instskip(SKIP_1) | instid1(VALU_DEP_1)
	v_add_co_ci_u32_e64 v26, null, 0, 0, s1
	v_add_co_u32 v27, s1, s14, v1
	v_add_co_ci_u32_e64 v28, null, s15, 0, s1
	v_add_co_u32 v29, s1, s12, v1
	v_add_co_ci_u32_e64 v24, null, 0, 0, s2
	v_add_co_ci_u32_e64 v30, null, s13, 0, s1
	s_mov_b32 s14, 0xb5e68a13
	s_mov_b32 s30, 0xe82d3ff0
	;; [unrolled: 1-line block ×36, first 2 shown]
	s_lshl_b32 s33, s0, 2
	s_lshl_b32 s58, s0, 5
	s_mov_b64 s[12:13], 0
	s_branch .LBB66_9
.LBB66_8:                               ;   in Loop: Header=BB66_9 Depth=1
	s_or_b32 exec_lo, exec_lo, s1
	v_add_co_u32 v9, vcc_lo, v9, s58
	v_add_co_ci_u32_e32 v10, vcc_lo, 0, v10, vcc_lo
	v_add_co_u32 v11, vcc_lo, v11, s58
	v_add_co_ci_u32_e32 v12, vcc_lo, 0, v12, vcc_lo
	;; [unrolled: 2-line block ×5, first 2 shown]
	s_add_u32 s12, s12, s33
	v_add_co_u32 v22, vcc_lo, v22, s58
	s_addc_u32 s13, s13, 0
	v_add_co_ci_u32_e32 v23, vcc_lo, 0, v23, vcc_lo
	v_cmp_ge_i64_e64 s0, s[12:13], s[10:11]
	v_cmp_lt_u64_e64 s1, 0xffff, s[12:13]
	v_add_co_u32 v27, vcc_lo, v27, s58
	v_add_co_ci_u32_e32 v28, vcc_lo, 0, v28, vcc_lo
	v_add_co_u32 v29, vcc_lo, v29, s58
	v_add_co_ci_u32_e32 v30, vcc_lo, 0, v30, vcc_lo
	s_or_b32 s0, s0, s1
	s_delay_alu instid0(SALU_CYCLE_1)
	s_and_b32 vcc_lo, exec_lo, s0
	s_cbranch_vccnz .LBB66_25
.LBB66_9:                               ; =>This Inner Loop Header: Depth=1
	s_waitcnt vmcnt(0)
	v_add_co_u32 v1, s0, v0, s12
	s_delay_alu instid0(VALU_DEP_1) | instskip(SKIP_2) | instid1(VALU_DEP_3)
	v_add_co_ci_u32_e64 v2, null, 0, s13, s0
	v_mov_b32_e32 v5, 0
	v_mov_b32_e32 v6, 0
	v_cmp_gt_u64_e32 vcc_lo, s[4:5], v[1:2]
	s_delay_alu instid0(VALU_DEP_2)
	v_dual_mov_b32 v8, v6 :: v_dual_mov_b32 v7, v5
	s_and_saveexec_b32 s1, vcc_lo
	s_cbranch_execz .LBB66_11
; %bb.10:                               ;   in Loop: Header=BB66_9 Depth=1
	v_add_co_u32 v1, s0, v9, s8
	s_delay_alu instid0(VALU_DEP_1)
	v_add_co_ci_u32_e64 v2, s0, s9, v10, s0
	global_load_b64 v[7:8], v[1:2], off
.LBB66_11:                              ;   in Loop: Header=BB66_9 Depth=1
	s_or_b32 exec_lo, exec_lo, s1
	v_add_co_u32 v1, s0, v21, s12
	s_delay_alu instid0(VALU_DEP_1) | instskip(NEXT) | instid1(VALU_DEP_1)
	v_add_co_ci_u32_e64 v2, s0, s13, v24, s0
	v_cmp_gt_u64_e64 s2, s[4:5], v[1:2]
	s_delay_alu instid0(VALU_DEP_1)
	s_and_saveexec_b32 s1, s2
	s_cbranch_execz .LBB66_13
; %bb.12:                               ;   in Loop: Header=BB66_9 Depth=1
	v_add_co_u32 v1, s0, v27, s8
	s_delay_alu instid0(VALU_DEP_1)
	v_add_co_ci_u32_e64 v2, s0, s9, v28, s0
	global_load_b64 v[5:6], v[1:2], off
.LBB66_13:                              ;   in Loop: Header=BB66_9 Depth=1
	s_or_b32 exec_lo, exec_lo, s1
	v_add_co_u32 v3, s0, v25, s12
	s_delay_alu instid0(VALU_DEP_1) | instskip(SKIP_2) | instid1(VALU_DEP_3)
	v_add_co_ci_u32_e64 v4, s0, s13, v26, s0
	v_mov_b32_e32 v1, 0
	v_mov_b32_e32 v2, 0
	v_cmp_gt_u64_e64 s1, s[4:5], v[3:4]
	s_delay_alu instid0(VALU_DEP_2) | instskip(NEXT) | instid1(VALU_DEP_2)
	v_dual_mov_b32 v4, v2 :: v_dual_mov_b32 v3, v1
	s_and_saveexec_b32 s3, s1
	s_cbranch_execz .LBB66_15
; %bb.14:                               ;   in Loop: Header=BB66_9 Depth=1
	v_add_co_u32 v3, s0, v19, s8
	s_delay_alu instid0(VALU_DEP_1)
	v_add_co_ci_u32_e64 v4, s0, s9, v20, s0
	global_load_b64 v[3:4], v[3:4], off
.LBB66_15:                              ;   in Loop: Header=BB66_9 Depth=1
	s_or_b32 exec_lo, exec_lo, s3
	v_add_co_u32 v31, s0, v17, s12
	s_delay_alu instid0(VALU_DEP_1) | instskip(NEXT) | instid1(VALU_DEP_1)
	v_add_co_ci_u32_e64 v32, s0, s13, v18, s0
	v_cmp_gt_u64_e64 s0, s[4:5], v[31:32]
	s_delay_alu instid0(VALU_DEP_1)
	s_and_saveexec_b32 s59, s0
	s_cbranch_execnz .LBB66_20
; %bb.16:                               ;   in Loop: Header=BB66_9 Depth=1
	s_or_b32 exec_lo, exec_lo, s59
	s_and_saveexec_b32 s3, vcc_lo
	s_cbranch_execnz .LBB66_21
.LBB66_17:                              ;   in Loop: Header=BB66_9 Depth=1
	s_or_b32 exec_lo, exec_lo, s3
	s_and_saveexec_b32 s3, s2
	s_cbranch_execnz .LBB66_22
.LBB66_18:                              ;   in Loop: Header=BB66_9 Depth=1
	s_or_b32 exec_lo, exec_lo, s3
	s_and_saveexec_b32 s2, s1
	s_cbranch_execnz .LBB66_23
.LBB66_19:                              ;   in Loop: Header=BB66_9 Depth=1
	s_or_b32 exec_lo, exec_lo, s2
	s_and_saveexec_b32 s1, s0
	s_cbranch_execz .LBB66_8
	s_branch .LBB66_24
.LBB66_20:                              ;   in Loop: Header=BB66_9 Depth=1
	v_add_co_u32 v1, s3, v13, s8
	s_delay_alu instid0(VALU_DEP_1)
	v_add_co_ci_u32_e64 v2, s3, s9, v14, s3
	global_load_b64 v[1:2], v[1:2], off
	s_or_b32 exec_lo, exec_lo, s59
	s_and_saveexec_b32 s3, vcc_lo
	s_cbranch_execz .LBB66_17
.LBB66_21:                              ;   in Loop: Header=BB66_9 Depth=1
	s_waitcnt vmcnt(0)
	v_dual_mov_b32 v31, v7 :: v_dual_and_b32 v32, 0x7fffffff, v8
	s_delay_alu instid0(VALU_DEP_1) | instskip(SKIP_1) | instid1(VALU_DEP_2)
	v_div_scale_f64 v[33:34], null, v[31:32], v[31:32], 1.0
	v_div_scale_f64 v[39:40], vcc_lo, 1.0, v[31:32], 1.0
	v_rcp_f64_e32 v[35:36], v[33:34]
	s_waitcnt_depctr 0xfff
	v_fma_f64 v[37:38], -v[33:34], v[35:36], 1.0
	s_delay_alu instid0(VALU_DEP_1) | instskip(NEXT) | instid1(VALU_DEP_1)
	v_fma_f64 v[35:36], v[35:36], v[37:38], v[35:36]
	v_fma_f64 v[37:38], -v[33:34], v[35:36], 1.0
	s_delay_alu instid0(VALU_DEP_1) | instskip(NEXT) | instid1(VALU_DEP_1)
	v_fma_f64 v[35:36], v[35:36], v[37:38], v[35:36]
	v_mul_f64 v[37:38], v[39:40], v[35:36]
	s_delay_alu instid0(VALU_DEP_1) | instskip(NEXT) | instid1(VALU_DEP_1)
	v_fma_f64 v[33:34], -v[33:34], v[37:38], v[39:40]
	v_div_fmas_f64 v[33:34], v[33:34], v[35:36], v[37:38]
	v_cmp_gt_f64_e64 vcc_lo, |v[7:8]|, 1.0
	s_delay_alu instid0(VALU_DEP_2) | instskip(NEXT) | instid1(VALU_DEP_1)
	v_div_fixup_f64 v[33:34], v[33:34], |v[7:8]|, 1.0
	v_dual_cndmask_b32 v32, v32, v34 :: v_dual_cndmask_b32 v31, v31, v33
	s_delay_alu instid0(VALU_DEP_1) | instskip(NEXT) | instid1(VALU_DEP_1)
	v_mul_f64 v[33:34], v[31:32], v[31:32]
	v_fma_f64 v[35:36], v[33:34], s[14:15], s[6:7]
	s_delay_alu instid0(VALU_DEP_1) | instskip(NEXT) | instid1(VALU_DEP_1)
	v_fma_f64 v[35:36], v[33:34], v[35:36], s[16:17]
	v_fma_f64 v[35:36], v[33:34], v[35:36], s[18:19]
	s_delay_alu instid0(VALU_DEP_1) | instskip(NEXT) | instid1(VALU_DEP_1)
	v_fma_f64 v[35:36], v[33:34], v[35:36], s[20:21]
	v_fma_f64 v[35:36], v[33:34], v[35:36], s[22:23]
	s_delay_alu instid0(VALU_DEP_1) | instskip(NEXT) | instid1(VALU_DEP_1)
	v_fma_f64 v[35:36], v[33:34], v[35:36], s[24:25]
	v_fma_f64 v[35:36], v[33:34], v[35:36], s[26:27]
	s_delay_alu instid0(VALU_DEP_1) | instskip(NEXT) | instid1(VALU_DEP_1)
	v_fma_f64 v[35:36], v[33:34], v[35:36], s[28:29]
	v_fma_f64 v[35:36], v[33:34], v[35:36], s[30:31]
	s_delay_alu instid0(VALU_DEP_1) | instskip(NEXT) | instid1(VALU_DEP_1)
	v_fma_f64 v[35:36], v[33:34], v[35:36], s[34:35]
	v_fma_f64 v[35:36], v[33:34], v[35:36], s[36:37]
	s_delay_alu instid0(VALU_DEP_1) | instskip(NEXT) | instid1(VALU_DEP_1)
	v_fma_f64 v[35:36], v[33:34], v[35:36], s[38:39]
	v_fma_f64 v[35:36], v[33:34], v[35:36], s[40:41]
	s_delay_alu instid0(VALU_DEP_1) | instskip(NEXT) | instid1(VALU_DEP_1)
	v_fma_f64 v[35:36], v[33:34], v[35:36], s[42:43]
	v_fma_f64 v[35:36], v[33:34], v[35:36], s[44:45]
	s_delay_alu instid0(VALU_DEP_1) | instskip(NEXT) | instid1(VALU_DEP_1)
	v_fma_f64 v[35:36], v[33:34], v[35:36], s[46:47]
	v_fma_f64 v[35:36], v[33:34], v[35:36], s[48:49]
	s_delay_alu instid0(VALU_DEP_1) | instskip(NEXT) | instid1(VALU_DEP_1)
	v_fma_f64 v[35:36], v[33:34], v[35:36], s[50:51]
	v_fma_f64 v[35:36], v[33:34], v[35:36], s[52:53]
	s_delay_alu instid0(VALU_DEP_1) | instskip(NEXT) | instid1(VALU_DEP_1)
	v_mul_f64 v[33:34], v[33:34], v[35:36]
	v_fma_f64 v[31:32], v[31:32], v[33:34], v[31:32]
	s_delay_alu instid0(VALU_DEP_1) | instskip(NEXT) | instid1(VALU_DEP_1)
	v_fma_f64 v[33:34], s[56:57], s[54:55], -v[31:32]
	v_dual_cndmask_b32 v32, v32, v34 :: v_dual_cndmask_b32 v7, v31, v33
	v_add_co_u32 v31, vcc_lo, v11, s8
	s_delay_alu instid0(VALU_DEP_2)
	v_bfi_b32 v8, 0x7fffffff, v32, v8
	v_add_co_ci_u32_e32 v32, vcc_lo, s9, v12, vcc_lo
	global_store_b64 v[31:32], v[7:8], off
	s_or_b32 exec_lo, exec_lo, s3
	s_and_saveexec_b32 s3, s2
	s_cbranch_execz .LBB66_18
.LBB66_22:                              ;   in Loop: Header=BB66_9 Depth=1
	s_waitcnt vmcnt(0)
	v_dual_mov_b32 v7, v5 :: v_dual_and_b32 v8, 0x7fffffff, v6
	s_delay_alu instid0(VALU_DEP_1) | instskip(SKIP_1) | instid1(VALU_DEP_2)
	v_div_scale_f64 v[31:32], null, v[7:8], v[7:8], 1.0
	v_div_scale_f64 v[37:38], vcc_lo, 1.0, v[7:8], 1.0
	v_rcp_f64_e32 v[33:34], v[31:32]
	s_waitcnt_depctr 0xfff
	v_fma_f64 v[35:36], -v[31:32], v[33:34], 1.0
	s_delay_alu instid0(VALU_DEP_1) | instskip(NEXT) | instid1(VALU_DEP_1)
	v_fma_f64 v[33:34], v[33:34], v[35:36], v[33:34]
	v_fma_f64 v[35:36], -v[31:32], v[33:34], 1.0
	s_delay_alu instid0(VALU_DEP_1) | instskip(NEXT) | instid1(VALU_DEP_1)
	v_fma_f64 v[33:34], v[33:34], v[35:36], v[33:34]
	v_mul_f64 v[35:36], v[37:38], v[33:34]
	s_delay_alu instid0(VALU_DEP_1) | instskip(NEXT) | instid1(VALU_DEP_1)
	v_fma_f64 v[31:32], -v[31:32], v[35:36], v[37:38]
	v_div_fmas_f64 v[31:32], v[31:32], v[33:34], v[35:36]
	v_cmp_gt_f64_e64 vcc_lo, |v[5:6]|, 1.0
	s_delay_alu instid0(VALU_DEP_2) | instskip(NEXT) | instid1(VALU_DEP_1)
	v_div_fixup_f64 v[31:32], v[31:32], |v[5:6]|, 1.0
	v_dual_cndmask_b32 v8, v8, v32 :: v_dual_cndmask_b32 v7, v7, v31
	s_delay_alu instid0(VALU_DEP_1) | instskip(NEXT) | instid1(VALU_DEP_1)
	v_mul_f64 v[31:32], v[7:8], v[7:8]
	v_fma_f64 v[33:34], v[31:32], s[14:15], s[6:7]
	s_delay_alu instid0(VALU_DEP_1) | instskip(NEXT) | instid1(VALU_DEP_1)
	v_fma_f64 v[33:34], v[31:32], v[33:34], s[16:17]
	v_fma_f64 v[33:34], v[31:32], v[33:34], s[18:19]
	s_delay_alu instid0(VALU_DEP_1) | instskip(NEXT) | instid1(VALU_DEP_1)
	v_fma_f64 v[33:34], v[31:32], v[33:34], s[20:21]
	;; [unrolled: 3-line block ×9, first 2 shown]
	v_fma_f64 v[33:34], v[31:32], v[33:34], s[52:53]
	s_delay_alu instid0(VALU_DEP_1) | instskip(NEXT) | instid1(VALU_DEP_1)
	v_mul_f64 v[31:32], v[31:32], v[33:34]
	v_fma_f64 v[7:8], v[7:8], v[31:32], v[7:8]
	s_delay_alu instid0(VALU_DEP_1) | instskip(NEXT) | instid1(VALU_DEP_1)
	v_fma_f64 v[31:32], s[56:57], s[54:55], -v[7:8]
	v_dual_cndmask_b32 v8, v8, v32 :: v_dual_cndmask_b32 v5, v7, v31
	v_add_co_u32 v7, vcc_lo, v29, s8
	s_delay_alu instid0(VALU_DEP_2)
	v_bfi_b32 v6, 0x7fffffff, v8, v6
	v_add_co_ci_u32_e32 v8, vcc_lo, s9, v30, vcc_lo
	global_store_b64 v[7:8], v[5:6], off
	s_or_b32 exec_lo, exec_lo, s3
	s_and_saveexec_b32 s2, s1
	s_cbranch_execz .LBB66_19
.LBB66_23:                              ;   in Loop: Header=BB66_9 Depth=1
	s_waitcnt vmcnt(0)
	v_dual_mov_b32 v5, v3 :: v_dual_and_b32 v6, 0x7fffffff, v4
	s_delay_alu instid0(VALU_DEP_1) | instskip(SKIP_1) | instid1(VALU_DEP_2)
	v_div_scale_f64 v[7:8], null, v[5:6], v[5:6], 1.0
	v_div_scale_f64 v[35:36], vcc_lo, 1.0, v[5:6], 1.0
	v_rcp_f64_e32 v[31:32], v[7:8]
	s_waitcnt_depctr 0xfff
	v_fma_f64 v[33:34], -v[7:8], v[31:32], 1.0
	s_delay_alu instid0(VALU_DEP_1) | instskip(NEXT) | instid1(VALU_DEP_1)
	v_fma_f64 v[31:32], v[31:32], v[33:34], v[31:32]
	v_fma_f64 v[33:34], -v[7:8], v[31:32], 1.0
	s_delay_alu instid0(VALU_DEP_1) | instskip(NEXT) | instid1(VALU_DEP_1)
	v_fma_f64 v[31:32], v[31:32], v[33:34], v[31:32]
	v_mul_f64 v[33:34], v[35:36], v[31:32]
	s_delay_alu instid0(VALU_DEP_1) | instskip(NEXT) | instid1(VALU_DEP_1)
	v_fma_f64 v[7:8], -v[7:8], v[33:34], v[35:36]
	v_div_fmas_f64 v[7:8], v[7:8], v[31:32], v[33:34]
	v_cmp_gt_f64_e64 vcc_lo, |v[3:4]|, 1.0
	s_delay_alu instid0(VALU_DEP_2) | instskip(NEXT) | instid1(VALU_DEP_1)
	v_div_fixup_f64 v[7:8], v[7:8], |v[3:4]|, 1.0
	v_dual_cndmask_b32 v6, v6, v8 :: v_dual_cndmask_b32 v5, v5, v7
	s_delay_alu instid0(VALU_DEP_1) | instskip(NEXT) | instid1(VALU_DEP_1)
	v_mul_f64 v[7:8], v[5:6], v[5:6]
	v_fma_f64 v[31:32], v[7:8], s[14:15], s[6:7]
	s_delay_alu instid0(VALU_DEP_1) | instskip(NEXT) | instid1(VALU_DEP_1)
	v_fma_f64 v[31:32], v[7:8], v[31:32], s[16:17]
	v_fma_f64 v[31:32], v[7:8], v[31:32], s[18:19]
	s_delay_alu instid0(VALU_DEP_1) | instskip(NEXT) | instid1(VALU_DEP_1)
	v_fma_f64 v[31:32], v[7:8], v[31:32], s[20:21]
	;; [unrolled: 3-line block ×9, first 2 shown]
	v_fma_f64 v[31:32], v[7:8], v[31:32], s[52:53]
	s_delay_alu instid0(VALU_DEP_1) | instskip(NEXT) | instid1(VALU_DEP_1)
	v_mul_f64 v[7:8], v[7:8], v[31:32]
	v_fma_f64 v[5:6], v[5:6], v[7:8], v[5:6]
	s_delay_alu instid0(VALU_DEP_1) | instskip(NEXT) | instid1(VALU_DEP_1)
	v_fma_f64 v[7:8], s[56:57], s[54:55], -v[5:6]
	v_dual_cndmask_b32 v6, v6, v8 :: v_dual_cndmask_b32 v3, v5, v7
	v_add_co_u32 v5, vcc_lo, v22, s8
	s_delay_alu instid0(VALU_DEP_2)
	v_bfi_b32 v4, 0x7fffffff, v6, v4
	v_add_co_ci_u32_e32 v6, vcc_lo, s9, v23, vcc_lo
	global_store_b64 v[5:6], v[3:4], off
	s_or_b32 exec_lo, exec_lo, s2
	s_and_saveexec_b32 s1, s0
	s_cbranch_execz .LBB66_8
.LBB66_24:                              ;   in Loop: Header=BB66_9 Depth=1
	s_waitcnt vmcnt(0)
	v_dual_mov_b32 v3, v1 :: v_dual_and_b32 v4, 0x7fffffff, v2
	s_delay_alu instid0(VALU_DEP_1) | instskip(SKIP_1) | instid1(VALU_DEP_2)
	v_div_scale_f64 v[5:6], null, v[3:4], v[3:4], 1.0
	v_div_scale_f64 v[33:34], vcc_lo, 1.0, v[3:4], 1.0
	v_rcp_f64_e32 v[7:8], v[5:6]
	s_waitcnt_depctr 0xfff
	v_fma_f64 v[31:32], -v[5:6], v[7:8], 1.0
	s_delay_alu instid0(VALU_DEP_1) | instskip(NEXT) | instid1(VALU_DEP_1)
	v_fma_f64 v[7:8], v[7:8], v[31:32], v[7:8]
	v_fma_f64 v[31:32], -v[5:6], v[7:8], 1.0
	s_delay_alu instid0(VALU_DEP_1) | instskip(NEXT) | instid1(VALU_DEP_1)
	v_fma_f64 v[7:8], v[7:8], v[31:32], v[7:8]
	v_mul_f64 v[31:32], v[33:34], v[7:8]
	s_delay_alu instid0(VALU_DEP_1) | instskip(NEXT) | instid1(VALU_DEP_1)
	v_fma_f64 v[5:6], -v[5:6], v[31:32], v[33:34]
	v_div_fmas_f64 v[5:6], v[5:6], v[7:8], v[31:32]
	v_cmp_gt_f64_e64 vcc_lo, |v[1:2]|, 1.0
	s_delay_alu instid0(VALU_DEP_2) | instskip(NEXT) | instid1(VALU_DEP_1)
	v_div_fixup_f64 v[5:6], v[5:6], |v[1:2]|, 1.0
	v_dual_cndmask_b32 v4, v4, v6 :: v_dual_cndmask_b32 v3, v3, v5
	s_delay_alu instid0(VALU_DEP_1) | instskip(NEXT) | instid1(VALU_DEP_1)
	v_mul_f64 v[5:6], v[3:4], v[3:4]
	v_fma_f64 v[7:8], v[5:6], s[14:15], s[6:7]
	s_delay_alu instid0(VALU_DEP_1) | instskip(NEXT) | instid1(VALU_DEP_1)
	v_fma_f64 v[7:8], v[5:6], v[7:8], s[16:17]
	v_fma_f64 v[7:8], v[5:6], v[7:8], s[18:19]
	s_delay_alu instid0(VALU_DEP_1) | instskip(NEXT) | instid1(VALU_DEP_1)
	v_fma_f64 v[7:8], v[5:6], v[7:8], s[20:21]
	;; [unrolled: 3-line block ×9, first 2 shown]
	v_fma_f64 v[7:8], v[5:6], v[7:8], s[52:53]
	s_delay_alu instid0(VALU_DEP_1) | instskip(NEXT) | instid1(VALU_DEP_1)
	v_mul_f64 v[5:6], v[5:6], v[7:8]
	v_fma_f64 v[3:4], v[3:4], v[5:6], v[3:4]
	s_delay_alu instid0(VALU_DEP_1) | instskip(NEXT) | instid1(VALU_DEP_1)
	v_fma_f64 v[5:6], s[56:57], s[54:55], -v[3:4]
	v_dual_cndmask_b32 v4, v4, v6 :: v_dual_cndmask_b32 v1, v3, v5
	v_add_co_u32 v3, vcc_lo, v15, s8
	s_delay_alu instid0(VALU_DEP_2)
	v_bfi_b32 v2, 0x7fffffff, v4, v2
	v_add_co_ci_u32_e32 v4, vcc_lo, s9, v16, vcc_lo
	global_store_b64 v[3:4], v[1:2], off
	s_branch .LBB66_8
.LBB66_25:
	s_nop 0
	s_sendmsg sendmsg(MSG_DEALLOC_VGPRS)
	s_endpgm
	.section	.rodata,"a",@progbits
	.p2align	6, 0x0
	.amdhsa_kernel _ZN2at6native12_GLOBAL__N_125multi_tensor_apply_kernelINS1_18TensorListMetadataILi2EEENS1_14UnaryOpFunctorIdLi2ELi1ELi1EEEJNS0_4AtanIdEEEEEvT_T0_DpT1_
		.amdhsa_group_segment_fixed_size 0
		.amdhsa_private_segment_fixed_size 0
		.amdhsa_kernarg_size 3408
		.amdhsa_user_sgpr_count 15
		.amdhsa_user_sgpr_dispatch_ptr 0
		.amdhsa_user_sgpr_queue_ptr 0
		.amdhsa_user_sgpr_kernarg_segment_ptr 1
		.amdhsa_user_sgpr_dispatch_id 0
		.amdhsa_user_sgpr_private_segment_size 0
		.amdhsa_wavefront_size32 1
		.amdhsa_uses_dynamic_stack 0
		.amdhsa_enable_private_segment 0
		.amdhsa_system_sgpr_workgroup_id_x 1
		.amdhsa_system_sgpr_workgroup_id_y 0
		.amdhsa_system_sgpr_workgroup_id_z 0
		.amdhsa_system_sgpr_workgroup_info 0
		.amdhsa_system_vgpr_workitem_id 0
		.amdhsa_next_free_vgpr 52
		.amdhsa_next_free_sgpr 69
		.amdhsa_reserve_vcc 1
		.amdhsa_float_round_mode_32 0
		.amdhsa_float_round_mode_16_64 0
		.amdhsa_float_denorm_mode_32 3
		.amdhsa_float_denorm_mode_16_64 3
		.amdhsa_dx10_clamp 1
		.amdhsa_ieee_mode 1
		.amdhsa_fp16_overflow 0
		.amdhsa_workgroup_processor_mode 1
		.amdhsa_memory_ordered 1
		.amdhsa_forward_progress 0
		.amdhsa_shared_vgpr_count 0
		.amdhsa_exception_fp_ieee_invalid_op 0
		.amdhsa_exception_fp_denorm_src 0
		.amdhsa_exception_fp_ieee_div_zero 0
		.amdhsa_exception_fp_ieee_overflow 0
		.amdhsa_exception_fp_ieee_underflow 0
		.amdhsa_exception_fp_ieee_inexact 0
		.amdhsa_exception_int_div_zero 0
	.end_amdhsa_kernel
	.section	.text._ZN2at6native12_GLOBAL__N_125multi_tensor_apply_kernelINS1_18TensorListMetadataILi2EEENS1_14UnaryOpFunctorIdLi2ELi1ELi1EEEJNS0_4AtanIdEEEEEvT_T0_DpT1_,"axG",@progbits,_ZN2at6native12_GLOBAL__N_125multi_tensor_apply_kernelINS1_18TensorListMetadataILi2EEENS1_14UnaryOpFunctorIdLi2ELi1ELi1EEEJNS0_4AtanIdEEEEEvT_T0_DpT1_,comdat
.Lfunc_end66:
	.size	_ZN2at6native12_GLOBAL__N_125multi_tensor_apply_kernelINS1_18TensorListMetadataILi2EEENS1_14UnaryOpFunctorIdLi2ELi1ELi1EEEJNS0_4AtanIdEEEEEvT_T0_DpT1_, .Lfunc_end66-_ZN2at6native12_GLOBAL__N_125multi_tensor_apply_kernelINS1_18TensorListMetadataILi2EEENS1_14UnaryOpFunctorIdLi2ELi1ELi1EEEJNS0_4AtanIdEEEEEvT_T0_DpT1_
                                        ; -- End function
	.section	.AMDGPU.csdata,"",@progbits
; Kernel info:
; codeLenInByte = 5240
; NumSgprs: 71
; NumVgprs: 52
; ScratchSize: 0
; MemoryBound: 0
; FloatMode: 240
; IeeeMode: 1
; LDSByteSize: 0 bytes/workgroup (compile time only)
; SGPRBlocks: 8
; VGPRBlocks: 6
; NumSGPRsForWavesPerEU: 71
; NumVGPRsForWavesPerEU: 52
; Occupancy: 16
; WaveLimiterHint : 0
; COMPUTE_PGM_RSRC2:SCRATCH_EN: 0
; COMPUTE_PGM_RSRC2:USER_SGPR: 15
; COMPUTE_PGM_RSRC2:TRAP_HANDLER: 0
; COMPUTE_PGM_RSRC2:TGID_X_EN: 1
; COMPUTE_PGM_RSRC2:TGID_Y_EN: 0
; COMPUTE_PGM_RSRC2:TGID_Z_EN: 0
; COMPUTE_PGM_RSRC2:TIDIG_COMP_CNT: 0
	.section	.text._ZN2at6native12_GLOBAL__N_125multi_tensor_apply_kernelINS1_18TensorListMetadataILi2EEENS1_14UnaryOpFunctorIfLi2ELi1ELi1EEEJNS0_4AtanIfEEEEEvT_T0_DpT1_,"axG",@progbits,_ZN2at6native12_GLOBAL__N_125multi_tensor_apply_kernelINS1_18TensorListMetadataILi2EEENS1_14UnaryOpFunctorIfLi2ELi1ELi1EEEJNS0_4AtanIfEEEEEvT_T0_DpT1_,comdat
	.globl	_ZN2at6native12_GLOBAL__N_125multi_tensor_apply_kernelINS1_18TensorListMetadataILi2EEENS1_14UnaryOpFunctorIfLi2ELi1ELi1EEEJNS0_4AtanIfEEEEEvT_T0_DpT1_ ; -- Begin function _ZN2at6native12_GLOBAL__N_125multi_tensor_apply_kernelINS1_18TensorListMetadataILi2EEENS1_14UnaryOpFunctorIfLi2ELi1ELi1EEEJNS0_4AtanIfEEEEEvT_T0_DpT1_
	.p2align	8
	.type	_ZN2at6native12_GLOBAL__N_125multi_tensor_apply_kernelINS1_18TensorListMetadataILi2EEENS1_14UnaryOpFunctorIfLi2ELi1ELi1EEEJNS0_4AtanIfEEEEEvT_T0_DpT1_,@function
_ZN2at6native12_GLOBAL__N_125multi_tensor_apply_kernelINS1_18TensorListMetadataILi2EEENS1_14UnaryOpFunctorIfLi2ELi1ELi1EEEJNS0_4AtanIfEEEEEvT_T0_DpT1_: ; @_ZN2at6native12_GLOBAL__N_125multi_tensor_apply_kernelINS1_18TensorListMetadataILi2EEENS1_14UnaryOpFunctorIfLi2ELi1ELi1EEEJNS0_4AtanIfEEEEEvT_T0_DpT1_
; %bb.0:
	v_mov_b32_e32 v1, s15
	s_add_u32 s2, s0, s15
	s_mul_hi_u32 s3, s15, 3
	s_mul_i32 s15, s15, 3
	s_addc_u32 s4, s1, 0
	global_load_u8 v1, v1, s[0:1] offset:1536
	s_add_u32 s2, s2, s15
	s_addc_u32 s3, s4, s3
	s_mov_b32 s7, 0
	s_load_b32 s2, s[2:3], 0x740
	s_mov_b32 s11, s7
	s_mov_b32 s21, s7
	s_waitcnt vmcnt(0)
	v_readfirstlane_b32 s5, v1
	s_delay_alu instid0(VALU_DEP_1)
	s_lshl_b32 s3, s5, 3
	s_clause 0x2
	s_load_b64 s[12:13], s[0:1], s3 offset:0x0
	s_load_b64 s[14:15], s[0:1], s3 offset:0x200
	;; [unrolled: 1-line block ×3, first 2 shown]
	s_waitcnt lgkmcnt(0)
	s_ashr_i32 s3, s2, 31
	s_delay_alu instid0(SALU_CYCLE_1) | instskip(NEXT) | instid1(SALU_CYCLE_1)
	s_lshl_b64 s[8:9], s[2:3], 18
	s_add_u32 s16, s12, s8
	s_addc_u32 s17, s13, s9
	s_and_b32 s6, s16, 15
	s_add_u32 s18, s14, s8
	s_addc_u32 s19, s15, s9
	s_and_b32 s10, s4, 3
	s_and_b32 s20, s18, 15
	s_or_b64 s[6:7], s[6:7], s[10:11]
	s_lshl_b64 s[2:3], s[2:3], 16
	s_or_b64 s[6:7], s[20:21], s[6:7]
	s_sub_u32 s10, s4, s2
	s_subb_u32 s11, s5, s3
	s_cmp_eq_u64 s[6:7], 0
	s_mov_b32 s2, -1
	s_cbranch_scc0 .LBB67_5
; %bb.1:
	v_dual_mov_b32 v2, 0 :: v_dual_lshlrev_b32 v1, 2, v0
	s_mov_b32 s20, exec_lo
	s_delay_alu instid0(VALU_DEP_1)
	v_cmpx_gt_i64_e64 s[10:11], v[1:2]
	s_cbranch_execz .LBB67_4
; %bb.2:
	s_load_b32 s2, s[0:1], 0xc5c
	v_lshlrev_b32_e32 v3, 4, v0
	s_mov_b32 s21, 0
	s_mov_b32 s24, 0x3b2d2a58
	s_waitcnt lgkmcnt(0)
	s_and_b32 s2, s2, 0xffff
	s_delay_alu instid0(SALU_CYCLE_1)
	v_add_lshl_u32 v1, v0, s2, 2
	s_lshl_b32 s22, s2, 2
	s_lshl_b32 s23, s2, 4
.LBB67_3:                               ; =>This Inner Loop Header: Depth=1
	v_add_co_u32 v4, s2, s16, v3
	s_delay_alu instid0(VALU_DEP_1) | instskip(SKIP_1) | instid1(VALU_DEP_1)
	v_add_co_ci_u32_e64 v5, null, s17, 0, s2
	v_add_co_u32 v8, s2, s18, v3
	v_add_co_ci_u32_e64 v9, null, s19, 0, s2
	global_load_b128 v[4:7], v[4:5], off
	v_cmp_le_i64_e32 vcc_lo, s[10:11], v[1:2]
	v_cmp_lt_u64_e64 s2, 0xffff, v[1:2]
	v_add_co_u32 v1, s3, v1, s22
	s_delay_alu instid0(VALU_DEP_1) | instskip(NEXT) | instid1(VALU_DEP_3)
	v_add_co_ci_u32_e64 v2, s3, 0, v2, s3
	s_or_b32 s2, vcc_lo, s2
	s_add_u32 s16, s16, s23
	s_addc_u32 s17, s17, 0
	s_add_u32 s18, s18, s23
	s_addc_u32 s19, s19, 0
	s_and_b32 s2, exec_lo, s2
	s_delay_alu instid0(SALU_CYCLE_1)
	s_or_b32 s21, s2, s21
	s_waitcnt vmcnt(0)
	v_rcp_f32_e64 v10, |v4|
	v_rcp_f32_e64 v11, |v5|
	;; [unrolled: 1-line block ×4, first 2 shown]
	v_cmp_gt_f32_e64 s4, |v5|, 1.0
	v_cmp_gt_f32_e64 s5, |v6|, 1.0
	;; [unrolled: 1-line block ×4, first 2 shown]
	s_delay_alu instid0(TRANS32_DEP_3) | instid1(VALU_DEP_4)
	v_cndmask_b32_e64 v11, |v5|, v11, s4
	s_delay_alu instid0(VALU_DEP_2) | instskip(NEXT) | instid1(TRANS32_DEP_2)
	v_cndmask_b32_e64 v10, |v4|, v10, s7
	v_cndmask_b32_e64 v12, |v6|, v12, s5
	s_delay_alu instid0(TRANS32_DEP_1) | instskip(NEXT) | instid1(VALU_DEP_3)
	v_cndmask_b32_e64 v13, |v7|, v13, s6
	v_dual_mul_f32 v15, v11, v11 :: v_dual_mul_f32 v14, v10, v10
	s_delay_alu instid0(VALU_DEP_2) | instskip(NEXT) | instid1(VALU_DEP_2)
	v_dual_mul_f32 v16, v12, v12 :: v_dual_mul_f32 v17, v13, v13
	v_dual_fmaak_f32 v19, s24, v15, 0xbc7a590c :: v_dual_fmaak_f32 v18, s24, v14, 0xbc7a590c
	s_delay_alu instid0(VALU_DEP_2) | instskip(NEXT) | instid1(VALU_DEP_2)
	v_dual_fmaak_f32 v20, s24, v16, 0xbc7a590c :: v_dual_fmaak_f32 v21, s24, v17, 0xbc7a590c
	v_dual_fmaak_f32 v19, v15, v19, 0x3d29fb3f :: v_dual_fmaak_f32 v18, v14, v18, 0x3d29fb3f
	s_delay_alu instid0(VALU_DEP_2) | instskip(NEXT) | instid1(VALU_DEP_2)
	v_dual_fmaak_f32 v20, v16, v20, 0x3d29fb3f :: v_dual_fmaak_f32 v21, v17, v21, 0x3d29fb3f
	;; [unrolled: 3-line block ×7, first 2 shown]
	v_dual_mul_f32 v15, v15, v19 :: v_dual_mul_f32 v14, v14, v18
	s_delay_alu instid0(VALU_DEP_2) | instskip(NEXT) | instid1(VALU_DEP_2)
	v_dual_mul_f32 v16, v16, v20 :: v_dual_mul_f32 v17, v17, v21
	v_dual_fmac_f32 v11, v11, v15 :: v_dual_fmac_f32 v10, v10, v14
	s_delay_alu instid0(VALU_DEP_2) | instskip(NEXT) | instid1(VALU_DEP_2)
	v_dual_fmac_f32 v12, v12, v16 :: v_dual_fmac_f32 v13, v13, v17
	v_dual_sub_f32 v15, 0x3fc90fdb, v11 :: v_dual_sub_f32 v14, 0x3fc90fdb, v10
	s_delay_alu instid0(VALU_DEP_2) | instskip(NEXT) | instid1(VALU_DEP_2)
	v_dual_sub_f32 v16, 0x3fc90fdb, v12 :: v_dual_sub_f32 v17, 0x3fc90fdb, v13
	v_cndmask_b32_e64 v11, v11, v15, s4
	s_delay_alu instid0(VALU_DEP_3) | instskip(NEXT) | instid1(VALU_DEP_3)
	v_cndmask_b32_e64 v10, v10, v14, s7
	v_cndmask_b32_e64 v12, v12, v16, s5
	s_delay_alu instid0(VALU_DEP_4) | instskip(NEXT) | instid1(VALU_DEP_4)
	v_cndmask_b32_e64 v13, v13, v17, s6
	v_bfi_b32 v5, 0x7fffffff, v11, v5
	s_delay_alu instid0(VALU_DEP_4) | instskip(NEXT) | instid1(VALU_DEP_4)
	v_bfi_b32 v4, 0x7fffffff, v10, v4
	v_bfi_b32 v6, 0x7fffffff, v12, v6
	s_delay_alu instid0(VALU_DEP_4)
	v_bfi_b32 v7, 0x7fffffff, v13, v7
	global_store_b128 v[8:9], v[4:7], off
	s_and_not1_b32 exec_lo, exec_lo, s21
	s_cbranch_execnz .LBB67_3
.LBB67_4:
	s_or_b32 exec_lo, exec_lo, s20
	s_mov_b32 s2, 0
.LBB67_5:
	s_delay_alu instid0(SALU_CYCLE_1)
	s_and_not1_b32 vcc_lo, exec_lo, s2
	s_cbranch_vccnz .LBB67_25
; %bb.6:
	v_cmp_lt_i64_e64 s2, s[10:11], 1
	s_delay_alu instid0(VALU_DEP_1)
	s_and_b32 vcc_lo, exec_lo, s2
	s_cbranch_vccnz .LBB67_25
; %bb.7:
	s_load_b32 s0, s[0:1], 0xc5c
	v_dual_mov_b32 v10, 0 :: v_dual_lshlrev_b32 v9, 2, v0
	v_cmp_gt_u64_e64 s1, 0x10000, s[10:11]
	s_mov_b64 s[6:7], 0
	s_delay_alu instid0(VALU_DEP_2) | instskip(NEXT) | instid1(VALU_DEP_1)
	v_add_co_u32 v1, s2, s12, v9
	v_add_co_ci_u32_e64 v2, null, s13, 0, s2
	v_add_co_u32 v3, s2, s14, v9
	s_delay_alu instid0(VALU_DEP_1)
	v_add_co_ci_u32_e64 v4, null, s15, 0, s2
	s_waitcnt lgkmcnt(0)
	s_and_b32 s0, s0, 0xffff
	s_and_b32 s1, s1, exec_lo
	v_mad_u64_u32 v[7:8], null, s0, 12, v[9:10]
	s_cselect_b32 s5, s11, 0
	s_cselect_b32 s4, s10, 0x10000
	s_mul_i32 s2, s0, 3
	s_lshl_b32 s3, s0, 3
	s_lshl_b32 s1, s0, 1
	v_add_co_u32 v14, s3, s3, v9
	v_add_co_u32 v9, s2, s2, v0
	s_delay_alu instid0(VALU_DEP_1) | instskip(SKIP_3) | instid1(VALU_DEP_3)
	v_add_co_ci_u32_e64 v10, null, 0, 0, s2
	v_add_co_u32 v13, s2, v0, s0
	v_add_co_u32 v5, vcc_lo, s12, v7
	v_add_co_ci_u32_e32 v6, vcc_lo, s13, v8, vcc_lo
	v_lshlrev_b32_e32 v21, 2, v13
	v_add_co_u32 v7, vcc_lo, s14, v7
	v_add_co_ci_u32_e64 v15, null, 0, 0, s3
	v_add_co_ci_u32_e32 v8, vcc_lo, s15, v8, vcc_lo
	v_add_co_u32 v17, s1, s1, v0
	v_add_co_u32 v11, vcc_lo, s12, v14
	v_add_co_ci_u32_e64 v18, null, 0, 0, s1
	v_add_co_u32 v19, s1, s12, v21
	v_add_co_ci_u32_e32 v12, vcc_lo, s13, v15, vcc_lo
	v_add_co_u32 v14, vcc_lo, s14, v14
	v_add_co_ci_u32_e64 v20, null, s13, 0, s1
	v_add_co_u32 v21, s1, s14, v21
	v_add_co_ci_u32_e32 v15, vcc_lo, s15, v15, vcc_lo
	v_add_co_ci_u32_e64 v16, null, 0, 0, s2
	v_add_co_ci_u32_e64 v22, null, s15, 0, s1
	s_lshl_b32 s16, s0, 2
	s_lshl_b32 s12, s0, 4
	s_mov_b32 s13, 0x3b2d2a58
	s_branch .LBB67_9
.LBB67_8:                               ;   in Loop: Header=BB67_9 Depth=1
	s_or_b32 exec_lo, exec_lo, s0
	v_add_co_u32 v1, vcc_lo, v1, s12
	v_add_co_ci_u32_e32 v2, vcc_lo, 0, v2, vcc_lo
	v_add_co_u32 v3, vcc_lo, v3, s12
	v_add_co_ci_u32_e32 v4, vcc_lo, 0, v4, vcc_lo
	v_add_co_u32 v5, vcc_lo, v5, s12
	v_add_co_ci_u32_e32 v6, vcc_lo, 0, v6, vcc_lo
	v_add_co_u32 v7, vcc_lo, v7, s12
	v_add_co_ci_u32_e32 v8, vcc_lo, 0, v8, vcc_lo
	v_add_co_u32 v11, vcc_lo, v11, s12
	v_add_co_ci_u32_e32 v12, vcc_lo, 0, v12, vcc_lo
	s_add_u32 s6, s6, s16
	v_add_co_u32 v14, vcc_lo, v14, s12
	s_addc_u32 s7, s7, 0
	v_add_co_ci_u32_e32 v15, vcc_lo, 0, v15, vcc_lo
	v_cmp_ge_i64_e64 s0, s[6:7], s[10:11]
	v_cmp_lt_u64_e64 s1, 0xffff, s[6:7]
	v_add_co_u32 v19, vcc_lo, v19, s12
	v_add_co_ci_u32_e32 v20, vcc_lo, 0, v20, vcc_lo
	v_add_co_u32 v21, vcc_lo, v21, s12
	v_add_co_ci_u32_e32 v22, vcc_lo, 0, v22, vcc_lo
	s_or_b32 s0, s0, s1
	s_delay_alu instid0(SALU_CYCLE_1)
	s_and_b32 vcc_lo, exec_lo, s0
	s_cbranch_vccnz .LBB67_25
.LBB67_9:                               ; =>This Inner Loop Header: Depth=1
	s_waitcnt vmcnt(0)
	v_add_co_u32 v23, s0, v0, s6
	s_delay_alu instid0(VALU_DEP_1) | instskip(SKIP_1) | instid1(VALU_DEP_2)
	v_add_co_ci_u32_e64 v24, null, 0, s7, s0
	v_mov_b32_e32 v26, 0
	v_cmp_gt_u64_e64 s2, s[4:5], v[23:24]
	s_delay_alu instid0(VALU_DEP_1)
	s_and_saveexec_b32 s0, s2
	s_cbranch_execz .LBB67_11
; %bb.10:                               ;   in Loop: Header=BB67_9 Depth=1
	v_add_co_u32 v23, vcc_lo, v1, s8
	v_add_co_ci_u32_e32 v24, vcc_lo, s9, v2, vcc_lo
	global_load_b32 v26, v[23:24], off
.LBB67_11:                              ;   in Loop: Header=BB67_9 Depth=1
	s_or_b32 exec_lo, exec_lo, s0
	v_add_co_u32 v23, vcc_lo, v13, s6
	v_add_co_ci_u32_e32 v24, vcc_lo, s7, v16, vcc_lo
	v_mov_b32_e32 v25, 0
	s_delay_alu instid0(VALU_DEP_2) | instskip(NEXT) | instid1(VALU_DEP_1)
	v_cmp_gt_u64_e64 s1, s[4:5], v[23:24]
	s_and_saveexec_b32 s0, s1
	s_cbranch_execz .LBB67_13
; %bb.12:                               ;   in Loop: Header=BB67_9 Depth=1
	v_add_co_u32 v23, vcc_lo, v19, s8
	v_add_co_ci_u32_e32 v24, vcc_lo, s9, v20, vcc_lo
	global_load_b32 v25, v[23:24], off
.LBB67_13:                              ;   in Loop: Header=BB67_9 Depth=1
	s_or_b32 exec_lo, exec_lo, s0
	v_add_co_u32 v23, vcc_lo, v17, s6
	v_add_co_ci_u32_e32 v24, vcc_lo, s7, v18, vcc_lo
	s_delay_alu instid0(VALU_DEP_1) | instskip(SKIP_1) | instid1(VALU_DEP_2)
	v_cmp_gt_u64_e64 s0, s[4:5], v[23:24]
	v_dual_mov_b32 v23, 0 :: v_dual_mov_b32 v24, 0
	s_and_saveexec_b32 s3, s0
	s_cbranch_execz .LBB67_15
; %bb.14:                               ;   in Loop: Header=BB67_9 Depth=1
	v_add_co_u32 v27, vcc_lo, v11, s8
	v_add_co_ci_u32_e32 v28, vcc_lo, s9, v12, vcc_lo
	global_load_b32 v24, v[27:28], off
.LBB67_15:                              ;   in Loop: Header=BB67_9 Depth=1
	s_or_b32 exec_lo, exec_lo, s3
	v_add_co_u32 v27, vcc_lo, v9, s6
	v_add_co_ci_u32_e32 v28, vcc_lo, s7, v10, vcc_lo
	s_delay_alu instid0(VALU_DEP_1)
	v_cmp_gt_u64_e32 vcc_lo, s[4:5], v[27:28]
	s_and_saveexec_b32 s14, vcc_lo
	s_cbranch_execnz .LBB67_20
; %bb.16:                               ;   in Loop: Header=BB67_9 Depth=1
	s_or_b32 exec_lo, exec_lo, s14
	s_and_saveexec_b32 s3, s2
	s_cbranch_execnz .LBB67_21
.LBB67_17:                              ;   in Loop: Header=BB67_9 Depth=1
	s_or_b32 exec_lo, exec_lo, s3
	s_and_saveexec_b32 s2, s1
	s_cbranch_execnz .LBB67_22
.LBB67_18:                              ;   in Loop: Header=BB67_9 Depth=1
	s_or_b32 exec_lo, exec_lo, s2
	s_and_saveexec_b32 s1, s0
	s_cbranch_execnz .LBB67_23
.LBB67_19:                              ;   in Loop: Header=BB67_9 Depth=1
	s_or_b32 exec_lo, exec_lo, s1
	s_and_saveexec_b32 s0, vcc_lo
	s_cbranch_execz .LBB67_8
	s_branch .LBB67_24
.LBB67_20:                              ;   in Loop: Header=BB67_9 Depth=1
	v_add_co_u32 v27, s3, v5, s8
	s_delay_alu instid0(VALU_DEP_1)
	v_add_co_ci_u32_e64 v28, s3, s9, v6, s3
	global_load_b32 v23, v[27:28], off
	s_or_b32 exec_lo, exec_lo, s14
	s_and_saveexec_b32 s3, s2
	s_cbranch_execz .LBB67_17
.LBB67_21:                              ;   in Loop: Header=BB67_9 Depth=1
	s_waitcnt vmcnt(0)
	v_rcp_f32_e64 v27, |v26|
	v_cmp_gt_f32_e64 s2, |v26|, 1.0
	s_waitcnt_depctr 0xfff
	v_cndmask_b32_e64 v27, |v26|, v27, s2
	s_delay_alu instid0(VALU_DEP_1) | instskip(NEXT) | instid1(VALU_DEP_1)
	v_mul_f32_e32 v28, v27, v27
	v_fmaak_f32 v29, s13, v28, 0xbc7a590c
	s_delay_alu instid0(VALU_DEP_1) | instskip(NEXT) | instid1(VALU_DEP_1)
	v_fmaak_f32 v29, v28, v29, 0x3d29fb3f
	v_fmaak_f32 v29, v28, v29, 0xbd97d4d7
	s_delay_alu instid0(VALU_DEP_1) | instskip(NEXT) | instid1(VALU_DEP_1)
	v_fmaak_f32 v29, v28, v29, 0x3dd931b2
	;; [unrolled: 3-line block ×3, first 2 shown]
	v_fmaak_f32 v29, v28, v29, 0xbeaaaa62
	s_delay_alu instid0(VALU_DEP_1) | instskip(NEXT) | instid1(VALU_DEP_1)
	v_mul_f32_e32 v28, v28, v29
	v_fmac_f32_e32 v27, v27, v28
	s_delay_alu instid0(VALU_DEP_1) | instskip(NEXT) | instid1(VALU_DEP_1)
	v_sub_f32_e32 v28, 0x3fc90fdb, v27
	v_cndmask_b32_e64 v27, v27, v28, s2
	s_delay_alu instid0(VALU_DEP_1) | instskip(SKIP_1) | instid1(VALU_DEP_1)
	v_bfi_b32 v28, 0x7fffffff, v27, v26
	v_add_co_u32 v26, s2, v3, s8
	v_add_co_ci_u32_e64 v27, s2, s9, v4, s2
	global_store_b32 v[26:27], v28, off
	s_or_b32 exec_lo, exec_lo, s3
	s_and_saveexec_b32 s2, s1
	s_cbranch_execz .LBB67_18
.LBB67_22:                              ;   in Loop: Header=BB67_9 Depth=1
	s_waitcnt vmcnt(0)
	v_rcp_f32_e64 v26, |v25|
	v_cmp_gt_f32_e64 s1, |v25|, 1.0
	s_waitcnt_depctr 0xfff
	v_cndmask_b32_e64 v26, |v25|, v26, s1
	s_delay_alu instid0(VALU_DEP_1) | instskip(NEXT) | instid1(VALU_DEP_1)
	v_mul_f32_e32 v27, v26, v26
	v_fmaak_f32 v28, s13, v27, 0xbc7a590c
	s_delay_alu instid0(VALU_DEP_1) | instskip(NEXT) | instid1(VALU_DEP_1)
	v_fmaak_f32 v28, v27, v28, 0x3d29fb3f
	v_fmaak_f32 v28, v27, v28, 0xbd97d4d7
	s_delay_alu instid0(VALU_DEP_1) | instskip(NEXT) | instid1(VALU_DEP_1)
	v_fmaak_f32 v28, v27, v28, 0x3dd931b2
	;; [unrolled: 3-line block ×3, first 2 shown]
	v_fmaak_f32 v28, v27, v28, 0xbeaaaa62
	s_delay_alu instid0(VALU_DEP_1) | instskip(NEXT) | instid1(VALU_DEP_1)
	v_mul_f32_e32 v27, v27, v28
	v_fmac_f32_e32 v26, v26, v27
	s_delay_alu instid0(VALU_DEP_1) | instskip(NEXT) | instid1(VALU_DEP_1)
	v_sub_f32_e32 v27, 0x3fc90fdb, v26
	v_cndmask_b32_e64 v26, v26, v27, s1
	s_delay_alu instid0(VALU_DEP_1) | instskip(SKIP_1) | instid1(VALU_DEP_1)
	v_bfi_b32 v27, 0x7fffffff, v26, v25
	v_add_co_u32 v25, s1, v21, s8
	v_add_co_ci_u32_e64 v26, s1, s9, v22, s1
	global_store_b32 v[25:26], v27, off
	s_or_b32 exec_lo, exec_lo, s2
	s_and_saveexec_b32 s1, s0
	s_cbranch_execz .LBB67_19
.LBB67_23:                              ;   in Loop: Header=BB67_9 Depth=1
	s_waitcnt vmcnt(0)
	v_rcp_f32_e64 v25, |v24|
	v_cmp_gt_f32_e64 s0, |v24|, 1.0
	s_waitcnt_depctr 0xfff
	v_cndmask_b32_e64 v25, |v24|, v25, s0
	s_delay_alu instid0(VALU_DEP_1) | instskip(NEXT) | instid1(VALU_DEP_1)
	v_mul_f32_e32 v26, v25, v25
	v_fmaak_f32 v27, s13, v26, 0xbc7a590c
	s_delay_alu instid0(VALU_DEP_1) | instskip(NEXT) | instid1(VALU_DEP_1)
	v_fmaak_f32 v27, v26, v27, 0x3d29fb3f
	v_fmaak_f32 v27, v26, v27, 0xbd97d4d7
	s_delay_alu instid0(VALU_DEP_1) | instskip(NEXT) | instid1(VALU_DEP_1)
	v_fmaak_f32 v27, v26, v27, 0x3dd931b2
	;; [unrolled: 3-line block ×3, first 2 shown]
	v_fmaak_f32 v27, v26, v27, 0xbeaaaa62
	s_delay_alu instid0(VALU_DEP_1) | instskip(NEXT) | instid1(VALU_DEP_1)
	v_mul_f32_e32 v26, v26, v27
	v_fmac_f32_e32 v25, v25, v26
	s_delay_alu instid0(VALU_DEP_1) | instskip(NEXT) | instid1(VALU_DEP_1)
	v_sub_f32_e32 v26, 0x3fc90fdb, v25
	v_cndmask_b32_e64 v25, v25, v26, s0
	s_delay_alu instid0(VALU_DEP_1) | instskip(SKIP_1) | instid1(VALU_DEP_1)
	v_bfi_b32 v26, 0x7fffffff, v25, v24
	v_add_co_u32 v24, s0, v14, s8
	v_add_co_ci_u32_e64 v25, s0, s9, v15, s0
	global_store_b32 v[24:25], v26, off
	s_or_b32 exec_lo, exec_lo, s1
	s_and_saveexec_b32 s0, vcc_lo
	s_cbranch_execz .LBB67_8
.LBB67_24:                              ;   in Loop: Header=BB67_9 Depth=1
	s_waitcnt vmcnt(0)
	v_rcp_f32_e64 v24, |v23|
	v_cmp_gt_f32_e64 vcc_lo, |v23|, 1.0
	s_waitcnt_depctr 0xfff
	v_cndmask_b32_e64 v24, |v23|, v24, vcc_lo
	s_delay_alu instid0(VALU_DEP_1) | instskip(NEXT) | instid1(VALU_DEP_1)
	v_mul_f32_e32 v25, v24, v24
	v_fmaak_f32 v26, s13, v25, 0xbc7a590c
	s_delay_alu instid0(VALU_DEP_1) | instskip(NEXT) | instid1(VALU_DEP_1)
	v_fmaak_f32 v26, v25, v26, 0x3d29fb3f
	v_fmaak_f32 v26, v25, v26, 0xbd97d4d7
	s_delay_alu instid0(VALU_DEP_1) | instskip(NEXT) | instid1(VALU_DEP_1)
	v_fmaak_f32 v26, v25, v26, 0x3dd931b2
	;; [unrolled: 3-line block ×3, first 2 shown]
	v_fmaak_f32 v26, v25, v26, 0xbeaaaa62
	s_delay_alu instid0(VALU_DEP_1) | instskip(NEXT) | instid1(VALU_DEP_1)
	v_mul_f32_e32 v25, v25, v26
	v_fmac_f32_e32 v24, v24, v25
	s_delay_alu instid0(VALU_DEP_1) | instskip(NEXT) | instid1(VALU_DEP_1)
	v_sub_f32_e32 v25, 0x3fc90fdb, v24
	v_cndmask_b32_e32 v24, v24, v25, vcc_lo
	s_delay_alu instid0(VALU_DEP_1)
	v_bfi_b32 v25, 0x7fffffff, v24, v23
	v_add_co_u32 v23, vcc_lo, v7, s8
	v_add_co_ci_u32_e32 v24, vcc_lo, s9, v8, vcc_lo
	global_store_b32 v[23:24], v25, off
	s_branch .LBB67_8
.LBB67_25:
	s_nop 0
	s_sendmsg sendmsg(MSG_DEALLOC_VGPRS)
	s_endpgm
	.section	.rodata,"a",@progbits
	.p2align	6, 0x0
	.amdhsa_kernel _ZN2at6native12_GLOBAL__N_125multi_tensor_apply_kernelINS1_18TensorListMetadataILi2EEENS1_14UnaryOpFunctorIfLi2ELi1ELi1EEEJNS0_4AtanIfEEEEEvT_T0_DpT1_
		.amdhsa_group_segment_fixed_size 0
		.amdhsa_private_segment_fixed_size 0
		.amdhsa_kernarg_size 3408
		.amdhsa_user_sgpr_count 15
		.amdhsa_user_sgpr_dispatch_ptr 0
		.amdhsa_user_sgpr_queue_ptr 0
		.amdhsa_user_sgpr_kernarg_segment_ptr 1
		.amdhsa_user_sgpr_dispatch_id 0
		.amdhsa_user_sgpr_private_segment_size 0
		.amdhsa_wavefront_size32 1
		.amdhsa_uses_dynamic_stack 0
		.amdhsa_enable_private_segment 0
		.amdhsa_system_sgpr_workgroup_id_x 1
		.amdhsa_system_sgpr_workgroup_id_y 0
		.amdhsa_system_sgpr_workgroup_id_z 0
		.amdhsa_system_sgpr_workgroup_info 0
		.amdhsa_system_vgpr_workitem_id 0
		.amdhsa_next_free_vgpr 30
		.amdhsa_next_free_sgpr 25
		.amdhsa_reserve_vcc 1
		.amdhsa_float_round_mode_32 0
		.amdhsa_float_round_mode_16_64 0
		.amdhsa_float_denorm_mode_32 3
		.amdhsa_float_denorm_mode_16_64 3
		.amdhsa_dx10_clamp 1
		.amdhsa_ieee_mode 1
		.amdhsa_fp16_overflow 0
		.amdhsa_workgroup_processor_mode 1
		.amdhsa_memory_ordered 1
		.amdhsa_forward_progress 0
		.amdhsa_shared_vgpr_count 0
		.amdhsa_exception_fp_ieee_invalid_op 0
		.amdhsa_exception_fp_denorm_src 0
		.amdhsa_exception_fp_ieee_div_zero 0
		.amdhsa_exception_fp_ieee_overflow 0
		.amdhsa_exception_fp_ieee_underflow 0
		.amdhsa_exception_fp_ieee_inexact 0
		.amdhsa_exception_int_div_zero 0
	.end_amdhsa_kernel
	.section	.text._ZN2at6native12_GLOBAL__N_125multi_tensor_apply_kernelINS1_18TensorListMetadataILi2EEENS1_14UnaryOpFunctorIfLi2ELi1ELi1EEEJNS0_4AtanIfEEEEEvT_T0_DpT1_,"axG",@progbits,_ZN2at6native12_GLOBAL__N_125multi_tensor_apply_kernelINS1_18TensorListMetadataILi2EEENS1_14UnaryOpFunctorIfLi2ELi1ELi1EEEJNS0_4AtanIfEEEEEvT_T0_DpT1_,comdat
.Lfunc_end67:
	.size	_ZN2at6native12_GLOBAL__N_125multi_tensor_apply_kernelINS1_18TensorListMetadataILi2EEENS1_14UnaryOpFunctorIfLi2ELi1ELi1EEEJNS0_4AtanIfEEEEEvT_T0_DpT1_, .Lfunc_end67-_ZN2at6native12_GLOBAL__N_125multi_tensor_apply_kernelINS1_18TensorListMetadataILi2EEENS1_14UnaryOpFunctorIfLi2ELi1ELi1EEEJNS0_4AtanIfEEEEEvT_T0_DpT1_
                                        ; -- End function
	.section	.AMDGPU.csdata,"",@progbits
; Kernel info:
; codeLenInByte = 2436
; NumSgprs: 27
; NumVgprs: 30
; ScratchSize: 0
; MemoryBound: 0
; FloatMode: 240
; IeeeMode: 1
; LDSByteSize: 0 bytes/workgroup (compile time only)
; SGPRBlocks: 3
; VGPRBlocks: 3
; NumSGPRsForWavesPerEU: 27
; NumVGPRsForWavesPerEU: 30
; Occupancy: 16
; WaveLimiterHint : 0
; COMPUTE_PGM_RSRC2:SCRATCH_EN: 0
; COMPUTE_PGM_RSRC2:USER_SGPR: 15
; COMPUTE_PGM_RSRC2:TRAP_HANDLER: 0
; COMPUTE_PGM_RSRC2:TGID_X_EN: 1
; COMPUTE_PGM_RSRC2:TGID_Y_EN: 0
; COMPUTE_PGM_RSRC2:TGID_Z_EN: 0
; COMPUTE_PGM_RSRC2:TIDIG_COMP_CNT: 0
	.section	.text._ZN2at6native12_GLOBAL__N_125multi_tensor_apply_kernelINS1_18TensorListMetadataILi2EEENS1_14UnaryOpFunctorIN3c107complexIdEELi2ELi1ELi1EEEJNS0_4AtanIS8_EEEEEvT_T0_DpT1_,"axG",@progbits,_ZN2at6native12_GLOBAL__N_125multi_tensor_apply_kernelINS1_18TensorListMetadataILi2EEENS1_14UnaryOpFunctorIN3c107complexIdEELi2ELi1ELi1EEEJNS0_4AtanIS8_EEEEEvT_T0_DpT1_,comdat
	.globl	_ZN2at6native12_GLOBAL__N_125multi_tensor_apply_kernelINS1_18TensorListMetadataILi2EEENS1_14UnaryOpFunctorIN3c107complexIdEELi2ELi1ELi1EEEJNS0_4AtanIS8_EEEEEvT_T0_DpT1_ ; -- Begin function _ZN2at6native12_GLOBAL__N_125multi_tensor_apply_kernelINS1_18TensorListMetadataILi2EEENS1_14UnaryOpFunctorIN3c107complexIdEELi2ELi1ELi1EEEJNS0_4AtanIS8_EEEEEvT_T0_DpT1_
	.p2align	8
	.type	_ZN2at6native12_GLOBAL__N_125multi_tensor_apply_kernelINS1_18TensorListMetadataILi2EEENS1_14UnaryOpFunctorIN3c107complexIdEELi2ELi1ELi1EEEJNS0_4AtanIS8_EEEEEvT_T0_DpT1_,@function
_ZN2at6native12_GLOBAL__N_125multi_tensor_apply_kernelINS1_18TensorListMetadataILi2EEENS1_14UnaryOpFunctorIN3c107complexIdEELi2ELi1ELi1EEEJNS0_4AtanIS8_EEEEEvT_T0_DpT1_: ; @_ZN2at6native12_GLOBAL__N_125multi_tensor_apply_kernelINS1_18TensorListMetadataILi2EEENS1_14UnaryOpFunctorIN3c107complexIdEELi2ELi1ELi1EEEJNS0_4AtanIS8_EEEEEvT_T0_DpT1_
; %bb.0:
	v_mov_b32_e32 v1, s15
	s_add_u32 s2, s0, s15
	s_mul_hi_u32 s3, s15, 3
	s_mul_i32 s15, s15, 3
	s_addc_u32 s4, s1, 0
	global_load_u8 v1, v1, s[0:1] offset:1536
	s_add_u32 s2, s2, s15
	s_addc_u32 s3, s4, s3
	s_mov_b32 s7, 0
	s_load_b32 s2, s[2:3], 0x740
	s_mov_b32 s9, s7
	s_mov_b32 s11, s7
	s_waitcnt vmcnt(0)
	v_readfirstlane_b32 s5, v1
	s_delay_alu instid0(VALU_DEP_1)
	s_lshl_b32 s3, s5, 3
	s_clause 0x2
	s_load_b64 s[20:21], s[0:1], s3 offset:0x0
	s_load_b64 s[22:23], s[0:1], s3 offset:0x200
	;; [unrolled: 1-line block ×3, first 2 shown]
	s_waitcnt lgkmcnt(0)
	s_ashr_i32 s3, s2, 31
	s_delay_alu instid0(SALU_CYCLE_1) | instskip(NEXT) | instid1(SALU_CYCLE_1)
	s_lshl_b64 s[16:17], s[2:3], 20
	s_add_u32 s33, s20, s16
	s_addc_u32 s90, s21, s17
	s_add_u32 s91, s22, s16
	s_addc_u32 s92, s23, s17
	s_and_b32 s8, s33, 63
	s_and_b32 s10, s4, 3
	;; [unrolled: 1-line block ×3, first 2 shown]
	s_or_b64 s[8:9], s[8:9], s[10:11]
	s_lshl_b64 s[2:3], s[2:3], 16
	s_or_b64 s[6:7], s[6:7], s[8:9]
	s_sub_u32 s18, s4, s2
	s_subb_u32 s19, s5, s3
	s_cmp_eq_u64 s[6:7], 0
	s_mov_b32 s2, -1
	s_cbranch_scc0 .LBB68_5
; %bb.1:
	v_dual_mov_b32 v1, 0 :: v_dual_lshlrev_b32 v2, 2, v0
	s_mov_b32 s93, exec_lo
	s_delay_alu instid0(VALU_DEP_1) | instskip(NEXT) | instid1(VALU_DEP_1)
	v_mov_b32_e32 v3, v1
	v_cmpx_gt_i64_e64 s[18:19], v[2:3]
	s_cbranch_execz .LBB68_4
; %bb.2:
	s_load_b32 s2, s[0:1], 0xc5c
	v_dual_mov_b32 v4, v1 :: v_dual_lshlrev_b32 v107, 6, v0
	s_mov_b32 s24, 0x55555555
	v_mov_b32_e32 v108, 0x7f3321d2
	v_mov_b32_e32 v109, 0x4002d97c
	s_mov_b32 s25, 0x3fe55555
	s_mov_b32 s26, 0x6b47b09a
	;; [unrolled: 1-line block ×14, first 2 shown]
	s_waitcnt lgkmcnt(0)
	s_and_b32 s2, s2, 0xffff
	s_mov_b32 s54, 0xa57d9582
	v_add_lshl_u32 v3, v0, s2, 2
	s_mov_b32 s56, 0x5f08b19f
	s_mov_b32 s58, 0xfc27006a
	;; [unrolled: 1-line block ×22, first 2 shown]
	s_lshl_b32 s95, s2, 2
	s_lshl_b32 s96, s2, 6
	s_mov_b32 s41, 0x3fe62e42
	s_mov_b32 s43, 0x3c7abc9e
	;; [unrolled: 1-line block ×26, first 2 shown]
.LBB68_3:                               ; =>This Inner Loop Header: Depth=1
	v_add_co_u32 v5, s2, s33, v107
	s_delay_alu instid0(VALU_DEP_1)
	v_add_co_ci_u32_e64 v6, null, s90, 0, s2
	s_mov_b32 s88, s84
	s_clause 0x3
	global_load_b128 v[7:10], v[5:6], off
	global_load_b128 v[11:14], v[5:6], off offset:16
	global_load_b128 v[15:18], v[5:6], off offset:32
	;; [unrolled: 1-line block ×3, first 2 shown]
	s_waitcnt vmcnt(3)
	v_fma_f64 v[5:6], v[7:8], 0, -v[9:10]
	v_fma_f64 v[29:30], v[9:10], 0, v[7:8]
	s_waitcnt vmcnt(1)
	v_fma_f64 v[25:26], v[15:16], 0, -v[17:18]
	s_waitcnt vmcnt(0)
	v_fma_f64 v[27:28], v[19:20], 0, -v[21:22]
	v_fma_f64 v[15:16], v[17:18], 0, v[15:16]
	v_fma_f64 v[23:24], v[11:12], 0, -v[13:14]
	v_fma_f64 v[13:14], v[13:14], 0, v[11:12]
	v_fma_f64 v[31:32], v[21:22], 0, v[19:20]
	v_fma_f64 v[17:18], -v[5:6], v[5:6], 1.0
	v_mul_f64 v[37:38], v[29:30], v[29:30]
	v_fma_f64 v[33:34], -v[25:26], v[25:26], 1.0
	v_add_f64 v[41:42], -v[5:6], 1.0
	v_fma_f64 v[35:36], -v[27:28], v[27:28], 1.0
	v_add_f64 v[39:40], v[5:6], 1.0
	v_mul_f64 v[43:44], v[13:14], v[13:14]
	v_add_f64 v[45:46], v[23:24], 1.0
	v_mul_f64 v[47:48], v[15:16], v[15:16]
	v_add_f64 v[7:8], v[15:16], v[15:16]
	v_mul_f64 v[51:52], v[31:32], v[31:32]
	v_add_f64 v[11:12], v[31:32], v[31:32]
	v_fma_f64 v[19:20], -v[23:24], v[23:24], 1.0
	v_add_f64 v[23:24], -v[23:24], 1.0
	v_add_f64 v[9:10], v[29:30], v[29:30]
	v_add_f64 v[49:50], v[25:26], 1.0
	v_add_f64 v[53:54], v[27:28], 1.0
	v_add_f64 v[55:56], -v[27:28], 1.0
	v_add_f64 v[25:26], -v[25:26], 1.0
	v_add_f64 v[5:6], v[13:14], v[13:14]
	v_fma_f64 v[21:22], -v[29:30], v[29:30], v[17:18]
	v_fma_f64 v[17:18], -v[15:16], v[15:16], v[33:34]
	v_fma_f64 v[33:34], v[41:42], v[41:42], v[37:38]
	v_fma_f64 v[15:16], -v[31:32], v[31:32], v[35:36]
	v_fma_f64 v[35:36], v[39:40], v[39:40], v[37:38]
	v_fma_f64 v[31:32], v[45:46], v[45:46], v[43:44]
	v_cmp_class_f64_e64 s97, v[7:8], 0x204
	v_cmp_class_f64_e64 s15, v[11:12], 0x204
	v_fma_f64 v[19:20], -v[13:14], v[13:14], v[19:20]
	v_fma_f64 v[29:30], v[23:24], v[23:24], v[43:44]
	v_cmp_class_f64_e64 s98, v[9:10], 0x204
	v_fma_f64 v[27:28], v[49:50], v[49:50], v[47:48]
	v_fma_f64 v[23:24], v[53:54], v[53:54], v[51:52]
	v_fma_f64 v[13:14], v[55:56], v[55:56], v[51:52]
	v_fma_f64 v[25:26], v[25:26], v[25:26], v[47:48]
	v_cmp_class_f64_e64 s14, v[5:6], 0x204
	v_max_f64 v[69:70], |v[21:22]|, |v[9:10]|
	v_min_f64 v[71:72], |v[21:22]|, |v[9:10]|
	v_max_f64 v[77:78], |v[17:18]|, |v[7:8]|
	v_frexp_mant_f64_e32 v[39:40], v[33:34]
	v_frexp_exp_i32_f64_e32 v81, v[33:34]
	v_frexp_mant_f64_e32 v[37:38], v[35:36]
	v_frexp_exp_i32_f64_e32 v97, v[35:36]
	;; [unrolled: 2-line block ×3, first 2 shown]
	v_min_f64 v[79:80], |v[17:18]|, |v[7:8]|
	v_max_f64 v[110:111], |v[15:16]|, |v[11:12]|
	v_min_f64 v[114:115], |v[15:16]|, |v[11:12]|
	v_max_f64 v[73:74], |v[19:20]|, |v[5:6]|
	v_frexp_mant_f64_e32 v[43:44], v[29:30]
	v_frexp_exp_i32_f64_e32 v83, v[29:30]
	v_frexp_mant_f64_e32 v[45:46], v[27:28]
	v_frexp_exp_i32_f64_e32 v84, v[27:28]
	v_frexp_mant_f64_e32 v[49:50], v[23:24]
	v_frexp_mant_f64_e32 v[47:48], v[25:26]
	v_frexp_exp_i32_f64_e32 v85, v[25:26]
	v_frexp_exp_i32_f64_e32 v86, v[23:24]
	v_frexp_mant_f64_e32 v[51:52], v[13:14]
	v_min_f64 v[75:76], |v[19:20]|, |v[5:6]|
	v_frexp_exp_i32_f64_e32 v87, v[13:14]
	v_ashrrev_i32_e32 v112, 31, v22
	v_ashrrev_i32_e32 v192, 31, v20
	;; [unrolled: 1-line block ×3, first 2 shown]
	v_cmp_class_f64_e64 s101, v[19:20], 0x204
	v_cmp_class_f64_e64 s102, v[21:22], 0x204
	v_cmp_class_f64_e64 s100, v[15:16], 0x204
	v_cmp_class_f64_e64 s99, v[17:18], 0x204
	v_div_scale_f64 v[53:54], null, v[69:70], v[69:70], v[71:72]
	v_cmp_gt_f64_e64 s6, s[24:25], v[39:40]
	v_div_scale_f64 v[61:62], vcc_lo, v[71:72], v[69:70], v[71:72]
	v_cmp_gt_f64_e64 s5, s[24:25], v[37:38]
	v_div_scale_f64 v[57:58], null, v[77:78], v[77:78], v[79:80]
	v_div_scale_f64 v[59:60], null, v[110:111], v[110:111], v[114:115]
	v_div_scale_f64 v[65:66], s3, v[79:80], v[77:78], v[79:80]
	v_div_scale_f64 v[67:68], s4, v[114:115], v[110:111], v[114:115]
	v_div_scale_f64 v[55:56], null, v[73:74], v[73:74], v[75:76]
	v_div_scale_f64 v[63:64], s2, v[75:76], v[73:74], v[75:76]
	v_rcp_f64_e32 v[95:96], v[53:54]
	v_subrev_co_ci_u32_e64 v81, s7, 0, v81, s6
	v_cmp_gt_f64_e64 s7, s[24:25], v[41:42]
	v_cndmask_b32_e64 v2, 0x3ff00000, 2.0, s5
	v_subrev_co_ci_u32_e64 v103, s5, 0, v97, s5
	v_rcp_f64_e32 v[99:100], v[57:58]
	v_cmp_eq_f64_e64 s5, 0, v[9:10]
	s_delay_alu instid0(VALU_DEP_3) | instskip(SKIP_4) | instid1(VALU_DEP_3)
	v_mul_f64 v[37:38], v[37:38], v[1:2]
	v_rcp_f64_e32 v[101:102], v[59:60]
	v_cndmask_b32_e64 v2, 0x3ff00000, 2.0, s6
	v_cvt_f64_i32_e32 v[103:104], v103
	v_cmp_class_f64_e64 s6, v[33:34], 0x204
	v_mul_f64 v[39:40], v[39:40], v[1:2]
	v_rcp_f64_e32 v[97:98], v[55:56]
	v_fma_f64 v[132:133], -v[53:54], v[95:96], 1.0
	v_subrev_co_ci_u32_e64 v88, s8, 0, v82, s7
	v_cmp_gt_f64_e64 s8, s[24:25], v[43:44]
	v_cvt_f64_i32_e32 v[81:82], v81
	v_cndmask_b32_e64 v2, 0x3ff00000, 2.0, s7
	v_cmp_class_f64_e64 s7, v[31:32], 0x204
	v_add_f64 v[128:129], v[37:38], 1.0
	v_add_f64 v[130:131], v[37:38], -1.0
	s_delay_alu instid0(TRANS32_DEP_3) | instskip(NEXT) | instid1(TRANS32_DEP_2)
	v_fma_f64 v[136:137], -v[57:58], v[99:100], 1.0
	v_fma_f64 v[138:139], -v[59:60], v[101:102], 1.0
	v_mul_f64 v[41:42], v[41:42], v[1:2]
	v_mul_f64 v[140:141], v[103:104], s[40:41]
	v_add_f64 v[142:143], v[39:40], 1.0
	v_add_f64 v[162:163], v[39:40], -1.0
	s_delay_alu instid0(TRANS32_DEP_1)
	v_fma_f64 v[134:135], -v[55:56], v[97:98], 1.0
	v_fma_f64 v[95:96], v[95:96], v[132:133], v[95:96]
	v_subrev_co_ci_u32_e64 v89, s9, 0, v83, s8
	v_cmp_gt_f64_e64 s9, s[24:25], v[45:46]
	v_mul_f64 v[105:106], v[81:82], s[40:41]
	v_add_f64 v[160:161], v[128:129], -1.0
	v_cndmask_b32_e64 v2, 0x3ff00000, 2.0, s8
	v_rcp_f64_e32 v[156:157], v[128:129]
	v_cmp_class_f64_e64 s8, v[29:30], 0x204
	v_add_f64 v[164:165], v[41:42], 1.0
	v_add_f64 v[166:167], v[41:42], -1.0
	v_mul_f64 v[43:44], v[43:44], v[1:2]
	v_fma_f64 v[132:133], -v[53:54], v[95:96], 1.0
	v_subrev_co_ci_u32_e64 v90, s10, 0, v84, s9
	v_cmp_gt_f64_e64 s10, s[24:25], v[47:48]
	v_cvt_f64_i32_e32 v[83:84], v88
	v_cndmask_b32_e64 v2, 0x3ff00000, 2.0, s9
	v_fma_f64 v[144:145], v[81:82], s[40:41], -v[105:106]
	v_cmp_class_f64_e64 s9, v[27:28], 0x204
	v_add_f64 v[168:169], v[43:44], 1.0
	s_delay_alu instid0(VALU_DEP_4)
	v_mul_f64 v[45:46], v[45:46], v[1:2]
	v_fma_f64 v[95:96], v[95:96], v[132:133], v[95:96]
	v_subrev_co_ci_u32_e64 v91, s11, 0, v85, s10
	v_cmp_gt_f64_e64 s11, s[24:25], v[49:50]
	v_cndmask_b32_e64 v2, 0x3ff00000, 2.0, s10
	v_fma_f64 v[81:82], v[81:82], s[42:43], v[144:145]
	v_mul_f64 v[116:117], v[83:84], s[40:41]
	v_cmp_class_f64_e64 s10, v[25:26], 0x204
	s_delay_alu instid0(VALU_DEP_4)
	v_mul_f64 v[47:48], v[47:48], v[1:2]
	v_mul_f64 v[132:133], v[61:62], v[95:96]
	v_subrev_co_ci_u32_e64 v92, s12, 0, v86, s11
	v_cmp_gt_f64_e64 s12, s[24:25], v[51:52]
	v_cvt_f64_i32_e32 v[85:86], v89
	v_cndmask_b32_e64 v2, 0x3ff00000, 2.0, s11
	v_fma_f64 v[146:147], v[83:84], s[40:41], -v[116:117]
	v_add_f64 v[144:145], v[47:48], 1.0
	v_cmp_class_f64_e64 s11, v[23:24], 0x204
	s_delay_alu instid0(VALU_DEP_4)
	v_mul_f64 v[49:50], v[49:50], v[1:2]
	v_fma_f64 v[53:54], -v[53:54], v[132:133], v[61:62]
	v_fma_f64 v[61:62], v[99:100], v[136:137], v[99:100]
	v_add_f64 v[136:137], v[45:46], 1.0
	v_subrev_co_ci_u32_e64 v93, s13, 0, v87, s12
	v_cvt_f64_i32_e32 v[87:88], v90
	v_cvt_f64_i32_e32 v[89:90], v91
	v_cndmask_b32_e64 v2, 0x3ff00000, 2.0, s12
	s_delay_alu instid0(VALU_DEP_4)
	v_cvt_f64_i32_e32 v[93:94], v93
	v_mul_f64 v[118:119], v[85:86], s[40:41]
	v_cvt_f64_i32_e32 v[91:92], v92
	v_fma_f64 v[83:84], v[83:84], s[42:43], v[146:147]
	v_mul_f64 v[51:52], v[51:52], v[1:2]
	v_add_f64 v[146:147], v[47:48], -1.0
	v_cmp_class_f64_e64 s13, v[13:14], 0x204
	v_cmp_eq_f64_e64 s12, 0, v[11:12]
	v_div_fmas_f64 v[132:133], v[53:54], v[95:96], v[132:133]
	v_fma_f64 v[53:54], v[97:98], v[134:135], v[97:98]
	s_mov_b32 vcc_lo, s2
	v_fma_f64 v[95:96], v[101:102], v[138:139], v[101:102]
	v_fma_f64 v[97:98], v[103:104], s[40:41], -v[140:141]
	v_add_f64 v[134:135], v[43:44], -1.0
	v_add_f64 v[138:139], v[45:46], -1.0
	v_cmp_lt_f64_e64 s2, |v[19:20]|, |v[5:6]|
	v_mul_f64 v[120:121], v[87:88], s[40:41]
	v_mul_f64 v[122:123], v[89:90], s[40:41]
	;; [unrolled: 1-line block ×3, first 2 shown]
	v_fma_f64 v[148:149], v[85:86], s[40:41], -v[118:119]
	v_mul_f64 v[124:125], v[91:92], s[40:41]
	v_div_fixup_f64 v[69:70], v[132:133], v[69:70], v[71:72]
	v_fma_f64 v[150:151], v[87:88], s[40:41], -v[120:121]
	v_fma_f64 v[152:153], v[89:90], s[40:41], -v[122:123]
	;; [unrolled: 1-line block ×3, first 2 shown]
	v_fma_f64 v[85:86], v[85:86], s[42:43], v[148:149]
	v_add_f64 v[148:149], v[49:50], 1.0
	v_fma_f64 v[154:155], v[91:92], s[40:41], -v[124:125]
	v_fma_f64 v[87:88], v[87:88], s[42:43], v[150:151]
	v_fma_f64 v[89:90], v[89:90], s[42:43], v[152:153]
	v_add_f64 v[152:153], v[51:52], 1.0
	v_fma_f64 v[93:94], v[93:94], s[42:43], v[158:159]
	v_add_f64 v[158:159], v[37:38], -v[160:161]
	v_fma_f64 v[37:38], -v[55:56], v[53:54], 1.0
	v_fma_f64 v[91:92], v[91:92], s[42:43], v[154:155]
	v_add_f64 v[154:155], v[51:52], -1.0
	v_add_f64 v[150:151], v[49:50], -1.0
	s_delay_alu instid0(VALU_DEP_4) | instskip(NEXT) | instid1(VALU_DEP_1)
	v_fma_f64 v[37:38], v[53:54], v[37:38], v[53:54]
	v_mul_f64 v[53:54], v[63:64], v[37:38]
	s_delay_alu instid0(VALU_DEP_1) | instskip(SKIP_1) | instid1(VALU_DEP_1)
	v_fma_f64 v[55:56], -v[55:56], v[53:54], v[63:64]
	v_rcp_f64_e32 v[63:64], v[142:143]
	v_div_fmas_f64 v[160:161], v[55:56], v[37:38], v[53:54]
	v_fma_f64 v[53:54], -v[57:58], v[61:62], 1.0
	s_mov_b32 vcc_lo, s3
	v_add_f64 v[37:38], v[142:143], -1.0
	v_cmp_lt_f64_e64 s3, |v[17:18]|, |v[7:8]|
	s_delay_alu instid0(VALU_DEP_4) | instskip(NEXT) | instid1(VALU_DEP_4)
	v_div_fixup_f64 v[71:72], v[160:161], v[73:74], v[75:76]
	v_fma_f64 v[53:54], v[61:62], v[53:54], v[61:62]
	v_fma_f64 v[61:62], -v[128:129], v[156:157], 1.0
	v_add_f64 v[174:175], v[39:40], -v[37:38]
	v_add_f64 v[39:40], v[144:145], -1.0
	v_add_f64 v[37:38], v[136:137], -1.0
	v_mul_f64 v[55:56], v[65:66], v[53:54]
	s_delay_alu instid0(VALU_DEP_3) | instskip(SKIP_1) | instid1(VALU_DEP_4)
	v_add_f64 v[180:181], v[47:48], -v[39:40]
	v_add_f64 v[39:40], v[152:153], -1.0
	v_add_f64 v[178:179], v[45:46], -v[37:38]
	v_add_f64 v[37:38], v[148:149], -1.0
	v_fma_f64 v[57:58], -v[57:58], v[55:56], v[65:66]
	v_add_f64 v[65:66], v[164:165], -1.0
	v_add_f64 v[184:185], v[51:52], -v[39:40]
	s_delay_alu instid0(TRANS32_DEP_1)
	v_fma_f64 v[39:40], -v[142:143], v[63:64], 1.0
	v_add_f64 v[182:183], v[49:50], -v[37:38]
	v_rcp_f64_e32 v[37:38], v[152:153]
	v_div_fmas_f64 v[170:171], v[57:58], v[53:54], v[55:56]
	v_fma_f64 v[55:56], -v[59:60], v[95:96], 1.0
	v_rcp_f64_e32 v[53:54], v[164:165]
	s_mov_b32 vcc_lo, s4
	v_cmp_lt_f64_e64 s4, |v[15:16]|, |v[11:12]|
	s_delay_alu instid0(VALU_DEP_3) | instskip(NEXT) | instid1(VALU_DEP_3)
	v_div_fixup_f64 v[73:74], v[170:171], v[77:78], v[79:80]
	v_fma_f64 v[55:56], v[95:96], v[55:56], v[95:96]
	v_fma_f64 v[95:96], v[103:104], s[42:43], v[97:98]
	;; [unrolled: 1-line block ×3, first 2 shown]
	s_waitcnt_depctr 0xfff
	v_fma_f64 v[39:40], -v[164:165], v[53:54], 1.0
	v_add_f64 v[63:64], v[124:125], v[91:92]
	v_mul_f64 v[57:58], v[67:68], v[55:56]
	s_delay_alu instid0(VALU_DEP_3) | instskip(NEXT) | instid1(VALU_DEP_3)
	v_fma_f64 v[99:100], v[39:40], v[53:54], v[53:54]
	v_add_f64 v[47:48], v[63:64], -v[124:125]
	v_add_f64 v[53:54], v[118:119], v[85:86]
	s_delay_alu instid0(VALU_DEP_4)
	v_fma_f64 v[59:60], -v[59:60], v[57:58], v[67:68]
	v_fma_f64 v[67:68], v[61:62], v[156:157], v[156:157]
	v_add_f64 v[156:157], v[41:42], -v[65:66]
	v_rcp_f64_e32 v[41:42], v[144:145]
	v_add_f64 v[47:48], v[91:92], -v[47:48]
	v_add_f64 v[61:62], v[122:123], v[89:90]
	v_add_f64 v[65:66], v[126:127], v[93:94]
	v_div_fmas_f64 v[172:173], v[59:60], v[55:56], v[57:58]
	v_rcp_f64_e32 v[55:56], v[168:169]
	v_rcp_f64_e32 v[59:60], v[136:137]
	v_add_f64 v[57:58], v[168:169], -1.0
	v_fma_f64 v[51:52], -v[128:129], v[67:68], 1.0
	v_add_f64 v[45:46], v[61:62], -v[122:123]
	v_add_f64 v[49:50], v[65:66], -v[126:127]
	v_cmp_lt_f64_e64 vcc_lo, |v[21:22]|, |v[9:10]|
	v_div_fixup_f64 v[75:76], v[172:173], v[110:111], v[114:115]
	s_delay_alu instid0(TRANS32_DEP_2)
	v_fma_f64 v[39:40], -v[168:169], v[55:56], 1.0
	v_add_f64 v[176:177], v[43:44], -v[57:58]
	v_rcp_f64_e32 v[43:44], v[148:149]
	v_add_f64 v[57:58], v[120:121], v[87:88]
	v_add_f64 v[45:46], v[89:90], -v[45:46]
	v_add_f64 v[49:50], v[93:94], -v[49:50]
	v_fma_f64 v[101:102], v[39:40], v[55:56], v[55:56]
	s_delay_alu instid0(TRANS32_DEP_2) | instskip(SKIP_1) | instid1(VALU_DEP_2)
	v_fma_f64 v[39:40], -v[136:137], v[59:60], 1.0
	v_add_f64 v[55:56], v[116:117], v[83:84]
	v_fma_f64 v[103:104], v[39:40], v[59:60], v[59:60]
	v_fma_f64 v[39:40], -v[144:145], v[41:42], 1.0
	v_add_f64 v[59:60], v[105:106], v[81:82]
	s_delay_alu instid0(VALU_DEP_2) | instskip(NEXT) | instid1(TRANS32_DEP_1)
	v_fma_f64 v[186:187], v[39:40], v[41:42], v[41:42]
	v_fma_f64 v[39:40], -v[148:149], v[43:44], 1.0
	v_add_f64 v[41:42], v[53:54], -v[118:119]
	s_delay_alu instid0(VALU_DEP_2) | instskip(SKIP_2) | instid1(VALU_DEP_4)
	v_fma_f64 v[188:189], v[39:40], v[43:44], v[43:44]
	v_fma_f64 v[39:40], -v[152:153], v[37:38], 1.0
	v_add_f64 v[43:44], v[57:58], -v[120:121]
	v_add_f64 v[41:42], v[85:86], -v[41:42]
	s_delay_alu instid0(VALU_DEP_3)
	v_fma_f64 v[190:191], v[39:40], v[37:38], v[37:38]
	v_add_f64 v[37:38], v[59:60], -v[105:106]
	v_add_f64 v[39:40], v[55:56], -v[116:117]
	v_fma_f64 v[116:117], v[51:52], v[67:68], v[67:68]
	v_add_f64 v[67:68], v[140:141], v[95:96]
	v_add_f64 v[43:44], v[87:88], -v[43:44]
	v_add_f64 v[37:38], v[81:82], -v[37:38]
	v_fma_f64 v[81:82], -v[142:143], v[97:98], 1.0
	v_add_f64 v[39:40], v[83:84], -v[39:40]
	v_add_f64 v[51:52], v[67:68], -v[140:141]
	s_delay_alu instid0(VALU_DEP_3) | instskip(SKIP_2) | instid1(VALU_DEP_4)
	v_fma_f64 v[91:92], v[81:82], v[97:98], v[97:98]
	v_mul_f64 v[97:98], v[130:131], v[116:117]
	v_fma_f64 v[81:82], -v[164:165], v[99:100], 1.0
	v_add_f64 v[51:52], v[95:96], -v[51:52]
	s_delay_alu instid0(VALU_DEP_4) | instskip(NEXT) | instid1(VALU_DEP_4)
	v_mul_f64 v[89:90], v[162:163], v[91:92]
	v_mul_f64 v[118:119], v[128:129], v[97:98]
	s_delay_alu instid0(VALU_DEP_4) | instskip(SKIP_1) | instid1(VALU_DEP_4)
	v_fma_f64 v[93:94], v[81:82], v[99:100], v[99:100]
	v_fma_f64 v[81:82], -v[168:169], v[101:102], 1.0
	v_mul_f64 v[114:115], v[142:143], v[89:90]
	s_delay_alu instid0(VALU_DEP_4) | instskip(NEXT) | instid1(VALU_DEP_4)
	v_fma_f64 v[110:111], v[97:98], v[128:129], -v[118:119]
	v_mul_f64 v[87:88], v[166:167], v[93:94]
	s_delay_alu instid0(VALU_DEP_4)
	v_fma_f64 v[95:96], v[81:82], v[101:102], v[101:102]
	v_fma_f64 v[81:82], -v[136:137], v[103:104], 1.0
	v_fma_f64 v[120:121], v[89:90], v[142:143], -v[114:115]
	v_fma_f64 v[110:111], v[97:98], v[158:159], v[110:111]
	v_mul_f64 v[122:123], v[164:165], v[87:88]
	v_mul_f64 v[85:86], v[134:135], v[95:96]
	v_fma_f64 v[99:100], v[81:82], v[103:104], v[103:104]
	v_fma_f64 v[81:82], -v[144:145], v[186:187], 1.0
	v_fma_f64 v[120:121], v[89:90], v[174:175], v[120:121]
	v_add_f64 v[158:159], v[118:119], v[110:111]
	v_fma_f64 v[124:125], v[87:88], v[164:165], -v[122:123]
	v_mul_f64 v[126:127], v[168:169], v[85:86]
	v_mul_f64 v[83:84], v[138:139], v[99:100]
	v_fma_f64 v[101:102], v[81:82], v[186:187], v[186:187]
	v_fma_f64 v[81:82], -v[148:149], v[188:189], 1.0
	v_add_f64 v[118:119], v[158:159], -v[118:119]
	v_add_f64 v[160:161], v[130:131], -v[158:159]
	v_fma_f64 v[124:125], v[87:88], v[156:157], v[124:125]
	v_fma_f64 v[128:129], v[85:86], v[168:169], -v[126:127]
	v_mul_f64 v[132:133], v[136:137], v[83:84]
	v_fma_f64 v[103:104], v[81:82], v[188:189], v[188:189]
	v_fma_f64 v[81:82], -v[152:153], v[190:191], 1.0
	v_ashrrev_i32_e32 v168, 31, v16
	v_add_f64 v[118:119], v[118:119], -v[110:111]
	v_add_f64 v[110:111], v[130:131], -v[160:161]
	v_fma_f64 v[128:129], v[85:86], v[176:177], v[128:129]
	v_fma_f64 v[136:137], v[83:84], v[136:137], -v[132:133]
	v_mul_f64 v[79:80], v[150:151], v[103:104]
	v_fma_f64 v[105:106], v[81:82], v[190:191], v[190:191]
	v_mul_f64 v[81:82], v[146:147], v[101:102]
	v_add_f64 v[130:131], v[110:111], -v[158:159]
	v_add_f64 v[158:159], v[114:115], v[120:121]
	v_fma_f64 v[136:137], v[83:84], v[178:179], v[136:137]
	v_mul_f64 v[77:78], v[154:155], v[105:106]
	v_mul_f64 v[140:141], v[144:145], v[81:82]
	v_add_f64 v[118:119], v[118:119], v[130:131]
	v_add_f64 v[110:111], v[158:159], -v[114:115]
	v_add_f64 v[114:115], v[122:123], v[124:125]
	v_add_f64 v[130:131], v[162:163], -v[158:159]
	v_mul_f64 v[156:157], v[152:153], v[77:78]
	v_fma_f64 v[142:143], v[81:82], v[144:145], -v[140:141]
	v_mul_f64 v[144:145], v[148:149], v[79:80]
	v_add_f64 v[118:119], v[160:161], v[118:119]
	v_add_f64 v[120:121], v[110:111], -v[120:121]
	v_add_f64 v[110:111], v[114:115], -v[122:123]
	v_fma_f64 v[152:153], v[77:78], v[152:153], -v[156:157]
	v_fma_f64 v[142:143], v[81:82], v[180:181], v[142:143]
	v_fma_f64 v[148:149], v[79:80], v[148:149], -v[144:145]
	s_delay_alu instid0(VALU_DEP_4) | instskip(SKIP_2) | instid1(VALU_DEP_4)
	v_add_f64 v[122:123], v[110:111], -v[124:125]
	v_add_f64 v[124:125], v[126:127], v[128:129]
	v_fma_f64 v[152:153], v[77:78], v[184:185], v[152:153]
	v_fma_f64 v[148:149], v[79:80], v[182:183], v[148:149]
	s_delay_alu instid0(VALU_DEP_3) | instskip(SKIP_1) | instid1(VALU_DEP_2)
	v_add_f64 v[110:111], v[124:125], -v[126:127]
	v_add_f64 v[164:165], v[134:135], -v[124:125]
	;; [unrolled: 1-line block ×3, first 2 shown]
	v_add_f64 v[128:129], v[132:133], v[136:137]
	s_delay_alu instid0(VALU_DEP_1) | instskip(NEXT) | instid1(VALU_DEP_1)
	v_add_f64 v[110:111], v[128:129], -v[132:133]
	v_add_f64 v[132:133], v[110:111], -v[136:137]
	v_add_f64 v[136:137], v[140:141], v[142:143]
	s_delay_alu instid0(VALU_DEP_1) | instskip(NEXT) | instid1(VALU_DEP_1)
	v_add_f64 v[110:111], v[136:137], -v[140:141]
	v_add_f64 v[140:141], v[110:111], -v[142:143]
	;; [unrolled: 4-line block ×3, first 2 shown]
	v_add_f64 v[148:149], v[156:157], v[152:153]
	s_delay_alu instid0(VALU_DEP_1) | instskip(SKIP_1) | instid1(VALU_DEP_2)
	v_add_f64 v[110:111], v[148:149], -v[156:157]
	v_add_f64 v[156:157], v[162:163], -v[130:131]
	;; [unrolled: 1-line block ×3, first 2 shown]
	s_delay_alu instid0(VALU_DEP_2) | instskip(SKIP_2) | instid1(VALU_DEP_3)
	v_add_f64 v[156:157], v[156:157], -v[158:159]
	v_add_f64 v[158:159], v[166:167], -v[114:115]
	v_and_b32_e32 v111, 0x54442d18, v112
	v_add_f64 v[120:121], v[120:121], v[156:157]
	s_delay_alu instid0(VALU_DEP_3) | instskip(SKIP_2) | instid1(VALU_DEP_3)
	v_add_f64 v[162:163], v[166:167], -v[158:159]
	v_mul_f64 v[156:157], v[71:72], v[71:72]
	v_and_b32_e32 v167, 0x54442d18, v168
	v_add_f64 v[162:163], v[162:163], -v[114:115]
	v_add_f64 v[114:115], v[134:135], -v[164:165]
	;; [unrolled: 1-line block ×3, first 2 shown]
	s_delay_alu instid0(VALU_DEP_3) | instskip(NEXT) | instid1(VALU_DEP_3)
	v_add_f64 v[122:123], v[122:123], v[162:163]
	v_add_f64 v[124:125], v[114:115], -v[124:125]
	s_delay_alu instid0(VALU_DEP_3) | instskip(SKIP_1) | instid1(VALU_DEP_3)
	v_add_f64 v[114:115], v[138:139], -v[134:135]
	v_add_f64 v[138:139], v[146:147], -v[136:137]
	v_add_f64 v[124:125], v[126:127], v[124:125]
	s_delay_alu instid0(VALU_DEP_3) | instskip(NEXT) | instid1(VALU_DEP_3)
	v_add_f64 v[128:129], v[114:115], -v[128:129]
	v_add_f64 v[114:115], v[146:147], -v[138:139]
	;; [unrolled: 1-line block ×3, first 2 shown]
	v_mul_f64 v[126:127], v[73:74], v[73:74]
	s_delay_alu instid0(VALU_DEP_4) | instskip(NEXT) | instid1(VALU_DEP_4)
	v_add_f64 v[128:129], v[132:133], v[128:129]
	v_add_f64 v[136:137], v[114:115], -v[136:137]
	s_delay_alu instid0(VALU_DEP_4)
	v_add_f64 v[114:115], v[150:151], -v[146:147]
	v_add_f64 v[150:151], v[154:155], -v[148:149]
	v_mul_f64 v[132:133], v[75:76], v[75:76]
	v_add_f64 v[128:129], v[134:135], v[128:129]
	v_add_f64 v[136:137], v[140:141], v[136:137]
	v_add_f64 v[142:143], v[114:115], -v[142:143]
	v_add_f64 v[114:115], v[154:155], -v[150:151]
	v_mul_f64 v[154:155], v[69:70], v[69:70]
	v_mul_f64 v[99:100], v[99:100], v[128:129]
	s_delay_alu instid0(VALU_DEP_4) | instskip(SKIP_1) | instid1(VALU_DEP_4)
	v_add_f64 v[142:143], v[144:145], v[142:143]
	v_fma_f64 v[144:145], v[156:157], s[46:47], s[44:45]
	v_fma_f64 v[140:141], v[154:155], s[46:47], s[44:45]
	v_add_f64 v[148:149], v[114:115], -v[148:149]
	v_mul_f64 v[115:116], v[116:117], v[118:119]
	v_add_f64 v[119:120], v[130:131], v[120:121]
	v_add_f64 v[130:131], v[138:139], v[136:137]
	;; [unrolled: 1-line block ×4, first 2 shown]
	v_fma_f64 v[117:118], v[132:133], s[46:47], s[44:45]
	v_add_f64 v[134:135], v[146:147], v[142:143]
	v_fma_f64 v[144:145], v[156:157], v[144:145], s[48:49]
	v_fma_f64 v[140:141], v[154:155], v[140:141], s[48:49]
	v_add_f64 v[148:149], v[152:153], v[148:149]
	v_fma_f64 v[152:153], v[126:127], s[46:47], s[44:45]
	v_mul_f64 v[91:92], v[91:92], v[119:120]
	v_mul_f64 v[101:102], v[101:102], v[130:131]
	;; [unrolled: 1-line block ×4, first 2 shown]
	v_fma_f64 v[117:118], v[132:133], v[117:118], s[48:49]
	v_mul_f64 v[103:104], v[103:104], v[134:135]
	v_fma_f64 v[144:145], v[156:157], v[144:145], s[50:51]
	v_fma_f64 v[140:141], v[154:155], v[140:141], s[50:51]
	v_add_f64 v[136:137], v[150:151], v[148:149]
	v_fma_f64 v[152:153], v[126:127], v[152:153], s[48:49]
	v_add_f64 v[130:131], v[89:90], v[91:92]
	;; [unrolled: 2-line block ×3, first 2 shown]
	v_fma_f64 v[144:145], v[156:157], v[144:145], s[52:53]
	v_fma_f64 v[140:141], v[154:155], v[140:141], s[52:53]
	v_mul_f64 v[105:106], v[105:106], v[136:137]
	v_fma_f64 v[152:153], v[126:127], v[152:153], s[50:51]
	v_mul_f64 v[150:151], v[130:131], v[130:131]
	v_add_f64 v[136:137], v[87:88], v[93:94]
	v_add_f64 v[89:90], v[130:131], -v[89:90]
	v_fma_f64 v[117:118], v[132:133], v[117:118], s[52:53]
	v_add_f64 v[79:80], v[146:147], -v[79:80]
	v_fma_f64 v[144:145], v[156:157], v[144:145], s[54:55]
	v_fma_f64 v[140:141], v[154:155], v[140:141], s[54:55]
	v_add_f64 v[148:149], v[77:78], v[105:106]
	v_fma_f64 v[152:153], v[126:127], v[152:153], s[52:53]
	v_mul_f64 v[158:159], v[136:137], v[136:137]
	v_add_f64 v[89:90], v[91:92], -v[89:90]
	v_add_f64 v[87:88], v[136:137], -v[87:88]
	v_ldexp_f64 v[160:161], v[136:137], 1
	v_fma_f64 v[117:118], v[132:133], v[117:118], s[54:55]
	v_add_f64 v[79:80], v[103:104], -v[79:80]
	v_fma_f64 v[144:145], v[156:157], v[144:145], s[56:57]
	v_fma_f64 v[140:141], v[154:155], v[140:141], s[56:57]
	v_add_f64 v[77:78], v[148:149], -v[77:78]
	v_fma_f64 v[152:153], v[126:127], v[152:153], s[54:55]
	v_mul_f64 v[136:137], v[136:137], v[158:159]
	v_ldexp_f64 v[89:90], v[89:90], 1
	v_add_f64 v[87:88], v[93:94], -v[87:88]
	v_fma_f64 v[117:118], v[132:133], v[117:118], s[56:57]
	v_ldexp_f64 v[79:80], v[79:80], 1
	v_fma_f64 v[144:145], v[156:157], v[144:145], s[58:59]
	v_fma_f64 v[140:141], v[154:155], v[140:141], s[58:59]
	v_add_f64 v[77:78], v[105:106], -v[77:78]
	v_fma_f64 v[152:153], v[126:127], v[152:153], s[56:57]
	v_mul_f64 v[105:106], v[146:147], v[146:147]
	v_ldexp_f64 v[87:88], v[87:88], 1
	v_fma_f64 v[117:118], v[132:133], v[117:118], s[58:59]
	v_fma_f64 v[138:139], v[154:155], v[140:141], s[60:61]
	;; [unrolled: 1-line block ×3, first 2 shown]
	v_add_f64 v[144:145], v[97:98], v[115:116]
	v_fma_f64 v[152:153], v[126:127], v[152:153], s[58:59]
	v_ldexp_f64 v[77:78], v[77:78], 1
	v_fma_f64 v[117:118], v[132:133], v[117:118], s[60:61]
	v_fma_f64 v[119:120], v[154:155], v[138:139], s[62:63]
	v_add_f64 v[138:139], v[85:86], v[95:96]
	v_add_f64 v[97:98], v[144:145], -v[97:98]
	v_mul_f64 v[128:129], v[144:145], v[144:145]
	v_ldexp_f64 v[134:135], v[144:145], 1
	v_fma_f64 v[142:143], v[126:127], v[152:153], s[60:61]
	v_ldexp_f64 v[152:153], v[130:131], 1
	v_mul_f64 v[130:131], v[130:131], v[150:151]
	v_fma_f64 v[121:122], v[156:157], v[140:141], s[62:63]
	v_add_f64 v[140:141], v[83:84], v[99:100]
	v_fma_f64 v[117:118], v[132:133], v[117:118], s[62:63]
	v_fma_f64 v[119:120], v[154:155], v[119:120], s[64:65]
	v_mul_f64 v[91:92], v[138:139], v[138:139]
	v_add_f64 v[97:98], v[115:116], -v[97:98]
	v_fma_f64 v[115:116], v[128:129], s[28:29], s[26:27]
	v_mul_f64 v[144:145], v[144:145], v[128:129]
	v_add_f64 v[85:86], v[138:139], -v[85:86]
	v_ldexp_f64 v[93:94], v[138:139], 1
	v_fma_f64 v[123:124], v[126:127], v[142:143], s[62:63]
	v_add_f64 v[142:143], v[81:82], v[101:102]
	v_add_f64 v[83:84], v[140:141], -v[83:84]
	v_fma_f64 v[121:122], v[156:157], v[121:122], s[64:65]
	v_fma_f64 v[117:118], v[132:133], v[117:118], s[64:65]
	;; [unrolled: 1-line block ×3, first 2 shown]
	v_mul_f64 v[138:139], v[138:139], v[91:92]
	v_ldexp_f64 v[97:98], v[97:98], 1
	v_fma_f64 v[115:116], v[128:129], v[115:116], s[30:31]
	v_add_f64 v[85:86], v[95:96], -v[85:86]
	v_mul_f64 v[95:96], v[140:141], v[140:141]
	v_fma_f64 v[123:124], v[126:127], v[123:124], s[64:65]
	v_add_f64 v[81:82], v[142:143], -v[81:82]
	v_add_f64 v[83:84], v[99:100], -v[83:84]
	v_ldexp_f64 v[99:100], v[140:141], 1
	v_ldexp_f64 v[103:104], v[142:143], 1
	v_fma_f64 v[121:122], v[156:157], v[121:122], s[66:67]
	v_fma_f64 v[117:118], v[132:133], v[117:118], s[66:67]
	v_fma_f64 v[119:120], v[154:155], v[119:120], s[68:69]
	v_fma_f64 v[115:116], v[128:129], v[115:116], s[34:35]
	v_ldexp_f64 v[85:86], v[85:86], 1
	v_mul_f64 v[140:141], v[140:141], v[95:96]
	v_fma_f64 v[123:124], v[126:127], v[123:124], s[66:67]
	v_add_f64 v[81:82], v[101:102], -v[81:82]
	v_mul_f64 v[101:102], v[142:143], v[142:143]
	v_ldexp_f64 v[83:84], v[83:84], 1
	v_fma_f64 v[121:122], v[156:157], v[121:122], s[68:69]
	v_fma_f64 v[117:118], v[132:133], v[117:118], s[68:69]
	;; [unrolled: 1-line block ×5, first 2 shown]
	v_ldexp_f64 v[81:82], v[81:82], 1
	v_mul_f64 v[142:143], v[142:143], v[101:102]
	v_fma_f64 v[121:122], v[156:157], v[121:122], s[70:71]
	v_fma_f64 v[117:118], v[132:133], v[117:118], s[70:71]
	;; [unrolled: 1-line block ×9, first 2 shown]
	v_ldexp_f64 v[128:129], v[146:147], 1
	v_mul_f64 v[146:147], v[146:147], v[105:106]
	v_fma_f64 v[123:124], v[126:127], v[123:124], s[72:73]
	v_fma_f64 v[121:122], v[156:157], v[121:122], s[74:75]
	;; [unrolled: 1-line block ×4, first 2 shown]
	v_mul_f64 v[115:116], v[144:145], v[115:116]
	v_fma_f64 v[144:145], v[150:151], s[28:29], s[26:27]
	v_fma_f64 v[123:124], v[126:127], v[123:124], s[74:75]
	;; [unrolled: 1-line block ×19, first 2 shown]
	v_mul_f64 v[119:120], v[154:155], v[119:120]
	v_fma_f64 v[144:145], v[150:151], v[144:145], s[38:39]
	v_fma_f64 v[123:124], v[126:127], v[123:124], s[82:83]
	v_mul_f64 v[121:122], v[156:157], v[121:122]
	v_mul_f64 v[117:118], v[132:133], v[117:118]
	v_fma_f64 v[69:70], v[69:70], v[119:120], v[69:70]
	v_fma_f64 v[144:145], v[150:151], v[144:145], s[86:87]
	;; [unrolled: 1-line block ×3, first 2 shown]
	v_mul_f64 v[123:124], v[126:127], v[123:124]
	v_fma_f64 v[71:72], v[71:72], v[121:122], v[71:72]
	v_fma_f64 v[75:76], v[75:76], v[117:118], v[75:76]
	v_mul_f64 v[130:131], v[130:131], v[144:145]
	v_fma_f64 v[150:151], v[158:159], v[150:151], s[30:31]
	v_fma_f64 v[73:74], v[73:74], v[123:124], v[73:74]
	s_delay_alu instid0(VALU_DEP_2) | instskip(NEXT) | instid1(VALU_DEP_1)
	v_fma_f64 v[150:151], v[158:159], v[150:151], s[34:35]
	v_fma_f64 v[150:151], v[158:159], v[150:151], s[36:37]
	s_delay_alu instid0(VALU_DEP_1) | instskip(NEXT) | instid1(VALU_DEP_1)
	v_fma_f64 v[150:151], v[158:159], v[150:151], s[38:39]
	v_fma_f64 v[150:151], v[158:159], v[150:151], s[86:87]
	;; [unrolled: 1-line block ×3, first 2 shown]
	s_delay_alu instid0(VALU_DEP_2) | instskip(NEXT) | instid1(VALU_DEP_2)
	v_mul_f64 v[136:137], v[136:137], v[150:151]
	v_fma_f64 v[158:159], v[91:92], v[158:159], s[30:31]
	v_add_f64 v[150:151], v[134:135], v[115:116]
	s_delay_alu instid0(VALU_DEP_2) | instskip(NEXT) | instid1(VALU_DEP_2)
	v_fma_f64 v[158:159], v[91:92], v[158:159], s[34:35]
	v_add_f64 v[134:135], v[150:151], -v[134:135]
	s_delay_alu instid0(VALU_DEP_2) | instskip(NEXT) | instid1(VALU_DEP_2)
	v_fma_f64 v[158:159], v[91:92], v[158:159], s[36:37]
	v_add_f64 v[115:116], v[115:116], -v[134:135]
	s_delay_alu instid0(VALU_DEP_2) | instskip(NEXT) | instid1(VALU_DEP_2)
	v_fma_f64 v[158:159], v[91:92], v[158:159], s[38:39]
	v_add_f64 v[97:98], v[97:98], v[115:116]
	s_delay_alu instid0(VALU_DEP_2) | instskip(SKIP_1) | instid1(VALU_DEP_2)
	v_fma_f64 v[91:92], v[91:92], v[158:159], s[86:87]
	v_fma_f64 v[158:159], v[95:96], s[28:29], s[26:27]
	v_mul_f64 v[91:92], v[138:139], v[91:92]
	s_delay_alu instid0(VALU_DEP_2) | instskip(NEXT) | instid1(VALU_DEP_1)
	v_fma_f64 v[158:159], v[95:96], v[158:159], s[30:31]
	v_fma_f64 v[158:159], v[95:96], v[158:159], s[34:35]
	s_delay_alu instid0(VALU_DEP_1) | instskip(NEXT) | instid1(VALU_DEP_1)
	v_fma_f64 v[158:159], v[95:96], v[158:159], s[36:37]
	v_fma_f64 v[158:159], v[95:96], v[158:159], s[38:39]
	s_delay_alu instid0(VALU_DEP_1) | instskip(SKIP_1) | instid1(VALU_DEP_2)
	v_fma_f64 v[95:96], v[95:96], v[158:159], s[86:87]
	v_fma_f64 v[158:159], v[101:102], s[28:29], s[26:27]
	v_mul_f64 v[95:96], v[140:141], v[95:96]
	s_delay_alu instid0(VALU_DEP_2) | instskip(SKIP_1) | instid1(VALU_DEP_2)
	v_fma_f64 v[158:159], v[101:102], v[158:159], s[30:31]
	v_add_f64 v[140:141], v[152:153], v[130:131]
	v_fma_f64 v[158:159], v[101:102], v[158:159], s[34:35]
	s_delay_alu instid0(VALU_DEP_2) | instskip(NEXT) | instid1(VALU_DEP_2)
	v_add_f64 v[152:153], v[140:141], -v[152:153]
	v_fma_f64 v[158:159], v[101:102], v[158:159], s[36:37]
	s_delay_alu instid0(VALU_DEP_2) | instskip(NEXT) | instid1(VALU_DEP_2)
	v_add_f64 v[115:116], v[130:131], -v[152:153]
	v_fma_f64 v[158:159], v[101:102], v[158:159], s[38:39]
	s_delay_alu instid0(VALU_DEP_2) | instskip(SKIP_1) | instid1(VALU_DEP_3)
	v_add_f64 v[89:90], v[89:90], v[115:116]
	v_add_f64 v[115:116], -v[75:76], s[84:85]
	v_fma_f64 v[101:102], v[101:102], v[158:159], s[86:87]
	v_fma_f64 v[158:159], v[105:106], s[28:29], s[26:27]
	s_delay_alu instid0(VALU_DEP_3) | instskip(NEXT) | instid1(VALU_DEP_4)
	v_cndmask_b32_e64 v76, v76, v116, s4
	v_cndmask_b32_e64 v75, v75, v115, s4
	v_cmp_gt_i32_e64 s4, 0, v16
	v_mul_f64 v[101:102], v[142:143], v[101:102]
	v_fma_f64 v[158:159], v[105:106], v[158:159], s[30:31]
	v_add_f64 v[142:143], v[160:161], v[136:137]
	s_delay_alu instid0(VALU_DEP_2) | instskip(NEXT) | instid1(VALU_DEP_2)
	v_fma_f64 v[158:159], v[105:106], v[158:159], s[34:35]
	v_add_f64 v[160:161], v[142:143], -v[160:161]
	s_delay_alu instid0(VALU_DEP_2) | instskip(NEXT) | instid1(VALU_DEP_2)
	v_fma_f64 v[158:159], v[105:106], v[158:159], s[36:37]
	v_add_f64 v[125:126], v[136:137], -v[160:161]
	s_delay_alu instid0(VALU_DEP_2) | instskip(NEXT) | instid1(VALU_DEP_2)
	v_fma_f64 v[158:159], v[105:106], v[158:159], s[38:39]
	v_add_f64 v[87:88], v[87:88], v[125:126]
	s_delay_alu instid0(VALU_DEP_2) | instskip(SKIP_1) | instid1(VALU_DEP_3)
	v_fma_f64 v[105:106], v[105:106], v[158:159], s[86:87]
	v_mul_f64 v[158:159], v[148:149], v[148:149]
	v_add_f64 v[117:118], v[142:143], v[87:88]
	s_delay_alu instid0(VALU_DEP_3) | instskip(NEXT) | instid1(VALU_DEP_3)
	v_mul_f64 v[105:106], v[146:147], v[105:106]
	v_fma_f64 v[144:145], v[158:159], s[28:29], s[26:27]
	v_add_f64 v[146:147], v[99:100], v[95:96]
	s_delay_alu instid0(VALU_DEP_4) | instskip(NEXT) | instid1(VALU_DEP_4)
	v_add_f64 v[131:132], v[117:118], -v[142:143]
	v_add_f64 v[134:135], v[128:129], v[105:106]
	s_delay_alu instid0(VALU_DEP_4) | instskip(NEXT) | instid1(VALU_DEP_4)
	v_fma_f64 v[144:145], v[158:159], v[144:145], s[30:31]
	v_add_f64 v[99:100], v[146:147], -v[99:100]
	s_delay_alu instid0(VALU_DEP_4) | instskip(NEXT) | instid1(VALU_DEP_4)
	v_add_f64 v[87:88], v[87:88], -v[131:132]
	v_add_f64 v[128:129], v[134:135], -v[128:129]
	s_delay_alu instid0(VALU_DEP_4) | instskip(NEXT) | instid1(VALU_DEP_1)
	v_fma_f64 v[144:145], v[158:159], v[144:145], s[34:35]
	v_fma_f64 v[144:145], v[158:159], v[144:145], s[36:37]
	s_delay_alu instid0(VALU_DEP_1) | instskip(NEXT) | instid1(VALU_DEP_1)
	v_fma_f64 v[144:145], v[158:159], v[144:145], s[38:39]
	v_fma_f64 v[144:145], v[158:159], v[144:145], s[86:87]
	v_mul_f64 v[158:159], v[148:149], v[158:159]
	v_ldexp_f64 v[148:149], v[148:149], 1
	s_delay_alu instid0(VALU_DEP_2) | instskip(SKIP_2) | instid1(VALU_DEP_3)
	v_mul_f64 v[138:139], v[158:159], v[144:145]
	v_add_f64 v[144:145], v[93:94], v[91:92]
	v_add_f64 v[158:159], v[103:104], v[101:102]
	;; [unrolled: 1-line block ×3, first 2 shown]
	s_delay_alu instid0(VALU_DEP_3) | instskip(NEXT) | instid1(VALU_DEP_3)
	v_add_f64 v[93:94], v[144:145], -v[93:94]
	v_add_f64 v[103:104], v[158:159], -v[103:104]
	s_delay_alu instid0(VALU_DEP_3) | instskip(NEXT) | instid1(VALU_DEP_3)
	v_add_f64 v[148:149], v[154:155], -v[148:149]
	v_add_f64 v[91:92], v[91:92], -v[93:94]
	;; [unrolled: 1-line block ×3, first 2 shown]
	s_delay_alu instid0(VALU_DEP_4)
	v_add_f64 v[95:96], v[101:102], -v[103:104]
	v_add_f64 v[99:100], v[105:106], -v[128:129]
	v_add_f64 v[103:104], v[150:151], v[97:98]
	v_add_f64 v[129:130], v[55:56], v[117:118]
	v_add_f64 v[101:102], v[138:139], -v[148:149]
	v_add_f64 v[85:86], v[85:86], v[91:92]
	v_add_f64 v[83:84], v[83:84], v[93:94]
	;; [unrolled: 1-line block ×4, first 2 shown]
	v_add_f64 v[93:94], -v[71:72], s[84:85]
	v_add_f64 v[91:92], -v[69:70], s[84:85]
	v_add_f64 v[99:100], v[67:68], v[103:104]
	v_add_f64 v[105:106], v[103:104], -v[150:151]
	v_and_b32_e32 v2, 0x400921fb, v112
	v_add_f64 v[95:96], -v[73:74], s[84:85]
	v_add_f64 v[77:78], v[77:78], v[101:102]
	v_add_f64 v[101:102], v[140:141], v[89:90]
	;; [unrolled: 1-line block ×6, first 2 shown]
	v_cndmask_b32_e32 v69, v69, v91, vcc_lo
	v_cndmask_b32_e64 v72, v72, v94, s2
	v_cndmask_b32_e64 v71, v71, v93, s2
	v_cndmask_b32_e32 v70, v70, v92, vcc_lo
	v_add_f64 v[91:92], v[99:100], -v[67:68]
	v_add_f64 v[97:98], v[97:98], -v[105:106]
	v_cndmask_b32_e64 v74, v74, v96, s3
	v_cndmask_b32_e64 v73, v73, v95, s3
	v_add_f64 v[95:96], -v[69:70], s[88:89]
	v_cmp_gt_i32_e64 s3, 0, v18
	v_cmp_gt_i32_e32 vcc_lo, 0, v22
	v_and_b32_e32 v112, 0x54442d18, v192
	v_and_b32_e32 v166, 0x54442d18, v113
	v_cmp_gt_i32_e64 s2, 0, v20
	v_add_f64 v[127:128], v[154:155], v[77:78]
	v_add_f64 v[93:94], v[59:60], v[101:102]
	v_add_f64 v[105:106], v[101:102], -v[140:141]
	v_add_f64 v[138:139], v[53:54], v[119:120]
	v_add_f64 v[136:137], v[119:120], -v[144:145]
	v_add_f64 v[140:141], v[121:122], -v[146:147]
	v_add_f64 v[142:143], v[57:58], v[121:122]
	v_add_f64 v[146:147], v[61:62], v[123:124]
	v_add_f64 v[133:134], v[125:126], -v[134:135]
	v_add_f64 v[148:149], v[63:64], v[125:126]
	v_add_f64 v[144:145], v[123:124], -v[158:159]
	v_add_f64 v[158:159], v[51:52], v[97:98]
	v_dual_cndmask_b32 v70, v70, v96 :: v_dual_cndmask_b32 v69, v69, v95
	s_delay_alu instid0(VALU_DEP_1)
	v_cndmask_b32_e64 v2, v70, v2, s5
	v_add_f64 v[152:153], v[65:66], v[127:128]
	v_add_f64 v[156:157], v[93:94], -v[59:60]
	v_add_f64 v[150:151], v[127:128], -v[154:155]
	;; [unrolled: 1-line block ×30, first 2 shown]
	v_add_f64 v[154:155], v[37:38], v[89:90]
	v_add_f64 v[117:118], v[39:40], v[87:88]
	;; [unrolled: 1-line block ×3, first 2 shown]
	v_add_f64 v[127:128], v[127:128], -v[140:141]
	v_add_f64 v[140:141], v[152:153], -v[140:141]
	;; [unrolled: 1-line block ×3, first 2 shown]
	v_add_f64 v[67:68], v[91:92], v[67:68]
	v_add_f64 v[91:92], v[43:44], v[83:84]
	;; [unrolled: 1-line block ×3, first 2 shown]
	v_add_f64 v[55:56], v[55:56], -v[156:157]
	v_add_f64 v[156:157], v[47:48], v[79:80]
	v_add_f64 v[53:54], v[53:54], -v[105:106]
	v_add_f64 v[105:106], v[49:50], v[77:78]
	v_add_f64 v[57:58], v[57:58], -v[131:132]
	v_add_f64 v[97:98], v[97:98], -v[150:151]
	;; [unrolled: 1-line block ×8, first 2 shown]
	v_add_f64 v[59:60], v[101:102], v[59:60]
	v_add_f64 v[67:68], v[158:159], v[67:68]
	v_add_f64 v[140:141], v[91:92], -v[43:44]
	v_add_f64 v[101:102], v[144:145], -v[45:46]
	v_add_f64 v[55:56], v[103:104], v[55:56]
	v_add_f64 v[103:104], v[156:157], -v[47:48]
	v_add_f64 v[53:54], v[119:120], v[53:54]
	;; [unrolled: 2-line block ×4, first 2 shown]
	v_add_f64 v[63:64], v[125:126], v[63:64]
	v_add_f64 v[89:90], v[89:90], -v[131:132]
	v_add_f64 v[87:88], v[87:88], -v[135:136]
	;; [unrolled: 1-line block ×4, first 2 shown]
	v_add_f64 v[65:66], v[127:128], v[65:66]
	v_add_f64 v[59:60], v[154:155], v[59:60]
	v_add_f64 v[83:84], v[83:84], -v[140:141]
	v_add_f64 v[125:126], v[144:145], -v[101:102]
	v_add_f64 v[55:56], v[117:118], v[55:56]
	v_add_f64 v[117:118], v[117:118], -v[135:136]
	v_add_f64 v[53:54], v[160:161], v[53:54]
	;; [unrolled: 2-line block ×6, first 2 shown]
	v_add_f64 v[81:82], v[81:82], -v[101:102]
	v_add_f64 v[41:42], v[41:42], -v[123:124]
	;; [unrolled: 1-line block ×4, first 2 shown]
	v_add_f64 v[65:66], v[105:106], v[65:66]
	v_add_f64 v[135:136], v[93:94], v[59:60]
	v_add_f64 v[105:106], v[105:106], -v[119:120]
	v_add_f64 v[45:46], v[45:46], -v[125:126]
	v_add_f64 v[144:145], v[129:130], v[55:56]
	v_add_f64 v[39:40], v[39:40], -v[117:118]
	v_add_f64 v[150:151], v[138:139], v[53:54]
	;; [unrolled: 2-line block ×3, first 2 shown]
	v_add_f64 v[51:52], v[97:98], v[51:52]
	v_add_f64 v[156:157], v[146:147], v[61:62]
	v_add_f64 v[37:38], v[37:38], -v[121:122]
	v_add_f64 v[158:159], v[148:149], v[63:64]
	v_add_f64 v[43:44], v[43:44], -v[91:92]
	v_add_f64 v[91:92], v[131:132], -v[99:100]
	v_add_f64 v[41:42], v[85:86], v[41:42]
	v_add_f64 v[160:161], v[152:153], v[65:66]
	v_add_f64 v[93:94], v[135:136], -v[93:94]
	v_add_f64 v[49:50], v[49:50], -v[105:106]
	v_add_f64 v[45:46], v[81:82], v[45:46]
	v_add_f64 v[99:100], v[144:145], -v[129:130]
	v_add_f64 v[39:40], v[87:88], v[39:40]
	;; [unrolled: 2-line block ×3, first 2 shown]
	v_add_f64 v[103:104], v[154:155], -v[142:143]
	v_add_f64 v[79:80], -v[73:74], s[88:89]
	v_add_f64 v[105:106], v[156:157], -v[146:147]
	v_add_f64 v[37:38], v[89:90], v[37:38]
	v_add_f64 v[117:118], v[158:159], -v[148:149]
	v_add_f64 v[43:44], v[83:84], v[43:44]
	v_cndmask_b32_e32 v83, 0x54442d18, v108, vcc_lo
	v_add_f64 v[67:68], v[67:68], -v[91:92]
	v_cndmask_b32_e32 v84, 0x3fe921fb, v109, vcc_lo
	v_cmp_eq_f64_e32 vcc_lo, 0, v[5:6]
	v_add_f64 v[81:82], -v[75:76], s[88:89]
	v_add_f64 v[119:120], v[160:161], -v[152:153]
	v_add_f64 v[59:60], v[59:60], -v[93:94]
	v_add_f64 v[49:50], v[77:78], v[49:50]
	v_add_f64 v[77:78], -v[71:72], s[88:89]
	v_add_f64 v[55:56], v[55:56], -v[99:100]
	v_add_f64 v[53:54], v[53:54], -v[101:102]
	v_add_f64 v[57:58], v[57:58], -v[103:104]
	v_add_f64 v[61:62], v[61:62], -v[105:106]
	v_add_f64 v[63:64], v[63:64], -v[117:118]
	v_add_f64 v[51:52], v[51:52], v[67:68]
	v_add_f64 v[65:66], v[65:66], -v[119:120]
	v_add_f64 v[37:38], v[37:38], v[59:60]
	v_cndmask_b32_e64 v59, 0x54442d18, v108, s3
	v_cndmask_b32_e64 v60, 0x3fe921fb, v109, s3
	v_add_f64 v[39:40], v[39:40], v[55:56]
	v_cndmask_b32_e64 v55, 0x54442d18, v108, s2
	v_add_f64 v[41:42], v[41:42], v[53:54]
	;; [unrolled: 2-line block ×5, first 2 shown]
	v_cmp_class_f64_e64 s3, v[35:36], 0x204
	v_cndmask_b32_e64 v54, v71, v77, s2
	v_add_f64 v[51:52], v[131:132], v[51:52]
	v_cndmask_b32_e64 v56, 0x3fe921fb, v109, s2
	v_cmp_eq_f64_e64 s2, 0, v[7:8]
	v_cndmask_b32_e64 v61, v69, v111, s5
	v_cndmask_b32_e32 v54, v54, v112, vcc_lo
	v_and_b32_e32 v110, 0x400921fb, v192
	v_and_b32_e32 v114, 0x400921fb, v113
	;; [unrolled: 1-line block ×3, first 2 shown]
	v_bfi_b32 v62, 0x7fffffff, v84, v10
	v_cndmask_b32_e64 v63, v75, v81, s4
	v_cndmask_b32_e32 v53, v53, v110, vcc_lo
	s_and_b32 vcc_lo, s14, s101
	v_cmp_neq_f64_e64 s14, 0, v[13:14]
	v_cndmask_b32_e64 v64, v76, v82, s4
	s_and_b32 s5, s98, s102
	v_bfi_b32 v60, 0x7fffffff, v60, v8
	v_bfi_b32 v56, 0x7fffffff, v56, v6
	v_cndmask_b32_e64 v63, v63, v167, s12
	v_cndmask_b32_e64 v2, v2, v62, s5
	v_add_f64 v[49:50], v[49:50], v[65:66]
	v_add_f64 v[37:38], v[135:136], v[37:38]
	v_cndmask_b32_e64 v65, 0x3fe921fb, v109, s4
	v_add_f64 v[39:40], v[144:145], v[39:40]
	v_add_f64 v[41:42], v[150:151], v[41:42]
	s_delay_alu instid0(VALU_DEP_3)
	v_bfi_b32 v65, 0x7fffffff, v65, v12
	v_add_f64 v[43:44], v[154:155], v[43:44]
	v_add_f64 v[45:46], v[156:157], v[45:46]
	;; [unrolled: 1-line block ×3, first 2 shown]
	v_cndmask_b32_e64 v51, v51, v35, s3
	v_cndmask_b32_e64 v52, v52, v36, s3
	v_cmp_neq_f64_e64 s3, 0, v[35:36]
	v_cndmask_b32_e64 v57, v57, v166, s2
	v_add_f64 v[49:50], v[160:161], v[49:50]
	v_cndmask_b32_e64 v35, v37, v33, s6
	v_cndmask_b32_e64 v36, v38, v34, s6
	v_cmp_neq_f64_e64 s6, 0, v[33:34]
	v_cndmask_b32_e64 v37, v61, v83, s5
	v_cndmask_b32_e64 v33, v39, v31, s7
	;; [unrolled: 1-line block ×3, first 2 shown]
	v_cmp_neq_f64_e64 s7, 0, v[31:32]
	v_cndmask_b32_e64 v31, v41, v29, s8
	v_cndmask_b32_e64 v32, v42, v30, s8
	v_cmp_neq_f64_e64 s8, 0, v[29:30]
	v_cndmask_b32_e64 v29, v43, v27, s9
	v_cndmask_b32_e64 v30, v44, v28, s9
	;; [unrolled: 3-line block ×4, first 2 shown]
	v_cmp_neq_f64_e64 s11, 0, v[23:24]
	v_cmp_o_f64_e64 s5, v[21:22], v[9:10]
	v_cndmask_b32_e64 v9, v64, v113, s12
	s_and_b32 s12, s15, s100
	v_cmp_o_f64_e64 s15, v[15:16], v[11:12]
	v_dual_cndmask_b32 v38, v53, v56 :: v_dual_cndmask_b32 v39, v54, v55
	v_cmp_o_f64_e32 vcc_lo, v[19:20], v[5:6]
	v_cndmask_b32_e64 v15, 0xfff00000, v52, s3
	v_cndmask_b32_e64 v42, v9, v65, s12
	;; [unrolled: 1-line block ×4, first 2 shown]
	s_and_b32 s2, s97, s99
	v_cndmask_b32_e64 v16, 0, v35, s6
	v_cndmask_b32_e64 v41, v57, v59, s2
	;; [unrolled: 1-line block ×4, first 2 shown]
	v_cmp_o_f64_e64 s2, v[17:18], v[7:8]
	v_cndmask_b32_e64 v14, 0, v51, s3
	v_cndmask_b32_e64 v17, 0xfff00000, v36, s6
	;; [unrolled: 1-line block ×6, first 2 shown]
	v_add_f64 v[13:14], v[14:15], -v[16:17]
	v_cndmask_b32_e64 v17, 0, v33, s7
	v_cndmask_b32_e64 v24, 0xfff00000, v28, s10
	;; [unrolled: 1-line block ×8, first 2 shown]
	v_add_f64 v[15:16], v[17:18], -v[19:20]
	v_add_f64 v[17:18], v[21:22], -v[23:24]
	v_cndmask_b32_e64 v5, 0x54442d18, v108, s4
	v_cndmask_b32_e64 v21, 0x7ff80000, v42, s15
	v_add_f64 v[19:20], v[25:26], -v[27:28]
	v_cndmask_b32_e64 v2, 0x7ff80000, v2, s5
	v_cndmask_b32_e64 v9, 0, v37, s5
	;; [unrolled: 1-line block ×3, first 2 shown]
	v_bfi_b32 v12, 0x7fffffff, v21, v12
	v_cndmask_b32_e32 v21, 0x7ff80000, v38, vcc_lo
	v_bfi_b32 v10, 0x7fffffff, v2, v10
	v_cndmask_b32_e32 v5, 0, v39, vcc_lo
	v_cndmask_b32_e64 v11, 0, v11, s15
	v_cmp_le_i64_e32 vcc_lo, s[18:19], v[3:4]
	v_bfi_b32 v6, 0x7fffffff, v21, v6
	v_mul_f64 v[9:10], v[9:10], 0.5
	v_cndmask_b32_e64 v22, 0x7ff80000, v40, s2
	v_cndmask_b32_e64 v7, 0, v41, s2
	v_cmp_lt_u64_e64 s2, 0xffff, v[3:4]
	s_delay_alu instid0(VALU_DEP_3) | instskip(SKIP_2) | instid1(VALU_DEP_4)
	v_bfi_b32 v8, 0x7fffffff, v22, v8
	v_mul_f64 v[21:22], v[11:12], 0.5
	v_mul_f64 v[11:12], v[5:6], 0.5
	s_or_b32 s2, vcc_lo, s2
	s_add_u32 s33, s33, s96
	v_mul_f64 v[23:24], v[7:8], 0.5
	v_ldexp_f64 v[7:8], v[13:14], -2
	s_addc_u32 s90, s90, 0
	v_ldexp_f64 v[13:14], v[15:16], -2
	v_ldexp_f64 v[15:16], v[17:18], -2
	v_ldexp_f64 v[19:20], v[19:20], -2
	s_delay_alu instid0(VALU_DEP_4)
	v_fma_f64 v[5:6], 0x80000000, v[7:8], v[9:10]
	v_fma_f64 v[7:8], 0x80000000, v[9:10], -v[7:8]
	v_fma_f64 v[9:10], 0x80000000, v[13:14], v[11:12]
	v_fma_f64 v[11:12], 0x80000000, v[11:12], -v[13:14]
	v_fma_f64 v[13:14], 0x80000000, v[15:16], v[23:24]
	v_fma_f64 v[15:16], 0x80000000, v[23:24], -v[15:16]
	v_fma_f64 v[17:18], 0x80000000, v[19:20], v[21:22]
	v_fma_f64 v[19:20], 0x80000000, v[21:22], -v[19:20]
	v_add_co_u32 v21, s3, s91, v107
	s_delay_alu instid0(VALU_DEP_1)
	v_add_co_ci_u32_e64 v22, null, s92, 0, s3
	v_add_co_u32 v3, s3, v3, s95
	s_add_u32 s91, s91, s96
	v_add_co_ci_u32_e64 v4, s3, 0, v4, s3
	s_addc_u32 s92, s92, 0
	s_and_b32 s2, exec_lo, s2
	s_clause 0x3
	global_store_b128 v[21:22], v[5:8], off
	global_store_b128 v[21:22], v[9:12], off offset:16
	global_store_b128 v[21:22], v[13:16], off offset:32
	;; [unrolled: 1-line block ×3, first 2 shown]
	s_or_b32 s94, s2, s94
	s_delay_alu instid0(SALU_CYCLE_1)
	s_and_not1_b32 exec_lo, exec_lo, s94
	s_cbranch_execnz .LBB68_3
.LBB68_4:
	s_or_b32 exec_lo, exec_lo, s93
	s_mov_b32 s2, 0
.LBB68_5:
	s_delay_alu instid0(SALU_CYCLE_1)
	s_and_not1_b32 vcc_lo, exec_lo, s2
	s_cbranch_vccnz .LBB68_25
; %bb.6:
	v_cmp_lt_i64_e64 s2, s[18:19], 1
	s_delay_alu instid0(VALU_DEP_1)
	s_and_b32 vcc_lo, exec_lo, s2
	s_cbranch_vccnz .LBB68_25
; %bb.7:
	s_load_b32 s0, s[0:1], 0xc5c
	v_dual_mov_b32 v18, 0 :: v_dual_mov_b32 v37, 0x4002d97c
	v_lshl_or_b32 v2, v0, 4, 8
	v_cmp_gt_u64_e64 s1, 0x10000, s[18:19]
	s_delay_alu instid0(VALU_DEP_3) | instskip(SKIP_1) | instid1(VALU_DEP_4)
	v_dual_mov_b32 v36, 0x7f3321d2 :: v_dual_mov_b32 v3, v18
	v_mov_b32_e32 v1, v18
	v_add_co_u32 v20, s2, s20, v2
	s_delay_alu instid0(VALU_DEP_1) | instskip(SKIP_1) | instid1(VALU_DEP_1)
	v_add_co_ci_u32_e64 v21, null, s21, 0, s2
	v_add_co_u32 v22, s2, s22, v2
	v_add_co_ci_u32_e64 v23, null, s23, 0, s2
	s_mov_b32 s7, 0
	s_mov_b32 s10, 0x54442d18
	;; [unrolled: 1-line block ×4, first 2 shown]
	s_waitcnt lgkmcnt(0)
	s_and_b32 s33, s0, 0xffff
	s_and_b32 s0, s1, exec_lo
	v_add_lshl_u32 v6, v0, s33, 4
	v_mad_u64_u32 v[4:5], null, s33, 48, v[2:3]
	s_cselect_b32 s9, s19, 0
	s_cselect_b32 s8, s18, 0x10000
	s_delay_alu instid0(VALU_DEP_2) | instskip(NEXT) | instid1(VALU_DEP_1)
	v_add_co_u32 v24, s0, s22, v6
	v_add_co_ci_u32_e64 v25, null, s23, 0, s0
	v_add_co_u32 v28, s0, s20, v6
	s_delay_alu instid0(VALU_DEP_1)
	v_add_co_ci_u32_e64 v29, null, s21, 0, s0
	s_lshl_b32 s0, s33, 5
	v_add_co_u32 v26, vcc_lo, s20, v4
	v_add_co_u32 v2, s0, v2, s0
	v_add_co_ci_u32_e32 v27, vcc_lo, s21, v5, vcc_lo
	v_add_co_ci_u32_e64 v3, null, 0, 0, s0
	v_add_co_u32 v30, vcc_lo, s22, v4
	v_add_co_ci_u32_e32 v31, vcc_lo, s23, v5, vcc_lo
	v_add_co_u32 v32, vcc_lo, s20, v2
	s_delay_alu instid0(VALU_DEP_4)
	v_add_co_ci_u32_e32 v33, vcc_lo, s21, v3, vcc_lo
	v_add_co_u32 v34, vcc_lo, s22, v2
	v_add_co_ci_u32_e32 v35, vcc_lo, s23, v3, vcc_lo
	s_lshl_b32 s6, s33, 2
	s_mov_b32 s20, 0x69efb384
	s_mov_b32 s22, 0xaf56de9b
	;; [unrolled: 1-line block ×27, first 2 shown]
	s_lshl_b32 s82, s33, 1
	s_mul_i32 s83, s33, 3
	s_lshl_b32 s84, s33, 6
	s_mov_b32 s11, 0x3ff921fb
	s_mov_b32 s13, 0xbf23e260
	;; [unrolled: 1-line block ×32, first 2 shown]
	s_mov_b64 s[80:81], s[6:7]
	s_branch .LBB68_9
.LBB68_8:                               ;   in Loop: Header=BB68_9 Depth=1
	s_or_b32 exec_lo, exec_lo, s3
	v_add_co_u32 v0, vcc_lo, v0, s6
	v_add_co_ci_u32_e32 v1, vcc_lo, 0, v1, vcc_lo
	v_add_co_u32 v20, vcc_lo, v20, s84
	v_add_co_ci_u32_e32 v21, vcc_lo, 0, v21, vcc_lo
	;; [unrolled: 2-line block ×7, first 2 shown]
	v_cmp_ge_i64_e64 s0, s[80:81], s[18:19]
	v_cmp_lt_u64_e64 s1, 0xffff, s[80:81]
	v_add_co_u32 v32, vcc_lo, v32, s84
	v_add_co_ci_u32_e32 v33, vcc_lo, 0, v33, vcc_lo
	v_add_co_u32 v34, vcc_lo, v34, s84
	v_add_co_ci_u32_e32 v35, vcc_lo, 0, v35, vcc_lo
	s_or_b32 s0, s0, s1
	s_add_u32 s80, s80, s6
	s_addc_u32 s81, s81, 0
	s_and_b32 vcc_lo, exec_lo, s0
	s_cbranch_vccnz .LBB68_25
.LBB68_9:                               ; =>This Inner Loop Header: Depth=1
	s_waitcnt vmcnt(0)
	v_mov_b32_e32 v12, 0
	v_mov_b32_e32 v13, 0
	v_cmp_gt_u64_e32 vcc_lo, s[8:9], v[0:1]
	s_delay_alu instid0(VALU_DEP_2)
	v_dual_mov_b32 v17, v13 :: v_dual_mov_b32 v16, v12
	v_dual_mov_b32 v15, v13 :: v_dual_mov_b32 v14, v12
	s_and_saveexec_b32 s1, vcc_lo
	s_cbranch_execz .LBB68_11
; %bb.10:                               ;   in Loop: Header=BB68_9 Depth=1
	v_add_co_u32 v2, s0, v20, s16
	s_delay_alu instid0(VALU_DEP_1)
	v_add_co_ci_u32_e64 v3, s0, s17, v21, s0
	global_load_b128 v[14:17], v[2:3], off offset:-8
.LBB68_11:                              ;   in Loop: Header=BB68_9 Depth=1
	s_or_b32 exec_lo, exec_lo, s1
	v_add_co_u32 v2, s0, s33, v0
	s_delay_alu instid0(VALU_DEP_1) | instskip(SKIP_1) | instid1(VALU_DEP_2)
	v_add_co_ci_u32_e64 v3, s0, 0, v1, s0
	v_dual_mov_b32 v10, v12 :: v_dual_mov_b32 v11, v13
	v_cmp_gt_u64_e64 s2, s[8:9], v[2:3]
	s_delay_alu instid0(VALU_DEP_1)
	s_and_saveexec_b32 s1, s2
	s_cbranch_execz .LBB68_13
; %bb.12:                               ;   in Loop: Header=BB68_9 Depth=1
	v_add_co_u32 v2, s0, v28, s16
	s_delay_alu instid0(VALU_DEP_1)
	v_add_co_ci_u32_e64 v3, s0, s17, v29, s0
	global_load_b128 v[10:13], v[2:3], off
.LBB68_13:                              ;   in Loop: Header=BB68_9 Depth=1
	s_or_b32 exec_lo, exec_lo, s1
	v_add_co_u32 v2, s0, s82, v0
	s_delay_alu instid0(VALU_DEP_1) | instskip(SKIP_2) | instid1(VALU_DEP_3)
	v_add_co_ci_u32_e64 v3, s0, 0, v1, s0
	v_mov_b32_e32 v4, 0
	v_mov_b32_e32 v5, 0
	v_cmp_gt_u64_e64 s1, s[8:9], v[2:3]
	s_delay_alu instid0(VALU_DEP_2) | instskip(SKIP_1) | instid1(VALU_DEP_3)
	v_dual_mov_b32 v9, v5 :: v_dual_mov_b32 v8, v4
	v_dual_mov_b32 v7, v5 :: v_dual_mov_b32 v6, v4
	s_and_saveexec_b32 s3, s1
	s_cbranch_execz .LBB68_15
; %bb.14:                               ;   in Loop: Header=BB68_9 Depth=1
	v_add_co_u32 v2, s0, v32, s16
	s_delay_alu instid0(VALU_DEP_1)
	v_add_co_ci_u32_e64 v3, s0, s17, v33, s0
	global_load_b128 v[6:9], v[2:3], off offset:-8
.LBB68_15:                              ;   in Loop: Header=BB68_9 Depth=1
	s_or_b32 exec_lo, exec_lo, s3
	v_add_co_u32 v2, s0, s83, v0
	s_delay_alu instid0(VALU_DEP_1) | instskip(NEXT) | instid1(VALU_DEP_1)
	v_add_co_ci_u32_e64 v3, s0, 0, v1, s0
	v_cmp_gt_u64_e64 s0, s[8:9], v[2:3]
	v_dual_mov_b32 v2, v4 :: v_dual_mov_b32 v3, v5
	s_delay_alu instid0(VALU_DEP_2)
	s_and_saveexec_b32 s4, s0
	s_cbranch_execnz .LBB68_20
; %bb.16:                               ;   in Loop: Header=BB68_9 Depth=1
	s_or_b32 exec_lo, exec_lo, s4
	s_and_saveexec_b32 s7, vcc_lo
	s_cbranch_execnz .LBB68_21
.LBB68_17:                              ;   in Loop: Header=BB68_9 Depth=1
	s_or_b32 exec_lo, exec_lo, s7
	s_and_saveexec_b32 s5, s2
	s_cbranch_execnz .LBB68_22
.LBB68_18:                              ;   in Loop: Header=BB68_9 Depth=1
	s_or_b32 exec_lo, exec_lo, s5
	s_and_saveexec_b32 s4, s1
	s_cbranch_execnz .LBB68_23
.LBB68_19:                              ;   in Loop: Header=BB68_9 Depth=1
	s_or_b32 exec_lo, exec_lo, s4
	s_and_saveexec_b32 s3, s0
	s_cbranch_execz .LBB68_8
	s_branch .LBB68_24
.LBB68_20:                              ;   in Loop: Header=BB68_9 Depth=1
	v_add_co_u32 v2, s3, v26, s16
	s_delay_alu instid0(VALU_DEP_1)
	v_add_co_ci_u32_e64 v3, s3, s17, v27, s3
	global_load_b128 v[2:5], v[2:3], off offset:-8
	s_or_b32 exec_lo, exec_lo, s4
	s_and_saveexec_b32 s7, vcc_lo
	s_cbranch_execz .LBB68_17
.LBB68_21:                              ;   in Loop: Header=BB68_9 Depth=1
	s_waitcnt vmcnt(0)
	v_fma_f64 v[38:39], v[16:17], 0, v[14:15]
	v_fma_f64 v[14:15], v[14:15], 0, -v[16:17]
	s_mov_b32 s79, s59
	s_mov_b32 s76, s10
	s_delay_alu instid0(VALU_DEP_2) | instskip(NEXT) | instid1(VALU_DEP_2)
	v_mul_f64 v[16:17], v[38:39], v[38:39]
	v_add_f64 v[40:41], v[14:15], 1.0
	v_add_f64 v[42:43], -v[14:15], 1.0
	v_fma_f64 v[14:15], -v[14:15], v[14:15], 1.0
	s_delay_alu instid0(VALU_DEP_3) | instskip(NEXT) | instid1(VALU_DEP_3)
	v_fma_f64 v[40:41], v[40:41], v[40:41], v[16:17]
	v_fma_f64 v[16:17], v[42:43], v[42:43], v[16:17]
	s_delay_alu instid0(VALU_DEP_3) | instskip(NEXT) | instid1(VALU_DEP_3)
	v_fma_f64 v[14:15], -v[38:39], v[38:39], v[14:15]
	v_frexp_mant_f64_e32 v[42:43], v[40:41]
	s_delay_alu instid0(VALU_DEP_3) | instskip(SKIP_2) | instid1(VALU_DEP_4)
	v_frexp_mant_f64_e32 v[44:45], v[16:17]
	v_frexp_exp_i32_f64_e32 v19, v[40:41]
	v_frexp_exp_i32_f64_e32 v46, v[16:17]
	v_cmp_gt_f64_e32 vcc_lo, s[58:59], v[42:43]
	s_delay_alu instid0(VALU_DEP_4) | instskip(NEXT) | instid1(VALU_DEP_4)
	v_cmp_gt_f64_e64 s3, s[58:59], v[44:45]
	v_subrev_co_ci_u32_e64 v82, s4, 0, v19, vcc_lo
	v_cndmask_b32_e64 v19, 0x3ff00000, 2.0, vcc_lo
	s_delay_alu instid0(VALU_DEP_3) | instskip(SKIP_1) | instid1(VALU_DEP_3)
	v_subrev_co_ci_u32_e64 v83, vcc_lo, 0, v46, s3
	v_cmp_gt_i32_e64 s4, 0, v15
	v_mul_f64 v[42:43], v[42:43], v[18:19]
	v_cndmask_b32_e64 v19, 0x3ff00000, 2.0, s3
	v_cmp_class_f64_e64 s3, v[16:17], 0x204
	s_delay_alu instid0(VALU_DEP_2) | instskip(SKIP_3) | instid1(VALU_DEP_4)
	v_mul_f64 v[44:45], v[44:45], v[18:19]
	v_ashrrev_i32_e32 v19, 31, v15
	v_add_f64 v[46:47], v[42:43], 1.0
	v_add_f64 v[58:59], v[42:43], -1.0
	v_add_f64 v[48:49], v[44:45], 1.0
	s_delay_alu instid0(VALU_DEP_3) | instskip(SKIP_1) | instid1(VALU_DEP_2)
	v_rcp_f64_e32 v[50:51], v[46:47]
	v_add_f64 v[66:67], v[46:47], -1.0
	v_rcp_f64_e32 v[52:53], v[48:49]
	v_add_f64 v[70:71], v[48:49], -1.0
	s_delay_alu instid0(VALU_DEP_2) | instskip(SKIP_3) | instid1(VALU_DEP_2)
	v_add_f64 v[42:43], v[42:43], -v[66:67]
	s_waitcnt_depctr 0xfff
	v_fma_f64 v[54:55], -v[46:47], v[50:51], 1.0
	v_fma_f64 v[56:57], -v[48:49], v[52:53], 1.0
	v_fma_f64 v[50:51], v[54:55], v[50:51], v[50:51]
	s_delay_alu instid0(VALU_DEP_2) | instskip(NEXT) | instid1(VALU_DEP_2)
	v_fma_f64 v[52:53], v[56:57], v[52:53], v[52:53]
	v_fma_f64 v[54:55], -v[46:47], v[50:51], 1.0
	s_delay_alu instid0(VALU_DEP_2) | instskip(NEXT) | instid1(VALU_DEP_2)
	v_fma_f64 v[56:57], -v[48:49], v[52:53], 1.0
	v_fma_f64 v[50:51], v[54:55], v[50:51], v[50:51]
	v_add_f64 v[54:55], v[44:45], -1.0
	v_add_f64 v[44:45], v[44:45], -v[70:71]
	s_delay_alu instid0(VALU_DEP_4) | instskip(SKIP_2) | instid1(VALU_DEP_3)
	v_fma_f64 v[52:53], v[56:57], v[52:53], v[52:53]
	v_add_f64 v[56:57], v[38:39], v[38:39]
	v_mul_f64 v[38:39], v[58:59], v[50:51]
	v_mul_f64 v[60:61], v[54:55], v[52:53]
	s_delay_alu instid0(VALU_DEP_3) | instskip(SKIP_4) | instid1(VALU_DEP_4)
	v_min_f64 v[62:63], |v[14:15]|, |v[56:57]|
	v_max_f64 v[64:65], |v[14:15]|, |v[56:57]|
	v_cmp_eq_f64_e64 s5, 0, v[56:57]
	v_mul_f64 v[68:69], v[46:47], v[38:39]
	v_mul_f64 v[72:73], v[48:49], v[60:61]
	v_div_scale_f64 v[74:75], null, v[64:65], v[64:65], v[62:63]
	v_div_scale_f64 v[80:81], vcc_lo, v[62:63], v[64:65], v[62:63]
	s_delay_alu instid0(VALU_DEP_4) | instskip(NEXT) | instid1(VALU_DEP_4)
	v_fma_f64 v[46:47], v[38:39], v[46:47], -v[68:69]
	v_fma_f64 v[48:49], v[60:61], v[48:49], -v[72:73]
	s_delay_alu instid0(VALU_DEP_4) | instskip(NEXT) | instid1(VALU_DEP_2)
	v_rcp_f64_e32 v[66:67], v[74:75]
	v_fma_f64 v[42:43], v[38:39], v[42:43], v[46:47]
	s_delay_alu instid0(VALU_DEP_2) | instskip(SKIP_4) | instid1(VALU_DEP_3)
	v_fma_f64 v[44:45], v[60:61], v[44:45], v[48:49]
	s_waitcnt_depctr 0xfff
	v_fma_f64 v[46:47], -v[74:75], v[66:67], 1.0
	v_add_f64 v[48:49], v[68:69], v[42:43]
	v_add_f64 v[70:71], v[72:73], v[44:45]
	v_fma_f64 v[46:47], v[66:67], v[46:47], v[66:67]
	s_delay_alu instid0(VALU_DEP_3) | instskip(SKIP_1) | instid1(VALU_DEP_4)
	v_add_f64 v[66:67], v[58:59], -v[48:49]
	v_add_f64 v[68:69], v[48:49], -v[68:69]
	;; [unrolled: 1-line block ×4, first 2 shown]
	v_fma_f64 v[78:79], -v[74:75], v[46:47], 1.0
	v_add_f64 v[58:59], v[58:59], -v[66:67]
	v_add_f64 v[42:43], v[68:69], -v[42:43]
	;; [unrolled: 1-line block ×4, first 2 shown]
	v_fma_f64 v[46:47], v[46:47], v[78:79], v[46:47]
	v_add_f64 v[48:49], v[58:59], -v[48:49]
	s_delay_alu instid0(VALU_DEP_4) | instskip(SKIP_1) | instid1(VALU_DEP_4)
	v_add_f64 v[54:55], v[54:55], -v[70:71]
	v_cvt_f64_i32_e32 v[70:71], v83
	v_mul_f64 v[58:59], v[80:81], v[46:47]
	s_delay_alu instid0(VALU_DEP_4) | instskip(NEXT) | instid1(VALU_DEP_4)
	v_add_f64 v[42:43], v[42:43], v[48:49]
	v_add_f64 v[44:45], v[44:45], v[54:55]
	s_delay_alu instid0(VALU_DEP_3) | instskip(NEXT) | instid1(VALU_DEP_3)
	v_fma_f64 v[48:49], -v[74:75], v[58:59], v[80:81]
	v_add_f64 v[42:43], v[66:67], v[42:43]
	s_delay_alu instid0(VALU_DEP_3) | instskip(NEXT) | instid1(VALU_DEP_3)
	v_add_f64 v[44:45], v[76:77], v[44:45]
	v_div_fmas_f64 v[46:47], v[48:49], v[46:47], v[58:59]
	v_cmp_lt_f64_e64 vcc_lo, |v[14:15]|, |v[56:57]|
	s_delay_alu instid0(VALU_DEP_4) | instskip(NEXT) | instid1(VALU_DEP_4)
	v_mul_f64 v[42:43], v[50:51], v[42:43]
	v_mul_f64 v[44:45], v[52:53], v[44:45]
	s_delay_alu instid0(VALU_DEP_4) | instskip(NEXT) | instid1(VALU_DEP_3)
	v_div_fixup_f64 v[46:47], v[46:47], v[64:65], v[62:63]
	v_add_f64 v[48:49], v[38:39], v[42:43]
	s_delay_alu instid0(VALU_DEP_3) | instskip(NEXT) | instid1(VALU_DEP_3)
	v_add_f64 v[50:51], v[60:61], v[44:45]
	v_mul_f64 v[52:53], v[46:47], v[46:47]
	s_delay_alu instid0(VALU_DEP_3) | instskip(SKIP_1) | instid1(VALU_DEP_4)
	v_mul_f64 v[54:55], v[48:49], v[48:49]
	v_add_f64 v[38:39], v[48:49], -v[38:39]
	v_mul_f64 v[58:59], v[50:51], v[50:51]
	s_delay_alu instid0(VALU_DEP_4) | instskip(NEXT) | instid1(VALU_DEP_4)
	v_fma_f64 v[62:63], v[52:53], s[14:15], s[12:13]
	v_fma_f64 v[64:65], v[54:55], s[66:67], s[64:65]
	v_mul_f64 v[68:69], v[48:49], v[54:55]
	v_add_f64 v[38:39], v[42:43], -v[38:39]
	v_fma_f64 v[66:67], v[58:59], s[66:67], s[64:65]
	v_fma_f64 v[62:63], v[52:53], v[62:63], s[20:21]
	;; [unrolled: 1-line block ×3, first 2 shown]
	s_delay_alu instid0(VALU_DEP_4) | instskip(NEXT) | instid1(VALU_DEP_4)
	v_ldexp_f64 v[38:39], v[38:39], 1
	v_fma_f64 v[66:67], v[58:59], v[66:67], s[68:69]
	s_delay_alu instid0(VALU_DEP_4) | instskip(NEXT) | instid1(VALU_DEP_4)
	v_fma_f64 v[62:63], v[52:53], v[62:63], s[22:23]
	v_fma_f64 v[64:65], v[54:55], v[64:65], s[70:71]
	s_delay_alu instid0(VALU_DEP_3) | instskip(NEXT) | instid1(VALU_DEP_3)
	v_fma_f64 v[66:67], v[58:59], v[66:67], s[70:71]
	v_fma_f64 v[62:63], v[52:53], v[62:63], s[24:25]
	s_delay_alu instid0(VALU_DEP_3) | instskip(NEXT) | instid1(VALU_DEP_3)
	;; [unrolled: 3-line block ×4, first 2 shown]
	v_fma_f64 v[66:67], v[58:59], v[66:67], s[74:75]
	v_fma_f64 v[62:63], v[52:53], v[62:63], s[28:29]
	s_delay_alu instid0(VALU_DEP_3) | instskip(SKIP_1) | instid1(VALU_DEP_4)
	v_fma_f64 v[54:55], v[54:55], v[64:65], s[78:79]
	v_mul_f64 v[64:65], v[50:51], v[58:59]
	v_fma_f64 v[58:59], v[58:59], v[66:67], s[78:79]
	v_ldexp_f64 v[66:67], v[48:49], 1
	v_cmp_class_f64_e64 s79, v[14:15], 0x204
	v_fma_f64 v[62:63], v[52:53], v[62:63], s[30:31]
	v_mul_f64 v[54:55], v[68:69], v[54:55]
	v_ldexp_f64 v[68:69], v[50:51], 1
	v_add_f64 v[50:51], v[50:51], -v[60:61]
	v_mul_f64 v[58:59], v[64:65], v[58:59]
	v_cvt_f64_i32_e32 v[64:65], v82
	v_fma_f64 v[62:63], v[52:53], v[62:63], s[34:35]
	v_add_f64 v[48:49], v[66:67], v[54:55]
	v_add_f64 v[44:45], v[44:45], -v[50:51]
	v_add_f64 v[60:61], v[68:69], v[58:59]
	v_mul_f64 v[72:73], v[64:65], s[60:61]
	v_fma_f64 v[62:63], v[52:53], v[62:63], s[36:37]
	v_add_f64 v[42:43], v[48:49], -v[66:67]
	v_mul_f64 v[66:67], v[70:71], s[60:61]
	v_ldexp_f64 v[44:45], v[44:45], 1
	v_add_f64 v[50:51], v[60:61], -v[68:69]
	v_fma_f64 v[68:69], v[64:65], s[60:61], -v[72:73]
	v_fma_f64 v[62:63], v[52:53], v[62:63], s[38:39]
	v_add_f64 v[42:43], v[54:55], -v[42:43]
	v_fma_f64 v[54:55], v[70:71], s[60:61], -v[66:67]
	v_add_f64 v[50:51], v[58:59], -v[50:51]
	s_delay_alu instid0(VALU_DEP_4)
	v_fma_f64 v[58:59], v[52:53], v[62:63], s[40:41]
	v_fma_f64 v[62:63], v[64:65], s[62:63], v[68:69]
	v_add_f64 v[38:39], v[38:39], v[42:43]
	v_fma_f64 v[42:43], v[70:71], s[62:63], v[54:55]
	v_add_f64 v[44:45], v[44:45], v[50:51]
	;; [unrolled: 2-line block ×3, first 2 shown]
	v_add_f64 v[58:59], v[48:49], v[38:39]
	v_add_f64 v[64:65], v[66:67], v[42:43]
	;; [unrolled: 1-line block ×3, first 2 shown]
	v_fma_f64 v[50:51], v[52:53], v[50:51], s[44:45]
	v_add_f64 v[72:73], v[54:55], -v[72:73]
	v_add_f64 v[70:71], v[54:55], v[58:59]
	v_add_f64 v[66:67], v[64:65], -v[66:67]
	v_add_f64 v[48:49], v[58:59], -v[48:49]
	v_add_f64 v[74:75], v[64:65], v[68:69]
	v_add_f64 v[60:61], v[68:69], -v[60:61]
	v_fma_f64 v[50:51], v[52:53], v[50:51], s[46:47]
	v_add_f64 v[62:63], v[62:63], -v[72:73]
	v_add_f64 v[76:77], v[70:71], -v[54:55]
	;; [unrolled: 1-line block ×6, first 2 shown]
	v_fma_f64 v[50:51], v[52:53], v[50:51], s[48:49]
	v_add_f64 v[80:81], v[70:71], -v[76:77]
	v_add_f64 v[48:49], v[58:59], -v[76:77]
	;; [unrolled: 1-line block ×4, first 2 shown]
	v_fma_f64 v[50:51], v[52:53], v[50:51], s[50:51]
	v_add_f64 v[54:55], v[54:55], -v[80:81]
	s_delay_alu instid0(VALU_DEP_4) | instskip(SKIP_1) | instid1(VALU_DEP_4)
	v_add_f64 v[60:61], v[64:65], -v[82:83]
	v_add_f64 v[64:65], v[62:63], v[38:39]
	v_fma_f64 v[50:51], v[52:53], v[50:51], s[52:53]
	s_delay_alu instid0(VALU_DEP_4)
	v_add_f64 v[48:49], v[48:49], v[54:55]
	v_add_f64 v[54:55], v[42:43], v[44:45]
	;; [unrolled: 1-line block ×3, first 2 shown]
	v_add_f64 v[60:61], v[64:65], -v[62:63]
	v_fma_f64 v[50:51], v[52:53], v[50:51], s[54:55]
	v_add_f64 v[48:49], v[64:65], v[48:49]
	v_add_f64 v[66:67], v[54:55], -v[42:43]
	v_add_f64 v[58:59], v[54:55], v[58:59]
	v_add_f64 v[64:65], v[64:65], -v[60:61]
	v_add_f64 v[38:39], v[38:39], -v[60:61]
	v_fma_f64 v[50:51], v[52:53], v[50:51], s[56:57]
	v_add_f64 v[68:69], v[70:71], v[48:49]
	v_add_f64 v[54:55], v[54:55], -v[66:67]
	v_add_f64 v[44:45], v[44:45], -v[66:67]
	v_add_f64 v[72:73], v[74:75], v[58:59]
	v_mul_f64 v[50:51], v[52:53], v[50:51]
	v_add_f64 v[52:53], v[62:63], -v[64:65]
	v_add_f64 v[60:61], v[68:69], -v[70:71]
	;; [unrolled: 1-line block ×4, first 2 shown]
	v_fma_f64 v[46:47], v[46:47], v[50:51], v[46:47]
	v_add_f64 v[38:39], v[38:39], v[52:53]
	v_add_f64 v[48:49], v[48:49], -v[60:61]
	v_add_f64 v[42:43], v[44:45], v[42:43]
	v_add_f64 v[44:45], v[58:59], -v[54:55]
	v_add_f64 v[50:51], -v[46:47], s[10:11]
	s_delay_alu instid0(VALU_DEP_4) | instskip(SKIP_1) | instid1(VALU_DEP_4)
	v_add_f64 v[38:39], v[38:39], v[48:49]
	v_cndmask_b32_e64 v48, 0x54442d18, v36, s4
	v_add_f64 v[42:43], v[42:43], v[44:45]
	s_delay_alu instid0(VALU_DEP_4) | instskip(SKIP_1) | instid1(VALU_DEP_2)
	v_dual_cndmask_b32 v45, v47, v51 :: v_dual_cndmask_b32 v44, v46, v50
	v_cmp_class_f64_e64 vcc_lo, v[40:41], 0x204
	v_add_f64 v[46:47], -v[44:45], s[76:77]
	v_cmp_class_f64_e64 s76, v[56:57], 0x204
	v_add_f64 v[38:39], v[68:69], v[38:39]
	v_and_b32_e32 v49, 0x54442d18, v19
	v_add_f64 v[42:43], v[72:73], v[42:43]
	v_cndmask_b32_e64 v44, v44, v46, s4
	s_delay_alu instid0(VALU_DEP_4) | instskip(SKIP_1) | instid1(VALU_DEP_4)
	v_dual_cndmask_b32 v38, v38, v40 :: v_dual_cndmask_b32 v39, v39, v41
	v_cmp_neq_f64_e32 vcc_lo, 0, v[40:41]
	v_cndmask_b32_e64 v40, v42, v16, s3
	v_cndmask_b32_e64 v41, v43, v17, s3
	v_cmp_neq_f64_e64 s3, 0, v[16:17]
	v_cndmask_b32_e64 v16, 0x3fe921fb, v37, s4
	v_and_b32_e32 v17, 0x400921fb, v19
	v_cndmask_b32_e64 v19, v45, v47, s4
	v_cndmask_b32_e64 v42, v44, v49, s5
	s_and_b32 s4, s76, s79
	v_bfi_b32 v16, 0x7fffffff, v16, v57
	s_delay_alu instid0(VALU_DEP_3) | instskip(NEXT) | instid1(VALU_DEP_3)
	v_cndmask_b32_e64 v17, v19, v17, s5
	v_cndmask_b32_e64 v42, v42, v48, s4
	s_delay_alu instid0(VALU_DEP_2)
	v_cndmask_b32_e64 v19, v17, v16, s4
	v_cmp_o_f64_e64 s4, v[14:15], v[56:57]
	v_cndmask_b32_e32 v14, 0, v38, vcc_lo
	v_cndmask_b32_e32 v15, 0xfff00000, v39, vcc_lo
	v_cndmask_b32_e64 v17, 0xfff00000, v41, s3
	v_cndmask_b32_e64 v16, 0, v40, s3
	s_delay_alu instid0(VALU_DEP_1) | instskip(SKIP_2) | instid1(VALU_DEP_2)
	v_add_f64 v[14:15], v[14:15], -v[16:17]
	v_cndmask_b32_e64 v17, 0x7ff80000, v19, s4
	v_cndmask_b32_e64 v16, 0, v42, s4
	v_bfi_b32 v17, 0x7fffffff, v17, v57
	s_delay_alu instid0(VALU_DEP_1) | instskip(SKIP_1) | instid1(VALU_DEP_1)
	v_mul_f64 v[38:39], v[16:17], 0.5
	v_ldexp_f64 v[14:15], v[14:15], -2
	v_fma_f64 v[16:17], 0x80000000, v[38:39], -v[14:15]
	v_fma_f64 v[14:15], 0x80000000, v[14:15], v[38:39]
	v_add_co_u32 v38, vcc_lo, v22, s16
	v_add_co_ci_u32_e32 v39, vcc_lo, s17, v23, vcc_lo
	global_store_b128 v[38:39], v[14:17], off offset:-8
	s_or_b32 exec_lo, exec_lo, s7
	s_and_saveexec_b32 s5, s2
	s_cbranch_execz .LBB68_18
.LBB68_22:                              ;   in Loop: Header=BB68_9 Depth=1
	s_waitcnt vmcnt(0)
	v_fma_f64 v[14:15], v[12:13], 0, v[10:11]
	v_fma_f64 v[10:11], v[10:11], 0, -v[12:13]
	s_mov_b32 s79, s59
	s_mov_b32 s76, s10
	s_delay_alu instid0(VALU_DEP_2) | instskip(NEXT) | instid1(VALU_DEP_2)
	v_mul_f64 v[12:13], v[14:15], v[14:15]
	v_add_f64 v[16:17], v[10:11], 1.0
	v_add_f64 v[38:39], -v[10:11], 1.0
	v_fma_f64 v[10:11], -v[10:11], v[10:11], 1.0
	s_delay_alu instid0(VALU_DEP_3) | instskip(NEXT) | instid1(VALU_DEP_3)
	v_fma_f64 v[16:17], v[16:17], v[16:17], v[12:13]
	v_fma_f64 v[12:13], v[38:39], v[38:39], v[12:13]
	s_delay_alu instid0(VALU_DEP_3) | instskip(NEXT) | instid1(VALU_DEP_3)
	v_fma_f64 v[10:11], -v[14:15], v[14:15], v[10:11]
	v_frexp_mant_f64_e32 v[38:39], v[16:17]
	s_delay_alu instid0(VALU_DEP_3) | instskip(NEXT) | instid1(VALU_DEP_2)
	v_frexp_mant_f64_e32 v[40:41], v[12:13]
	v_cmp_gt_f64_e64 s2, s[58:59], v[38:39]
	s_delay_alu instid0(VALU_DEP_2) | instskip(NEXT) | instid1(VALU_DEP_2)
	v_cmp_gt_f64_e64 s3, s[58:59], v[40:41]
	v_cndmask_b32_e64 v19, 0x3ff00000, 2.0, s2
	s_delay_alu instid0(VALU_DEP_1) | instskip(NEXT) | instid1(VALU_DEP_3)
	v_mul_f64 v[38:39], v[38:39], v[18:19]
	v_cndmask_b32_e64 v19, 0x3ff00000, 2.0, s3
	s_delay_alu instid0(VALU_DEP_1) | instskip(SKIP_1) | instid1(VALU_DEP_4)
	v_mul_f64 v[40:41], v[40:41], v[18:19]
	v_frexp_exp_i32_f64_e32 v19, v[16:17]
	v_add_f64 v[42:43], v[38:39], 1.0
	v_add_f64 v[54:55], v[38:39], -1.0
	s_delay_alu instid0(VALU_DEP_4) | instskip(NEXT) | instid1(VALU_DEP_3)
	v_add_f64 v[44:45], v[40:41], 1.0
	v_rcp_f64_e32 v[46:47], v[42:43]
	v_add_f64 v[62:63], v[42:43], -1.0
	s_delay_alu instid0(VALU_DEP_2) | instskip(SKIP_1) | instid1(VALU_DEP_2)
	v_rcp_f64_e32 v[48:49], v[44:45]
	v_add_f64 v[66:67], v[44:45], -1.0
	v_add_f64 v[38:39], v[38:39], -v[62:63]
	s_waitcnt_depctr 0xfff
	v_fma_f64 v[50:51], -v[42:43], v[46:47], 1.0
	v_fma_f64 v[52:53], -v[44:45], v[48:49], 1.0
	s_delay_alu instid0(VALU_DEP_2) | instskip(NEXT) | instid1(VALU_DEP_2)
	v_fma_f64 v[46:47], v[50:51], v[46:47], v[46:47]
	v_fma_f64 v[48:49], v[52:53], v[48:49], v[48:49]
	s_delay_alu instid0(VALU_DEP_2) | instskip(NEXT) | instid1(VALU_DEP_2)
	v_fma_f64 v[50:51], -v[42:43], v[46:47], 1.0
	v_fma_f64 v[52:53], -v[44:45], v[48:49], 1.0
	s_delay_alu instid0(VALU_DEP_2) | instskip(SKIP_2) | instid1(VALU_DEP_4)
	v_fma_f64 v[46:47], v[50:51], v[46:47], v[46:47]
	v_add_f64 v[50:51], v[40:41], -1.0
	v_add_f64 v[40:41], v[40:41], -v[66:67]
	v_fma_f64 v[48:49], v[52:53], v[48:49], v[48:49]
	v_add_f64 v[52:53], v[14:15], v[14:15]
	v_mul_f64 v[14:15], v[54:55], v[46:47]
	s_delay_alu instid0(VALU_DEP_3) | instskip(NEXT) | instid1(VALU_DEP_3)
	v_mul_f64 v[56:57], v[50:51], v[48:49]
	v_max_f64 v[58:59], |v[10:11]|, |v[52:53]|
	v_min_f64 v[60:61], |v[10:11]|, |v[52:53]|
	v_cmp_eq_f64_e64 s4, 0, v[52:53]
	v_cmp_class_f64_e64 s7, v[52:53], 0x204
	v_mul_f64 v[64:65], v[42:43], v[14:15]
	v_mul_f64 v[68:69], v[44:45], v[56:57]
	v_div_scale_f64 v[70:71], null, v[58:59], v[58:59], v[60:61]
	v_div_scale_f64 v[76:77], vcc_lo, v[60:61], v[58:59], v[60:61]
	s_delay_alu instid0(VALU_DEP_4) | instskip(NEXT) | instid1(VALU_DEP_4)
	v_fma_f64 v[42:43], v[14:15], v[42:43], -v[64:65]
	v_fma_f64 v[44:45], v[56:57], v[44:45], -v[68:69]
	s_delay_alu instid0(VALU_DEP_4) | instskip(NEXT) | instid1(VALU_DEP_2)
	v_rcp_f64_e32 v[62:63], v[70:71]
	v_fma_f64 v[38:39], v[14:15], v[38:39], v[42:43]
	s_delay_alu instid0(VALU_DEP_2) | instskip(SKIP_4) | instid1(VALU_DEP_3)
	v_fma_f64 v[40:41], v[56:57], v[40:41], v[44:45]
	s_waitcnt_depctr 0xfff
	v_fma_f64 v[42:43], -v[70:71], v[62:63], 1.0
	v_add_f64 v[44:45], v[64:65], v[38:39]
	v_add_f64 v[66:67], v[68:69], v[40:41]
	v_fma_f64 v[42:43], v[62:63], v[42:43], v[62:63]
	s_delay_alu instid0(VALU_DEP_3) | instskip(SKIP_1) | instid1(VALU_DEP_4)
	v_add_f64 v[62:63], v[54:55], -v[44:45]
	v_add_f64 v[64:65], v[44:45], -v[64:65]
	;; [unrolled: 1-line block ×4, first 2 shown]
	v_fma_f64 v[74:75], -v[70:71], v[42:43], 1.0
	v_add_f64 v[54:55], v[54:55], -v[62:63]
	v_add_f64 v[38:39], v[64:65], -v[38:39]
	;; [unrolled: 1-line block ×4, first 2 shown]
	v_fma_f64 v[42:43], v[42:43], v[74:75], v[42:43]
	v_add_f64 v[44:45], v[54:55], -v[44:45]
	s_delay_alu instid0(VALU_DEP_4) | instskip(SKIP_1) | instid1(VALU_DEP_4)
	v_add_f64 v[50:51], v[50:51], -v[66:67]
	v_frexp_exp_i32_f64_e32 v66, v[12:13]
	v_mul_f64 v[54:55], v[76:77], v[42:43]
	s_delay_alu instid0(VALU_DEP_4) | instskip(NEXT) | instid1(VALU_DEP_4)
	v_add_f64 v[38:39], v[38:39], v[44:45]
	v_add_f64 v[40:41], v[40:41], v[50:51]
	s_delay_alu instid0(VALU_DEP_3) | instskip(NEXT) | instid1(VALU_DEP_3)
	v_fma_f64 v[44:45], -v[70:71], v[54:55], v[76:77]
	v_add_f64 v[38:39], v[62:63], v[38:39]
	s_delay_alu instid0(VALU_DEP_3) | instskip(NEXT) | instid1(VALU_DEP_3)
	v_add_f64 v[40:41], v[72:73], v[40:41]
	v_div_fmas_f64 v[42:43], v[44:45], v[42:43], v[54:55]
	v_subrev_co_ci_u32_e64 v19, vcc_lo, 0, v19, s2
	v_subrev_co_ci_u32_e64 v66, vcc_lo, 0, v66, s3
	v_cmp_lt_f64_e64 vcc_lo, |v[10:11]|, |v[52:53]|
	v_cmp_class_f64_e64 s2, v[12:13], 0x204
	v_cmp_gt_i32_e64 s3, 0, v11
	s_delay_alu instid0(VALU_DEP_4) | instskip(SKIP_3) | instid1(VALU_DEP_3)
	v_cvt_f64_i32_e32 v[66:67], v66
	v_mul_f64 v[38:39], v[46:47], v[38:39]
	v_mul_f64 v[40:41], v[48:49], v[40:41]
	v_div_fixup_f64 v[42:43], v[42:43], v[58:59], v[60:61]
	v_add_f64 v[44:45], v[14:15], v[38:39]
	s_delay_alu instid0(VALU_DEP_3) | instskip(NEXT) | instid1(VALU_DEP_3)
	v_add_f64 v[46:47], v[56:57], v[40:41]
	v_mul_f64 v[48:49], v[42:43], v[42:43]
	s_delay_alu instid0(VALU_DEP_3) | instskip(SKIP_1) | instid1(VALU_DEP_4)
	v_mul_f64 v[50:51], v[44:45], v[44:45]
	v_add_f64 v[14:15], v[44:45], -v[14:15]
	v_mul_f64 v[54:55], v[46:47], v[46:47]
	s_delay_alu instid0(VALU_DEP_4) | instskip(NEXT) | instid1(VALU_DEP_4)
	v_fma_f64 v[58:59], v[48:49], s[14:15], s[12:13]
	v_fma_f64 v[60:61], v[50:51], s[66:67], s[64:65]
	v_mul_f64 v[64:65], v[44:45], v[50:51]
	v_add_f64 v[14:15], v[38:39], -v[14:15]
	v_fma_f64 v[62:63], v[54:55], s[66:67], s[64:65]
	v_fma_f64 v[58:59], v[48:49], v[58:59], s[20:21]
	;; [unrolled: 1-line block ×3, first 2 shown]
	s_delay_alu instid0(VALU_DEP_4) | instskip(NEXT) | instid1(VALU_DEP_4)
	v_ldexp_f64 v[14:15], v[14:15], 1
	v_fma_f64 v[62:63], v[54:55], v[62:63], s[68:69]
	s_delay_alu instid0(VALU_DEP_4) | instskip(NEXT) | instid1(VALU_DEP_4)
	v_fma_f64 v[58:59], v[48:49], v[58:59], s[22:23]
	v_fma_f64 v[60:61], v[50:51], v[60:61], s[70:71]
	s_delay_alu instid0(VALU_DEP_3) | instskip(NEXT) | instid1(VALU_DEP_3)
	v_fma_f64 v[62:63], v[54:55], v[62:63], s[70:71]
	v_fma_f64 v[58:59], v[48:49], v[58:59], s[24:25]
	s_delay_alu instid0(VALU_DEP_3) | instskip(NEXT) | instid1(VALU_DEP_3)
	;; [unrolled: 3-line block ×4, first 2 shown]
	v_fma_f64 v[62:63], v[54:55], v[62:63], s[74:75]
	v_fma_f64 v[58:59], v[48:49], v[58:59], s[28:29]
	s_delay_alu instid0(VALU_DEP_3) | instskip(SKIP_1) | instid1(VALU_DEP_4)
	v_fma_f64 v[50:51], v[50:51], v[60:61], s[78:79]
	v_mul_f64 v[60:61], v[46:47], v[54:55]
	v_fma_f64 v[54:55], v[54:55], v[62:63], s[78:79]
	v_ldexp_f64 v[62:63], v[44:45], 1
	v_fma_f64 v[58:59], v[48:49], v[58:59], s[30:31]
	v_mul_f64 v[50:51], v[64:65], v[50:51]
	v_ldexp_f64 v[64:65], v[46:47], 1
	v_add_f64 v[46:47], v[46:47], -v[56:57]
	v_mul_f64 v[54:55], v[60:61], v[54:55]
	v_cvt_f64_i32_e32 v[60:61], v19
	v_ashrrev_i32_e32 v19, 31, v11
	v_fma_f64 v[58:59], v[48:49], v[58:59], s[34:35]
	v_add_f64 v[44:45], v[62:63], v[50:51]
	v_add_f64 v[40:41], v[40:41], -v[46:47]
	v_add_f64 v[56:57], v[64:65], v[54:55]
	v_mul_f64 v[68:69], v[60:61], s[60:61]
	v_fma_f64 v[58:59], v[48:49], v[58:59], s[36:37]
	v_add_f64 v[38:39], v[44:45], -v[62:63]
	v_mul_f64 v[62:63], v[66:67], s[60:61]
	v_ldexp_f64 v[40:41], v[40:41], 1
	v_add_f64 v[46:47], v[56:57], -v[64:65]
	v_fma_f64 v[64:65], v[60:61], s[60:61], -v[68:69]
	v_fma_f64 v[58:59], v[48:49], v[58:59], s[38:39]
	v_add_f64 v[38:39], v[50:51], -v[38:39]
	v_fma_f64 v[50:51], v[66:67], s[60:61], -v[62:63]
	v_add_f64 v[46:47], v[54:55], -v[46:47]
	s_delay_alu instid0(VALU_DEP_4)
	v_fma_f64 v[54:55], v[48:49], v[58:59], s[40:41]
	v_fma_f64 v[58:59], v[60:61], s[62:63], v[64:65]
	v_add_f64 v[14:15], v[14:15], v[38:39]
	v_fma_f64 v[38:39], v[66:67], s[62:63], v[50:51]
	v_add_f64 v[40:41], v[40:41], v[46:47]
	;; [unrolled: 2-line block ×3, first 2 shown]
	v_add_f64 v[54:55], v[44:45], v[14:15]
	v_add_f64 v[60:61], v[62:63], v[38:39]
	;; [unrolled: 1-line block ×3, first 2 shown]
	v_fma_f64 v[46:47], v[48:49], v[46:47], s[44:45]
	v_add_f64 v[68:69], v[50:51], -v[68:69]
	v_add_f64 v[66:67], v[50:51], v[54:55]
	v_add_f64 v[62:63], v[60:61], -v[62:63]
	v_add_f64 v[44:45], v[54:55], -v[44:45]
	v_add_f64 v[70:71], v[60:61], v[64:65]
	v_add_f64 v[56:57], v[64:65], -v[56:57]
	v_fma_f64 v[46:47], v[48:49], v[46:47], s[46:47]
	v_add_f64 v[58:59], v[58:59], -v[68:69]
	v_add_f64 v[72:73], v[66:67], -v[50:51]
	;; [unrolled: 1-line block ×6, first 2 shown]
	v_fma_f64 v[46:47], v[48:49], v[46:47], s[48:49]
	v_add_f64 v[76:77], v[66:67], -v[72:73]
	v_add_f64 v[44:45], v[54:55], -v[72:73]
	;; [unrolled: 1-line block ×4, first 2 shown]
	v_fma_f64 v[46:47], v[48:49], v[46:47], s[50:51]
	v_add_f64 v[50:51], v[50:51], -v[76:77]
	s_delay_alu instid0(VALU_DEP_4) | instskip(SKIP_1) | instid1(VALU_DEP_4)
	v_add_f64 v[56:57], v[60:61], -v[78:79]
	v_add_f64 v[60:61], v[58:59], v[14:15]
	v_fma_f64 v[46:47], v[48:49], v[46:47], s[52:53]
	s_delay_alu instid0(VALU_DEP_4)
	v_add_f64 v[44:45], v[44:45], v[50:51]
	v_add_f64 v[50:51], v[38:39], v[40:41]
	;; [unrolled: 1-line block ×3, first 2 shown]
	v_add_f64 v[56:57], v[60:61], -v[58:59]
	v_fma_f64 v[46:47], v[48:49], v[46:47], s[54:55]
	v_add_f64 v[44:45], v[60:61], v[44:45]
	v_add_f64 v[62:63], v[50:51], -v[38:39]
	v_add_f64 v[54:55], v[50:51], v[54:55]
	v_add_f64 v[60:61], v[60:61], -v[56:57]
	v_add_f64 v[14:15], v[14:15], -v[56:57]
	v_fma_f64 v[46:47], v[48:49], v[46:47], s[56:57]
	v_add_f64 v[64:65], v[66:67], v[44:45]
	v_add_f64 v[50:51], v[50:51], -v[62:63]
	v_add_f64 v[40:41], v[40:41], -v[62:63]
	v_add_f64 v[68:69], v[70:71], v[54:55]
	v_mul_f64 v[46:47], v[48:49], v[46:47]
	v_add_f64 v[48:49], v[58:59], -v[60:61]
	v_add_f64 v[56:57], v[64:65], -v[66:67]
	;; [unrolled: 1-line block ×4, first 2 shown]
	v_fma_f64 v[42:43], v[42:43], v[46:47], v[42:43]
	v_add_f64 v[14:15], v[14:15], v[48:49]
	v_add_f64 v[44:45], v[44:45], -v[56:57]
	v_add_f64 v[38:39], v[40:41], v[38:39]
	v_add_f64 v[40:41], v[54:55], -v[50:51]
	v_add_f64 v[46:47], -v[42:43], s[10:11]
	s_delay_alu instid0(VALU_DEP_4) | instskip(SKIP_1) | instid1(VALU_DEP_4)
	v_add_f64 v[14:15], v[14:15], v[44:45]
	v_cndmask_b32_e64 v44, 0x54442d18, v36, s3
	v_add_f64 v[38:39], v[38:39], v[40:41]
	s_delay_alu instid0(VALU_DEP_4) | instskip(SKIP_1) | instid1(VALU_DEP_2)
	v_dual_cndmask_b32 v41, v43, v47 :: v_dual_cndmask_b32 v40, v42, v46
	v_cmp_class_f64_e64 vcc_lo, v[16:17], 0x204
	v_add_f64 v[42:43], -v[40:41], s[76:77]
	v_cmp_class_f64_e64 s76, v[10:11], 0x204
	v_add_f64 v[14:15], v[64:65], v[14:15]
	v_and_b32_e32 v45, 0x54442d18, v19
	v_add_f64 v[38:39], v[68:69], v[38:39]
	v_cndmask_b32_e64 v40, v40, v42, s3
	s_delay_alu instid0(VALU_DEP_4) | instskip(SKIP_1) | instid1(VALU_DEP_4)
	v_dual_cndmask_b32 v14, v14, v16 :: v_dual_cndmask_b32 v15, v15, v17
	v_cmp_neq_f64_e32 vcc_lo, 0, v[16:17]
	v_cndmask_b32_e64 v16, v38, v12, s2
	v_cndmask_b32_e64 v17, v39, v13, s2
	v_cmp_neq_f64_e64 s2, 0, v[12:13]
	v_cndmask_b32_e64 v12, 0x3fe921fb, v37, s3
	v_and_b32_e32 v13, 0x400921fb, v19
	v_cndmask_b32_e64 v19, v41, v43, s3
	v_cndmask_b32_e64 v38, v40, v45, s4
	s_and_b32 s3, s7, s76
	v_bfi_b32 v12, 0x7fffffff, v12, v53
	s_delay_alu instid0(VALU_DEP_3) | instskip(NEXT) | instid1(VALU_DEP_3)
	v_cndmask_b32_e64 v13, v19, v13, s4
	v_cndmask_b32_e64 v38, v38, v44, s3
	s_delay_alu instid0(VALU_DEP_2)
	v_cndmask_b32_e64 v19, v13, v12, s3
	v_cmp_o_f64_e64 s3, v[10:11], v[52:53]
	v_cndmask_b32_e32 v10, 0, v14, vcc_lo
	v_cndmask_b32_e32 v11, 0xfff00000, v15, vcc_lo
	v_cndmask_b32_e64 v13, 0xfff00000, v17, s2
	v_cndmask_b32_e64 v12, 0, v16, s2
	s_delay_alu instid0(VALU_DEP_1) | instskip(SKIP_2) | instid1(VALU_DEP_2)
	v_add_f64 v[10:11], v[10:11], -v[12:13]
	v_cndmask_b32_e64 v13, 0x7ff80000, v19, s3
	v_cndmask_b32_e64 v12, 0, v38, s3
	v_bfi_b32 v13, 0x7fffffff, v13, v53
	s_delay_alu instid0(VALU_DEP_1) | instskip(SKIP_1) | instid1(VALU_DEP_1)
	v_mul_f64 v[12:13], v[12:13], 0.5
	v_ldexp_f64 v[14:15], v[10:11], -2
	v_fma_f64 v[10:11], 0x80000000, v[14:15], v[12:13]
	v_fma_f64 v[12:13], 0x80000000, v[12:13], -v[14:15]
	v_add_co_u32 v14, vcc_lo, v24, s16
	v_add_co_ci_u32_e32 v15, vcc_lo, s17, v25, vcc_lo
	global_store_b128 v[14:15], v[10:13], off
	s_or_b32 exec_lo, exec_lo, s5
	s_and_saveexec_b32 s4, s1
	s_cbranch_execz .LBB68_19
.LBB68_23:                              ;   in Loop: Header=BB68_9 Depth=1
	s_waitcnt vmcnt(0)
	v_fma_f64 v[10:11], v[8:9], 0, v[6:7]
	v_fma_f64 v[6:7], v[6:7], 0, -v[8:9]
	s_mov_b32 s79, s59
	s_mov_b32 s76, s10
	s_delay_alu instid0(VALU_DEP_2) | instskip(NEXT) | instid1(VALU_DEP_2)
	v_mul_f64 v[8:9], v[10:11], v[10:11]
	v_add_f64 v[12:13], v[6:7], 1.0
	v_add_f64 v[14:15], -v[6:7], 1.0
	v_fma_f64 v[6:7], -v[6:7], v[6:7], 1.0
	s_delay_alu instid0(VALU_DEP_3) | instskip(NEXT) | instid1(VALU_DEP_3)
	v_fma_f64 v[12:13], v[12:13], v[12:13], v[8:9]
	v_fma_f64 v[8:9], v[14:15], v[14:15], v[8:9]
	s_delay_alu instid0(VALU_DEP_3) | instskip(NEXT) | instid1(VALU_DEP_3)
	v_fma_f64 v[6:7], -v[10:11], v[10:11], v[6:7]
	v_frexp_mant_f64_e32 v[14:15], v[12:13]
	s_delay_alu instid0(VALU_DEP_3) | instskip(NEXT) | instid1(VALU_DEP_3)
	v_frexp_mant_f64_e32 v[16:17], v[8:9]
	v_cmp_class_f64_e64 s7, v[6:7], 0x204
	s_delay_alu instid0(VALU_DEP_3) | instskip(NEXT) | instid1(VALU_DEP_3)
	v_cmp_gt_f64_e64 s1, s[58:59], v[14:15]
	v_cmp_gt_f64_e64 s2, s[58:59], v[16:17]
	s_delay_alu instid0(VALU_DEP_2) | instskip(NEXT) | instid1(VALU_DEP_1)
	v_cndmask_b32_e64 v19, 0x3ff00000, 2.0, s1
	v_mul_f64 v[14:15], v[14:15], v[18:19]
	s_delay_alu instid0(VALU_DEP_3) | instskip(NEXT) | instid1(VALU_DEP_1)
	v_cndmask_b32_e64 v19, 0x3ff00000, 2.0, s2
	v_mul_f64 v[16:17], v[16:17], v[18:19]
	v_frexp_exp_i32_f64_e32 v19, v[12:13]
	s_delay_alu instid0(VALU_DEP_4) | instskip(SKIP_1) | instid1(VALU_DEP_4)
	v_add_f64 v[38:39], v[14:15], 1.0
	v_add_f64 v[50:51], v[14:15], -1.0
	v_add_f64 v[40:41], v[16:17], 1.0
	s_delay_alu instid0(VALU_DEP_3) | instskip(SKIP_1) | instid1(VALU_DEP_2)
	v_rcp_f64_e32 v[42:43], v[38:39]
	v_add_f64 v[58:59], v[38:39], -1.0
	v_rcp_f64_e32 v[44:45], v[40:41]
	v_add_f64 v[62:63], v[40:41], -1.0
	s_delay_alu instid0(VALU_DEP_2) | instskip(SKIP_3) | instid1(VALU_DEP_2)
	v_add_f64 v[14:15], v[14:15], -v[58:59]
	s_waitcnt_depctr 0xfff
	v_fma_f64 v[46:47], -v[38:39], v[42:43], 1.0
	v_fma_f64 v[48:49], -v[40:41], v[44:45], 1.0
	v_fma_f64 v[42:43], v[46:47], v[42:43], v[42:43]
	s_delay_alu instid0(VALU_DEP_2) | instskip(NEXT) | instid1(VALU_DEP_2)
	v_fma_f64 v[44:45], v[48:49], v[44:45], v[44:45]
	v_fma_f64 v[46:47], -v[38:39], v[42:43], 1.0
	s_delay_alu instid0(VALU_DEP_2) | instskip(NEXT) | instid1(VALU_DEP_2)
	v_fma_f64 v[48:49], -v[40:41], v[44:45], 1.0
	v_fma_f64 v[42:43], v[46:47], v[42:43], v[42:43]
	v_add_f64 v[46:47], v[16:17], -1.0
	v_add_f64 v[16:17], v[16:17], -v[62:63]
	s_delay_alu instid0(VALU_DEP_4) | instskip(SKIP_2) | instid1(VALU_DEP_3)
	v_fma_f64 v[44:45], v[48:49], v[44:45], v[44:45]
	v_add_f64 v[48:49], v[10:11], v[10:11]
	v_mul_f64 v[10:11], v[50:51], v[42:43]
	v_mul_f64 v[52:53], v[46:47], v[44:45]
	s_delay_alu instid0(VALU_DEP_3)
	v_max_f64 v[54:55], |v[6:7]|, |v[48:49]|
	v_min_f64 v[56:57], |v[6:7]|, |v[48:49]|
	v_cmp_eq_f64_e64 s3, 0, v[48:49]
	v_cmp_class_f64_e64 s5, v[48:49], 0x204
	v_mul_f64 v[60:61], v[38:39], v[10:11]
	v_mul_f64 v[64:65], v[40:41], v[52:53]
	v_div_scale_f64 v[66:67], null, v[54:55], v[54:55], v[56:57]
	v_div_scale_f64 v[72:73], vcc_lo, v[56:57], v[54:55], v[56:57]
	s_delay_alu instid0(VALU_DEP_4) | instskip(NEXT) | instid1(VALU_DEP_4)
	v_fma_f64 v[38:39], v[10:11], v[38:39], -v[60:61]
	v_fma_f64 v[40:41], v[52:53], v[40:41], -v[64:65]
	s_delay_alu instid0(VALU_DEP_4) | instskip(NEXT) | instid1(VALU_DEP_2)
	v_rcp_f64_e32 v[58:59], v[66:67]
	v_fma_f64 v[14:15], v[10:11], v[14:15], v[38:39]
	s_delay_alu instid0(VALU_DEP_2) | instskip(SKIP_4) | instid1(VALU_DEP_3)
	v_fma_f64 v[16:17], v[52:53], v[16:17], v[40:41]
	s_waitcnt_depctr 0xfff
	v_fma_f64 v[38:39], -v[66:67], v[58:59], 1.0
	v_add_f64 v[40:41], v[60:61], v[14:15]
	v_add_f64 v[62:63], v[64:65], v[16:17]
	v_fma_f64 v[38:39], v[58:59], v[38:39], v[58:59]
	s_delay_alu instid0(VALU_DEP_3) | instskip(SKIP_1) | instid1(VALU_DEP_4)
	v_add_f64 v[58:59], v[50:51], -v[40:41]
	v_add_f64 v[60:61], v[40:41], -v[60:61]
	;; [unrolled: 1-line block ×4, first 2 shown]
	v_fma_f64 v[70:71], -v[66:67], v[38:39], 1.0
	v_add_f64 v[50:51], v[50:51], -v[58:59]
	v_add_f64 v[14:15], v[60:61], -v[14:15]
	;; [unrolled: 1-line block ×4, first 2 shown]
	v_fma_f64 v[38:39], v[38:39], v[70:71], v[38:39]
	v_add_f64 v[40:41], v[50:51], -v[40:41]
	s_delay_alu instid0(VALU_DEP_4) | instskip(SKIP_1) | instid1(VALU_DEP_4)
	v_add_f64 v[46:47], v[46:47], -v[62:63]
	v_frexp_exp_i32_f64_e32 v62, v[8:9]
	v_mul_f64 v[50:51], v[72:73], v[38:39]
	s_delay_alu instid0(VALU_DEP_4) | instskip(NEXT) | instid1(VALU_DEP_4)
	v_add_f64 v[14:15], v[14:15], v[40:41]
	v_add_f64 v[16:17], v[16:17], v[46:47]
	s_delay_alu instid0(VALU_DEP_3) | instskip(NEXT) | instid1(VALU_DEP_3)
	v_fma_f64 v[40:41], -v[66:67], v[50:51], v[72:73]
	v_add_f64 v[14:15], v[58:59], v[14:15]
	s_delay_alu instid0(VALU_DEP_3) | instskip(NEXT) | instid1(VALU_DEP_3)
	v_add_f64 v[16:17], v[68:69], v[16:17]
	v_div_fmas_f64 v[38:39], v[40:41], v[38:39], v[50:51]
	v_subrev_co_ci_u32_e64 v19, vcc_lo, 0, v19, s1
	v_subrev_co_ci_u32_e64 v62, vcc_lo, 0, v62, s2
	v_cmp_lt_f64_e64 vcc_lo, |v[6:7]|, |v[48:49]|
	v_cmp_class_f64_e64 s1, v[8:9], 0x204
	v_cmp_gt_i32_e64 s2, 0, v7
	s_delay_alu instid0(VALU_DEP_4) | instskip(SKIP_3) | instid1(VALU_DEP_3)
	v_cvt_f64_i32_e32 v[62:63], v62
	v_mul_f64 v[14:15], v[42:43], v[14:15]
	v_mul_f64 v[16:17], v[44:45], v[16:17]
	v_div_fixup_f64 v[38:39], v[38:39], v[54:55], v[56:57]
	v_add_f64 v[40:41], v[10:11], v[14:15]
	s_delay_alu instid0(VALU_DEP_3) | instskip(NEXT) | instid1(VALU_DEP_3)
	v_add_f64 v[42:43], v[52:53], v[16:17]
	v_mul_f64 v[44:45], v[38:39], v[38:39]
	s_delay_alu instid0(VALU_DEP_3) | instskip(SKIP_1) | instid1(VALU_DEP_4)
	v_mul_f64 v[46:47], v[40:41], v[40:41]
	v_add_f64 v[10:11], v[40:41], -v[10:11]
	v_mul_f64 v[50:51], v[42:43], v[42:43]
	s_delay_alu instid0(VALU_DEP_4) | instskip(NEXT) | instid1(VALU_DEP_4)
	v_fma_f64 v[54:55], v[44:45], s[14:15], s[12:13]
	v_fma_f64 v[56:57], v[46:47], s[66:67], s[64:65]
	v_mul_f64 v[60:61], v[40:41], v[46:47]
	v_add_f64 v[10:11], v[14:15], -v[10:11]
	v_fma_f64 v[58:59], v[50:51], s[66:67], s[64:65]
	v_fma_f64 v[54:55], v[44:45], v[54:55], s[20:21]
	;; [unrolled: 1-line block ×3, first 2 shown]
	s_delay_alu instid0(VALU_DEP_4) | instskip(NEXT) | instid1(VALU_DEP_4)
	v_ldexp_f64 v[10:11], v[10:11], 1
	v_fma_f64 v[58:59], v[50:51], v[58:59], s[68:69]
	s_delay_alu instid0(VALU_DEP_4) | instskip(NEXT) | instid1(VALU_DEP_4)
	v_fma_f64 v[54:55], v[44:45], v[54:55], s[22:23]
	v_fma_f64 v[56:57], v[46:47], v[56:57], s[70:71]
	s_delay_alu instid0(VALU_DEP_3) | instskip(NEXT) | instid1(VALU_DEP_3)
	v_fma_f64 v[58:59], v[50:51], v[58:59], s[70:71]
	v_fma_f64 v[54:55], v[44:45], v[54:55], s[24:25]
	s_delay_alu instid0(VALU_DEP_3) | instskip(NEXT) | instid1(VALU_DEP_3)
	;; [unrolled: 3-line block ×4, first 2 shown]
	v_fma_f64 v[58:59], v[50:51], v[58:59], s[74:75]
	v_fma_f64 v[54:55], v[44:45], v[54:55], s[28:29]
	s_delay_alu instid0(VALU_DEP_3) | instskip(SKIP_1) | instid1(VALU_DEP_4)
	v_fma_f64 v[46:47], v[46:47], v[56:57], s[78:79]
	v_mul_f64 v[56:57], v[42:43], v[50:51]
	v_fma_f64 v[50:51], v[50:51], v[58:59], s[78:79]
	v_ldexp_f64 v[58:59], v[40:41], 1
	v_fma_f64 v[54:55], v[44:45], v[54:55], s[30:31]
	v_mul_f64 v[46:47], v[60:61], v[46:47]
	v_ldexp_f64 v[60:61], v[42:43], 1
	v_add_f64 v[42:43], v[42:43], -v[52:53]
	v_mul_f64 v[50:51], v[56:57], v[50:51]
	v_cvt_f64_i32_e32 v[56:57], v19
	v_ashrrev_i32_e32 v19, 31, v7
	v_fma_f64 v[54:55], v[44:45], v[54:55], s[34:35]
	v_add_f64 v[40:41], v[58:59], v[46:47]
	v_add_f64 v[16:17], v[16:17], -v[42:43]
	v_add_f64 v[52:53], v[60:61], v[50:51]
	v_mul_f64 v[64:65], v[56:57], s[60:61]
	v_fma_f64 v[54:55], v[44:45], v[54:55], s[36:37]
	v_add_f64 v[14:15], v[40:41], -v[58:59]
	v_mul_f64 v[58:59], v[62:63], s[60:61]
	v_ldexp_f64 v[16:17], v[16:17], 1
	v_add_f64 v[42:43], v[52:53], -v[60:61]
	v_fma_f64 v[60:61], v[56:57], s[60:61], -v[64:65]
	v_fma_f64 v[54:55], v[44:45], v[54:55], s[38:39]
	v_add_f64 v[14:15], v[46:47], -v[14:15]
	v_fma_f64 v[46:47], v[62:63], s[60:61], -v[58:59]
	v_add_f64 v[42:43], v[50:51], -v[42:43]
	s_delay_alu instid0(VALU_DEP_4)
	v_fma_f64 v[50:51], v[44:45], v[54:55], s[40:41]
	v_fma_f64 v[54:55], v[56:57], s[62:63], v[60:61]
	v_add_f64 v[10:11], v[10:11], v[14:15]
	v_fma_f64 v[14:15], v[62:63], s[62:63], v[46:47]
	v_add_f64 v[16:17], v[16:17], v[42:43]
	;; [unrolled: 2-line block ×3, first 2 shown]
	v_add_f64 v[50:51], v[40:41], v[10:11]
	v_add_f64 v[56:57], v[58:59], v[14:15]
	;; [unrolled: 1-line block ×3, first 2 shown]
	v_fma_f64 v[42:43], v[44:45], v[42:43], s[44:45]
	v_add_f64 v[64:65], v[46:47], -v[64:65]
	v_add_f64 v[62:63], v[46:47], v[50:51]
	v_add_f64 v[58:59], v[56:57], -v[58:59]
	v_add_f64 v[40:41], v[50:51], -v[40:41]
	v_add_f64 v[66:67], v[56:57], v[60:61]
	v_add_f64 v[52:53], v[60:61], -v[52:53]
	v_fma_f64 v[42:43], v[44:45], v[42:43], s[46:47]
	v_add_f64 v[54:55], v[54:55], -v[64:65]
	v_add_f64 v[68:69], v[62:63], -v[46:47]
	;; [unrolled: 1-line block ×6, first 2 shown]
	v_fma_f64 v[42:43], v[44:45], v[42:43], s[48:49]
	v_add_f64 v[72:73], v[62:63], -v[68:69]
	v_add_f64 v[40:41], v[50:51], -v[68:69]
	;; [unrolled: 1-line block ×4, first 2 shown]
	v_fma_f64 v[42:43], v[44:45], v[42:43], s[50:51]
	v_add_f64 v[46:47], v[46:47], -v[72:73]
	s_delay_alu instid0(VALU_DEP_4) | instskip(SKIP_1) | instid1(VALU_DEP_4)
	v_add_f64 v[52:53], v[56:57], -v[74:75]
	v_add_f64 v[56:57], v[54:55], v[10:11]
	v_fma_f64 v[42:43], v[44:45], v[42:43], s[52:53]
	s_delay_alu instid0(VALU_DEP_4)
	v_add_f64 v[40:41], v[40:41], v[46:47]
	v_add_f64 v[46:47], v[14:15], v[16:17]
	;; [unrolled: 1-line block ×3, first 2 shown]
	v_add_f64 v[52:53], v[56:57], -v[54:55]
	v_fma_f64 v[42:43], v[44:45], v[42:43], s[54:55]
	v_add_f64 v[40:41], v[56:57], v[40:41]
	v_add_f64 v[58:59], v[46:47], -v[14:15]
	v_add_f64 v[50:51], v[46:47], v[50:51]
	v_add_f64 v[56:57], v[56:57], -v[52:53]
	v_add_f64 v[10:11], v[10:11], -v[52:53]
	v_fma_f64 v[42:43], v[44:45], v[42:43], s[56:57]
	v_add_f64 v[60:61], v[62:63], v[40:41]
	v_add_f64 v[46:47], v[46:47], -v[58:59]
	v_add_f64 v[16:17], v[16:17], -v[58:59]
	v_add_f64 v[64:65], v[66:67], v[50:51]
	v_mul_f64 v[42:43], v[44:45], v[42:43]
	v_add_f64 v[44:45], v[54:55], -v[56:57]
	v_add_f64 v[52:53], v[60:61], -v[62:63]
	;; [unrolled: 1-line block ×4, first 2 shown]
	v_fma_f64 v[38:39], v[38:39], v[42:43], v[38:39]
	v_add_f64 v[10:11], v[10:11], v[44:45]
	v_add_f64 v[40:41], v[40:41], -v[52:53]
	v_add_f64 v[14:15], v[16:17], v[14:15]
	v_add_f64 v[16:17], v[50:51], -v[46:47]
	v_add_f64 v[42:43], -v[38:39], s[10:11]
	s_delay_alu instid0(VALU_DEP_4) | instskip(SKIP_1) | instid1(VALU_DEP_4)
	v_add_f64 v[10:11], v[10:11], v[40:41]
	v_cndmask_b32_e64 v40, 0x54442d18, v36, s2
	v_add_f64 v[14:15], v[14:15], v[16:17]
	s_delay_alu instid0(VALU_DEP_4) | instskip(SKIP_1) | instid1(VALU_DEP_2)
	v_dual_cndmask_b32 v17, v39, v43 :: v_dual_cndmask_b32 v16, v38, v42
	v_cmp_class_f64_e64 vcc_lo, v[12:13], 0x204
	v_add_f64 v[38:39], -v[16:17], s[76:77]
	v_add_f64 v[10:11], v[60:61], v[10:11]
	v_and_b32_e32 v41, 0x54442d18, v19
	v_add_f64 v[14:15], v[64:65], v[14:15]
	s_delay_alu instid0(VALU_DEP_4) | instskip(NEXT) | instid1(VALU_DEP_4)
	v_cndmask_b32_e64 v16, v16, v38, s2
	v_dual_cndmask_b32 v10, v10, v12 :: v_dual_cndmask_b32 v11, v11, v13
	v_cmp_neq_f64_e32 vcc_lo, 0, v[12:13]
	s_delay_alu instid0(VALU_DEP_4)
	v_cndmask_b32_e64 v12, v14, v8, s1
	v_cndmask_b32_e64 v13, v15, v9, s1
	v_cmp_neq_f64_e64 s1, 0, v[8:9]
	v_cndmask_b32_e64 v8, 0x3fe921fb, v37, s2
	v_and_b32_e32 v9, 0x400921fb, v19
	v_cndmask_b32_e64 v14, v17, v39, s2
	v_cndmask_b32_e64 v15, v16, v41, s3
	s_and_b32 s2, s5, s7
	v_bfi_b32 v8, 0x7fffffff, v8, v49
	s_delay_alu instid0(VALU_DEP_3) | instskip(NEXT) | instid1(VALU_DEP_3)
	v_cndmask_b32_e64 v9, v14, v9, s3
	v_cndmask_b32_e64 v15, v15, v40, s2
	s_delay_alu instid0(VALU_DEP_2)
	v_cndmask_b32_e64 v14, v9, v8, s2
	v_cmp_o_f64_e64 s2, v[6:7], v[48:49]
	v_cndmask_b32_e32 v6, 0, v10, vcc_lo
	v_cndmask_b32_e32 v7, 0xfff00000, v11, vcc_lo
	v_cndmask_b32_e64 v9, 0xfff00000, v13, s1
	v_cndmask_b32_e64 v8, 0, v12, s1
	s_delay_alu instid0(VALU_DEP_1) | instskip(SKIP_2) | instid1(VALU_DEP_2)
	v_add_f64 v[6:7], v[6:7], -v[8:9]
	v_cndmask_b32_e64 v9, 0x7ff80000, v14, s2
	v_cndmask_b32_e64 v8, 0, v15, s2
	v_bfi_b32 v9, 0x7fffffff, v9, v49
	s_delay_alu instid0(VALU_DEP_1) | instskip(SKIP_1) | instid1(VALU_DEP_1)
	v_mul_f64 v[8:9], v[8:9], 0.5
	v_ldexp_f64 v[10:11], v[6:7], -2
	v_fma_f64 v[6:7], 0x80000000, v[10:11], v[8:9]
	v_fma_f64 v[8:9], 0x80000000, v[8:9], -v[10:11]
	v_add_co_u32 v10, vcc_lo, v34, s16
	v_add_co_ci_u32_e32 v11, vcc_lo, s17, v35, vcc_lo
	global_store_b128 v[10:11], v[6:9], off offset:-8
	s_or_b32 exec_lo, exec_lo, s4
	s_and_saveexec_b32 s3, s0
	s_cbranch_execz .LBB68_8
.LBB68_24:                              ;   in Loop: Header=BB68_9 Depth=1
	s_waitcnt vmcnt(0)
	v_fma_f64 v[6:7], v[4:5], 0, v[2:3]
	v_fma_f64 v[2:3], v[2:3], 0, -v[4:5]
	s_mov_b32 s79, s59
	s_mov_b32 s76, s10
	s_delay_alu instid0(VALU_DEP_2) | instskip(NEXT) | instid1(VALU_DEP_2)
	v_mul_f64 v[4:5], v[6:7], v[6:7]
	v_add_f64 v[8:9], v[2:3], 1.0
	v_add_f64 v[10:11], -v[2:3], 1.0
	v_fma_f64 v[2:3], -v[2:3], v[2:3], 1.0
	s_delay_alu instid0(VALU_DEP_3) | instskip(NEXT) | instid1(VALU_DEP_3)
	v_fma_f64 v[8:9], v[8:9], v[8:9], v[4:5]
	v_fma_f64 v[4:5], v[10:11], v[10:11], v[4:5]
	s_delay_alu instid0(VALU_DEP_3) | instskip(NEXT) | instid1(VALU_DEP_3)
	v_fma_f64 v[2:3], -v[6:7], v[6:7], v[2:3]
	v_frexp_mant_f64_e32 v[10:11], v[8:9]
	s_delay_alu instid0(VALU_DEP_3) | instskip(NEXT) | instid1(VALU_DEP_3)
	v_frexp_mant_f64_e32 v[12:13], v[4:5]
	v_cmp_class_f64_e64 s5, v[2:3], 0x204
	s_delay_alu instid0(VALU_DEP_3) | instskip(NEXT) | instid1(VALU_DEP_3)
	v_cmp_gt_f64_e64 s0, s[58:59], v[10:11]
	v_cmp_gt_f64_e64 s1, s[58:59], v[12:13]
	s_delay_alu instid0(VALU_DEP_2) | instskip(NEXT) | instid1(VALU_DEP_1)
	v_cndmask_b32_e64 v19, 0x3ff00000, 2.0, s0
	v_mul_f64 v[10:11], v[10:11], v[18:19]
	s_delay_alu instid0(VALU_DEP_3) | instskip(NEXT) | instid1(VALU_DEP_1)
	v_cndmask_b32_e64 v19, 0x3ff00000, 2.0, s1
	v_mul_f64 v[12:13], v[12:13], v[18:19]
	v_frexp_exp_i32_f64_e32 v19, v[8:9]
	s_delay_alu instid0(VALU_DEP_4) | instskip(SKIP_1) | instid1(VALU_DEP_4)
	v_add_f64 v[14:15], v[10:11], 1.0
	v_add_f64 v[46:47], v[10:11], -1.0
	v_add_f64 v[16:17], v[12:13], 1.0
	s_delay_alu instid0(VALU_DEP_3) | instskip(SKIP_1) | instid1(VALU_DEP_2)
	v_rcp_f64_e32 v[38:39], v[14:15]
	v_add_f64 v[54:55], v[14:15], -1.0
	v_rcp_f64_e32 v[40:41], v[16:17]
	v_add_f64 v[58:59], v[16:17], -1.0
	s_delay_alu instid0(VALU_DEP_2) | instskip(SKIP_3) | instid1(VALU_DEP_2)
	v_add_f64 v[10:11], v[10:11], -v[54:55]
	s_waitcnt_depctr 0xfff
	v_fma_f64 v[42:43], -v[14:15], v[38:39], 1.0
	v_fma_f64 v[44:45], -v[16:17], v[40:41], 1.0
	v_fma_f64 v[38:39], v[42:43], v[38:39], v[38:39]
	s_delay_alu instid0(VALU_DEP_2) | instskip(NEXT) | instid1(VALU_DEP_2)
	v_fma_f64 v[40:41], v[44:45], v[40:41], v[40:41]
	v_fma_f64 v[42:43], -v[14:15], v[38:39], 1.0
	s_delay_alu instid0(VALU_DEP_2) | instskip(NEXT) | instid1(VALU_DEP_2)
	v_fma_f64 v[44:45], -v[16:17], v[40:41], 1.0
	v_fma_f64 v[38:39], v[42:43], v[38:39], v[38:39]
	v_add_f64 v[42:43], v[12:13], -1.0
	v_add_f64 v[12:13], v[12:13], -v[58:59]
	s_delay_alu instid0(VALU_DEP_4) | instskip(SKIP_2) | instid1(VALU_DEP_3)
	v_fma_f64 v[40:41], v[44:45], v[40:41], v[40:41]
	v_add_f64 v[44:45], v[6:7], v[6:7]
	v_mul_f64 v[6:7], v[46:47], v[38:39]
	v_mul_f64 v[48:49], v[42:43], v[40:41]
	s_delay_alu instid0(VALU_DEP_3)
	v_max_f64 v[50:51], |v[2:3]|, |v[44:45]|
	v_min_f64 v[52:53], |v[2:3]|, |v[44:45]|
	v_cmp_eq_f64_e64 s2, 0, v[44:45]
	v_cmp_class_f64_e64 s4, v[44:45], 0x204
	v_mul_f64 v[56:57], v[14:15], v[6:7]
	v_mul_f64 v[60:61], v[16:17], v[48:49]
	v_div_scale_f64 v[62:63], null, v[50:51], v[50:51], v[52:53]
	v_div_scale_f64 v[68:69], vcc_lo, v[52:53], v[50:51], v[52:53]
	s_delay_alu instid0(VALU_DEP_4) | instskip(NEXT) | instid1(VALU_DEP_4)
	v_fma_f64 v[14:15], v[6:7], v[14:15], -v[56:57]
	v_fma_f64 v[16:17], v[48:49], v[16:17], -v[60:61]
	s_delay_alu instid0(VALU_DEP_4) | instskip(NEXT) | instid1(VALU_DEP_2)
	v_rcp_f64_e32 v[54:55], v[62:63]
	v_fma_f64 v[10:11], v[6:7], v[10:11], v[14:15]
	s_delay_alu instid0(VALU_DEP_2) | instskip(SKIP_4) | instid1(VALU_DEP_3)
	v_fma_f64 v[12:13], v[48:49], v[12:13], v[16:17]
	s_waitcnt_depctr 0xfff
	v_fma_f64 v[14:15], -v[62:63], v[54:55], 1.0
	v_add_f64 v[16:17], v[56:57], v[10:11]
	v_add_f64 v[58:59], v[60:61], v[12:13]
	v_fma_f64 v[14:15], v[54:55], v[14:15], v[54:55]
	s_delay_alu instid0(VALU_DEP_3) | instskip(SKIP_1) | instid1(VALU_DEP_4)
	v_add_f64 v[54:55], v[46:47], -v[16:17]
	v_add_f64 v[56:57], v[16:17], -v[56:57]
	;; [unrolled: 1-line block ×4, first 2 shown]
	v_fma_f64 v[66:67], -v[62:63], v[14:15], 1.0
	v_add_f64 v[46:47], v[46:47], -v[54:55]
	v_add_f64 v[10:11], v[56:57], -v[10:11]
	;; [unrolled: 1-line block ×4, first 2 shown]
	v_fma_f64 v[14:15], v[14:15], v[66:67], v[14:15]
	v_add_f64 v[16:17], v[46:47], -v[16:17]
	s_delay_alu instid0(VALU_DEP_4) | instskip(SKIP_1) | instid1(VALU_DEP_4)
	v_add_f64 v[42:43], v[42:43], -v[58:59]
	v_frexp_exp_i32_f64_e32 v58, v[4:5]
	v_mul_f64 v[46:47], v[68:69], v[14:15]
	s_delay_alu instid0(VALU_DEP_4) | instskip(NEXT) | instid1(VALU_DEP_4)
	v_add_f64 v[10:11], v[10:11], v[16:17]
	v_add_f64 v[12:13], v[12:13], v[42:43]
	s_delay_alu instid0(VALU_DEP_3) | instskip(NEXT) | instid1(VALU_DEP_3)
	v_fma_f64 v[16:17], -v[62:63], v[46:47], v[68:69]
	v_add_f64 v[10:11], v[54:55], v[10:11]
	s_delay_alu instid0(VALU_DEP_3) | instskip(NEXT) | instid1(VALU_DEP_3)
	v_add_f64 v[12:13], v[64:65], v[12:13]
	v_div_fmas_f64 v[14:15], v[16:17], v[14:15], v[46:47]
	v_subrev_co_ci_u32_e64 v19, vcc_lo, 0, v19, s0
	v_subrev_co_ci_u32_e64 v58, vcc_lo, 0, v58, s1
	v_cmp_lt_f64_e64 vcc_lo, |v[2:3]|, |v[44:45]|
	v_cmp_class_f64_e64 s0, v[4:5], 0x204
	v_cmp_gt_i32_e64 s1, 0, v3
	s_delay_alu instid0(VALU_DEP_4) | instskip(SKIP_3) | instid1(VALU_DEP_3)
	v_cvt_f64_i32_e32 v[58:59], v58
	v_mul_f64 v[10:11], v[38:39], v[10:11]
	v_mul_f64 v[12:13], v[40:41], v[12:13]
	v_div_fixup_f64 v[14:15], v[14:15], v[50:51], v[52:53]
	v_add_f64 v[16:17], v[6:7], v[10:11]
	s_delay_alu instid0(VALU_DEP_3) | instskip(NEXT) | instid1(VALU_DEP_3)
	v_add_f64 v[38:39], v[48:49], v[12:13]
	v_mul_f64 v[40:41], v[14:15], v[14:15]
	s_delay_alu instid0(VALU_DEP_3) | instskip(SKIP_1) | instid1(VALU_DEP_4)
	v_mul_f64 v[42:43], v[16:17], v[16:17]
	v_add_f64 v[6:7], v[16:17], -v[6:7]
	v_mul_f64 v[46:47], v[38:39], v[38:39]
	s_delay_alu instid0(VALU_DEP_4) | instskip(NEXT) | instid1(VALU_DEP_4)
	v_fma_f64 v[50:51], v[40:41], s[14:15], s[12:13]
	v_fma_f64 v[52:53], v[42:43], s[66:67], s[64:65]
	v_mul_f64 v[56:57], v[16:17], v[42:43]
	v_add_f64 v[6:7], v[10:11], -v[6:7]
	v_fma_f64 v[54:55], v[46:47], s[66:67], s[64:65]
	v_fma_f64 v[50:51], v[40:41], v[50:51], s[20:21]
	v_fma_f64 v[52:53], v[42:43], v[52:53], s[68:69]
	s_delay_alu instid0(VALU_DEP_4) | instskip(NEXT) | instid1(VALU_DEP_4)
	v_ldexp_f64 v[6:7], v[6:7], 1
	v_fma_f64 v[54:55], v[46:47], v[54:55], s[68:69]
	s_delay_alu instid0(VALU_DEP_4) | instskip(NEXT) | instid1(VALU_DEP_4)
	v_fma_f64 v[50:51], v[40:41], v[50:51], s[22:23]
	v_fma_f64 v[52:53], v[42:43], v[52:53], s[70:71]
	s_delay_alu instid0(VALU_DEP_3) | instskip(NEXT) | instid1(VALU_DEP_3)
	v_fma_f64 v[54:55], v[46:47], v[54:55], s[70:71]
	v_fma_f64 v[50:51], v[40:41], v[50:51], s[24:25]
	s_delay_alu instid0(VALU_DEP_3) | instskip(NEXT) | instid1(VALU_DEP_3)
	;; [unrolled: 3-line block ×4, first 2 shown]
	v_fma_f64 v[54:55], v[46:47], v[54:55], s[74:75]
	v_fma_f64 v[50:51], v[40:41], v[50:51], s[28:29]
	s_delay_alu instid0(VALU_DEP_3) | instskip(SKIP_1) | instid1(VALU_DEP_4)
	v_fma_f64 v[42:43], v[42:43], v[52:53], s[78:79]
	v_mul_f64 v[52:53], v[38:39], v[46:47]
	v_fma_f64 v[46:47], v[46:47], v[54:55], s[78:79]
	v_ldexp_f64 v[54:55], v[16:17], 1
	v_fma_f64 v[50:51], v[40:41], v[50:51], s[30:31]
	v_mul_f64 v[42:43], v[56:57], v[42:43]
	v_ldexp_f64 v[56:57], v[38:39], 1
	v_add_f64 v[38:39], v[38:39], -v[48:49]
	v_mul_f64 v[46:47], v[52:53], v[46:47]
	v_cvt_f64_i32_e32 v[52:53], v19
	v_fma_f64 v[50:51], v[40:41], v[50:51], s[34:35]
	v_add_f64 v[16:17], v[54:55], v[42:43]
	v_add_f64 v[12:13], v[12:13], -v[38:39]
	v_add_f64 v[48:49], v[56:57], v[46:47]
	v_mul_f64 v[60:61], v[52:53], s[60:61]
	v_fma_f64 v[50:51], v[40:41], v[50:51], s[36:37]
	v_add_f64 v[10:11], v[16:17], -v[54:55]
	v_mul_f64 v[54:55], v[58:59], s[60:61]
	v_ldexp_f64 v[12:13], v[12:13], 1
	v_add_f64 v[38:39], v[48:49], -v[56:57]
	v_fma_f64 v[56:57], v[52:53], s[60:61], -v[60:61]
	v_fma_f64 v[50:51], v[40:41], v[50:51], s[38:39]
	v_add_f64 v[10:11], v[42:43], -v[10:11]
	v_fma_f64 v[42:43], v[58:59], s[60:61], -v[54:55]
	v_add_f64 v[38:39], v[46:47], -v[38:39]
	s_delay_alu instid0(VALU_DEP_4)
	v_fma_f64 v[46:47], v[40:41], v[50:51], s[40:41]
	v_fma_f64 v[50:51], v[52:53], s[62:63], v[56:57]
	v_add_f64 v[6:7], v[6:7], v[10:11]
	v_fma_f64 v[10:11], v[58:59], s[62:63], v[42:43]
	v_add_f64 v[12:13], v[12:13], v[38:39]
	;; [unrolled: 2-line block ×3, first 2 shown]
	v_add_f64 v[46:47], v[16:17], v[6:7]
	v_add_f64 v[52:53], v[54:55], v[10:11]
	;; [unrolled: 1-line block ×3, first 2 shown]
	v_fma_f64 v[38:39], v[40:41], v[38:39], s[44:45]
	v_add_f64 v[60:61], v[42:43], -v[60:61]
	v_add_f64 v[58:59], v[42:43], v[46:47]
	v_add_f64 v[54:55], v[52:53], -v[54:55]
	v_add_f64 v[16:17], v[46:47], -v[16:17]
	v_add_f64 v[62:63], v[52:53], v[56:57]
	v_add_f64 v[48:49], v[56:57], -v[48:49]
	v_fma_f64 v[38:39], v[40:41], v[38:39], s[46:47]
	v_add_f64 v[50:51], v[50:51], -v[60:61]
	v_add_f64 v[64:65], v[58:59], -v[42:43]
	;; [unrolled: 1-line block ×6, first 2 shown]
	v_fma_f64 v[38:39], v[40:41], v[38:39], s[48:49]
	v_add_f64 v[68:69], v[58:59], -v[64:65]
	v_add_f64 v[16:17], v[46:47], -v[64:65]
	;; [unrolled: 1-line block ×4, first 2 shown]
	v_fma_f64 v[38:39], v[40:41], v[38:39], s[50:51]
	v_add_f64 v[42:43], v[42:43], -v[68:69]
	s_delay_alu instid0(VALU_DEP_4) | instskip(SKIP_1) | instid1(VALU_DEP_4)
	v_add_f64 v[48:49], v[52:53], -v[70:71]
	v_add_f64 v[52:53], v[50:51], v[6:7]
	v_fma_f64 v[38:39], v[40:41], v[38:39], s[52:53]
	s_delay_alu instid0(VALU_DEP_4)
	v_add_f64 v[16:17], v[16:17], v[42:43]
	v_add_f64 v[42:43], v[10:11], v[12:13]
	;; [unrolled: 1-line block ×3, first 2 shown]
	v_add_f64 v[48:49], v[52:53], -v[50:51]
	v_fma_f64 v[38:39], v[40:41], v[38:39], s[54:55]
	v_add_f64 v[16:17], v[52:53], v[16:17]
	v_add_f64 v[54:55], v[42:43], -v[10:11]
	v_add_f64 v[46:47], v[42:43], v[46:47]
	v_add_f64 v[52:53], v[52:53], -v[48:49]
	v_add_f64 v[6:7], v[6:7], -v[48:49]
	v_fma_f64 v[38:39], v[40:41], v[38:39], s[56:57]
	v_add_f64 v[56:57], v[58:59], v[16:17]
	v_add_f64 v[42:43], v[42:43], -v[54:55]
	v_add_f64 v[12:13], v[12:13], -v[54:55]
	v_add_f64 v[60:61], v[62:63], v[46:47]
	v_mul_f64 v[38:39], v[40:41], v[38:39]
	v_add_f64 v[40:41], v[50:51], -v[52:53]
	v_add_f64 v[48:49], v[56:57], -v[58:59]
	;; [unrolled: 1-line block ×4, first 2 shown]
	v_fma_f64 v[14:15], v[14:15], v[38:39], v[14:15]
	v_add_f64 v[6:7], v[6:7], v[40:41]
	v_add_f64 v[16:17], v[16:17], -v[48:49]
	v_add_f64 v[10:11], v[12:13], v[10:11]
	v_add_f64 v[12:13], v[46:47], -v[42:43]
	v_add_f64 v[38:39], -v[14:15], s[10:11]
	s_delay_alu instid0(VALU_DEP_4)
	v_add_f64 v[6:7], v[6:7], v[16:17]
	v_ashrrev_i32_e32 v16, 31, v3
	v_cndmask_b32_e64 v17, 0x54442d18, v36, s1
	v_add_f64 v[10:11], v[10:11], v[12:13]
	v_dual_cndmask_b32 v13, v15, v39 :: v_dual_cndmask_b32 v12, v14, v38
	v_cmp_class_f64_e64 vcc_lo, v[8:9], 0x204
	s_delay_alu instid0(VALU_DEP_2) | instskip(SKIP_2) | instid1(VALU_DEP_3)
	v_add_f64 v[14:15], -v[12:13], s[76:77]
	v_add_f64 v[6:7], v[56:57], v[6:7]
	v_add_f64 v[10:11], v[60:61], v[10:11]
	v_cndmask_b32_e64 v12, v12, v14, s1
	s_delay_alu instid0(VALU_DEP_3)
	v_dual_cndmask_b32 v6, v6, v8 :: v_dual_cndmask_b32 v7, v7, v9
	v_cmp_neq_f64_e32 vcc_lo, 0, v[8:9]
	v_and_b32_e32 v19, 0x54442d18, v16
	v_cndmask_b32_e64 v8, v10, v4, s0
	v_cndmask_b32_e64 v9, v11, v5, s0
	v_cmp_neq_f64_e64 s0, 0, v[4:5]
	v_cndmask_b32_e64 v4, 0x3fe921fb, v37, s1
	v_and_b32_e32 v5, 0x400921fb, v16
	v_cndmask_b32_e64 v10, v13, v15, s1
	v_cndmask_b32_e64 v11, v12, v19, s2
	s_and_b32 s1, s4, s5
	v_bfi_b32 v4, 0x7fffffff, v4, v45
	s_delay_alu instid0(VALU_DEP_3) | instskip(NEXT) | instid1(VALU_DEP_3)
	v_cndmask_b32_e64 v5, v10, v5, s2
	v_cndmask_b32_e64 v11, v11, v17, s1
	s_delay_alu instid0(VALU_DEP_2)
	v_cndmask_b32_e64 v10, v5, v4, s1
	v_cmp_o_f64_e64 s1, v[2:3], v[44:45]
	v_cndmask_b32_e32 v2, 0, v6, vcc_lo
	v_cndmask_b32_e32 v3, 0xfff00000, v7, vcc_lo
	v_cndmask_b32_e64 v5, 0xfff00000, v9, s0
	v_cndmask_b32_e64 v4, 0, v8, s0
	s_delay_alu instid0(VALU_DEP_1) | instskip(SKIP_2) | instid1(VALU_DEP_2)
	v_add_f64 v[2:3], v[2:3], -v[4:5]
	v_cndmask_b32_e64 v5, 0x7ff80000, v10, s1
	v_cndmask_b32_e64 v4, 0, v11, s1
	v_bfi_b32 v5, 0x7fffffff, v5, v45
	s_delay_alu instid0(VALU_DEP_1) | instskip(SKIP_1) | instid1(VALU_DEP_1)
	v_mul_f64 v[4:5], v[4:5], 0.5
	v_ldexp_f64 v[6:7], v[2:3], -2
	v_fma_f64 v[2:3], 0x80000000, v[6:7], v[4:5]
	v_fma_f64 v[4:5], 0x80000000, v[4:5], -v[6:7]
	v_add_co_u32 v6, vcc_lo, v30, s16
	v_add_co_ci_u32_e32 v7, vcc_lo, s17, v31, vcc_lo
	global_store_b128 v[6:7], v[2:5], off offset:-8
	s_branch .LBB68_8
.LBB68_25:
	s_nop 0
	s_sendmsg sendmsg(MSG_DEALLOC_VGPRS)
	s_endpgm
	.section	.rodata,"a",@progbits
	.p2align	6, 0x0
	.amdhsa_kernel _ZN2at6native12_GLOBAL__N_125multi_tensor_apply_kernelINS1_18TensorListMetadataILi2EEENS1_14UnaryOpFunctorIN3c107complexIdEELi2ELi1ELi1EEEJNS0_4AtanIS8_EEEEEvT_T0_DpT1_
		.amdhsa_group_segment_fixed_size 0
		.amdhsa_private_segment_fixed_size 0
		.amdhsa_kernarg_size 3408
		.amdhsa_user_sgpr_count 15
		.amdhsa_user_sgpr_dispatch_ptr 0
		.amdhsa_user_sgpr_queue_ptr 0
		.amdhsa_user_sgpr_kernarg_segment_ptr 1
		.amdhsa_user_sgpr_dispatch_id 0
		.amdhsa_user_sgpr_private_segment_size 0
		.amdhsa_wavefront_size32 1
		.amdhsa_uses_dynamic_stack 0
		.amdhsa_enable_private_segment 0
		.amdhsa_system_sgpr_workgroup_id_x 1
		.amdhsa_system_sgpr_workgroup_id_y 0
		.amdhsa_system_sgpr_workgroup_id_z 0
		.amdhsa_system_sgpr_workgroup_info 0
		.amdhsa_system_vgpr_workitem_id 0
		.amdhsa_next_free_vgpr 193
		.amdhsa_next_free_sgpr 103
		.amdhsa_reserve_vcc 1
		.amdhsa_float_round_mode_32 0
		.amdhsa_float_round_mode_16_64 0
		.amdhsa_float_denorm_mode_32 3
		.amdhsa_float_denorm_mode_16_64 3
		.amdhsa_dx10_clamp 1
		.amdhsa_ieee_mode 1
		.amdhsa_fp16_overflow 0
		.amdhsa_workgroup_processor_mode 1
		.amdhsa_memory_ordered 1
		.amdhsa_forward_progress 0
		.amdhsa_shared_vgpr_count 0
		.amdhsa_exception_fp_ieee_invalid_op 0
		.amdhsa_exception_fp_denorm_src 0
		.amdhsa_exception_fp_ieee_div_zero 0
		.amdhsa_exception_fp_ieee_overflow 0
		.amdhsa_exception_fp_ieee_underflow 0
		.amdhsa_exception_fp_ieee_inexact 0
		.amdhsa_exception_int_div_zero 0
	.end_amdhsa_kernel
	.section	.text._ZN2at6native12_GLOBAL__N_125multi_tensor_apply_kernelINS1_18TensorListMetadataILi2EEENS1_14UnaryOpFunctorIN3c107complexIdEELi2ELi1ELi1EEEJNS0_4AtanIS8_EEEEEvT_T0_DpT1_,"axG",@progbits,_ZN2at6native12_GLOBAL__N_125multi_tensor_apply_kernelINS1_18TensorListMetadataILi2EEENS1_14UnaryOpFunctorIN3c107complexIdEELi2ELi1ELi1EEEJNS0_4AtanIS8_EEEEEvT_T0_DpT1_,comdat
.Lfunc_end68:
	.size	_ZN2at6native12_GLOBAL__N_125multi_tensor_apply_kernelINS1_18TensorListMetadataILi2EEENS1_14UnaryOpFunctorIN3c107complexIdEELi2ELi1ELi1EEEJNS0_4AtanIS8_EEEEEvT_T0_DpT1_, .Lfunc_end68-_ZN2at6native12_GLOBAL__N_125multi_tensor_apply_kernelINS1_18TensorListMetadataILi2EEENS1_14UnaryOpFunctorIN3c107complexIdEELi2ELi1ELi1EEEJNS0_4AtanIS8_EEEEEvT_T0_DpT1_
                                        ; -- End function
	.section	.AMDGPU.csdata,"",@progbits
; Kernel info:
; codeLenInByte = 18592
; NumSgprs: 105
; NumVgprs: 193
; ScratchSize: 0
; MemoryBound: 1
; FloatMode: 240
; IeeeMode: 1
; LDSByteSize: 0 bytes/workgroup (compile time only)
; SGPRBlocks: 13
; VGPRBlocks: 24
; NumSGPRsForWavesPerEU: 105
; NumVGPRsForWavesPerEU: 193
; Occupancy: 7
; WaveLimiterHint : 0
; COMPUTE_PGM_RSRC2:SCRATCH_EN: 0
; COMPUTE_PGM_RSRC2:USER_SGPR: 15
; COMPUTE_PGM_RSRC2:TRAP_HANDLER: 0
; COMPUTE_PGM_RSRC2:TGID_X_EN: 1
; COMPUTE_PGM_RSRC2:TGID_Y_EN: 0
; COMPUTE_PGM_RSRC2:TGID_Z_EN: 0
; COMPUTE_PGM_RSRC2:TIDIG_COMP_CNT: 0
	.section	.text._ZN2at6native12_GLOBAL__N_125multi_tensor_apply_kernelINS1_18TensorListMetadataILi2EEENS1_14UnaryOpFunctorIN3c107complexIfEELi2ELi1ELi1EEEJNS0_4AtanIS8_EEEEEvT_T0_DpT1_,"axG",@progbits,_ZN2at6native12_GLOBAL__N_125multi_tensor_apply_kernelINS1_18TensorListMetadataILi2EEENS1_14UnaryOpFunctorIN3c107complexIfEELi2ELi1ELi1EEEJNS0_4AtanIS8_EEEEEvT_T0_DpT1_,comdat
	.globl	_ZN2at6native12_GLOBAL__N_125multi_tensor_apply_kernelINS1_18TensorListMetadataILi2EEENS1_14UnaryOpFunctorIN3c107complexIfEELi2ELi1ELi1EEEJNS0_4AtanIS8_EEEEEvT_T0_DpT1_ ; -- Begin function _ZN2at6native12_GLOBAL__N_125multi_tensor_apply_kernelINS1_18TensorListMetadataILi2EEENS1_14UnaryOpFunctorIN3c107complexIfEELi2ELi1ELi1EEEJNS0_4AtanIS8_EEEEEvT_T0_DpT1_
	.p2align	8
	.type	_ZN2at6native12_GLOBAL__N_125multi_tensor_apply_kernelINS1_18TensorListMetadataILi2EEENS1_14UnaryOpFunctorIN3c107complexIfEELi2ELi1ELi1EEEJNS0_4AtanIS8_EEEEEvT_T0_DpT1_,@function
_ZN2at6native12_GLOBAL__N_125multi_tensor_apply_kernelINS1_18TensorListMetadataILi2EEENS1_14UnaryOpFunctorIN3c107complexIfEELi2ELi1ELi1EEEJNS0_4AtanIS8_EEEEEvT_T0_DpT1_: ; @_ZN2at6native12_GLOBAL__N_125multi_tensor_apply_kernelINS1_18TensorListMetadataILi2EEENS1_14UnaryOpFunctorIN3c107complexIfEELi2ELi1ELi1EEEJNS0_4AtanIS8_EEEEEvT_T0_DpT1_
; %bb.0:
	v_mov_b32_e32 v1, s15
	s_add_u32 s2, s0, s15
	s_mul_hi_u32 s3, s15, 3
	s_mul_i32 s15, s15, 3
	s_addc_u32 s4, s1, 0
	global_load_u8 v1, v1, s[0:1] offset:1536
	s_add_u32 s2, s2, s15
	s_addc_u32 s3, s4, s3
	s_mov_b32 s11, 0
	s_load_b32 s2, s[2:3], 0x740
	s_mov_b32 s13, s11
	s_mov_b32 s15, s11
	s_waitcnt vmcnt(0)
	v_readfirstlane_b32 s5, v1
	s_delay_alu instid0(VALU_DEP_1)
	s_lshl_b32 s3, s5, 3
	s_clause 0x2
	s_load_b64 s[20:21], s[0:1], s3 offset:0x0
	s_load_b64 s[4:5], s[0:1], s3 offset:0x200
	;; [unrolled: 1-line block ×3, first 2 shown]
	s_waitcnt lgkmcnt(0)
	s_ashr_i32 s3, s2, 31
	s_delay_alu instid0(SALU_CYCLE_1) | instskip(NEXT) | instid1(SALU_CYCLE_1)
	s_lshl_b64 s[6:7], s[2:3], 19
	s_add_u32 s18, s20, s6
	s_addc_u32 s19, s21, s7
	s_add_u32 s22, s4, s6
	s_addc_u32 s23, s5, s7
	s_and_b32 s12, s18, 31
	s_and_b32 s14, s8, 3
	;; [unrolled: 1-line block ×3, first 2 shown]
	s_or_b64 s[12:13], s[12:13], s[14:15]
	s_lshl_b64 s[2:3], s[2:3], 16
	s_or_b64 s[10:11], s[10:11], s[12:13]
	s_sub_u32 s8, s8, s2
	s_subb_u32 s9, s9, s3
	s_cmp_eq_u64 s[10:11], 0
	s_mov_b32 s2, -1
	s_cbranch_scc0 .LBB69_213
; %bb.1:
	v_dual_mov_b32 v2, 0 :: v_dual_lshlrev_b32 v1, 2, v0
	s_mov_b32 s24, exec_lo
	s_delay_alu instid0(VALU_DEP_1)
	v_cmpx_gt_i64_e64 s[8:9], v[1:2]
	s_cbranch_execz .LBB69_212
; %bb.2:
	s_mov_b64 s[12:13], src_private_base
	s_mov_b32 s12, 8
	v_dual_mov_b32 v1, v2 :: v_dual_mov_b32 v14, s13
	v_mov_b32_e32 v19, 0x248d3132
	v_dual_mov_b32 v13, s12 :: v_dual_mov_b32 v20, 0xd800000
	s_delay_alu instid0(VALU_DEP_3)
	v_dual_mov_b32 v16, v1 :: v_dual_mov_b32 v21, 0x4016cbe4
	v_mov_b32_e32 v15, v0
	s_add_u32 s10, s0, 0xc50
	s_addc_u32 s11, s1, 0
	s_mov_b32 s14, 0
	s_mov_b32 s15, s13
	;; [unrolled: 1-line block ×7, first 2 shown]
	s_branch .LBB69_4
.LBB69_3:                               ;   in Loop: Header=BB69_4 Depth=1
	s_or_b32 exec_lo, exec_lo, s2
	s_waitcnt lgkmcnt(0)
	v_add_co_u32 v1, vcc_lo, s22, v17
	v_add_co_ci_u32_e32 v2, vcc_lo, s23, v18, vcc_lo
	s_clause 0x1
	global_store_b128 v[1:2], v[5:8], off
	global_store_b128 v[1:2], v[9:12], off offset:16
	s_load_b32 s2, s[10:11], 0xc
	s_waitcnt lgkmcnt(0)
	s_and_b32 s2, s2, 0xffff
	s_delay_alu instid0(SALU_CYCLE_1) | instskip(SKIP_1) | instid1(VALU_DEP_1)
	v_add_co_u32 v15, vcc_lo, v15, s2
	v_add_co_ci_u32_e32 v16, vcc_lo, 0, v16, vcc_lo
	v_lshlrev_b64 v[1:2], 2, v[15:16]
	s_delay_alu instid0(VALU_DEP_1) | instskip(SKIP_1) | instid1(VALU_DEP_1)
	v_cmp_le_i64_e32 vcc_lo, s[8:9], v[1:2]
	v_cmp_lt_u64_e64 s2, 0xffff, v[1:2]
	s_or_b32 s2, vcc_lo, s2
	s_delay_alu instid0(SALU_CYCLE_1) | instskip(NEXT) | instid1(SALU_CYCLE_1)
	s_and_b32 s2, exec_lo, s2
	s_or_b32 s25, s2, s25
	s_delay_alu instid0(SALU_CYCLE_1)
	s_and_not1_b32 exec_lo, exec_lo, s25
	s_cbranch_execz .LBB69_212
.LBB69_4:                               ; =>This Inner Loop Header: Depth=1
	v_lshlrev_b64 v[17:18], 5, v[15:16]
                                        ; implicit-def: $vgpr5
	s_delay_alu instid0(VALU_DEP_1) | instskip(NEXT) | instid1(VALU_DEP_2)
	v_add_co_u32 v1, vcc_lo, s18, v17
	v_add_co_ci_u32_e32 v2, vcc_lo, s19, v18, vcc_lo
	s_clause 0x1
	global_load_b128 v[9:12], v[1:2], off
	global_load_b128 v[1:4], v[1:2], off offset:16
	flat_store_b32 v[13:14], v19 dlc
	s_waitcnt_vscnt null, 0x0
	s_waitcnt vmcnt(1)
	v_cmp_neq_f32_e32 vcc_lo, 0, v9
	v_cmp_nle_f32_e64 s2, |v10|, 1.0
	s_delay_alu instid0(VALU_DEP_1) | instskip(NEXT) | instid1(SALU_CYCLE_1)
	s_or_b32 s2, vcc_lo, s2
	s_and_saveexec_b32 s3, s2
	s_delay_alu instid0(SALU_CYCLE_1)
	s_xor_b32 s28, exec_lo, s3
	s_cbranch_execz .LBB69_54
; %bb.5:                                ;   in Loop: Header=BB69_4 Depth=1
                                        ; implicit-def: $vgpr5
	s_mov_b32 s2, exec_lo
	v_cmpx_neq_f32_e32 0, v10
	s_xor_b32 s29, exec_lo, s2
	s_cbranch_execz .LBB69_51
; %bb.6:                                ;   in Loop: Header=BB69_4 Depth=1
	v_cmp_o_f32_e32 vcc_lo, v10, v10
	v_cmp_o_f32_e64 s2, v9, v9
                                        ; implicit-def: $vgpr5
	s_delay_alu instid0(VALU_DEP_1) | instskip(NEXT) | instid1(SALU_CYCLE_1)
	s_and_b32 s2, vcc_lo, s2
	s_and_saveexec_b32 s3, s2
	s_delay_alu instid0(SALU_CYCLE_1)
	s_xor_b32 s30, exec_lo, s3
	s_cbranch_execz .LBB69_40
; %bb.7:                                ;   in Loop: Header=BB69_4 Depth=1
	v_max_f32_e64 v5, |v10|, |v10|
	v_max_f32_e64 v6, |v9|, |v9|
	s_delay_alu instid0(VALU_DEP_1) | instskip(NEXT) | instid1(VALU_DEP_1)
	v_max_f32_e32 v5, v6, v5
	v_cmp_nlt_f32_e32 vcc_lo, 0x4b000000, v5
                                        ; implicit-def: $vgpr5
	s_and_saveexec_b32 s2, vcc_lo
	s_delay_alu instid0(SALU_CYCLE_1)
	s_xor_b32 s31, exec_lo, s2
	s_cbranch_execz .LBB69_25
; %bb.8:                                ;   in Loop: Header=BB69_4 Depth=1
	v_cmp_ngt_f32_e64 s2, 0x399cc471, |v10|
	v_cmp_ngt_f32_e64 s3, 0x399cc471, |v9|
                                        ; implicit-def: $vgpr5
	s_delay_alu instid0(VALU_DEP_1) | instskip(NEXT) | instid1(SALU_CYCLE_1)
	s_or_b32 s2, s3, s2
	s_and_saveexec_b32 s3, s2
	s_delay_alu instid0(SALU_CYCLE_1)
	s_xor_b32 s33, exec_lo, s3
	s_cbranch_execz .LBB69_22
; %bb.9:                                ;   in Loop: Header=BB69_4 Depth=1
	v_cmp_neq_f32_e64 s3, |v10|, 1.0
	v_cmp_ngt_f32_e64 s2, 0x34000000, |v9|
                                        ; implicit-def: $vgpr5
	s_delay_alu instid0(VALU_DEP_1) | instskip(NEXT) | instid1(SALU_CYCLE_1)
	s_or_b32 s34, s2, s3
	s_and_saveexec_b32 s35, s34
	s_delay_alu instid0(SALU_CYCLE_1)
	s_xor_b32 s34, exec_lo, s35
	s_cbranch_execz .LBB69_11
; %bb.10:                               ;   in Loop: Header=BB69_4 Depth=1
	v_add_f32_e64 v5, |v10|, -1.0
	v_cmp_gt_f32_e64 vcc_lo, 0x20000000, |v9|
	v_mul_f32_e64 v8, |v10|, 4.0
	s_delay_alu instid0(VALU_DEP_3) | instskip(NEXT) | instid1(VALU_DEP_1)
	v_mul_f32_e32 v5, v5, v5
	v_fma_f32 v7, v9, v9, v5
	s_delay_alu instid0(VALU_DEP_1) | instskip(NEXT) | instid1(VALU_DEP_1)
	v_cndmask_b32_e32 v5, v7, v5, vcc_lo
	v_div_scale_f32 v7, null, v5, v5, v8
	v_div_scale_f32 v24, vcc_lo, v8, v5, v8
	s_delay_alu instid0(VALU_DEP_2) | instskip(SKIP_2) | instid1(VALU_DEP_1)
	v_rcp_f32_e32 v22, v7
	s_waitcnt_depctr 0xfff
	v_fma_f32 v23, -v7, v22, 1.0
	v_fmac_f32_e32 v22, v23, v22
	s_delay_alu instid0(VALU_DEP_1) | instskip(NEXT) | instid1(VALU_DEP_1)
	v_mul_f32_e32 v23, v24, v22
	v_fma_f32 v25, -v7, v23, v24
	s_delay_alu instid0(VALU_DEP_1) | instskip(NEXT) | instid1(VALU_DEP_1)
	v_fmac_f32_e32 v23, v25, v22
	v_fma_f32 v7, -v7, v23, v24
	s_delay_alu instid0(VALU_DEP_1) | instskip(NEXT) | instid1(VALU_DEP_1)
	v_div_fmas_f32 v7, v7, v22, v23
	v_div_fixup_f32 v5, v7, v5, v8
	s_delay_alu instid0(VALU_DEP_1) | instskip(NEXT) | instid1(VALU_DEP_1)
	v_add_f32_e32 v22, 1.0, v5
	v_cvt_f64_f32_e32 v[7:8], v22
	s_delay_alu instid0(VALU_DEP_1) | instskip(SKIP_1) | instid1(VALU_DEP_1)
	v_frexp_exp_i32_f64_e32 v7, v[7:8]
	v_frexp_mant_f32_e32 v8, v22
	v_cmp_gt_f32_e32 vcc_lo, 0x3f2aaaab, v8
	v_add_f32_e32 v8, -1.0, v22
	s_delay_alu instid0(VALU_DEP_1) | instskip(NEXT) | instid1(VALU_DEP_1)
	v_sub_f32_e32 v24, v8, v22
	v_add_f32_e32 v24, 1.0, v24
	v_subrev_co_ci_u32_e32 v7, vcc_lo, 0, v7, vcc_lo
	v_cmp_eq_f32_e32 vcc_lo, 0x7f800000, v5
	s_delay_alu instid0(VALU_DEP_2) | instskip(SKIP_1) | instid1(VALU_DEP_2)
	v_sub_nc_u32_e32 v23, 0, v7
	v_cvt_f32_i32_e32 v7, v7
	v_ldexp_f32 v22, v22, v23
	s_delay_alu instid0(VALU_DEP_1) | instskip(NEXT) | instid1(VALU_DEP_1)
	v_dual_sub_f32 v8, v5, v8 :: v_dual_add_f32 v25, 1.0, v22
	v_add_f32_e32 v8, v8, v24
	s_delay_alu instid0(VALU_DEP_2) | instskip(NEXT) | instid1(VALU_DEP_2)
	v_add_f32_e32 v24, -1.0, v25
	v_ldexp_f32 v8, v8, v23
	s_delay_alu instid0(VALU_DEP_2) | instskip(NEXT) | instid1(VALU_DEP_1)
	v_dual_add_f32 v23, -1.0, v22 :: v_dual_sub_f32 v24, v22, v24
	v_add_f32_e32 v26, 1.0, v23
	s_delay_alu instid0(VALU_DEP_2) | instskip(NEXT) | instid1(VALU_DEP_2)
	v_add_f32_e32 v24, v8, v24
	v_sub_f32_e32 v22, v22, v26
	s_delay_alu instid0(VALU_DEP_1) | instskip(NEXT) | instid1(VALU_DEP_1)
	v_add_f32_e32 v8, v8, v22
	v_add_f32_e32 v27, v23, v8
	s_delay_alu instid0(VALU_DEP_1) | instskip(NEXT) | instid1(VALU_DEP_1)
	v_dual_add_f32 v26, v25, v24 :: v_dual_sub_f32 v23, v27, v23
	v_rcp_f32_e32 v22, v26
	v_sub_f32_e32 v25, v26, v25
	s_delay_alu instid0(VALU_DEP_1) | instskip(SKIP_2) | instid1(VALU_DEP_1)
	v_sub_f32_e32 v24, v24, v25
	s_waitcnt_depctr 0xfff
	v_mul_f32_e32 v28, v27, v22
	v_mul_f32_e32 v29, v26, v28
	s_delay_alu instid0(VALU_DEP_1) | instskip(NEXT) | instid1(VALU_DEP_1)
	v_fma_f32 v25, v28, v26, -v29
	v_fmac_f32_e32 v25, v28, v24
	v_sub_f32_e32 v8, v8, v23
	s_delay_alu instid0(VALU_DEP_2) | instskip(NEXT) | instid1(VALU_DEP_1)
	v_add_f32_e32 v30, v29, v25
	v_sub_f32_e32 v31, v27, v30
	v_sub_f32_e32 v23, v30, v29
	s_delay_alu instid0(VALU_DEP_2) | instskip(NEXT) | instid1(VALU_DEP_2)
	v_sub_f32_e32 v27, v27, v31
	v_sub_f32_e32 v23, v23, v25
	s_delay_alu instid0(VALU_DEP_2) | instskip(NEXT) | instid1(VALU_DEP_1)
	v_sub_f32_e32 v27, v27, v30
	v_add_f32_e32 v8, v8, v27
	s_delay_alu instid0(VALU_DEP_1) | instskip(NEXT) | instid1(VALU_DEP_1)
	v_add_f32_e32 v8, v23, v8
	v_add_f32_e32 v23, v31, v8
	s_delay_alu instid0(VALU_DEP_1) | instskip(NEXT) | instid1(VALU_DEP_1)
	v_mul_f32_e32 v25, v22, v23
	v_dual_sub_f32 v30, v31, v23 :: v_dual_mul_f32 v27, v26, v25
	s_delay_alu instid0(VALU_DEP_1) | instskip(NEXT) | instid1(VALU_DEP_1)
	v_fma_f32 v26, v25, v26, -v27
	v_fmac_f32_e32 v26, v25, v24
	s_delay_alu instid0(VALU_DEP_1) | instskip(NEXT) | instid1(VALU_DEP_1)
	v_add_f32_e32 v24, v27, v26
	v_sub_f32_e32 v27, v24, v27
	v_dual_sub_f32 v29, v23, v24 :: v_dual_add_f32 v8, v8, v30
	s_delay_alu instid0(VALU_DEP_1) | instskip(NEXT) | instid1(VALU_DEP_1)
	v_sub_f32_e32 v23, v23, v29
	v_sub_f32_e32 v23, v23, v24
	s_delay_alu instid0(VALU_DEP_4) | instskip(NEXT) | instid1(VALU_DEP_2)
	v_sub_f32_e32 v24, v27, v26
	v_add_f32_e32 v8, v8, v23
	v_add_f32_e32 v23, v28, v25
	s_delay_alu instid0(VALU_DEP_2) | instskip(NEXT) | instid1(VALU_DEP_2)
	v_add_f32_e32 v8, v24, v8
	v_sub_f32_e32 v24, v23, v28
	s_delay_alu instid0(VALU_DEP_2) | instskip(NEXT) | instid1(VALU_DEP_2)
	v_add_f32_e32 v8, v29, v8
	v_sub_f32_e32 v24, v25, v24
	s_delay_alu instid0(VALU_DEP_2) | instskip(NEXT) | instid1(VALU_DEP_1)
	v_mul_f32_e32 v8, v22, v8
	v_add_f32_e32 v8, v24, v8
	s_delay_alu instid0(VALU_DEP_1) | instskip(NEXT) | instid1(VALU_DEP_1)
	v_add_f32_e32 v22, v23, v8
	v_mul_f32_e32 v24, v22, v22
	s_delay_alu instid0(VALU_DEP_1) | instskip(SKIP_1) | instid1(VALU_DEP_2)
	v_fmaak_f32 v25, s26, v24, 0x3ecc95a3
	v_mul_f32_e32 v26, v22, v24
	v_fmaak_f32 v24, v24, v25, 0x3f2aaada
	v_ldexp_f32 v25, v22, 1
	v_sub_f32_e32 v22, v22, v23
	s_delay_alu instid0(VALU_DEP_3) | instskip(SKIP_1) | instid1(VALU_DEP_2)
	v_mul_f32_e32 v24, v26, v24
	v_mul_f32_e32 v26, 0x3f317218, v7
	v_dual_sub_f32 v8, v8, v22 :: v_dual_add_f32 v23, v25, v24
	s_delay_alu instid0(VALU_DEP_1) | instskip(NEXT) | instid1(VALU_DEP_2)
	v_ldexp_f32 v8, v8, 1
	v_sub_f32_e32 v22, v23, v25
	s_delay_alu instid0(VALU_DEP_4) | instskip(NEXT) | instid1(VALU_DEP_1)
	v_fma_f32 v25, 0x3f317218, v7, -v26
	v_dual_sub_f32 v22, v24, v22 :: v_dual_fmac_f32 v25, 0xb102e308, v7
	s_delay_alu instid0(VALU_DEP_1) | instskip(NEXT) | instid1(VALU_DEP_1)
	v_dual_add_f32 v7, v8, v22 :: v_dual_add_f32 v8, v26, v25
	v_add_f32_e32 v22, v23, v7
	s_delay_alu instid0(VALU_DEP_2) | instskip(NEXT) | instid1(VALU_DEP_2)
	v_sub_f32_e32 v26, v8, v26
	v_dual_add_f32 v24, v8, v22 :: v_dual_sub_f32 v23, v22, v23
	s_delay_alu instid0(VALU_DEP_2) | instskip(NEXT) | instid1(VALU_DEP_2)
	v_sub_f32_e32 v25, v25, v26
	v_sub_f32_e32 v27, v24, v8
	s_delay_alu instid0(VALU_DEP_3) | instskip(NEXT) | instid1(VALU_DEP_2)
	v_sub_f32_e32 v7, v7, v23
	v_sub_f32_e32 v28, v24, v27
	;; [unrolled: 1-line block ×3, first 2 shown]
	s_delay_alu instid0(VALU_DEP_2) | instskip(NEXT) | instid1(VALU_DEP_1)
	v_dual_add_f32 v23, v25, v7 :: v_dual_sub_f32 v8, v8, v28
	v_add_f32_e32 v8, v22, v8
	s_delay_alu instid0(VALU_DEP_2) | instskip(NEXT) | instid1(VALU_DEP_2)
	v_sub_f32_e32 v22, v23, v25
	v_add_f32_e32 v8, v23, v8
	s_delay_alu instid0(VALU_DEP_2) | instskip(NEXT) | instid1(VALU_DEP_2)
	v_sub_f32_e32 v23, v23, v22
	v_dual_sub_f32 v7, v7, v22 :: v_dual_add_f32 v26, v24, v8
	s_delay_alu instid0(VALU_DEP_1) | instskip(NEXT) | instid1(VALU_DEP_1)
	v_dual_sub_f32 v23, v25, v23 :: v_dual_sub_f32 v22, v26, v24
	v_dual_add_f32 v7, v7, v23 :: v_dual_sub_f32 v8, v8, v22
	s_delay_alu instid0(VALU_DEP_1) | instskip(NEXT) | instid1(VALU_DEP_1)
	v_add_f32_e32 v7, v7, v8
	v_add_f32_e32 v7, v26, v7
	s_delay_alu instid0(VALU_DEP_1) | instskip(SKIP_1) | instid1(VALU_DEP_2)
	v_cndmask_b32_e32 v7, v7, v5, vcc_lo
	v_cmp_ngt_f32_e32 vcc_lo, -1.0, v5
	v_cndmask_b32_e32 v7, 0x7fc00000, v7, vcc_lo
	v_cmp_neq_f32_e32 vcc_lo, -1.0, v5
	s_delay_alu instid0(VALU_DEP_2) | instskip(SKIP_1) | instid1(VALU_DEP_2)
	v_cndmask_b32_e32 v7, 0xff800000, v7, vcc_lo
	v_cmp_gt_f32_e64 vcc_lo, 0x33800000, |v5|
	v_cndmask_b32_e32 v5, v7, v5, vcc_lo
	s_delay_alu instid0(VALU_DEP_1)
	v_mul_f32_e32 v5, 0x3e800000, v5
	s_and_not1_saveexec_b32 s34, s34
	s_cbranch_execz .LBB69_13
	s_branch .LBB69_12
.LBB69_11:                              ;   in Loop: Header=BB69_4 Depth=1
	s_and_not1_saveexec_b32 s34, s34
	s_cbranch_execz .LBB69_13
.LBB69_12:                              ;   in Loop: Header=BB69_4 Depth=1
	v_cmp_gt_f32_e64 s35, 0x800000, |v9|
	s_delay_alu instid0(VALU_DEP_1) | instskip(NEXT) | instid1(VALU_DEP_1)
	v_cndmask_b32_e64 v5, 1.0, 0x4f800000, s35
	v_mul_f32_e64 v5, |v9|, v5
	s_delay_alu instid0(VALU_DEP_1) | instskip(SKIP_3) | instid1(VALU_DEP_2)
	v_log_f32_e32 v5, v5
	s_waitcnt_depctr 0xfff
	v_mul_f32_e32 v7, 0x3f317217, v5
	v_cmp_gt_f32_e64 vcc_lo, 0x7f800000, |v5|
	v_fma_f32 v8, 0x3f317217, v5, -v7
	s_delay_alu instid0(VALU_DEP_1) | instskip(NEXT) | instid1(VALU_DEP_1)
	v_fmac_f32_e32 v8, 0x3377d1cf, v5
	v_add_f32_e32 v7, v7, v8
	s_delay_alu instid0(VALU_DEP_1) | instskip(SKIP_1) | instid1(VALU_DEP_1)
	v_cndmask_b32_e32 v5, v5, v7, vcc_lo
	v_cndmask_b32_e64 v7, 0, 0x41b17218, s35
	v_sub_f32_e32 v5, v5, v7
	s_delay_alu instid0(VALU_DEP_1) | instskip(NEXT) | instid1(VALU_DEP_1)
	v_sub_f32_e32 v5, 0x3f317218, v5
	v_mul_f32_e32 v5, 0.5, v5
.LBB69_13:                              ;   in Loop: Header=BB69_4 Depth=1
	s_or_b32 exec_lo, exec_lo, s34
                                        ; implicit-def: $vgpr8
	s_and_saveexec_b32 s34, s3
	s_delay_alu instid0(SALU_CYCLE_1)
	s_xor_b32 s34, exec_lo, s34
	s_cbranch_execz .LBB69_19
; %bb.14:                               ;   in Loop: Header=BB69_4 Depth=1
	v_sub_f32_e64 v7, 1.0, |v10|
	v_add_f32_e64 v8, |v10|, 1.0
	v_add_f32_e64 v6, |v9|, |v9|
	s_delay_alu instid0(VALU_DEP_2) | instskip(SKIP_1) | instid1(SALU_CYCLE_1)
	v_mul_f32_e32 v7, v7, v8
                                        ; implicit-def: $vgpr8
	s_and_saveexec_b32 s3, s2
	s_xor_b32 s3, exec_lo, s3
	s_cbranch_execz .LBB69_16
; %bb.15:                               ;   in Loop: Header=BB69_4 Depth=1
	s_delay_alu instid0(VALU_DEP_1) | instskip(SKIP_3) | instid1(VALU_DEP_4)
	v_fma_f32 v7, -v9, v9, v7
	v_max_f32_e64 v8, |v6|, |v6|
	v_cmp_eq_f32_e64 s2, 0, v6
	v_cmp_class_f32_e64 s35, v6, 0x204
	v_cmp_gt_f32_e64 vcc_lo, |v6|, |v7|
	s_delay_alu instid0(VALU_DEP_4) | instskip(SKIP_2) | instid1(VALU_DEP_3)
	v_max_f32_e64 v22, |v7|, v8
	v_min_f32_e64 v8, |v7|, v8
	v_cmp_class_f32_e64 s36, v7, 0x204
	v_frexp_mant_f32_e32 v23, v22
	v_frexp_exp_i32_f32_e32 v22, v22
	s_delay_alu instid0(VALU_DEP_4) | instskip(SKIP_1) | instid1(VALU_DEP_4)
	v_frexp_exp_i32_f32_e32 v24, v8
	v_frexp_mant_f32_e32 v8, v8
	v_rcp_f32_e32 v23, v23
	s_delay_alu instid0(VALU_DEP_2) | instskip(SKIP_2) | instid1(VALU_DEP_1)
	v_sub_nc_u32_e32 v22, v24, v22
	s_waitcnt_depctr 0xfff
	v_mul_f32_e32 v8, v8, v23
	v_ldexp_f32 v8, v8, v22
	s_delay_alu instid0(VALU_DEP_1) | instskip(NEXT) | instid1(VALU_DEP_1)
	v_mul_f32_e32 v22, v8, v8
	v_fmaak_f32 v23, s27, v22, 0xbc7a590c
	s_delay_alu instid0(VALU_DEP_1) | instskip(NEXT) | instid1(VALU_DEP_1)
	v_fmaak_f32 v23, v22, v23, 0x3d29fb3f
	v_fmaak_f32 v23, v22, v23, 0xbd97d4d7
	s_delay_alu instid0(VALU_DEP_1) | instskip(NEXT) | instid1(VALU_DEP_1)
	v_fmaak_f32 v23, v22, v23, 0x3dd931b2
	;; [unrolled: 3-line block ×3, first 2 shown]
	v_fmaak_f32 v23, v22, v23, 0xbeaaaa62
	s_delay_alu instid0(VALU_DEP_1) | instskip(NEXT) | instid1(VALU_DEP_1)
	v_mul_f32_e32 v22, v22, v23
	v_fmac_f32_e32 v8, v8, v22
	s_delay_alu instid0(VALU_DEP_1) | instskip(NEXT) | instid1(VALU_DEP_1)
	v_sub_f32_e32 v22, 0x3fc90fdb, v8
	v_cndmask_b32_e32 v8, v8, v22, vcc_lo
	v_cmp_gt_i32_e32 vcc_lo, 0, v7
	s_delay_alu instid0(VALU_DEP_2) | instskip(SKIP_2) | instid1(VALU_DEP_3)
	v_sub_f32_e32 v22, 0x40490fdb, v8
	v_cndmask_b32_e64 v23, 0, 0x40490fdb, vcc_lo
	v_cmp_gt_f32_e32 vcc_lo, 0, v7
	v_cndmask_b32_e32 v8, v8, v22, vcc_lo
	v_cndmask_b32_e32 v22, 0x3f490fdb, v21, vcc_lo
	s_and_b32 vcc_lo, s35, s36
	s_delay_alu instid0(VALU_DEP_2) | instskip(NEXT) | instid1(VALU_DEP_1)
	v_cndmask_b32_e64 v8, v8, v23, s2
	v_cndmask_b32_e32 v8, v8, v22, vcc_lo
	v_cmp_o_f32_e32 vcc_lo, v7, v6
	s_delay_alu instid0(VALU_DEP_2) | instskip(NEXT) | instid1(VALU_DEP_1)
	v_cndmask_b32_e32 v7, 0x7fc00000, v8, vcc_lo
	v_bfi_b32 v8, 0x7fffffff, v7, v6
                                        ; implicit-def: $vgpr6
                                        ; implicit-def: $vgpr7
.LBB69_16:                              ;   in Loop: Header=BB69_4 Depth=1
	s_and_not1_saveexec_b32 s35, s3
	s_cbranch_execz .LBB69_18
; %bb.17:                               ;   in Loop: Header=BB69_4 Depth=1
	v_max_f32_e32 v8, v6, v6
	v_max_f32_e64 v22, |v7|, |v7|
	v_cmp_gt_f32_e64 vcc_lo, v6, |v7|
	v_cmp_eq_f32_e64 s3, 0, v6
	v_cmp_class_f32_e64 s36, v7, 0x204
	v_cmp_eq_f32_e64 s2, 0x7f800000, v6
	v_max_f32_e32 v23, v22, v8
	v_min_f32_e32 v8, v22, v8
	s_delay_alu instid0(VALU_DEP_2) | instskip(NEXT) | instid1(VALU_DEP_1)
	v_frexp_mant_f32_e32 v24, v23
	v_rcp_f32_e32 v22, v24
	s_delay_alu instid0(VALU_DEP_2) | instskip(SKIP_4) | instid1(VALU_DEP_1)
	v_frexp_exp_i32_f32_e32 v24, v8
	v_frexp_mant_f32_e32 v8, v8
	s_waitcnt_depctr 0xfff
	v_mul_f32_e32 v8, v8, v22
	v_frexp_exp_i32_f32_e32 v23, v23
	v_sub_nc_u32_e32 v23, v24, v23
	s_delay_alu instid0(VALU_DEP_1) | instskip(NEXT) | instid1(VALU_DEP_1)
	v_ldexp_f32 v8, v8, v23
	v_mul_f32_e32 v22, v8, v8
	s_delay_alu instid0(VALU_DEP_1) | instskip(NEXT) | instid1(VALU_DEP_1)
	v_fmaak_f32 v23, s27, v22, 0xbc7a590c
	v_fmaak_f32 v23, v22, v23, 0x3d29fb3f
	s_delay_alu instid0(VALU_DEP_1) | instskip(NEXT) | instid1(VALU_DEP_1)
	v_fmaak_f32 v23, v22, v23, 0xbd97d4d7
	v_fmaak_f32 v23, v22, v23, 0x3dd931b2
	;; [unrolled: 3-line block ×3, first 2 shown]
	s_delay_alu instid0(VALU_DEP_1) | instskip(NEXT) | instid1(VALU_DEP_1)
	v_fmaak_f32 v23, v22, v23, 0xbeaaaa62
	v_mul_f32_e32 v22, v22, v23
	s_delay_alu instid0(VALU_DEP_1) | instskip(NEXT) | instid1(VALU_DEP_1)
	v_fmac_f32_e32 v8, v8, v22
	v_sub_f32_e32 v22, 0x3fc90fdb, v8
	s_delay_alu instid0(VALU_DEP_1) | instskip(SKIP_1) | instid1(VALU_DEP_2)
	v_cndmask_b32_e32 v8, v8, v22, vcc_lo
	v_cmp_gt_i32_e32 vcc_lo, 0, v7
	v_sub_f32_e32 v22, 0x40490fdb, v8
	v_cndmask_b32_e64 v23, 0, 0x40490fdb, vcc_lo
	v_cmp_gt_f32_e32 vcc_lo, 0, v7
	s_delay_alu instid0(VALU_DEP_3) | instskip(NEXT) | instid1(VALU_DEP_1)
	v_cndmask_b32_e32 v8, v8, v22, vcc_lo
	v_cndmask_b32_e64 v6, v8, v23, s3
	v_cndmask_b32_e32 v8, 0x3f490fdb, v21, vcc_lo
	s_and_b32 vcc_lo, s2, s36
	s_delay_alu instid0(VALU_DEP_1) | instskip(SKIP_1) | instid1(VALU_DEP_2)
	v_cndmask_b32_e32 v6, v6, v8, vcc_lo
	v_cmp_o_f32_e32 vcc_lo, v7, v7
	v_cndmask_b32_e64 v8, 0x7fc00000, |v6|, vcc_lo
.LBB69_18:                              ;   in Loop: Header=BB69_4 Depth=1
	s_or_b32 exec_lo, exec_lo, s35
                                        ; implicit-def: $vgpr6
	s_and_not1_saveexec_b32 s2, s34
	s_cbranch_execnz .LBB69_20
	s_branch .LBB69_21
.LBB69_19:                              ;   in Loop: Header=BB69_4 Depth=1
	s_and_not1_saveexec_b32 s2, s34
	s_cbranch_execz .LBB69_21
.LBB69_20:                              ;   in Loop: Header=BB69_4 Depth=1
	v_max_f32_e32 v7, 2.0, v6
	v_min_f32_e32 v6, 2.0, v6
	v_cmp_lt_f32_e64 vcc_lo, |v9|, 2.0
	s_delay_alu instid0(VALU_DEP_3) | instskip(NEXT) | instid1(VALU_DEP_3)
	v_frexp_mant_f32_e32 v8, v7
	v_frexp_mant_f32_e32 v22, v6
	v_frexp_exp_i32_f32_e32 v6, v6
	s_delay_alu instid0(VALU_DEP_3) | instskip(SKIP_3) | instid1(VALU_DEP_1)
	v_rcp_f32_e32 v8, v8
	s_waitcnt_depctr 0xfff
	v_mul_f32_e32 v8, v22, v8
	v_frexp_exp_i32_f32_e32 v7, v7
	v_sub_nc_u32_e32 v6, v6, v7
	s_delay_alu instid0(VALU_DEP_1) | instskip(NEXT) | instid1(VALU_DEP_1)
	v_ldexp_f32 v6, v8, v6
	v_mul_f32_e32 v7, v6, v6
	s_delay_alu instid0(VALU_DEP_1) | instskip(NEXT) | instid1(VALU_DEP_1)
	v_fmaak_f32 v8, s27, v7, 0xbc7a590c
	v_fmaak_f32 v8, v7, v8, 0x3d29fb3f
	s_delay_alu instid0(VALU_DEP_1) | instskip(NEXT) | instid1(VALU_DEP_1)
	v_fmaak_f32 v8, v7, v8, 0xbd97d4d7
	v_fmaak_f32 v8, v7, v8, 0x3dd931b2
	;; [unrolled: 3-line block ×3, first 2 shown]
	s_delay_alu instid0(VALU_DEP_1) | instskip(NEXT) | instid1(VALU_DEP_1)
	v_fmaak_f32 v8, v7, v8, 0xbeaaaa62
	v_mul_f32_e32 v7, v7, v8
	s_delay_alu instid0(VALU_DEP_1) | instskip(NEXT) | instid1(VALU_DEP_1)
	v_fmac_f32_e32 v6, v6, v7
	v_sub_f32_e32 v7, 0x3fc90fdb, v6
	s_delay_alu instid0(VALU_DEP_1) | instskip(SKIP_1) | instid1(VALU_DEP_2)
	v_cndmask_b32_e32 v6, v6, v7, vcc_lo
	v_cmp_lg_f32_e32 vcc_lo, 0, v9
	v_sub_f32_e32 v7, 0x40490fdb, v6
	s_delay_alu instid0(VALU_DEP_1) | instskip(NEXT) | instid1(VALU_DEP_1)
	v_cndmask_b32_e32 v6, v6, v7, vcc_lo
	v_and_b32_e32 v8, 0x7fffffff, v6
.LBB69_21:                              ;   in Loop: Header=BB69_4 Depth=1
	s_or_b32 exec_lo, exec_lo, s2
	s_delay_alu instid0(VALU_DEP_1) | instskip(SKIP_1) | instid1(VALU_DEP_2)
	v_mul_f32_e32 v7, 0.5, v8
	v_bfi_b32 v6, 0x7fffffff, v5, v10
	v_bfi_b32 v5, 0x7fffffff, v7, v9
.LBB69_22:                              ;   in Loop: Header=BB69_4 Depth=1
	s_and_not1_saveexec_b32 s2, s33
	s_cbranch_execz .LBB69_24
; %bb.23:                               ;   in Loop: Header=BB69_4 Depth=1
	v_dual_mov_b32 v5, s14 :: v_dual_mov_b32 v6, s15
	flat_store_b32 v[5:6], v20 dlc
	s_waitcnt_vscnt null, 0x0
	flat_load_b32 v5, v[5:6] glc dlc
	s_waitcnt vmcnt(0) lgkmcnt(0)
	v_add_f32_e32 v7, 1.0, v5
	v_dual_mov_b32 v5, s16 :: v_dual_mov_b32 v6, s17
	flat_store_b32 v[5:6], v7 dlc
	s_waitcnt_vscnt null, 0x0
	flat_load_b32 v5, v[5:6] glc dlc
	s_waitcnt vmcnt(0) lgkmcnt(0)
	v_dual_mov_b32 v6, v10 :: v_dual_mov_b32 v5, v9
.LBB69_24:                              ;   in Loop: Header=BB69_4 Depth=1
	s_or_b32 exec_lo, exec_lo, s2
.LBB69_25:                              ;   in Loop: Header=BB69_4 Depth=1
	s_and_not1_saveexec_b32 s2, s31
	s_cbranch_execz .LBB69_39
; %bb.26:                               ;   in Loop: Header=BB69_4 Depth=1
	v_and_b32_e32 v5, 0x7f800000, v10
	v_and_b32_e32 v7, 0x7f800000, v9
	v_cmp_neq_f32_e64 s3, 0x7f800000, |v10|
	s_delay_alu instid0(VALU_DEP_2) | instskip(NEXT) | instid1(VALU_DEP_1)
	v_sub_nc_u32_e32 v6, v5, v7
	v_cmp_gt_i32_e32 vcc_lo, 0x6800000, v6
                                        ; implicit-def: $vgpr6
	s_delay_alu instid0(VALU_DEP_3) | instskip(NEXT) | instid1(SALU_CYCLE_1)
	s_and_b32 s3, s3, vcc_lo
	s_and_saveexec_b32 s31, s3
	s_delay_alu instid0(SALU_CYCLE_1)
	s_xor_b32 s3, exec_lo, s31
	s_cbranch_execz .LBB69_36
; %bb.27:                               ;   in Loop: Header=BB69_4 Depth=1
	v_sub_nc_u32_e32 v6, v7, v5
	s_delay_alu instid0(VALU_DEP_1) | instskip(SKIP_1) | instid1(SALU_CYCLE_1)
	v_cmp_gt_i32_e32 vcc_lo, 0x6800000, v6
                                        ; implicit-def: $vgpr6
	s_and_saveexec_b32 s31, vcc_lo
	s_xor_b32 s31, exec_lo, s31
	s_cbranch_execz .LBB69_33
; %bb.28:                               ;   in Loop: Header=BB69_4 Depth=1
	s_mov_b32 s33, exec_lo
                                        ; implicit-def: $vgpr6
	v_cmpx_lt_u32_e32 0x59000000, v5
	s_xor_b32 s33, exec_lo, s33
	s_cbranch_execz .LBB69_30
; %bb.29:                               ;   in Loop: Header=BB69_4 Depth=1
	v_sub_nc_u32_e32 v5, 0x7f800000, v5
	s_delay_alu instid0(VALU_DEP_1) | instskip(SKIP_1) | instid1(VALU_DEP_2)
	v_mul_f32_e32 v6, v9, v5
	v_mul_f32_e32 v7, v10, v5
	;; [unrolled: 1-line block ×3, first 2 shown]
	s_delay_alu instid0(VALU_DEP_1) | instskip(NEXT) | instid1(VALU_DEP_1)
	v_fmac_f32_e32 v6, v7, v7
	v_div_scale_f32 v8, null, v6, v6, v7
	s_delay_alu instid0(VALU_DEP_1) | instskip(SKIP_2) | instid1(VALU_DEP_1)
	v_rcp_f32_e32 v22, v8
	s_waitcnt_depctr 0xfff
	v_fma_f32 v23, -v8, v22, 1.0
	v_fmac_f32_e32 v22, v23, v22
	v_div_scale_f32 v23, vcc_lo, v7, v6, v7
	s_delay_alu instid0(VALU_DEP_1) | instskip(NEXT) | instid1(VALU_DEP_1)
	v_mul_f32_e32 v24, v23, v22
	v_fma_f32 v25, -v8, v24, v23
	s_delay_alu instid0(VALU_DEP_1) | instskip(NEXT) | instid1(VALU_DEP_1)
	v_fmac_f32_e32 v24, v25, v22
	v_fma_f32 v8, -v8, v24, v23
	s_delay_alu instid0(VALU_DEP_1) | instskip(NEXT) | instid1(VALU_DEP_1)
	v_div_fmas_f32 v8, v8, v22, v24
	v_div_fixup_f32 v6, v8, v6, v7
	s_delay_alu instid0(VALU_DEP_1)
	v_mul_f32_e32 v6, v6, v5
.LBB69_30:                              ;   in Loop: Header=BB69_4 Depth=1
	s_and_not1_saveexec_b32 s33, s33
	s_cbranch_execz .LBB69_32
; %bb.31:                               ;   in Loop: Header=BB69_4 Depth=1
	v_mul_f32_e32 v5, v10, v10
	s_delay_alu instid0(VALU_DEP_1) | instskip(NEXT) | instid1(VALU_DEP_1)
	v_fmac_f32_e32 v5, v9, v9
	v_div_scale_f32 v6, null, v5, v5, v10
	s_delay_alu instid0(VALU_DEP_1) | instskip(SKIP_2) | instid1(VALU_DEP_1)
	v_rcp_f32_e32 v7, v6
	s_waitcnt_depctr 0xfff
	v_fma_f32 v8, -v6, v7, 1.0
	v_fmac_f32_e32 v7, v8, v7
	v_div_scale_f32 v8, vcc_lo, v10, v5, v10
	s_delay_alu instid0(VALU_DEP_1) | instskip(NEXT) | instid1(VALU_DEP_1)
	v_mul_f32_e32 v22, v8, v7
	v_fma_f32 v23, -v6, v22, v8
	s_delay_alu instid0(VALU_DEP_1) | instskip(NEXT) | instid1(VALU_DEP_1)
	v_fmac_f32_e32 v22, v23, v7
	v_fma_f32 v6, -v6, v22, v8
	s_delay_alu instid0(VALU_DEP_1) | instskip(NEXT) | instid1(VALU_DEP_1)
	v_div_fmas_f32 v6, v6, v7, v22
	v_div_fixup_f32 v6, v6, v5, v10
.LBB69_32:                              ;   in Loop: Header=BB69_4 Depth=1
	s_or_b32 exec_lo, exec_lo, s33
.LBB69_33:                              ;   in Loop: Header=BB69_4 Depth=1
	s_and_not1_saveexec_b32 s31, s31
	s_cbranch_execz .LBB69_35
; %bb.34:                               ;   in Loop: Header=BB69_4 Depth=1
	v_div_scale_f32 v5, null, v9, v9, v10
	v_div_scale_f32 v8, vcc_lo, v10, v9, v10
	s_delay_alu instid0(VALU_DEP_2) | instskip(SKIP_2) | instid1(VALU_DEP_1)
	v_rcp_f32_e32 v6, v5
	s_waitcnt_depctr 0xfff
	v_fma_f32 v7, -v5, v6, 1.0
	v_fmac_f32_e32 v6, v7, v6
	s_delay_alu instid0(VALU_DEP_1) | instskip(NEXT) | instid1(VALU_DEP_1)
	v_mul_f32_e32 v7, v8, v6
	v_fma_f32 v22, -v5, v7, v8
	s_delay_alu instid0(VALU_DEP_1) | instskip(NEXT) | instid1(VALU_DEP_1)
	v_fmac_f32_e32 v7, v22, v6
	v_fma_f32 v5, -v5, v7, v8
	s_delay_alu instid0(VALU_DEP_1) | instskip(NEXT) | instid1(VALU_DEP_1)
	v_div_fmas_f32 v5, v5, v6, v7
	v_div_fixup_f32 v5, v5, v9, v10
	s_delay_alu instid0(VALU_DEP_1) | instskip(NEXT) | instid1(VALU_DEP_1)
	v_div_scale_f32 v6, null, v9, v9, v5
	v_rcp_f32_e32 v7, v6
	s_waitcnt_depctr 0xfff
	v_fma_f32 v8, -v6, v7, 1.0
	s_delay_alu instid0(VALU_DEP_1) | instskip(SKIP_1) | instid1(VALU_DEP_1)
	v_fmac_f32_e32 v7, v8, v7
	v_div_scale_f32 v8, vcc_lo, v5, v9, v5
	v_mul_f32_e32 v22, v8, v7
	s_delay_alu instid0(VALU_DEP_1) | instskip(NEXT) | instid1(VALU_DEP_1)
	v_fma_f32 v23, -v6, v22, v8
	v_fmac_f32_e32 v22, v23, v7
	s_delay_alu instid0(VALU_DEP_1) | instskip(NEXT) | instid1(VALU_DEP_1)
	v_fma_f32 v6, -v6, v22, v8
	v_div_fmas_f32 v6, v6, v7, v22
	s_delay_alu instid0(VALU_DEP_1)
	v_div_fixup_f32 v6, v6, v9, v5
.LBB69_35:                              ;   in Loop: Header=BB69_4 Depth=1
	s_or_b32 exec_lo, exec_lo, s31
.LBB69_36:                              ;   in Loop: Header=BB69_4 Depth=1
	s_and_not1_saveexec_b32 s3, s3
; %bb.37:                               ;   in Loop: Header=BB69_4 Depth=1
	v_div_scale_f32 v5, null, v10, v10, 1.0
	s_delay_alu instid0(VALU_DEP_1) | instskip(SKIP_2) | instid1(VALU_DEP_1)
	v_rcp_f32_e32 v6, v5
	s_waitcnt_depctr 0xfff
	v_fma_f32 v7, -v5, v6, 1.0
	v_fmac_f32_e32 v6, v7, v6
	v_div_scale_f32 v7, vcc_lo, 1.0, v10, 1.0
	s_delay_alu instid0(VALU_DEP_1) | instskip(NEXT) | instid1(VALU_DEP_1)
	v_mul_f32_e32 v8, v7, v6
	v_fma_f32 v22, -v5, v8, v7
	s_delay_alu instid0(VALU_DEP_1) | instskip(NEXT) | instid1(VALU_DEP_1)
	v_fmac_f32_e32 v8, v22, v6
	v_fma_f32 v5, -v5, v8, v7
	s_delay_alu instid0(VALU_DEP_1) | instskip(NEXT) | instid1(VALU_DEP_1)
	v_div_fmas_f32 v5, v5, v6, v8
	v_div_fixup_f32 v6, v5, v10, 1.0
; %bb.38:                               ;   in Loop: Header=BB69_4 Depth=1
	s_or_b32 exec_lo, exec_lo, s3
	v_dual_mov_b32 v7, s12 :: v_dual_mov_b32 v8, s13
	flat_load_b32 v5, v[7:8] glc dlc
	s_waitcnt vmcnt(0) lgkmcnt(0)
	v_add_f32_e32 v5, 0x3fc90fdb, v5
	s_delay_alu instid0(VALU_DEP_1)
	v_bfi_b32 v5, 0x7fffffff, v5, v9
.LBB69_39:                              ;   in Loop: Header=BB69_4 Depth=1
	s_or_b32 exec_lo, exec_lo, s2
.LBB69_40:                              ;   in Loop: Header=BB69_4 Depth=1
	s_and_not1_saveexec_b32 s2, s30
	s_cbranch_execz .LBB69_50
; %bb.41:                               ;   in Loop: Header=BB69_4 Depth=1
	v_cmp_neq_f32_e64 s3, 0x7f800000, |v10|
                                        ; implicit-def: $vgpr5
	s_delay_alu instid0(VALU_DEP_1) | instskip(NEXT) | instid1(SALU_CYCLE_1)
	s_and_saveexec_b32 s30, s3
	s_xor_b32 s3, exec_lo, s30
	s_cbranch_execz .LBB69_47
; %bb.42:                               ;   in Loop: Header=BB69_4 Depth=1
	v_cmp_neq_f32_e64 s30, 0x7f800000, |v9|
                                        ; implicit-def: $vgpr5
	s_delay_alu instid0(VALU_DEP_1) | instskip(NEXT) | instid1(SALU_CYCLE_1)
	s_and_saveexec_b32 s31, s30
	s_xor_b32 s30, exec_lo, s31
; %bb.43:                               ;   in Loop: Header=BB69_4 Depth=1
	v_add_f32_e32 v5, 0, v9
	s_delay_alu instid0(VALU_DEP_1)
	v_add_f32_e32 v5, v5, v10
; %bb.44:                               ;   in Loop: Header=BB69_4 Depth=1
	s_or_saveexec_b32 s30, s30
	s_delay_alu instid0(VALU_DEP_1)
	v_mov_b32_e32 v6, v5
	s_xor_b32 exec_lo, exec_lo, s30
	s_cbranch_execz .LBB69_46
; %bb.45:                               ;   in Loop: Header=BB69_4 Depth=1
	v_dual_mov_b32 v5, s12 :: v_dual_mov_b32 v6, s13
	flat_load_b32 v5, v[5:6] glc dlc
	s_waitcnt vmcnt(0)
	v_bfi_b32 v6, 0x7fffffff, 0, v10
	s_waitcnt lgkmcnt(0)
	v_add_f32_e32 v5, 0x3fc90fdb, v5
	s_delay_alu instid0(VALU_DEP_1)
	v_bfi_b32 v5, 0x7fffffff, v5, v9
.LBB69_46:                              ;   in Loop: Header=BB69_4 Depth=1
	s_or_b32 exec_lo, exec_lo, s30
.LBB69_47:                              ;   in Loop: Header=BB69_4 Depth=1
	s_and_not1_saveexec_b32 s3, s3
; %bb.48:                               ;   in Loop: Header=BB69_4 Depth=1
	v_bfi_b32 v6, 0x7fffffff, 0, v10
	v_add_f32_e32 v5, v9, v9
; %bb.49:                               ;   in Loop: Header=BB69_4 Depth=1
	s_or_b32 exec_lo, exec_lo, s3
.LBB69_50:                              ;   in Loop: Header=BB69_4 Depth=1
	s_delay_alu instid0(SALU_CYCLE_1)
	s_or_b32 exec_lo, exec_lo, s2
.LBB69_51:                              ;   in Loop: Header=BB69_4 Depth=1
	s_and_not1_saveexec_b32 s2, s29
	s_cbranch_execz .LBB69_53
; %bb.52:                               ;   in Loop: Header=BB69_4 Depth=1
	v_rcp_f32_e64 v5, |v9|
	v_cmp_gt_f32_e64 vcc_lo, |v9|, 1.0
	s_waitcnt_depctr 0xfff
	v_cndmask_b32_e64 v5, |v9|, v5, vcc_lo
	s_delay_alu instid0(VALU_DEP_1) | instskip(NEXT) | instid1(VALU_DEP_1)
	v_mul_f32_e32 v6, v5, v5
	v_fmaak_f32 v7, s27, v6, 0xbc7a590c
	s_delay_alu instid0(VALU_DEP_1) | instskip(NEXT) | instid1(VALU_DEP_1)
	v_fmaak_f32 v7, v6, v7, 0x3d29fb3f
	v_fmaak_f32 v7, v6, v7, 0xbd97d4d7
	s_delay_alu instid0(VALU_DEP_1) | instskip(NEXT) | instid1(VALU_DEP_1)
	v_fmaak_f32 v7, v6, v7, 0x3dd931b2
	v_fmaak_f32 v7, v6, v7, 0xbe1160e6
	s_delay_alu instid0(VALU_DEP_1) | instskip(NEXT) | instid1(VALU_DEP_1)
	v_fmaak_f32 v7, v6, v7, 0x3e4cb8bf
	v_fmaak_f32 v7, v6, v7, 0xbeaaaa62
	s_delay_alu instid0(VALU_DEP_1) | instskip(NEXT) | instid1(VALU_DEP_1)
	v_mul_f32_e32 v6, v6, v7
	v_fmac_f32_e32 v5, v5, v6
	s_delay_alu instid0(VALU_DEP_1) | instskip(NEXT) | instid1(VALU_DEP_1)
	v_sub_f32_e32 v6, 0x3fc90fdb, v5
	v_dual_cndmask_b32 v5, v5, v6 :: v_dual_mov_b32 v6, v10
	s_delay_alu instid0(VALU_DEP_1)
	v_bfi_b32 v5, 0x7fffffff, v5, v9
.LBB69_53:                              ;   in Loop: Header=BB69_4 Depth=1
	s_or_b32 exec_lo, exec_lo, s2
.LBB69_54:                              ;   in Loop: Header=BB69_4 Depth=1
	s_and_not1_saveexec_b32 s2, s28
	s_cbranch_execz .LBB69_56
; %bb.55:                               ;   in Loop: Header=BB69_4 Depth=1
	v_sub_f32_e64 v5, 1.0, |v10|
	v_add_f32_e64 v7, |v10|, 1.0
	v_cmp_gt_f32_e64 s3, 0x39800000, |v10|
	s_delay_alu instid0(VALU_DEP_3) | instskip(SKIP_2) | instid1(VALU_DEP_1)
	v_rcp_f32_e32 v6, v5
	s_waitcnt_depctr 0xfff
	v_mul_f32_e32 v8, v7, v6
	v_dual_sub_f32 v22, 1.0, v5 :: v_dual_mul_f32 v23, v5, v8
	s_delay_alu instid0(VALU_DEP_1) | instskip(NEXT) | instid1(VALU_DEP_2)
	v_sub_f32_e64 v22, v22, |v10|
	v_fma_f32 v5, v8, v5, -v23
	s_delay_alu instid0(VALU_DEP_1) | instskip(NEXT) | instid1(VALU_DEP_1)
	v_fmac_f32_e32 v5, v8, v22
	v_add_f32_e32 v22, v23, v5
	s_delay_alu instid0(VALU_DEP_1) | instskip(NEXT) | instid1(VALU_DEP_1)
	v_sub_f32_e32 v24, v7, v22
	v_sub_f32_e32 v25, v7, v24
	v_add_f32_e32 v7, -1.0, v7
	s_delay_alu instid0(VALU_DEP_2) | instskip(NEXT) | instid1(VALU_DEP_2)
	v_dual_sub_f32 v23, v22, v23 :: v_dual_sub_f32 v22, v25, v22
	v_sub_f32_e64 v7, |v10|, v7
	s_delay_alu instid0(VALU_DEP_2) | instskip(NEXT) | instid1(VALU_DEP_1)
	v_sub_f32_e32 v5, v23, v5
	v_add_f32_e32 v5, v5, v22
	s_delay_alu instid0(VALU_DEP_1) | instskip(NEXT) | instid1(VALU_DEP_1)
	v_add_f32_e32 v5, v7, v5
	v_add_f32_e32 v5, v24, v5
	s_delay_alu instid0(VALU_DEP_1) | instskip(NEXT) | instid1(VALU_DEP_1)
	v_mul_f32_e32 v7, v6, v5
	v_add_f32_e32 v22, v8, v7
	s_delay_alu instid0(VALU_DEP_1) | instskip(SKIP_1) | instid1(VALU_DEP_1)
	v_cvt_f64_f32_e32 v[5:6], v22
	v_sub_f32_e32 v8, v22, v8
	v_sub_f32_e32 v7, v7, v8
	s_delay_alu instid0(VALU_DEP_3) | instskip(SKIP_1) | instid1(VALU_DEP_1)
	v_frexp_exp_i32_f64_e32 v5, v[5:6]
	v_frexp_mant_f32_e32 v6, v22
	v_cmp_gt_f32_e32 vcc_lo, 0x3f2aaaab, v6
	s_delay_alu instid0(VALU_DEP_3) | instskip(SKIP_1) | instid1(VALU_DEP_2)
	v_subrev_co_ci_u32_e32 v5, vcc_lo, 0, v5, vcc_lo
	v_cmp_ngt_f32_e64 vcc_lo, |v10|, 1.0
	v_sub_nc_u32_e32 v6, 0, v5
	v_cvt_f32_i32_e32 v5, v5
	s_delay_alu instid0(VALU_DEP_2) | instskip(SKIP_1) | instid1(VALU_DEP_2)
	v_ldexp_f32 v23, v22, v6
	v_ldexp_f32 v6, v7, v6
	v_add_f32_e32 v22, 1.0, v23
	s_delay_alu instid0(VALU_DEP_1) | instskip(NEXT) | instid1(VALU_DEP_1)
	v_add_f32_e32 v8, -1.0, v22
	v_dual_sub_f32 v8, v23, v8 :: v_dual_add_f32 v7, -1.0, v23
	s_delay_alu instid0(VALU_DEP_1) | instskip(NEXT) | instid1(VALU_DEP_2)
	v_add_f32_e32 v8, v6, v8
	v_add_f32_e32 v24, 1.0, v7
	s_delay_alu instid0(VALU_DEP_1) | instskip(NEXT) | instid1(VALU_DEP_3)
	v_sub_f32_e32 v23, v23, v24
	v_add_f32_e32 v24, v22, v8
	s_delay_alu instid0(VALU_DEP_1) | instskip(NEXT) | instid1(VALU_DEP_3)
	v_sub_f32_e32 v22, v24, v22
	v_add_f32_e32 v6, v6, v23
	s_delay_alu instid0(VALU_DEP_1) | instskip(NEXT) | instid1(VALU_DEP_1)
	v_add_f32_e32 v25, v7, v6
	v_dual_sub_f32 v8, v8, v22 :: v_dual_sub_f32 v7, v25, v7
	v_rcp_f32_e32 v23, v24
	s_waitcnt_depctr 0xfff
	v_mul_f32_e32 v26, v25, v23
	s_delay_alu instid0(VALU_DEP_1) | instskip(NEXT) | instid1(VALU_DEP_1)
	v_mul_f32_e32 v27, v24, v26
	v_fma_f32 v22, v26, v24, -v27
	s_delay_alu instid0(VALU_DEP_1) | instskip(NEXT) | instid1(VALU_DEP_1)
	v_fmac_f32_e32 v22, v26, v8
	v_add_f32_e32 v28, v27, v22
	s_delay_alu instid0(VALU_DEP_1) | instskip(NEXT) | instid1(VALU_DEP_1)
	v_sub_f32_e32 v29, v25, v28
	v_dual_sub_f32 v25, v25, v29 :: v_dual_sub_f32 v6, v6, v7
	s_delay_alu instid0(VALU_DEP_1) | instskip(NEXT) | instid1(VALU_DEP_1)
	v_sub_f32_e32 v25, v25, v28
	v_dual_sub_f32 v7, v28, v27 :: v_dual_add_f32 v6, v6, v25
	s_delay_alu instid0(VALU_DEP_1) | instskip(NEXT) | instid1(VALU_DEP_1)
	v_sub_f32_e32 v7, v7, v22
	v_add_f32_e32 v6, v7, v6
	s_delay_alu instid0(VALU_DEP_1) | instskip(NEXT) | instid1(VALU_DEP_1)
	v_add_f32_e32 v7, v29, v6
	v_mul_f32_e32 v22, v23, v7
	s_delay_alu instid0(VALU_DEP_1) | instskip(NEXT) | instid1(VALU_DEP_1)
	v_mul_f32_e32 v25, v24, v22
	v_fma_f32 v24, v22, v24, -v25
	s_delay_alu instid0(VALU_DEP_1) | instskip(SKIP_1) | instid1(VALU_DEP_2)
	v_fmac_f32_e32 v24, v22, v8
	v_sub_f32_e32 v28, v29, v7
	v_add_f32_e32 v8, v25, v24
	s_delay_alu instid0(VALU_DEP_1) | instskip(NEXT) | instid1(VALU_DEP_1)
	v_sub_f32_e32 v27, v7, v8
	v_sub_f32_e32 v7, v7, v27
	s_delay_alu instid0(VALU_DEP_4) | instskip(NEXT) | instid1(VALU_DEP_2)
	v_dual_sub_f32 v25, v8, v25 :: v_dual_add_f32 v6, v6, v28
	v_sub_f32_e32 v7, v7, v8
	s_delay_alu instid0(VALU_DEP_2) | instskip(NEXT) | instid1(VALU_DEP_2)
	v_sub_f32_e32 v8, v25, v24
	v_add_f32_e32 v6, v6, v7
	v_add_f32_e32 v7, v26, v22
	s_delay_alu instid0(VALU_DEP_2) | instskip(NEXT) | instid1(VALU_DEP_2)
	v_add_f32_e32 v6, v8, v6
	v_sub_f32_e32 v8, v7, v26
	s_delay_alu instid0(VALU_DEP_2) | instskip(NEXT) | instid1(VALU_DEP_2)
	v_add_f32_e32 v6, v27, v6
	v_sub_f32_e32 v8, v22, v8
	s_delay_alu instid0(VALU_DEP_2) | instskip(NEXT) | instid1(VALU_DEP_1)
	v_mul_f32_e32 v6, v23, v6
	v_add_f32_e32 v6, v8, v6
	s_delay_alu instid0(VALU_DEP_1) | instskip(NEXT) | instid1(VALU_DEP_1)
	v_add_f32_e32 v8, v7, v6
	v_mul_f32_e32 v22, v8, v8
	v_sub_f32_e32 v7, v8, v7
	s_delay_alu instid0(VALU_DEP_2) | instskip(SKIP_1) | instid1(VALU_DEP_3)
	v_fmaak_f32 v23, s26, v22, 0x3ecc95a3
	v_mul_f32_e32 v24, v8, v22
	v_sub_f32_e32 v6, v6, v7
	s_delay_alu instid0(VALU_DEP_3) | instskip(SKIP_1) | instid1(VALU_DEP_3)
	v_fmaak_f32 v22, v22, v23, 0x3f2aaada
	v_ldexp_f32 v23, v8, 1
	v_ldexp_f32 v6, v6, 1
	s_delay_alu instid0(VALU_DEP_3) | instskip(SKIP_1) | instid1(VALU_DEP_2)
	v_mul_f32_e32 v22, v24, v22
	v_mul_f32_e32 v24, 0x3f317218, v5
	v_add_f32_e32 v8, v23, v22
	s_delay_alu instid0(VALU_DEP_1) | instskip(NEXT) | instid1(VALU_DEP_3)
	v_sub_f32_e32 v7, v8, v23
	v_fma_f32 v23, 0x3f317218, v5, -v24
	s_delay_alu instid0(VALU_DEP_2) | instskip(NEXT) | instid1(VALU_DEP_2)
	v_sub_f32_e32 v7, v22, v7
	v_fmac_f32_e32 v23, 0xb102e308, v5
	s_delay_alu instid0(VALU_DEP_2) | instskip(NEXT) | instid1(VALU_DEP_2)
	v_add_f32_e32 v5, v6, v7
	v_add_f32_e32 v6, v24, v23
	s_delay_alu instid0(VALU_DEP_2) | instskip(NEXT) | instid1(VALU_DEP_1)
	v_add_f32_e32 v7, v8, v5
	v_add_f32_e32 v22, v6, v7
	s_delay_alu instid0(VALU_DEP_1) | instskip(SKIP_1) | instid1(VALU_DEP_2)
	v_dual_sub_f32 v8, v7, v8 :: v_dual_sub_f32 v25, v22, v6
	v_sub_f32_e32 v24, v6, v24
	v_dual_sub_f32 v5, v5, v8 :: v_dual_sub_f32 v26, v22, v25
	s_delay_alu instid0(VALU_DEP_2) | instskip(NEXT) | instid1(VALU_DEP_2)
	v_sub_f32_e32 v23, v23, v24
	v_dual_sub_f32 v7, v7, v25 :: v_dual_sub_f32 v6, v6, v26
	s_delay_alu instid0(VALU_DEP_2) | instskip(NEXT) | instid1(VALU_DEP_1)
	v_add_f32_e32 v8, v23, v5
	v_dual_add_f32 v6, v7, v6 :: v_dual_sub_f32 v7, v8, v23
	s_delay_alu instid0(VALU_DEP_1) | instskip(NEXT) | instid1(VALU_DEP_2)
	v_add_f32_e32 v6, v8, v6
	v_sub_f32_e32 v8, v8, v7
	s_delay_alu instid0(VALU_DEP_2) | instskip(NEXT) | instid1(VALU_DEP_1)
	v_dual_sub_f32 v5, v5, v7 :: v_dual_add_f32 v24, v22, v6
	v_dual_sub_f32 v7, v23, v8 :: v_dual_sub_f32 v8, v24, v22
	s_delay_alu instid0(VALU_DEP_1) | instskip(NEXT) | instid1(VALU_DEP_1)
	v_dual_add_f32 v5, v5, v7 :: v_dual_sub_f32 v6, v6, v8
	v_add_f32_e32 v5, v5, v6
	s_delay_alu instid0(VALU_DEP_1) | instskip(NEXT) | instid1(VALU_DEP_1)
	v_add_f32_e32 v5, v24, v5
	v_mul_f32_e32 v5, 0.5, v5
	s_delay_alu instid0(VALU_DEP_1) | instskip(NEXT) | instid1(VALU_DEP_1)
	v_cndmask_b32_e64 v5, v5, |v10|, s3
	v_cndmask_b32_e32 v5, 0x7fc00000, v5, vcc_lo
	v_cmp_neq_f32_e64 vcc_lo, |v10|, 1.0
	s_delay_alu instid0(VALU_DEP_2) | instskip(NEXT) | instid1(VALU_DEP_1)
	v_cndmask_b32_e32 v5, 0x7f800000, v5, vcc_lo
	v_bfi_b32 v6, 0x7fffffff, v5, v10
	v_mov_b32_e32 v5, v9
.LBB69_56:                              ;   in Loop: Header=BB69_4 Depth=1
	s_or_b32 exec_lo, exec_lo, s2
	v_cmp_neq_f32_e32 vcc_lo, 0, v11
	v_cmp_nle_f32_e64 s2, |v12|, 1.0
	v_dual_mov_b32 v7, s12 :: v_dual_mov_b32 v8, s13
	s_delay_alu instid0(VALU_DEP_2) | instskip(SKIP_3) | instid1(SALU_CYCLE_1)
	s_or_b32 s2, vcc_lo, s2
	flat_store_b32 v[7:8], v19 dlc
	s_waitcnt_vscnt null, 0x0
	s_and_saveexec_b32 s3, s2
	s_xor_b32 s28, exec_lo, s3
	s_cbranch_execz .LBB69_106
; %bb.57:                               ;   in Loop: Header=BB69_4 Depth=1
	s_mov_b32 s2, exec_lo
	v_cmpx_neq_f32_e32 0, v12
	s_xor_b32 s29, exec_lo, s2
	s_cbranch_execz .LBB69_103
; %bb.58:                               ;   in Loop: Header=BB69_4 Depth=1
	v_cmp_o_f32_e32 vcc_lo, v12, v12
	v_cmp_o_f32_e64 s2, v11, v11
	s_delay_alu instid0(VALU_DEP_1) | instskip(NEXT) | instid1(SALU_CYCLE_1)
	s_and_b32 s2, vcc_lo, s2
	s_and_saveexec_b32 s3, s2
	s_delay_alu instid0(SALU_CYCLE_1)
	s_xor_b32 s30, exec_lo, s3
	s_cbranch_execz .LBB69_92
; %bb.59:                               ;   in Loop: Header=BB69_4 Depth=1
	v_max_f32_e64 v8, |v12|, |v12|
	v_max_f32_e64 v7, |v11|, |v11|
	s_mov_b32 s2, exec_lo
	s_delay_alu instid0(VALU_DEP_1) | instskip(NEXT) | instid1(VALU_DEP_1)
	v_max_f32_e32 v8, v7, v8
	v_cmpx_nlt_f32_e32 0x4b000000, v8
	s_xor_b32 s31, exec_lo, s2
	s_cbranch_execz .LBB69_77
; %bb.60:                               ;   in Loop: Header=BB69_4 Depth=1
	v_cmp_ngt_f32_e64 s2, 0x399cc471, |v12|
	v_cmp_ngt_f32_e64 s3, 0x399cc471, |v11|
	s_delay_alu instid0(VALU_DEP_1) | instskip(NEXT) | instid1(SALU_CYCLE_1)
	s_or_b32 s2, s3, s2
	s_and_saveexec_b32 s3, s2
	s_delay_alu instid0(SALU_CYCLE_1)
	s_xor_b32 s33, exec_lo, s3
	s_cbranch_execz .LBB69_74
; %bb.61:                               ;   in Loop: Header=BB69_4 Depth=1
	v_cmp_neq_f32_e64 s3, |v12|, 1.0
	v_cmp_ngt_f32_e64 s2, 0x34000000, |v11|
                                        ; implicit-def: $vgpr8
	s_delay_alu instid0(VALU_DEP_1) | instskip(NEXT) | instid1(SALU_CYCLE_1)
	s_or_b32 s34, s2, s3
	s_and_saveexec_b32 s35, s34
	s_delay_alu instid0(SALU_CYCLE_1)
	s_xor_b32 s34, exec_lo, s35
	s_cbranch_execz .LBB69_63
; %bb.62:                               ;   in Loop: Header=BB69_4 Depth=1
	v_add_f32_e64 v8, |v12|, -1.0
	v_cmp_gt_f32_e64 vcc_lo, 0x20000000, |v11|
	v_mul_f32_e64 v10, |v12|, 4.0
	s_delay_alu instid0(VALU_DEP_3) | instskip(NEXT) | instid1(VALU_DEP_1)
	v_mul_f32_e32 v8, v8, v8
	v_fma_f32 v9, v11, v11, v8
	s_delay_alu instid0(VALU_DEP_1) | instskip(NEXT) | instid1(VALU_DEP_1)
	v_cndmask_b32_e32 v8, v9, v8, vcc_lo
	v_div_scale_f32 v9, null, v8, v8, v10
	v_div_scale_f32 v24, vcc_lo, v10, v8, v10
	s_delay_alu instid0(VALU_DEP_2) | instskip(SKIP_2) | instid1(VALU_DEP_1)
	v_rcp_f32_e32 v22, v9
	s_waitcnt_depctr 0xfff
	v_fma_f32 v23, -v9, v22, 1.0
	v_fmac_f32_e32 v22, v23, v22
	s_delay_alu instid0(VALU_DEP_1) | instskip(NEXT) | instid1(VALU_DEP_1)
	v_mul_f32_e32 v23, v24, v22
	v_fma_f32 v25, -v9, v23, v24
	s_delay_alu instid0(VALU_DEP_1) | instskip(NEXT) | instid1(VALU_DEP_1)
	v_fmac_f32_e32 v23, v25, v22
	v_fma_f32 v9, -v9, v23, v24
	s_delay_alu instid0(VALU_DEP_1) | instskip(NEXT) | instid1(VALU_DEP_1)
	v_div_fmas_f32 v9, v9, v22, v23
	v_div_fixup_f32 v10, v9, v8, v10
	s_delay_alu instid0(VALU_DEP_1) | instskip(NEXT) | instid1(VALU_DEP_1)
	v_add_f32_e32 v22, 1.0, v10
	v_cvt_f64_f32_e32 v[8:9], v22
	s_delay_alu instid0(VALU_DEP_1) | instskip(SKIP_1) | instid1(VALU_DEP_1)
	v_frexp_exp_i32_f64_e32 v8, v[8:9]
	v_frexp_mant_f32_e32 v9, v22
	v_cmp_gt_f32_e32 vcc_lo, 0x3f2aaaab, v9
	v_add_f32_e32 v9, -1.0, v22
	s_delay_alu instid0(VALU_DEP_1) | instskip(NEXT) | instid1(VALU_DEP_1)
	v_sub_f32_e32 v24, v9, v22
	v_dual_add_f32 v24, 1.0, v24 :: v_dual_sub_f32 v9, v10, v9
	s_delay_alu instid0(VALU_DEP_1) | instskip(SKIP_2) | instid1(VALU_DEP_2)
	v_add_f32_e32 v9, v9, v24
	v_subrev_co_ci_u32_e32 v8, vcc_lo, 0, v8, vcc_lo
	v_cmp_eq_f32_e32 vcc_lo, 0x7f800000, v10
	v_sub_nc_u32_e32 v23, 0, v8
	v_cvt_f32_i32_e32 v8, v8
	s_delay_alu instid0(VALU_DEP_2) | instskip(SKIP_1) | instid1(VALU_DEP_2)
	v_ldexp_f32 v22, v22, v23
	v_ldexp_f32 v9, v9, v23
	v_add_f32_e32 v25, 1.0, v22
	s_delay_alu instid0(VALU_DEP_1) | instskip(NEXT) | instid1(VALU_DEP_1)
	v_dual_add_f32 v23, -1.0, v22 :: v_dual_add_f32 v24, -1.0, v25
	v_add_f32_e32 v26, 1.0, v23
	s_delay_alu instid0(VALU_DEP_2) | instskip(NEXT) | instid1(VALU_DEP_2)
	v_sub_f32_e32 v24, v22, v24
	v_sub_f32_e32 v22, v22, v26
	s_delay_alu instid0(VALU_DEP_2) | instskip(NEXT) | instid1(VALU_DEP_2)
	v_add_f32_e32 v24, v9, v24
	v_add_f32_e32 v9, v9, v22
	s_delay_alu instid0(VALU_DEP_1) | instskip(NEXT) | instid1(VALU_DEP_1)
	v_dual_add_f32 v27, v23, v9 :: v_dual_add_f32 v26, v25, v24
	v_sub_f32_e32 v23, v27, v23
	s_delay_alu instid0(VALU_DEP_2) | instskip(SKIP_1) | instid1(VALU_DEP_1)
	v_rcp_f32_e32 v22, v26
	v_sub_f32_e32 v25, v26, v25
	v_dual_sub_f32 v9, v9, v23 :: v_dual_sub_f32 v24, v24, v25
	s_waitcnt_depctr 0xfff
	v_mul_f32_e32 v28, v27, v22
	s_delay_alu instid0(VALU_DEP_1) | instskip(NEXT) | instid1(VALU_DEP_1)
	v_mul_f32_e32 v29, v26, v28
	v_fma_f32 v25, v28, v26, -v29
	s_delay_alu instid0(VALU_DEP_1) | instskip(NEXT) | instid1(VALU_DEP_1)
	v_fmac_f32_e32 v25, v28, v24
	v_add_f32_e32 v30, v29, v25
	s_delay_alu instid0(VALU_DEP_1) | instskip(NEXT) | instid1(VALU_DEP_1)
	v_sub_f32_e32 v31, v27, v30
	v_sub_f32_e32 v27, v27, v31
	v_sub_f32_e32 v23, v30, v29
	s_delay_alu instid0(VALU_DEP_2) | instskip(NEXT) | instid1(VALU_DEP_2)
	v_sub_f32_e32 v27, v27, v30
	v_sub_f32_e32 v23, v23, v25
	s_delay_alu instid0(VALU_DEP_2) | instskip(NEXT) | instid1(VALU_DEP_1)
	v_add_f32_e32 v9, v9, v27
	v_add_f32_e32 v9, v23, v9
	s_delay_alu instid0(VALU_DEP_1) | instskip(NEXT) | instid1(VALU_DEP_1)
	v_add_f32_e32 v23, v31, v9
	v_mul_f32_e32 v25, v22, v23
	s_delay_alu instid0(VALU_DEP_1) | instskip(NEXT) | instid1(VALU_DEP_1)
	v_dual_sub_f32 v30, v31, v23 :: v_dual_mul_f32 v27, v26, v25
	v_add_f32_e32 v9, v9, v30
	s_delay_alu instid0(VALU_DEP_2) | instskip(NEXT) | instid1(VALU_DEP_1)
	v_fma_f32 v26, v25, v26, -v27
	v_fmac_f32_e32 v26, v25, v24
	s_delay_alu instid0(VALU_DEP_1) | instskip(NEXT) | instid1(VALU_DEP_1)
	v_add_f32_e32 v24, v27, v26
	v_sub_f32_e32 v29, v23, v24
	s_delay_alu instid0(VALU_DEP_1) | instskip(NEXT) | instid1(VALU_DEP_1)
	v_sub_f32_e32 v23, v23, v29
	v_sub_f32_e32 v23, v23, v24
	s_delay_alu instid0(VALU_DEP_1) | instskip(SKIP_2) | instid1(VALU_DEP_1)
	v_add_f32_e32 v9, v9, v23
	v_add_f32_e32 v23, v28, v25
	v_sub_f32_e32 v27, v24, v27
	v_sub_f32_e32 v24, v27, v26
	s_delay_alu instid0(VALU_DEP_1) | instskip(NEXT) | instid1(VALU_DEP_1)
	v_dual_add_f32 v9, v24, v9 :: v_dual_sub_f32 v24, v23, v28
	v_add_f32_e32 v9, v29, v9
	s_delay_alu instid0(VALU_DEP_1) | instskip(NEXT) | instid1(VALU_DEP_1)
	v_dual_sub_f32 v24, v25, v24 :: v_dual_mul_f32 v9, v22, v9
	v_add_f32_e32 v9, v24, v9
	s_delay_alu instid0(VALU_DEP_1) | instskip(NEXT) | instid1(VALU_DEP_1)
	v_add_f32_e32 v22, v23, v9
	v_mul_f32_e32 v24, v22, v22
	s_delay_alu instid0(VALU_DEP_1) | instskip(SKIP_1) | instid1(VALU_DEP_2)
	v_fmaak_f32 v25, s26, v24, 0x3ecc95a3
	v_mul_f32_e32 v26, v22, v24
	v_fmaak_f32 v24, v24, v25, 0x3f2aaada
	v_ldexp_f32 v25, v22, 1
	v_sub_f32_e32 v22, v22, v23
	s_delay_alu instid0(VALU_DEP_3) | instskip(NEXT) | instid1(VALU_DEP_2)
	v_mul_f32_e32 v24, v26, v24
	v_dual_mul_f32 v26, 0x3f317218, v8 :: v_dual_sub_f32 v9, v9, v22
	s_delay_alu instid0(VALU_DEP_2) | instskip(NEXT) | instid1(VALU_DEP_2)
	v_add_f32_e32 v23, v25, v24
	v_ldexp_f32 v9, v9, 1
	s_delay_alu instid0(VALU_DEP_2) | instskip(NEXT) | instid1(VALU_DEP_4)
	v_sub_f32_e32 v22, v23, v25
	v_fma_f32 v25, 0x3f317218, v8, -v26
	s_delay_alu instid0(VALU_DEP_1) | instskip(NEXT) | instid1(VALU_DEP_1)
	v_dual_sub_f32 v22, v24, v22 :: v_dual_fmac_f32 v25, 0xb102e308, v8
	v_add_f32_e32 v8, v9, v22
	s_delay_alu instid0(VALU_DEP_1) | instskip(NEXT) | instid1(VALU_DEP_1)
	v_add_f32_e32 v22, v23, v8
	v_sub_f32_e32 v23, v22, v23
	s_delay_alu instid0(VALU_DEP_1) | instskip(NEXT) | instid1(VALU_DEP_1)
	v_dual_sub_f32 v8, v8, v23 :: v_dual_add_f32 v9, v26, v25
	v_add_f32_e32 v24, v9, v22
	s_delay_alu instid0(VALU_DEP_1) | instskip(NEXT) | instid1(VALU_DEP_1)
	v_dual_sub_f32 v26, v9, v26 :: v_dual_sub_f32 v27, v24, v9
	v_dual_sub_f32 v25, v25, v26 :: v_dual_sub_f32 v28, v24, v27
	s_delay_alu instid0(VALU_DEP_1) | instskip(NEXT) | instid1(VALU_DEP_2)
	v_dual_sub_f32 v22, v22, v27 :: v_dual_add_f32 v23, v25, v8
	v_sub_f32_e32 v9, v9, v28
	s_delay_alu instid0(VALU_DEP_1) | instskip(NEXT) | instid1(VALU_DEP_3)
	v_add_f32_e32 v9, v22, v9
	v_sub_f32_e32 v22, v23, v25
	s_delay_alu instid0(VALU_DEP_2) | instskip(NEXT) | instid1(VALU_DEP_2)
	v_add_f32_e32 v9, v23, v9
	v_sub_f32_e32 v23, v23, v22
	v_sub_f32_e32 v8, v8, v22
	s_delay_alu instid0(VALU_DEP_2) | instskip(NEXT) | instid1(VALU_DEP_1)
	v_dual_add_f32 v26, v24, v9 :: v_dual_sub_f32 v23, v25, v23
	v_sub_f32_e32 v22, v26, v24
	s_delay_alu instid0(VALU_DEP_1) | instskip(NEXT) | instid1(VALU_DEP_1)
	v_dual_add_f32 v8, v8, v23 :: v_dual_sub_f32 v9, v9, v22
	v_add_f32_e32 v8, v8, v9
	s_delay_alu instid0(VALU_DEP_1) | instskip(NEXT) | instid1(VALU_DEP_1)
	v_add_f32_e32 v8, v26, v8
	v_cndmask_b32_e32 v8, v8, v10, vcc_lo
	v_cmp_ngt_f32_e32 vcc_lo, -1.0, v10
	s_delay_alu instid0(VALU_DEP_2) | instskip(SKIP_1) | instid1(VALU_DEP_2)
	v_cndmask_b32_e32 v8, 0x7fc00000, v8, vcc_lo
	v_cmp_neq_f32_e32 vcc_lo, -1.0, v10
	v_cndmask_b32_e32 v8, 0xff800000, v8, vcc_lo
	v_cmp_gt_f32_e64 vcc_lo, 0x33800000, |v10|
	s_delay_alu instid0(VALU_DEP_2) | instskip(NEXT) | instid1(VALU_DEP_1)
	v_cndmask_b32_e32 v8, v8, v10, vcc_lo
	v_mul_f32_e32 v8, 0x3e800000, v8
	s_and_not1_saveexec_b32 s34, s34
	s_cbranch_execz .LBB69_65
	s_branch .LBB69_64
.LBB69_63:                              ;   in Loop: Header=BB69_4 Depth=1
	s_and_not1_saveexec_b32 s34, s34
	s_cbranch_execz .LBB69_65
.LBB69_64:                              ;   in Loop: Header=BB69_4 Depth=1
	v_cmp_gt_f32_e64 s35, 0x800000, |v11|
	s_delay_alu instid0(VALU_DEP_1) | instskip(NEXT) | instid1(VALU_DEP_1)
	v_cndmask_b32_e64 v8, 1.0, 0x4f800000, s35
	v_mul_f32_e64 v8, |v11|, v8
	s_delay_alu instid0(VALU_DEP_1) | instskip(SKIP_3) | instid1(VALU_DEP_2)
	v_log_f32_e32 v8, v8
	s_waitcnt_depctr 0xfff
	v_mul_f32_e32 v9, 0x3f317217, v8
	v_cmp_gt_f32_e64 vcc_lo, 0x7f800000, |v8|
	v_fma_f32 v10, 0x3f317217, v8, -v9
	s_delay_alu instid0(VALU_DEP_1) | instskip(NEXT) | instid1(VALU_DEP_1)
	v_fmac_f32_e32 v10, 0x3377d1cf, v8
	v_add_f32_e32 v9, v9, v10
	s_delay_alu instid0(VALU_DEP_1) | instskip(SKIP_1) | instid1(VALU_DEP_1)
	v_cndmask_b32_e32 v8, v8, v9, vcc_lo
	v_cndmask_b32_e64 v9, 0, 0x41b17218, s35
	v_sub_f32_e32 v8, v8, v9
	s_delay_alu instid0(VALU_DEP_1) | instskip(NEXT) | instid1(VALU_DEP_1)
	v_sub_f32_e32 v8, 0x3f317218, v8
	v_mul_f32_e32 v8, 0.5, v8
.LBB69_65:                              ;   in Loop: Header=BB69_4 Depth=1
	s_or_b32 exec_lo, exec_lo, s34
                                        ; implicit-def: $vgpr10
	s_and_saveexec_b32 s34, s3
	s_delay_alu instid0(SALU_CYCLE_1)
	s_xor_b32 s34, exec_lo, s34
	s_cbranch_execz .LBB69_71
; %bb.66:                               ;   in Loop: Header=BB69_4 Depth=1
	v_sub_f32_e64 v9, 1.0, |v12|
	v_add_f32_e64 v10, |v12|, 1.0
	v_add_f32_e64 v7, |v11|, |v11|
	s_delay_alu instid0(VALU_DEP_2) | instskip(SKIP_1) | instid1(SALU_CYCLE_1)
	v_mul_f32_e32 v9, v9, v10
                                        ; implicit-def: $vgpr10
	s_and_saveexec_b32 s3, s2
	s_xor_b32 s3, exec_lo, s3
	s_cbranch_execz .LBB69_68
; %bb.67:                               ;   in Loop: Header=BB69_4 Depth=1
	s_delay_alu instid0(VALU_DEP_1) | instskip(SKIP_3) | instid1(VALU_DEP_4)
	v_fma_f32 v9, -v11, v11, v9
	v_max_f32_e64 v10, |v7|, |v7|
	v_cmp_eq_f32_e64 s2, 0, v7
	v_cmp_class_f32_e64 s35, v7, 0x204
	v_cmp_gt_f32_e64 vcc_lo, |v7|, |v9|
	s_delay_alu instid0(VALU_DEP_4) | instskip(SKIP_2) | instid1(VALU_DEP_3)
	v_max_f32_e64 v22, |v9|, v10
	v_min_f32_e64 v10, |v9|, v10
	v_cmp_class_f32_e64 s36, v9, 0x204
	v_frexp_mant_f32_e32 v23, v22
	v_frexp_exp_i32_f32_e32 v22, v22
	s_delay_alu instid0(VALU_DEP_4) | instskip(SKIP_1) | instid1(VALU_DEP_4)
	v_frexp_exp_i32_f32_e32 v24, v10
	v_frexp_mant_f32_e32 v10, v10
	v_rcp_f32_e32 v23, v23
	s_delay_alu instid0(VALU_DEP_2) | instskip(SKIP_2) | instid1(VALU_DEP_1)
	v_sub_nc_u32_e32 v22, v24, v22
	s_waitcnt_depctr 0xfff
	v_mul_f32_e32 v10, v10, v23
	v_ldexp_f32 v10, v10, v22
	s_delay_alu instid0(VALU_DEP_1) | instskip(NEXT) | instid1(VALU_DEP_1)
	v_mul_f32_e32 v22, v10, v10
	v_fmaak_f32 v23, s27, v22, 0xbc7a590c
	s_delay_alu instid0(VALU_DEP_1) | instskip(NEXT) | instid1(VALU_DEP_1)
	v_fmaak_f32 v23, v22, v23, 0x3d29fb3f
	v_fmaak_f32 v23, v22, v23, 0xbd97d4d7
	s_delay_alu instid0(VALU_DEP_1) | instskip(NEXT) | instid1(VALU_DEP_1)
	v_fmaak_f32 v23, v22, v23, 0x3dd931b2
	;; [unrolled: 3-line block ×3, first 2 shown]
	v_fmaak_f32 v23, v22, v23, 0xbeaaaa62
	s_delay_alu instid0(VALU_DEP_1) | instskip(NEXT) | instid1(VALU_DEP_1)
	v_mul_f32_e32 v22, v22, v23
	v_fmac_f32_e32 v10, v10, v22
	s_delay_alu instid0(VALU_DEP_1) | instskip(NEXT) | instid1(VALU_DEP_1)
	v_sub_f32_e32 v22, 0x3fc90fdb, v10
	v_cndmask_b32_e32 v10, v10, v22, vcc_lo
	v_cmp_gt_i32_e32 vcc_lo, 0, v9
	s_delay_alu instid0(VALU_DEP_2) | instskip(SKIP_2) | instid1(VALU_DEP_3)
	v_sub_f32_e32 v22, 0x40490fdb, v10
	v_cndmask_b32_e64 v23, 0, 0x40490fdb, vcc_lo
	v_cmp_gt_f32_e32 vcc_lo, 0, v9
	v_cndmask_b32_e32 v10, v10, v22, vcc_lo
	v_cndmask_b32_e32 v22, 0x3f490fdb, v21, vcc_lo
	s_and_b32 vcc_lo, s35, s36
	s_delay_alu instid0(VALU_DEP_2) | instskip(NEXT) | instid1(VALU_DEP_1)
	v_cndmask_b32_e64 v10, v10, v23, s2
	v_cndmask_b32_e32 v10, v10, v22, vcc_lo
	v_cmp_o_f32_e32 vcc_lo, v9, v7
	s_delay_alu instid0(VALU_DEP_2) | instskip(NEXT) | instid1(VALU_DEP_1)
	v_cndmask_b32_e32 v9, 0x7fc00000, v10, vcc_lo
	v_bfi_b32 v10, 0x7fffffff, v9, v7
                                        ; implicit-def: $vgpr7
                                        ; implicit-def: $vgpr9
.LBB69_68:                              ;   in Loop: Header=BB69_4 Depth=1
	s_and_not1_saveexec_b32 s35, s3
	s_cbranch_execz .LBB69_70
; %bb.69:                               ;   in Loop: Header=BB69_4 Depth=1
	v_max_f32_e32 v10, v7, v7
	v_max_f32_e64 v22, |v9|, |v9|
	v_cmp_gt_f32_e64 vcc_lo, v7, |v9|
	v_cmp_eq_f32_e64 s3, 0, v7
	v_cmp_class_f32_e64 s36, v9, 0x204
	v_cmp_eq_f32_e64 s2, 0x7f800000, v7
	v_max_f32_e32 v23, v22, v10
	v_min_f32_e32 v10, v22, v10
	s_delay_alu instid0(VALU_DEP_2) | instskip(SKIP_1) | instid1(VALU_DEP_2)
	v_frexp_mant_f32_e32 v24, v23
	v_frexp_exp_i32_f32_e32 v23, v23
	v_rcp_f32_e32 v22, v24
	s_delay_alu instid0(VALU_DEP_3) | instskip(SKIP_1) | instid1(VALU_DEP_2)
	v_frexp_exp_i32_f32_e32 v24, v10
	v_frexp_mant_f32_e32 v10, v10
	v_sub_nc_u32_e32 v23, v24, v23
	s_waitcnt_depctr 0xfff
	v_mul_f32_e32 v10, v10, v22
	s_delay_alu instid0(VALU_DEP_1) | instskip(NEXT) | instid1(VALU_DEP_1)
	v_ldexp_f32 v10, v10, v23
	v_mul_f32_e32 v22, v10, v10
	s_delay_alu instid0(VALU_DEP_1) | instskip(NEXT) | instid1(VALU_DEP_1)
	v_fmaak_f32 v23, s27, v22, 0xbc7a590c
	v_fmaak_f32 v23, v22, v23, 0x3d29fb3f
	s_delay_alu instid0(VALU_DEP_1) | instskip(NEXT) | instid1(VALU_DEP_1)
	v_fmaak_f32 v23, v22, v23, 0xbd97d4d7
	v_fmaak_f32 v23, v22, v23, 0x3dd931b2
	;; [unrolled: 3-line block ×3, first 2 shown]
	s_delay_alu instid0(VALU_DEP_1) | instskip(NEXT) | instid1(VALU_DEP_1)
	v_fmaak_f32 v23, v22, v23, 0xbeaaaa62
	v_mul_f32_e32 v22, v22, v23
	s_delay_alu instid0(VALU_DEP_1) | instskip(NEXT) | instid1(VALU_DEP_1)
	v_fmac_f32_e32 v10, v10, v22
	v_sub_f32_e32 v22, 0x3fc90fdb, v10
	s_delay_alu instid0(VALU_DEP_1) | instskip(SKIP_1) | instid1(VALU_DEP_2)
	v_cndmask_b32_e32 v10, v10, v22, vcc_lo
	v_cmp_gt_i32_e32 vcc_lo, 0, v9
	v_sub_f32_e32 v22, 0x40490fdb, v10
	v_cndmask_b32_e64 v23, 0, 0x40490fdb, vcc_lo
	v_cmp_gt_f32_e32 vcc_lo, 0, v9
	s_delay_alu instid0(VALU_DEP_3) | instskip(NEXT) | instid1(VALU_DEP_1)
	v_cndmask_b32_e32 v10, v10, v22, vcc_lo
	v_cndmask_b32_e64 v7, v10, v23, s3
	v_cndmask_b32_e32 v10, 0x3f490fdb, v21, vcc_lo
	s_and_b32 vcc_lo, s2, s36
	s_delay_alu instid0(VALU_DEP_1) | instskip(SKIP_1) | instid1(VALU_DEP_2)
	v_cndmask_b32_e32 v7, v7, v10, vcc_lo
	v_cmp_o_f32_e32 vcc_lo, v9, v9
	v_cndmask_b32_e64 v10, 0x7fc00000, |v7|, vcc_lo
.LBB69_70:                              ;   in Loop: Header=BB69_4 Depth=1
	s_or_b32 exec_lo, exec_lo, s35
                                        ; implicit-def: $vgpr7
	s_and_not1_saveexec_b32 s2, s34
	s_cbranch_execnz .LBB69_72
	s_branch .LBB69_73
.LBB69_71:                              ;   in Loop: Header=BB69_4 Depth=1
	s_and_not1_saveexec_b32 s2, s34
	s_cbranch_execz .LBB69_73
.LBB69_72:                              ;   in Loop: Header=BB69_4 Depth=1
	v_max_f32_e32 v9, 2.0, v7
	v_min_f32_e32 v7, 2.0, v7
	v_cmp_lt_f32_e64 vcc_lo, |v11|, 2.0
	s_delay_alu instid0(VALU_DEP_3) | instskip(NEXT) | instid1(VALU_DEP_3)
	v_frexp_mant_f32_e32 v10, v9
	v_frexp_mant_f32_e32 v22, v7
	v_frexp_exp_i32_f32_e32 v7, v7
	s_delay_alu instid0(VALU_DEP_3) | instskip(SKIP_3) | instid1(VALU_DEP_1)
	v_rcp_f32_e32 v10, v10
	s_waitcnt_depctr 0xfff
	v_mul_f32_e32 v10, v22, v10
	v_frexp_exp_i32_f32_e32 v9, v9
	v_sub_nc_u32_e32 v7, v7, v9
	s_delay_alu instid0(VALU_DEP_1) | instskip(NEXT) | instid1(VALU_DEP_1)
	v_ldexp_f32 v7, v10, v7
	v_mul_f32_e32 v9, v7, v7
	s_delay_alu instid0(VALU_DEP_1) | instskip(NEXT) | instid1(VALU_DEP_1)
	v_fmaak_f32 v10, s27, v9, 0xbc7a590c
	v_fmaak_f32 v10, v9, v10, 0x3d29fb3f
	s_delay_alu instid0(VALU_DEP_1) | instskip(NEXT) | instid1(VALU_DEP_1)
	v_fmaak_f32 v10, v9, v10, 0xbd97d4d7
	v_fmaak_f32 v10, v9, v10, 0x3dd931b2
	;; [unrolled: 3-line block ×3, first 2 shown]
	s_delay_alu instid0(VALU_DEP_1) | instskip(NEXT) | instid1(VALU_DEP_1)
	v_fmaak_f32 v10, v9, v10, 0xbeaaaa62
	v_mul_f32_e32 v9, v9, v10
	s_delay_alu instid0(VALU_DEP_1) | instskip(NEXT) | instid1(VALU_DEP_1)
	v_fmac_f32_e32 v7, v7, v9
	v_sub_f32_e32 v9, 0x3fc90fdb, v7
	s_delay_alu instid0(VALU_DEP_1) | instskip(SKIP_1) | instid1(VALU_DEP_2)
	v_cndmask_b32_e32 v7, v7, v9, vcc_lo
	v_cmp_lg_f32_e32 vcc_lo, 0, v11
	v_sub_f32_e32 v9, 0x40490fdb, v7
	s_delay_alu instid0(VALU_DEP_1) | instskip(NEXT) | instid1(VALU_DEP_1)
	v_cndmask_b32_e32 v7, v7, v9, vcc_lo
	v_and_b32_e32 v10, 0x7fffffff, v7
.LBB69_73:                              ;   in Loop: Header=BB69_4 Depth=1
	s_or_b32 exec_lo, exec_lo, s2
	s_delay_alu instid0(VALU_DEP_1) | instskip(SKIP_1) | instid1(VALU_DEP_2)
	v_mul_f32_e32 v7, 0.5, v10
	v_bfi_b32 v8, 0x7fffffff, v8, v12
	v_bfi_b32 v7, 0x7fffffff, v7, v11
                                        ; implicit-def: $vgpr11
.LBB69_74:                              ;   in Loop: Header=BB69_4 Depth=1
	s_and_not1_saveexec_b32 s2, s33
	s_cbranch_execz .LBB69_76
; %bb.75:                               ;   in Loop: Header=BB69_4 Depth=1
	v_dual_mov_b32 v7, s14 :: v_dual_mov_b32 v8, s15
	flat_store_b32 v[7:8], v20 dlc
	s_waitcnt_vscnt null, 0x0
	flat_load_b32 v7, v[7:8] glc dlc
	s_waitcnt vmcnt(0) lgkmcnt(0)
	v_add_f32_e32 v9, 1.0, v7
	v_dual_mov_b32 v7, s16 :: v_dual_mov_b32 v8, s17
	flat_store_b32 v[7:8], v9 dlc
	s_waitcnt_vscnt null, 0x0
	flat_load_b32 v7, v[7:8] glc dlc
	s_waitcnt vmcnt(0) lgkmcnt(0)
	v_dual_mov_b32 v8, v12 :: v_dual_mov_b32 v7, v11
.LBB69_76:                              ;   in Loop: Header=BB69_4 Depth=1
	s_or_b32 exec_lo, exec_lo, s2
                                        ; implicit-def: $vgpr9_vgpr10_vgpr11_vgpr12
.LBB69_77:                              ;   in Loop: Header=BB69_4 Depth=1
	s_and_not1_saveexec_b32 s2, s31
	s_cbranch_execz .LBB69_91
; %bb.78:                               ;   in Loop: Header=BB69_4 Depth=1
	v_and_b32_e32 v7, 0x7f800000, v12
	v_and_b32_e32 v8, 0x7f800000, v11
	v_cmp_neq_f32_e64 s3, 0x7f800000, |v12|
	s_delay_alu instid0(VALU_DEP_2) | instskip(NEXT) | instid1(VALU_DEP_1)
	v_sub_nc_u32_e32 v9, v7, v8
	v_cmp_gt_i32_e32 vcc_lo, 0x6800000, v9
	s_delay_alu instid0(VALU_DEP_3) | instskip(NEXT) | instid1(SALU_CYCLE_1)
	s_and_b32 s3, s3, vcc_lo
	s_and_saveexec_b32 s31, s3
	s_delay_alu instid0(SALU_CYCLE_1)
	s_xor_b32 s3, exec_lo, s31
	s_cbranch_execz .LBB69_88
; %bb.79:                               ;   in Loop: Header=BB69_4 Depth=1
	v_sub_nc_u32_e32 v8, v8, v7
	s_mov_b32 s31, exec_lo
	s_delay_alu instid0(VALU_DEP_1)
	v_cmpx_gt_i32_e32 0x6800000, v8
	s_xor_b32 s31, exec_lo, s31
	s_cbranch_execz .LBB69_85
; %bb.80:                               ;   in Loop: Header=BB69_4 Depth=1
	s_mov_b32 s33, exec_lo
	v_cmpx_lt_u32_e32 0x59000000, v7
	s_xor_b32 s33, exec_lo, s33
	s_cbranch_execz .LBB69_82
; %bb.81:                               ;   in Loop: Header=BB69_4 Depth=1
	v_sub_nc_u32_e32 v7, 0x7f800000, v7
	s_delay_alu instid0(VALU_DEP_1) | instskip(SKIP_1) | instid1(VALU_DEP_2)
	v_mul_f32_e32 v8, v11, v7
	v_mul_f32_e32 v9, v12, v7
	v_mul_f32_e32 v8, v8, v8
	s_delay_alu instid0(VALU_DEP_1) | instskip(NEXT) | instid1(VALU_DEP_1)
	v_fmac_f32_e32 v8, v9, v9
	v_div_scale_f32 v10, null, v8, v8, v9
	s_delay_alu instid0(VALU_DEP_1) | instskip(SKIP_2) | instid1(VALU_DEP_1)
	v_rcp_f32_e32 v22, v10
	s_waitcnt_depctr 0xfff
	v_fma_f32 v23, -v10, v22, 1.0
	v_fmac_f32_e32 v22, v23, v22
	v_div_scale_f32 v23, vcc_lo, v9, v8, v9
	s_delay_alu instid0(VALU_DEP_1) | instskip(NEXT) | instid1(VALU_DEP_1)
	v_mul_f32_e32 v24, v23, v22
	v_fma_f32 v25, -v10, v24, v23
	s_delay_alu instid0(VALU_DEP_1) | instskip(NEXT) | instid1(VALU_DEP_1)
	v_fmac_f32_e32 v24, v25, v22
	v_fma_f32 v10, -v10, v24, v23
	s_delay_alu instid0(VALU_DEP_1) | instskip(NEXT) | instid1(VALU_DEP_1)
	v_div_fmas_f32 v10, v10, v22, v24
	v_div_fixup_f32 v8, v10, v8, v9
	s_delay_alu instid0(VALU_DEP_1)
	v_mul_f32_e32 v8, v8, v7
.LBB69_82:                              ;   in Loop: Header=BB69_4 Depth=1
	s_and_not1_saveexec_b32 s33, s33
	s_cbranch_execz .LBB69_84
; %bb.83:                               ;   in Loop: Header=BB69_4 Depth=1
	v_mul_f32_e32 v7, v12, v12
	s_delay_alu instid0(VALU_DEP_1) | instskip(NEXT) | instid1(VALU_DEP_1)
	v_fmac_f32_e32 v7, v11, v11
	v_div_scale_f32 v8, null, v7, v7, v12
	s_delay_alu instid0(VALU_DEP_1) | instskip(SKIP_2) | instid1(VALU_DEP_1)
	v_rcp_f32_e32 v9, v8
	s_waitcnt_depctr 0xfff
	v_fma_f32 v10, -v8, v9, 1.0
	v_fmac_f32_e32 v9, v10, v9
	v_div_scale_f32 v10, vcc_lo, v12, v7, v12
	s_delay_alu instid0(VALU_DEP_1) | instskip(NEXT) | instid1(VALU_DEP_1)
	v_mul_f32_e32 v22, v10, v9
	v_fma_f32 v23, -v8, v22, v10
	s_delay_alu instid0(VALU_DEP_1) | instskip(NEXT) | instid1(VALU_DEP_1)
	v_fmac_f32_e32 v22, v23, v9
	v_fma_f32 v8, -v8, v22, v10
	s_delay_alu instid0(VALU_DEP_1) | instskip(NEXT) | instid1(VALU_DEP_1)
	v_div_fmas_f32 v8, v8, v9, v22
	v_div_fixup_f32 v8, v8, v7, v12
.LBB69_84:                              ;   in Loop: Header=BB69_4 Depth=1
	s_or_b32 exec_lo, exec_lo, s33
.LBB69_85:                              ;   in Loop: Header=BB69_4 Depth=1
	s_and_not1_saveexec_b32 s31, s31
	s_cbranch_execz .LBB69_87
; %bb.86:                               ;   in Loop: Header=BB69_4 Depth=1
	v_div_scale_f32 v7, null, v11, v11, v12
	v_div_scale_f32 v10, vcc_lo, v12, v11, v12
	s_delay_alu instid0(VALU_DEP_2) | instskip(SKIP_2) | instid1(VALU_DEP_1)
	v_rcp_f32_e32 v8, v7
	s_waitcnt_depctr 0xfff
	v_fma_f32 v9, -v7, v8, 1.0
	v_fmac_f32_e32 v8, v9, v8
	s_delay_alu instid0(VALU_DEP_1) | instskip(NEXT) | instid1(VALU_DEP_1)
	v_mul_f32_e32 v9, v10, v8
	v_fma_f32 v22, -v7, v9, v10
	s_delay_alu instid0(VALU_DEP_1) | instskip(NEXT) | instid1(VALU_DEP_1)
	v_fmac_f32_e32 v9, v22, v8
	v_fma_f32 v7, -v7, v9, v10
	s_delay_alu instid0(VALU_DEP_1) | instskip(NEXT) | instid1(VALU_DEP_1)
	v_div_fmas_f32 v7, v7, v8, v9
	v_div_fixup_f32 v7, v7, v11, v12
	s_delay_alu instid0(VALU_DEP_1) | instskip(NEXT) | instid1(VALU_DEP_1)
	v_div_scale_f32 v8, null, v11, v11, v7
	v_rcp_f32_e32 v9, v8
	s_waitcnt_depctr 0xfff
	v_fma_f32 v10, -v8, v9, 1.0
	s_delay_alu instid0(VALU_DEP_1) | instskip(SKIP_1) | instid1(VALU_DEP_1)
	v_fmac_f32_e32 v9, v10, v9
	v_div_scale_f32 v10, vcc_lo, v7, v11, v7
	v_mul_f32_e32 v22, v10, v9
	s_delay_alu instid0(VALU_DEP_1) | instskip(NEXT) | instid1(VALU_DEP_1)
	v_fma_f32 v23, -v8, v22, v10
	v_fmac_f32_e32 v22, v23, v9
	s_delay_alu instid0(VALU_DEP_1) | instskip(NEXT) | instid1(VALU_DEP_1)
	v_fma_f32 v8, -v8, v22, v10
	v_div_fmas_f32 v8, v8, v9, v22
	s_delay_alu instid0(VALU_DEP_1)
	v_div_fixup_f32 v8, v8, v11, v7
.LBB69_87:                              ;   in Loop: Header=BB69_4 Depth=1
	s_or_b32 exec_lo, exec_lo, s31
.LBB69_88:                              ;   in Loop: Header=BB69_4 Depth=1
	s_and_not1_saveexec_b32 s3, s3
; %bb.89:                               ;   in Loop: Header=BB69_4 Depth=1
	v_div_scale_f32 v7, null, v12, v12, 1.0
	s_delay_alu instid0(VALU_DEP_1) | instskip(SKIP_2) | instid1(VALU_DEP_1)
	v_rcp_f32_e32 v8, v7
	s_waitcnt_depctr 0xfff
	v_fma_f32 v9, -v7, v8, 1.0
	v_fmac_f32_e32 v8, v9, v8
	v_div_scale_f32 v9, vcc_lo, 1.0, v12, 1.0
	s_delay_alu instid0(VALU_DEP_1) | instskip(NEXT) | instid1(VALU_DEP_1)
	v_mul_f32_e32 v10, v9, v8
	v_fma_f32 v22, -v7, v10, v9
	s_delay_alu instid0(VALU_DEP_1) | instskip(NEXT) | instid1(VALU_DEP_1)
	v_fmac_f32_e32 v10, v22, v8
	v_fma_f32 v7, -v7, v10, v9
	s_delay_alu instid0(VALU_DEP_1) | instskip(NEXT) | instid1(VALU_DEP_1)
	v_div_fmas_f32 v7, v7, v8, v10
	v_div_fixup_f32 v8, v7, v12, 1.0
; %bb.90:                               ;   in Loop: Header=BB69_4 Depth=1
	s_or_b32 exec_lo, exec_lo, s3
	v_dual_mov_b32 v9, s12 :: v_dual_mov_b32 v10, s13
	flat_load_b32 v7, v[9:10] glc dlc
	s_waitcnt vmcnt(0) lgkmcnt(0)
	v_add_f32_e32 v7, 0x3fc90fdb, v7
	s_delay_alu instid0(VALU_DEP_1)
	v_bfi_b32 v7, 0x7fffffff, v7, v11
.LBB69_91:                              ;   in Loop: Header=BB69_4 Depth=1
	s_or_b32 exec_lo, exec_lo, s2
                                        ; implicit-def: $vgpr9_vgpr10_vgpr11_vgpr12
.LBB69_92:                              ;   in Loop: Header=BB69_4 Depth=1
	s_and_not1_saveexec_b32 s2, s30
	s_cbranch_execz .LBB69_102
; %bb.93:                               ;   in Loop: Header=BB69_4 Depth=1
	v_cmp_neq_f32_e64 s3, 0x7f800000, |v12|
	s_delay_alu instid0(VALU_DEP_1) | instskip(NEXT) | instid1(SALU_CYCLE_1)
	s_and_saveexec_b32 s30, s3
	s_xor_b32 s3, exec_lo, s30
	s_cbranch_execz .LBB69_99
; %bb.94:                               ;   in Loop: Header=BB69_4 Depth=1
	v_cmp_neq_f32_e64 s30, 0x7f800000, |v11|
	s_delay_alu instid0(VALU_DEP_1) | instskip(NEXT) | instid1(SALU_CYCLE_1)
	s_and_saveexec_b32 s31, s30
	s_xor_b32 s30, exec_lo, s31
; %bb.95:                               ;   in Loop: Header=BB69_4 Depth=1
	v_add_f32_e32 v7, 0, v11
	s_delay_alu instid0(VALU_DEP_1)
	v_add_f32_e32 v7, v7, v12
                                        ; implicit-def: $vgpr9_vgpr10_vgpr11_vgpr12
; %bb.96:                               ;   in Loop: Header=BB69_4 Depth=1
	s_or_saveexec_b32 s30, s30
	s_delay_alu instid0(VALU_DEP_1)
	v_mov_b32_e32 v8, v7
	s_xor_b32 exec_lo, exec_lo, s30
	s_cbranch_execz .LBB69_98
; %bb.97:                               ;   in Loop: Header=BB69_4 Depth=1
	v_dual_mov_b32 v7, s12 :: v_dual_mov_b32 v8, s13
	flat_load_b32 v7, v[7:8] glc dlc
	s_waitcnt vmcnt(0)
	v_bfi_b32 v8, 0x7fffffff, 0, v12
	s_waitcnt lgkmcnt(0)
	v_add_f32_e32 v7, 0x3fc90fdb, v7
	s_delay_alu instid0(VALU_DEP_1)
	v_bfi_b32 v7, 0x7fffffff, v7, v11
.LBB69_98:                              ;   in Loop: Header=BB69_4 Depth=1
	s_or_b32 exec_lo, exec_lo, s30
                                        ; implicit-def: $vgpr9_vgpr10_vgpr11_vgpr12
.LBB69_99:                              ;   in Loop: Header=BB69_4 Depth=1
	s_and_not1_saveexec_b32 s3, s3
; %bb.100:                              ;   in Loop: Header=BB69_4 Depth=1
	v_bfi_b32 v8, 0x7fffffff, 0, v12
	v_add_f32_e32 v7, v11, v11
; %bb.101:                              ;   in Loop: Header=BB69_4 Depth=1
	s_or_b32 exec_lo, exec_lo, s3
.LBB69_102:                             ;   in Loop: Header=BB69_4 Depth=1
	s_delay_alu instid0(SALU_CYCLE_1)
	s_or_b32 exec_lo, exec_lo, s2
                                        ; implicit-def: $vgpr9_vgpr10_vgpr11_vgpr12
.LBB69_103:                             ;   in Loop: Header=BB69_4 Depth=1
	s_and_not1_saveexec_b32 s2, s29
	s_cbranch_execz .LBB69_105
; %bb.104:                              ;   in Loop: Header=BB69_4 Depth=1
	v_rcp_f32_e64 v7, |v11|
	v_cmp_gt_f32_e64 vcc_lo, |v11|, 1.0
	s_waitcnt_depctr 0xfff
	v_cndmask_b32_e64 v7, |v11|, v7, vcc_lo
	s_delay_alu instid0(VALU_DEP_1) | instskip(NEXT) | instid1(VALU_DEP_1)
	v_mul_f32_e32 v8, v7, v7
	v_fmaak_f32 v9, s27, v8, 0xbc7a590c
	s_delay_alu instid0(VALU_DEP_1) | instskip(NEXT) | instid1(VALU_DEP_1)
	v_fmaak_f32 v9, v8, v9, 0x3d29fb3f
	v_fmaak_f32 v9, v8, v9, 0xbd97d4d7
	s_delay_alu instid0(VALU_DEP_1) | instskip(NEXT) | instid1(VALU_DEP_1)
	v_fmaak_f32 v9, v8, v9, 0x3dd931b2
	;; [unrolled: 3-line block ×3, first 2 shown]
	v_fmaak_f32 v9, v8, v9, 0xbeaaaa62
	s_delay_alu instid0(VALU_DEP_1) | instskip(NEXT) | instid1(VALU_DEP_1)
	v_mul_f32_e32 v8, v8, v9
	v_fmac_f32_e32 v7, v7, v8
	s_delay_alu instid0(VALU_DEP_1) | instskip(NEXT) | instid1(VALU_DEP_1)
	v_sub_f32_e32 v8, 0x3fc90fdb, v7
	v_dual_cndmask_b32 v7, v7, v8 :: v_dual_mov_b32 v8, v12
	s_delay_alu instid0(VALU_DEP_1)
	v_bfi_b32 v7, 0x7fffffff, v7, v11
.LBB69_105:                             ;   in Loop: Header=BB69_4 Depth=1
	s_or_b32 exec_lo, exec_lo, s2
                                        ; implicit-def: $vgpr9_vgpr10_vgpr11_vgpr12
.LBB69_106:                             ;   in Loop: Header=BB69_4 Depth=1
	s_and_not1_saveexec_b32 s2, s28
	s_cbranch_execz .LBB69_108
; %bb.107:                              ;   in Loop: Header=BB69_4 Depth=1
	v_sub_f32_e64 v7, 1.0, |v12|
	v_add_f32_e64 v9, |v12|, 1.0
	v_cmp_gt_f32_e64 s3, 0x39800000, |v12|
	s_delay_alu instid0(VALU_DEP_3) | instskip(SKIP_2) | instid1(VALU_DEP_1)
	v_rcp_f32_e32 v8, v7
	s_waitcnt_depctr 0xfff
	v_mul_f32_e32 v10, v9, v8
	v_dual_sub_f32 v22, 1.0, v7 :: v_dual_mul_f32 v23, v7, v10
	s_delay_alu instid0(VALU_DEP_1) | instskip(NEXT) | instid1(VALU_DEP_2)
	v_sub_f32_e64 v22, v22, |v12|
	v_fma_f32 v7, v10, v7, -v23
	s_delay_alu instid0(VALU_DEP_1) | instskip(NEXT) | instid1(VALU_DEP_1)
	v_fmac_f32_e32 v7, v10, v22
	v_add_f32_e32 v22, v23, v7
	s_delay_alu instid0(VALU_DEP_1) | instskip(NEXT) | instid1(VALU_DEP_1)
	v_sub_f32_e32 v24, v9, v22
	v_sub_f32_e32 v25, v9, v24
	v_add_f32_e32 v9, -1.0, v9
	s_delay_alu instid0(VALU_DEP_2) | instskip(NEXT) | instid1(VALU_DEP_2)
	v_dual_sub_f32 v23, v22, v23 :: v_dual_sub_f32 v22, v25, v22
	v_sub_f32_e64 v9, |v12|, v9
	s_delay_alu instid0(VALU_DEP_2) | instskip(NEXT) | instid1(VALU_DEP_1)
	v_sub_f32_e32 v7, v23, v7
	v_add_f32_e32 v7, v7, v22
	s_delay_alu instid0(VALU_DEP_1) | instskip(NEXT) | instid1(VALU_DEP_1)
	v_add_f32_e32 v7, v9, v7
	v_add_f32_e32 v7, v24, v7
	s_delay_alu instid0(VALU_DEP_1) | instskip(NEXT) | instid1(VALU_DEP_1)
	v_mul_f32_e32 v9, v8, v7
	v_add_f32_e32 v22, v10, v9
	s_delay_alu instid0(VALU_DEP_1) | instskip(SKIP_1) | instid1(VALU_DEP_1)
	v_cvt_f64_f32_e32 v[7:8], v22
	v_sub_f32_e32 v10, v22, v10
	v_sub_f32_e32 v9, v9, v10
	s_delay_alu instid0(VALU_DEP_3) | instskip(SKIP_1) | instid1(VALU_DEP_1)
	v_frexp_exp_i32_f64_e32 v7, v[7:8]
	v_frexp_mant_f32_e32 v8, v22
	v_cmp_gt_f32_e32 vcc_lo, 0x3f2aaaab, v8
	s_delay_alu instid0(VALU_DEP_3) | instskip(SKIP_1) | instid1(VALU_DEP_2)
	v_subrev_co_ci_u32_e32 v7, vcc_lo, 0, v7, vcc_lo
	v_cmp_ngt_f32_e64 vcc_lo, |v12|, 1.0
	v_sub_nc_u32_e32 v8, 0, v7
	v_cvt_f32_i32_e32 v7, v7
	s_delay_alu instid0(VALU_DEP_2) | instskip(SKIP_1) | instid1(VALU_DEP_2)
	v_ldexp_f32 v23, v22, v8
	v_ldexp_f32 v8, v9, v8
	v_add_f32_e32 v22, 1.0, v23
	s_delay_alu instid0(VALU_DEP_1) | instskip(NEXT) | instid1(VALU_DEP_1)
	v_add_f32_e32 v10, -1.0, v22
	v_dual_sub_f32 v10, v23, v10 :: v_dual_add_f32 v9, -1.0, v23
	s_delay_alu instid0(VALU_DEP_1) | instskip(NEXT) | instid1(VALU_DEP_2)
	v_add_f32_e32 v10, v8, v10
	v_add_f32_e32 v24, 1.0, v9
	s_delay_alu instid0(VALU_DEP_1) | instskip(NEXT) | instid1(VALU_DEP_1)
	v_dual_sub_f32 v23, v23, v24 :: v_dual_add_f32 v24, v22, v10
	v_add_f32_e32 v8, v8, v23
	s_delay_alu instid0(VALU_DEP_2) | instskip(NEXT) | instid1(VALU_DEP_1)
	v_rcp_f32_e32 v23, v24
	v_dual_add_f32 v25, v9, v8 :: v_dual_sub_f32 v22, v24, v22
	s_delay_alu instid0(VALU_DEP_1) | instskip(SKIP_3) | instid1(VALU_DEP_2)
	v_sub_f32_e32 v9, v25, v9
	s_waitcnt_depctr 0xfff
	v_mul_f32_e32 v26, v25, v23
	v_sub_f32_e32 v10, v10, v22
	v_mul_f32_e32 v27, v24, v26
	s_delay_alu instid0(VALU_DEP_1) | instskip(NEXT) | instid1(VALU_DEP_1)
	v_fma_f32 v22, v26, v24, -v27
	v_fmac_f32_e32 v22, v26, v10
	s_delay_alu instid0(VALU_DEP_1) | instskip(NEXT) | instid1(VALU_DEP_1)
	v_add_f32_e32 v28, v27, v22
	v_sub_f32_e32 v29, v25, v28
	s_delay_alu instid0(VALU_DEP_1) | instskip(SKIP_2) | instid1(VALU_DEP_3)
	v_sub_f32_e32 v25, v25, v29
	v_sub_f32_e32 v8, v8, v9
	;; [unrolled: 1-line block ×4, first 2 shown]
	s_delay_alu instid0(VALU_DEP_1) | instskip(NEXT) | instid1(VALU_DEP_1)
	v_dual_sub_f32 v9, v9, v22 :: v_dual_add_f32 v8, v8, v25
	v_add_f32_e32 v8, v9, v8
	s_delay_alu instid0(VALU_DEP_1) | instskip(NEXT) | instid1(VALU_DEP_1)
	v_add_f32_e32 v9, v29, v8
	v_mul_f32_e32 v22, v23, v9
	s_delay_alu instid0(VALU_DEP_1) | instskip(NEXT) | instid1(VALU_DEP_1)
	v_dual_sub_f32 v28, v29, v9 :: v_dual_mul_f32 v25, v24, v22
	v_add_f32_e32 v8, v8, v28
	s_delay_alu instid0(VALU_DEP_2) | instskip(NEXT) | instid1(VALU_DEP_1)
	v_fma_f32 v24, v22, v24, -v25
	v_fmac_f32_e32 v24, v22, v10
	s_delay_alu instid0(VALU_DEP_1) | instskip(NEXT) | instid1(VALU_DEP_1)
	v_add_f32_e32 v10, v25, v24
	v_sub_f32_e32 v27, v9, v10
	s_delay_alu instid0(VALU_DEP_1) | instskip(NEXT) | instid1(VALU_DEP_1)
	v_sub_f32_e32 v9, v9, v27
	v_sub_f32_e32 v9, v9, v10
	s_delay_alu instid0(VALU_DEP_1) | instskip(SKIP_1) | instid1(VALU_DEP_1)
	v_dual_add_f32 v8, v8, v9 :: v_dual_add_f32 v9, v26, v22
	v_sub_f32_e32 v25, v10, v25
	v_sub_f32_e32 v10, v25, v24
	s_delay_alu instid0(VALU_DEP_1) | instskip(NEXT) | instid1(VALU_DEP_4)
	v_add_f32_e32 v8, v10, v8
	v_sub_f32_e32 v10, v9, v26
	s_delay_alu instid0(VALU_DEP_2) | instskip(NEXT) | instid1(VALU_DEP_2)
	v_add_f32_e32 v8, v27, v8
	v_sub_f32_e32 v10, v22, v10
	s_delay_alu instid0(VALU_DEP_2) | instskip(NEXT) | instid1(VALU_DEP_1)
	v_mul_f32_e32 v8, v23, v8
	v_add_f32_e32 v8, v10, v8
	s_delay_alu instid0(VALU_DEP_1) | instskip(NEXT) | instid1(VALU_DEP_1)
	v_add_f32_e32 v10, v9, v8
	v_mul_f32_e32 v22, v10, v10
	v_sub_f32_e32 v9, v10, v9
	s_delay_alu instid0(VALU_DEP_2) | instskip(SKIP_1) | instid1(VALU_DEP_3)
	v_fmaak_f32 v23, s26, v22, 0x3ecc95a3
	v_mul_f32_e32 v24, v10, v22
	v_sub_f32_e32 v8, v8, v9
	s_delay_alu instid0(VALU_DEP_3) | instskip(SKIP_1) | instid1(VALU_DEP_3)
	v_fmaak_f32 v22, v22, v23, 0x3f2aaada
	v_ldexp_f32 v23, v10, 1
	v_ldexp_f32 v8, v8, 1
	s_delay_alu instid0(VALU_DEP_3) | instskip(SKIP_1) | instid1(VALU_DEP_2)
	v_mul_f32_e32 v22, v24, v22
	v_mul_f32_e32 v24, 0x3f317218, v7
	v_add_f32_e32 v10, v23, v22
	s_delay_alu instid0(VALU_DEP_1) | instskip(NEXT) | instid1(VALU_DEP_3)
	v_sub_f32_e32 v9, v10, v23
	v_fma_f32 v23, 0x3f317218, v7, -v24
	s_delay_alu instid0(VALU_DEP_2) | instskip(NEXT) | instid1(VALU_DEP_2)
	v_sub_f32_e32 v9, v22, v9
	v_fmac_f32_e32 v23, 0xb102e308, v7
	s_delay_alu instid0(VALU_DEP_2) | instskip(NEXT) | instid1(VALU_DEP_2)
	v_add_f32_e32 v7, v8, v9
	v_add_f32_e32 v8, v24, v23
	s_delay_alu instid0(VALU_DEP_1) | instskip(NEXT) | instid1(VALU_DEP_1)
	v_dual_add_f32 v9, v10, v7 :: v_dual_sub_f32 v24, v8, v24
	v_dual_add_f32 v22, v8, v9 :: v_dual_sub_f32 v23, v23, v24
	s_delay_alu instid0(VALU_DEP_1) | instskip(NEXT) | instid1(VALU_DEP_1)
	v_dual_sub_f32 v25, v22, v8 :: v_dual_sub_f32 v10, v9, v10
	v_dual_sub_f32 v26, v22, v25 :: v_dual_sub_f32 v7, v7, v10
	s_delay_alu instid0(VALU_DEP_1) | instskip(NEXT) | instid1(VALU_DEP_2)
	v_dual_sub_f32 v9, v9, v25 :: v_dual_sub_f32 v8, v8, v26
	v_add_f32_e32 v10, v23, v7
	s_delay_alu instid0(VALU_DEP_1) | instskip(NEXT) | instid1(VALU_DEP_1)
	v_dual_add_f32 v8, v9, v8 :: v_dual_sub_f32 v9, v10, v23
	v_add_f32_e32 v8, v10, v8
	s_delay_alu instid0(VALU_DEP_2) | instskip(NEXT) | instid1(VALU_DEP_2)
	v_sub_f32_e32 v10, v10, v9
	v_dual_sub_f32 v7, v7, v9 :: v_dual_add_f32 v24, v22, v8
	s_delay_alu instid0(VALU_DEP_2) | instskip(NEXT) | instid1(VALU_DEP_1)
	v_sub_f32_e32 v9, v23, v10
	v_dual_sub_f32 v10, v24, v22 :: v_dual_add_f32 v7, v7, v9
	s_delay_alu instid0(VALU_DEP_1) | instskip(NEXT) | instid1(VALU_DEP_1)
	v_sub_f32_e32 v8, v8, v10
	v_add_f32_e32 v7, v7, v8
	s_delay_alu instid0(VALU_DEP_1) | instskip(NEXT) | instid1(VALU_DEP_1)
	v_add_f32_e32 v7, v24, v7
	v_mul_f32_e32 v7, 0.5, v7
	s_delay_alu instid0(VALU_DEP_1) | instskip(NEXT) | instid1(VALU_DEP_1)
	v_cndmask_b32_e64 v7, v7, |v12|, s3
	v_cndmask_b32_e32 v7, 0x7fc00000, v7, vcc_lo
	v_cmp_neq_f32_e64 vcc_lo, |v12|, 1.0
	s_delay_alu instid0(VALU_DEP_2) | instskip(NEXT) | instid1(VALU_DEP_1)
	v_cndmask_b32_e32 v7, 0x7f800000, v7, vcc_lo
	v_bfi_b32 v8, 0x7fffffff, v7, v12
	v_mov_b32_e32 v7, v11
.LBB69_108:                             ;   in Loop: Header=BB69_4 Depth=1
	s_or_b32 exec_lo, exec_lo, s2
	s_waitcnt vmcnt(0)
	v_cmp_neq_f32_e32 vcc_lo, 0, v1
	v_cmp_nle_f32_e64 s2, |v2|, 1.0
	v_dual_mov_b32 v9, s12 :: v_dual_mov_b32 v10, s13
	s_delay_alu instid0(VALU_DEP_2) | instskip(SKIP_3) | instid1(SALU_CYCLE_1)
	s_or_b32 s2, vcc_lo, s2
	flat_store_b32 v[9:10], v19 dlc
	s_waitcnt_vscnt null, 0x0
                                        ; implicit-def: $vgpr9
	s_and_saveexec_b32 s3, s2
	s_xor_b32 s28, exec_lo, s3
	s_cbranch_execz .LBB69_158
; %bb.109:                              ;   in Loop: Header=BB69_4 Depth=1
                                        ; implicit-def: $vgpr9
	s_mov_b32 s2, exec_lo
	v_cmpx_neq_f32_e32 0, v2
	s_xor_b32 s29, exec_lo, s2
	s_cbranch_execz .LBB69_155
; %bb.110:                              ;   in Loop: Header=BB69_4 Depth=1
	v_cmp_o_f32_e32 vcc_lo, v2, v2
	v_cmp_o_f32_e64 s2, v1, v1
                                        ; implicit-def: $vgpr9
	s_delay_alu instid0(VALU_DEP_1) | instskip(NEXT) | instid1(SALU_CYCLE_1)
	s_and_b32 s2, vcc_lo, s2
	s_and_saveexec_b32 s3, s2
	s_delay_alu instid0(SALU_CYCLE_1)
	s_xor_b32 s30, exec_lo, s3
	s_cbranch_execz .LBB69_144
; %bb.111:                              ;   in Loop: Header=BB69_4 Depth=1
	v_max_f32_e64 v9, |v2|, |v2|
	v_max_f32_e64 v10, |v1|, |v1|
	s_delay_alu instid0(VALU_DEP_1) | instskip(NEXT) | instid1(VALU_DEP_1)
	v_max_f32_e32 v9, v10, v9
	v_cmp_nlt_f32_e32 vcc_lo, 0x4b000000, v9
                                        ; implicit-def: $vgpr9
	s_and_saveexec_b32 s2, vcc_lo
	s_delay_alu instid0(SALU_CYCLE_1)
	s_xor_b32 s31, exec_lo, s2
	s_cbranch_execz .LBB69_129
; %bb.112:                              ;   in Loop: Header=BB69_4 Depth=1
	v_cmp_ngt_f32_e64 s2, 0x399cc471, |v2|
	v_cmp_ngt_f32_e64 s3, 0x399cc471, |v1|
                                        ; implicit-def: $vgpr9
	s_delay_alu instid0(VALU_DEP_1) | instskip(NEXT) | instid1(SALU_CYCLE_1)
	s_or_b32 s2, s3, s2
	s_and_saveexec_b32 s3, s2
	s_delay_alu instid0(SALU_CYCLE_1)
	s_xor_b32 s33, exec_lo, s3
	s_cbranch_execz .LBB69_126
; %bb.113:                              ;   in Loop: Header=BB69_4 Depth=1
	v_cmp_neq_f32_e64 s3, |v2|, 1.0
	v_cmp_ngt_f32_e64 s2, 0x34000000, |v1|
                                        ; implicit-def: $vgpr9
	s_delay_alu instid0(VALU_DEP_1) | instskip(NEXT) | instid1(SALU_CYCLE_1)
	s_or_b32 s34, s2, s3
	s_and_saveexec_b32 s35, s34
	s_delay_alu instid0(SALU_CYCLE_1)
	s_xor_b32 s34, exec_lo, s35
	s_cbranch_execz .LBB69_115
; %bb.114:                              ;   in Loop: Header=BB69_4 Depth=1
	v_add_f32_e64 v9, |v2|, -1.0
	v_cmp_gt_f32_e64 vcc_lo, 0x20000000, |v1|
	v_mul_f32_e64 v12, |v2|, 4.0
	s_delay_alu instid0(VALU_DEP_3) | instskip(NEXT) | instid1(VALU_DEP_1)
	v_mul_f32_e32 v9, v9, v9
	v_fma_f32 v11, v1, v1, v9
	s_delay_alu instid0(VALU_DEP_1) | instskip(NEXT) | instid1(VALU_DEP_1)
	v_cndmask_b32_e32 v9, v11, v9, vcc_lo
	v_div_scale_f32 v11, null, v9, v9, v12
	v_div_scale_f32 v24, vcc_lo, v12, v9, v12
	s_delay_alu instid0(VALU_DEP_2) | instskip(SKIP_2) | instid1(VALU_DEP_1)
	v_rcp_f32_e32 v22, v11
	s_waitcnt_depctr 0xfff
	v_fma_f32 v23, -v11, v22, 1.0
	v_fmac_f32_e32 v22, v23, v22
	s_delay_alu instid0(VALU_DEP_1) | instskip(NEXT) | instid1(VALU_DEP_1)
	v_mul_f32_e32 v23, v24, v22
	v_fma_f32 v25, -v11, v23, v24
	s_delay_alu instid0(VALU_DEP_1) | instskip(NEXT) | instid1(VALU_DEP_1)
	v_fmac_f32_e32 v23, v25, v22
	v_fma_f32 v11, -v11, v23, v24
	s_delay_alu instid0(VALU_DEP_1) | instskip(NEXT) | instid1(VALU_DEP_1)
	v_div_fmas_f32 v11, v11, v22, v23
	v_div_fixup_f32 v9, v11, v9, v12
	s_delay_alu instid0(VALU_DEP_1) | instskip(NEXT) | instid1(VALU_DEP_1)
	v_add_f32_e32 v22, 1.0, v9
	v_cvt_f64_f32_e32 v[11:12], v22
	s_delay_alu instid0(VALU_DEP_1) | instskip(SKIP_1) | instid1(VALU_DEP_1)
	v_frexp_exp_i32_f64_e32 v11, v[11:12]
	v_frexp_mant_f32_e32 v12, v22
	v_cmp_gt_f32_e32 vcc_lo, 0x3f2aaaab, v12
	v_add_f32_e32 v12, -1.0, v22
	s_delay_alu instid0(VALU_DEP_1) | instskip(NEXT) | instid1(VALU_DEP_1)
	v_sub_f32_e32 v24, v12, v22
	v_add_f32_e32 v24, 1.0, v24
	v_subrev_co_ci_u32_e32 v11, vcc_lo, 0, v11, vcc_lo
	v_cmp_eq_f32_e32 vcc_lo, 0x7f800000, v9
	s_delay_alu instid0(VALU_DEP_2) | instskip(SKIP_1) | instid1(VALU_DEP_2)
	v_sub_nc_u32_e32 v23, 0, v11
	v_cvt_f32_i32_e32 v11, v11
	v_ldexp_f32 v22, v22, v23
	s_delay_alu instid0(VALU_DEP_1) | instskip(NEXT) | instid1(VALU_DEP_1)
	v_dual_sub_f32 v12, v9, v12 :: v_dual_add_f32 v25, 1.0, v22
	v_add_f32_e32 v12, v12, v24
	s_delay_alu instid0(VALU_DEP_2) | instskip(NEXT) | instid1(VALU_DEP_2)
	v_add_f32_e32 v24, -1.0, v25
	v_ldexp_f32 v12, v12, v23
	s_delay_alu instid0(VALU_DEP_2) | instskip(NEXT) | instid1(VALU_DEP_1)
	v_dual_add_f32 v23, -1.0, v22 :: v_dual_sub_f32 v24, v22, v24
	v_add_f32_e32 v26, 1.0, v23
	s_delay_alu instid0(VALU_DEP_2) | instskip(NEXT) | instid1(VALU_DEP_2)
	v_add_f32_e32 v24, v12, v24
	v_sub_f32_e32 v22, v22, v26
	s_delay_alu instid0(VALU_DEP_1) | instskip(NEXT) | instid1(VALU_DEP_1)
	v_add_f32_e32 v12, v12, v22
	v_add_f32_e32 v27, v23, v12
	s_delay_alu instid0(VALU_DEP_1) | instskip(NEXT) | instid1(VALU_DEP_1)
	v_dual_add_f32 v26, v25, v24 :: v_dual_sub_f32 v23, v27, v23
	v_rcp_f32_e32 v22, v26
	v_sub_f32_e32 v25, v26, v25
	s_delay_alu instid0(VALU_DEP_1) | instskip(SKIP_2) | instid1(VALU_DEP_1)
	v_sub_f32_e32 v24, v24, v25
	s_waitcnt_depctr 0xfff
	v_mul_f32_e32 v28, v27, v22
	v_mul_f32_e32 v29, v26, v28
	s_delay_alu instid0(VALU_DEP_1) | instskip(NEXT) | instid1(VALU_DEP_1)
	v_fma_f32 v25, v28, v26, -v29
	v_fmac_f32_e32 v25, v28, v24
	v_sub_f32_e32 v12, v12, v23
	s_delay_alu instid0(VALU_DEP_2) | instskip(NEXT) | instid1(VALU_DEP_1)
	v_add_f32_e32 v30, v29, v25
	v_sub_f32_e32 v31, v27, v30
	v_sub_f32_e32 v23, v30, v29
	s_delay_alu instid0(VALU_DEP_2) | instskip(NEXT) | instid1(VALU_DEP_2)
	v_sub_f32_e32 v27, v27, v31
	v_sub_f32_e32 v23, v23, v25
	s_delay_alu instid0(VALU_DEP_2) | instskip(NEXT) | instid1(VALU_DEP_1)
	v_sub_f32_e32 v27, v27, v30
	v_add_f32_e32 v12, v12, v27
	s_delay_alu instid0(VALU_DEP_1) | instskip(NEXT) | instid1(VALU_DEP_1)
	v_add_f32_e32 v12, v23, v12
	v_add_f32_e32 v23, v31, v12
	s_delay_alu instid0(VALU_DEP_1) | instskip(NEXT) | instid1(VALU_DEP_1)
	v_mul_f32_e32 v25, v22, v23
	v_dual_sub_f32 v30, v31, v23 :: v_dual_mul_f32 v27, v26, v25
	s_delay_alu instid0(VALU_DEP_1) | instskip(NEXT) | instid1(VALU_DEP_1)
	v_fma_f32 v26, v25, v26, -v27
	v_fmac_f32_e32 v26, v25, v24
	s_delay_alu instid0(VALU_DEP_1) | instskip(NEXT) | instid1(VALU_DEP_1)
	v_add_f32_e32 v24, v27, v26
	v_sub_f32_e32 v27, v24, v27
	v_dual_sub_f32 v29, v23, v24 :: v_dual_add_f32 v12, v12, v30
	s_delay_alu instid0(VALU_DEP_1) | instskip(NEXT) | instid1(VALU_DEP_1)
	v_sub_f32_e32 v23, v23, v29
	v_sub_f32_e32 v23, v23, v24
	s_delay_alu instid0(VALU_DEP_4) | instskip(NEXT) | instid1(VALU_DEP_2)
	v_sub_f32_e32 v24, v27, v26
	v_add_f32_e32 v12, v12, v23
	v_add_f32_e32 v23, v28, v25
	s_delay_alu instid0(VALU_DEP_2) | instskip(NEXT) | instid1(VALU_DEP_2)
	v_add_f32_e32 v12, v24, v12
	v_sub_f32_e32 v24, v23, v28
	s_delay_alu instid0(VALU_DEP_2) | instskip(NEXT) | instid1(VALU_DEP_2)
	v_add_f32_e32 v12, v29, v12
	v_sub_f32_e32 v24, v25, v24
	s_delay_alu instid0(VALU_DEP_2) | instskip(NEXT) | instid1(VALU_DEP_1)
	v_mul_f32_e32 v12, v22, v12
	v_add_f32_e32 v12, v24, v12
	s_delay_alu instid0(VALU_DEP_1) | instskip(NEXT) | instid1(VALU_DEP_1)
	v_add_f32_e32 v22, v23, v12
	v_mul_f32_e32 v24, v22, v22
	s_delay_alu instid0(VALU_DEP_1) | instskip(SKIP_1) | instid1(VALU_DEP_2)
	v_fmaak_f32 v25, s26, v24, 0x3ecc95a3
	v_mul_f32_e32 v26, v22, v24
	v_fmaak_f32 v24, v24, v25, 0x3f2aaada
	v_ldexp_f32 v25, v22, 1
	v_sub_f32_e32 v22, v22, v23
	s_delay_alu instid0(VALU_DEP_3) | instskip(SKIP_1) | instid1(VALU_DEP_2)
	v_mul_f32_e32 v24, v26, v24
	v_mul_f32_e32 v26, 0x3f317218, v11
	v_dual_sub_f32 v12, v12, v22 :: v_dual_add_f32 v23, v25, v24
	s_delay_alu instid0(VALU_DEP_1) | instskip(NEXT) | instid1(VALU_DEP_2)
	v_ldexp_f32 v12, v12, 1
	v_sub_f32_e32 v22, v23, v25
	s_delay_alu instid0(VALU_DEP_4) | instskip(NEXT) | instid1(VALU_DEP_1)
	v_fma_f32 v25, 0x3f317218, v11, -v26
	v_dual_sub_f32 v22, v24, v22 :: v_dual_fmac_f32 v25, 0xb102e308, v11
	s_delay_alu instid0(VALU_DEP_1) | instskip(NEXT) | instid1(VALU_DEP_1)
	v_dual_add_f32 v11, v12, v22 :: v_dual_add_f32 v12, v26, v25
	v_add_f32_e32 v22, v23, v11
	s_delay_alu instid0(VALU_DEP_2) | instskip(NEXT) | instid1(VALU_DEP_2)
	v_sub_f32_e32 v26, v12, v26
	v_dual_add_f32 v24, v12, v22 :: v_dual_sub_f32 v23, v22, v23
	s_delay_alu instid0(VALU_DEP_2) | instskip(NEXT) | instid1(VALU_DEP_2)
	v_sub_f32_e32 v25, v25, v26
	v_sub_f32_e32 v27, v24, v12
	s_delay_alu instid0(VALU_DEP_3) | instskip(NEXT) | instid1(VALU_DEP_2)
	v_sub_f32_e32 v11, v11, v23
	v_sub_f32_e32 v28, v24, v27
	;; [unrolled: 1-line block ×3, first 2 shown]
	s_delay_alu instid0(VALU_DEP_2) | instskip(NEXT) | instid1(VALU_DEP_1)
	v_dual_add_f32 v23, v25, v11 :: v_dual_sub_f32 v12, v12, v28
	v_add_f32_e32 v12, v22, v12
	s_delay_alu instid0(VALU_DEP_2) | instskip(NEXT) | instid1(VALU_DEP_2)
	v_sub_f32_e32 v22, v23, v25
	v_add_f32_e32 v12, v23, v12
	s_delay_alu instid0(VALU_DEP_2) | instskip(NEXT) | instid1(VALU_DEP_2)
	v_sub_f32_e32 v23, v23, v22
	v_dual_sub_f32 v11, v11, v22 :: v_dual_add_f32 v26, v24, v12
	s_delay_alu instid0(VALU_DEP_1) | instskip(NEXT) | instid1(VALU_DEP_1)
	v_dual_sub_f32 v23, v25, v23 :: v_dual_sub_f32 v22, v26, v24
	v_dual_add_f32 v11, v11, v23 :: v_dual_sub_f32 v12, v12, v22
	s_delay_alu instid0(VALU_DEP_1) | instskip(NEXT) | instid1(VALU_DEP_1)
	v_add_f32_e32 v11, v11, v12
	v_add_f32_e32 v11, v26, v11
	s_delay_alu instid0(VALU_DEP_1) | instskip(SKIP_1) | instid1(VALU_DEP_2)
	v_cndmask_b32_e32 v11, v11, v9, vcc_lo
	v_cmp_ngt_f32_e32 vcc_lo, -1.0, v9
	v_cndmask_b32_e32 v11, 0x7fc00000, v11, vcc_lo
	v_cmp_neq_f32_e32 vcc_lo, -1.0, v9
	s_delay_alu instid0(VALU_DEP_2) | instskip(SKIP_1) | instid1(VALU_DEP_2)
	v_cndmask_b32_e32 v11, 0xff800000, v11, vcc_lo
	v_cmp_gt_f32_e64 vcc_lo, 0x33800000, |v9|
	v_cndmask_b32_e32 v9, v11, v9, vcc_lo
	s_delay_alu instid0(VALU_DEP_1)
	v_mul_f32_e32 v9, 0x3e800000, v9
	s_and_not1_saveexec_b32 s34, s34
	s_cbranch_execz .LBB69_117
	s_branch .LBB69_116
.LBB69_115:                             ;   in Loop: Header=BB69_4 Depth=1
	s_and_not1_saveexec_b32 s34, s34
	s_cbranch_execz .LBB69_117
.LBB69_116:                             ;   in Loop: Header=BB69_4 Depth=1
	v_cmp_gt_f32_e64 s35, 0x800000, |v1|
	s_delay_alu instid0(VALU_DEP_1) | instskip(NEXT) | instid1(VALU_DEP_1)
	v_cndmask_b32_e64 v9, 1.0, 0x4f800000, s35
	v_mul_f32_e64 v9, |v1|, v9
	s_delay_alu instid0(VALU_DEP_1) | instskip(SKIP_3) | instid1(VALU_DEP_2)
	v_log_f32_e32 v9, v9
	s_waitcnt_depctr 0xfff
	v_mul_f32_e32 v11, 0x3f317217, v9
	v_cmp_gt_f32_e64 vcc_lo, 0x7f800000, |v9|
	v_fma_f32 v12, 0x3f317217, v9, -v11
	s_delay_alu instid0(VALU_DEP_1) | instskip(NEXT) | instid1(VALU_DEP_1)
	v_fmac_f32_e32 v12, 0x3377d1cf, v9
	v_add_f32_e32 v11, v11, v12
	s_delay_alu instid0(VALU_DEP_1) | instskip(SKIP_1) | instid1(VALU_DEP_1)
	v_cndmask_b32_e32 v9, v9, v11, vcc_lo
	v_cndmask_b32_e64 v11, 0, 0x41b17218, s35
	v_sub_f32_e32 v9, v9, v11
	s_delay_alu instid0(VALU_DEP_1) | instskip(NEXT) | instid1(VALU_DEP_1)
	v_sub_f32_e32 v9, 0x3f317218, v9
	v_mul_f32_e32 v9, 0.5, v9
.LBB69_117:                             ;   in Loop: Header=BB69_4 Depth=1
	s_or_b32 exec_lo, exec_lo, s34
                                        ; implicit-def: $vgpr12
	s_and_saveexec_b32 s34, s3
	s_delay_alu instid0(SALU_CYCLE_1)
	s_xor_b32 s34, exec_lo, s34
	s_cbranch_execz .LBB69_123
; %bb.118:                              ;   in Loop: Header=BB69_4 Depth=1
	v_sub_f32_e64 v11, 1.0, |v2|
	v_add_f32_e64 v12, |v2|, 1.0
	v_add_f32_e64 v10, |v1|, |v1|
	s_delay_alu instid0(VALU_DEP_2) | instskip(SKIP_1) | instid1(SALU_CYCLE_1)
	v_mul_f32_e32 v11, v11, v12
                                        ; implicit-def: $vgpr12
	s_and_saveexec_b32 s3, s2
	s_xor_b32 s3, exec_lo, s3
	s_cbranch_execz .LBB69_120
; %bb.119:                              ;   in Loop: Header=BB69_4 Depth=1
	s_delay_alu instid0(VALU_DEP_1) | instskip(SKIP_3) | instid1(VALU_DEP_4)
	v_fma_f32 v11, -v1, v1, v11
	v_max_f32_e64 v12, |v10|, |v10|
	v_cmp_eq_f32_e64 s2, 0, v10
	v_cmp_class_f32_e64 s35, v10, 0x204
	v_cmp_gt_f32_e64 vcc_lo, |v10|, |v11|
	s_delay_alu instid0(VALU_DEP_4) | instskip(SKIP_2) | instid1(VALU_DEP_3)
	v_max_f32_e64 v22, |v11|, v12
	v_min_f32_e64 v12, |v11|, v12
	v_cmp_class_f32_e64 s36, v11, 0x204
	v_frexp_mant_f32_e32 v23, v22
	v_frexp_exp_i32_f32_e32 v22, v22
	s_delay_alu instid0(VALU_DEP_4) | instskip(SKIP_1) | instid1(VALU_DEP_4)
	v_frexp_exp_i32_f32_e32 v24, v12
	v_frexp_mant_f32_e32 v12, v12
	v_rcp_f32_e32 v23, v23
	s_delay_alu instid0(VALU_DEP_2) | instskip(SKIP_2) | instid1(VALU_DEP_1)
	v_sub_nc_u32_e32 v22, v24, v22
	s_waitcnt_depctr 0xfff
	v_mul_f32_e32 v12, v12, v23
	v_ldexp_f32 v12, v12, v22
	s_delay_alu instid0(VALU_DEP_1) | instskip(NEXT) | instid1(VALU_DEP_1)
	v_mul_f32_e32 v22, v12, v12
	v_fmaak_f32 v23, s27, v22, 0xbc7a590c
	s_delay_alu instid0(VALU_DEP_1) | instskip(NEXT) | instid1(VALU_DEP_1)
	v_fmaak_f32 v23, v22, v23, 0x3d29fb3f
	v_fmaak_f32 v23, v22, v23, 0xbd97d4d7
	s_delay_alu instid0(VALU_DEP_1) | instskip(NEXT) | instid1(VALU_DEP_1)
	v_fmaak_f32 v23, v22, v23, 0x3dd931b2
	;; [unrolled: 3-line block ×3, first 2 shown]
	v_fmaak_f32 v23, v22, v23, 0xbeaaaa62
	s_delay_alu instid0(VALU_DEP_1) | instskip(NEXT) | instid1(VALU_DEP_1)
	v_mul_f32_e32 v22, v22, v23
	v_fmac_f32_e32 v12, v12, v22
	s_delay_alu instid0(VALU_DEP_1) | instskip(NEXT) | instid1(VALU_DEP_1)
	v_sub_f32_e32 v22, 0x3fc90fdb, v12
	v_cndmask_b32_e32 v12, v12, v22, vcc_lo
	v_cmp_gt_i32_e32 vcc_lo, 0, v11
	s_delay_alu instid0(VALU_DEP_2) | instskip(SKIP_2) | instid1(VALU_DEP_3)
	v_sub_f32_e32 v22, 0x40490fdb, v12
	v_cndmask_b32_e64 v23, 0, 0x40490fdb, vcc_lo
	v_cmp_gt_f32_e32 vcc_lo, 0, v11
	v_cndmask_b32_e32 v12, v12, v22, vcc_lo
	v_cndmask_b32_e32 v22, 0x3f490fdb, v21, vcc_lo
	s_and_b32 vcc_lo, s35, s36
	s_delay_alu instid0(VALU_DEP_2) | instskip(NEXT) | instid1(VALU_DEP_1)
	v_cndmask_b32_e64 v12, v12, v23, s2
	v_cndmask_b32_e32 v12, v12, v22, vcc_lo
	v_cmp_o_f32_e32 vcc_lo, v11, v10
	s_delay_alu instid0(VALU_DEP_2) | instskip(NEXT) | instid1(VALU_DEP_1)
	v_cndmask_b32_e32 v11, 0x7fc00000, v12, vcc_lo
	v_bfi_b32 v12, 0x7fffffff, v11, v10
                                        ; implicit-def: $vgpr10
                                        ; implicit-def: $vgpr11
.LBB69_120:                             ;   in Loop: Header=BB69_4 Depth=1
	s_and_not1_saveexec_b32 s35, s3
	s_cbranch_execz .LBB69_122
; %bb.121:                              ;   in Loop: Header=BB69_4 Depth=1
	v_max_f32_e32 v12, v10, v10
	v_max_f32_e64 v22, |v11|, |v11|
	v_cmp_gt_f32_e64 vcc_lo, v10, |v11|
	v_cmp_eq_f32_e64 s3, 0, v10
	v_cmp_class_f32_e64 s36, v11, 0x204
	v_cmp_eq_f32_e64 s2, 0x7f800000, v10
	v_max_f32_e32 v23, v22, v12
	v_min_f32_e32 v12, v22, v12
	s_delay_alu instid0(VALU_DEP_2) | instskip(NEXT) | instid1(VALU_DEP_1)
	v_frexp_mant_f32_e32 v24, v23
	v_rcp_f32_e32 v22, v24
	s_delay_alu instid0(VALU_DEP_2) | instskip(SKIP_4) | instid1(VALU_DEP_1)
	v_frexp_exp_i32_f32_e32 v24, v12
	v_frexp_mant_f32_e32 v12, v12
	s_waitcnt_depctr 0xfff
	v_mul_f32_e32 v12, v12, v22
	v_frexp_exp_i32_f32_e32 v23, v23
	v_sub_nc_u32_e32 v23, v24, v23
	s_delay_alu instid0(VALU_DEP_1) | instskip(NEXT) | instid1(VALU_DEP_1)
	v_ldexp_f32 v12, v12, v23
	v_mul_f32_e32 v22, v12, v12
	s_delay_alu instid0(VALU_DEP_1) | instskip(NEXT) | instid1(VALU_DEP_1)
	v_fmaak_f32 v23, s27, v22, 0xbc7a590c
	v_fmaak_f32 v23, v22, v23, 0x3d29fb3f
	s_delay_alu instid0(VALU_DEP_1) | instskip(NEXT) | instid1(VALU_DEP_1)
	v_fmaak_f32 v23, v22, v23, 0xbd97d4d7
	v_fmaak_f32 v23, v22, v23, 0x3dd931b2
	;; [unrolled: 3-line block ×3, first 2 shown]
	s_delay_alu instid0(VALU_DEP_1) | instskip(NEXT) | instid1(VALU_DEP_1)
	v_fmaak_f32 v23, v22, v23, 0xbeaaaa62
	v_mul_f32_e32 v22, v22, v23
	s_delay_alu instid0(VALU_DEP_1) | instskip(NEXT) | instid1(VALU_DEP_1)
	v_fmac_f32_e32 v12, v12, v22
	v_sub_f32_e32 v22, 0x3fc90fdb, v12
	s_delay_alu instid0(VALU_DEP_1) | instskip(SKIP_1) | instid1(VALU_DEP_2)
	v_cndmask_b32_e32 v12, v12, v22, vcc_lo
	v_cmp_gt_i32_e32 vcc_lo, 0, v11
	v_sub_f32_e32 v22, 0x40490fdb, v12
	v_cndmask_b32_e64 v23, 0, 0x40490fdb, vcc_lo
	v_cmp_gt_f32_e32 vcc_lo, 0, v11
	s_delay_alu instid0(VALU_DEP_3) | instskip(NEXT) | instid1(VALU_DEP_1)
	v_cndmask_b32_e32 v12, v12, v22, vcc_lo
	v_cndmask_b32_e64 v10, v12, v23, s3
	v_cndmask_b32_e32 v12, 0x3f490fdb, v21, vcc_lo
	s_and_b32 vcc_lo, s2, s36
	s_delay_alu instid0(VALU_DEP_1) | instskip(SKIP_1) | instid1(VALU_DEP_2)
	v_cndmask_b32_e32 v10, v10, v12, vcc_lo
	v_cmp_o_f32_e32 vcc_lo, v11, v11
	v_cndmask_b32_e64 v12, 0x7fc00000, |v10|, vcc_lo
.LBB69_122:                             ;   in Loop: Header=BB69_4 Depth=1
	s_or_b32 exec_lo, exec_lo, s35
                                        ; implicit-def: $vgpr10
	s_and_not1_saveexec_b32 s2, s34
	s_cbranch_execnz .LBB69_124
	s_branch .LBB69_125
.LBB69_123:                             ;   in Loop: Header=BB69_4 Depth=1
	s_and_not1_saveexec_b32 s2, s34
	s_cbranch_execz .LBB69_125
.LBB69_124:                             ;   in Loop: Header=BB69_4 Depth=1
	v_max_f32_e32 v11, 2.0, v10
	v_min_f32_e32 v10, 2.0, v10
	v_cmp_lt_f32_e64 vcc_lo, |v1|, 2.0
	s_delay_alu instid0(VALU_DEP_3) | instskip(NEXT) | instid1(VALU_DEP_3)
	v_frexp_mant_f32_e32 v12, v11
	v_frexp_mant_f32_e32 v22, v10
	v_frexp_exp_i32_f32_e32 v10, v10
	s_delay_alu instid0(VALU_DEP_3) | instskip(SKIP_3) | instid1(VALU_DEP_1)
	v_rcp_f32_e32 v12, v12
	s_waitcnt_depctr 0xfff
	v_mul_f32_e32 v12, v22, v12
	v_frexp_exp_i32_f32_e32 v11, v11
	v_sub_nc_u32_e32 v10, v10, v11
	s_delay_alu instid0(VALU_DEP_1) | instskip(NEXT) | instid1(VALU_DEP_1)
	v_ldexp_f32 v10, v12, v10
	v_mul_f32_e32 v11, v10, v10
	s_delay_alu instid0(VALU_DEP_1) | instskip(NEXT) | instid1(VALU_DEP_1)
	v_fmaak_f32 v12, s27, v11, 0xbc7a590c
	v_fmaak_f32 v12, v11, v12, 0x3d29fb3f
	s_delay_alu instid0(VALU_DEP_1) | instskip(NEXT) | instid1(VALU_DEP_1)
	v_fmaak_f32 v12, v11, v12, 0xbd97d4d7
	v_fmaak_f32 v12, v11, v12, 0x3dd931b2
	;; [unrolled: 3-line block ×3, first 2 shown]
	s_delay_alu instid0(VALU_DEP_1) | instskip(NEXT) | instid1(VALU_DEP_1)
	v_fmaak_f32 v12, v11, v12, 0xbeaaaa62
	v_mul_f32_e32 v11, v11, v12
	s_delay_alu instid0(VALU_DEP_1) | instskip(NEXT) | instid1(VALU_DEP_1)
	v_fmac_f32_e32 v10, v10, v11
	v_sub_f32_e32 v11, 0x3fc90fdb, v10
	s_delay_alu instid0(VALU_DEP_1) | instskip(SKIP_1) | instid1(VALU_DEP_2)
	v_cndmask_b32_e32 v10, v10, v11, vcc_lo
	v_cmp_lg_f32_e32 vcc_lo, 0, v1
	v_sub_f32_e32 v11, 0x40490fdb, v10
	s_delay_alu instid0(VALU_DEP_1) | instskip(NEXT) | instid1(VALU_DEP_1)
	v_cndmask_b32_e32 v10, v10, v11, vcc_lo
	v_and_b32_e32 v12, 0x7fffffff, v10
.LBB69_125:                             ;   in Loop: Header=BB69_4 Depth=1
	s_or_b32 exec_lo, exec_lo, s2
	s_delay_alu instid0(VALU_DEP_1) | instskip(SKIP_1) | instid1(VALU_DEP_2)
	v_mul_f32_e32 v11, 0.5, v12
	v_bfi_b32 v10, 0x7fffffff, v9, v2
	v_bfi_b32 v9, 0x7fffffff, v11, v1
.LBB69_126:                             ;   in Loop: Header=BB69_4 Depth=1
	s_and_not1_saveexec_b32 s2, s33
	s_cbranch_execz .LBB69_128
; %bb.127:                              ;   in Loop: Header=BB69_4 Depth=1
	v_dual_mov_b32 v9, s14 :: v_dual_mov_b32 v10, s15
	flat_store_b32 v[9:10], v20 dlc
	s_waitcnt_vscnt null, 0x0
	flat_load_b32 v9, v[9:10] glc dlc
	s_waitcnt vmcnt(0) lgkmcnt(0)
	v_add_f32_e32 v11, 1.0, v9
	v_dual_mov_b32 v9, s16 :: v_dual_mov_b32 v10, s17
	flat_store_b32 v[9:10], v11 dlc
	s_waitcnt_vscnt null, 0x0
	flat_load_b32 v9, v[9:10] glc dlc
	s_waitcnt vmcnt(0) lgkmcnt(0)
	v_dual_mov_b32 v10, v2 :: v_dual_mov_b32 v9, v1
.LBB69_128:                             ;   in Loop: Header=BB69_4 Depth=1
	s_or_b32 exec_lo, exec_lo, s2
.LBB69_129:                             ;   in Loop: Header=BB69_4 Depth=1
	s_and_not1_saveexec_b32 s2, s31
	s_cbranch_execz .LBB69_143
; %bb.130:                              ;   in Loop: Header=BB69_4 Depth=1
	v_and_b32_e32 v9, 0x7f800000, v2
	v_and_b32_e32 v11, 0x7f800000, v1
	v_cmp_neq_f32_e64 s3, 0x7f800000, |v2|
	s_delay_alu instid0(VALU_DEP_2) | instskip(NEXT) | instid1(VALU_DEP_1)
	v_sub_nc_u32_e32 v10, v9, v11
	v_cmp_gt_i32_e32 vcc_lo, 0x6800000, v10
                                        ; implicit-def: $vgpr10
	s_delay_alu instid0(VALU_DEP_3) | instskip(NEXT) | instid1(SALU_CYCLE_1)
	s_and_b32 s3, s3, vcc_lo
	s_and_saveexec_b32 s31, s3
	s_delay_alu instid0(SALU_CYCLE_1)
	s_xor_b32 s3, exec_lo, s31
	s_cbranch_execz .LBB69_140
; %bb.131:                              ;   in Loop: Header=BB69_4 Depth=1
	v_sub_nc_u32_e32 v10, v11, v9
	s_delay_alu instid0(VALU_DEP_1) | instskip(SKIP_1) | instid1(SALU_CYCLE_1)
	v_cmp_gt_i32_e32 vcc_lo, 0x6800000, v10
                                        ; implicit-def: $vgpr10
	s_and_saveexec_b32 s31, vcc_lo
	s_xor_b32 s31, exec_lo, s31
	s_cbranch_execz .LBB69_137
; %bb.132:                              ;   in Loop: Header=BB69_4 Depth=1
	s_mov_b32 s33, exec_lo
                                        ; implicit-def: $vgpr10
	v_cmpx_lt_u32_e32 0x59000000, v9
	s_xor_b32 s33, exec_lo, s33
	s_cbranch_execz .LBB69_134
; %bb.133:                              ;   in Loop: Header=BB69_4 Depth=1
	v_sub_nc_u32_e32 v9, 0x7f800000, v9
	s_delay_alu instid0(VALU_DEP_1) | instskip(SKIP_1) | instid1(VALU_DEP_2)
	v_mul_f32_e32 v10, v1, v9
	v_mul_f32_e32 v11, v2, v9
	;; [unrolled: 1-line block ×3, first 2 shown]
	s_delay_alu instid0(VALU_DEP_1) | instskip(NEXT) | instid1(VALU_DEP_1)
	v_fmac_f32_e32 v10, v11, v11
	v_div_scale_f32 v12, null, v10, v10, v11
	s_delay_alu instid0(VALU_DEP_1) | instskip(SKIP_2) | instid1(VALU_DEP_1)
	v_rcp_f32_e32 v22, v12
	s_waitcnt_depctr 0xfff
	v_fma_f32 v23, -v12, v22, 1.0
	v_fmac_f32_e32 v22, v23, v22
	v_div_scale_f32 v23, vcc_lo, v11, v10, v11
	s_delay_alu instid0(VALU_DEP_1) | instskip(NEXT) | instid1(VALU_DEP_1)
	v_mul_f32_e32 v24, v23, v22
	v_fma_f32 v25, -v12, v24, v23
	s_delay_alu instid0(VALU_DEP_1) | instskip(NEXT) | instid1(VALU_DEP_1)
	v_fmac_f32_e32 v24, v25, v22
	v_fma_f32 v12, -v12, v24, v23
	s_delay_alu instid0(VALU_DEP_1) | instskip(NEXT) | instid1(VALU_DEP_1)
	v_div_fmas_f32 v12, v12, v22, v24
	v_div_fixup_f32 v10, v12, v10, v11
	s_delay_alu instid0(VALU_DEP_1)
	v_mul_f32_e32 v10, v10, v9
.LBB69_134:                             ;   in Loop: Header=BB69_4 Depth=1
	s_and_not1_saveexec_b32 s33, s33
	s_cbranch_execz .LBB69_136
; %bb.135:                              ;   in Loop: Header=BB69_4 Depth=1
	v_mul_f32_e32 v9, v2, v2
	s_delay_alu instid0(VALU_DEP_1) | instskip(NEXT) | instid1(VALU_DEP_1)
	v_fmac_f32_e32 v9, v1, v1
	v_div_scale_f32 v10, null, v9, v9, v2
	s_delay_alu instid0(VALU_DEP_1) | instskip(SKIP_2) | instid1(VALU_DEP_1)
	v_rcp_f32_e32 v11, v10
	s_waitcnt_depctr 0xfff
	v_fma_f32 v12, -v10, v11, 1.0
	v_fmac_f32_e32 v11, v12, v11
	v_div_scale_f32 v12, vcc_lo, v2, v9, v2
	s_delay_alu instid0(VALU_DEP_1) | instskip(NEXT) | instid1(VALU_DEP_1)
	v_mul_f32_e32 v22, v12, v11
	v_fma_f32 v23, -v10, v22, v12
	s_delay_alu instid0(VALU_DEP_1) | instskip(NEXT) | instid1(VALU_DEP_1)
	v_fmac_f32_e32 v22, v23, v11
	v_fma_f32 v10, -v10, v22, v12
	s_delay_alu instid0(VALU_DEP_1) | instskip(NEXT) | instid1(VALU_DEP_1)
	v_div_fmas_f32 v10, v10, v11, v22
	v_div_fixup_f32 v10, v10, v9, v2
.LBB69_136:                             ;   in Loop: Header=BB69_4 Depth=1
	s_or_b32 exec_lo, exec_lo, s33
.LBB69_137:                             ;   in Loop: Header=BB69_4 Depth=1
	s_and_not1_saveexec_b32 s31, s31
	s_cbranch_execz .LBB69_139
; %bb.138:                              ;   in Loop: Header=BB69_4 Depth=1
	v_div_scale_f32 v9, null, v1, v1, v2
	v_div_scale_f32 v12, vcc_lo, v2, v1, v2
	s_delay_alu instid0(VALU_DEP_2) | instskip(SKIP_2) | instid1(VALU_DEP_1)
	v_rcp_f32_e32 v10, v9
	s_waitcnt_depctr 0xfff
	v_fma_f32 v11, -v9, v10, 1.0
	v_fmac_f32_e32 v10, v11, v10
	s_delay_alu instid0(VALU_DEP_1) | instskip(NEXT) | instid1(VALU_DEP_1)
	v_mul_f32_e32 v11, v12, v10
	v_fma_f32 v22, -v9, v11, v12
	s_delay_alu instid0(VALU_DEP_1) | instskip(NEXT) | instid1(VALU_DEP_1)
	v_fmac_f32_e32 v11, v22, v10
	v_fma_f32 v9, -v9, v11, v12
	s_delay_alu instid0(VALU_DEP_1) | instskip(NEXT) | instid1(VALU_DEP_1)
	v_div_fmas_f32 v9, v9, v10, v11
	v_div_fixup_f32 v9, v9, v1, v2
	s_delay_alu instid0(VALU_DEP_1) | instskip(NEXT) | instid1(VALU_DEP_1)
	v_div_scale_f32 v10, null, v1, v1, v9
	v_rcp_f32_e32 v11, v10
	s_waitcnt_depctr 0xfff
	v_fma_f32 v12, -v10, v11, 1.0
	s_delay_alu instid0(VALU_DEP_1) | instskip(SKIP_1) | instid1(VALU_DEP_1)
	v_fmac_f32_e32 v11, v12, v11
	v_div_scale_f32 v12, vcc_lo, v9, v1, v9
	v_mul_f32_e32 v22, v12, v11
	s_delay_alu instid0(VALU_DEP_1) | instskip(NEXT) | instid1(VALU_DEP_1)
	v_fma_f32 v23, -v10, v22, v12
	v_fmac_f32_e32 v22, v23, v11
	s_delay_alu instid0(VALU_DEP_1) | instskip(NEXT) | instid1(VALU_DEP_1)
	v_fma_f32 v10, -v10, v22, v12
	v_div_fmas_f32 v10, v10, v11, v22
	s_delay_alu instid0(VALU_DEP_1)
	v_div_fixup_f32 v10, v10, v1, v9
.LBB69_139:                             ;   in Loop: Header=BB69_4 Depth=1
	s_or_b32 exec_lo, exec_lo, s31
.LBB69_140:                             ;   in Loop: Header=BB69_4 Depth=1
	s_and_not1_saveexec_b32 s3, s3
; %bb.141:                              ;   in Loop: Header=BB69_4 Depth=1
	v_div_scale_f32 v9, null, v2, v2, 1.0
	s_delay_alu instid0(VALU_DEP_1) | instskip(SKIP_2) | instid1(VALU_DEP_1)
	v_rcp_f32_e32 v10, v9
	s_waitcnt_depctr 0xfff
	v_fma_f32 v11, -v9, v10, 1.0
	v_fmac_f32_e32 v10, v11, v10
	v_div_scale_f32 v11, vcc_lo, 1.0, v2, 1.0
	s_delay_alu instid0(VALU_DEP_1) | instskip(NEXT) | instid1(VALU_DEP_1)
	v_mul_f32_e32 v12, v11, v10
	v_fma_f32 v22, -v9, v12, v11
	s_delay_alu instid0(VALU_DEP_1) | instskip(NEXT) | instid1(VALU_DEP_1)
	v_fmac_f32_e32 v12, v22, v10
	v_fma_f32 v9, -v9, v12, v11
	s_delay_alu instid0(VALU_DEP_1) | instskip(NEXT) | instid1(VALU_DEP_1)
	v_div_fmas_f32 v9, v9, v10, v12
	v_div_fixup_f32 v10, v9, v2, 1.0
; %bb.142:                              ;   in Loop: Header=BB69_4 Depth=1
	s_or_b32 exec_lo, exec_lo, s3
	v_dual_mov_b32 v11, s12 :: v_dual_mov_b32 v12, s13
	flat_load_b32 v9, v[11:12] glc dlc
	s_waitcnt vmcnt(0) lgkmcnt(0)
	v_add_f32_e32 v9, 0x3fc90fdb, v9
	s_delay_alu instid0(VALU_DEP_1)
	v_bfi_b32 v9, 0x7fffffff, v9, v1
.LBB69_143:                             ;   in Loop: Header=BB69_4 Depth=1
	s_or_b32 exec_lo, exec_lo, s2
.LBB69_144:                             ;   in Loop: Header=BB69_4 Depth=1
	s_and_not1_saveexec_b32 s2, s30
	s_cbranch_execz .LBB69_154
; %bb.145:                              ;   in Loop: Header=BB69_4 Depth=1
	v_cmp_neq_f32_e64 s3, 0x7f800000, |v2|
                                        ; implicit-def: $vgpr9
	s_delay_alu instid0(VALU_DEP_1) | instskip(NEXT) | instid1(SALU_CYCLE_1)
	s_and_saveexec_b32 s30, s3
	s_xor_b32 s3, exec_lo, s30
	s_cbranch_execz .LBB69_151
; %bb.146:                              ;   in Loop: Header=BB69_4 Depth=1
	v_cmp_neq_f32_e64 s30, 0x7f800000, |v1|
                                        ; implicit-def: $vgpr9
	s_delay_alu instid0(VALU_DEP_1) | instskip(NEXT) | instid1(SALU_CYCLE_1)
	s_and_saveexec_b32 s31, s30
	s_xor_b32 s30, exec_lo, s31
; %bb.147:                              ;   in Loop: Header=BB69_4 Depth=1
	v_add_f32_e32 v9, 0, v1
	s_delay_alu instid0(VALU_DEP_1)
	v_add_f32_e32 v9, v9, v2
; %bb.148:                              ;   in Loop: Header=BB69_4 Depth=1
	s_or_saveexec_b32 s30, s30
	s_delay_alu instid0(VALU_DEP_1)
	v_mov_b32_e32 v10, v9
	s_xor_b32 exec_lo, exec_lo, s30
	s_cbranch_execz .LBB69_150
; %bb.149:                              ;   in Loop: Header=BB69_4 Depth=1
	v_dual_mov_b32 v9, s12 :: v_dual_mov_b32 v10, s13
	flat_load_b32 v9, v[9:10] glc dlc
	s_waitcnt vmcnt(0)
	v_bfi_b32 v10, 0x7fffffff, 0, v2
	s_waitcnt lgkmcnt(0)
	v_add_f32_e32 v9, 0x3fc90fdb, v9
	s_delay_alu instid0(VALU_DEP_1)
	v_bfi_b32 v9, 0x7fffffff, v9, v1
.LBB69_150:                             ;   in Loop: Header=BB69_4 Depth=1
	s_or_b32 exec_lo, exec_lo, s30
.LBB69_151:                             ;   in Loop: Header=BB69_4 Depth=1
	s_and_not1_saveexec_b32 s3, s3
; %bb.152:                              ;   in Loop: Header=BB69_4 Depth=1
	v_bfi_b32 v10, 0x7fffffff, 0, v2
	v_add_f32_e32 v9, v1, v1
; %bb.153:                              ;   in Loop: Header=BB69_4 Depth=1
	s_or_b32 exec_lo, exec_lo, s3
.LBB69_154:                             ;   in Loop: Header=BB69_4 Depth=1
	s_delay_alu instid0(SALU_CYCLE_1)
	s_or_b32 exec_lo, exec_lo, s2
.LBB69_155:                             ;   in Loop: Header=BB69_4 Depth=1
	s_and_not1_saveexec_b32 s2, s29
	s_cbranch_execz .LBB69_157
; %bb.156:                              ;   in Loop: Header=BB69_4 Depth=1
	v_rcp_f32_e64 v9, |v1|
	v_cmp_gt_f32_e64 vcc_lo, |v1|, 1.0
	s_waitcnt_depctr 0xfff
	v_cndmask_b32_e64 v9, |v1|, v9, vcc_lo
	s_delay_alu instid0(VALU_DEP_1) | instskip(NEXT) | instid1(VALU_DEP_1)
	v_mul_f32_e32 v10, v9, v9
	v_fmaak_f32 v11, s27, v10, 0xbc7a590c
	s_delay_alu instid0(VALU_DEP_1) | instskip(NEXT) | instid1(VALU_DEP_1)
	v_fmaak_f32 v11, v10, v11, 0x3d29fb3f
	v_fmaak_f32 v11, v10, v11, 0xbd97d4d7
	s_delay_alu instid0(VALU_DEP_1) | instskip(NEXT) | instid1(VALU_DEP_1)
	v_fmaak_f32 v11, v10, v11, 0x3dd931b2
	;; [unrolled: 3-line block ×3, first 2 shown]
	v_fmaak_f32 v11, v10, v11, 0xbeaaaa62
	s_delay_alu instid0(VALU_DEP_1) | instskip(NEXT) | instid1(VALU_DEP_1)
	v_mul_f32_e32 v10, v10, v11
	v_fmac_f32_e32 v9, v9, v10
	s_delay_alu instid0(VALU_DEP_1) | instskip(NEXT) | instid1(VALU_DEP_1)
	v_sub_f32_e32 v10, 0x3fc90fdb, v9
	v_dual_cndmask_b32 v9, v9, v10 :: v_dual_mov_b32 v10, v2
	s_delay_alu instid0(VALU_DEP_1)
	v_bfi_b32 v9, 0x7fffffff, v9, v1
.LBB69_157:                             ;   in Loop: Header=BB69_4 Depth=1
	s_or_b32 exec_lo, exec_lo, s2
.LBB69_158:                             ;   in Loop: Header=BB69_4 Depth=1
	s_and_not1_saveexec_b32 s2, s28
	s_cbranch_execz .LBB69_160
; %bb.159:                              ;   in Loop: Header=BB69_4 Depth=1
	v_sub_f32_e64 v9, 1.0, |v2|
	v_add_f32_e64 v11, |v2|, 1.0
	v_cmp_gt_f32_e64 s3, 0x39800000, |v2|
	s_delay_alu instid0(VALU_DEP_3) | instskip(SKIP_2) | instid1(VALU_DEP_1)
	v_rcp_f32_e32 v10, v9
	s_waitcnt_depctr 0xfff
	v_mul_f32_e32 v12, v11, v10
	v_dual_sub_f32 v22, 1.0, v9 :: v_dual_mul_f32 v23, v9, v12
	s_delay_alu instid0(VALU_DEP_1) | instskip(NEXT) | instid1(VALU_DEP_2)
	v_sub_f32_e64 v22, v22, |v2|
	v_fma_f32 v9, v12, v9, -v23
	s_delay_alu instid0(VALU_DEP_1) | instskip(NEXT) | instid1(VALU_DEP_1)
	v_fmac_f32_e32 v9, v12, v22
	v_add_f32_e32 v22, v23, v9
	s_delay_alu instid0(VALU_DEP_1) | instskip(NEXT) | instid1(VALU_DEP_1)
	v_sub_f32_e32 v24, v11, v22
	v_sub_f32_e32 v25, v11, v24
	v_add_f32_e32 v11, -1.0, v11
	s_delay_alu instid0(VALU_DEP_2) | instskip(NEXT) | instid1(VALU_DEP_2)
	v_dual_sub_f32 v23, v22, v23 :: v_dual_sub_f32 v22, v25, v22
	v_sub_f32_e64 v11, |v2|, v11
	s_delay_alu instid0(VALU_DEP_2) | instskip(NEXT) | instid1(VALU_DEP_1)
	v_sub_f32_e32 v9, v23, v9
	v_add_f32_e32 v9, v9, v22
	s_delay_alu instid0(VALU_DEP_1) | instskip(NEXT) | instid1(VALU_DEP_1)
	v_add_f32_e32 v9, v11, v9
	v_add_f32_e32 v9, v24, v9
	s_delay_alu instid0(VALU_DEP_1) | instskip(NEXT) | instid1(VALU_DEP_1)
	v_mul_f32_e32 v11, v10, v9
	v_add_f32_e32 v22, v12, v11
	s_delay_alu instid0(VALU_DEP_1) | instskip(SKIP_1) | instid1(VALU_DEP_1)
	v_cvt_f64_f32_e32 v[9:10], v22
	v_sub_f32_e32 v12, v22, v12
	v_sub_f32_e32 v11, v11, v12
	s_delay_alu instid0(VALU_DEP_3) | instskip(SKIP_1) | instid1(VALU_DEP_1)
	v_frexp_exp_i32_f64_e32 v9, v[9:10]
	v_frexp_mant_f32_e32 v10, v22
	v_cmp_gt_f32_e32 vcc_lo, 0x3f2aaaab, v10
	s_delay_alu instid0(VALU_DEP_3) | instskip(SKIP_1) | instid1(VALU_DEP_2)
	v_subrev_co_ci_u32_e32 v9, vcc_lo, 0, v9, vcc_lo
	v_cmp_ngt_f32_e64 vcc_lo, |v2|, 1.0
	v_sub_nc_u32_e32 v10, 0, v9
	v_cvt_f32_i32_e32 v9, v9
	s_delay_alu instid0(VALU_DEP_2) | instskip(SKIP_1) | instid1(VALU_DEP_2)
	v_ldexp_f32 v23, v22, v10
	v_ldexp_f32 v10, v11, v10
	v_add_f32_e32 v22, 1.0, v23
	s_delay_alu instid0(VALU_DEP_1) | instskip(NEXT) | instid1(VALU_DEP_1)
	v_add_f32_e32 v12, -1.0, v22
	v_dual_sub_f32 v12, v23, v12 :: v_dual_add_f32 v11, -1.0, v23
	s_delay_alu instid0(VALU_DEP_1) | instskip(NEXT) | instid1(VALU_DEP_2)
	v_add_f32_e32 v12, v10, v12
	v_add_f32_e32 v24, 1.0, v11
	s_delay_alu instid0(VALU_DEP_1) | instskip(NEXT) | instid1(VALU_DEP_3)
	v_sub_f32_e32 v23, v23, v24
	v_add_f32_e32 v24, v22, v12
	s_delay_alu instid0(VALU_DEP_1) | instskip(NEXT) | instid1(VALU_DEP_3)
	v_sub_f32_e32 v22, v24, v22
	v_add_f32_e32 v10, v10, v23
	s_delay_alu instid0(VALU_DEP_1) | instskip(NEXT) | instid1(VALU_DEP_1)
	v_add_f32_e32 v25, v11, v10
	v_dual_sub_f32 v12, v12, v22 :: v_dual_sub_f32 v11, v25, v11
	v_rcp_f32_e32 v23, v24
	s_waitcnt_depctr 0xfff
	v_mul_f32_e32 v26, v25, v23
	s_delay_alu instid0(VALU_DEP_1) | instskip(NEXT) | instid1(VALU_DEP_1)
	v_mul_f32_e32 v27, v24, v26
	v_fma_f32 v22, v26, v24, -v27
	s_delay_alu instid0(VALU_DEP_1) | instskip(NEXT) | instid1(VALU_DEP_1)
	v_fmac_f32_e32 v22, v26, v12
	v_add_f32_e32 v28, v27, v22
	s_delay_alu instid0(VALU_DEP_1) | instskip(NEXT) | instid1(VALU_DEP_1)
	v_sub_f32_e32 v29, v25, v28
	v_dual_sub_f32 v25, v25, v29 :: v_dual_sub_f32 v10, v10, v11
	s_delay_alu instid0(VALU_DEP_1) | instskip(NEXT) | instid1(VALU_DEP_1)
	v_sub_f32_e32 v25, v25, v28
	v_dual_sub_f32 v11, v28, v27 :: v_dual_add_f32 v10, v10, v25
	s_delay_alu instid0(VALU_DEP_1) | instskip(NEXT) | instid1(VALU_DEP_1)
	v_sub_f32_e32 v11, v11, v22
	v_add_f32_e32 v10, v11, v10
	s_delay_alu instid0(VALU_DEP_1) | instskip(NEXT) | instid1(VALU_DEP_1)
	v_add_f32_e32 v11, v29, v10
	v_mul_f32_e32 v22, v23, v11
	s_delay_alu instid0(VALU_DEP_1) | instskip(NEXT) | instid1(VALU_DEP_1)
	v_mul_f32_e32 v25, v24, v22
	v_fma_f32 v24, v22, v24, -v25
	s_delay_alu instid0(VALU_DEP_1) | instskip(SKIP_1) | instid1(VALU_DEP_2)
	v_fmac_f32_e32 v24, v22, v12
	v_sub_f32_e32 v28, v29, v11
	v_add_f32_e32 v12, v25, v24
	s_delay_alu instid0(VALU_DEP_1) | instskip(NEXT) | instid1(VALU_DEP_1)
	v_sub_f32_e32 v27, v11, v12
	v_sub_f32_e32 v11, v11, v27
	s_delay_alu instid0(VALU_DEP_4) | instskip(NEXT) | instid1(VALU_DEP_2)
	v_dual_sub_f32 v25, v12, v25 :: v_dual_add_f32 v10, v10, v28
	v_sub_f32_e32 v11, v11, v12
	s_delay_alu instid0(VALU_DEP_2) | instskip(NEXT) | instid1(VALU_DEP_2)
	v_sub_f32_e32 v12, v25, v24
	v_add_f32_e32 v10, v10, v11
	v_add_f32_e32 v11, v26, v22
	s_delay_alu instid0(VALU_DEP_2) | instskip(NEXT) | instid1(VALU_DEP_2)
	v_add_f32_e32 v10, v12, v10
	v_sub_f32_e32 v12, v11, v26
	s_delay_alu instid0(VALU_DEP_2) | instskip(NEXT) | instid1(VALU_DEP_2)
	v_add_f32_e32 v10, v27, v10
	v_sub_f32_e32 v12, v22, v12
	s_delay_alu instid0(VALU_DEP_2) | instskip(NEXT) | instid1(VALU_DEP_1)
	v_mul_f32_e32 v10, v23, v10
	v_add_f32_e32 v10, v12, v10
	s_delay_alu instid0(VALU_DEP_1) | instskip(NEXT) | instid1(VALU_DEP_1)
	v_add_f32_e32 v12, v11, v10
	v_mul_f32_e32 v22, v12, v12
	v_sub_f32_e32 v11, v12, v11
	s_delay_alu instid0(VALU_DEP_2) | instskip(SKIP_1) | instid1(VALU_DEP_3)
	v_fmaak_f32 v23, s26, v22, 0x3ecc95a3
	v_mul_f32_e32 v24, v12, v22
	v_sub_f32_e32 v10, v10, v11
	s_delay_alu instid0(VALU_DEP_3) | instskip(SKIP_1) | instid1(VALU_DEP_3)
	v_fmaak_f32 v22, v22, v23, 0x3f2aaada
	v_ldexp_f32 v23, v12, 1
	v_ldexp_f32 v10, v10, 1
	s_delay_alu instid0(VALU_DEP_3) | instskip(SKIP_1) | instid1(VALU_DEP_2)
	v_mul_f32_e32 v22, v24, v22
	v_mul_f32_e32 v24, 0x3f317218, v9
	v_add_f32_e32 v12, v23, v22
	s_delay_alu instid0(VALU_DEP_1) | instskip(NEXT) | instid1(VALU_DEP_3)
	v_sub_f32_e32 v11, v12, v23
	v_fma_f32 v23, 0x3f317218, v9, -v24
	s_delay_alu instid0(VALU_DEP_2) | instskip(NEXT) | instid1(VALU_DEP_2)
	v_sub_f32_e32 v11, v22, v11
	v_fmac_f32_e32 v23, 0xb102e308, v9
	s_delay_alu instid0(VALU_DEP_2) | instskip(NEXT) | instid1(VALU_DEP_2)
	v_add_f32_e32 v9, v10, v11
	v_add_f32_e32 v10, v24, v23
	s_delay_alu instid0(VALU_DEP_2) | instskip(NEXT) | instid1(VALU_DEP_1)
	v_add_f32_e32 v11, v12, v9
	v_add_f32_e32 v22, v10, v11
	s_delay_alu instid0(VALU_DEP_1) | instskip(SKIP_1) | instid1(VALU_DEP_2)
	v_dual_sub_f32 v12, v11, v12 :: v_dual_sub_f32 v25, v22, v10
	v_sub_f32_e32 v24, v10, v24
	v_dual_sub_f32 v9, v9, v12 :: v_dual_sub_f32 v26, v22, v25
	s_delay_alu instid0(VALU_DEP_2) | instskip(NEXT) | instid1(VALU_DEP_2)
	v_sub_f32_e32 v23, v23, v24
	v_dual_sub_f32 v11, v11, v25 :: v_dual_sub_f32 v10, v10, v26
	s_delay_alu instid0(VALU_DEP_2) | instskip(NEXT) | instid1(VALU_DEP_1)
	v_add_f32_e32 v12, v23, v9
	v_dual_add_f32 v10, v11, v10 :: v_dual_sub_f32 v11, v12, v23
	s_delay_alu instid0(VALU_DEP_1) | instskip(NEXT) | instid1(VALU_DEP_2)
	v_add_f32_e32 v10, v12, v10
	v_sub_f32_e32 v12, v12, v11
	s_delay_alu instid0(VALU_DEP_2) | instskip(NEXT) | instid1(VALU_DEP_1)
	v_dual_sub_f32 v9, v9, v11 :: v_dual_add_f32 v24, v22, v10
	v_dual_sub_f32 v11, v23, v12 :: v_dual_sub_f32 v12, v24, v22
	s_delay_alu instid0(VALU_DEP_1) | instskip(NEXT) | instid1(VALU_DEP_1)
	v_dual_add_f32 v9, v9, v11 :: v_dual_sub_f32 v10, v10, v12
	v_add_f32_e32 v9, v9, v10
	s_delay_alu instid0(VALU_DEP_1) | instskip(NEXT) | instid1(VALU_DEP_1)
	v_add_f32_e32 v9, v24, v9
	v_mul_f32_e32 v9, 0.5, v9
	s_delay_alu instid0(VALU_DEP_1) | instskip(NEXT) | instid1(VALU_DEP_1)
	v_cndmask_b32_e64 v9, v9, |v2|, s3
	v_cndmask_b32_e32 v9, 0x7fc00000, v9, vcc_lo
	v_cmp_neq_f32_e64 vcc_lo, |v2|, 1.0
	s_delay_alu instid0(VALU_DEP_2) | instskip(NEXT) | instid1(VALU_DEP_1)
	v_cndmask_b32_e32 v9, 0x7f800000, v9, vcc_lo
	v_bfi_b32 v10, 0x7fffffff, v9, v2
	v_mov_b32_e32 v9, v1
.LBB69_160:                             ;   in Loop: Header=BB69_4 Depth=1
	s_or_b32 exec_lo, exec_lo, s2
	v_cmp_neq_f32_e32 vcc_lo, 0, v3
	v_cmp_nle_f32_e64 s2, |v4|, 1.0
	v_dual_mov_b32 v1, s12 :: v_dual_mov_b32 v2, s13
	s_delay_alu instid0(VALU_DEP_2) | instskip(SKIP_3) | instid1(SALU_CYCLE_1)
	s_or_b32 s2, vcc_lo, s2
	flat_store_b32 v[1:2], v19 dlc
	s_waitcnt_vscnt null, 0x0
	s_and_saveexec_b32 s3, s2
	s_xor_b32 s28, exec_lo, s3
	s_cbranch_execz .LBB69_210
; %bb.161:                              ;   in Loop: Header=BB69_4 Depth=1
	s_mov_b32 s2, exec_lo
	v_cmpx_neq_f32_e32 0, v4
	s_xor_b32 s29, exec_lo, s2
	s_cbranch_execz .LBB69_207
; %bb.162:                              ;   in Loop: Header=BB69_4 Depth=1
	v_cmp_o_f32_e32 vcc_lo, v4, v4
	v_cmp_o_f32_e64 s2, v3, v3
	s_delay_alu instid0(VALU_DEP_1) | instskip(NEXT) | instid1(SALU_CYCLE_1)
	s_and_b32 s2, vcc_lo, s2
	s_and_saveexec_b32 s3, s2
	s_delay_alu instid0(SALU_CYCLE_1)
	s_xor_b32 s30, exec_lo, s3
	s_cbranch_execz .LBB69_196
; %bb.163:                              ;   in Loop: Header=BB69_4 Depth=1
	v_max_f32_e64 v2, |v4|, |v4|
	v_max_f32_e64 v1, |v3|, |v3|
	s_mov_b32 s2, exec_lo
	s_delay_alu instid0(VALU_DEP_1) | instskip(NEXT) | instid1(VALU_DEP_1)
	v_max_f32_e32 v2, v1, v2
	v_cmpx_nlt_f32_e32 0x4b000000, v2
	s_xor_b32 s31, exec_lo, s2
	s_cbranch_execz .LBB69_181
; %bb.164:                              ;   in Loop: Header=BB69_4 Depth=1
	v_cmp_ngt_f32_e64 s2, 0x399cc471, |v4|
	v_cmp_ngt_f32_e64 s3, 0x399cc471, |v3|
	s_delay_alu instid0(VALU_DEP_1) | instskip(NEXT) | instid1(SALU_CYCLE_1)
	s_or_b32 s2, s3, s2
	s_and_saveexec_b32 s3, s2
	s_delay_alu instid0(SALU_CYCLE_1)
	s_xor_b32 s33, exec_lo, s3
	s_cbranch_execz .LBB69_178
; %bb.165:                              ;   in Loop: Header=BB69_4 Depth=1
	v_cmp_neq_f32_e64 s3, |v4|, 1.0
	v_cmp_ngt_f32_e64 s2, 0x34000000, |v3|
                                        ; implicit-def: $vgpr2
	s_delay_alu instid0(VALU_DEP_1) | instskip(NEXT) | instid1(SALU_CYCLE_1)
	s_or_b32 s34, s2, s3
	s_and_saveexec_b32 s35, s34
	s_delay_alu instid0(SALU_CYCLE_1)
	s_xor_b32 s34, exec_lo, s35
	s_cbranch_execz .LBB69_167
; %bb.166:                              ;   in Loop: Header=BB69_4 Depth=1
	v_add_f32_e64 v2, |v4|, -1.0
	v_cmp_gt_f32_e64 vcc_lo, 0x20000000, |v3|
	v_mul_f32_e64 v12, |v4|, 4.0
	s_delay_alu instid0(VALU_DEP_3) | instskip(NEXT) | instid1(VALU_DEP_1)
	v_mul_f32_e32 v2, v2, v2
	v_fma_f32 v11, v3, v3, v2
	s_delay_alu instid0(VALU_DEP_1) | instskip(NEXT) | instid1(VALU_DEP_1)
	v_cndmask_b32_e32 v2, v11, v2, vcc_lo
	v_div_scale_f32 v11, null, v2, v2, v12
	v_div_scale_f32 v24, vcc_lo, v12, v2, v12
	s_delay_alu instid0(VALU_DEP_2) | instskip(SKIP_2) | instid1(VALU_DEP_1)
	v_rcp_f32_e32 v22, v11
	s_waitcnt_depctr 0xfff
	v_fma_f32 v23, -v11, v22, 1.0
	v_fmac_f32_e32 v22, v23, v22
	s_delay_alu instid0(VALU_DEP_1) | instskip(NEXT) | instid1(VALU_DEP_1)
	v_mul_f32_e32 v23, v24, v22
	v_fma_f32 v25, -v11, v23, v24
	s_delay_alu instid0(VALU_DEP_1) | instskip(NEXT) | instid1(VALU_DEP_1)
	v_fmac_f32_e32 v23, v25, v22
	v_fma_f32 v11, -v11, v23, v24
	s_delay_alu instid0(VALU_DEP_1) | instskip(NEXT) | instid1(VALU_DEP_1)
	v_div_fmas_f32 v11, v11, v22, v23
	v_div_fixup_f32 v2, v11, v2, v12
	s_delay_alu instid0(VALU_DEP_1) | instskip(NEXT) | instid1(VALU_DEP_1)
	v_add_f32_e32 v22, 1.0, v2
	v_cvt_f64_f32_e32 v[11:12], v22
	s_delay_alu instid0(VALU_DEP_1) | instskip(SKIP_1) | instid1(VALU_DEP_1)
	v_frexp_exp_i32_f64_e32 v11, v[11:12]
	v_frexp_mant_f32_e32 v12, v22
	v_cmp_gt_f32_e32 vcc_lo, 0x3f2aaaab, v12
	v_add_f32_e32 v12, -1.0, v22
	s_delay_alu instid0(VALU_DEP_1) | instskip(SKIP_1) | instid1(VALU_DEP_2)
	v_sub_f32_e32 v24, v12, v22
	v_sub_f32_e32 v12, v2, v12
	v_add_f32_e32 v24, 1.0, v24
	s_delay_alu instid0(VALU_DEP_1) | instskip(SKIP_2) | instid1(VALU_DEP_2)
	v_add_f32_e32 v12, v12, v24
	v_subrev_co_ci_u32_e32 v11, vcc_lo, 0, v11, vcc_lo
	v_cmp_eq_f32_e32 vcc_lo, 0x7f800000, v2
	v_sub_nc_u32_e32 v23, 0, v11
	v_cvt_f32_i32_e32 v11, v11
	s_delay_alu instid0(VALU_DEP_2) | instskip(SKIP_1) | instid1(VALU_DEP_2)
	v_ldexp_f32 v22, v22, v23
	v_ldexp_f32 v12, v12, v23
	v_add_f32_e32 v25, 1.0, v22
	s_delay_alu instid0(VALU_DEP_1) | instskip(NEXT) | instid1(VALU_DEP_1)
	v_dual_add_f32 v23, -1.0, v22 :: v_dual_add_f32 v24, -1.0, v25
	v_add_f32_e32 v26, 1.0, v23
	s_delay_alu instid0(VALU_DEP_2) | instskip(NEXT) | instid1(VALU_DEP_2)
	v_sub_f32_e32 v24, v22, v24
	v_sub_f32_e32 v22, v22, v26
	s_delay_alu instid0(VALU_DEP_2) | instskip(NEXT) | instid1(VALU_DEP_1)
	v_add_f32_e32 v24, v12, v24
	v_add_f32_e32 v26, v25, v24
	s_delay_alu instid0(VALU_DEP_3) | instskip(NEXT) | instid1(VALU_DEP_2)
	v_add_f32_e32 v12, v12, v22
	v_rcp_f32_e32 v22, v26
	s_delay_alu instid0(VALU_DEP_1) | instskip(SKIP_1) | instid1(VALU_DEP_1)
	v_add_f32_e32 v27, v23, v12
	v_sub_f32_e32 v25, v26, v25
	v_dual_sub_f32 v23, v27, v23 :: v_dual_sub_f32 v24, v24, v25
	s_waitcnt_depctr 0xfff
	v_mul_f32_e32 v28, v27, v22
	s_delay_alu instid0(VALU_DEP_1) | instskip(NEXT) | instid1(VALU_DEP_1)
	v_dual_sub_f32 v12, v12, v23 :: v_dual_mul_f32 v29, v26, v28
	v_fma_f32 v25, v28, v26, -v29
	s_delay_alu instid0(VALU_DEP_1) | instskip(NEXT) | instid1(VALU_DEP_1)
	v_fmac_f32_e32 v25, v28, v24
	v_add_f32_e32 v30, v29, v25
	s_delay_alu instid0(VALU_DEP_1) | instskip(SKIP_1) | instid1(VALU_DEP_2)
	v_sub_f32_e32 v31, v27, v30
	v_sub_f32_e32 v23, v30, v29
	v_sub_f32_e32 v27, v27, v31
	s_delay_alu instid0(VALU_DEP_2) | instskip(NEXT) | instid1(VALU_DEP_2)
	v_sub_f32_e32 v23, v23, v25
	v_sub_f32_e32 v27, v27, v30
	s_delay_alu instid0(VALU_DEP_1) | instskip(NEXT) | instid1(VALU_DEP_1)
	v_add_f32_e32 v12, v12, v27
	v_add_f32_e32 v12, v23, v12
	s_delay_alu instid0(VALU_DEP_1) | instskip(NEXT) | instid1(VALU_DEP_1)
	v_add_f32_e32 v23, v31, v12
	v_mul_f32_e32 v25, v22, v23
	s_delay_alu instid0(VALU_DEP_1) | instskip(NEXT) | instid1(VALU_DEP_1)
	v_dual_sub_f32 v30, v31, v23 :: v_dual_mul_f32 v27, v26, v25
	v_add_f32_e32 v12, v12, v30
	s_delay_alu instid0(VALU_DEP_2) | instskip(NEXT) | instid1(VALU_DEP_1)
	v_fma_f32 v26, v25, v26, -v27
	v_fmac_f32_e32 v26, v25, v24
	s_delay_alu instid0(VALU_DEP_1) | instskip(NEXT) | instid1(VALU_DEP_1)
	v_add_f32_e32 v24, v27, v26
	v_sub_f32_e32 v29, v23, v24
	v_sub_f32_e32 v27, v24, v27
	s_delay_alu instid0(VALU_DEP_2) | instskip(NEXT) | instid1(VALU_DEP_1)
	v_sub_f32_e32 v23, v23, v29
	v_sub_f32_e32 v23, v23, v24
	s_delay_alu instid0(VALU_DEP_3) | instskip(NEXT) | instid1(VALU_DEP_2)
	v_sub_f32_e32 v24, v27, v26
	v_add_f32_e32 v12, v12, v23
	v_add_f32_e32 v23, v28, v25
	s_delay_alu instid0(VALU_DEP_2) | instskip(NEXT) | instid1(VALU_DEP_2)
	v_add_f32_e32 v12, v24, v12
	v_sub_f32_e32 v24, v23, v28
	s_delay_alu instid0(VALU_DEP_2) | instskip(NEXT) | instid1(VALU_DEP_2)
	v_add_f32_e32 v12, v29, v12
	v_sub_f32_e32 v24, v25, v24
	s_delay_alu instid0(VALU_DEP_2) | instskip(NEXT) | instid1(VALU_DEP_1)
	v_mul_f32_e32 v12, v22, v12
	v_add_f32_e32 v12, v24, v12
	s_delay_alu instid0(VALU_DEP_1) | instskip(NEXT) | instid1(VALU_DEP_1)
	v_add_f32_e32 v22, v23, v12
	v_mul_f32_e32 v24, v22, v22
	s_delay_alu instid0(VALU_DEP_1) | instskip(SKIP_1) | instid1(VALU_DEP_2)
	v_fmaak_f32 v25, s26, v24, 0x3ecc95a3
	v_mul_f32_e32 v26, v22, v24
	v_fmaak_f32 v24, v24, v25, 0x3f2aaada
	v_ldexp_f32 v25, v22, 1
	v_sub_f32_e32 v22, v22, v23
	s_delay_alu instid0(VALU_DEP_3) | instskip(SKIP_1) | instid1(VALU_DEP_2)
	v_mul_f32_e32 v24, v26, v24
	v_mul_f32_e32 v26, 0x3f317218, v11
	v_dual_sub_f32 v12, v12, v22 :: v_dual_add_f32 v23, v25, v24
	s_delay_alu instid0(VALU_DEP_1) | instskip(NEXT) | instid1(VALU_DEP_2)
	v_ldexp_f32 v12, v12, 1
	v_sub_f32_e32 v22, v23, v25
	s_delay_alu instid0(VALU_DEP_4) | instskip(NEXT) | instid1(VALU_DEP_1)
	v_fma_f32 v25, 0x3f317218, v11, -v26
	v_dual_sub_f32 v22, v24, v22 :: v_dual_fmac_f32 v25, 0xb102e308, v11
	s_delay_alu instid0(VALU_DEP_1) | instskip(NEXT) | instid1(VALU_DEP_1)
	v_dual_add_f32 v11, v12, v22 :: v_dual_add_f32 v12, v26, v25
	v_add_f32_e32 v22, v23, v11
	s_delay_alu instid0(VALU_DEP_2) | instskip(NEXT) | instid1(VALU_DEP_2)
	v_sub_f32_e32 v26, v12, v26
	v_dual_add_f32 v24, v12, v22 :: v_dual_sub_f32 v23, v22, v23
	s_delay_alu instid0(VALU_DEP_2) | instskip(NEXT) | instid1(VALU_DEP_2)
	v_sub_f32_e32 v25, v25, v26
	v_sub_f32_e32 v27, v24, v12
	s_delay_alu instid0(VALU_DEP_3) | instskip(NEXT) | instid1(VALU_DEP_2)
	v_sub_f32_e32 v11, v11, v23
	v_sub_f32_e32 v28, v24, v27
	;; [unrolled: 1-line block ×3, first 2 shown]
	s_delay_alu instid0(VALU_DEP_2) | instskip(NEXT) | instid1(VALU_DEP_1)
	v_dual_add_f32 v23, v25, v11 :: v_dual_sub_f32 v12, v12, v28
	v_add_f32_e32 v12, v22, v12
	s_delay_alu instid0(VALU_DEP_2) | instskip(NEXT) | instid1(VALU_DEP_2)
	v_sub_f32_e32 v22, v23, v25
	v_add_f32_e32 v12, v23, v12
	s_delay_alu instid0(VALU_DEP_2) | instskip(NEXT) | instid1(VALU_DEP_2)
	v_sub_f32_e32 v23, v23, v22
	v_dual_sub_f32 v11, v11, v22 :: v_dual_add_f32 v26, v24, v12
	s_delay_alu instid0(VALU_DEP_1) | instskip(NEXT) | instid1(VALU_DEP_1)
	v_dual_sub_f32 v23, v25, v23 :: v_dual_sub_f32 v22, v26, v24
	v_dual_add_f32 v11, v11, v23 :: v_dual_sub_f32 v12, v12, v22
	s_delay_alu instid0(VALU_DEP_1) | instskip(NEXT) | instid1(VALU_DEP_1)
	v_add_f32_e32 v11, v11, v12
	v_add_f32_e32 v11, v26, v11
	s_delay_alu instid0(VALU_DEP_1) | instskip(SKIP_1) | instid1(VALU_DEP_2)
	v_cndmask_b32_e32 v11, v11, v2, vcc_lo
	v_cmp_ngt_f32_e32 vcc_lo, -1.0, v2
	v_cndmask_b32_e32 v11, 0x7fc00000, v11, vcc_lo
	v_cmp_neq_f32_e32 vcc_lo, -1.0, v2
	s_delay_alu instid0(VALU_DEP_2) | instskip(SKIP_1) | instid1(VALU_DEP_2)
	v_cndmask_b32_e32 v11, 0xff800000, v11, vcc_lo
	v_cmp_gt_f32_e64 vcc_lo, 0x33800000, |v2|
	v_cndmask_b32_e32 v2, v11, v2, vcc_lo
	s_delay_alu instid0(VALU_DEP_1)
	v_mul_f32_e32 v2, 0x3e800000, v2
	s_and_not1_saveexec_b32 s34, s34
	s_cbranch_execz .LBB69_169
	s_branch .LBB69_168
.LBB69_167:                             ;   in Loop: Header=BB69_4 Depth=1
	s_and_not1_saveexec_b32 s34, s34
	s_cbranch_execz .LBB69_169
.LBB69_168:                             ;   in Loop: Header=BB69_4 Depth=1
	v_cmp_gt_f32_e64 s35, 0x800000, |v3|
	s_delay_alu instid0(VALU_DEP_1) | instskip(NEXT) | instid1(VALU_DEP_1)
	v_cndmask_b32_e64 v2, 1.0, 0x4f800000, s35
	v_mul_f32_e64 v2, |v3|, v2
	s_delay_alu instid0(VALU_DEP_1) | instskip(SKIP_3) | instid1(VALU_DEP_2)
	v_log_f32_e32 v2, v2
	s_waitcnt_depctr 0xfff
	v_mul_f32_e32 v11, 0x3f317217, v2
	v_cmp_gt_f32_e64 vcc_lo, 0x7f800000, |v2|
	v_fma_f32 v12, 0x3f317217, v2, -v11
	s_delay_alu instid0(VALU_DEP_1) | instskip(NEXT) | instid1(VALU_DEP_1)
	v_fmac_f32_e32 v12, 0x3377d1cf, v2
	v_add_f32_e32 v11, v11, v12
	s_delay_alu instid0(VALU_DEP_1) | instskip(SKIP_1) | instid1(VALU_DEP_1)
	v_cndmask_b32_e32 v2, v2, v11, vcc_lo
	v_cndmask_b32_e64 v11, 0, 0x41b17218, s35
	v_sub_f32_e32 v2, v2, v11
	s_delay_alu instid0(VALU_DEP_1) | instskip(NEXT) | instid1(VALU_DEP_1)
	v_sub_f32_e32 v2, 0x3f317218, v2
	v_mul_f32_e32 v2, 0.5, v2
.LBB69_169:                             ;   in Loop: Header=BB69_4 Depth=1
	s_or_b32 exec_lo, exec_lo, s34
                                        ; implicit-def: $vgpr12
	s_and_saveexec_b32 s34, s3
	s_delay_alu instid0(SALU_CYCLE_1)
	s_xor_b32 s34, exec_lo, s34
	s_cbranch_execz .LBB69_175
; %bb.170:                              ;   in Loop: Header=BB69_4 Depth=1
	v_sub_f32_e64 v11, 1.0, |v4|
	v_add_f32_e64 v12, |v4|, 1.0
	v_add_f32_e64 v1, |v3|, |v3|
	s_delay_alu instid0(VALU_DEP_2) | instskip(SKIP_1) | instid1(SALU_CYCLE_1)
	v_mul_f32_e32 v11, v11, v12
                                        ; implicit-def: $vgpr12
	s_and_saveexec_b32 s3, s2
	s_xor_b32 s3, exec_lo, s3
	s_cbranch_execz .LBB69_172
; %bb.171:                              ;   in Loop: Header=BB69_4 Depth=1
	s_delay_alu instid0(VALU_DEP_1) | instskip(SKIP_3) | instid1(VALU_DEP_4)
	v_fma_f32 v11, -v3, v3, v11
	v_max_f32_e64 v12, |v1|, |v1|
	v_cmp_eq_f32_e64 s2, 0, v1
	v_cmp_class_f32_e64 s35, v1, 0x204
	v_cmp_gt_f32_e64 vcc_lo, |v1|, |v11|
	s_delay_alu instid0(VALU_DEP_4) | instskip(SKIP_2) | instid1(VALU_DEP_3)
	v_max_f32_e64 v22, |v11|, v12
	v_min_f32_e64 v12, |v11|, v12
	v_cmp_class_f32_e64 s36, v11, 0x204
	v_frexp_mant_f32_e32 v23, v22
	v_frexp_exp_i32_f32_e32 v22, v22
	s_delay_alu instid0(VALU_DEP_4) | instskip(SKIP_1) | instid1(VALU_DEP_4)
	v_frexp_exp_i32_f32_e32 v24, v12
	v_frexp_mant_f32_e32 v12, v12
	v_rcp_f32_e32 v23, v23
	s_delay_alu instid0(VALU_DEP_2) | instskip(SKIP_2) | instid1(VALU_DEP_1)
	v_sub_nc_u32_e32 v22, v24, v22
	s_waitcnt_depctr 0xfff
	v_mul_f32_e32 v12, v12, v23
	v_ldexp_f32 v12, v12, v22
	s_delay_alu instid0(VALU_DEP_1) | instskip(NEXT) | instid1(VALU_DEP_1)
	v_mul_f32_e32 v22, v12, v12
	v_fmaak_f32 v23, s27, v22, 0xbc7a590c
	s_delay_alu instid0(VALU_DEP_1) | instskip(NEXT) | instid1(VALU_DEP_1)
	v_fmaak_f32 v23, v22, v23, 0x3d29fb3f
	v_fmaak_f32 v23, v22, v23, 0xbd97d4d7
	s_delay_alu instid0(VALU_DEP_1) | instskip(NEXT) | instid1(VALU_DEP_1)
	v_fmaak_f32 v23, v22, v23, 0x3dd931b2
	;; [unrolled: 3-line block ×3, first 2 shown]
	v_fmaak_f32 v23, v22, v23, 0xbeaaaa62
	s_delay_alu instid0(VALU_DEP_1) | instskip(NEXT) | instid1(VALU_DEP_1)
	v_mul_f32_e32 v22, v22, v23
	v_fmac_f32_e32 v12, v12, v22
	s_delay_alu instid0(VALU_DEP_1) | instskip(NEXT) | instid1(VALU_DEP_1)
	v_sub_f32_e32 v22, 0x3fc90fdb, v12
	v_cndmask_b32_e32 v12, v12, v22, vcc_lo
	v_cmp_gt_i32_e32 vcc_lo, 0, v11
	s_delay_alu instid0(VALU_DEP_2) | instskip(SKIP_2) | instid1(VALU_DEP_3)
	v_sub_f32_e32 v22, 0x40490fdb, v12
	v_cndmask_b32_e64 v23, 0, 0x40490fdb, vcc_lo
	v_cmp_gt_f32_e32 vcc_lo, 0, v11
	v_cndmask_b32_e32 v12, v12, v22, vcc_lo
	v_cndmask_b32_e32 v22, 0x3f490fdb, v21, vcc_lo
	s_and_b32 vcc_lo, s35, s36
	s_delay_alu instid0(VALU_DEP_2) | instskip(NEXT) | instid1(VALU_DEP_1)
	v_cndmask_b32_e64 v12, v12, v23, s2
	v_cndmask_b32_e32 v12, v12, v22, vcc_lo
	v_cmp_o_f32_e32 vcc_lo, v11, v1
	s_delay_alu instid0(VALU_DEP_2) | instskip(NEXT) | instid1(VALU_DEP_1)
	v_cndmask_b32_e32 v11, 0x7fc00000, v12, vcc_lo
	v_bfi_b32 v12, 0x7fffffff, v11, v1
                                        ; implicit-def: $vgpr1
                                        ; implicit-def: $vgpr11
.LBB69_172:                             ;   in Loop: Header=BB69_4 Depth=1
	s_and_not1_saveexec_b32 s35, s3
	s_cbranch_execz .LBB69_174
; %bb.173:                              ;   in Loop: Header=BB69_4 Depth=1
	v_max_f32_e32 v12, v1, v1
	v_max_f32_e64 v22, |v11|, |v11|
	v_cmp_gt_f32_e64 vcc_lo, v1, |v11|
	v_cmp_eq_f32_e64 s3, 0, v1
	v_cmp_class_f32_e64 s36, v11, 0x204
	v_cmp_eq_f32_e64 s2, 0x7f800000, v1
	v_max_f32_e32 v23, v22, v12
	v_min_f32_e32 v12, v22, v12
	s_delay_alu instid0(VALU_DEP_2) | instskip(NEXT) | instid1(VALU_DEP_1)
	v_frexp_mant_f32_e32 v24, v23
	v_rcp_f32_e32 v22, v24
	s_delay_alu instid0(VALU_DEP_2) | instskip(SKIP_4) | instid1(VALU_DEP_1)
	v_frexp_exp_i32_f32_e32 v24, v12
	v_frexp_mant_f32_e32 v12, v12
	s_waitcnt_depctr 0xfff
	v_mul_f32_e32 v12, v12, v22
	v_frexp_exp_i32_f32_e32 v23, v23
	v_sub_nc_u32_e32 v23, v24, v23
	s_delay_alu instid0(VALU_DEP_1) | instskip(NEXT) | instid1(VALU_DEP_1)
	v_ldexp_f32 v12, v12, v23
	v_mul_f32_e32 v22, v12, v12
	s_delay_alu instid0(VALU_DEP_1) | instskip(NEXT) | instid1(VALU_DEP_1)
	v_fmaak_f32 v23, s27, v22, 0xbc7a590c
	v_fmaak_f32 v23, v22, v23, 0x3d29fb3f
	s_delay_alu instid0(VALU_DEP_1) | instskip(NEXT) | instid1(VALU_DEP_1)
	v_fmaak_f32 v23, v22, v23, 0xbd97d4d7
	v_fmaak_f32 v23, v22, v23, 0x3dd931b2
	;; [unrolled: 3-line block ×3, first 2 shown]
	s_delay_alu instid0(VALU_DEP_1) | instskip(NEXT) | instid1(VALU_DEP_1)
	v_fmaak_f32 v23, v22, v23, 0xbeaaaa62
	v_mul_f32_e32 v22, v22, v23
	s_delay_alu instid0(VALU_DEP_1) | instskip(NEXT) | instid1(VALU_DEP_1)
	v_fmac_f32_e32 v12, v12, v22
	v_sub_f32_e32 v22, 0x3fc90fdb, v12
	s_delay_alu instid0(VALU_DEP_1) | instskip(SKIP_1) | instid1(VALU_DEP_2)
	v_cndmask_b32_e32 v12, v12, v22, vcc_lo
	v_cmp_gt_i32_e32 vcc_lo, 0, v11
	v_sub_f32_e32 v22, 0x40490fdb, v12
	v_cndmask_b32_e64 v23, 0, 0x40490fdb, vcc_lo
	v_cmp_gt_f32_e32 vcc_lo, 0, v11
	s_delay_alu instid0(VALU_DEP_3) | instskip(NEXT) | instid1(VALU_DEP_1)
	v_cndmask_b32_e32 v12, v12, v22, vcc_lo
	v_cndmask_b32_e64 v1, v12, v23, s3
	v_cndmask_b32_e32 v12, 0x3f490fdb, v21, vcc_lo
	s_and_b32 vcc_lo, s2, s36
	s_delay_alu instid0(VALU_DEP_1) | instskip(SKIP_1) | instid1(VALU_DEP_2)
	v_cndmask_b32_e32 v1, v1, v12, vcc_lo
	v_cmp_o_f32_e32 vcc_lo, v11, v11
	v_cndmask_b32_e64 v12, 0x7fc00000, |v1|, vcc_lo
.LBB69_174:                             ;   in Loop: Header=BB69_4 Depth=1
	s_or_b32 exec_lo, exec_lo, s35
                                        ; implicit-def: $vgpr1
	s_and_not1_saveexec_b32 s2, s34
	s_cbranch_execnz .LBB69_176
	s_branch .LBB69_177
.LBB69_175:                             ;   in Loop: Header=BB69_4 Depth=1
	s_and_not1_saveexec_b32 s2, s34
	s_cbranch_execz .LBB69_177
.LBB69_176:                             ;   in Loop: Header=BB69_4 Depth=1
	v_max_f32_e32 v11, 2.0, v1
	v_min_f32_e32 v1, 2.0, v1
	v_cmp_lt_f32_e64 vcc_lo, |v3|, 2.0
	s_delay_alu instid0(VALU_DEP_3) | instskip(NEXT) | instid1(VALU_DEP_3)
	v_frexp_mant_f32_e32 v12, v11
	v_frexp_mant_f32_e32 v22, v1
	v_frexp_exp_i32_f32_e32 v1, v1
	s_delay_alu instid0(VALU_DEP_3) | instskip(SKIP_3) | instid1(VALU_DEP_1)
	v_rcp_f32_e32 v12, v12
	s_waitcnt_depctr 0xfff
	v_mul_f32_e32 v12, v22, v12
	v_frexp_exp_i32_f32_e32 v11, v11
	v_sub_nc_u32_e32 v1, v1, v11
	s_delay_alu instid0(VALU_DEP_1) | instskip(NEXT) | instid1(VALU_DEP_1)
	v_ldexp_f32 v1, v12, v1
	v_mul_f32_e32 v11, v1, v1
	s_delay_alu instid0(VALU_DEP_1) | instskip(NEXT) | instid1(VALU_DEP_1)
	v_fmaak_f32 v12, s27, v11, 0xbc7a590c
	v_fmaak_f32 v12, v11, v12, 0x3d29fb3f
	s_delay_alu instid0(VALU_DEP_1) | instskip(NEXT) | instid1(VALU_DEP_1)
	v_fmaak_f32 v12, v11, v12, 0xbd97d4d7
	v_fmaak_f32 v12, v11, v12, 0x3dd931b2
	;; [unrolled: 3-line block ×3, first 2 shown]
	s_delay_alu instid0(VALU_DEP_1) | instskip(NEXT) | instid1(VALU_DEP_1)
	v_fmaak_f32 v12, v11, v12, 0xbeaaaa62
	v_mul_f32_e32 v11, v11, v12
	s_delay_alu instid0(VALU_DEP_1) | instskip(NEXT) | instid1(VALU_DEP_1)
	v_fmac_f32_e32 v1, v1, v11
	v_sub_f32_e32 v11, 0x3fc90fdb, v1
	s_delay_alu instid0(VALU_DEP_1) | instskip(SKIP_1) | instid1(VALU_DEP_2)
	v_cndmask_b32_e32 v1, v1, v11, vcc_lo
	v_cmp_lg_f32_e32 vcc_lo, 0, v3
	v_sub_f32_e32 v11, 0x40490fdb, v1
	s_delay_alu instid0(VALU_DEP_1) | instskip(NEXT) | instid1(VALU_DEP_1)
	v_cndmask_b32_e32 v1, v1, v11, vcc_lo
	v_and_b32_e32 v12, 0x7fffffff, v1
.LBB69_177:                             ;   in Loop: Header=BB69_4 Depth=1
	s_or_b32 exec_lo, exec_lo, s2
	s_delay_alu instid0(VALU_DEP_1) | instskip(SKIP_1) | instid1(VALU_DEP_2)
	v_mul_f32_e32 v1, 0.5, v12
	v_bfi_b32 v12, 0x7fffffff, v2, v4
	v_bfi_b32 v11, 0x7fffffff, v1, v3
                                        ; implicit-def: $vgpr3
.LBB69_178:                             ;   in Loop: Header=BB69_4 Depth=1
	s_and_not1_saveexec_b32 s2, s33
	s_cbranch_execz .LBB69_180
; %bb.179:                              ;   in Loop: Header=BB69_4 Depth=1
	v_dual_mov_b32 v1, s14 :: v_dual_mov_b32 v2, s15
	v_mov_b32_e32 v12, v4
	flat_store_b32 v[1:2], v20 dlc
	s_waitcnt_vscnt null, 0x0
	flat_load_b32 v1, v[1:2] glc dlc
	s_waitcnt vmcnt(0) lgkmcnt(0)
	v_add_f32_e32 v11, 1.0, v1
	v_dual_mov_b32 v1, s16 :: v_dual_mov_b32 v2, s17
	flat_store_b32 v[1:2], v11 dlc
	s_waitcnt_vscnt null, 0x0
	flat_load_b32 v1, v[1:2] glc dlc
	s_waitcnt vmcnt(0)
	v_mov_b32_e32 v11, v3
.LBB69_180:                             ;   in Loop: Header=BB69_4 Depth=1
	s_or_b32 exec_lo, exec_lo, s2
                                        ; implicit-def: $vgpr1_vgpr2_vgpr3_vgpr4
.LBB69_181:                             ;   in Loop: Header=BB69_4 Depth=1
	s_and_not1_saveexec_b32 s2, s31
	s_cbranch_execz .LBB69_195
; %bb.182:                              ;   in Loop: Header=BB69_4 Depth=1
	s_waitcnt lgkmcnt(0)
	v_and_b32_e32 v1, 0x7f800000, v4
	v_and_b32_e32 v2, 0x7f800000, v3
	v_cmp_neq_f32_e64 s3, 0x7f800000, |v4|
	s_delay_alu instid0(VALU_DEP_2) | instskip(NEXT) | instid1(VALU_DEP_1)
	v_sub_nc_u32_e32 v11, v1, v2
	v_cmp_gt_i32_e32 vcc_lo, 0x6800000, v11
	s_delay_alu instid0(VALU_DEP_3) | instskip(NEXT) | instid1(SALU_CYCLE_1)
	s_and_b32 s3, s3, vcc_lo
	s_and_saveexec_b32 s31, s3
	s_delay_alu instid0(SALU_CYCLE_1)
	s_xor_b32 s3, exec_lo, s31
	s_cbranch_execz .LBB69_192
; %bb.183:                              ;   in Loop: Header=BB69_4 Depth=1
	v_sub_nc_u32_e32 v2, v2, v1
	s_mov_b32 s31, exec_lo
	s_delay_alu instid0(VALU_DEP_1)
	v_cmpx_gt_i32_e32 0x6800000, v2
	s_xor_b32 s31, exec_lo, s31
	s_cbranch_execz .LBB69_189
; %bb.184:                              ;   in Loop: Header=BB69_4 Depth=1
	s_mov_b32 s33, exec_lo
	v_cmpx_lt_u32_e32 0x59000000, v1
	s_xor_b32 s33, exec_lo, s33
	s_cbranch_execz .LBB69_186
; %bb.185:                              ;   in Loop: Header=BB69_4 Depth=1
	v_sub_nc_u32_e32 v1, 0x7f800000, v1
	s_delay_alu instid0(VALU_DEP_1) | instskip(NEXT) | instid1(VALU_DEP_1)
	v_mul_f32_e32 v2, v3, v1
	v_dual_mul_f32 v11, v4, v1 :: v_dual_mul_f32 v2, v2, v2
	s_delay_alu instid0(VALU_DEP_1) | instskip(NEXT) | instid1(VALU_DEP_1)
	v_fmac_f32_e32 v2, v11, v11
	v_div_scale_f32 v12, null, v2, v2, v11
	s_delay_alu instid0(VALU_DEP_1) | instskip(SKIP_2) | instid1(VALU_DEP_1)
	v_rcp_f32_e32 v22, v12
	s_waitcnt_depctr 0xfff
	v_fma_f32 v23, -v12, v22, 1.0
	v_fmac_f32_e32 v22, v23, v22
	v_div_scale_f32 v23, vcc_lo, v11, v2, v11
	s_delay_alu instid0(VALU_DEP_1) | instskip(NEXT) | instid1(VALU_DEP_1)
	v_mul_f32_e32 v24, v23, v22
	v_fma_f32 v25, -v12, v24, v23
	s_delay_alu instid0(VALU_DEP_1) | instskip(NEXT) | instid1(VALU_DEP_1)
	v_fmac_f32_e32 v24, v25, v22
	v_fma_f32 v12, -v12, v24, v23
	s_delay_alu instid0(VALU_DEP_1) | instskip(NEXT) | instid1(VALU_DEP_1)
	v_div_fmas_f32 v12, v12, v22, v24
	v_div_fixup_f32 v2, v12, v2, v11
	s_delay_alu instid0(VALU_DEP_1)
	v_mul_f32_e32 v12, v2, v1
.LBB69_186:                             ;   in Loop: Header=BB69_4 Depth=1
	s_and_not1_saveexec_b32 s33, s33
	s_cbranch_execz .LBB69_188
; %bb.187:                              ;   in Loop: Header=BB69_4 Depth=1
	v_mul_f32_e32 v1, v4, v4
	s_delay_alu instid0(VALU_DEP_1) | instskip(NEXT) | instid1(VALU_DEP_1)
	v_fmac_f32_e32 v1, v3, v3
	v_div_scale_f32 v2, null, v1, v1, v4
	s_delay_alu instid0(VALU_DEP_1) | instskip(SKIP_2) | instid1(VALU_DEP_1)
	v_rcp_f32_e32 v11, v2
	s_waitcnt_depctr 0xfff
	v_fma_f32 v12, -v2, v11, 1.0
	v_fmac_f32_e32 v11, v12, v11
	v_div_scale_f32 v12, vcc_lo, v4, v1, v4
	s_delay_alu instid0(VALU_DEP_1) | instskip(NEXT) | instid1(VALU_DEP_1)
	v_mul_f32_e32 v22, v12, v11
	v_fma_f32 v23, -v2, v22, v12
	s_delay_alu instid0(VALU_DEP_1) | instskip(NEXT) | instid1(VALU_DEP_1)
	v_fmac_f32_e32 v22, v23, v11
	v_fma_f32 v2, -v2, v22, v12
	s_delay_alu instid0(VALU_DEP_1) | instskip(NEXT) | instid1(VALU_DEP_1)
	v_div_fmas_f32 v2, v2, v11, v22
	v_div_fixup_f32 v12, v2, v1, v4
.LBB69_188:                             ;   in Loop: Header=BB69_4 Depth=1
	s_or_b32 exec_lo, exec_lo, s33
.LBB69_189:                             ;   in Loop: Header=BB69_4 Depth=1
	s_and_not1_saveexec_b32 s31, s31
	s_cbranch_execz .LBB69_191
; %bb.190:                              ;   in Loop: Header=BB69_4 Depth=1
	v_div_scale_f32 v1, null, v3, v3, v4
	v_div_scale_f32 v12, vcc_lo, v4, v3, v4
	s_delay_alu instid0(VALU_DEP_2) | instskip(SKIP_2) | instid1(VALU_DEP_1)
	v_rcp_f32_e32 v2, v1
	s_waitcnt_depctr 0xfff
	v_fma_f32 v11, -v1, v2, 1.0
	v_fmac_f32_e32 v2, v11, v2
	s_delay_alu instid0(VALU_DEP_1) | instskip(NEXT) | instid1(VALU_DEP_1)
	v_mul_f32_e32 v11, v12, v2
	v_fma_f32 v22, -v1, v11, v12
	s_delay_alu instid0(VALU_DEP_1) | instskip(NEXT) | instid1(VALU_DEP_1)
	v_fmac_f32_e32 v11, v22, v2
	v_fma_f32 v1, -v1, v11, v12
	s_delay_alu instid0(VALU_DEP_1) | instskip(NEXT) | instid1(VALU_DEP_1)
	v_div_fmas_f32 v1, v1, v2, v11
	v_div_fixup_f32 v1, v1, v3, v4
	s_delay_alu instid0(VALU_DEP_1) | instskip(NEXT) | instid1(VALU_DEP_1)
	v_div_scale_f32 v2, null, v3, v3, v1
	v_rcp_f32_e32 v11, v2
	s_waitcnt_depctr 0xfff
	v_fma_f32 v12, -v2, v11, 1.0
	s_delay_alu instid0(VALU_DEP_1) | instskip(SKIP_1) | instid1(VALU_DEP_1)
	v_fmac_f32_e32 v11, v12, v11
	v_div_scale_f32 v12, vcc_lo, v1, v3, v1
	v_mul_f32_e32 v22, v12, v11
	s_delay_alu instid0(VALU_DEP_1) | instskip(NEXT) | instid1(VALU_DEP_1)
	v_fma_f32 v23, -v2, v22, v12
	v_fmac_f32_e32 v22, v23, v11
	s_delay_alu instid0(VALU_DEP_1) | instskip(NEXT) | instid1(VALU_DEP_1)
	v_fma_f32 v2, -v2, v22, v12
	v_div_fmas_f32 v2, v2, v11, v22
	s_delay_alu instid0(VALU_DEP_1)
	v_div_fixup_f32 v12, v2, v3, v1
.LBB69_191:                             ;   in Loop: Header=BB69_4 Depth=1
	s_or_b32 exec_lo, exec_lo, s31
.LBB69_192:                             ;   in Loop: Header=BB69_4 Depth=1
	s_and_not1_saveexec_b32 s3, s3
; %bb.193:                              ;   in Loop: Header=BB69_4 Depth=1
	v_div_scale_f32 v1, null, v4, v4, 1.0
	s_delay_alu instid0(VALU_DEP_1) | instskip(SKIP_2) | instid1(VALU_DEP_1)
	v_rcp_f32_e32 v2, v1
	s_waitcnt_depctr 0xfff
	v_fma_f32 v11, -v1, v2, 1.0
	v_fmac_f32_e32 v2, v11, v2
	v_div_scale_f32 v11, vcc_lo, 1.0, v4, 1.0
	s_delay_alu instid0(VALU_DEP_1) | instskip(NEXT) | instid1(VALU_DEP_1)
	v_mul_f32_e32 v12, v11, v2
	v_fma_f32 v22, -v1, v12, v11
	s_delay_alu instid0(VALU_DEP_1) | instskip(NEXT) | instid1(VALU_DEP_1)
	v_fmac_f32_e32 v12, v22, v2
	v_fma_f32 v1, -v1, v12, v11
	s_delay_alu instid0(VALU_DEP_1) | instskip(NEXT) | instid1(VALU_DEP_1)
	v_div_fmas_f32 v1, v1, v2, v12
	v_div_fixup_f32 v12, v1, v4, 1.0
; %bb.194:                              ;   in Loop: Header=BB69_4 Depth=1
	s_or_b32 exec_lo, exec_lo, s3
	v_dual_mov_b32 v1, s12 :: v_dual_mov_b32 v2, s13
	flat_load_b32 v1, v[1:2] glc dlc
	s_waitcnt vmcnt(0) lgkmcnt(0)
	v_add_f32_e32 v1, 0x3fc90fdb, v1
	s_delay_alu instid0(VALU_DEP_1)
	v_bfi_b32 v11, 0x7fffffff, v1, v3
.LBB69_195:                             ;   in Loop: Header=BB69_4 Depth=1
	s_or_b32 exec_lo, exec_lo, s2
                                        ; implicit-def: $vgpr1_vgpr2_vgpr3_vgpr4
.LBB69_196:                             ;   in Loop: Header=BB69_4 Depth=1
	s_and_not1_saveexec_b32 s2, s30
	s_cbranch_execz .LBB69_206
; %bb.197:                              ;   in Loop: Header=BB69_4 Depth=1
	v_cmp_neq_f32_e64 s3, 0x7f800000, |v4|
	s_delay_alu instid0(VALU_DEP_1) | instskip(NEXT) | instid1(SALU_CYCLE_1)
	s_and_saveexec_b32 s30, s3
	s_xor_b32 s3, exec_lo, s30
	s_cbranch_execz .LBB69_203
; %bb.198:                              ;   in Loop: Header=BB69_4 Depth=1
	v_cmp_neq_f32_e64 s30, 0x7f800000, |v3|
	s_delay_alu instid0(VALU_DEP_1) | instskip(NEXT) | instid1(SALU_CYCLE_1)
	s_and_saveexec_b32 s31, s30
	s_xor_b32 s30, exec_lo, s31
	s_cbranch_execz .LBB69_200
; %bb.199:                              ;   in Loop: Header=BB69_4 Depth=1
	s_waitcnt lgkmcnt(0)
	v_add_f32_e32 v1, 0, v3
	s_delay_alu instid0(VALU_DEP_1)
	v_add_f32_e32 v11, v1, v4
                                        ; implicit-def: $vgpr1_vgpr2_vgpr3_vgpr4
.LBB69_200:                             ;   in Loop: Header=BB69_4 Depth=1
	s_or_saveexec_b32 s30, s30
	s_delay_alu instid0(VALU_DEP_1)
	v_mov_b32_e32 v12, v11
	s_xor_b32 exec_lo, exec_lo, s30
	s_cbranch_execz .LBB69_202
; %bb.201:                              ;   in Loop: Header=BB69_4 Depth=1
	s_waitcnt lgkmcnt(0)
	v_dual_mov_b32 v1, s12 :: v_dual_mov_b32 v2, s13
	v_bfi_b32 v12, 0x7fffffff, 0, v4
	flat_load_b32 v1, v[1:2] glc dlc
	s_waitcnt vmcnt(0) lgkmcnt(0)
	v_add_f32_e32 v1, 0x3fc90fdb, v1
	s_delay_alu instid0(VALU_DEP_1)
	v_bfi_b32 v11, 0x7fffffff, v1, v3
.LBB69_202:                             ;   in Loop: Header=BB69_4 Depth=1
	s_or_b32 exec_lo, exec_lo, s30
                                        ; implicit-def: $vgpr1_vgpr2_vgpr3_vgpr4
.LBB69_203:                             ;   in Loop: Header=BB69_4 Depth=1
	s_and_not1_saveexec_b32 s3, s3
; %bb.204:                              ;   in Loop: Header=BB69_4 Depth=1
	v_bfi_b32 v12, 0x7fffffff, 0, v4
	v_add_f32_e32 v11, v3, v3
; %bb.205:                              ;   in Loop: Header=BB69_4 Depth=1
	s_or_b32 exec_lo, exec_lo, s3
.LBB69_206:                             ;   in Loop: Header=BB69_4 Depth=1
	s_delay_alu instid0(SALU_CYCLE_1)
	s_or_b32 exec_lo, exec_lo, s2
                                        ; implicit-def: $vgpr1_vgpr2_vgpr3_vgpr4
.LBB69_207:                             ;   in Loop: Header=BB69_4 Depth=1
	s_and_not1_saveexec_b32 s2, s29
	s_cbranch_execz .LBB69_209
; %bb.208:                              ;   in Loop: Header=BB69_4 Depth=1
	s_waitcnt lgkmcnt(0)
	v_rcp_f32_e64 v1, |v3|
	v_cmp_gt_f32_e64 vcc_lo, |v3|, 1.0
	v_mov_b32_e32 v12, v4
	s_waitcnt_depctr 0xfff
	v_cndmask_b32_e64 v1, |v3|, v1, vcc_lo
	s_delay_alu instid0(VALU_DEP_1) | instskip(NEXT) | instid1(VALU_DEP_1)
	v_mul_f32_e32 v2, v1, v1
	v_fmaak_f32 v11, s27, v2, 0xbc7a590c
	s_delay_alu instid0(VALU_DEP_1) | instskip(NEXT) | instid1(VALU_DEP_1)
	v_fmaak_f32 v11, v2, v11, 0x3d29fb3f
	v_fmaak_f32 v11, v2, v11, 0xbd97d4d7
	s_delay_alu instid0(VALU_DEP_1) | instskip(NEXT) | instid1(VALU_DEP_1)
	v_fmaak_f32 v11, v2, v11, 0x3dd931b2
	;; [unrolled: 3-line block ×3, first 2 shown]
	v_fmaak_f32 v11, v2, v11, 0xbeaaaa62
	s_delay_alu instid0(VALU_DEP_1) | instskip(NEXT) | instid1(VALU_DEP_1)
	v_mul_f32_e32 v2, v2, v11
	v_fmac_f32_e32 v1, v1, v2
	s_delay_alu instid0(VALU_DEP_1) | instskip(NEXT) | instid1(VALU_DEP_1)
	v_sub_f32_e32 v2, 0x3fc90fdb, v1
	v_cndmask_b32_e32 v1, v1, v2, vcc_lo
	s_delay_alu instid0(VALU_DEP_1)
	v_bfi_b32 v11, 0x7fffffff, v1, v3
.LBB69_209:                             ;   in Loop: Header=BB69_4 Depth=1
	s_or_b32 exec_lo, exec_lo, s2
                                        ; implicit-def: $vgpr1_vgpr2_vgpr3_vgpr4
.LBB69_210:                             ;   in Loop: Header=BB69_4 Depth=1
	s_and_not1_saveexec_b32 s2, s28
	s_cbranch_execz .LBB69_3
; %bb.211:                              ;   in Loop: Header=BB69_4 Depth=1
	s_waitcnt lgkmcnt(0)
	v_sub_f32_e64 v1, 1.0, |v4|
	v_add_f32_e64 v11, |v4|, 1.0
	v_cmp_gt_f32_e64 s3, 0x39800000, |v4|
	s_delay_alu instid0(VALU_DEP_3) | instskip(SKIP_2) | instid1(VALU_DEP_1)
	v_rcp_f32_e32 v2, v1
	s_waitcnt_depctr 0xfff
	v_mul_f32_e32 v12, v11, v2
	v_dual_sub_f32 v22, 1.0, v1 :: v_dual_mul_f32 v23, v1, v12
	s_delay_alu instid0(VALU_DEP_1) | instskip(NEXT) | instid1(VALU_DEP_2)
	v_sub_f32_e64 v22, v22, |v4|
	v_fma_f32 v1, v12, v1, -v23
	s_delay_alu instid0(VALU_DEP_1) | instskip(NEXT) | instid1(VALU_DEP_1)
	v_fmac_f32_e32 v1, v12, v22
	v_add_f32_e32 v22, v23, v1
	s_delay_alu instid0(VALU_DEP_1) | instskip(NEXT) | instid1(VALU_DEP_1)
	v_sub_f32_e32 v24, v11, v22
	v_sub_f32_e32 v25, v11, v24
	v_add_f32_e32 v11, -1.0, v11
	s_delay_alu instid0(VALU_DEP_2) | instskip(NEXT) | instid1(VALU_DEP_2)
	v_dual_sub_f32 v23, v22, v23 :: v_dual_sub_f32 v22, v25, v22
	v_sub_f32_e64 v11, |v4|, v11
	s_delay_alu instid0(VALU_DEP_2) | instskip(NEXT) | instid1(VALU_DEP_1)
	v_sub_f32_e32 v1, v23, v1
	v_add_f32_e32 v1, v1, v22
	s_delay_alu instid0(VALU_DEP_1) | instskip(NEXT) | instid1(VALU_DEP_1)
	v_add_f32_e32 v1, v11, v1
	v_add_f32_e32 v1, v24, v1
	s_delay_alu instid0(VALU_DEP_1) | instskip(NEXT) | instid1(VALU_DEP_1)
	v_mul_f32_e32 v11, v2, v1
	v_add_f32_e32 v22, v12, v11
	s_delay_alu instid0(VALU_DEP_1) | instskip(SKIP_1) | instid1(VALU_DEP_1)
	v_cvt_f64_f32_e32 v[1:2], v22
	v_sub_f32_e32 v12, v22, v12
	v_sub_f32_e32 v11, v11, v12
	s_delay_alu instid0(VALU_DEP_3) | instskip(SKIP_1) | instid1(VALU_DEP_1)
	v_frexp_exp_i32_f64_e32 v1, v[1:2]
	v_frexp_mant_f32_e32 v2, v22
	v_cmp_gt_f32_e32 vcc_lo, 0x3f2aaaab, v2
	s_delay_alu instid0(VALU_DEP_3) | instskip(SKIP_1) | instid1(VALU_DEP_2)
	v_subrev_co_ci_u32_e32 v1, vcc_lo, 0, v1, vcc_lo
	v_cmp_ngt_f32_e64 vcc_lo, |v4|, 1.0
	v_sub_nc_u32_e32 v2, 0, v1
	v_cvt_f32_i32_e32 v1, v1
	s_delay_alu instid0(VALU_DEP_2) | instskip(SKIP_1) | instid1(VALU_DEP_2)
	v_ldexp_f32 v23, v22, v2
	v_ldexp_f32 v2, v11, v2
	v_add_f32_e32 v22, 1.0, v23
	s_delay_alu instid0(VALU_DEP_1) | instskip(NEXT) | instid1(VALU_DEP_1)
	v_add_f32_e32 v12, -1.0, v22
	v_dual_sub_f32 v12, v23, v12 :: v_dual_add_f32 v11, -1.0, v23
	s_delay_alu instid0(VALU_DEP_1) | instskip(NEXT) | instid1(VALU_DEP_2)
	v_add_f32_e32 v12, v2, v12
	v_add_f32_e32 v24, 1.0, v11
	s_delay_alu instid0(VALU_DEP_1) | instskip(NEXT) | instid1(VALU_DEP_3)
	v_sub_f32_e32 v23, v23, v24
	v_add_f32_e32 v24, v22, v12
	s_delay_alu instid0(VALU_DEP_1) | instskip(NEXT) | instid1(VALU_DEP_3)
	v_sub_f32_e32 v22, v24, v22
	v_add_f32_e32 v2, v2, v23
	s_delay_alu instid0(VALU_DEP_1) | instskip(NEXT) | instid1(VALU_DEP_1)
	v_add_f32_e32 v25, v11, v2
	v_dual_sub_f32 v12, v12, v22 :: v_dual_sub_f32 v11, v25, v11
	v_rcp_f32_e32 v23, v24
	s_waitcnt_depctr 0xfff
	v_mul_f32_e32 v26, v25, v23
	s_delay_alu instid0(VALU_DEP_1) | instskip(NEXT) | instid1(VALU_DEP_1)
	v_mul_f32_e32 v27, v24, v26
	v_fma_f32 v22, v26, v24, -v27
	s_delay_alu instid0(VALU_DEP_1) | instskip(NEXT) | instid1(VALU_DEP_1)
	v_fmac_f32_e32 v22, v26, v12
	v_add_f32_e32 v28, v27, v22
	s_delay_alu instid0(VALU_DEP_1) | instskip(NEXT) | instid1(VALU_DEP_1)
	v_sub_f32_e32 v29, v25, v28
	v_dual_sub_f32 v25, v25, v29 :: v_dual_sub_f32 v2, v2, v11
	s_delay_alu instid0(VALU_DEP_1) | instskip(NEXT) | instid1(VALU_DEP_1)
	v_sub_f32_e32 v25, v25, v28
	v_dual_sub_f32 v11, v28, v27 :: v_dual_add_f32 v2, v2, v25
	s_delay_alu instid0(VALU_DEP_1) | instskip(NEXT) | instid1(VALU_DEP_1)
	v_sub_f32_e32 v11, v11, v22
	v_add_f32_e32 v2, v11, v2
	s_delay_alu instid0(VALU_DEP_1) | instskip(NEXT) | instid1(VALU_DEP_1)
	v_add_f32_e32 v11, v29, v2
	v_mul_f32_e32 v22, v23, v11
	s_delay_alu instid0(VALU_DEP_1) | instskip(NEXT) | instid1(VALU_DEP_1)
	v_mul_f32_e32 v25, v24, v22
	v_fma_f32 v24, v22, v24, -v25
	s_delay_alu instid0(VALU_DEP_1) | instskip(SKIP_1) | instid1(VALU_DEP_2)
	v_fmac_f32_e32 v24, v22, v12
	v_sub_f32_e32 v28, v29, v11
	v_add_f32_e32 v12, v25, v24
	s_delay_alu instid0(VALU_DEP_1) | instskip(NEXT) | instid1(VALU_DEP_1)
	v_sub_f32_e32 v27, v11, v12
	v_sub_f32_e32 v11, v11, v27
	s_delay_alu instid0(VALU_DEP_4) | instskip(NEXT) | instid1(VALU_DEP_2)
	v_dual_sub_f32 v25, v12, v25 :: v_dual_add_f32 v2, v2, v28
	v_sub_f32_e32 v11, v11, v12
	s_delay_alu instid0(VALU_DEP_2) | instskip(NEXT) | instid1(VALU_DEP_2)
	v_sub_f32_e32 v12, v25, v24
	v_add_f32_e32 v2, v2, v11
	v_add_f32_e32 v11, v26, v22
	s_delay_alu instid0(VALU_DEP_2) | instskip(NEXT) | instid1(VALU_DEP_2)
	v_add_f32_e32 v2, v12, v2
	v_sub_f32_e32 v12, v11, v26
	s_delay_alu instid0(VALU_DEP_2) | instskip(NEXT) | instid1(VALU_DEP_2)
	v_add_f32_e32 v2, v27, v2
	v_sub_f32_e32 v12, v22, v12
	s_delay_alu instid0(VALU_DEP_2) | instskip(NEXT) | instid1(VALU_DEP_1)
	v_mul_f32_e32 v2, v23, v2
	v_add_f32_e32 v2, v12, v2
	s_delay_alu instid0(VALU_DEP_1) | instskip(NEXT) | instid1(VALU_DEP_1)
	v_add_f32_e32 v12, v11, v2
	v_mul_f32_e32 v22, v12, v12
	v_sub_f32_e32 v11, v12, v11
	s_delay_alu instid0(VALU_DEP_2) | instskip(SKIP_1) | instid1(VALU_DEP_3)
	v_fmaak_f32 v23, s26, v22, 0x3ecc95a3
	v_mul_f32_e32 v24, v12, v22
	v_sub_f32_e32 v2, v2, v11
	s_delay_alu instid0(VALU_DEP_3) | instskip(SKIP_1) | instid1(VALU_DEP_3)
	v_fmaak_f32 v22, v22, v23, 0x3f2aaada
	v_ldexp_f32 v23, v12, 1
	v_ldexp_f32 v2, v2, 1
	s_delay_alu instid0(VALU_DEP_3) | instskip(SKIP_1) | instid1(VALU_DEP_2)
	v_mul_f32_e32 v22, v24, v22
	v_mul_f32_e32 v24, 0x3f317218, v1
	v_add_f32_e32 v12, v23, v22
	s_delay_alu instid0(VALU_DEP_1) | instskip(NEXT) | instid1(VALU_DEP_3)
	v_sub_f32_e32 v11, v12, v23
	v_fma_f32 v23, 0x3f317218, v1, -v24
	s_delay_alu instid0(VALU_DEP_2) | instskip(NEXT) | instid1(VALU_DEP_2)
	v_sub_f32_e32 v11, v22, v11
	v_fmac_f32_e32 v23, 0xb102e308, v1
	s_delay_alu instid0(VALU_DEP_2) | instskip(NEXT) | instid1(VALU_DEP_2)
	v_add_f32_e32 v1, v2, v11
	v_add_f32_e32 v2, v24, v23
	s_delay_alu instid0(VALU_DEP_2) | instskip(NEXT) | instid1(VALU_DEP_1)
	v_add_f32_e32 v11, v12, v1
	v_add_f32_e32 v22, v2, v11
	s_delay_alu instid0(VALU_DEP_1) | instskip(SKIP_1) | instid1(VALU_DEP_2)
	v_dual_sub_f32 v12, v11, v12 :: v_dual_sub_f32 v25, v22, v2
	v_sub_f32_e32 v24, v2, v24
	v_dual_sub_f32 v1, v1, v12 :: v_dual_sub_f32 v26, v22, v25
	s_delay_alu instid0(VALU_DEP_2) | instskip(NEXT) | instid1(VALU_DEP_2)
	v_sub_f32_e32 v23, v23, v24
	v_dual_sub_f32 v11, v11, v25 :: v_dual_sub_f32 v2, v2, v26
	s_delay_alu instid0(VALU_DEP_2) | instskip(NEXT) | instid1(VALU_DEP_1)
	v_add_f32_e32 v12, v23, v1
	v_dual_add_f32 v2, v11, v2 :: v_dual_sub_f32 v11, v12, v23
	s_delay_alu instid0(VALU_DEP_1) | instskip(NEXT) | instid1(VALU_DEP_2)
	v_add_f32_e32 v2, v12, v2
	v_sub_f32_e32 v12, v12, v11
	s_delay_alu instid0(VALU_DEP_2) | instskip(NEXT) | instid1(VALU_DEP_1)
	v_dual_sub_f32 v1, v1, v11 :: v_dual_add_f32 v24, v22, v2
	v_dual_sub_f32 v11, v23, v12 :: v_dual_sub_f32 v12, v24, v22
	s_delay_alu instid0(VALU_DEP_1) | instskip(NEXT) | instid1(VALU_DEP_2)
	v_add_f32_e32 v1, v1, v11
	v_dual_mov_b32 v11, v3 :: v_dual_sub_f32 v2, v2, v12
	s_delay_alu instid0(VALU_DEP_1) | instskip(NEXT) | instid1(VALU_DEP_1)
	v_add_f32_e32 v1, v1, v2
	v_add_f32_e32 v1, v24, v1
	s_delay_alu instid0(VALU_DEP_1) | instskip(NEXT) | instid1(VALU_DEP_1)
	v_mul_f32_e32 v1, 0.5, v1
	v_cndmask_b32_e64 v1, v1, |v4|, s3
	s_delay_alu instid0(VALU_DEP_1) | instskip(SKIP_1) | instid1(VALU_DEP_2)
	v_cndmask_b32_e32 v1, 0x7fc00000, v1, vcc_lo
	v_cmp_neq_f32_e64 vcc_lo, |v4|, 1.0
	v_cndmask_b32_e32 v1, 0x7f800000, v1, vcc_lo
	s_delay_alu instid0(VALU_DEP_1)
	v_bfi_b32 v12, 0x7fffffff, v1, v4
	s_branch .LBB69_3
.LBB69_212:
	s_or_b32 exec_lo, exec_lo, s24
	s_mov_b32 s2, 0
.LBB69_213:
	s_delay_alu instid0(SALU_CYCLE_1)
	s_and_not1_b32 vcc_lo, exec_lo, s2
	s_cbranch_vccnz .LBB69_441
; %bb.214:
	v_cmp_lt_i64_e64 s2, s[8:9], 1
	s_delay_alu instid0(VALU_DEP_1)
	s_and_b32 vcc_lo, exec_lo, s2
	s_cbranch_vccnz .LBB69_441
; %bb.215:
	s_load_b32 s0, s[0:1], 0xc5c
	v_dual_mov_b32 v1, 0 :: v_dual_mov_b32 v30, 0x248d3132
	v_cmp_gt_u64_e64 s1, 0x10000, s[8:9]
	v_lshl_or_b32 v2, v0, 3, 4
	s_delay_alu instid0(VALU_DEP_3) | instskip(SKIP_2) | instid1(VALU_DEP_2)
	v_dual_mov_b32 v32, 0x4016cbe4 :: v_dual_mov_b32 v3, v1
	s_mov_b64 s[12:13], src_private_base
	s_mov_b32 s12, 8
	v_add_co_u32 v14, s2, s20, v2
	v_mov_b32_e32 v31, 0xd800000
	v_add_co_ci_u32_e64 v15, null, s21, 0, s2
	s_mov_b32 s11, 0
	s_mov_b32 s14, 0
	;; [unrolled: 1-line block ×6, first 2 shown]
	s_waitcnt lgkmcnt(0)
	s_and_b32 s22, s0, 0xffff
	s_and_b32 s0, s1, exec_lo
	v_add_lshl_u32 v6, v0, s22, 3
	v_mad_u64_u32 v[4:5], null, s22, 24, v[2:3]
	v_add_co_u32 v16, s0, s4, v2
	s_delay_alu instid0(VALU_DEP_1) | instskip(NEXT) | instid1(VALU_DEP_4)
	v_add_co_ci_u32_e64 v17, null, s5, 0, s0
	v_add_co_u32 v18, s0, s4, v6
	s_delay_alu instid0(VALU_DEP_1)
	v_add_co_ci_u32_e64 v19, null, s5, 0, s0
	v_add_co_u32 v22, s0, s20, v6
	s_cselect_b32 s19, s9, 0
	s_cselect_b32 s18, s8, 0x10000
	v_add_co_ci_u32_e64 v23, null, s21, 0, s0
	s_lshl_b32 s0, s22, 4
	v_add_co_u32 v20, vcc_lo, s20, v4
	v_add_co_u32 v2, s0, v2, s0
	v_add_co_ci_u32_e32 v21, vcc_lo, s21, v5, vcc_lo
	v_add_co_ci_u32_e64 v3, null, 0, 0, s0
	v_add_co_u32 v24, vcc_lo, s4, v4
	v_add_co_ci_u32_e32 v25, vcc_lo, s5, v5, vcc_lo
	v_add_co_u32 v26, vcc_lo, s20, v2
	s_delay_alu instid0(VALU_DEP_4)
	v_add_co_ci_u32_e32 v27, vcc_lo, s21, v3, vcc_lo
	v_add_co_u32 v28, vcc_lo, s4, v2
	v_add_co_ci_u32_e32 v29, vcc_lo, s5, v3, vcc_lo
	v_dual_mov_b32 v2, s12 :: v_dual_mov_b32 v3, s13
	s_lshl_b32 s10, s22, 2
	s_lshl_b32 s23, s22, 1
	s_mul_i32 s24, s22, 3
	s_lshl_b32 s25, s22, 5
	s_mov_b32 s27, 0x3b2d2a58
	s_mov_b64 s[20:21], s[10:11]
	s_branch .LBB69_217
.LBB69_216:                             ;   in Loop: Header=BB69_217 Depth=1
	s_or_b32 exec_lo, exec_lo, s0
	v_add_co_u32 v0, vcc_lo, v0, s10
	v_add_co_ci_u32_e32 v1, vcc_lo, 0, v1, vcc_lo
	v_add_co_u32 v14, vcc_lo, v14, s25
	v_add_co_ci_u32_e32 v15, vcc_lo, 0, v15, vcc_lo
	;; [unrolled: 2-line block ×7, first 2 shown]
	v_cmp_ge_i64_e64 s0, s[20:21], s[8:9]
	v_cmp_lt_u64_e64 s1, 0xffff, s[20:21]
	v_add_co_u32 v26, vcc_lo, v26, s25
	v_add_co_ci_u32_e32 v27, vcc_lo, 0, v27, vcc_lo
	v_add_co_u32 v28, vcc_lo, v28, s25
	v_add_co_ci_u32_e32 v29, vcc_lo, 0, v29, vcc_lo
	s_or_b32 s0, s0, s1
	s_add_u32 s20, s20, s10
	s_addc_u32 s21, s21, 0
	s_and_b32 vcc_lo, exec_lo, s0
	s_cbranch_vccnz .LBB69_441
.LBB69_217:                             ; =>This Inner Loop Header: Depth=1
	v_cmp_gt_u64_e64 s0, s[18:19], v[0:1]
	v_dual_mov_b32 v11, 0 :: v_dual_mov_b32 v10, 0
	s_delay_alu instid0(VALU_DEP_2)
	s_and_saveexec_b32 s1, s0
	s_cbranch_execz .LBB69_219
; %bb.218:                              ;   in Loop: Header=BB69_217 Depth=1
	v_add_co_u32 v4, vcc_lo, v14, s6
	v_add_co_ci_u32_e32 v5, vcc_lo, s7, v15, vcc_lo
	global_load_b64 v[10:11], v[4:5], off offset:-4
.LBB69_219:                             ;   in Loop: Header=BB69_217 Depth=1
	s_or_b32 exec_lo, exec_lo, s1
	v_add_co_u32 v4, vcc_lo, s22, v0
	v_add_co_ci_u32_e32 v5, vcc_lo, 0, v1, vcc_lo
	v_dual_mov_b32 v9, 0 :: v_dual_mov_b32 v12, 0
	v_mov_b32_e32 v13, 0
	s_delay_alu instid0(VALU_DEP_3) | instskip(NEXT) | instid1(VALU_DEP_1)
	v_cmp_gt_u64_e64 s1, s[18:19], v[4:5]
	s_and_saveexec_b32 s2, s1
	s_cbranch_execz .LBB69_221
; %bb.220:                              ;   in Loop: Header=BB69_217 Depth=1
	v_add_co_u32 v4, vcc_lo, v22, s6
	v_add_co_ci_u32_e32 v5, vcc_lo, s7, v23, vcc_lo
	global_load_b64 v[12:13], v[4:5], off
.LBB69_221:                             ;   in Loop: Header=BB69_217 Depth=1
	s_or_b32 exec_lo, exec_lo, s2
	v_add_co_u32 v4, vcc_lo, s23, v0
	v_add_co_ci_u32_e32 v5, vcc_lo, 0, v1, vcc_lo
	v_mov_b32_e32 v8, 0
	s_delay_alu instid0(VALU_DEP_2) | instskip(NEXT) | instid1(VALU_DEP_1)
	v_cmp_gt_u64_e64 s2, s[18:19], v[4:5]
	s_and_saveexec_b32 s3, s2
	s_cbranch_execz .LBB69_223
; %bb.222:                              ;   in Loop: Header=BB69_217 Depth=1
	v_add_co_u32 v4, vcc_lo, v26, s6
	v_add_co_ci_u32_e32 v5, vcc_lo, s7, v27, vcc_lo
	global_load_b64 v[8:9], v[4:5], off offset:-4
.LBB69_223:                             ;   in Loop: Header=BB69_217 Depth=1
	s_or_b32 exec_lo, exec_lo, s3
	v_add_co_u32 v4, vcc_lo, s24, v0
	v_add_co_ci_u32_e32 v5, vcc_lo, 0, v1, vcc_lo
	s_delay_alu instid0(VALU_DEP_1) | instskip(SKIP_1) | instid1(VALU_DEP_2)
	v_cmp_gt_u64_e64 s3, s[18:19], v[4:5]
	v_dual_mov_b32 v5, 0 :: v_dual_mov_b32 v4, 0
	s_and_saveexec_b32 s4, s3
	s_cbranch_execz .LBB69_225
; %bb.224:                              ;   in Loop: Header=BB69_217 Depth=1
	v_add_co_u32 v4, vcc_lo, v20, s6
	v_add_co_ci_u32_e32 v5, vcc_lo, s7, v21, vcc_lo
	global_load_b64 v[4:5], v[4:5], off offset:-4
.LBB69_225:                             ;   in Loop: Header=BB69_217 Depth=1
	s_or_b32 exec_lo, exec_lo, s4
	s_waitcnt vmcnt(0)
	v_cmp_neq_f32_e32 vcc_lo, 0, v10
	v_cmp_nle_f32_e64 s4, |v11|, 1.0
	flat_store_b32 v[2:3], v30 dlc
	s_waitcnt_vscnt null, 0x0
                                        ; implicit-def: $vgpr6
	s_or_b32 s4, vcc_lo, s4
	s_delay_alu instid0(SALU_CYCLE_1) | instskip(NEXT) | instid1(SALU_CYCLE_1)
	s_and_saveexec_b32 s5, s4
	s_xor_b32 s11, exec_lo, s5
	s_cbranch_execz .LBB69_275
; %bb.226:                              ;   in Loop: Header=BB69_217 Depth=1
                                        ; implicit-def: $vgpr6
	s_mov_b32 s4, exec_lo
	v_cmpx_neq_f32_e32 0, v11
	s_xor_b32 s28, exec_lo, s4
	s_cbranch_execz .LBB69_272
; %bb.227:                              ;   in Loop: Header=BB69_217 Depth=1
	v_cmp_o_f32_e32 vcc_lo, v11, v11
	v_cmp_o_f32_e64 s4, v10, v10
                                        ; implicit-def: $vgpr6
	s_delay_alu instid0(VALU_DEP_1) | instskip(NEXT) | instid1(SALU_CYCLE_1)
	s_and_b32 s4, vcc_lo, s4
	s_and_saveexec_b32 s5, s4
	s_delay_alu instid0(SALU_CYCLE_1)
	s_xor_b32 s29, exec_lo, s5
	s_cbranch_execz .LBB69_261
; %bb.228:                              ;   in Loop: Header=BB69_217 Depth=1
	v_max_f32_e64 v7, |v10|, |v10|
	v_max_f32_e64 v6, |v11|, |v11|
	s_delay_alu instid0(VALU_DEP_1) | instskip(NEXT) | instid1(VALU_DEP_1)
	v_max_f32_e32 v6, v6, v7
	v_cmp_nlt_f32_e32 vcc_lo, 0x4b000000, v6
                                        ; implicit-def: $vgpr6
	s_and_saveexec_b32 s4, vcc_lo
	s_delay_alu instid0(SALU_CYCLE_1)
	s_xor_b32 s30, exec_lo, s4
	s_cbranch_execz .LBB69_246
; %bb.229:                              ;   in Loop: Header=BB69_217 Depth=1
	v_cmp_ngt_f32_e64 s4, 0x399cc471, |v11|
	v_cmp_ngt_f32_e64 s5, 0x399cc471, |v10|
                                        ; implicit-def: $vgpr6
	s_delay_alu instid0(VALU_DEP_1) | instskip(NEXT) | instid1(SALU_CYCLE_1)
	s_or_b32 s4, s4, s5
	s_and_saveexec_b32 s5, s4
	s_delay_alu instid0(SALU_CYCLE_1)
	s_xor_b32 s31, exec_lo, s5
	s_cbranch_execz .LBB69_243
; %bb.230:                              ;   in Loop: Header=BB69_217 Depth=1
	v_cmp_neq_f32_e64 s5, |v11|, 1.0
	v_cmp_ngt_f32_e64 s4, 0x34000000, |v10|
                                        ; implicit-def: $vgpr6
	s_delay_alu instid0(VALU_DEP_1) | instskip(NEXT) | instid1(SALU_CYCLE_1)
	s_or_b32 s33, s5, s4
	s_and_saveexec_b32 s34, s33
	s_delay_alu instid0(SALU_CYCLE_1)
	s_xor_b32 s33, exec_lo, s34
	s_cbranch_execz .LBB69_232
; %bb.231:                              ;   in Loop: Header=BB69_217 Depth=1
	v_add_f32_e64 v6, |v11|, -1.0
	v_cmp_gt_f32_e64 vcc_lo, 0x20000000, |v10|
	v_mul_f32_e64 v34, |v11|, 4.0
	s_delay_alu instid0(VALU_DEP_3) | instskip(NEXT) | instid1(VALU_DEP_1)
	v_mul_f32_e32 v6, v6, v6
	v_fma_f32 v33, v10, v10, v6
	s_delay_alu instid0(VALU_DEP_1) | instskip(NEXT) | instid1(VALU_DEP_1)
	v_cndmask_b32_e32 v6, v33, v6, vcc_lo
	v_div_scale_f32 v33, null, v6, v6, v34
	v_div_scale_f32 v37, vcc_lo, v34, v6, v34
	s_delay_alu instid0(VALU_DEP_2) | instskip(SKIP_2) | instid1(VALU_DEP_1)
	v_rcp_f32_e32 v35, v33
	s_waitcnt_depctr 0xfff
	v_fma_f32 v36, -v33, v35, 1.0
	v_fmac_f32_e32 v35, v36, v35
	s_delay_alu instid0(VALU_DEP_1) | instskip(NEXT) | instid1(VALU_DEP_1)
	v_mul_f32_e32 v36, v37, v35
	v_fma_f32 v38, -v33, v36, v37
	s_delay_alu instid0(VALU_DEP_1) | instskip(NEXT) | instid1(VALU_DEP_1)
	v_fmac_f32_e32 v36, v38, v35
	v_fma_f32 v33, -v33, v36, v37
	s_delay_alu instid0(VALU_DEP_1) | instskip(NEXT) | instid1(VALU_DEP_1)
	v_div_fmas_f32 v33, v33, v35, v36
	v_div_fixup_f32 v6, v33, v6, v34
	s_delay_alu instid0(VALU_DEP_1) | instskip(NEXT) | instid1(VALU_DEP_1)
	v_add_f32_e32 v35, 1.0, v6
	v_cvt_f64_f32_e32 v[33:34], v35
	s_delay_alu instid0(VALU_DEP_1) | instskip(SKIP_1) | instid1(VALU_DEP_1)
	v_frexp_exp_i32_f64_e32 v33, v[33:34]
	v_frexp_mant_f32_e32 v34, v35
	v_cmp_gt_f32_e32 vcc_lo, 0x3f2aaaab, v34
	v_add_f32_e32 v34, -1.0, v35
	s_delay_alu instid0(VALU_DEP_1) | instskip(NEXT) | instid1(VALU_DEP_1)
	v_sub_f32_e32 v37, v34, v35
	v_add_f32_e32 v37, 1.0, v37
	v_subrev_co_ci_u32_e32 v33, vcc_lo, 0, v33, vcc_lo
	v_cmp_eq_f32_e32 vcc_lo, 0x7f800000, v6
	s_delay_alu instid0(VALU_DEP_2) | instskip(SKIP_1) | instid1(VALU_DEP_2)
	v_sub_nc_u32_e32 v36, 0, v33
	v_cvt_f32_i32_e32 v33, v33
	v_ldexp_f32 v35, v35, v36
	v_sub_f32_e32 v34, v6, v34
	s_delay_alu instid0(VALU_DEP_1) | instskip(NEXT) | instid1(VALU_DEP_1)
	v_add_f32_e32 v34, v34, v37
	v_ldexp_f32 v34, v34, v36
	s_delay_alu instid0(VALU_DEP_4) | instskip(NEXT) | instid1(VALU_DEP_1)
	v_add_f32_e32 v36, -1.0, v35
	v_dual_add_f32 v38, 1.0, v35 :: v_dual_add_f32 v39, 1.0, v36
	s_delay_alu instid0(VALU_DEP_1) | instskip(NEXT) | instid1(VALU_DEP_1)
	v_add_f32_e32 v37, -1.0, v38
	v_sub_f32_e32 v37, v35, v37
	s_delay_alu instid0(VALU_DEP_3) | instskip(NEXT) | instid1(VALU_DEP_2)
	v_sub_f32_e32 v35, v35, v39
	v_add_f32_e32 v37, v34, v37
	s_delay_alu instid0(VALU_DEP_2) | instskip(NEXT) | instid1(VALU_DEP_1)
	v_add_f32_e32 v34, v34, v35
	v_dual_add_f32 v39, v38, v37 :: v_dual_add_f32 v40, v36, v34
	s_delay_alu instid0(VALU_DEP_1) | instskip(SKIP_1) | instid1(VALU_DEP_1)
	v_rcp_f32_e32 v35, v39
	v_sub_f32_e32 v38, v39, v38
	v_dual_sub_f32 v36, v40, v36 :: v_dual_sub_f32 v37, v37, v38
	s_waitcnt_depctr 0xfff
	v_dual_sub_f32 v34, v34, v36 :: v_dual_mul_f32 v41, v40, v35
	s_delay_alu instid0(VALU_DEP_1) | instskip(NEXT) | instid1(VALU_DEP_1)
	v_mul_f32_e32 v42, v39, v41
	v_fma_f32 v38, v41, v39, -v42
	s_delay_alu instid0(VALU_DEP_1) | instskip(NEXT) | instid1(VALU_DEP_1)
	v_fmac_f32_e32 v38, v41, v37
	v_add_f32_e32 v43, v42, v38
	s_delay_alu instid0(VALU_DEP_1) | instskip(SKIP_1) | instid1(VALU_DEP_2)
	v_sub_f32_e32 v44, v40, v43
	v_sub_f32_e32 v36, v43, v42
	;; [unrolled: 1-line block ×3, first 2 shown]
	s_delay_alu instid0(VALU_DEP_2) | instskip(NEXT) | instid1(VALU_DEP_2)
	v_sub_f32_e32 v36, v36, v38
	v_sub_f32_e32 v40, v40, v43
	s_delay_alu instid0(VALU_DEP_1) | instskip(NEXT) | instid1(VALU_DEP_1)
	v_add_f32_e32 v34, v34, v40
	v_add_f32_e32 v34, v36, v34
	s_delay_alu instid0(VALU_DEP_1) | instskip(NEXT) | instid1(VALU_DEP_1)
	v_add_f32_e32 v36, v44, v34
	v_mul_f32_e32 v38, v35, v36
	s_delay_alu instid0(VALU_DEP_1) | instskip(NEXT) | instid1(VALU_DEP_1)
	v_mul_f32_e32 v40, v39, v38
	v_fma_f32 v39, v38, v39, -v40
	s_delay_alu instid0(VALU_DEP_1) | instskip(SKIP_1) | instid1(VALU_DEP_2)
	v_fmac_f32_e32 v39, v38, v37
	v_sub_f32_e32 v43, v44, v36
	v_add_f32_e32 v37, v40, v39
	s_delay_alu instid0(VALU_DEP_2) | instskip(NEXT) | instid1(VALU_DEP_2)
	v_add_f32_e32 v34, v34, v43
	v_sub_f32_e32 v42, v36, v37
	v_sub_f32_e32 v40, v37, v40
	s_delay_alu instid0(VALU_DEP_2) | instskip(NEXT) | instid1(VALU_DEP_1)
	v_sub_f32_e32 v36, v36, v42
	v_sub_f32_e32 v36, v36, v37
	s_delay_alu instid0(VALU_DEP_1) | instskip(SKIP_1) | instid1(VALU_DEP_1)
	v_dual_sub_f32 v37, v40, v39 :: v_dual_add_f32 v34, v34, v36
	v_add_f32_e32 v36, v41, v38
	v_dual_add_f32 v34, v37, v34 :: v_dual_sub_f32 v37, v36, v41
	s_delay_alu instid0(VALU_DEP_1) | instskip(NEXT) | instid1(VALU_DEP_1)
	v_add_f32_e32 v34, v42, v34
	v_dual_sub_f32 v37, v38, v37 :: v_dual_mul_f32 v34, v35, v34
	s_delay_alu instid0(VALU_DEP_1) | instskip(NEXT) | instid1(VALU_DEP_1)
	v_add_f32_e32 v34, v37, v34
	v_add_f32_e32 v35, v36, v34
	s_delay_alu instid0(VALU_DEP_1) | instskip(NEXT) | instid1(VALU_DEP_1)
	v_mul_f32_e32 v37, v35, v35
	v_fmaak_f32 v38, s26, v37, 0x3ecc95a3
	v_mul_f32_e32 v39, v35, v37
	s_delay_alu instid0(VALU_DEP_2) | instskip(SKIP_2) | instid1(VALU_DEP_3)
	v_fmaak_f32 v37, v37, v38, 0x3f2aaada
	v_ldexp_f32 v38, v35, 1
	v_sub_f32_e32 v35, v35, v36
	v_mul_f32_e32 v37, v39, v37
	s_delay_alu instid0(VALU_DEP_2) | instskip(NEXT) | instid1(VALU_DEP_2)
	v_dual_mul_f32 v39, 0x3f317218, v33 :: v_dual_sub_f32 v34, v34, v35
	v_add_f32_e32 v36, v38, v37
	s_delay_alu instid0(VALU_DEP_2) | instskip(NEXT) | instid1(VALU_DEP_2)
	v_ldexp_f32 v34, v34, 1
	v_sub_f32_e32 v35, v36, v38
	s_delay_alu instid0(VALU_DEP_4) | instskip(NEXT) | instid1(VALU_DEP_1)
	v_fma_f32 v38, 0x3f317218, v33, -v39
	v_dual_sub_f32 v35, v37, v35 :: v_dual_fmac_f32 v38, 0xb102e308, v33
	s_delay_alu instid0(VALU_DEP_1) | instskip(NEXT) | instid1(VALU_DEP_1)
	v_dual_add_f32 v33, v34, v35 :: v_dual_add_f32 v34, v39, v38
	v_add_f32_e32 v35, v36, v33
	s_delay_alu instid0(VALU_DEP_2) | instskip(NEXT) | instid1(VALU_DEP_2)
	v_sub_f32_e32 v39, v34, v39
	v_dual_add_f32 v37, v34, v35 :: v_dual_sub_f32 v36, v35, v36
	s_delay_alu instid0(VALU_DEP_2) | instskip(NEXT) | instid1(VALU_DEP_2)
	v_sub_f32_e32 v38, v38, v39
	v_sub_f32_e32 v40, v37, v34
	s_delay_alu instid0(VALU_DEP_3) | instskip(NEXT) | instid1(VALU_DEP_2)
	v_sub_f32_e32 v33, v33, v36
	v_sub_f32_e32 v41, v37, v40
	s_delay_alu instid0(VALU_DEP_2) | instskip(NEXT) | instid1(VALU_DEP_2)
	v_dual_sub_f32 v35, v35, v40 :: v_dual_add_f32 v36, v38, v33
	v_sub_f32_e32 v34, v34, v41
	s_delay_alu instid0(VALU_DEP_1) | instskip(NEXT) | instid1(VALU_DEP_3)
	v_add_f32_e32 v34, v35, v34
	v_sub_f32_e32 v35, v36, v38
	s_delay_alu instid0(VALU_DEP_2) | instskip(NEXT) | instid1(VALU_DEP_2)
	v_add_f32_e32 v34, v36, v34
	v_sub_f32_e32 v36, v36, v35
	v_sub_f32_e32 v33, v33, v35
	s_delay_alu instid0(VALU_DEP_2) | instskip(NEXT) | instid1(VALU_DEP_1)
	v_dual_add_f32 v39, v37, v34 :: v_dual_sub_f32 v36, v38, v36
	v_sub_f32_e32 v35, v39, v37
	s_delay_alu instid0(VALU_DEP_1) | instskip(NEXT) | instid1(VALU_DEP_1)
	v_dual_add_f32 v33, v33, v36 :: v_dual_sub_f32 v34, v34, v35
	v_add_f32_e32 v33, v33, v34
	s_delay_alu instid0(VALU_DEP_1) | instskip(NEXT) | instid1(VALU_DEP_1)
	v_add_f32_e32 v33, v39, v33
	v_cndmask_b32_e32 v33, v33, v6, vcc_lo
	v_cmp_ngt_f32_e32 vcc_lo, -1.0, v6
	s_delay_alu instid0(VALU_DEP_2) | instskip(SKIP_1) | instid1(VALU_DEP_2)
	v_cndmask_b32_e32 v33, 0x7fc00000, v33, vcc_lo
	v_cmp_neq_f32_e32 vcc_lo, -1.0, v6
	v_cndmask_b32_e32 v33, 0xff800000, v33, vcc_lo
	v_cmp_gt_f32_e64 vcc_lo, 0x33800000, |v6|
	s_delay_alu instid0(VALU_DEP_2) | instskip(NEXT) | instid1(VALU_DEP_1)
	v_cndmask_b32_e32 v6, v33, v6, vcc_lo
	v_mul_f32_e32 v6, 0x3e800000, v6
	s_and_not1_saveexec_b32 s33, s33
	s_cbranch_execz .LBB69_234
	s_branch .LBB69_233
.LBB69_232:                             ;   in Loop: Header=BB69_217 Depth=1
	s_and_not1_saveexec_b32 s33, s33
	s_cbranch_execz .LBB69_234
.LBB69_233:                             ;   in Loop: Header=BB69_217 Depth=1
	v_cmp_gt_f32_e64 s34, 0x800000, |v10|
	s_delay_alu instid0(VALU_DEP_1) | instskip(NEXT) | instid1(VALU_DEP_1)
	v_cndmask_b32_e64 v6, 1.0, 0x4f800000, s34
	v_mul_f32_e64 v6, |v10|, v6
	s_delay_alu instid0(VALU_DEP_1) | instskip(SKIP_3) | instid1(VALU_DEP_2)
	v_log_f32_e32 v6, v6
	s_waitcnt_depctr 0xfff
	v_mul_f32_e32 v33, 0x3f317217, v6
	v_cmp_gt_f32_e64 vcc_lo, 0x7f800000, |v6|
	v_fma_f32 v34, 0x3f317217, v6, -v33
	s_delay_alu instid0(VALU_DEP_1) | instskip(NEXT) | instid1(VALU_DEP_1)
	v_fmac_f32_e32 v34, 0x3377d1cf, v6
	v_add_f32_e32 v33, v33, v34
	s_delay_alu instid0(VALU_DEP_1) | instskip(SKIP_1) | instid1(VALU_DEP_1)
	v_cndmask_b32_e32 v6, v6, v33, vcc_lo
	v_cndmask_b32_e64 v33, 0, 0x41b17218, s34
	v_sub_f32_e32 v6, v6, v33
	s_delay_alu instid0(VALU_DEP_1) | instskip(NEXT) | instid1(VALU_DEP_1)
	v_sub_f32_e32 v6, 0x3f317218, v6
	v_mul_f32_e32 v6, 0.5, v6
.LBB69_234:                             ;   in Loop: Header=BB69_217 Depth=1
	s_or_b32 exec_lo, exec_lo, s33
                                        ; implicit-def: $vgpr34
	s_and_saveexec_b32 s33, s5
	s_delay_alu instid0(SALU_CYCLE_1)
	s_xor_b32 s33, exec_lo, s33
	s_cbranch_execz .LBB69_240
; %bb.235:                              ;   in Loop: Header=BB69_217 Depth=1
	v_sub_f32_e64 v33, 1.0, |v11|
	v_add_f32_e64 v34, |v11|, 1.0
	v_add_f32_e64 v7, |v10|, |v10|
	s_delay_alu instid0(VALU_DEP_2) | instskip(SKIP_1) | instid1(SALU_CYCLE_1)
	v_mul_f32_e32 v33, v33, v34
                                        ; implicit-def: $vgpr34
	s_and_saveexec_b32 s5, s4
	s_xor_b32 s5, exec_lo, s5
	s_cbranch_execz .LBB69_237
; %bb.236:                              ;   in Loop: Header=BB69_217 Depth=1
	s_delay_alu instid0(VALU_DEP_1) | instskip(SKIP_3) | instid1(VALU_DEP_4)
	v_fma_f32 v33, -v10, v10, v33
	v_max_f32_e64 v34, |v7|, |v7|
	v_cmp_eq_f32_e64 s4, 0, v7
	v_cmp_class_f32_e64 s34, v7, 0x204
	v_cmp_gt_f32_e64 vcc_lo, |v7|, |v33|
	s_delay_alu instid0(VALU_DEP_4) | instskip(SKIP_2) | instid1(VALU_DEP_3)
	v_max_f32_e64 v35, |v33|, v34
	v_min_f32_e64 v34, |v33|, v34
	v_cmp_class_f32_e64 s35, v33, 0x204
	v_frexp_mant_f32_e32 v36, v35
	v_frexp_exp_i32_f32_e32 v35, v35
	s_delay_alu instid0(VALU_DEP_4) | instskip(SKIP_1) | instid1(VALU_DEP_4)
	v_frexp_exp_i32_f32_e32 v37, v34
	v_frexp_mant_f32_e32 v34, v34
	v_rcp_f32_e32 v36, v36
	s_delay_alu instid0(VALU_DEP_2) | instskip(SKIP_2) | instid1(VALU_DEP_1)
	v_sub_nc_u32_e32 v35, v37, v35
	s_waitcnt_depctr 0xfff
	v_mul_f32_e32 v34, v34, v36
	v_ldexp_f32 v34, v34, v35
	s_delay_alu instid0(VALU_DEP_1) | instskip(NEXT) | instid1(VALU_DEP_1)
	v_mul_f32_e32 v35, v34, v34
	v_fmaak_f32 v36, s27, v35, 0xbc7a590c
	s_delay_alu instid0(VALU_DEP_1) | instskip(NEXT) | instid1(VALU_DEP_1)
	v_fmaak_f32 v36, v35, v36, 0x3d29fb3f
	v_fmaak_f32 v36, v35, v36, 0xbd97d4d7
	s_delay_alu instid0(VALU_DEP_1) | instskip(NEXT) | instid1(VALU_DEP_1)
	v_fmaak_f32 v36, v35, v36, 0x3dd931b2
	;; [unrolled: 3-line block ×3, first 2 shown]
	v_fmaak_f32 v36, v35, v36, 0xbeaaaa62
	s_delay_alu instid0(VALU_DEP_1) | instskip(NEXT) | instid1(VALU_DEP_1)
	v_mul_f32_e32 v35, v35, v36
	v_fmac_f32_e32 v34, v34, v35
	s_delay_alu instid0(VALU_DEP_1) | instskip(NEXT) | instid1(VALU_DEP_1)
	v_sub_f32_e32 v35, 0x3fc90fdb, v34
	v_cndmask_b32_e32 v34, v34, v35, vcc_lo
	v_cmp_gt_i32_e32 vcc_lo, 0, v33
	s_delay_alu instid0(VALU_DEP_2) | instskip(SKIP_2) | instid1(VALU_DEP_3)
	v_sub_f32_e32 v35, 0x40490fdb, v34
	v_cndmask_b32_e64 v36, 0, 0x40490fdb, vcc_lo
	v_cmp_gt_f32_e32 vcc_lo, 0, v33
	v_cndmask_b32_e32 v34, v34, v35, vcc_lo
	v_cndmask_b32_e32 v35, 0x3f490fdb, v32, vcc_lo
	s_and_b32 vcc_lo, s34, s35
	s_delay_alu instid0(VALU_DEP_2) | instskip(NEXT) | instid1(VALU_DEP_1)
	v_cndmask_b32_e64 v34, v34, v36, s4
	v_cndmask_b32_e32 v34, v34, v35, vcc_lo
	v_cmp_o_f32_e32 vcc_lo, v33, v7
	s_delay_alu instid0(VALU_DEP_2) | instskip(NEXT) | instid1(VALU_DEP_1)
	v_cndmask_b32_e32 v33, 0x7fc00000, v34, vcc_lo
	v_bfi_b32 v34, 0x7fffffff, v33, v7
                                        ; implicit-def: $vgpr7
                                        ; implicit-def: $vgpr33
.LBB69_237:                             ;   in Loop: Header=BB69_217 Depth=1
	s_and_not1_saveexec_b32 s34, s5
	s_cbranch_execz .LBB69_239
; %bb.238:                              ;   in Loop: Header=BB69_217 Depth=1
	v_max_f32_e32 v34, v7, v7
	v_max_f32_e64 v35, |v33|, |v33|
	v_cmp_gt_f32_e64 vcc_lo, v7, |v33|
	v_cmp_eq_f32_e64 s5, 0, v7
	v_cmp_class_f32_e64 s35, v33, 0x204
	v_cmp_eq_f32_e64 s4, 0x7f800000, v7
	v_max_f32_e32 v36, v35, v34
	v_min_f32_e32 v34, v35, v34
	s_delay_alu instid0(VALU_DEP_2) | instskip(SKIP_1) | instid1(VALU_DEP_2)
	v_frexp_mant_f32_e32 v37, v36
	v_frexp_exp_i32_f32_e32 v36, v36
	v_rcp_f32_e32 v35, v37
	s_delay_alu instid0(VALU_DEP_3) | instskip(SKIP_1) | instid1(VALU_DEP_2)
	v_frexp_exp_i32_f32_e32 v37, v34
	v_frexp_mant_f32_e32 v34, v34
	v_sub_nc_u32_e32 v36, v37, v36
	s_waitcnt_depctr 0xfff
	v_mul_f32_e32 v34, v34, v35
	s_delay_alu instid0(VALU_DEP_1) | instskip(NEXT) | instid1(VALU_DEP_1)
	v_ldexp_f32 v34, v34, v36
	v_mul_f32_e32 v35, v34, v34
	s_delay_alu instid0(VALU_DEP_1) | instskip(NEXT) | instid1(VALU_DEP_1)
	v_fmaak_f32 v36, s27, v35, 0xbc7a590c
	v_fmaak_f32 v36, v35, v36, 0x3d29fb3f
	s_delay_alu instid0(VALU_DEP_1) | instskip(NEXT) | instid1(VALU_DEP_1)
	v_fmaak_f32 v36, v35, v36, 0xbd97d4d7
	v_fmaak_f32 v36, v35, v36, 0x3dd931b2
	;; [unrolled: 3-line block ×3, first 2 shown]
	s_delay_alu instid0(VALU_DEP_1) | instskip(NEXT) | instid1(VALU_DEP_1)
	v_fmaak_f32 v36, v35, v36, 0xbeaaaa62
	v_mul_f32_e32 v35, v35, v36
	s_delay_alu instid0(VALU_DEP_1) | instskip(NEXT) | instid1(VALU_DEP_1)
	v_fmac_f32_e32 v34, v34, v35
	v_sub_f32_e32 v35, 0x3fc90fdb, v34
	s_delay_alu instid0(VALU_DEP_1) | instskip(SKIP_1) | instid1(VALU_DEP_2)
	v_cndmask_b32_e32 v34, v34, v35, vcc_lo
	v_cmp_gt_i32_e32 vcc_lo, 0, v33
	v_sub_f32_e32 v35, 0x40490fdb, v34
	v_cndmask_b32_e64 v36, 0, 0x40490fdb, vcc_lo
	v_cmp_gt_f32_e32 vcc_lo, 0, v33
	s_delay_alu instid0(VALU_DEP_3) | instskip(NEXT) | instid1(VALU_DEP_1)
	v_cndmask_b32_e32 v34, v34, v35, vcc_lo
	v_cndmask_b32_e64 v7, v34, v36, s5
	v_cndmask_b32_e32 v34, 0x3f490fdb, v32, vcc_lo
	s_and_b32 vcc_lo, s4, s35
	s_delay_alu instid0(VALU_DEP_1) | instskip(SKIP_1) | instid1(VALU_DEP_2)
	v_cndmask_b32_e32 v7, v7, v34, vcc_lo
	v_cmp_o_f32_e32 vcc_lo, v33, v33
	v_cndmask_b32_e64 v34, 0x7fc00000, |v7|, vcc_lo
.LBB69_239:                             ;   in Loop: Header=BB69_217 Depth=1
	s_or_b32 exec_lo, exec_lo, s34
                                        ; implicit-def: $vgpr7
	s_and_not1_saveexec_b32 s4, s33
	s_cbranch_execnz .LBB69_241
	s_branch .LBB69_242
.LBB69_240:                             ;   in Loop: Header=BB69_217 Depth=1
	s_and_not1_saveexec_b32 s4, s33
	s_cbranch_execz .LBB69_242
.LBB69_241:                             ;   in Loop: Header=BB69_217 Depth=1
	v_max_f32_e32 v33, 2.0, v7
	v_min_f32_e32 v7, 2.0, v7
	v_cmp_lt_f32_e64 vcc_lo, |v10|, 2.0
	s_delay_alu instid0(VALU_DEP_3) | instskip(NEXT) | instid1(VALU_DEP_3)
	v_frexp_mant_f32_e32 v34, v33
	v_frexp_mant_f32_e32 v35, v7
	v_frexp_exp_i32_f32_e32 v7, v7
	s_delay_alu instid0(VALU_DEP_3) | instskip(SKIP_3) | instid1(VALU_DEP_1)
	v_rcp_f32_e32 v34, v34
	s_waitcnt_depctr 0xfff
	v_mul_f32_e32 v34, v35, v34
	v_frexp_exp_i32_f32_e32 v33, v33
	v_sub_nc_u32_e32 v7, v7, v33
	s_delay_alu instid0(VALU_DEP_1) | instskip(NEXT) | instid1(VALU_DEP_1)
	v_ldexp_f32 v7, v34, v7
	v_mul_f32_e32 v33, v7, v7
	s_delay_alu instid0(VALU_DEP_1) | instskip(NEXT) | instid1(VALU_DEP_1)
	v_fmaak_f32 v34, s27, v33, 0xbc7a590c
	v_fmaak_f32 v34, v33, v34, 0x3d29fb3f
	s_delay_alu instid0(VALU_DEP_1) | instskip(NEXT) | instid1(VALU_DEP_1)
	v_fmaak_f32 v34, v33, v34, 0xbd97d4d7
	v_fmaak_f32 v34, v33, v34, 0x3dd931b2
	;; [unrolled: 3-line block ×3, first 2 shown]
	s_delay_alu instid0(VALU_DEP_1) | instskip(NEXT) | instid1(VALU_DEP_1)
	v_fmaak_f32 v34, v33, v34, 0xbeaaaa62
	v_mul_f32_e32 v33, v33, v34
	s_delay_alu instid0(VALU_DEP_1) | instskip(NEXT) | instid1(VALU_DEP_1)
	v_fmac_f32_e32 v7, v7, v33
	v_sub_f32_e32 v33, 0x3fc90fdb, v7
	s_delay_alu instid0(VALU_DEP_1) | instskip(SKIP_1) | instid1(VALU_DEP_2)
	v_cndmask_b32_e32 v7, v7, v33, vcc_lo
	v_cmp_lg_f32_e32 vcc_lo, 0, v10
	v_sub_f32_e32 v33, 0x40490fdb, v7
	s_delay_alu instid0(VALU_DEP_1) | instskip(NEXT) | instid1(VALU_DEP_1)
	v_cndmask_b32_e32 v7, v7, v33, vcc_lo
	v_and_b32_e32 v34, 0x7fffffff, v7
.LBB69_242:                             ;   in Loop: Header=BB69_217 Depth=1
	s_or_b32 exec_lo, exec_lo, s4
	s_delay_alu instid0(VALU_DEP_1) | instskip(SKIP_1) | instid1(VALU_DEP_2)
	v_mul_f32_e32 v33, 0.5, v34
	v_bfi_b32 v7, 0x7fffffff, v6, v11
	v_bfi_b32 v6, 0x7fffffff, v33, v10
                                        ; implicit-def: $vgpr10
.LBB69_243:                             ;   in Loop: Header=BB69_217 Depth=1
	s_and_not1_saveexec_b32 s4, s31
	s_cbranch_execz .LBB69_245
; %bb.244:                              ;   in Loop: Header=BB69_217 Depth=1
	v_dual_mov_b32 v6, s14 :: v_dual_mov_b32 v7, s15
	flat_store_b32 v[6:7], v31 dlc
	s_waitcnt_vscnt null, 0x0
	flat_load_b32 v6, v[6:7] glc dlc
	s_waitcnt vmcnt(0) lgkmcnt(0)
	v_dual_add_f32 v33, 1.0, v6 :: v_dual_mov_b32 v6, s16
	v_mov_b32_e32 v7, s17
	flat_store_b32 v[6:7], v33 dlc
	s_waitcnt_vscnt null, 0x0
	flat_load_b32 v6, v[6:7] glc dlc
	s_waitcnt vmcnt(0) lgkmcnt(0)
	v_dual_mov_b32 v6, v10 :: v_dual_mov_b32 v7, v11
.LBB69_245:                             ;   in Loop: Header=BB69_217 Depth=1
	s_or_b32 exec_lo, exec_lo, s4
                                        ; implicit-def: $vgpr10
.LBB69_246:                             ;   in Loop: Header=BB69_217 Depth=1
	s_and_not1_saveexec_b32 s4, s30
	s_cbranch_execz .LBB69_260
; %bb.247:                              ;   in Loop: Header=BB69_217 Depth=1
	v_and_b32_e32 v6, 0x7f800000, v11
	v_and_b32_e32 v33, 0x7f800000, v10
	v_cmp_neq_f32_e64 s5, 0x7f800000, |v11|
	s_delay_alu instid0(VALU_DEP_2) | instskip(NEXT) | instid1(VALU_DEP_1)
	v_sub_nc_u32_e32 v7, v6, v33
	v_cmp_gt_i32_e32 vcc_lo, 0x6800000, v7
                                        ; implicit-def: $vgpr7
	s_delay_alu instid0(VALU_DEP_3) | instskip(NEXT) | instid1(SALU_CYCLE_1)
	s_and_b32 s5, s5, vcc_lo
	s_and_saveexec_b32 s30, s5
	s_delay_alu instid0(SALU_CYCLE_1)
	s_xor_b32 s5, exec_lo, s30
	s_cbranch_execz .LBB69_257
; %bb.248:                              ;   in Loop: Header=BB69_217 Depth=1
	v_sub_nc_u32_e32 v7, v33, v6
	s_delay_alu instid0(VALU_DEP_1) | instskip(SKIP_1) | instid1(SALU_CYCLE_1)
	v_cmp_gt_i32_e32 vcc_lo, 0x6800000, v7
                                        ; implicit-def: $vgpr7
	s_and_saveexec_b32 s30, vcc_lo
	s_xor_b32 s30, exec_lo, s30
	s_cbranch_execz .LBB69_254
; %bb.249:                              ;   in Loop: Header=BB69_217 Depth=1
	s_mov_b32 s31, exec_lo
                                        ; implicit-def: $vgpr7
	v_cmpx_lt_u32_e32 0x59000000, v6
	s_xor_b32 s31, exec_lo, s31
	s_cbranch_execz .LBB69_251
; %bb.250:                              ;   in Loop: Header=BB69_217 Depth=1
	v_sub_nc_u32_e32 v6, 0x7f800000, v6
	s_delay_alu instid0(VALU_DEP_1) | instskip(SKIP_1) | instid1(VALU_DEP_2)
	v_mul_f32_e32 v7, v10, v6
	v_mul_f32_e32 v11, v11, v6
	;; [unrolled: 1-line block ×3, first 2 shown]
	s_delay_alu instid0(VALU_DEP_1) | instskip(NEXT) | instid1(VALU_DEP_1)
	v_fmac_f32_e32 v7, v11, v11
	v_div_scale_f32 v33, null, v7, v7, v11
	s_delay_alu instid0(VALU_DEP_1) | instskip(SKIP_2) | instid1(VALU_DEP_1)
	v_rcp_f32_e32 v34, v33
	s_waitcnt_depctr 0xfff
	v_fma_f32 v35, -v33, v34, 1.0
	v_fmac_f32_e32 v34, v35, v34
	v_div_scale_f32 v35, vcc_lo, v11, v7, v11
	s_delay_alu instid0(VALU_DEP_1) | instskip(NEXT) | instid1(VALU_DEP_1)
	v_mul_f32_e32 v36, v35, v34
	v_fma_f32 v37, -v33, v36, v35
	s_delay_alu instid0(VALU_DEP_1) | instskip(NEXT) | instid1(VALU_DEP_1)
	v_fmac_f32_e32 v36, v37, v34
	v_fma_f32 v33, -v33, v36, v35
	s_delay_alu instid0(VALU_DEP_1) | instskip(NEXT) | instid1(VALU_DEP_1)
	v_div_fmas_f32 v33, v33, v34, v36
	v_div_fixup_f32 v7, v33, v7, v11
	s_delay_alu instid0(VALU_DEP_1)
	v_mul_f32_e32 v7, v7, v6
.LBB69_251:                             ;   in Loop: Header=BB69_217 Depth=1
	s_and_not1_saveexec_b32 s31, s31
	s_cbranch_execz .LBB69_253
; %bb.252:                              ;   in Loop: Header=BB69_217 Depth=1
	v_mul_f32_e32 v6, v10, v10
	s_delay_alu instid0(VALU_DEP_1) | instskip(NEXT) | instid1(VALU_DEP_1)
	v_fmac_f32_e32 v6, v11, v11
	v_div_scale_f32 v7, null, v6, v6, v11
	s_delay_alu instid0(VALU_DEP_1) | instskip(SKIP_2) | instid1(VALU_DEP_1)
	v_rcp_f32_e32 v33, v7
	s_waitcnt_depctr 0xfff
	v_fma_f32 v34, -v7, v33, 1.0
	v_fmac_f32_e32 v33, v34, v33
	v_div_scale_f32 v34, vcc_lo, v11, v6, v11
	s_delay_alu instid0(VALU_DEP_1) | instskip(NEXT) | instid1(VALU_DEP_1)
	v_mul_f32_e32 v35, v34, v33
	v_fma_f32 v36, -v7, v35, v34
	s_delay_alu instid0(VALU_DEP_1) | instskip(NEXT) | instid1(VALU_DEP_1)
	v_fmac_f32_e32 v35, v36, v33
	v_fma_f32 v7, -v7, v35, v34
	s_delay_alu instid0(VALU_DEP_1) | instskip(NEXT) | instid1(VALU_DEP_1)
	v_div_fmas_f32 v7, v7, v33, v35
	v_div_fixup_f32 v7, v7, v6, v11
.LBB69_253:                             ;   in Loop: Header=BB69_217 Depth=1
	s_or_b32 exec_lo, exec_lo, s31
.LBB69_254:                             ;   in Loop: Header=BB69_217 Depth=1
	s_and_not1_saveexec_b32 s30, s30
	s_cbranch_execz .LBB69_256
; %bb.255:                              ;   in Loop: Header=BB69_217 Depth=1
	v_div_scale_f32 v6, null, v10, v10, v11
	v_div_scale_f32 v34, vcc_lo, v11, v10, v11
	s_delay_alu instid0(VALU_DEP_2) | instskip(SKIP_2) | instid1(VALU_DEP_1)
	v_rcp_f32_e32 v7, v6
	s_waitcnt_depctr 0xfff
	v_fma_f32 v33, -v6, v7, 1.0
	v_fmac_f32_e32 v7, v33, v7
	s_delay_alu instid0(VALU_DEP_1) | instskip(NEXT) | instid1(VALU_DEP_1)
	v_mul_f32_e32 v33, v34, v7
	v_fma_f32 v35, -v6, v33, v34
	s_delay_alu instid0(VALU_DEP_1) | instskip(NEXT) | instid1(VALU_DEP_1)
	v_fmac_f32_e32 v33, v35, v7
	v_fma_f32 v6, -v6, v33, v34
	s_delay_alu instid0(VALU_DEP_1) | instskip(NEXT) | instid1(VALU_DEP_1)
	v_div_fmas_f32 v6, v6, v7, v33
	v_div_fixup_f32 v6, v6, v10, v11
	s_delay_alu instid0(VALU_DEP_1) | instskip(NEXT) | instid1(VALU_DEP_1)
	v_div_scale_f32 v7, null, v10, v10, v6
	v_rcp_f32_e32 v11, v7
	s_waitcnt_depctr 0xfff
	v_fma_f32 v33, -v7, v11, 1.0
	s_delay_alu instid0(VALU_DEP_1) | instskip(SKIP_1) | instid1(VALU_DEP_1)
	v_fmac_f32_e32 v11, v33, v11
	v_div_scale_f32 v33, vcc_lo, v6, v10, v6
	v_mul_f32_e32 v34, v33, v11
	s_delay_alu instid0(VALU_DEP_1) | instskip(NEXT) | instid1(VALU_DEP_1)
	v_fma_f32 v35, -v7, v34, v33
	v_fmac_f32_e32 v34, v35, v11
	s_delay_alu instid0(VALU_DEP_1) | instskip(NEXT) | instid1(VALU_DEP_1)
	v_fma_f32 v7, -v7, v34, v33
	v_div_fmas_f32 v7, v7, v11, v34
	s_delay_alu instid0(VALU_DEP_1)
	v_div_fixup_f32 v7, v7, v10, v6
.LBB69_256:                             ;   in Loop: Header=BB69_217 Depth=1
	s_or_b32 exec_lo, exec_lo, s30
.LBB69_257:                             ;   in Loop: Header=BB69_217 Depth=1
	s_and_not1_saveexec_b32 s5, s5
; %bb.258:                              ;   in Loop: Header=BB69_217 Depth=1
	v_div_scale_f32 v6, null, v11, v11, 1.0
	s_delay_alu instid0(VALU_DEP_1) | instskip(SKIP_2) | instid1(VALU_DEP_1)
	v_rcp_f32_e32 v7, v6
	s_waitcnt_depctr 0xfff
	v_fma_f32 v33, -v6, v7, 1.0
	v_fmac_f32_e32 v7, v33, v7
	v_div_scale_f32 v33, vcc_lo, 1.0, v11, 1.0
	s_delay_alu instid0(VALU_DEP_1) | instskip(NEXT) | instid1(VALU_DEP_1)
	v_mul_f32_e32 v34, v33, v7
	v_fma_f32 v35, -v6, v34, v33
	s_delay_alu instid0(VALU_DEP_1) | instskip(NEXT) | instid1(VALU_DEP_1)
	v_fmac_f32_e32 v34, v35, v7
	v_fma_f32 v6, -v6, v34, v33
	s_delay_alu instid0(VALU_DEP_1) | instskip(NEXT) | instid1(VALU_DEP_1)
	v_div_fmas_f32 v6, v6, v7, v34
	v_div_fixup_f32 v7, v6, v11, 1.0
; %bb.259:                              ;   in Loop: Header=BB69_217 Depth=1
	s_or_b32 exec_lo, exec_lo, s5
	v_dual_mov_b32 v34, s13 :: v_dual_mov_b32 v33, s12
	flat_load_b32 v6, v[33:34] glc dlc
	s_waitcnt vmcnt(0) lgkmcnt(0)
	v_add_f32_e32 v6, 0x3fc90fdb, v6
	s_delay_alu instid0(VALU_DEP_1)
	v_bfi_b32 v6, 0x7fffffff, v6, v10
.LBB69_260:                             ;   in Loop: Header=BB69_217 Depth=1
	s_or_b32 exec_lo, exec_lo, s4
                                        ; implicit-def: $vgpr11
.LBB69_261:                             ;   in Loop: Header=BB69_217 Depth=1
	s_and_not1_saveexec_b32 s4, s29
	s_cbranch_execz .LBB69_271
; %bb.262:                              ;   in Loop: Header=BB69_217 Depth=1
	v_cmp_neq_f32_e64 s5, 0x7f800000, |v11|
                                        ; implicit-def: $vgpr6
	s_delay_alu instid0(VALU_DEP_1) | instskip(NEXT) | instid1(SALU_CYCLE_1)
	s_and_saveexec_b32 s29, s5
	s_xor_b32 s5, exec_lo, s29
	s_cbranch_execz .LBB69_268
; %bb.263:                              ;   in Loop: Header=BB69_217 Depth=1
	v_cmp_neq_f32_e64 s29, 0x7f800000, |v10|
                                        ; implicit-def: $vgpr6
	s_delay_alu instid0(VALU_DEP_1) | instskip(NEXT) | instid1(SALU_CYCLE_1)
	s_and_saveexec_b32 s30, s29
	s_xor_b32 s29, exec_lo, s30
; %bb.264:                              ;   in Loop: Header=BB69_217 Depth=1
	v_add_f32_e32 v6, 0, v10
	s_delay_alu instid0(VALU_DEP_1)
	v_add_f32_e32 v6, v11, v6
                                        ; implicit-def: $vgpr11
; %bb.265:                              ;   in Loop: Header=BB69_217 Depth=1
	s_or_saveexec_b32 s29, s29
	s_delay_alu instid0(VALU_DEP_1)
	v_mov_b32_e32 v7, v6
	s_xor_b32 exec_lo, exec_lo, s29
	s_cbranch_execz .LBB69_267
; %bb.266:                              ;   in Loop: Header=BB69_217 Depth=1
	v_dual_mov_b32 v6, s12 :: v_dual_mov_b32 v7, s13
	flat_load_b32 v6, v[6:7] glc dlc
	s_waitcnt vmcnt(0)
	v_bfi_b32 v7, 0x7fffffff, 0, v11
	s_waitcnt lgkmcnt(0)
	v_add_f32_e32 v6, 0x3fc90fdb, v6
	s_delay_alu instid0(VALU_DEP_1)
	v_bfi_b32 v6, 0x7fffffff, v6, v10
.LBB69_267:                             ;   in Loop: Header=BB69_217 Depth=1
	s_or_b32 exec_lo, exec_lo, s29
                                        ; implicit-def: $vgpr11
.LBB69_268:                             ;   in Loop: Header=BB69_217 Depth=1
	s_and_not1_saveexec_b32 s5, s5
; %bb.269:                              ;   in Loop: Header=BB69_217 Depth=1
	v_bfi_b32 v7, 0x7fffffff, 0, v11
	v_add_f32_e32 v6, v10, v10
; %bb.270:                              ;   in Loop: Header=BB69_217 Depth=1
	s_or_b32 exec_lo, exec_lo, s5
.LBB69_271:                             ;   in Loop: Header=BB69_217 Depth=1
	s_delay_alu instid0(SALU_CYCLE_1)
	s_or_b32 exec_lo, exec_lo, s4
                                        ; implicit-def: $vgpr10
.LBB69_272:                             ;   in Loop: Header=BB69_217 Depth=1
	s_and_not1_saveexec_b32 s4, s28
	s_cbranch_execz .LBB69_274
; %bb.273:                              ;   in Loop: Header=BB69_217 Depth=1
	v_rcp_f32_e64 v6, |v10|
	v_cmp_gt_f32_e64 vcc_lo, |v10|, 1.0
	s_waitcnt_depctr 0xfff
	v_cndmask_b32_e64 v6, |v10|, v6, vcc_lo
	s_delay_alu instid0(VALU_DEP_1) | instskip(NEXT) | instid1(VALU_DEP_1)
	v_mul_f32_e32 v7, v6, v6
	v_fmaak_f32 v33, s27, v7, 0xbc7a590c
	s_delay_alu instid0(VALU_DEP_1) | instskip(NEXT) | instid1(VALU_DEP_1)
	v_fmaak_f32 v33, v7, v33, 0x3d29fb3f
	v_fmaak_f32 v33, v7, v33, 0xbd97d4d7
	s_delay_alu instid0(VALU_DEP_1) | instskip(NEXT) | instid1(VALU_DEP_1)
	v_fmaak_f32 v33, v7, v33, 0x3dd931b2
	;; [unrolled: 3-line block ×3, first 2 shown]
	v_fmaak_f32 v33, v7, v33, 0xbeaaaa62
	s_delay_alu instid0(VALU_DEP_1) | instskip(NEXT) | instid1(VALU_DEP_1)
	v_mul_f32_e32 v7, v7, v33
	v_fmac_f32_e32 v6, v6, v7
	s_delay_alu instid0(VALU_DEP_1) | instskip(NEXT) | instid1(VALU_DEP_1)
	v_sub_f32_e32 v7, 0x3fc90fdb, v6
	v_dual_cndmask_b32 v6, v6, v7 :: v_dual_mov_b32 v7, v11
	s_delay_alu instid0(VALU_DEP_1)
	v_bfi_b32 v6, 0x7fffffff, v6, v10
.LBB69_274:                             ;   in Loop: Header=BB69_217 Depth=1
	s_or_b32 exec_lo, exec_lo, s4
                                        ; implicit-def: $vgpr11
.LBB69_275:                             ;   in Loop: Header=BB69_217 Depth=1
	s_and_not1_saveexec_b32 s4, s11
	s_cbranch_execz .LBB69_277
; %bb.276:                              ;   in Loop: Header=BB69_217 Depth=1
	v_sub_f32_e64 v6, 1.0, |v11|
	v_add_f32_e64 v33, |v11|, 1.0
	v_cmp_gt_f32_e64 s5, 0x39800000, |v11|
	s_delay_alu instid0(VALU_DEP_3) | instskip(SKIP_1) | instid1(VALU_DEP_1)
	v_rcp_f32_e32 v7, v6
	v_sub_f32_e32 v35, 1.0, v6
	v_sub_f32_e64 v35, v35, |v11|
	s_waitcnt_depctr 0xfff
	v_mul_f32_e32 v34, v33, v7
	s_delay_alu instid0(VALU_DEP_1) | instskip(NEXT) | instid1(VALU_DEP_1)
	v_mul_f32_e32 v36, v6, v34
	v_fma_f32 v6, v34, v6, -v36
	s_delay_alu instid0(VALU_DEP_1) | instskip(NEXT) | instid1(VALU_DEP_1)
	v_fmac_f32_e32 v6, v34, v35
	v_add_f32_e32 v35, v36, v6
	s_delay_alu instid0(VALU_DEP_1) | instskip(NEXT) | instid1(VALU_DEP_1)
	v_sub_f32_e32 v37, v33, v35
	v_sub_f32_e32 v38, v33, v37
	v_dual_sub_f32 v36, v35, v36 :: v_dual_add_f32 v33, -1.0, v33
	s_delay_alu instid0(VALU_DEP_1) | instskip(NEXT) | instid1(VALU_DEP_2)
	v_dual_sub_f32 v35, v38, v35 :: v_dual_sub_f32 v6, v36, v6
	v_sub_f32_e64 v33, |v11|, v33
	s_delay_alu instid0(VALU_DEP_2) | instskip(NEXT) | instid1(VALU_DEP_1)
	v_add_f32_e32 v6, v6, v35
	v_add_f32_e32 v6, v33, v6
	s_delay_alu instid0(VALU_DEP_1) | instskip(NEXT) | instid1(VALU_DEP_1)
	v_add_f32_e32 v6, v37, v6
	v_mul_f32_e32 v33, v7, v6
	s_delay_alu instid0(VALU_DEP_1) | instskip(NEXT) | instid1(VALU_DEP_1)
	v_add_f32_e32 v35, v34, v33
	v_cvt_f64_f32_e32 v[6:7], v35
	v_sub_f32_e32 v34, v35, v34
	s_delay_alu instid0(VALU_DEP_2) | instskip(SKIP_1) | instid1(VALU_DEP_1)
	v_frexp_exp_i32_f64_e32 v6, v[6:7]
	v_frexp_mant_f32_e32 v7, v35
	v_cmp_gt_f32_e32 vcc_lo, 0x3f2aaaab, v7
	s_delay_alu instid0(VALU_DEP_3) | instskip(SKIP_1) | instid1(VALU_DEP_2)
	v_subrev_co_ci_u32_e32 v6, vcc_lo, 0, v6, vcc_lo
	v_cmp_ngt_f32_e64 vcc_lo, |v11|, 1.0
	v_sub_nc_u32_e32 v7, 0, v6
	v_cvt_f32_i32_e32 v6, v6
	s_delay_alu instid0(VALU_DEP_2) | instskip(SKIP_1) | instid1(VALU_DEP_2)
	v_ldexp_f32 v36, v35, v7
	v_sub_f32_e32 v33, v33, v34
	v_add_f32_e32 v35, 1.0, v36
	s_delay_alu instid0(VALU_DEP_2) | instskip(NEXT) | instid1(VALU_DEP_2)
	v_ldexp_f32 v7, v33, v7
	v_dual_add_f32 v33, -1.0, v36 :: v_dual_add_f32 v34, -1.0, v35
	s_delay_alu instid0(VALU_DEP_1) | instskip(NEXT) | instid1(VALU_DEP_1)
	v_dual_add_f32 v37, 1.0, v33 :: v_dual_sub_f32 v34, v36, v34
	v_sub_f32_e32 v36, v36, v37
	s_delay_alu instid0(VALU_DEP_2) | instskip(NEXT) | instid1(VALU_DEP_2)
	v_add_f32_e32 v34, v7, v34
	v_add_f32_e32 v7, v7, v36
	s_delay_alu instid0(VALU_DEP_1) | instskip(NEXT) | instid1(VALU_DEP_1)
	v_dual_add_f32 v37, v35, v34 :: v_dual_add_f32 v38, v33, v7
	v_rcp_f32_e32 v36, v37
	v_sub_f32_e32 v35, v37, v35
	s_delay_alu instid0(VALU_DEP_2) | instskip(NEXT) | instid1(VALU_DEP_1)
	v_sub_f32_e32 v33, v38, v33
	v_dual_sub_f32 v34, v34, v35 :: v_dual_sub_f32 v7, v7, v33
	s_waitcnt_depctr 0xfff
	v_mul_f32_e32 v39, v38, v36
	s_delay_alu instid0(VALU_DEP_1) | instskip(NEXT) | instid1(VALU_DEP_1)
	v_mul_f32_e32 v40, v37, v39
	v_fma_f32 v35, v39, v37, -v40
	s_delay_alu instid0(VALU_DEP_1) | instskip(NEXT) | instid1(VALU_DEP_1)
	v_fmac_f32_e32 v35, v39, v34
	v_add_f32_e32 v41, v40, v35
	s_delay_alu instid0(VALU_DEP_1) | instskip(NEXT) | instid1(VALU_DEP_1)
	v_sub_f32_e32 v42, v38, v41
	v_dual_sub_f32 v38, v38, v42 :: v_dual_sub_f32 v33, v41, v40
	s_delay_alu instid0(VALU_DEP_1) | instskip(NEXT) | instid1(VALU_DEP_1)
	v_dual_sub_f32 v38, v38, v41 :: v_dual_sub_f32 v33, v33, v35
	v_add_f32_e32 v7, v7, v38
	s_delay_alu instid0(VALU_DEP_1) | instskip(NEXT) | instid1(VALU_DEP_1)
	v_add_f32_e32 v7, v33, v7
	v_add_f32_e32 v33, v42, v7
	s_delay_alu instid0(VALU_DEP_1) | instskip(NEXT) | instid1(VALU_DEP_1)
	v_mul_f32_e32 v35, v36, v33
	v_dual_sub_f32 v41, v42, v33 :: v_dual_mul_f32 v38, v37, v35
	s_delay_alu instid0(VALU_DEP_1) | instskip(NEXT) | instid1(VALU_DEP_1)
	v_fma_f32 v37, v35, v37, -v38
	v_fmac_f32_e32 v37, v35, v34
	s_delay_alu instid0(VALU_DEP_1) | instskip(NEXT) | instid1(VALU_DEP_1)
	v_add_f32_e32 v34, v38, v37
	v_sub_f32_e32 v40, v33, v34
	v_dual_sub_f32 v38, v34, v38 :: v_dual_add_f32 v7, v7, v41
	s_delay_alu instid0(VALU_DEP_2) | instskip(NEXT) | instid1(VALU_DEP_1)
	v_sub_f32_e32 v33, v33, v40
	v_dual_sub_f32 v33, v33, v34 :: v_dual_sub_f32 v34, v38, v37
	s_delay_alu instid0(VALU_DEP_1) | instskip(SKIP_1) | instid1(VALU_DEP_2)
	v_add_f32_e32 v7, v7, v33
	v_add_f32_e32 v33, v39, v35
	;; [unrolled: 1-line block ×3, first 2 shown]
	s_delay_alu instid0(VALU_DEP_2) | instskip(NEXT) | instid1(VALU_DEP_1)
	v_sub_f32_e32 v34, v33, v39
	v_dual_add_f32 v7, v40, v7 :: v_dual_sub_f32 v34, v35, v34
	s_delay_alu instid0(VALU_DEP_1) | instskip(NEXT) | instid1(VALU_DEP_1)
	v_mul_f32_e32 v7, v36, v7
	v_add_f32_e32 v7, v34, v7
	s_delay_alu instid0(VALU_DEP_1) | instskip(NEXT) | instid1(VALU_DEP_1)
	v_add_f32_e32 v34, v33, v7
	v_sub_f32_e32 v33, v34, v33
	s_delay_alu instid0(VALU_DEP_1) | instskip(NEXT) | instid1(VALU_DEP_1)
	v_sub_f32_e32 v7, v7, v33
	v_ldexp_f32 v7, v7, 1
	v_mul_f32_e32 v35, v34, v34
	s_delay_alu instid0(VALU_DEP_1) | instskip(SKIP_1) | instid1(VALU_DEP_2)
	v_fmaak_f32 v36, s26, v35, 0x3ecc95a3
	v_mul_f32_e32 v37, v34, v35
	v_fmaak_f32 v35, v35, v36, 0x3f2aaada
	v_ldexp_f32 v36, v34, 1
	s_delay_alu instid0(VALU_DEP_2) | instskip(NEXT) | instid1(VALU_DEP_1)
	v_mul_f32_e32 v35, v37, v35
	v_dual_mul_f32 v37, 0x3f317218, v6 :: v_dual_add_f32 v34, v36, v35
	s_delay_alu instid0(VALU_DEP_1) | instskip(NEXT) | instid1(VALU_DEP_2)
	v_sub_f32_e32 v33, v34, v36
	v_fma_f32 v36, 0x3f317218, v6, -v37
	s_delay_alu instid0(VALU_DEP_1) | instskip(NEXT) | instid1(VALU_DEP_1)
	v_dual_sub_f32 v33, v35, v33 :: v_dual_fmac_f32 v36, 0xb102e308, v6
	v_dual_add_f32 v6, v7, v33 :: v_dual_add_f32 v7, v37, v36
	s_delay_alu instid0(VALU_DEP_1) | instskip(NEXT) | instid1(VALU_DEP_2)
	v_add_f32_e32 v33, v34, v6
	v_sub_f32_e32 v37, v7, v37
	s_delay_alu instid0(VALU_DEP_2) | instskip(NEXT) | instid1(VALU_DEP_2)
	v_dual_add_f32 v35, v7, v33 :: v_dual_sub_f32 v34, v33, v34
	v_sub_f32_e32 v36, v36, v37
	s_delay_alu instid0(VALU_DEP_2) | instskip(NEXT) | instid1(VALU_DEP_3)
	v_sub_f32_e32 v38, v35, v7
	v_sub_f32_e32 v6, v6, v34
	s_delay_alu instid0(VALU_DEP_2) | instskip(SKIP_1) | instid1(VALU_DEP_2)
	v_sub_f32_e32 v39, v35, v38
	v_sub_f32_e32 v33, v33, v38
	v_dual_add_f32 v34, v36, v6 :: v_dual_sub_f32 v7, v7, v39
	s_delay_alu instid0(VALU_DEP_1) | instskip(NEXT) | instid1(VALU_DEP_2)
	v_add_f32_e32 v7, v33, v7
	v_sub_f32_e32 v33, v34, v36
	s_delay_alu instid0(VALU_DEP_2) | instskip(NEXT) | instid1(VALU_DEP_2)
	v_add_f32_e32 v7, v34, v7
	v_sub_f32_e32 v34, v34, v33
	s_delay_alu instid0(VALU_DEP_2) | instskip(NEXT) | instid1(VALU_DEP_1)
	v_dual_sub_f32 v6, v6, v33 :: v_dual_add_f32 v37, v35, v7
	v_dual_sub_f32 v33, v36, v34 :: v_dual_sub_f32 v34, v37, v35
	s_delay_alu instid0(VALU_DEP_1) | instskip(NEXT) | instid1(VALU_DEP_1)
	v_dual_add_f32 v6, v6, v33 :: v_dual_sub_f32 v7, v7, v34
	v_add_f32_e32 v6, v6, v7
	s_delay_alu instid0(VALU_DEP_1) | instskip(NEXT) | instid1(VALU_DEP_1)
	v_add_f32_e32 v6, v37, v6
	v_mul_f32_e32 v6, 0.5, v6
	s_delay_alu instid0(VALU_DEP_1) | instskip(NEXT) | instid1(VALU_DEP_1)
	v_cndmask_b32_e64 v6, v6, |v11|, s5
	v_cndmask_b32_e32 v6, 0x7fc00000, v6, vcc_lo
	v_cmp_neq_f32_e64 vcc_lo, |v11|, 1.0
	s_delay_alu instid0(VALU_DEP_2) | instskip(NEXT) | instid1(VALU_DEP_1)
	v_cndmask_b32_e32 v6, 0x7f800000, v6, vcc_lo
	v_bfi_b32 v7, 0x7fffffff, v6, v11
	v_mov_b32_e32 v6, v10
.LBB69_277:                             ;   in Loop: Header=BB69_217 Depth=1
	s_or_b32 exec_lo, exec_lo, s4
	v_cmp_neq_f32_e32 vcc_lo, 0, v12
	v_cmp_nle_f32_e64 s4, |v13|, 1.0
	v_dual_mov_b32 v10, s12 :: v_dual_mov_b32 v11, s13
	s_delay_alu instid0(VALU_DEP_2) | instskip(SKIP_3) | instid1(SALU_CYCLE_1)
	s_or_b32 s4, vcc_lo, s4
	flat_store_b32 v[10:11], v30 dlc
	s_waitcnt_vscnt null, 0x0
                                        ; implicit-def: $vgpr10
	s_and_saveexec_b32 s5, s4
	s_xor_b32 s11, exec_lo, s5
	s_cbranch_execz .LBB69_327
; %bb.278:                              ;   in Loop: Header=BB69_217 Depth=1
                                        ; implicit-def: $vgpr10
	s_mov_b32 s4, exec_lo
	v_cmpx_neq_f32_e32 0, v13
	s_xor_b32 s28, exec_lo, s4
	s_cbranch_execz .LBB69_324
; %bb.279:                              ;   in Loop: Header=BB69_217 Depth=1
	v_cmp_o_f32_e32 vcc_lo, v13, v13
	v_cmp_o_f32_e64 s4, v12, v12
                                        ; implicit-def: $vgpr10
	s_delay_alu instid0(VALU_DEP_1) | instskip(NEXT) | instid1(SALU_CYCLE_1)
	s_and_b32 s4, vcc_lo, s4
	s_and_saveexec_b32 s5, s4
	s_delay_alu instid0(SALU_CYCLE_1)
	s_xor_b32 s29, exec_lo, s5
	s_cbranch_execz .LBB69_313
; %bb.280:                              ;   in Loop: Header=BB69_217 Depth=1
	v_max_f32_e64 v11, |v12|, |v12|
	v_max_f32_e64 v10, |v13|, |v13|
	s_delay_alu instid0(VALU_DEP_1) | instskip(NEXT) | instid1(VALU_DEP_1)
	v_max_f32_e32 v10, v10, v11
	v_cmp_nlt_f32_e32 vcc_lo, 0x4b000000, v10
                                        ; implicit-def: $vgpr10
	s_and_saveexec_b32 s4, vcc_lo
	s_delay_alu instid0(SALU_CYCLE_1)
	s_xor_b32 s30, exec_lo, s4
	s_cbranch_execz .LBB69_298
; %bb.281:                              ;   in Loop: Header=BB69_217 Depth=1
	v_cmp_ngt_f32_e64 s4, 0x399cc471, |v13|
	v_cmp_ngt_f32_e64 s5, 0x399cc471, |v12|
                                        ; implicit-def: $vgpr10
	s_delay_alu instid0(VALU_DEP_1) | instskip(NEXT) | instid1(SALU_CYCLE_1)
	s_or_b32 s4, s4, s5
	s_and_saveexec_b32 s5, s4
	s_delay_alu instid0(SALU_CYCLE_1)
	s_xor_b32 s31, exec_lo, s5
	s_cbranch_execz .LBB69_295
; %bb.282:                              ;   in Loop: Header=BB69_217 Depth=1
	v_cmp_neq_f32_e64 s5, |v13|, 1.0
	v_cmp_ngt_f32_e64 s4, 0x34000000, |v12|
                                        ; implicit-def: $vgpr10
	s_delay_alu instid0(VALU_DEP_1) | instskip(NEXT) | instid1(SALU_CYCLE_1)
	s_or_b32 s33, s5, s4
	s_and_saveexec_b32 s34, s33
	s_delay_alu instid0(SALU_CYCLE_1)
	s_xor_b32 s33, exec_lo, s34
	s_cbranch_execz .LBB69_284
; %bb.283:                              ;   in Loop: Header=BB69_217 Depth=1
	v_add_f32_e64 v10, |v13|, -1.0
	v_cmp_gt_f32_e64 vcc_lo, 0x20000000, |v12|
	v_mul_f32_e64 v34, |v13|, 4.0
	s_delay_alu instid0(VALU_DEP_3) | instskip(NEXT) | instid1(VALU_DEP_1)
	v_mul_f32_e32 v10, v10, v10
	v_fma_f32 v33, v12, v12, v10
	s_delay_alu instid0(VALU_DEP_1) | instskip(NEXT) | instid1(VALU_DEP_1)
	v_cndmask_b32_e32 v10, v33, v10, vcc_lo
	v_div_scale_f32 v33, null, v10, v10, v34
	v_div_scale_f32 v37, vcc_lo, v34, v10, v34
	s_delay_alu instid0(VALU_DEP_2) | instskip(SKIP_2) | instid1(VALU_DEP_1)
	v_rcp_f32_e32 v35, v33
	s_waitcnt_depctr 0xfff
	v_fma_f32 v36, -v33, v35, 1.0
	v_fmac_f32_e32 v35, v36, v35
	s_delay_alu instid0(VALU_DEP_1) | instskip(NEXT) | instid1(VALU_DEP_1)
	v_mul_f32_e32 v36, v37, v35
	v_fma_f32 v38, -v33, v36, v37
	s_delay_alu instid0(VALU_DEP_1) | instskip(NEXT) | instid1(VALU_DEP_1)
	v_fmac_f32_e32 v36, v38, v35
	v_fma_f32 v33, -v33, v36, v37
	s_delay_alu instid0(VALU_DEP_1) | instskip(NEXT) | instid1(VALU_DEP_1)
	v_div_fmas_f32 v33, v33, v35, v36
	v_div_fixup_f32 v10, v33, v10, v34
	s_delay_alu instid0(VALU_DEP_1) | instskip(NEXT) | instid1(VALU_DEP_1)
	v_add_f32_e32 v35, 1.0, v10
	v_cvt_f64_f32_e32 v[33:34], v35
	s_delay_alu instid0(VALU_DEP_1) | instskip(SKIP_1) | instid1(VALU_DEP_1)
	v_frexp_exp_i32_f64_e32 v33, v[33:34]
	v_frexp_mant_f32_e32 v34, v35
	v_cmp_gt_f32_e32 vcc_lo, 0x3f2aaaab, v34
	v_add_f32_e32 v34, -1.0, v35
	s_delay_alu instid0(VALU_DEP_1) | instskip(NEXT) | instid1(VALU_DEP_1)
	v_sub_f32_e32 v37, v34, v35
	v_add_f32_e32 v37, 1.0, v37
	v_subrev_co_ci_u32_e32 v33, vcc_lo, 0, v33, vcc_lo
	v_cmp_eq_f32_e32 vcc_lo, 0x7f800000, v10
	s_delay_alu instid0(VALU_DEP_2) | instskip(SKIP_1) | instid1(VALU_DEP_2)
	v_sub_nc_u32_e32 v36, 0, v33
	v_cvt_f32_i32_e32 v33, v33
	v_ldexp_f32 v35, v35, v36
	v_sub_f32_e32 v34, v10, v34
	s_delay_alu instid0(VALU_DEP_1) | instskip(NEXT) | instid1(VALU_DEP_1)
	v_add_f32_e32 v34, v34, v37
	v_ldexp_f32 v34, v34, v36
	s_delay_alu instid0(VALU_DEP_4) | instskip(NEXT) | instid1(VALU_DEP_1)
	v_add_f32_e32 v36, -1.0, v35
	v_dual_add_f32 v38, 1.0, v35 :: v_dual_add_f32 v39, 1.0, v36
	s_delay_alu instid0(VALU_DEP_1) | instskip(NEXT) | instid1(VALU_DEP_1)
	v_add_f32_e32 v37, -1.0, v38
	v_sub_f32_e32 v37, v35, v37
	s_delay_alu instid0(VALU_DEP_3) | instskip(NEXT) | instid1(VALU_DEP_2)
	v_sub_f32_e32 v35, v35, v39
	v_add_f32_e32 v37, v34, v37
	s_delay_alu instid0(VALU_DEP_2) | instskip(NEXT) | instid1(VALU_DEP_1)
	v_add_f32_e32 v34, v34, v35
	v_dual_add_f32 v39, v38, v37 :: v_dual_add_f32 v40, v36, v34
	s_delay_alu instid0(VALU_DEP_1) | instskip(SKIP_1) | instid1(VALU_DEP_1)
	v_rcp_f32_e32 v35, v39
	v_sub_f32_e32 v38, v39, v38
	v_dual_sub_f32 v36, v40, v36 :: v_dual_sub_f32 v37, v37, v38
	s_waitcnt_depctr 0xfff
	v_dual_sub_f32 v34, v34, v36 :: v_dual_mul_f32 v41, v40, v35
	s_delay_alu instid0(VALU_DEP_1) | instskip(NEXT) | instid1(VALU_DEP_1)
	v_mul_f32_e32 v42, v39, v41
	v_fma_f32 v38, v41, v39, -v42
	s_delay_alu instid0(VALU_DEP_1) | instskip(NEXT) | instid1(VALU_DEP_1)
	v_fmac_f32_e32 v38, v41, v37
	v_add_f32_e32 v43, v42, v38
	s_delay_alu instid0(VALU_DEP_1) | instskip(SKIP_1) | instid1(VALU_DEP_2)
	v_sub_f32_e32 v44, v40, v43
	v_sub_f32_e32 v36, v43, v42
	;; [unrolled: 1-line block ×3, first 2 shown]
	s_delay_alu instid0(VALU_DEP_2) | instskip(NEXT) | instid1(VALU_DEP_2)
	v_sub_f32_e32 v36, v36, v38
	v_sub_f32_e32 v40, v40, v43
	s_delay_alu instid0(VALU_DEP_1) | instskip(NEXT) | instid1(VALU_DEP_1)
	v_add_f32_e32 v34, v34, v40
	v_add_f32_e32 v34, v36, v34
	s_delay_alu instid0(VALU_DEP_1) | instskip(NEXT) | instid1(VALU_DEP_1)
	v_add_f32_e32 v36, v44, v34
	v_mul_f32_e32 v38, v35, v36
	s_delay_alu instid0(VALU_DEP_1) | instskip(NEXT) | instid1(VALU_DEP_1)
	v_mul_f32_e32 v40, v39, v38
	v_fma_f32 v39, v38, v39, -v40
	s_delay_alu instid0(VALU_DEP_1) | instskip(SKIP_1) | instid1(VALU_DEP_2)
	v_fmac_f32_e32 v39, v38, v37
	v_sub_f32_e32 v43, v44, v36
	v_add_f32_e32 v37, v40, v39
	s_delay_alu instid0(VALU_DEP_2) | instskip(NEXT) | instid1(VALU_DEP_2)
	v_add_f32_e32 v34, v34, v43
	v_sub_f32_e32 v42, v36, v37
	v_sub_f32_e32 v40, v37, v40
	s_delay_alu instid0(VALU_DEP_2) | instskip(NEXT) | instid1(VALU_DEP_1)
	v_sub_f32_e32 v36, v36, v42
	v_sub_f32_e32 v36, v36, v37
	s_delay_alu instid0(VALU_DEP_1) | instskip(SKIP_1) | instid1(VALU_DEP_1)
	v_dual_sub_f32 v37, v40, v39 :: v_dual_add_f32 v34, v34, v36
	v_add_f32_e32 v36, v41, v38
	v_dual_add_f32 v34, v37, v34 :: v_dual_sub_f32 v37, v36, v41
	s_delay_alu instid0(VALU_DEP_1) | instskip(NEXT) | instid1(VALU_DEP_1)
	v_add_f32_e32 v34, v42, v34
	v_dual_sub_f32 v37, v38, v37 :: v_dual_mul_f32 v34, v35, v34
	s_delay_alu instid0(VALU_DEP_1) | instskip(NEXT) | instid1(VALU_DEP_1)
	v_add_f32_e32 v34, v37, v34
	v_add_f32_e32 v35, v36, v34
	s_delay_alu instid0(VALU_DEP_1) | instskip(NEXT) | instid1(VALU_DEP_1)
	v_mul_f32_e32 v37, v35, v35
	v_fmaak_f32 v38, s26, v37, 0x3ecc95a3
	v_mul_f32_e32 v39, v35, v37
	s_delay_alu instid0(VALU_DEP_2) | instskip(SKIP_2) | instid1(VALU_DEP_3)
	v_fmaak_f32 v37, v37, v38, 0x3f2aaada
	v_ldexp_f32 v38, v35, 1
	v_sub_f32_e32 v35, v35, v36
	v_mul_f32_e32 v37, v39, v37
	s_delay_alu instid0(VALU_DEP_2) | instskip(NEXT) | instid1(VALU_DEP_2)
	v_dual_mul_f32 v39, 0x3f317218, v33 :: v_dual_sub_f32 v34, v34, v35
	v_add_f32_e32 v36, v38, v37
	s_delay_alu instid0(VALU_DEP_2) | instskip(NEXT) | instid1(VALU_DEP_2)
	v_ldexp_f32 v34, v34, 1
	v_sub_f32_e32 v35, v36, v38
	s_delay_alu instid0(VALU_DEP_4) | instskip(NEXT) | instid1(VALU_DEP_1)
	v_fma_f32 v38, 0x3f317218, v33, -v39
	v_dual_sub_f32 v35, v37, v35 :: v_dual_fmac_f32 v38, 0xb102e308, v33
	s_delay_alu instid0(VALU_DEP_1) | instskip(NEXT) | instid1(VALU_DEP_1)
	v_dual_add_f32 v33, v34, v35 :: v_dual_add_f32 v34, v39, v38
	v_add_f32_e32 v35, v36, v33
	s_delay_alu instid0(VALU_DEP_2) | instskip(NEXT) | instid1(VALU_DEP_2)
	v_sub_f32_e32 v39, v34, v39
	v_dual_add_f32 v37, v34, v35 :: v_dual_sub_f32 v36, v35, v36
	s_delay_alu instid0(VALU_DEP_2) | instskip(NEXT) | instid1(VALU_DEP_2)
	v_sub_f32_e32 v38, v38, v39
	v_sub_f32_e32 v40, v37, v34
	s_delay_alu instid0(VALU_DEP_3) | instskip(NEXT) | instid1(VALU_DEP_2)
	v_sub_f32_e32 v33, v33, v36
	v_sub_f32_e32 v41, v37, v40
	s_delay_alu instid0(VALU_DEP_2) | instskip(NEXT) | instid1(VALU_DEP_2)
	v_dual_sub_f32 v35, v35, v40 :: v_dual_add_f32 v36, v38, v33
	v_sub_f32_e32 v34, v34, v41
	s_delay_alu instid0(VALU_DEP_1) | instskip(NEXT) | instid1(VALU_DEP_3)
	v_add_f32_e32 v34, v35, v34
	v_sub_f32_e32 v35, v36, v38
	s_delay_alu instid0(VALU_DEP_2) | instskip(NEXT) | instid1(VALU_DEP_2)
	v_add_f32_e32 v34, v36, v34
	v_sub_f32_e32 v36, v36, v35
	v_sub_f32_e32 v33, v33, v35
	s_delay_alu instid0(VALU_DEP_2) | instskip(NEXT) | instid1(VALU_DEP_1)
	v_dual_add_f32 v39, v37, v34 :: v_dual_sub_f32 v36, v38, v36
	v_sub_f32_e32 v35, v39, v37
	s_delay_alu instid0(VALU_DEP_1) | instskip(NEXT) | instid1(VALU_DEP_1)
	v_dual_add_f32 v33, v33, v36 :: v_dual_sub_f32 v34, v34, v35
	v_add_f32_e32 v33, v33, v34
	s_delay_alu instid0(VALU_DEP_1) | instskip(NEXT) | instid1(VALU_DEP_1)
	v_add_f32_e32 v33, v39, v33
	v_cndmask_b32_e32 v33, v33, v10, vcc_lo
	v_cmp_ngt_f32_e32 vcc_lo, -1.0, v10
	s_delay_alu instid0(VALU_DEP_2) | instskip(SKIP_1) | instid1(VALU_DEP_2)
	v_cndmask_b32_e32 v33, 0x7fc00000, v33, vcc_lo
	v_cmp_neq_f32_e32 vcc_lo, -1.0, v10
	v_cndmask_b32_e32 v33, 0xff800000, v33, vcc_lo
	v_cmp_gt_f32_e64 vcc_lo, 0x33800000, |v10|
	s_delay_alu instid0(VALU_DEP_2) | instskip(NEXT) | instid1(VALU_DEP_1)
	v_cndmask_b32_e32 v10, v33, v10, vcc_lo
	v_mul_f32_e32 v10, 0x3e800000, v10
	s_and_not1_saveexec_b32 s33, s33
	s_cbranch_execz .LBB69_286
	s_branch .LBB69_285
.LBB69_284:                             ;   in Loop: Header=BB69_217 Depth=1
	s_and_not1_saveexec_b32 s33, s33
	s_cbranch_execz .LBB69_286
.LBB69_285:                             ;   in Loop: Header=BB69_217 Depth=1
	v_cmp_gt_f32_e64 s34, 0x800000, |v12|
	s_delay_alu instid0(VALU_DEP_1) | instskip(NEXT) | instid1(VALU_DEP_1)
	v_cndmask_b32_e64 v10, 1.0, 0x4f800000, s34
	v_mul_f32_e64 v10, |v12|, v10
	s_delay_alu instid0(VALU_DEP_1) | instskip(SKIP_3) | instid1(VALU_DEP_2)
	v_log_f32_e32 v10, v10
	s_waitcnt_depctr 0xfff
	v_mul_f32_e32 v33, 0x3f317217, v10
	v_cmp_gt_f32_e64 vcc_lo, 0x7f800000, |v10|
	v_fma_f32 v34, 0x3f317217, v10, -v33
	s_delay_alu instid0(VALU_DEP_1) | instskip(NEXT) | instid1(VALU_DEP_1)
	v_fmac_f32_e32 v34, 0x3377d1cf, v10
	v_add_f32_e32 v33, v33, v34
	s_delay_alu instid0(VALU_DEP_1) | instskip(SKIP_1) | instid1(VALU_DEP_1)
	v_cndmask_b32_e32 v10, v10, v33, vcc_lo
	v_cndmask_b32_e64 v33, 0, 0x41b17218, s34
	v_sub_f32_e32 v10, v10, v33
	s_delay_alu instid0(VALU_DEP_1) | instskip(NEXT) | instid1(VALU_DEP_1)
	v_sub_f32_e32 v10, 0x3f317218, v10
	v_mul_f32_e32 v10, 0.5, v10
.LBB69_286:                             ;   in Loop: Header=BB69_217 Depth=1
	s_or_b32 exec_lo, exec_lo, s33
                                        ; implicit-def: $vgpr34
	s_and_saveexec_b32 s33, s5
	s_delay_alu instid0(SALU_CYCLE_1)
	s_xor_b32 s33, exec_lo, s33
	s_cbranch_execz .LBB69_292
; %bb.287:                              ;   in Loop: Header=BB69_217 Depth=1
	v_sub_f32_e64 v33, 1.0, |v13|
	v_add_f32_e64 v34, |v13|, 1.0
	v_add_f32_e64 v11, |v12|, |v12|
	s_delay_alu instid0(VALU_DEP_2) | instskip(SKIP_1) | instid1(SALU_CYCLE_1)
	v_mul_f32_e32 v33, v33, v34
                                        ; implicit-def: $vgpr34
	s_and_saveexec_b32 s5, s4
	s_xor_b32 s5, exec_lo, s5
	s_cbranch_execz .LBB69_289
; %bb.288:                              ;   in Loop: Header=BB69_217 Depth=1
	s_delay_alu instid0(VALU_DEP_1) | instskip(SKIP_3) | instid1(VALU_DEP_4)
	v_fma_f32 v33, -v12, v12, v33
	v_max_f32_e64 v34, |v11|, |v11|
	v_cmp_eq_f32_e64 s4, 0, v11
	v_cmp_class_f32_e64 s34, v11, 0x204
	v_cmp_gt_f32_e64 vcc_lo, |v11|, |v33|
	s_delay_alu instid0(VALU_DEP_4) | instskip(SKIP_2) | instid1(VALU_DEP_3)
	v_max_f32_e64 v35, |v33|, v34
	v_min_f32_e64 v34, |v33|, v34
	v_cmp_class_f32_e64 s35, v33, 0x204
	v_frexp_mant_f32_e32 v36, v35
	v_frexp_exp_i32_f32_e32 v35, v35
	s_delay_alu instid0(VALU_DEP_4) | instskip(SKIP_1) | instid1(VALU_DEP_4)
	v_frexp_exp_i32_f32_e32 v37, v34
	v_frexp_mant_f32_e32 v34, v34
	v_rcp_f32_e32 v36, v36
	s_delay_alu instid0(VALU_DEP_2) | instskip(SKIP_2) | instid1(VALU_DEP_1)
	v_sub_nc_u32_e32 v35, v37, v35
	s_waitcnt_depctr 0xfff
	v_mul_f32_e32 v34, v34, v36
	v_ldexp_f32 v34, v34, v35
	s_delay_alu instid0(VALU_DEP_1) | instskip(NEXT) | instid1(VALU_DEP_1)
	v_mul_f32_e32 v35, v34, v34
	v_fmaak_f32 v36, s27, v35, 0xbc7a590c
	s_delay_alu instid0(VALU_DEP_1) | instskip(NEXT) | instid1(VALU_DEP_1)
	v_fmaak_f32 v36, v35, v36, 0x3d29fb3f
	v_fmaak_f32 v36, v35, v36, 0xbd97d4d7
	s_delay_alu instid0(VALU_DEP_1) | instskip(NEXT) | instid1(VALU_DEP_1)
	v_fmaak_f32 v36, v35, v36, 0x3dd931b2
	;; [unrolled: 3-line block ×3, first 2 shown]
	v_fmaak_f32 v36, v35, v36, 0xbeaaaa62
	s_delay_alu instid0(VALU_DEP_1) | instskip(NEXT) | instid1(VALU_DEP_1)
	v_mul_f32_e32 v35, v35, v36
	v_fmac_f32_e32 v34, v34, v35
	s_delay_alu instid0(VALU_DEP_1) | instskip(NEXT) | instid1(VALU_DEP_1)
	v_sub_f32_e32 v35, 0x3fc90fdb, v34
	v_cndmask_b32_e32 v34, v34, v35, vcc_lo
	v_cmp_gt_i32_e32 vcc_lo, 0, v33
	s_delay_alu instid0(VALU_DEP_2) | instskip(SKIP_2) | instid1(VALU_DEP_3)
	v_sub_f32_e32 v35, 0x40490fdb, v34
	v_cndmask_b32_e64 v36, 0, 0x40490fdb, vcc_lo
	v_cmp_gt_f32_e32 vcc_lo, 0, v33
	v_cndmask_b32_e32 v34, v34, v35, vcc_lo
	v_cndmask_b32_e32 v35, 0x3f490fdb, v32, vcc_lo
	s_and_b32 vcc_lo, s34, s35
	s_delay_alu instid0(VALU_DEP_2) | instskip(NEXT) | instid1(VALU_DEP_1)
	v_cndmask_b32_e64 v34, v34, v36, s4
	v_cndmask_b32_e32 v34, v34, v35, vcc_lo
	v_cmp_o_f32_e32 vcc_lo, v33, v11
	s_delay_alu instid0(VALU_DEP_2) | instskip(NEXT) | instid1(VALU_DEP_1)
	v_cndmask_b32_e32 v33, 0x7fc00000, v34, vcc_lo
	v_bfi_b32 v34, 0x7fffffff, v33, v11
                                        ; implicit-def: $vgpr11
                                        ; implicit-def: $vgpr33
.LBB69_289:                             ;   in Loop: Header=BB69_217 Depth=1
	s_and_not1_saveexec_b32 s34, s5
	s_cbranch_execz .LBB69_291
; %bb.290:                              ;   in Loop: Header=BB69_217 Depth=1
	v_max_f32_e32 v34, v11, v11
	v_max_f32_e64 v35, |v33|, |v33|
	v_cmp_gt_f32_e64 vcc_lo, v11, |v33|
	v_cmp_eq_f32_e64 s5, 0, v11
	v_cmp_class_f32_e64 s35, v33, 0x204
	v_cmp_eq_f32_e64 s4, 0x7f800000, v11
	v_max_f32_e32 v36, v35, v34
	v_min_f32_e32 v34, v35, v34
	s_delay_alu instid0(VALU_DEP_2) | instskip(SKIP_1) | instid1(VALU_DEP_2)
	v_frexp_mant_f32_e32 v37, v36
	v_frexp_exp_i32_f32_e32 v36, v36
	v_rcp_f32_e32 v35, v37
	s_delay_alu instid0(VALU_DEP_3) | instskip(SKIP_1) | instid1(VALU_DEP_2)
	v_frexp_exp_i32_f32_e32 v37, v34
	v_frexp_mant_f32_e32 v34, v34
	v_sub_nc_u32_e32 v36, v37, v36
	s_waitcnt_depctr 0xfff
	v_mul_f32_e32 v34, v34, v35
	s_delay_alu instid0(VALU_DEP_1) | instskip(NEXT) | instid1(VALU_DEP_1)
	v_ldexp_f32 v34, v34, v36
	v_mul_f32_e32 v35, v34, v34
	s_delay_alu instid0(VALU_DEP_1) | instskip(NEXT) | instid1(VALU_DEP_1)
	v_fmaak_f32 v36, s27, v35, 0xbc7a590c
	v_fmaak_f32 v36, v35, v36, 0x3d29fb3f
	s_delay_alu instid0(VALU_DEP_1) | instskip(NEXT) | instid1(VALU_DEP_1)
	v_fmaak_f32 v36, v35, v36, 0xbd97d4d7
	v_fmaak_f32 v36, v35, v36, 0x3dd931b2
	;; [unrolled: 3-line block ×3, first 2 shown]
	s_delay_alu instid0(VALU_DEP_1) | instskip(NEXT) | instid1(VALU_DEP_1)
	v_fmaak_f32 v36, v35, v36, 0xbeaaaa62
	v_mul_f32_e32 v35, v35, v36
	s_delay_alu instid0(VALU_DEP_1) | instskip(NEXT) | instid1(VALU_DEP_1)
	v_fmac_f32_e32 v34, v34, v35
	v_sub_f32_e32 v35, 0x3fc90fdb, v34
	s_delay_alu instid0(VALU_DEP_1) | instskip(SKIP_1) | instid1(VALU_DEP_2)
	v_cndmask_b32_e32 v34, v34, v35, vcc_lo
	v_cmp_gt_i32_e32 vcc_lo, 0, v33
	v_sub_f32_e32 v35, 0x40490fdb, v34
	v_cndmask_b32_e64 v36, 0, 0x40490fdb, vcc_lo
	v_cmp_gt_f32_e32 vcc_lo, 0, v33
	s_delay_alu instid0(VALU_DEP_3) | instskip(NEXT) | instid1(VALU_DEP_1)
	v_cndmask_b32_e32 v34, v34, v35, vcc_lo
	v_cndmask_b32_e64 v11, v34, v36, s5
	v_cndmask_b32_e32 v34, 0x3f490fdb, v32, vcc_lo
	s_and_b32 vcc_lo, s4, s35
	s_delay_alu instid0(VALU_DEP_1) | instskip(SKIP_1) | instid1(VALU_DEP_2)
	v_cndmask_b32_e32 v11, v11, v34, vcc_lo
	v_cmp_o_f32_e32 vcc_lo, v33, v33
	v_cndmask_b32_e64 v34, 0x7fc00000, |v11|, vcc_lo
.LBB69_291:                             ;   in Loop: Header=BB69_217 Depth=1
	s_or_b32 exec_lo, exec_lo, s34
                                        ; implicit-def: $vgpr11
	s_and_not1_saveexec_b32 s4, s33
	s_cbranch_execnz .LBB69_293
	s_branch .LBB69_294
.LBB69_292:                             ;   in Loop: Header=BB69_217 Depth=1
	s_and_not1_saveexec_b32 s4, s33
	s_cbranch_execz .LBB69_294
.LBB69_293:                             ;   in Loop: Header=BB69_217 Depth=1
	v_max_f32_e32 v33, 2.0, v11
	v_min_f32_e32 v11, 2.0, v11
	v_cmp_lt_f32_e64 vcc_lo, |v12|, 2.0
	s_delay_alu instid0(VALU_DEP_3) | instskip(NEXT) | instid1(VALU_DEP_3)
	v_frexp_mant_f32_e32 v34, v33
	v_frexp_mant_f32_e32 v35, v11
	v_frexp_exp_i32_f32_e32 v11, v11
	s_delay_alu instid0(VALU_DEP_3) | instskip(SKIP_3) | instid1(VALU_DEP_1)
	v_rcp_f32_e32 v34, v34
	s_waitcnt_depctr 0xfff
	v_mul_f32_e32 v34, v35, v34
	v_frexp_exp_i32_f32_e32 v33, v33
	v_sub_nc_u32_e32 v11, v11, v33
	s_delay_alu instid0(VALU_DEP_1) | instskip(NEXT) | instid1(VALU_DEP_1)
	v_ldexp_f32 v11, v34, v11
	v_mul_f32_e32 v33, v11, v11
	s_delay_alu instid0(VALU_DEP_1) | instskip(NEXT) | instid1(VALU_DEP_1)
	v_fmaak_f32 v34, s27, v33, 0xbc7a590c
	v_fmaak_f32 v34, v33, v34, 0x3d29fb3f
	s_delay_alu instid0(VALU_DEP_1) | instskip(NEXT) | instid1(VALU_DEP_1)
	v_fmaak_f32 v34, v33, v34, 0xbd97d4d7
	v_fmaak_f32 v34, v33, v34, 0x3dd931b2
	;; [unrolled: 3-line block ×3, first 2 shown]
	s_delay_alu instid0(VALU_DEP_1) | instskip(NEXT) | instid1(VALU_DEP_1)
	v_fmaak_f32 v34, v33, v34, 0xbeaaaa62
	v_mul_f32_e32 v33, v33, v34
	s_delay_alu instid0(VALU_DEP_1) | instskip(NEXT) | instid1(VALU_DEP_1)
	v_fmac_f32_e32 v11, v11, v33
	v_sub_f32_e32 v33, 0x3fc90fdb, v11
	s_delay_alu instid0(VALU_DEP_1) | instskip(SKIP_1) | instid1(VALU_DEP_2)
	v_cndmask_b32_e32 v11, v11, v33, vcc_lo
	v_cmp_lg_f32_e32 vcc_lo, 0, v12
	v_sub_f32_e32 v33, 0x40490fdb, v11
	s_delay_alu instid0(VALU_DEP_1) | instskip(NEXT) | instid1(VALU_DEP_1)
	v_cndmask_b32_e32 v11, v11, v33, vcc_lo
	v_and_b32_e32 v34, 0x7fffffff, v11
.LBB69_294:                             ;   in Loop: Header=BB69_217 Depth=1
	s_or_b32 exec_lo, exec_lo, s4
	s_delay_alu instid0(VALU_DEP_1) | instskip(SKIP_1) | instid1(VALU_DEP_2)
	v_mul_f32_e32 v33, 0.5, v34
	v_bfi_b32 v11, 0x7fffffff, v10, v13
	v_bfi_b32 v10, 0x7fffffff, v33, v12
                                        ; implicit-def: $vgpr12
.LBB69_295:                             ;   in Loop: Header=BB69_217 Depth=1
	s_and_not1_saveexec_b32 s4, s31
	s_cbranch_execz .LBB69_297
; %bb.296:                              ;   in Loop: Header=BB69_217 Depth=1
	v_dual_mov_b32 v10, s14 :: v_dual_mov_b32 v11, s15
	flat_store_b32 v[10:11], v31 dlc
	s_waitcnt_vscnt null, 0x0
	flat_load_b32 v10, v[10:11] glc dlc
	s_waitcnt vmcnt(0) lgkmcnt(0)
	v_dual_add_f32 v33, 1.0, v10 :: v_dual_mov_b32 v10, s16
	v_mov_b32_e32 v11, s17
	flat_store_b32 v[10:11], v33 dlc
	s_waitcnt_vscnt null, 0x0
	flat_load_b32 v10, v[10:11] glc dlc
	s_waitcnt vmcnt(0) lgkmcnt(0)
	v_dual_mov_b32 v10, v12 :: v_dual_mov_b32 v11, v13
.LBB69_297:                             ;   in Loop: Header=BB69_217 Depth=1
	s_or_b32 exec_lo, exec_lo, s4
                                        ; implicit-def: $vgpr12
.LBB69_298:                             ;   in Loop: Header=BB69_217 Depth=1
	s_and_not1_saveexec_b32 s4, s30
	s_cbranch_execz .LBB69_312
; %bb.299:                              ;   in Loop: Header=BB69_217 Depth=1
	v_and_b32_e32 v10, 0x7f800000, v13
	v_and_b32_e32 v33, 0x7f800000, v12
	v_cmp_neq_f32_e64 s5, 0x7f800000, |v13|
	s_delay_alu instid0(VALU_DEP_2) | instskip(NEXT) | instid1(VALU_DEP_1)
	v_sub_nc_u32_e32 v11, v10, v33
	v_cmp_gt_i32_e32 vcc_lo, 0x6800000, v11
                                        ; implicit-def: $vgpr11
	s_delay_alu instid0(VALU_DEP_3) | instskip(NEXT) | instid1(SALU_CYCLE_1)
	s_and_b32 s5, s5, vcc_lo
	s_and_saveexec_b32 s30, s5
	s_delay_alu instid0(SALU_CYCLE_1)
	s_xor_b32 s5, exec_lo, s30
	s_cbranch_execz .LBB69_309
; %bb.300:                              ;   in Loop: Header=BB69_217 Depth=1
	v_sub_nc_u32_e32 v11, v33, v10
	s_delay_alu instid0(VALU_DEP_1) | instskip(SKIP_1) | instid1(SALU_CYCLE_1)
	v_cmp_gt_i32_e32 vcc_lo, 0x6800000, v11
                                        ; implicit-def: $vgpr11
	s_and_saveexec_b32 s30, vcc_lo
	s_xor_b32 s30, exec_lo, s30
	s_cbranch_execz .LBB69_306
; %bb.301:                              ;   in Loop: Header=BB69_217 Depth=1
	s_mov_b32 s31, exec_lo
                                        ; implicit-def: $vgpr11
	v_cmpx_lt_u32_e32 0x59000000, v10
	s_xor_b32 s31, exec_lo, s31
	s_cbranch_execz .LBB69_303
; %bb.302:                              ;   in Loop: Header=BB69_217 Depth=1
	v_sub_nc_u32_e32 v10, 0x7f800000, v10
	s_delay_alu instid0(VALU_DEP_1) | instskip(SKIP_1) | instid1(VALU_DEP_2)
	v_mul_f32_e32 v11, v12, v10
	v_mul_f32_e32 v13, v13, v10
	;; [unrolled: 1-line block ×3, first 2 shown]
	s_delay_alu instid0(VALU_DEP_1) | instskip(NEXT) | instid1(VALU_DEP_1)
	v_fmac_f32_e32 v11, v13, v13
	v_div_scale_f32 v33, null, v11, v11, v13
	s_delay_alu instid0(VALU_DEP_1) | instskip(SKIP_2) | instid1(VALU_DEP_1)
	v_rcp_f32_e32 v34, v33
	s_waitcnt_depctr 0xfff
	v_fma_f32 v35, -v33, v34, 1.0
	v_fmac_f32_e32 v34, v35, v34
	v_div_scale_f32 v35, vcc_lo, v13, v11, v13
	s_delay_alu instid0(VALU_DEP_1) | instskip(NEXT) | instid1(VALU_DEP_1)
	v_mul_f32_e32 v36, v35, v34
	v_fma_f32 v37, -v33, v36, v35
	s_delay_alu instid0(VALU_DEP_1) | instskip(NEXT) | instid1(VALU_DEP_1)
	v_fmac_f32_e32 v36, v37, v34
	v_fma_f32 v33, -v33, v36, v35
	s_delay_alu instid0(VALU_DEP_1) | instskip(NEXT) | instid1(VALU_DEP_1)
	v_div_fmas_f32 v33, v33, v34, v36
	v_div_fixup_f32 v11, v33, v11, v13
	s_delay_alu instid0(VALU_DEP_1)
	v_mul_f32_e32 v11, v11, v10
.LBB69_303:                             ;   in Loop: Header=BB69_217 Depth=1
	s_and_not1_saveexec_b32 s31, s31
	s_cbranch_execz .LBB69_305
; %bb.304:                              ;   in Loop: Header=BB69_217 Depth=1
	v_mul_f32_e32 v10, v12, v12
	s_delay_alu instid0(VALU_DEP_1) | instskip(NEXT) | instid1(VALU_DEP_1)
	v_fmac_f32_e32 v10, v13, v13
	v_div_scale_f32 v11, null, v10, v10, v13
	s_delay_alu instid0(VALU_DEP_1) | instskip(SKIP_2) | instid1(VALU_DEP_1)
	v_rcp_f32_e32 v33, v11
	s_waitcnt_depctr 0xfff
	v_fma_f32 v34, -v11, v33, 1.0
	v_fmac_f32_e32 v33, v34, v33
	v_div_scale_f32 v34, vcc_lo, v13, v10, v13
	s_delay_alu instid0(VALU_DEP_1) | instskip(NEXT) | instid1(VALU_DEP_1)
	v_mul_f32_e32 v35, v34, v33
	v_fma_f32 v36, -v11, v35, v34
	s_delay_alu instid0(VALU_DEP_1) | instskip(NEXT) | instid1(VALU_DEP_1)
	v_fmac_f32_e32 v35, v36, v33
	v_fma_f32 v11, -v11, v35, v34
	s_delay_alu instid0(VALU_DEP_1) | instskip(NEXT) | instid1(VALU_DEP_1)
	v_div_fmas_f32 v11, v11, v33, v35
	v_div_fixup_f32 v11, v11, v10, v13
.LBB69_305:                             ;   in Loop: Header=BB69_217 Depth=1
	s_or_b32 exec_lo, exec_lo, s31
.LBB69_306:                             ;   in Loop: Header=BB69_217 Depth=1
	s_and_not1_saveexec_b32 s30, s30
	s_cbranch_execz .LBB69_308
; %bb.307:                              ;   in Loop: Header=BB69_217 Depth=1
	v_div_scale_f32 v10, null, v12, v12, v13
	v_div_scale_f32 v34, vcc_lo, v13, v12, v13
	s_delay_alu instid0(VALU_DEP_2) | instskip(SKIP_2) | instid1(VALU_DEP_1)
	v_rcp_f32_e32 v11, v10
	s_waitcnt_depctr 0xfff
	v_fma_f32 v33, -v10, v11, 1.0
	v_fmac_f32_e32 v11, v33, v11
	s_delay_alu instid0(VALU_DEP_1) | instskip(NEXT) | instid1(VALU_DEP_1)
	v_mul_f32_e32 v33, v34, v11
	v_fma_f32 v35, -v10, v33, v34
	s_delay_alu instid0(VALU_DEP_1) | instskip(NEXT) | instid1(VALU_DEP_1)
	v_fmac_f32_e32 v33, v35, v11
	v_fma_f32 v10, -v10, v33, v34
	s_delay_alu instid0(VALU_DEP_1) | instskip(NEXT) | instid1(VALU_DEP_1)
	v_div_fmas_f32 v10, v10, v11, v33
	v_div_fixup_f32 v10, v10, v12, v13
	s_delay_alu instid0(VALU_DEP_1) | instskip(NEXT) | instid1(VALU_DEP_1)
	v_div_scale_f32 v11, null, v12, v12, v10
	v_rcp_f32_e32 v13, v11
	s_waitcnt_depctr 0xfff
	v_fma_f32 v33, -v11, v13, 1.0
	s_delay_alu instid0(VALU_DEP_1) | instskip(SKIP_1) | instid1(VALU_DEP_1)
	v_fmac_f32_e32 v13, v33, v13
	v_div_scale_f32 v33, vcc_lo, v10, v12, v10
	v_mul_f32_e32 v34, v33, v13
	s_delay_alu instid0(VALU_DEP_1) | instskip(NEXT) | instid1(VALU_DEP_1)
	v_fma_f32 v35, -v11, v34, v33
	v_fmac_f32_e32 v34, v35, v13
	s_delay_alu instid0(VALU_DEP_1) | instskip(NEXT) | instid1(VALU_DEP_1)
	v_fma_f32 v11, -v11, v34, v33
	v_div_fmas_f32 v11, v11, v13, v34
	s_delay_alu instid0(VALU_DEP_1)
	v_div_fixup_f32 v11, v11, v12, v10
.LBB69_308:                             ;   in Loop: Header=BB69_217 Depth=1
	s_or_b32 exec_lo, exec_lo, s30
.LBB69_309:                             ;   in Loop: Header=BB69_217 Depth=1
	s_and_not1_saveexec_b32 s5, s5
; %bb.310:                              ;   in Loop: Header=BB69_217 Depth=1
	v_div_scale_f32 v10, null, v13, v13, 1.0
	s_delay_alu instid0(VALU_DEP_1) | instskip(SKIP_2) | instid1(VALU_DEP_1)
	v_rcp_f32_e32 v11, v10
	s_waitcnt_depctr 0xfff
	v_fma_f32 v33, -v10, v11, 1.0
	v_fmac_f32_e32 v11, v33, v11
	v_div_scale_f32 v33, vcc_lo, 1.0, v13, 1.0
	s_delay_alu instid0(VALU_DEP_1) | instskip(NEXT) | instid1(VALU_DEP_1)
	v_mul_f32_e32 v34, v33, v11
	v_fma_f32 v35, -v10, v34, v33
	s_delay_alu instid0(VALU_DEP_1) | instskip(NEXT) | instid1(VALU_DEP_1)
	v_fmac_f32_e32 v34, v35, v11
	v_fma_f32 v10, -v10, v34, v33
	s_delay_alu instid0(VALU_DEP_1) | instskip(NEXT) | instid1(VALU_DEP_1)
	v_div_fmas_f32 v10, v10, v11, v34
	v_div_fixup_f32 v11, v10, v13, 1.0
; %bb.311:                              ;   in Loop: Header=BB69_217 Depth=1
	s_or_b32 exec_lo, exec_lo, s5
	v_dual_mov_b32 v34, s13 :: v_dual_mov_b32 v33, s12
	flat_load_b32 v10, v[33:34] glc dlc
	s_waitcnt vmcnt(0) lgkmcnt(0)
	v_add_f32_e32 v10, 0x3fc90fdb, v10
	s_delay_alu instid0(VALU_DEP_1)
	v_bfi_b32 v10, 0x7fffffff, v10, v12
.LBB69_312:                             ;   in Loop: Header=BB69_217 Depth=1
	s_or_b32 exec_lo, exec_lo, s4
                                        ; implicit-def: $vgpr13
.LBB69_313:                             ;   in Loop: Header=BB69_217 Depth=1
	s_and_not1_saveexec_b32 s4, s29
	s_cbranch_execz .LBB69_323
; %bb.314:                              ;   in Loop: Header=BB69_217 Depth=1
	v_cmp_neq_f32_e64 s5, 0x7f800000, |v13|
                                        ; implicit-def: $vgpr10
	s_delay_alu instid0(VALU_DEP_1) | instskip(NEXT) | instid1(SALU_CYCLE_1)
	s_and_saveexec_b32 s29, s5
	s_xor_b32 s5, exec_lo, s29
	s_cbranch_execz .LBB69_320
; %bb.315:                              ;   in Loop: Header=BB69_217 Depth=1
	v_cmp_neq_f32_e64 s29, 0x7f800000, |v12|
                                        ; implicit-def: $vgpr10
	s_delay_alu instid0(VALU_DEP_1) | instskip(NEXT) | instid1(SALU_CYCLE_1)
	s_and_saveexec_b32 s30, s29
	s_xor_b32 s29, exec_lo, s30
; %bb.316:                              ;   in Loop: Header=BB69_217 Depth=1
	v_add_f32_e32 v10, 0, v12
	s_delay_alu instid0(VALU_DEP_1)
	v_add_f32_e32 v10, v13, v10
                                        ; implicit-def: $vgpr13
; %bb.317:                              ;   in Loop: Header=BB69_217 Depth=1
	s_or_saveexec_b32 s29, s29
	s_delay_alu instid0(VALU_DEP_1)
	v_mov_b32_e32 v11, v10
	s_xor_b32 exec_lo, exec_lo, s29
	s_cbranch_execz .LBB69_319
; %bb.318:                              ;   in Loop: Header=BB69_217 Depth=1
	v_dual_mov_b32 v10, s12 :: v_dual_mov_b32 v11, s13
	flat_load_b32 v10, v[10:11] glc dlc
	s_waitcnt vmcnt(0)
	v_bfi_b32 v11, 0x7fffffff, 0, v13
	s_waitcnt lgkmcnt(0)
	v_add_f32_e32 v10, 0x3fc90fdb, v10
	s_delay_alu instid0(VALU_DEP_1)
	v_bfi_b32 v10, 0x7fffffff, v10, v12
.LBB69_319:                             ;   in Loop: Header=BB69_217 Depth=1
	s_or_b32 exec_lo, exec_lo, s29
                                        ; implicit-def: $vgpr13
.LBB69_320:                             ;   in Loop: Header=BB69_217 Depth=1
	s_and_not1_saveexec_b32 s5, s5
; %bb.321:                              ;   in Loop: Header=BB69_217 Depth=1
	v_bfi_b32 v11, 0x7fffffff, 0, v13
	v_add_f32_e32 v10, v12, v12
; %bb.322:                              ;   in Loop: Header=BB69_217 Depth=1
	s_or_b32 exec_lo, exec_lo, s5
.LBB69_323:                             ;   in Loop: Header=BB69_217 Depth=1
	s_delay_alu instid0(SALU_CYCLE_1)
	s_or_b32 exec_lo, exec_lo, s4
                                        ; implicit-def: $vgpr12
.LBB69_324:                             ;   in Loop: Header=BB69_217 Depth=1
	s_and_not1_saveexec_b32 s4, s28
	s_cbranch_execz .LBB69_326
; %bb.325:                              ;   in Loop: Header=BB69_217 Depth=1
	v_rcp_f32_e64 v10, |v12|
	v_cmp_gt_f32_e64 vcc_lo, |v12|, 1.0
	s_waitcnt_depctr 0xfff
	v_cndmask_b32_e64 v10, |v12|, v10, vcc_lo
	s_delay_alu instid0(VALU_DEP_1) | instskip(NEXT) | instid1(VALU_DEP_1)
	v_mul_f32_e32 v11, v10, v10
	v_fmaak_f32 v33, s27, v11, 0xbc7a590c
	s_delay_alu instid0(VALU_DEP_1) | instskip(NEXT) | instid1(VALU_DEP_1)
	v_fmaak_f32 v33, v11, v33, 0x3d29fb3f
	v_fmaak_f32 v33, v11, v33, 0xbd97d4d7
	s_delay_alu instid0(VALU_DEP_1) | instskip(NEXT) | instid1(VALU_DEP_1)
	v_fmaak_f32 v33, v11, v33, 0x3dd931b2
	;; [unrolled: 3-line block ×3, first 2 shown]
	v_fmaak_f32 v33, v11, v33, 0xbeaaaa62
	s_delay_alu instid0(VALU_DEP_1) | instskip(NEXT) | instid1(VALU_DEP_1)
	v_mul_f32_e32 v11, v11, v33
	v_fmac_f32_e32 v10, v10, v11
	s_delay_alu instid0(VALU_DEP_1) | instskip(NEXT) | instid1(VALU_DEP_1)
	v_sub_f32_e32 v11, 0x3fc90fdb, v10
	v_dual_cndmask_b32 v10, v10, v11 :: v_dual_mov_b32 v11, v13
	s_delay_alu instid0(VALU_DEP_1)
	v_bfi_b32 v10, 0x7fffffff, v10, v12
.LBB69_326:                             ;   in Loop: Header=BB69_217 Depth=1
	s_or_b32 exec_lo, exec_lo, s4
                                        ; implicit-def: $vgpr13
.LBB69_327:                             ;   in Loop: Header=BB69_217 Depth=1
	s_and_not1_saveexec_b32 s4, s11
	s_cbranch_execz .LBB69_329
; %bb.328:                              ;   in Loop: Header=BB69_217 Depth=1
	v_sub_f32_e64 v10, 1.0, |v13|
	v_add_f32_e64 v33, |v13|, 1.0
	v_cmp_gt_f32_e64 s5, 0x39800000, |v13|
	s_delay_alu instid0(VALU_DEP_3) | instskip(SKIP_1) | instid1(VALU_DEP_1)
	v_rcp_f32_e32 v11, v10
	v_sub_f32_e32 v35, 1.0, v10
	v_sub_f32_e64 v35, v35, |v13|
	s_waitcnt_depctr 0xfff
	v_mul_f32_e32 v34, v33, v11
	s_delay_alu instid0(VALU_DEP_1) | instskip(NEXT) | instid1(VALU_DEP_1)
	v_mul_f32_e32 v36, v10, v34
	v_fma_f32 v10, v34, v10, -v36
	s_delay_alu instid0(VALU_DEP_1) | instskip(NEXT) | instid1(VALU_DEP_1)
	v_fmac_f32_e32 v10, v34, v35
	v_add_f32_e32 v35, v36, v10
	s_delay_alu instid0(VALU_DEP_1) | instskip(NEXT) | instid1(VALU_DEP_1)
	v_sub_f32_e32 v37, v33, v35
	v_sub_f32_e32 v38, v33, v37
	v_dual_sub_f32 v36, v35, v36 :: v_dual_add_f32 v33, -1.0, v33
	s_delay_alu instid0(VALU_DEP_1) | instskip(NEXT) | instid1(VALU_DEP_2)
	v_dual_sub_f32 v35, v38, v35 :: v_dual_sub_f32 v10, v36, v10
	v_sub_f32_e64 v33, |v13|, v33
	s_delay_alu instid0(VALU_DEP_2) | instskip(NEXT) | instid1(VALU_DEP_1)
	v_add_f32_e32 v10, v10, v35
	v_add_f32_e32 v10, v33, v10
	s_delay_alu instid0(VALU_DEP_1) | instskip(NEXT) | instid1(VALU_DEP_1)
	v_add_f32_e32 v10, v37, v10
	v_mul_f32_e32 v33, v11, v10
	s_delay_alu instid0(VALU_DEP_1) | instskip(NEXT) | instid1(VALU_DEP_1)
	v_add_f32_e32 v35, v34, v33
	v_cvt_f64_f32_e32 v[10:11], v35
	v_sub_f32_e32 v34, v35, v34
	s_delay_alu instid0(VALU_DEP_2) | instskip(SKIP_1) | instid1(VALU_DEP_1)
	v_frexp_exp_i32_f64_e32 v10, v[10:11]
	v_frexp_mant_f32_e32 v11, v35
	v_cmp_gt_f32_e32 vcc_lo, 0x3f2aaaab, v11
	s_delay_alu instid0(VALU_DEP_3) | instskip(SKIP_1) | instid1(VALU_DEP_2)
	v_subrev_co_ci_u32_e32 v10, vcc_lo, 0, v10, vcc_lo
	v_cmp_ngt_f32_e64 vcc_lo, |v13|, 1.0
	v_sub_nc_u32_e32 v11, 0, v10
	v_cvt_f32_i32_e32 v10, v10
	s_delay_alu instid0(VALU_DEP_2) | instskip(SKIP_1) | instid1(VALU_DEP_2)
	v_ldexp_f32 v36, v35, v11
	v_sub_f32_e32 v33, v33, v34
	v_add_f32_e32 v35, 1.0, v36
	s_delay_alu instid0(VALU_DEP_2) | instskip(NEXT) | instid1(VALU_DEP_2)
	v_ldexp_f32 v11, v33, v11
	v_dual_add_f32 v33, -1.0, v36 :: v_dual_add_f32 v34, -1.0, v35
	s_delay_alu instid0(VALU_DEP_1) | instskip(NEXT) | instid1(VALU_DEP_1)
	v_dual_add_f32 v37, 1.0, v33 :: v_dual_sub_f32 v34, v36, v34
	v_sub_f32_e32 v36, v36, v37
	s_delay_alu instid0(VALU_DEP_2) | instskip(NEXT) | instid1(VALU_DEP_2)
	v_add_f32_e32 v34, v11, v34
	v_add_f32_e32 v11, v11, v36
	s_delay_alu instid0(VALU_DEP_1) | instskip(NEXT) | instid1(VALU_DEP_1)
	v_dual_add_f32 v37, v35, v34 :: v_dual_add_f32 v38, v33, v11
	v_rcp_f32_e32 v36, v37
	v_sub_f32_e32 v35, v37, v35
	s_delay_alu instid0(VALU_DEP_2) | instskip(NEXT) | instid1(VALU_DEP_1)
	v_sub_f32_e32 v33, v38, v33
	v_dual_sub_f32 v34, v34, v35 :: v_dual_sub_f32 v11, v11, v33
	s_waitcnt_depctr 0xfff
	v_mul_f32_e32 v39, v38, v36
	s_delay_alu instid0(VALU_DEP_1) | instskip(NEXT) | instid1(VALU_DEP_1)
	v_mul_f32_e32 v40, v37, v39
	v_fma_f32 v35, v39, v37, -v40
	s_delay_alu instid0(VALU_DEP_1) | instskip(NEXT) | instid1(VALU_DEP_1)
	v_fmac_f32_e32 v35, v39, v34
	v_add_f32_e32 v41, v40, v35
	s_delay_alu instid0(VALU_DEP_1) | instskip(NEXT) | instid1(VALU_DEP_1)
	v_sub_f32_e32 v42, v38, v41
	v_dual_sub_f32 v38, v38, v42 :: v_dual_sub_f32 v33, v41, v40
	s_delay_alu instid0(VALU_DEP_1) | instskip(NEXT) | instid1(VALU_DEP_1)
	v_dual_sub_f32 v38, v38, v41 :: v_dual_sub_f32 v33, v33, v35
	v_add_f32_e32 v11, v11, v38
	s_delay_alu instid0(VALU_DEP_1) | instskip(NEXT) | instid1(VALU_DEP_1)
	v_add_f32_e32 v11, v33, v11
	v_add_f32_e32 v33, v42, v11
	s_delay_alu instid0(VALU_DEP_1) | instskip(NEXT) | instid1(VALU_DEP_1)
	v_mul_f32_e32 v35, v36, v33
	v_dual_sub_f32 v41, v42, v33 :: v_dual_mul_f32 v38, v37, v35
	s_delay_alu instid0(VALU_DEP_1) | instskip(NEXT) | instid1(VALU_DEP_1)
	v_fma_f32 v37, v35, v37, -v38
	v_fmac_f32_e32 v37, v35, v34
	s_delay_alu instid0(VALU_DEP_1) | instskip(NEXT) | instid1(VALU_DEP_1)
	v_add_f32_e32 v34, v38, v37
	v_sub_f32_e32 v40, v33, v34
	v_dual_sub_f32 v38, v34, v38 :: v_dual_add_f32 v11, v11, v41
	s_delay_alu instid0(VALU_DEP_2) | instskip(NEXT) | instid1(VALU_DEP_1)
	v_sub_f32_e32 v33, v33, v40
	v_dual_sub_f32 v33, v33, v34 :: v_dual_sub_f32 v34, v38, v37
	s_delay_alu instid0(VALU_DEP_1) | instskip(SKIP_1) | instid1(VALU_DEP_2)
	v_add_f32_e32 v11, v11, v33
	v_add_f32_e32 v33, v39, v35
	;; [unrolled: 1-line block ×3, first 2 shown]
	s_delay_alu instid0(VALU_DEP_2) | instskip(NEXT) | instid1(VALU_DEP_1)
	v_sub_f32_e32 v34, v33, v39
	v_dual_add_f32 v11, v40, v11 :: v_dual_sub_f32 v34, v35, v34
	s_delay_alu instid0(VALU_DEP_1) | instskip(NEXT) | instid1(VALU_DEP_1)
	v_mul_f32_e32 v11, v36, v11
	v_add_f32_e32 v11, v34, v11
	s_delay_alu instid0(VALU_DEP_1) | instskip(NEXT) | instid1(VALU_DEP_1)
	v_add_f32_e32 v34, v33, v11
	v_sub_f32_e32 v33, v34, v33
	s_delay_alu instid0(VALU_DEP_1) | instskip(NEXT) | instid1(VALU_DEP_1)
	v_sub_f32_e32 v11, v11, v33
	v_ldexp_f32 v11, v11, 1
	v_mul_f32_e32 v35, v34, v34
	s_delay_alu instid0(VALU_DEP_1) | instskip(SKIP_1) | instid1(VALU_DEP_2)
	v_fmaak_f32 v36, s26, v35, 0x3ecc95a3
	v_mul_f32_e32 v37, v34, v35
	v_fmaak_f32 v35, v35, v36, 0x3f2aaada
	v_ldexp_f32 v36, v34, 1
	s_delay_alu instid0(VALU_DEP_2) | instskip(NEXT) | instid1(VALU_DEP_1)
	v_mul_f32_e32 v35, v37, v35
	v_dual_mul_f32 v37, 0x3f317218, v10 :: v_dual_add_f32 v34, v36, v35
	s_delay_alu instid0(VALU_DEP_1) | instskip(NEXT) | instid1(VALU_DEP_2)
	v_sub_f32_e32 v33, v34, v36
	v_fma_f32 v36, 0x3f317218, v10, -v37
	s_delay_alu instid0(VALU_DEP_1) | instskip(NEXT) | instid1(VALU_DEP_1)
	v_dual_sub_f32 v33, v35, v33 :: v_dual_fmac_f32 v36, 0xb102e308, v10
	v_dual_add_f32 v10, v11, v33 :: v_dual_add_f32 v11, v37, v36
	s_delay_alu instid0(VALU_DEP_1) | instskip(NEXT) | instid1(VALU_DEP_2)
	v_add_f32_e32 v33, v34, v10
	v_sub_f32_e32 v37, v11, v37
	s_delay_alu instid0(VALU_DEP_2) | instskip(NEXT) | instid1(VALU_DEP_2)
	v_dual_add_f32 v35, v11, v33 :: v_dual_sub_f32 v34, v33, v34
	v_sub_f32_e32 v36, v36, v37
	s_delay_alu instid0(VALU_DEP_2) | instskip(NEXT) | instid1(VALU_DEP_3)
	v_sub_f32_e32 v38, v35, v11
	v_sub_f32_e32 v10, v10, v34
	s_delay_alu instid0(VALU_DEP_2) | instskip(SKIP_1) | instid1(VALU_DEP_2)
	v_sub_f32_e32 v39, v35, v38
	v_sub_f32_e32 v33, v33, v38
	v_dual_add_f32 v34, v36, v10 :: v_dual_sub_f32 v11, v11, v39
	s_delay_alu instid0(VALU_DEP_1) | instskip(NEXT) | instid1(VALU_DEP_2)
	v_add_f32_e32 v11, v33, v11
	v_sub_f32_e32 v33, v34, v36
	s_delay_alu instid0(VALU_DEP_2) | instskip(NEXT) | instid1(VALU_DEP_2)
	v_add_f32_e32 v11, v34, v11
	v_sub_f32_e32 v34, v34, v33
	s_delay_alu instid0(VALU_DEP_2) | instskip(NEXT) | instid1(VALU_DEP_1)
	v_dual_sub_f32 v10, v10, v33 :: v_dual_add_f32 v37, v35, v11
	v_dual_sub_f32 v33, v36, v34 :: v_dual_sub_f32 v34, v37, v35
	s_delay_alu instid0(VALU_DEP_1) | instskip(NEXT) | instid1(VALU_DEP_1)
	v_dual_add_f32 v10, v10, v33 :: v_dual_sub_f32 v11, v11, v34
	v_add_f32_e32 v10, v10, v11
	s_delay_alu instid0(VALU_DEP_1) | instskip(NEXT) | instid1(VALU_DEP_1)
	v_add_f32_e32 v10, v37, v10
	v_mul_f32_e32 v10, 0.5, v10
	s_delay_alu instid0(VALU_DEP_1) | instskip(NEXT) | instid1(VALU_DEP_1)
	v_cndmask_b32_e64 v10, v10, |v13|, s5
	v_cndmask_b32_e32 v10, 0x7fc00000, v10, vcc_lo
	v_cmp_neq_f32_e64 vcc_lo, |v13|, 1.0
	s_delay_alu instid0(VALU_DEP_2) | instskip(NEXT) | instid1(VALU_DEP_1)
	v_cndmask_b32_e32 v10, 0x7f800000, v10, vcc_lo
	v_bfi_b32 v11, 0x7fffffff, v10, v13
	v_mov_b32_e32 v10, v12
.LBB69_329:                             ;   in Loop: Header=BB69_217 Depth=1
	s_or_b32 exec_lo, exec_lo, s4
	v_cmp_neq_f32_e32 vcc_lo, 0, v8
	v_cmp_nle_f32_e64 s4, |v9|, 1.0
	v_dual_mov_b32 v12, s12 :: v_dual_mov_b32 v13, s13
	s_delay_alu instid0(VALU_DEP_2) | instskip(SKIP_3) | instid1(SALU_CYCLE_1)
	s_or_b32 s4, vcc_lo, s4
	flat_store_b32 v[12:13], v30 dlc
	s_waitcnt_vscnt null, 0x0
                                        ; implicit-def: $vgpr12
	s_and_saveexec_b32 s5, s4
	s_xor_b32 s11, exec_lo, s5
	s_cbranch_execz .LBB69_379
; %bb.330:                              ;   in Loop: Header=BB69_217 Depth=1
                                        ; implicit-def: $vgpr12
	s_mov_b32 s4, exec_lo
	v_cmpx_neq_f32_e32 0, v9
	s_xor_b32 s28, exec_lo, s4
	s_cbranch_execz .LBB69_376
; %bb.331:                              ;   in Loop: Header=BB69_217 Depth=1
	v_cmp_o_f32_e32 vcc_lo, v9, v9
	v_cmp_o_f32_e64 s4, v8, v8
                                        ; implicit-def: $vgpr12
	s_delay_alu instid0(VALU_DEP_1) | instskip(NEXT) | instid1(SALU_CYCLE_1)
	s_and_b32 s4, vcc_lo, s4
	s_and_saveexec_b32 s5, s4
	s_delay_alu instid0(SALU_CYCLE_1)
	s_xor_b32 s29, exec_lo, s5
	s_cbranch_execz .LBB69_365
; %bb.332:                              ;   in Loop: Header=BB69_217 Depth=1
	v_max_f32_e64 v13, |v8|, |v8|
	v_max_f32_e64 v12, |v9|, |v9|
	s_delay_alu instid0(VALU_DEP_1) | instskip(NEXT) | instid1(VALU_DEP_1)
	v_max_f32_e32 v12, v12, v13
	v_cmp_nlt_f32_e32 vcc_lo, 0x4b000000, v12
                                        ; implicit-def: $vgpr12
	s_and_saveexec_b32 s4, vcc_lo
	s_delay_alu instid0(SALU_CYCLE_1)
	s_xor_b32 s30, exec_lo, s4
	s_cbranch_execz .LBB69_350
; %bb.333:                              ;   in Loop: Header=BB69_217 Depth=1
	v_cmp_ngt_f32_e64 s4, 0x399cc471, |v9|
	v_cmp_ngt_f32_e64 s5, 0x399cc471, |v8|
                                        ; implicit-def: $vgpr12
	s_delay_alu instid0(VALU_DEP_1) | instskip(NEXT) | instid1(SALU_CYCLE_1)
	s_or_b32 s4, s4, s5
	s_and_saveexec_b32 s5, s4
	s_delay_alu instid0(SALU_CYCLE_1)
	s_xor_b32 s31, exec_lo, s5
	s_cbranch_execz .LBB69_347
; %bb.334:                              ;   in Loop: Header=BB69_217 Depth=1
	v_cmp_neq_f32_e64 s5, |v9|, 1.0
	v_cmp_ngt_f32_e64 s4, 0x34000000, |v8|
                                        ; implicit-def: $vgpr12
	s_delay_alu instid0(VALU_DEP_1) | instskip(NEXT) | instid1(SALU_CYCLE_1)
	s_or_b32 s33, s5, s4
	s_and_saveexec_b32 s34, s33
	s_delay_alu instid0(SALU_CYCLE_1)
	s_xor_b32 s33, exec_lo, s34
	s_cbranch_execz .LBB69_336
; %bb.335:                              ;   in Loop: Header=BB69_217 Depth=1
	v_add_f32_e64 v12, |v9|, -1.0
	v_cmp_gt_f32_e64 vcc_lo, 0x20000000, |v8|
	v_mul_f32_e64 v34, |v9|, 4.0
	s_delay_alu instid0(VALU_DEP_3) | instskip(NEXT) | instid1(VALU_DEP_1)
	v_mul_f32_e32 v12, v12, v12
	v_fma_f32 v33, v8, v8, v12
	s_delay_alu instid0(VALU_DEP_1) | instskip(NEXT) | instid1(VALU_DEP_1)
	v_cndmask_b32_e32 v12, v33, v12, vcc_lo
	v_div_scale_f32 v33, null, v12, v12, v34
	s_delay_alu instid0(VALU_DEP_1) | instskip(SKIP_2) | instid1(VALU_DEP_1)
	v_rcp_f32_e32 v35, v33
	s_waitcnt_depctr 0xfff
	v_fma_f32 v36, -v33, v35, 1.0
	v_fmac_f32_e32 v35, v36, v35
	v_div_scale_f32 v37, vcc_lo, v34, v12, v34
	s_delay_alu instid0(VALU_DEP_1) | instskip(NEXT) | instid1(VALU_DEP_1)
	v_mul_f32_e32 v36, v37, v35
	v_fma_f32 v38, -v33, v36, v37
	s_delay_alu instid0(VALU_DEP_1) | instskip(NEXT) | instid1(VALU_DEP_1)
	v_fmac_f32_e32 v36, v38, v35
	v_fma_f32 v33, -v33, v36, v37
	s_delay_alu instid0(VALU_DEP_1) | instskip(NEXT) | instid1(VALU_DEP_1)
	v_div_fmas_f32 v33, v33, v35, v36
	v_div_fixup_f32 v12, v33, v12, v34
	s_delay_alu instid0(VALU_DEP_1) | instskip(NEXT) | instid1(VALU_DEP_1)
	v_add_f32_e32 v35, 1.0, v12
	v_cvt_f64_f32_e32 v[33:34], v35
	s_delay_alu instid0(VALU_DEP_1) | instskip(SKIP_1) | instid1(VALU_DEP_1)
	v_frexp_exp_i32_f64_e32 v33, v[33:34]
	v_frexp_mant_f32_e32 v34, v35
	v_cmp_gt_f32_e32 vcc_lo, 0x3f2aaaab, v34
	v_add_f32_e32 v34, -1.0, v35
	s_delay_alu instid0(VALU_DEP_1) | instskip(NEXT) | instid1(VALU_DEP_1)
	v_sub_f32_e32 v37, v34, v35
	v_add_f32_e32 v37, 1.0, v37
	v_subrev_co_ci_u32_e32 v33, vcc_lo, 0, v33, vcc_lo
	v_cmp_eq_f32_e32 vcc_lo, 0x7f800000, v12
	s_delay_alu instid0(VALU_DEP_2) | instskip(SKIP_1) | instid1(VALU_DEP_2)
	v_sub_nc_u32_e32 v36, 0, v33
	v_cvt_f32_i32_e32 v33, v33
	v_ldexp_f32 v35, v35, v36
	v_sub_f32_e32 v34, v12, v34
	s_delay_alu instid0(VALU_DEP_1) | instskip(NEXT) | instid1(VALU_DEP_1)
	v_add_f32_e32 v34, v34, v37
	v_ldexp_f32 v34, v34, v36
	s_delay_alu instid0(VALU_DEP_4) | instskip(NEXT) | instid1(VALU_DEP_1)
	v_add_f32_e32 v36, -1.0, v35
	v_dual_add_f32 v38, 1.0, v35 :: v_dual_add_f32 v39, 1.0, v36
	s_delay_alu instid0(VALU_DEP_1) | instskip(NEXT) | instid1(VALU_DEP_1)
	v_add_f32_e32 v37, -1.0, v38
	v_sub_f32_e32 v37, v35, v37
	s_delay_alu instid0(VALU_DEP_3) | instskip(NEXT) | instid1(VALU_DEP_2)
	v_sub_f32_e32 v35, v35, v39
	v_add_f32_e32 v37, v34, v37
	s_delay_alu instid0(VALU_DEP_2) | instskip(NEXT) | instid1(VALU_DEP_1)
	v_add_f32_e32 v34, v34, v35
	v_dual_add_f32 v39, v38, v37 :: v_dual_add_f32 v40, v36, v34
	s_delay_alu instid0(VALU_DEP_1) | instskip(SKIP_1) | instid1(VALU_DEP_1)
	v_rcp_f32_e32 v35, v39
	v_sub_f32_e32 v38, v39, v38
	v_dual_sub_f32 v36, v40, v36 :: v_dual_sub_f32 v37, v37, v38
	s_waitcnt_depctr 0xfff
	v_dual_sub_f32 v34, v34, v36 :: v_dual_mul_f32 v41, v40, v35
	s_delay_alu instid0(VALU_DEP_1) | instskip(NEXT) | instid1(VALU_DEP_1)
	v_mul_f32_e32 v42, v39, v41
	v_fma_f32 v38, v41, v39, -v42
	s_delay_alu instid0(VALU_DEP_1) | instskip(NEXT) | instid1(VALU_DEP_1)
	v_fmac_f32_e32 v38, v41, v37
	v_add_f32_e32 v43, v42, v38
	s_delay_alu instid0(VALU_DEP_1) | instskip(SKIP_1) | instid1(VALU_DEP_2)
	v_sub_f32_e32 v44, v40, v43
	v_sub_f32_e32 v36, v43, v42
	v_sub_f32_e32 v40, v40, v44
	s_delay_alu instid0(VALU_DEP_2) | instskip(NEXT) | instid1(VALU_DEP_2)
	v_sub_f32_e32 v36, v36, v38
	v_sub_f32_e32 v40, v40, v43
	s_delay_alu instid0(VALU_DEP_1) | instskip(NEXT) | instid1(VALU_DEP_1)
	v_add_f32_e32 v34, v34, v40
	v_add_f32_e32 v34, v36, v34
	s_delay_alu instid0(VALU_DEP_1) | instskip(NEXT) | instid1(VALU_DEP_1)
	v_add_f32_e32 v36, v44, v34
	v_mul_f32_e32 v38, v35, v36
	s_delay_alu instid0(VALU_DEP_1) | instskip(NEXT) | instid1(VALU_DEP_1)
	v_mul_f32_e32 v40, v39, v38
	v_fma_f32 v39, v38, v39, -v40
	s_delay_alu instid0(VALU_DEP_1) | instskip(SKIP_1) | instid1(VALU_DEP_2)
	v_fmac_f32_e32 v39, v38, v37
	v_sub_f32_e32 v43, v44, v36
	v_add_f32_e32 v37, v40, v39
	s_delay_alu instid0(VALU_DEP_2) | instskip(NEXT) | instid1(VALU_DEP_2)
	v_add_f32_e32 v34, v34, v43
	v_sub_f32_e32 v42, v36, v37
	v_sub_f32_e32 v40, v37, v40
	s_delay_alu instid0(VALU_DEP_2) | instskip(NEXT) | instid1(VALU_DEP_1)
	v_sub_f32_e32 v36, v36, v42
	v_sub_f32_e32 v36, v36, v37
	s_delay_alu instid0(VALU_DEP_1) | instskip(SKIP_1) | instid1(VALU_DEP_1)
	v_dual_sub_f32 v37, v40, v39 :: v_dual_add_f32 v34, v34, v36
	v_add_f32_e32 v36, v41, v38
	v_dual_add_f32 v34, v37, v34 :: v_dual_sub_f32 v37, v36, v41
	s_delay_alu instid0(VALU_DEP_1) | instskip(NEXT) | instid1(VALU_DEP_1)
	v_add_f32_e32 v34, v42, v34
	v_dual_sub_f32 v37, v38, v37 :: v_dual_mul_f32 v34, v35, v34
	s_delay_alu instid0(VALU_DEP_1) | instskip(NEXT) | instid1(VALU_DEP_1)
	v_add_f32_e32 v34, v37, v34
	v_add_f32_e32 v35, v36, v34
	s_delay_alu instid0(VALU_DEP_1) | instskip(NEXT) | instid1(VALU_DEP_1)
	v_mul_f32_e32 v37, v35, v35
	v_fmaak_f32 v38, s26, v37, 0x3ecc95a3
	v_mul_f32_e32 v39, v35, v37
	s_delay_alu instid0(VALU_DEP_2) | instskip(SKIP_2) | instid1(VALU_DEP_3)
	v_fmaak_f32 v37, v37, v38, 0x3f2aaada
	v_ldexp_f32 v38, v35, 1
	v_sub_f32_e32 v35, v35, v36
	v_mul_f32_e32 v37, v39, v37
	s_delay_alu instid0(VALU_DEP_2) | instskip(NEXT) | instid1(VALU_DEP_2)
	v_dual_mul_f32 v39, 0x3f317218, v33 :: v_dual_sub_f32 v34, v34, v35
	v_add_f32_e32 v36, v38, v37
	s_delay_alu instid0(VALU_DEP_2) | instskip(NEXT) | instid1(VALU_DEP_2)
	v_ldexp_f32 v34, v34, 1
	v_sub_f32_e32 v35, v36, v38
	s_delay_alu instid0(VALU_DEP_4) | instskip(NEXT) | instid1(VALU_DEP_1)
	v_fma_f32 v38, 0x3f317218, v33, -v39
	v_dual_sub_f32 v35, v37, v35 :: v_dual_fmac_f32 v38, 0xb102e308, v33
	s_delay_alu instid0(VALU_DEP_1) | instskip(NEXT) | instid1(VALU_DEP_1)
	v_dual_add_f32 v33, v34, v35 :: v_dual_add_f32 v34, v39, v38
	v_add_f32_e32 v35, v36, v33
	s_delay_alu instid0(VALU_DEP_2) | instskip(NEXT) | instid1(VALU_DEP_2)
	v_sub_f32_e32 v39, v34, v39
	v_dual_add_f32 v37, v34, v35 :: v_dual_sub_f32 v36, v35, v36
	s_delay_alu instid0(VALU_DEP_2) | instskip(NEXT) | instid1(VALU_DEP_2)
	v_sub_f32_e32 v38, v38, v39
	v_sub_f32_e32 v40, v37, v34
	s_delay_alu instid0(VALU_DEP_3) | instskip(NEXT) | instid1(VALU_DEP_2)
	v_sub_f32_e32 v33, v33, v36
	v_sub_f32_e32 v41, v37, v40
	s_delay_alu instid0(VALU_DEP_2) | instskip(NEXT) | instid1(VALU_DEP_2)
	v_dual_sub_f32 v35, v35, v40 :: v_dual_add_f32 v36, v38, v33
	v_sub_f32_e32 v34, v34, v41
	s_delay_alu instid0(VALU_DEP_1) | instskip(NEXT) | instid1(VALU_DEP_3)
	v_add_f32_e32 v34, v35, v34
	v_sub_f32_e32 v35, v36, v38
	s_delay_alu instid0(VALU_DEP_2) | instskip(NEXT) | instid1(VALU_DEP_2)
	v_add_f32_e32 v34, v36, v34
	v_sub_f32_e32 v36, v36, v35
	v_sub_f32_e32 v33, v33, v35
	s_delay_alu instid0(VALU_DEP_2) | instskip(NEXT) | instid1(VALU_DEP_1)
	v_dual_add_f32 v39, v37, v34 :: v_dual_sub_f32 v36, v38, v36
	v_sub_f32_e32 v35, v39, v37
	s_delay_alu instid0(VALU_DEP_1) | instskip(NEXT) | instid1(VALU_DEP_1)
	v_dual_add_f32 v33, v33, v36 :: v_dual_sub_f32 v34, v34, v35
	v_add_f32_e32 v33, v33, v34
	s_delay_alu instid0(VALU_DEP_1) | instskip(NEXT) | instid1(VALU_DEP_1)
	v_add_f32_e32 v33, v39, v33
	v_cndmask_b32_e32 v33, v33, v12, vcc_lo
	v_cmp_ngt_f32_e32 vcc_lo, -1.0, v12
	s_delay_alu instid0(VALU_DEP_2) | instskip(SKIP_1) | instid1(VALU_DEP_2)
	v_cndmask_b32_e32 v33, 0x7fc00000, v33, vcc_lo
	v_cmp_neq_f32_e32 vcc_lo, -1.0, v12
	v_cndmask_b32_e32 v33, 0xff800000, v33, vcc_lo
	v_cmp_gt_f32_e64 vcc_lo, 0x33800000, |v12|
	s_delay_alu instid0(VALU_DEP_2) | instskip(NEXT) | instid1(VALU_DEP_1)
	v_cndmask_b32_e32 v12, v33, v12, vcc_lo
	v_mul_f32_e32 v12, 0x3e800000, v12
	s_and_not1_saveexec_b32 s33, s33
	s_cbranch_execz .LBB69_338
	s_branch .LBB69_337
.LBB69_336:                             ;   in Loop: Header=BB69_217 Depth=1
	s_and_not1_saveexec_b32 s33, s33
	s_cbranch_execz .LBB69_338
.LBB69_337:                             ;   in Loop: Header=BB69_217 Depth=1
	v_cmp_gt_f32_e64 s34, 0x800000, |v8|
	s_delay_alu instid0(VALU_DEP_1) | instskip(NEXT) | instid1(VALU_DEP_1)
	v_cndmask_b32_e64 v12, 1.0, 0x4f800000, s34
	v_mul_f32_e64 v12, |v8|, v12
	s_delay_alu instid0(VALU_DEP_1) | instskip(SKIP_3) | instid1(VALU_DEP_2)
	v_log_f32_e32 v12, v12
	s_waitcnt_depctr 0xfff
	v_mul_f32_e32 v33, 0x3f317217, v12
	v_cmp_gt_f32_e64 vcc_lo, 0x7f800000, |v12|
	v_fma_f32 v34, 0x3f317217, v12, -v33
	s_delay_alu instid0(VALU_DEP_1) | instskip(NEXT) | instid1(VALU_DEP_1)
	v_fmac_f32_e32 v34, 0x3377d1cf, v12
	v_add_f32_e32 v33, v33, v34
	s_delay_alu instid0(VALU_DEP_1) | instskip(SKIP_1) | instid1(VALU_DEP_1)
	v_cndmask_b32_e32 v12, v12, v33, vcc_lo
	v_cndmask_b32_e64 v33, 0, 0x41b17218, s34
	v_sub_f32_e32 v12, v12, v33
	s_delay_alu instid0(VALU_DEP_1) | instskip(NEXT) | instid1(VALU_DEP_1)
	v_sub_f32_e32 v12, 0x3f317218, v12
	v_mul_f32_e32 v12, 0.5, v12
.LBB69_338:                             ;   in Loop: Header=BB69_217 Depth=1
	s_or_b32 exec_lo, exec_lo, s33
                                        ; implicit-def: $vgpr34
	s_and_saveexec_b32 s33, s5
	s_delay_alu instid0(SALU_CYCLE_1)
	s_xor_b32 s33, exec_lo, s33
	s_cbranch_execz .LBB69_344
; %bb.339:                              ;   in Loop: Header=BB69_217 Depth=1
	v_sub_f32_e64 v33, 1.0, |v9|
	v_add_f32_e64 v34, |v9|, 1.0
	v_add_f32_e64 v13, |v8|, |v8|
	s_delay_alu instid0(VALU_DEP_2) | instskip(SKIP_1) | instid1(SALU_CYCLE_1)
	v_mul_f32_e32 v33, v33, v34
                                        ; implicit-def: $vgpr34
	s_and_saveexec_b32 s5, s4
	s_xor_b32 s5, exec_lo, s5
	s_cbranch_execz .LBB69_341
; %bb.340:                              ;   in Loop: Header=BB69_217 Depth=1
	s_delay_alu instid0(VALU_DEP_1) | instskip(SKIP_3) | instid1(VALU_DEP_4)
	v_fma_f32 v33, -v8, v8, v33
	v_max_f32_e64 v34, |v13|, |v13|
	v_cmp_eq_f32_e64 s4, 0, v13
	v_cmp_class_f32_e64 s34, v13, 0x204
	v_cmp_gt_f32_e64 vcc_lo, |v13|, |v33|
	s_delay_alu instid0(VALU_DEP_4) | instskip(SKIP_2) | instid1(VALU_DEP_3)
	v_max_f32_e64 v35, |v33|, v34
	v_min_f32_e64 v34, |v33|, v34
	v_cmp_class_f32_e64 s35, v33, 0x204
	v_frexp_mant_f32_e32 v36, v35
	v_frexp_exp_i32_f32_e32 v35, v35
	s_delay_alu instid0(VALU_DEP_4) | instskip(SKIP_1) | instid1(VALU_DEP_4)
	v_frexp_exp_i32_f32_e32 v37, v34
	v_frexp_mant_f32_e32 v34, v34
	v_rcp_f32_e32 v36, v36
	s_delay_alu instid0(VALU_DEP_2) | instskip(SKIP_2) | instid1(VALU_DEP_1)
	v_sub_nc_u32_e32 v35, v37, v35
	s_waitcnt_depctr 0xfff
	v_mul_f32_e32 v34, v34, v36
	v_ldexp_f32 v34, v34, v35
	s_delay_alu instid0(VALU_DEP_1) | instskip(NEXT) | instid1(VALU_DEP_1)
	v_mul_f32_e32 v35, v34, v34
	v_fmaak_f32 v36, s27, v35, 0xbc7a590c
	s_delay_alu instid0(VALU_DEP_1) | instskip(NEXT) | instid1(VALU_DEP_1)
	v_fmaak_f32 v36, v35, v36, 0x3d29fb3f
	v_fmaak_f32 v36, v35, v36, 0xbd97d4d7
	s_delay_alu instid0(VALU_DEP_1) | instskip(NEXT) | instid1(VALU_DEP_1)
	v_fmaak_f32 v36, v35, v36, 0x3dd931b2
	;; [unrolled: 3-line block ×3, first 2 shown]
	v_fmaak_f32 v36, v35, v36, 0xbeaaaa62
	s_delay_alu instid0(VALU_DEP_1) | instskip(NEXT) | instid1(VALU_DEP_1)
	v_mul_f32_e32 v35, v35, v36
	v_fmac_f32_e32 v34, v34, v35
	s_delay_alu instid0(VALU_DEP_1) | instskip(NEXT) | instid1(VALU_DEP_1)
	v_sub_f32_e32 v35, 0x3fc90fdb, v34
	v_cndmask_b32_e32 v34, v34, v35, vcc_lo
	v_cmp_gt_i32_e32 vcc_lo, 0, v33
	s_delay_alu instid0(VALU_DEP_2) | instskip(SKIP_2) | instid1(VALU_DEP_3)
	v_sub_f32_e32 v35, 0x40490fdb, v34
	v_cndmask_b32_e64 v36, 0, 0x40490fdb, vcc_lo
	v_cmp_gt_f32_e32 vcc_lo, 0, v33
	v_cndmask_b32_e32 v34, v34, v35, vcc_lo
	v_cndmask_b32_e32 v35, 0x3f490fdb, v32, vcc_lo
	s_and_b32 vcc_lo, s34, s35
	s_delay_alu instid0(VALU_DEP_2) | instskip(NEXT) | instid1(VALU_DEP_1)
	v_cndmask_b32_e64 v34, v34, v36, s4
	v_cndmask_b32_e32 v34, v34, v35, vcc_lo
	v_cmp_o_f32_e32 vcc_lo, v33, v13
	s_delay_alu instid0(VALU_DEP_2) | instskip(NEXT) | instid1(VALU_DEP_1)
	v_cndmask_b32_e32 v33, 0x7fc00000, v34, vcc_lo
	v_bfi_b32 v34, 0x7fffffff, v33, v13
                                        ; implicit-def: $vgpr13
                                        ; implicit-def: $vgpr33
.LBB69_341:                             ;   in Loop: Header=BB69_217 Depth=1
	s_and_not1_saveexec_b32 s34, s5
	s_cbranch_execz .LBB69_343
; %bb.342:                              ;   in Loop: Header=BB69_217 Depth=1
	v_max_f32_e32 v34, v13, v13
	v_max_f32_e64 v35, |v33|, |v33|
	v_cmp_gt_f32_e64 vcc_lo, v13, |v33|
	v_cmp_eq_f32_e64 s5, 0, v13
	v_cmp_class_f32_e64 s35, v33, 0x204
	v_cmp_eq_f32_e64 s4, 0x7f800000, v13
	v_max_f32_e32 v36, v35, v34
	v_min_f32_e32 v34, v35, v34
	s_delay_alu instid0(VALU_DEP_2) | instskip(SKIP_1) | instid1(VALU_DEP_2)
	v_frexp_mant_f32_e32 v37, v36
	v_frexp_exp_i32_f32_e32 v36, v36
	v_rcp_f32_e32 v35, v37
	s_delay_alu instid0(VALU_DEP_3) | instskip(SKIP_1) | instid1(VALU_DEP_2)
	v_frexp_exp_i32_f32_e32 v37, v34
	v_frexp_mant_f32_e32 v34, v34
	v_sub_nc_u32_e32 v36, v37, v36
	s_waitcnt_depctr 0xfff
	v_mul_f32_e32 v34, v34, v35
	s_delay_alu instid0(VALU_DEP_1) | instskip(NEXT) | instid1(VALU_DEP_1)
	v_ldexp_f32 v34, v34, v36
	v_mul_f32_e32 v35, v34, v34
	s_delay_alu instid0(VALU_DEP_1) | instskip(NEXT) | instid1(VALU_DEP_1)
	v_fmaak_f32 v36, s27, v35, 0xbc7a590c
	v_fmaak_f32 v36, v35, v36, 0x3d29fb3f
	s_delay_alu instid0(VALU_DEP_1) | instskip(NEXT) | instid1(VALU_DEP_1)
	v_fmaak_f32 v36, v35, v36, 0xbd97d4d7
	v_fmaak_f32 v36, v35, v36, 0x3dd931b2
	;; [unrolled: 3-line block ×3, first 2 shown]
	s_delay_alu instid0(VALU_DEP_1) | instskip(NEXT) | instid1(VALU_DEP_1)
	v_fmaak_f32 v36, v35, v36, 0xbeaaaa62
	v_mul_f32_e32 v35, v35, v36
	s_delay_alu instid0(VALU_DEP_1) | instskip(NEXT) | instid1(VALU_DEP_1)
	v_fmac_f32_e32 v34, v34, v35
	v_sub_f32_e32 v35, 0x3fc90fdb, v34
	s_delay_alu instid0(VALU_DEP_1) | instskip(SKIP_1) | instid1(VALU_DEP_2)
	v_cndmask_b32_e32 v34, v34, v35, vcc_lo
	v_cmp_gt_i32_e32 vcc_lo, 0, v33
	v_sub_f32_e32 v35, 0x40490fdb, v34
	v_cndmask_b32_e64 v36, 0, 0x40490fdb, vcc_lo
	v_cmp_gt_f32_e32 vcc_lo, 0, v33
	s_delay_alu instid0(VALU_DEP_3) | instskip(NEXT) | instid1(VALU_DEP_1)
	v_cndmask_b32_e32 v34, v34, v35, vcc_lo
	v_cndmask_b32_e64 v13, v34, v36, s5
	v_cndmask_b32_e32 v34, 0x3f490fdb, v32, vcc_lo
	s_and_b32 vcc_lo, s4, s35
	s_delay_alu instid0(VALU_DEP_1) | instskip(SKIP_1) | instid1(VALU_DEP_2)
	v_cndmask_b32_e32 v13, v13, v34, vcc_lo
	v_cmp_o_f32_e32 vcc_lo, v33, v33
	v_cndmask_b32_e64 v34, 0x7fc00000, |v13|, vcc_lo
.LBB69_343:                             ;   in Loop: Header=BB69_217 Depth=1
	s_or_b32 exec_lo, exec_lo, s34
                                        ; implicit-def: $vgpr13
	s_and_not1_saveexec_b32 s4, s33
	s_cbranch_execnz .LBB69_345
	s_branch .LBB69_346
.LBB69_344:                             ;   in Loop: Header=BB69_217 Depth=1
	s_and_not1_saveexec_b32 s4, s33
	s_cbranch_execz .LBB69_346
.LBB69_345:                             ;   in Loop: Header=BB69_217 Depth=1
	v_max_f32_e32 v33, 2.0, v13
	v_min_f32_e32 v13, 2.0, v13
	v_cmp_lt_f32_e64 vcc_lo, |v8|, 2.0
	s_delay_alu instid0(VALU_DEP_3) | instskip(NEXT) | instid1(VALU_DEP_3)
	v_frexp_mant_f32_e32 v34, v33
	v_frexp_mant_f32_e32 v35, v13
	v_frexp_exp_i32_f32_e32 v13, v13
	s_delay_alu instid0(VALU_DEP_3) | instskip(SKIP_3) | instid1(VALU_DEP_1)
	v_rcp_f32_e32 v34, v34
	s_waitcnt_depctr 0xfff
	v_mul_f32_e32 v34, v35, v34
	v_frexp_exp_i32_f32_e32 v33, v33
	v_sub_nc_u32_e32 v13, v13, v33
	s_delay_alu instid0(VALU_DEP_1) | instskip(NEXT) | instid1(VALU_DEP_1)
	v_ldexp_f32 v13, v34, v13
	v_mul_f32_e32 v33, v13, v13
	s_delay_alu instid0(VALU_DEP_1) | instskip(NEXT) | instid1(VALU_DEP_1)
	v_fmaak_f32 v34, s27, v33, 0xbc7a590c
	v_fmaak_f32 v34, v33, v34, 0x3d29fb3f
	s_delay_alu instid0(VALU_DEP_1) | instskip(NEXT) | instid1(VALU_DEP_1)
	v_fmaak_f32 v34, v33, v34, 0xbd97d4d7
	v_fmaak_f32 v34, v33, v34, 0x3dd931b2
	;; [unrolled: 3-line block ×3, first 2 shown]
	s_delay_alu instid0(VALU_DEP_1) | instskip(NEXT) | instid1(VALU_DEP_1)
	v_fmaak_f32 v34, v33, v34, 0xbeaaaa62
	v_mul_f32_e32 v33, v33, v34
	s_delay_alu instid0(VALU_DEP_1) | instskip(NEXT) | instid1(VALU_DEP_1)
	v_fmac_f32_e32 v13, v13, v33
	v_sub_f32_e32 v33, 0x3fc90fdb, v13
	s_delay_alu instid0(VALU_DEP_1) | instskip(SKIP_1) | instid1(VALU_DEP_2)
	v_cndmask_b32_e32 v13, v13, v33, vcc_lo
	v_cmp_lg_f32_e32 vcc_lo, 0, v8
	v_sub_f32_e32 v33, 0x40490fdb, v13
	s_delay_alu instid0(VALU_DEP_1) | instskip(NEXT) | instid1(VALU_DEP_1)
	v_cndmask_b32_e32 v13, v13, v33, vcc_lo
	v_and_b32_e32 v34, 0x7fffffff, v13
.LBB69_346:                             ;   in Loop: Header=BB69_217 Depth=1
	s_or_b32 exec_lo, exec_lo, s4
	s_delay_alu instid0(VALU_DEP_1) | instskip(SKIP_1) | instid1(VALU_DEP_2)
	v_mul_f32_e32 v33, 0.5, v34
	v_bfi_b32 v13, 0x7fffffff, v12, v9
	v_bfi_b32 v12, 0x7fffffff, v33, v8
                                        ; implicit-def: $vgpr8
.LBB69_347:                             ;   in Loop: Header=BB69_217 Depth=1
	s_and_not1_saveexec_b32 s4, s31
	s_cbranch_execz .LBB69_349
; %bb.348:                              ;   in Loop: Header=BB69_217 Depth=1
	v_dual_mov_b32 v12, s14 :: v_dual_mov_b32 v13, s15
	flat_store_b32 v[12:13], v31 dlc
	s_waitcnt_vscnt null, 0x0
	flat_load_b32 v12, v[12:13] glc dlc
	s_waitcnt vmcnt(0) lgkmcnt(0)
	v_dual_add_f32 v33, 1.0, v12 :: v_dual_mov_b32 v12, s16
	v_mov_b32_e32 v13, s17
	flat_store_b32 v[12:13], v33 dlc
	s_waitcnt_vscnt null, 0x0
	flat_load_b32 v12, v[12:13] glc dlc
	s_waitcnt vmcnt(0) lgkmcnt(0)
	v_dual_mov_b32 v12, v8 :: v_dual_mov_b32 v13, v9
.LBB69_349:                             ;   in Loop: Header=BB69_217 Depth=1
	s_or_b32 exec_lo, exec_lo, s4
                                        ; implicit-def: $vgpr8
.LBB69_350:                             ;   in Loop: Header=BB69_217 Depth=1
	s_and_not1_saveexec_b32 s4, s30
	s_cbranch_execz .LBB69_364
; %bb.351:                              ;   in Loop: Header=BB69_217 Depth=1
	v_and_b32_e32 v12, 0x7f800000, v9
	v_and_b32_e32 v33, 0x7f800000, v8
	v_cmp_neq_f32_e64 s5, 0x7f800000, |v9|
	s_delay_alu instid0(VALU_DEP_2) | instskip(NEXT) | instid1(VALU_DEP_1)
	v_sub_nc_u32_e32 v13, v12, v33
	v_cmp_gt_i32_e32 vcc_lo, 0x6800000, v13
                                        ; implicit-def: $vgpr13
	s_delay_alu instid0(VALU_DEP_3) | instskip(NEXT) | instid1(SALU_CYCLE_1)
	s_and_b32 s5, s5, vcc_lo
	s_and_saveexec_b32 s30, s5
	s_delay_alu instid0(SALU_CYCLE_1)
	s_xor_b32 s5, exec_lo, s30
	s_cbranch_execz .LBB69_361
; %bb.352:                              ;   in Loop: Header=BB69_217 Depth=1
	v_sub_nc_u32_e32 v13, v33, v12
	s_delay_alu instid0(VALU_DEP_1) | instskip(SKIP_1) | instid1(SALU_CYCLE_1)
	v_cmp_gt_i32_e32 vcc_lo, 0x6800000, v13
                                        ; implicit-def: $vgpr13
	s_and_saveexec_b32 s30, vcc_lo
	s_xor_b32 s30, exec_lo, s30
	s_cbranch_execz .LBB69_358
; %bb.353:                              ;   in Loop: Header=BB69_217 Depth=1
	s_mov_b32 s31, exec_lo
                                        ; implicit-def: $vgpr13
	v_cmpx_lt_u32_e32 0x59000000, v12
	s_xor_b32 s31, exec_lo, s31
	s_cbranch_execz .LBB69_355
; %bb.354:                              ;   in Loop: Header=BB69_217 Depth=1
	v_sub_nc_u32_e32 v12, 0x7f800000, v12
	s_delay_alu instid0(VALU_DEP_1) | instskip(SKIP_1) | instid1(VALU_DEP_2)
	v_mul_f32_e32 v13, v8, v12
	v_mul_f32_e32 v9, v9, v12
	;; [unrolled: 1-line block ×3, first 2 shown]
	s_delay_alu instid0(VALU_DEP_1) | instskip(NEXT) | instid1(VALU_DEP_1)
	v_fmac_f32_e32 v13, v9, v9
	v_div_scale_f32 v33, null, v13, v13, v9
	s_delay_alu instid0(VALU_DEP_1) | instskip(SKIP_2) | instid1(VALU_DEP_1)
	v_rcp_f32_e32 v34, v33
	s_waitcnt_depctr 0xfff
	v_fma_f32 v35, -v33, v34, 1.0
	v_fmac_f32_e32 v34, v35, v34
	v_div_scale_f32 v35, vcc_lo, v9, v13, v9
	s_delay_alu instid0(VALU_DEP_1) | instskip(NEXT) | instid1(VALU_DEP_1)
	v_mul_f32_e32 v36, v35, v34
	v_fma_f32 v37, -v33, v36, v35
	s_delay_alu instid0(VALU_DEP_1) | instskip(NEXT) | instid1(VALU_DEP_1)
	v_fmac_f32_e32 v36, v37, v34
	v_fma_f32 v33, -v33, v36, v35
	s_delay_alu instid0(VALU_DEP_1) | instskip(NEXT) | instid1(VALU_DEP_1)
	v_div_fmas_f32 v33, v33, v34, v36
	v_div_fixup_f32 v9, v33, v13, v9
	s_delay_alu instid0(VALU_DEP_1)
	v_mul_f32_e32 v13, v9, v12
.LBB69_355:                             ;   in Loop: Header=BB69_217 Depth=1
	s_and_not1_saveexec_b32 s31, s31
	s_cbranch_execz .LBB69_357
; %bb.356:                              ;   in Loop: Header=BB69_217 Depth=1
	v_mul_f32_e32 v12, v8, v8
	s_delay_alu instid0(VALU_DEP_1) | instskip(NEXT) | instid1(VALU_DEP_1)
	v_fmac_f32_e32 v12, v9, v9
	v_div_scale_f32 v13, null, v12, v12, v9
	s_delay_alu instid0(VALU_DEP_1) | instskip(SKIP_2) | instid1(VALU_DEP_1)
	v_rcp_f32_e32 v33, v13
	s_waitcnt_depctr 0xfff
	v_fma_f32 v34, -v13, v33, 1.0
	v_fmac_f32_e32 v33, v34, v33
	v_div_scale_f32 v34, vcc_lo, v9, v12, v9
	s_delay_alu instid0(VALU_DEP_1) | instskip(NEXT) | instid1(VALU_DEP_1)
	v_mul_f32_e32 v35, v34, v33
	v_fma_f32 v36, -v13, v35, v34
	s_delay_alu instid0(VALU_DEP_1) | instskip(NEXT) | instid1(VALU_DEP_1)
	v_fmac_f32_e32 v35, v36, v33
	v_fma_f32 v13, -v13, v35, v34
	s_delay_alu instid0(VALU_DEP_1) | instskip(NEXT) | instid1(VALU_DEP_1)
	v_div_fmas_f32 v13, v13, v33, v35
	v_div_fixup_f32 v13, v13, v12, v9
.LBB69_357:                             ;   in Loop: Header=BB69_217 Depth=1
	s_or_b32 exec_lo, exec_lo, s31
.LBB69_358:                             ;   in Loop: Header=BB69_217 Depth=1
	s_and_not1_saveexec_b32 s30, s30
	s_cbranch_execz .LBB69_360
; %bb.359:                              ;   in Loop: Header=BB69_217 Depth=1
	v_div_scale_f32 v12, null, v8, v8, v9
	v_div_scale_f32 v34, vcc_lo, v9, v8, v9
	s_delay_alu instid0(VALU_DEP_2) | instskip(SKIP_2) | instid1(VALU_DEP_1)
	v_rcp_f32_e32 v13, v12
	s_waitcnt_depctr 0xfff
	v_fma_f32 v33, -v12, v13, 1.0
	v_fmac_f32_e32 v13, v33, v13
	s_delay_alu instid0(VALU_DEP_1) | instskip(NEXT) | instid1(VALU_DEP_1)
	v_mul_f32_e32 v33, v34, v13
	v_fma_f32 v35, -v12, v33, v34
	s_delay_alu instid0(VALU_DEP_1) | instskip(NEXT) | instid1(VALU_DEP_1)
	v_fmac_f32_e32 v33, v35, v13
	v_fma_f32 v12, -v12, v33, v34
	s_delay_alu instid0(VALU_DEP_1) | instskip(NEXT) | instid1(VALU_DEP_1)
	v_div_fmas_f32 v12, v12, v13, v33
	v_div_fixup_f32 v9, v12, v8, v9
	s_delay_alu instid0(VALU_DEP_1) | instskip(NEXT) | instid1(VALU_DEP_1)
	v_div_scale_f32 v12, null, v8, v8, v9
	v_rcp_f32_e32 v13, v12
	s_waitcnt_depctr 0xfff
	v_fma_f32 v33, -v12, v13, 1.0
	s_delay_alu instid0(VALU_DEP_1) | instskip(SKIP_1) | instid1(VALU_DEP_1)
	v_fmac_f32_e32 v13, v33, v13
	v_div_scale_f32 v33, vcc_lo, v9, v8, v9
	v_mul_f32_e32 v34, v33, v13
	s_delay_alu instid0(VALU_DEP_1) | instskip(NEXT) | instid1(VALU_DEP_1)
	v_fma_f32 v35, -v12, v34, v33
	v_fmac_f32_e32 v34, v35, v13
	s_delay_alu instid0(VALU_DEP_1) | instskip(NEXT) | instid1(VALU_DEP_1)
	v_fma_f32 v12, -v12, v34, v33
	v_div_fmas_f32 v12, v12, v13, v34
	s_delay_alu instid0(VALU_DEP_1)
	v_div_fixup_f32 v13, v12, v8, v9
.LBB69_360:                             ;   in Loop: Header=BB69_217 Depth=1
	s_or_b32 exec_lo, exec_lo, s30
.LBB69_361:                             ;   in Loop: Header=BB69_217 Depth=1
	s_and_not1_saveexec_b32 s5, s5
; %bb.362:                              ;   in Loop: Header=BB69_217 Depth=1
	v_div_scale_f32 v12, null, v9, v9, 1.0
	s_delay_alu instid0(VALU_DEP_1) | instskip(SKIP_2) | instid1(VALU_DEP_1)
	v_rcp_f32_e32 v13, v12
	s_waitcnt_depctr 0xfff
	v_fma_f32 v33, -v12, v13, 1.0
	v_fmac_f32_e32 v13, v33, v13
	v_div_scale_f32 v33, vcc_lo, 1.0, v9, 1.0
	s_delay_alu instid0(VALU_DEP_1) | instskip(NEXT) | instid1(VALU_DEP_1)
	v_mul_f32_e32 v34, v33, v13
	v_fma_f32 v35, -v12, v34, v33
	s_delay_alu instid0(VALU_DEP_1) | instskip(NEXT) | instid1(VALU_DEP_1)
	v_fmac_f32_e32 v34, v35, v13
	v_fma_f32 v12, -v12, v34, v33
	s_delay_alu instid0(VALU_DEP_1) | instskip(NEXT) | instid1(VALU_DEP_1)
	v_div_fmas_f32 v12, v12, v13, v34
	v_div_fixup_f32 v13, v12, v9, 1.0
; %bb.363:                              ;   in Loop: Header=BB69_217 Depth=1
	s_or_b32 exec_lo, exec_lo, s5
	v_dual_mov_b32 v34, s13 :: v_dual_mov_b32 v33, s12
	flat_load_b32 v9, v[33:34] glc dlc
	s_waitcnt vmcnt(0) lgkmcnt(0)
	v_add_f32_e32 v9, 0x3fc90fdb, v9
	s_delay_alu instid0(VALU_DEP_1)
	v_bfi_b32 v12, 0x7fffffff, v9, v8
.LBB69_364:                             ;   in Loop: Header=BB69_217 Depth=1
	s_or_b32 exec_lo, exec_lo, s4
                                        ; implicit-def: $vgpr9
.LBB69_365:                             ;   in Loop: Header=BB69_217 Depth=1
	s_and_not1_saveexec_b32 s4, s29
	s_cbranch_execz .LBB69_375
; %bb.366:                              ;   in Loop: Header=BB69_217 Depth=1
	v_cmp_neq_f32_e64 s5, 0x7f800000, |v9|
                                        ; implicit-def: $vgpr12
	s_delay_alu instid0(VALU_DEP_1) | instskip(NEXT) | instid1(SALU_CYCLE_1)
	s_and_saveexec_b32 s29, s5
	s_xor_b32 s5, exec_lo, s29
	s_cbranch_execz .LBB69_372
; %bb.367:                              ;   in Loop: Header=BB69_217 Depth=1
	v_cmp_neq_f32_e64 s29, 0x7f800000, |v8|
                                        ; implicit-def: $vgpr12
	s_delay_alu instid0(VALU_DEP_1) | instskip(NEXT) | instid1(SALU_CYCLE_1)
	s_and_saveexec_b32 s30, s29
	s_xor_b32 s29, exec_lo, s30
; %bb.368:                              ;   in Loop: Header=BB69_217 Depth=1
	v_add_f32_e32 v8, 0, v8
	s_delay_alu instid0(VALU_DEP_1)
	v_add_f32_e32 v12, v9, v8
                                        ; implicit-def: $vgpr9
; %bb.369:                              ;   in Loop: Header=BB69_217 Depth=1
	s_or_saveexec_b32 s29, s29
	s_delay_alu instid0(VALU_DEP_1)
	v_mov_b32_e32 v13, v12
	s_xor_b32 exec_lo, exec_lo, s29
	s_cbranch_execz .LBB69_371
; %bb.370:                              ;   in Loop: Header=BB69_217 Depth=1
	v_dual_mov_b32 v12, s12 :: v_dual_mov_b32 v13, s13
	flat_load_b32 v12, v[12:13] glc dlc
	s_waitcnt vmcnt(0)
	v_bfi_b32 v13, 0x7fffffff, 0, v9
	s_waitcnt lgkmcnt(0)
	v_add_f32_e32 v12, 0x3fc90fdb, v12
	s_delay_alu instid0(VALU_DEP_1)
	v_bfi_b32 v12, 0x7fffffff, v12, v8
.LBB69_371:                             ;   in Loop: Header=BB69_217 Depth=1
	s_or_b32 exec_lo, exec_lo, s29
                                        ; implicit-def: $vgpr9
.LBB69_372:                             ;   in Loop: Header=BB69_217 Depth=1
	s_and_not1_saveexec_b32 s5, s5
; %bb.373:                              ;   in Loop: Header=BB69_217 Depth=1
	v_bfi_b32 v13, 0x7fffffff, 0, v9
	v_add_f32_e32 v12, v8, v8
; %bb.374:                              ;   in Loop: Header=BB69_217 Depth=1
	s_or_b32 exec_lo, exec_lo, s5
.LBB69_375:                             ;   in Loop: Header=BB69_217 Depth=1
	s_delay_alu instid0(SALU_CYCLE_1)
	s_or_b32 exec_lo, exec_lo, s4
                                        ; implicit-def: $vgpr8
.LBB69_376:                             ;   in Loop: Header=BB69_217 Depth=1
	s_and_not1_saveexec_b32 s4, s28
	s_cbranch_execz .LBB69_378
; %bb.377:                              ;   in Loop: Header=BB69_217 Depth=1
	v_rcp_f32_e64 v12, |v8|
	v_cmp_gt_f32_e64 vcc_lo, |v8|, 1.0
	s_waitcnt_depctr 0xfff
	v_cndmask_b32_e64 v12, |v8|, v12, vcc_lo
	s_delay_alu instid0(VALU_DEP_1) | instskip(NEXT) | instid1(VALU_DEP_1)
	v_mul_f32_e32 v13, v12, v12
	v_fmaak_f32 v33, s27, v13, 0xbc7a590c
	s_delay_alu instid0(VALU_DEP_1) | instskip(NEXT) | instid1(VALU_DEP_1)
	v_fmaak_f32 v33, v13, v33, 0x3d29fb3f
	v_fmaak_f32 v33, v13, v33, 0xbd97d4d7
	s_delay_alu instid0(VALU_DEP_1) | instskip(NEXT) | instid1(VALU_DEP_1)
	v_fmaak_f32 v33, v13, v33, 0x3dd931b2
	;; [unrolled: 3-line block ×3, first 2 shown]
	v_fmaak_f32 v33, v13, v33, 0xbeaaaa62
	s_delay_alu instid0(VALU_DEP_1) | instskip(NEXT) | instid1(VALU_DEP_1)
	v_mul_f32_e32 v13, v13, v33
	v_fmac_f32_e32 v12, v12, v13
	s_delay_alu instid0(VALU_DEP_1) | instskip(NEXT) | instid1(VALU_DEP_1)
	v_sub_f32_e32 v13, 0x3fc90fdb, v12
	v_dual_cndmask_b32 v12, v12, v13 :: v_dual_mov_b32 v13, v9
	s_delay_alu instid0(VALU_DEP_1)
	v_bfi_b32 v12, 0x7fffffff, v12, v8
.LBB69_378:                             ;   in Loop: Header=BB69_217 Depth=1
	s_or_b32 exec_lo, exec_lo, s4
                                        ; implicit-def: $vgpr9
.LBB69_379:                             ;   in Loop: Header=BB69_217 Depth=1
	s_and_not1_saveexec_b32 s4, s11
	s_cbranch_execz .LBB69_381
; %bb.380:                              ;   in Loop: Header=BB69_217 Depth=1
	v_sub_f32_e64 v12, 1.0, |v9|
	v_add_f32_e64 v33, |v9|, 1.0
	v_cmp_gt_f32_e64 s5, 0x39800000, |v9|
	s_delay_alu instid0(VALU_DEP_3) | instskip(SKIP_1) | instid1(VALU_DEP_1)
	v_rcp_f32_e32 v13, v12
	v_sub_f32_e32 v35, 1.0, v12
	v_sub_f32_e64 v35, v35, |v9|
	s_waitcnt_depctr 0xfff
	v_mul_f32_e32 v34, v33, v13
	s_delay_alu instid0(VALU_DEP_1) | instskip(NEXT) | instid1(VALU_DEP_1)
	v_mul_f32_e32 v36, v12, v34
	v_fma_f32 v12, v34, v12, -v36
	s_delay_alu instid0(VALU_DEP_1) | instskip(NEXT) | instid1(VALU_DEP_1)
	v_fmac_f32_e32 v12, v34, v35
	v_add_f32_e32 v35, v36, v12
	s_delay_alu instid0(VALU_DEP_1) | instskip(NEXT) | instid1(VALU_DEP_1)
	v_sub_f32_e32 v37, v33, v35
	v_sub_f32_e32 v38, v33, v37
	v_dual_sub_f32 v36, v35, v36 :: v_dual_add_f32 v33, -1.0, v33
	s_delay_alu instid0(VALU_DEP_1) | instskip(NEXT) | instid1(VALU_DEP_2)
	v_dual_sub_f32 v35, v38, v35 :: v_dual_sub_f32 v12, v36, v12
	v_sub_f32_e64 v33, |v9|, v33
	s_delay_alu instid0(VALU_DEP_2) | instskip(NEXT) | instid1(VALU_DEP_1)
	v_add_f32_e32 v12, v12, v35
	v_add_f32_e32 v12, v33, v12
	s_delay_alu instid0(VALU_DEP_1) | instskip(NEXT) | instid1(VALU_DEP_1)
	v_add_f32_e32 v12, v37, v12
	v_mul_f32_e32 v33, v13, v12
	s_delay_alu instid0(VALU_DEP_1) | instskip(NEXT) | instid1(VALU_DEP_1)
	v_add_f32_e32 v35, v34, v33
	v_sub_f32_e32 v34, v35, v34
	v_cvt_f64_f32_e32 v[12:13], v35
	s_delay_alu instid0(VALU_DEP_1) | instskip(SKIP_1) | instid1(VALU_DEP_1)
	v_frexp_exp_i32_f64_e32 v12, v[12:13]
	v_frexp_mant_f32_e32 v13, v35
	v_cmp_gt_f32_e32 vcc_lo, 0x3f2aaaab, v13
	s_delay_alu instid0(VALU_DEP_3) | instskip(SKIP_1) | instid1(VALU_DEP_2)
	v_subrev_co_ci_u32_e32 v12, vcc_lo, 0, v12, vcc_lo
	v_cmp_ngt_f32_e64 vcc_lo, |v9|, 1.0
	v_sub_nc_u32_e32 v13, 0, v12
	v_cvt_f32_i32_e32 v12, v12
	s_delay_alu instid0(VALU_DEP_2) | instskip(NEXT) | instid1(VALU_DEP_1)
	v_ldexp_f32 v36, v35, v13
	v_add_f32_e32 v35, 1.0, v36
	s_delay_alu instid0(VALU_DEP_1) | instskip(NEXT) | instid1(VALU_DEP_1)
	v_dual_sub_f32 v33, v33, v34 :: v_dual_add_f32 v34, -1.0, v35
	v_ldexp_f32 v13, v33, v13
	s_delay_alu instid0(VALU_DEP_2) | instskip(NEXT) | instid1(VALU_DEP_1)
	v_dual_add_f32 v33, -1.0, v36 :: v_dual_sub_f32 v34, v36, v34
	v_dual_add_f32 v37, 1.0, v33 :: v_dual_add_f32 v34, v13, v34
	s_delay_alu instid0(VALU_DEP_1) | instskip(NEXT) | instid1(VALU_DEP_1)
	v_dual_sub_f32 v36, v36, v37 :: v_dual_add_f32 v37, v35, v34
	v_sub_f32_e32 v35, v37, v35
	s_delay_alu instid0(VALU_DEP_2) | instskip(SKIP_1) | instid1(VALU_DEP_1)
	v_add_f32_e32 v13, v13, v36
	v_rcp_f32_e32 v36, v37
	v_add_f32_e32 v38, v33, v13
	s_waitcnt_depctr 0xfff
	v_mul_f32_e32 v39, v38, v36
	v_sub_f32_e32 v34, v34, v35
	s_delay_alu instid0(VALU_DEP_2) | instskip(NEXT) | instid1(VALU_DEP_1)
	v_mul_f32_e32 v40, v37, v39
	v_fma_f32 v35, v39, v37, -v40
	s_delay_alu instid0(VALU_DEP_1) | instskip(SKIP_1) | instid1(VALU_DEP_2)
	v_fmac_f32_e32 v35, v39, v34
	v_sub_f32_e32 v33, v38, v33
	v_add_f32_e32 v41, v40, v35
	s_delay_alu instid0(VALU_DEP_2) | instskip(NEXT) | instid1(VALU_DEP_2)
	v_sub_f32_e32 v13, v13, v33
	v_sub_f32_e32 v42, v38, v41
	s_delay_alu instid0(VALU_DEP_1) | instskip(NEXT) | instid1(VALU_DEP_1)
	v_dual_sub_f32 v38, v38, v42 :: v_dual_sub_f32 v33, v41, v40
	v_dual_sub_f32 v38, v38, v41 :: v_dual_sub_f32 v33, v33, v35
	s_delay_alu instid0(VALU_DEP_1) | instskip(NEXT) | instid1(VALU_DEP_1)
	v_add_f32_e32 v13, v13, v38
	v_add_f32_e32 v13, v33, v13
	s_delay_alu instid0(VALU_DEP_1) | instskip(NEXT) | instid1(VALU_DEP_1)
	v_add_f32_e32 v33, v42, v13
	v_mul_f32_e32 v35, v36, v33
	s_delay_alu instid0(VALU_DEP_1) | instskip(NEXT) | instid1(VALU_DEP_1)
	v_dual_mul_f32 v38, v37, v35 :: v_dual_sub_f32 v41, v42, v33
	v_fma_f32 v37, v35, v37, -v38
	s_delay_alu instid0(VALU_DEP_2) | instskip(NEXT) | instid1(VALU_DEP_2)
	v_add_f32_e32 v13, v13, v41
	v_fmac_f32_e32 v37, v35, v34
	s_delay_alu instid0(VALU_DEP_1) | instskip(NEXT) | instid1(VALU_DEP_1)
	v_add_f32_e32 v34, v38, v37
	v_sub_f32_e32 v40, v33, v34
	s_delay_alu instid0(VALU_DEP_1) | instskip(NEXT) | instid1(VALU_DEP_1)
	v_dual_sub_f32 v38, v34, v38 :: v_dual_sub_f32 v33, v33, v40
	v_dual_sub_f32 v33, v33, v34 :: v_dual_sub_f32 v34, v38, v37
	s_delay_alu instid0(VALU_DEP_1) | instskip(SKIP_1) | instid1(VALU_DEP_1)
	v_add_f32_e32 v13, v13, v33
	v_add_f32_e32 v33, v39, v35
	v_dual_add_f32 v13, v34, v13 :: v_dual_sub_f32 v34, v33, v39
	s_delay_alu instid0(VALU_DEP_1) | instskip(NEXT) | instid1(VALU_DEP_1)
	v_dual_add_f32 v13, v40, v13 :: v_dual_sub_f32 v34, v35, v34
	v_mul_f32_e32 v13, v36, v13
	s_delay_alu instid0(VALU_DEP_1) | instskip(NEXT) | instid1(VALU_DEP_1)
	v_add_f32_e32 v13, v34, v13
	v_add_f32_e32 v34, v33, v13
	s_delay_alu instid0(VALU_DEP_1) | instskip(NEXT) | instid1(VALU_DEP_1)
	v_mul_f32_e32 v35, v34, v34
	v_fmaak_f32 v36, s26, v35, 0x3ecc95a3
	v_mul_f32_e32 v37, v34, v35
	s_delay_alu instid0(VALU_DEP_2) | instskip(SKIP_2) | instid1(VALU_DEP_3)
	v_fmaak_f32 v35, v35, v36, 0x3f2aaada
	v_ldexp_f32 v36, v34, 1
	v_sub_f32_e32 v33, v34, v33
	v_mul_f32_e32 v35, v37, v35
	v_mul_f32_e32 v37, 0x3f317218, v12
	s_delay_alu instid0(VALU_DEP_2) | instskip(NEXT) | instid1(VALU_DEP_1)
	v_dual_sub_f32 v13, v13, v33 :: v_dual_add_f32 v34, v36, v35
	v_ldexp_f32 v13, v13, 1
	s_delay_alu instid0(VALU_DEP_2) | instskip(NEXT) | instid1(VALU_DEP_4)
	v_sub_f32_e32 v33, v34, v36
	v_fma_f32 v36, 0x3f317218, v12, -v37
	s_delay_alu instid0(VALU_DEP_1) | instskip(NEXT) | instid1(VALU_DEP_1)
	v_dual_sub_f32 v33, v35, v33 :: v_dual_fmac_f32 v36, 0xb102e308, v12
	v_add_f32_e32 v12, v13, v33
	s_delay_alu instid0(VALU_DEP_2) | instskip(NEXT) | instid1(VALU_DEP_2)
	v_add_f32_e32 v13, v37, v36
	v_add_f32_e32 v33, v34, v12
	s_delay_alu instid0(VALU_DEP_2) | instskip(NEXT) | instid1(VALU_DEP_2)
	v_sub_f32_e32 v37, v13, v37
	v_add_f32_e32 v35, v13, v33
	v_sub_f32_e32 v34, v33, v34
	s_delay_alu instid0(VALU_DEP_3) | instskip(NEXT) | instid1(VALU_DEP_3)
	v_sub_f32_e32 v36, v36, v37
	v_sub_f32_e32 v38, v35, v13
	s_delay_alu instid0(VALU_DEP_3) | instskip(NEXT) | instid1(VALU_DEP_2)
	v_sub_f32_e32 v12, v12, v34
	v_sub_f32_e32 v39, v35, v38
	s_delay_alu instid0(VALU_DEP_2) | instskip(NEXT) | instid1(VALU_DEP_2)
	v_dual_sub_f32 v33, v33, v38 :: v_dual_add_f32 v34, v36, v12
	v_sub_f32_e32 v13, v13, v39
	s_delay_alu instid0(VALU_DEP_1) | instskip(NEXT) | instid1(VALU_DEP_3)
	v_add_f32_e32 v13, v33, v13
	v_sub_f32_e32 v33, v34, v36
	s_delay_alu instid0(VALU_DEP_2) | instskip(NEXT) | instid1(VALU_DEP_2)
	v_add_f32_e32 v13, v34, v13
	v_sub_f32_e32 v34, v34, v33
	v_sub_f32_e32 v12, v12, v33
	s_delay_alu instid0(VALU_DEP_3) | instskip(NEXT) | instid1(VALU_DEP_1)
	v_add_f32_e32 v37, v35, v13
	v_dual_sub_f32 v33, v36, v34 :: v_dual_sub_f32 v34, v37, v35
	s_delay_alu instid0(VALU_DEP_1) | instskip(NEXT) | instid1(VALU_DEP_1)
	v_dual_add_f32 v12, v12, v33 :: v_dual_sub_f32 v13, v13, v34
	v_add_f32_e32 v12, v12, v13
	s_delay_alu instid0(VALU_DEP_1) | instskip(NEXT) | instid1(VALU_DEP_1)
	v_add_f32_e32 v12, v37, v12
	v_mul_f32_e32 v12, 0.5, v12
	s_delay_alu instid0(VALU_DEP_1) | instskip(NEXT) | instid1(VALU_DEP_1)
	v_cndmask_b32_e64 v12, v12, |v9|, s5
	v_cndmask_b32_e32 v12, 0x7fc00000, v12, vcc_lo
	v_cmp_neq_f32_e64 vcc_lo, |v9|, 1.0
	s_delay_alu instid0(VALU_DEP_2) | instskip(NEXT) | instid1(VALU_DEP_1)
	v_cndmask_b32_e32 v12, 0x7f800000, v12, vcc_lo
	v_bfi_b32 v13, 0x7fffffff, v12, v9
	v_mov_b32_e32 v12, v8
.LBB69_381:                             ;   in Loop: Header=BB69_217 Depth=1
	s_or_b32 exec_lo, exec_lo, s4
	v_cmp_neq_f32_e32 vcc_lo, 0, v4
	v_cmp_nle_f32_e64 s4, |v5|, 1.0
	v_dual_mov_b32 v8, s12 :: v_dual_mov_b32 v9, s13
	s_delay_alu instid0(VALU_DEP_2) | instskip(SKIP_3) | instid1(SALU_CYCLE_1)
	s_or_b32 s4, vcc_lo, s4
	flat_store_b32 v[8:9], v30 dlc
	s_waitcnt_vscnt null, 0x0
                                        ; implicit-def: $vgpr8
	s_and_saveexec_b32 s5, s4
	s_xor_b32 s11, exec_lo, s5
	s_cbranch_execz .LBB69_388
; %bb.382:                              ;   in Loop: Header=BB69_217 Depth=1
                                        ; implicit-def: $vgpr8
	s_mov_b32 s4, exec_lo
	v_cmpx_neq_f32_e32 0, v5
	s_xor_b32 s28, exec_lo, s4
	s_cbranch_execz .LBB69_433
; %bb.383:                              ;   in Loop: Header=BB69_217 Depth=1
	v_cmp_o_f32_e32 vcc_lo, v5, v5
	v_cmp_o_f32_e64 s4, v4, v4
                                        ; implicit-def: $vgpr8
	s_delay_alu instid0(VALU_DEP_1) | instskip(NEXT) | instid1(SALU_CYCLE_1)
	s_and_b32 s4, vcc_lo, s4
	s_and_saveexec_b32 s5, s4
	s_delay_alu instid0(SALU_CYCLE_1)
	s_xor_b32 s29, exec_lo, s5
	s_cbranch_execz .LBB69_422
; %bb.384:                              ;   in Loop: Header=BB69_217 Depth=1
	v_max_f32_e64 v9, |v4|, |v4|
	v_max_f32_e64 v8, |v5|, |v5|
	s_delay_alu instid0(VALU_DEP_1) | instskip(NEXT) | instid1(VALU_DEP_1)
	v_max_f32_e32 v8, v8, v9
	v_cmp_nlt_f32_e32 vcc_lo, 0x4b000000, v8
                                        ; implicit-def: $vgpr8
	s_and_saveexec_b32 s4, vcc_lo
	s_delay_alu instid0(SALU_CYCLE_1)
	s_xor_b32 s30, exec_lo, s4
	s_cbranch_execz .LBB69_407
; %bb.385:                              ;   in Loop: Header=BB69_217 Depth=1
	v_cmp_ngt_f32_e64 s4, 0x399cc471, |v5|
	v_cmp_ngt_f32_e64 s5, 0x399cc471, |v4|
                                        ; implicit-def: $vgpr8
	s_delay_alu instid0(VALU_DEP_1) | instskip(NEXT) | instid1(SALU_CYCLE_1)
	s_or_b32 s4, s4, s5
	s_and_saveexec_b32 s5, s4
	s_delay_alu instid0(SALU_CYCLE_1)
	s_xor_b32 s31, exec_lo, s5
	s_cbranch_execz .LBB69_404
; %bb.386:                              ;   in Loop: Header=BB69_217 Depth=1
	v_cmp_neq_f32_e64 s5, |v5|, 1.0
	v_cmp_ngt_f32_e64 s4, 0x34000000, |v4|
                                        ; implicit-def: $vgpr8
	s_delay_alu instid0(VALU_DEP_1) | instskip(NEXT) | instid1(SALU_CYCLE_1)
	s_or_b32 s33, s5, s4
	s_and_saveexec_b32 s34, s33
	s_delay_alu instid0(SALU_CYCLE_1)
	s_xor_b32 s33, exec_lo, s34
	s_cbranch_execz .LBB69_393
; %bb.387:                              ;   in Loop: Header=BB69_217 Depth=1
	v_add_f32_e64 v8, |v5|, -1.0
	v_cmp_gt_f32_e64 vcc_lo, 0x20000000, |v4|
	v_mul_f32_e64 v34, |v5|, 4.0
	s_delay_alu instid0(VALU_DEP_3) | instskip(NEXT) | instid1(VALU_DEP_1)
	v_mul_f32_e32 v8, v8, v8
	v_fma_f32 v33, v4, v4, v8
	s_delay_alu instid0(VALU_DEP_1) | instskip(NEXT) | instid1(VALU_DEP_1)
	v_cndmask_b32_e32 v8, v33, v8, vcc_lo
	v_div_scale_f32 v33, null, v8, v8, v34
	s_delay_alu instid0(VALU_DEP_1) | instskip(SKIP_2) | instid1(VALU_DEP_1)
	v_rcp_f32_e32 v35, v33
	s_waitcnt_depctr 0xfff
	v_fma_f32 v36, -v33, v35, 1.0
	v_fmac_f32_e32 v35, v36, v35
	v_div_scale_f32 v37, vcc_lo, v34, v8, v34
	s_delay_alu instid0(VALU_DEP_1) | instskip(NEXT) | instid1(VALU_DEP_1)
	v_mul_f32_e32 v36, v37, v35
	v_fma_f32 v38, -v33, v36, v37
	s_delay_alu instid0(VALU_DEP_1) | instskip(NEXT) | instid1(VALU_DEP_1)
	v_fmac_f32_e32 v36, v38, v35
	v_fma_f32 v33, -v33, v36, v37
	s_delay_alu instid0(VALU_DEP_1) | instskip(NEXT) | instid1(VALU_DEP_1)
	v_div_fmas_f32 v33, v33, v35, v36
	v_div_fixup_f32 v8, v33, v8, v34
	s_delay_alu instid0(VALU_DEP_1) | instskip(NEXT) | instid1(VALU_DEP_1)
	v_add_f32_e32 v35, 1.0, v8
	v_cvt_f64_f32_e32 v[33:34], v35
	s_delay_alu instid0(VALU_DEP_1) | instskip(SKIP_1) | instid1(VALU_DEP_1)
	v_frexp_exp_i32_f64_e32 v33, v[33:34]
	v_frexp_mant_f32_e32 v34, v35
	v_cmp_gt_f32_e32 vcc_lo, 0x3f2aaaab, v34
	v_add_f32_e32 v34, -1.0, v35
	s_delay_alu instid0(VALU_DEP_1) | instskip(NEXT) | instid1(VALU_DEP_1)
	v_sub_f32_e32 v37, v34, v35
	v_add_f32_e32 v37, 1.0, v37
	v_subrev_co_ci_u32_e32 v33, vcc_lo, 0, v33, vcc_lo
	v_cmp_eq_f32_e32 vcc_lo, 0x7f800000, v8
	s_delay_alu instid0(VALU_DEP_2) | instskip(SKIP_1) | instid1(VALU_DEP_2)
	v_sub_nc_u32_e32 v36, 0, v33
	v_cvt_f32_i32_e32 v33, v33
	v_ldexp_f32 v35, v35, v36
	v_sub_f32_e32 v34, v8, v34
	s_delay_alu instid0(VALU_DEP_1) | instskip(NEXT) | instid1(VALU_DEP_1)
	v_add_f32_e32 v34, v34, v37
	v_ldexp_f32 v34, v34, v36
	s_delay_alu instid0(VALU_DEP_4) | instskip(NEXT) | instid1(VALU_DEP_1)
	v_add_f32_e32 v36, -1.0, v35
	v_dual_add_f32 v38, 1.0, v35 :: v_dual_add_f32 v39, 1.0, v36
	s_delay_alu instid0(VALU_DEP_1) | instskip(NEXT) | instid1(VALU_DEP_1)
	v_add_f32_e32 v37, -1.0, v38
	v_sub_f32_e32 v37, v35, v37
	s_delay_alu instid0(VALU_DEP_3) | instskip(NEXT) | instid1(VALU_DEP_2)
	v_sub_f32_e32 v35, v35, v39
	v_add_f32_e32 v37, v34, v37
	s_delay_alu instid0(VALU_DEP_2) | instskip(NEXT) | instid1(VALU_DEP_1)
	v_add_f32_e32 v34, v34, v35
	v_dual_add_f32 v39, v38, v37 :: v_dual_add_f32 v40, v36, v34
	s_delay_alu instid0(VALU_DEP_1) | instskip(SKIP_1) | instid1(VALU_DEP_1)
	v_rcp_f32_e32 v35, v39
	v_sub_f32_e32 v38, v39, v38
	v_dual_sub_f32 v36, v40, v36 :: v_dual_sub_f32 v37, v37, v38
	s_waitcnt_depctr 0xfff
	v_dual_sub_f32 v34, v34, v36 :: v_dual_mul_f32 v41, v40, v35
	s_delay_alu instid0(VALU_DEP_1) | instskip(NEXT) | instid1(VALU_DEP_1)
	v_mul_f32_e32 v42, v39, v41
	v_fma_f32 v38, v41, v39, -v42
	s_delay_alu instid0(VALU_DEP_1) | instskip(NEXT) | instid1(VALU_DEP_1)
	v_fmac_f32_e32 v38, v41, v37
	v_add_f32_e32 v43, v42, v38
	s_delay_alu instid0(VALU_DEP_1) | instskip(SKIP_1) | instid1(VALU_DEP_2)
	v_sub_f32_e32 v44, v40, v43
	v_sub_f32_e32 v36, v43, v42
	;; [unrolled: 1-line block ×3, first 2 shown]
	s_delay_alu instid0(VALU_DEP_2) | instskip(NEXT) | instid1(VALU_DEP_2)
	v_sub_f32_e32 v36, v36, v38
	v_sub_f32_e32 v40, v40, v43
	s_delay_alu instid0(VALU_DEP_1) | instskip(NEXT) | instid1(VALU_DEP_1)
	v_add_f32_e32 v34, v34, v40
	v_add_f32_e32 v34, v36, v34
	s_delay_alu instid0(VALU_DEP_1) | instskip(NEXT) | instid1(VALU_DEP_1)
	v_add_f32_e32 v36, v44, v34
	v_mul_f32_e32 v38, v35, v36
	s_delay_alu instid0(VALU_DEP_1) | instskip(NEXT) | instid1(VALU_DEP_1)
	v_mul_f32_e32 v40, v39, v38
	v_fma_f32 v39, v38, v39, -v40
	s_delay_alu instid0(VALU_DEP_1) | instskip(SKIP_1) | instid1(VALU_DEP_2)
	v_fmac_f32_e32 v39, v38, v37
	v_sub_f32_e32 v43, v44, v36
	v_add_f32_e32 v37, v40, v39
	s_delay_alu instid0(VALU_DEP_2) | instskip(NEXT) | instid1(VALU_DEP_2)
	v_add_f32_e32 v34, v34, v43
	v_sub_f32_e32 v42, v36, v37
	v_sub_f32_e32 v40, v37, v40
	s_delay_alu instid0(VALU_DEP_2) | instskip(NEXT) | instid1(VALU_DEP_1)
	v_sub_f32_e32 v36, v36, v42
	v_sub_f32_e32 v36, v36, v37
	s_delay_alu instid0(VALU_DEP_1) | instskip(SKIP_1) | instid1(VALU_DEP_1)
	v_dual_sub_f32 v37, v40, v39 :: v_dual_add_f32 v34, v34, v36
	v_add_f32_e32 v36, v41, v38
	v_dual_add_f32 v34, v37, v34 :: v_dual_sub_f32 v37, v36, v41
	s_delay_alu instid0(VALU_DEP_1) | instskip(NEXT) | instid1(VALU_DEP_1)
	v_add_f32_e32 v34, v42, v34
	v_dual_sub_f32 v37, v38, v37 :: v_dual_mul_f32 v34, v35, v34
	s_delay_alu instid0(VALU_DEP_1) | instskip(NEXT) | instid1(VALU_DEP_1)
	v_add_f32_e32 v34, v37, v34
	v_add_f32_e32 v35, v36, v34
	s_delay_alu instid0(VALU_DEP_1) | instskip(NEXT) | instid1(VALU_DEP_1)
	v_mul_f32_e32 v37, v35, v35
	v_fmaak_f32 v38, s26, v37, 0x3ecc95a3
	v_mul_f32_e32 v39, v35, v37
	s_delay_alu instid0(VALU_DEP_2) | instskip(SKIP_2) | instid1(VALU_DEP_3)
	v_fmaak_f32 v37, v37, v38, 0x3f2aaada
	v_ldexp_f32 v38, v35, 1
	v_sub_f32_e32 v35, v35, v36
	v_mul_f32_e32 v37, v39, v37
	s_delay_alu instid0(VALU_DEP_2) | instskip(NEXT) | instid1(VALU_DEP_2)
	v_dual_mul_f32 v39, 0x3f317218, v33 :: v_dual_sub_f32 v34, v34, v35
	v_add_f32_e32 v36, v38, v37
	s_delay_alu instid0(VALU_DEP_2) | instskip(NEXT) | instid1(VALU_DEP_2)
	v_ldexp_f32 v34, v34, 1
	v_sub_f32_e32 v35, v36, v38
	s_delay_alu instid0(VALU_DEP_4) | instskip(NEXT) | instid1(VALU_DEP_1)
	v_fma_f32 v38, 0x3f317218, v33, -v39
	v_dual_sub_f32 v35, v37, v35 :: v_dual_fmac_f32 v38, 0xb102e308, v33
	s_delay_alu instid0(VALU_DEP_1) | instskip(NEXT) | instid1(VALU_DEP_1)
	v_dual_add_f32 v33, v34, v35 :: v_dual_add_f32 v34, v39, v38
	v_add_f32_e32 v35, v36, v33
	s_delay_alu instid0(VALU_DEP_2) | instskip(NEXT) | instid1(VALU_DEP_2)
	v_sub_f32_e32 v39, v34, v39
	v_dual_add_f32 v37, v34, v35 :: v_dual_sub_f32 v36, v35, v36
	s_delay_alu instid0(VALU_DEP_2) | instskip(NEXT) | instid1(VALU_DEP_2)
	v_sub_f32_e32 v38, v38, v39
	v_sub_f32_e32 v40, v37, v34
	s_delay_alu instid0(VALU_DEP_3) | instskip(NEXT) | instid1(VALU_DEP_2)
	v_sub_f32_e32 v33, v33, v36
	v_sub_f32_e32 v41, v37, v40
	s_delay_alu instid0(VALU_DEP_2) | instskip(NEXT) | instid1(VALU_DEP_2)
	v_dual_sub_f32 v35, v35, v40 :: v_dual_add_f32 v36, v38, v33
	v_sub_f32_e32 v34, v34, v41
	s_delay_alu instid0(VALU_DEP_1) | instskip(NEXT) | instid1(VALU_DEP_3)
	v_add_f32_e32 v34, v35, v34
	v_sub_f32_e32 v35, v36, v38
	s_delay_alu instid0(VALU_DEP_2) | instskip(NEXT) | instid1(VALU_DEP_2)
	v_add_f32_e32 v34, v36, v34
	v_sub_f32_e32 v36, v36, v35
	v_sub_f32_e32 v33, v33, v35
	s_delay_alu instid0(VALU_DEP_2) | instskip(NEXT) | instid1(VALU_DEP_1)
	v_dual_add_f32 v39, v37, v34 :: v_dual_sub_f32 v36, v38, v36
	v_sub_f32_e32 v35, v39, v37
	s_delay_alu instid0(VALU_DEP_1) | instskip(NEXT) | instid1(VALU_DEP_1)
	v_dual_add_f32 v33, v33, v36 :: v_dual_sub_f32 v34, v34, v35
	v_add_f32_e32 v33, v33, v34
	s_delay_alu instid0(VALU_DEP_1) | instskip(NEXT) | instid1(VALU_DEP_1)
	v_add_f32_e32 v33, v39, v33
	v_cndmask_b32_e32 v33, v33, v8, vcc_lo
	v_cmp_ngt_f32_e32 vcc_lo, -1.0, v8
	s_delay_alu instid0(VALU_DEP_2) | instskip(SKIP_1) | instid1(VALU_DEP_2)
	v_cndmask_b32_e32 v33, 0x7fc00000, v33, vcc_lo
	v_cmp_neq_f32_e32 vcc_lo, -1.0, v8
	v_cndmask_b32_e32 v33, 0xff800000, v33, vcc_lo
	v_cmp_gt_f32_e64 vcc_lo, 0x33800000, |v8|
	s_delay_alu instid0(VALU_DEP_2) | instskip(NEXT) | instid1(VALU_DEP_1)
	v_cndmask_b32_e32 v8, v33, v8, vcc_lo
	v_mul_f32_e32 v8, 0x3e800000, v8
	s_and_not1_saveexec_b32 s33, s33
	s_cbranch_execz .LBB69_395
	s_branch .LBB69_394
.LBB69_388:                             ;   in Loop: Header=BB69_217 Depth=1
	s_and_not1_saveexec_b32 s4, s11
	s_cbranch_execz .LBB69_436
.LBB69_389:                             ;   in Loop: Header=BB69_217 Depth=1
	v_sub_f32_e64 v8, 1.0, |v5|
	v_add_f32_e64 v33, |v5|, 1.0
	v_cmp_gt_f32_e64 s5, 0x39800000, |v5|
	s_delay_alu instid0(VALU_DEP_3) | instskip(SKIP_1) | instid1(VALU_DEP_1)
	v_rcp_f32_e32 v9, v8
	v_sub_f32_e32 v35, 1.0, v8
	v_sub_f32_e64 v35, v35, |v5|
	s_waitcnt_depctr 0xfff
	v_mul_f32_e32 v34, v33, v9
	s_delay_alu instid0(VALU_DEP_1) | instskip(NEXT) | instid1(VALU_DEP_1)
	v_mul_f32_e32 v36, v8, v34
	v_fma_f32 v8, v34, v8, -v36
	s_delay_alu instid0(VALU_DEP_1) | instskip(NEXT) | instid1(VALU_DEP_1)
	v_fmac_f32_e32 v8, v34, v35
	v_add_f32_e32 v35, v36, v8
	s_delay_alu instid0(VALU_DEP_1) | instskip(NEXT) | instid1(VALU_DEP_1)
	v_sub_f32_e32 v37, v33, v35
	v_sub_f32_e32 v38, v33, v37
	v_dual_sub_f32 v36, v35, v36 :: v_dual_add_f32 v33, -1.0, v33
	s_delay_alu instid0(VALU_DEP_1) | instskip(NEXT) | instid1(VALU_DEP_2)
	v_dual_sub_f32 v35, v38, v35 :: v_dual_sub_f32 v8, v36, v8
	v_sub_f32_e64 v33, |v5|, v33
	s_delay_alu instid0(VALU_DEP_2) | instskip(NEXT) | instid1(VALU_DEP_1)
	v_add_f32_e32 v8, v8, v35
	v_add_f32_e32 v8, v33, v8
	s_delay_alu instid0(VALU_DEP_1) | instskip(NEXT) | instid1(VALU_DEP_1)
	v_add_f32_e32 v8, v37, v8
	v_mul_f32_e32 v33, v9, v8
	s_delay_alu instid0(VALU_DEP_1) | instskip(NEXT) | instid1(VALU_DEP_1)
	v_add_f32_e32 v35, v34, v33
	v_sub_f32_e32 v34, v35, v34
	v_cvt_f64_f32_e32 v[8:9], v35
	s_delay_alu instid0(VALU_DEP_1) | instskip(SKIP_1) | instid1(VALU_DEP_1)
	v_frexp_exp_i32_f64_e32 v8, v[8:9]
	v_frexp_mant_f32_e32 v9, v35
	v_cmp_gt_f32_e32 vcc_lo, 0x3f2aaaab, v9
	s_delay_alu instid0(VALU_DEP_3) | instskip(SKIP_1) | instid1(VALU_DEP_2)
	v_subrev_co_ci_u32_e32 v8, vcc_lo, 0, v8, vcc_lo
	v_cmp_ngt_f32_e64 vcc_lo, |v5|, 1.0
	v_sub_nc_u32_e32 v9, 0, v8
	v_cvt_f32_i32_e32 v8, v8
	s_delay_alu instid0(VALU_DEP_2) | instskip(NEXT) | instid1(VALU_DEP_1)
	v_ldexp_f32 v36, v35, v9
	v_add_f32_e32 v35, 1.0, v36
	s_delay_alu instid0(VALU_DEP_1) | instskip(NEXT) | instid1(VALU_DEP_1)
	v_dual_sub_f32 v33, v33, v34 :: v_dual_add_f32 v34, -1.0, v35
	v_ldexp_f32 v9, v33, v9
	s_delay_alu instid0(VALU_DEP_2) | instskip(NEXT) | instid1(VALU_DEP_1)
	v_dual_add_f32 v33, -1.0, v36 :: v_dual_sub_f32 v34, v36, v34
	v_dual_add_f32 v37, 1.0, v33 :: v_dual_add_f32 v34, v9, v34
	s_delay_alu instid0(VALU_DEP_1) | instskip(NEXT) | instid1(VALU_DEP_1)
	v_dual_sub_f32 v36, v36, v37 :: v_dual_add_f32 v37, v35, v34
	v_sub_f32_e32 v35, v37, v35
	s_delay_alu instid0(VALU_DEP_2) | instskip(SKIP_1) | instid1(VALU_DEP_1)
	v_add_f32_e32 v9, v9, v36
	v_rcp_f32_e32 v36, v37
	v_add_f32_e32 v38, v33, v9
	s_waitcnt_depctr 0xfff
	v_mul_f32_e32 v39, v38, v36
	v_sub_f32_e32 v34, v34, v35
	s_delay_alu instid0(VALU_DEP_2) | instskip(NEXT) | instid1(VALU_DEP_1)
	v_mul_f32_e32 v40, v37, v39
	v_fma_f32 v35, v39, v37, -v40
	s_delay_alu instid0(VALU_DEP_1) | instskip(SKIP_1) | instid1(VALU_DEP_2)
	v_fmac_f32_e32 v35, v39, v34
	v_sub_f32_e32 v33, v38, v33
	v_add_f32_e32 v41, v40, v35
	s_delay_alu instid0(VALU_DEP_2) | instskip(NEXT) | instid1(VALU_DEP_2)
	v_sub_f32_e32 v9, v9, v33
	v_sub_f32_e32 v42, v38, v41
	s_delay_alu instid0(VALU_DEP_1) | instskip(NEXT) | instid1(VALU_DEP_1)
	v_dual_sub_f32 v38, v38, v42 :: v_dual_sub_f32 v33, v41, v40
	v_dual_sub_f32 v38, v38, v41 :: v_dual_sub_f32 v33, v33, v35
	s_delay_alu instid0(VALU_DEP_1) | instskip(NEXT) | instid1(VALU_DEP_1)
	v_add_f32_e32 v9, v9, v38
	v_add_f32_e32 v9, v33, v9
	s_delay_alu instid0(VALU_DEP_1) | instskip(NEXT) | instid1(VALU_DEP_1)
	v_add_f32_e32 v33, v42, v9
	v_mul_f32_e32 v35, v36, v33
	s_delay_alu instid0(VALU_DEP_1) | instskip(NEXT) | instid1(VALU_DEP_1)
	v_dual_mul_f32 v38, v37, v35 :: v_dual_sub_f32 v41, v42, v33
	v_fma_f32 v37, v35, v37, -v38
	s_delay_alu instid0(VALU_DEP_2) | instskip(NEXT) | instid1(VALU_DEP_2)
	v_add_f32_e32 v9, v9, v41
	v_fmac_f32_e32 v37, v35, v34
	s_delay_alu instid0(VALU_DEP_1) | instskip(NEXT) | instid1(VALU_DEP_1)
	v_add_f32_e32 v34, v38, v37
	v_sub_f32_e32 v40, v33, v34
	s_delay_alu instid0(VALU_DEP_1) | instskip(NEXT) | instid1(VALU_DEP_1)
	v_dual_sub_f32 v38, v34, v38 :: v_dual_sub_f32 v33, v33, v40
	v_dual_sub_f32 v33, v33, v34 :: v_dual_sub_f32 v34, v38, v37
	s_delay_alu instid0(VALU_DEP_1) | instskip(SKIP_1) | instid1(VALU_DEP_1)
	v_add_f32_e32 v9, v9, v33
	v_add_f32_e32 v33, v39, v35
	v_dual_add_f32 v9, v34, v9 :: v_dual_sub_f32 v34, v33, v39
	s_delay_alu instid0(VALU_DEP_1) | instskip(NEXT) | instid1(VALU_DEP_1)
	v_dual_add_f32 v9, v40, v9 :: v_dual_sub_f32 v34, v35, v34
	v_mul_f32_e32 v9, v36, v9
	s_delay_alu instid0(VALU_DEP_1) | instskip(NEXT) | instid1(VALU_DEP_1)
	v_add_f32_e32 v9, v34, v9
	v_add_f32_e32 v34, v33, v9
	s_delay_alu instid0(VALU_DEP_1) | instskip(NEXT) | instid1(VALU_DEP_1)
	v_mul_f32_e32 v35, v34, v34
	v_fmaak_f32 v36, s26, v35, 0x3ecc95a3
	v_mul_f32_e32 v37, v34, v35
	s_delay_alu instid0(VALU_DEP_2) | instskip(SKIP_2) | instid1(VALU_DEP_3)
	v_fmaak_f32 v35, v35, v36, 0x3f2aaada
	v_ldexp_f32 v36, v34, 1
	v_sub_f32_e32 v33, v34, v33
	v_mul_f32_e32 v35, v37, v35
	v_mul_f32_e32 v37, 0x3f317218, v8
	s_delay_alu instid0(VALU_DEP_2) | instskip(NEXT) | instid1(VALU_DEP_1)
	v_dual_sub_f32 v9, v9, v33 :: v_dual_add_f32 v34, v36, v35
	v_ldexp_f32 v9, v9, 1
	s_delay_alu instid0(VALU_DEP_2) | instskip(NEXT) | instid1(VALU_DEP_4)
	v_sub_f32_e32 v33, v34, v36
	v_fma_f32 v36, 0x3f317218, v8, -v37
	s_delay_alu instid0(VALU_DEP_1) | instskip(NEXT) | instid1(VALU_DEP_1)
	v_dual_sub_f32 v33, v35, v33 :: v_dual_fmac_f32 v36, 0xb102e308, v8
	v_add_f32_e32 v8, v9, v33
	s_delay_alu instid0(VALU_DEP_2) | instskip(NEXT) | instid1(VALU_DEP_2)
	v_add_f32_e32 v9, v37, v36
	v_add_f32_e32 v33, v34, v8
	s_delay_alu instid0(VALU_DEP_2) | instskip(NEXT) | instid1(VALU_DEP_2)
	v_sub_f32_e32 v37, v9, v37
	v_add_f32_e32 v35, v9, v33
	v_sub_f32_e32 v34, v33, v34
	s_delay_alu instid0(VALU_DEP_3) | instskip(NEXT) | instid1(VALU_DEP_3)
	v_sub_f32_e32 v36, v36, v37
	v_sub_f32_e32 v38, v35, v9
	s_delay_alu instid0(VALU_DEP_3) | instskip(NEXT) | instid1(VALU_DEP_2)
	v_sub_f32_e32 v8, v8, v34
	v_sub_f32_e32 v39, v35, v38
	s_delay_alu instid0(VALU_DEP_2) | instskip(NEXT) | instid1(VALU_DEP_2)
	v_dual_sub_f32 v33, v33, v38 :: v_dual_add_f32 v34, v36, v8
	v_sub_f32_e32 v9, v9, v39
	s_delay_alu instid0(VALU_DEP_1) | instskip(NEXT) | instid1(VALU_DEP_3)
	v_add_f32_e32 v9, v33, v9
	v_sub_f32_e32 v33, v34, v36
	s_delay_alu instid0(VALU_DEP_2) | instskip(NEXT) | instid1(VALU_DEP_2)
	v_add_f32_e32 v9, v34, v9
	v_sub_f32_e32 v34, v34, v33
	v_sub_f32_e32 v8, v8, v33
	s_delay_alu instid0(VALU_DEP_3) | instskip(NEXT) | instid1(VALU_DEP_1)
	v_add_f32_e32 v37, v35, v9
	v_dual_sub_f32 v33, v36, v34 :: v_dual_sub_f32 v34, v37, v35
	s_delay_alu instid0(VALU_DEP_1) | instskip(NEXT) | instid1(VALU_DEP_1)
	v_dual_add_f32 v8, v8, v33 :: v_dual_sub_f32 v9, v9, v34
	v_add_f32_e32 v8, v8, v9
	s_delay_alu instid0(VALU_DEP_1) | instskip(NEXT) | instid1(VALU_DEP_1)
	v_add_f32_e32 v8, v37, v8
	v_mul_f32_e32 v8, 0.5, v8
	s_delay_alu instid0(VALU_DEP_1) | instskip(NEXT) | instid1(VALU_DEP_1)
	v_cndmask_b32_e64 v8, v8, |v5|, s5
	v_cndmask_b32_e32 v8, 0x7fc00000, v8, vcc_lo
	v_cmp_neq_f32_e64 vcc_lo, |v5|, 1.0
	s_delay_alu instid0(VALU_DEP_2) | instskip(NEXT) | instid1(VALU_DEP_1)
	v_cndmask_b32_e32 v8, 0x7f800000, v8, vcc_lo
	v_bfi_b32 v9, 0x7fffffff, v8, v5
	v_mov_b32_e32 v8, v4
	s_or_b32 exec_lo, exec_lo, s4
	s_and_saveexec_b32 s4, s0
	s_delay_alu instid0(SALU_CYCLE_1)
	s_xor_b32 s0, exec_lo, s4
	s_cbranch_execnz .LBB69_437
.LBB69_390:                             ;   in Loop: Header=BB69_217 Depth=1
	s_or_b32 exec_lo, exec_lo, s0
	s_and_saveexec_b32 s0, s1
	s_cbranch_execz .LBB69_438
.LBB69_391:                             ;   in Loop: Header=BB69_217 Depth=1
	v_add_co_u32 v4, vcc_lo, v18, s6
	v_add_co_ci_u32_e32 v5, vcc_lo, s7, v19, vcc_lo
	global_store_b64 v[4:5], v[10:11], off
	s_or_b32 exec_lo, exec_lo, s0
	s_and_saveexec_b32 s0, s2
	s_cbranch_execnz .LBB69_439
.LBB69_392:                             ;   in Loop: Header=BB69_217 Depth=1
	s_or_b32 exec_lo, exec_lo, s0
	s_and_saveexec_b32 s0, s3
	s_cbranch_execz .LBB69_216
	s_branch .LBB69_440
.LBB69_393:                             ;   in Loop: Header=BB69_217 Depth=1
	s_and_not1_saveexec_b32 s33, s33
	s_cbranch_execz .LBB69_395
.LBB69_394:                             ;   in Loop: Header=BB69_217 Depth=1
	v_cmp_gt_f32_e64 s34, 0x800000, |v4|
	s_delay_alu instid0(VALU_DEP_1) | instskip(NEXT) | instid1(VALU_DEP_1)
	v_cndmask_b32_e64 v8, 1.0, 0x4f800000, s34
	v_mul_f32_e64 v8, |v4|, v8
	s_delay_alu instid0(VALU_DEP_1) | instskip(SKIP_3) | instid1(VALU_DEP_2)
	v_log_f32_e32 v8, v8
	s_waitcnt_depctr 0xfff
	v_mul_f32_e32 v33, 0x3f317217, v8
	v_cmp_gt_f32_e64 vcc_lo, 0x7f800000, |v8|
	v_fma_f32 v34, 0x3f317217, v8, -v33
	s_delay_alu instid0(VALU_DEP_1) | instskip(NEXT) | instid1(VALU_DEP_1)
	v_fmac_f32_e32 v34, 0x3377d1cf, v8
	v_add_f32_e32 v33, v33, v34
	s_delay_alu instid0(VALU_DEP_1) | instskip(SKIP_1) | instid1(VALU_DEP_1)
	v_cndmask_b32_e32 v8, v8, v33, vcc_lo
	v_cndmask_b32_e64 v33, 0, 0x41b17218, s34
	v_sub_f32_e32 v8, v8, v33
	s_delay_alu instid0(VALU_DEP_1) | instskip(NEXT) | instid1(VALU_DEP_1)
	v_sub_f32_e32 v8, 0x3f317218, v8
	v_mul_f32_e32 v8, 0.5, v8
.LBB69_395:                             ;   in Loop: Header=BB69_217 Depth=1
	s_or_b32 exec_lo, exec_lo, s33
                                        ; implicit-def: $vgpr34
	s_and_saveexec_b32 s33, s5
	s_delay_alu instid0(SALU_CYCLE_1)
	s_xor_b32 s33, exec_lo, s33
	s_cbranch_execz .LBB69_401
; %bb.396:                              ;   in Loop: Header=BB69_217 Depth=1
	v_sub_f32_e64 v33, 1.0, |v5|
	v_add_f32_e64 v34, |v5|, 1.0
	v_add_f32_e64 v9, |v4|, |v4|
	s_delay_alu instid0(VALU_DEP_2) | instskip(SKIP_1) | instid1(SALU_CYCLE_1)
	v_mul_f32_e32 v33, v33, v34
                                        ; implicit-def: $vgpr34
	s_and_saveexec_b32 s5, s4
	s_xor_b32 s5, exec_lo, s5
	s_cbranch_execz .LBB69_398
; %bb.397:                              ;   in Loop: Header=BB69_217 Depth=1
	s_delay_alu instid0(VALU_DEP_1) | instskip(SKIP_3) | instid1(VALU_DEP_4)
	v_fma_f32 v33, -v4, v4, v33
	v_max_f32_e64 v34, |v9|, |v9|
	v_cmp_eq_f32_e64 s4, 0, v9
	v_cmp_class_f32_e64 s34, v9, 0x204
	v_cmp_gt_f32_e64 vcc_lo, |v9|, |v33|
	s_delay_alu instid0(VALU_DEP_4) | instskip(SKIP_2) | instid1(VALU_DEP_3)
	v_max_f32_e64 v35, |v33|, v34
	v_min_f32_e64 v34, |v33|, v34
	v_cmp_class_f32_e64 s35, v33, 0x204
	v_frexp_mant_f32_e32 v36, v35
	v_frexp_exp_i32_f32_e32 v35, v35
	s_delay_alu instid0(VALU_DEP_4) | instskip(SKIP_1) | instid1(VALU_DEP_4)
	v_frexp_exp_i32_f32_e32 v37, v34
	v_frexp_mant_f32_e32 v34, v34
	v_rcp_f32_e32 v36, v36
	s_delay_alu instid0(VALU_DEP_2) | instskip(SKIP_2) | instid1(VALU_DEP_1)
	v_sub_nc_u32_e32 v35, v37, v35
	s_waitcnt_depctr 0xfff
	v_mul_f32_e32 v34, v34, v36
	v_ldexp_f32 v34, v34, v35
	s_delay_alu instid0(VALU_DEP_1) | instskip(NEXT) | instid1(VALU_DEP_1)
	v_mul_f32_e32 v35, v34, v34
	v_fmaak_f32 v36, s27, v35, 0xbc7a590c
	s_delay_alu instid0(VALU_DEP_1) | instskip(NEXT) | instid1(VALU_DEP_1)
	v_fmaak_f32 v36, v35, v36, 0x3d29fb3f
	v_fmaak_f32 v36, v35, v36, 0xbd97d4d7
	s_delay_alu instid0(VALU_DEP_1) | instskip(NEXT) | instid1(VALU_DEP_1)
	v_fmaak_f32 v36, v35, v36, 0x3dd931b2
	;; [unrolled: 3-line block ×3, first 2 shown]
	v_fmaak_f32 v36, v35, v36, 0xbeaaaa62
	s_delay_alu instid0(VALU_DEP_1) | instskip(NEXT) | instid1(VALU_DEP_1)
	v_mul_f32_e32 v35, v35, v36
	v_fmac_f32_e32 v34, v34, v35
	s_delay_alu instid0(VALU_DEP_1) | instskip(NEXT) | instid1(VALU_DEP_1)
	v_sub_f32_e32 v35, 0x3fc90fdb, v34
	v_cndmask_b32_e32 v34, v34, v35, vcc_lo
	v_cmp_gt_i32_e32 vcc_lo, 0, v33
	s_delay_alu instid0(VALU_DEP_2) | instskip(SKIP_2) | instid1(VALU_DEP_3)
	v_sub_f32_e32 v35, 0x40490fdb, v34
	v_cndmask_b32_e64 v36, 0, 0x40490fdb, vcc_lo
	v_cmp_gt_f32_e32 vcc_lo, 0, v33
	v_cndmask_b32_e32 v34, v34, v35, vcc_lo
	v_cndmask_b32_e32 v35, 0x3f490fdb, v32, vcc_lo
	s_and_b32 vcc_lo, s34, s35
	s_delay_alu instid0(VALU_DEP_2) | instskip(NEXT) | instid1(VALU_DEP_1)
	v_cndmask_b32_e64 v34, v34, v36, s4
	v_cndmask_b32_e32 v34, v34, v35, vcc_lo
	v_cmp_o_f32_e32 vcc_lo, v33, v9
	s_delay_alu instid0(VALU_DEP_2) | instskip(NEXT) | instid1(VALU_DEP_1)
	v_cndmask_b32_e32 v33, 0x7fc00000, v34, vcc_lo
	v_bfi_b32 v34, 0x7fffffff, v33, v9
                                        ; implicit-def: $vgpr9
                                        ; implicit-def: $vgpr33
.LBB69_398:                             ;   in Loop: Header=BB69_217 Depth=1
	s_and_not1_saveexec_b32 s34, s5
	s_cbranch_execz .LBB69_400
; %bb.399:                              ;   in Loop: Header=BB69_217 Depth=1
	v_max_f32_e32 v34, v9, v9
	v_max_f32_e64 v35, |v33|, |v33|
	v_cmp_gt_f32_e64 vcc_lo, v9, |v33|
	v_cmp_eq_f32_e64 s5, 0, v9
	v_cmp_class_f32_e64 s35, v33, 0x204
	v_cmp_eq_f32_e64 s4, 0x7f800000, v9
	v_max_f32_e32 v36, v35, v34
	v_min_f32_e32 v34, v35, v34
	s_delay_alu instid0(VALU_DEP_2) | instskip(SKIP_1) | instid1(VALU_DEP_2)
	v_frexp_mant_f32_e32 v37, v36
	v_frexp_exp_i32_f32_e32 v36, v36
	v_rcp_f32_e32 v35, v37
	s_delay_alu instid0(VALU_DEP_3) | instskip(SKIP_1) | instid1(VALU_DEP_2)
	v_frexp_exp_i32_f32_e32 v37, v34
	v_frexp_mant_f32_e32 v34, v34
	v_sub_nc_u32_e32 v36, v37, v36
	s_waitcnt_depctr 0xfff
	v_mul_f32_e32 v34, v34, v35
	s_delay_alu instid0(VALU_DEP_1) | instskip(NEXT) | instid1(VALU_DEP_1)
	v_ldexp_f32 v34, v34, v36
	v_mul_f32_e32 v35, v34, v34
	s_delay_alu instid0(VALU_DEP_1) | instskip(NEXT) | instid1(VALU_DEP_1)
	v_fmaak_f32 v36, s27, v35, 0xbc7a590c
	v_fmaak_f32 v36, v35, v36, 0x3d29fb3f
	s_delay_alu instid0(VALU_DEP_1) | instskip(NEXT) | instid1(VALU_DEP_1)
	v_fmaak_f32 v36, v35, v36, 0xbd97d4d7
	v_fmaak_f32 v36, v35, v36, 0x3dd931b2
	;; [unrolled: 3-line block ×3, first 2 shown]
	s_delay_alu instid0(VALU_DEP_1) | instskip(NEXT) | instid1(VALU_DEP_1)
	v_fmaak_f32 v36, v35, v36, 0xbeaaaa62
	v_mul_f32_e32 v35, v35, v36
	s_delay_alu instid0(VALU_DEP_1) | instskip(NEXT) | instid1(VALU_DEP_1)
	v_fmac_f32_e32 v34, v34, v35
	v_sub_f32_e32 v35, 0x3fc90fdb, v34
	s_delay_alu instid0(VALU_DEP_1) | instskip(SKIP_1) | instid1(VALU_DEP_2)
	v_cndmask_b32_e32 v34, v34, v35, vcc_lo
	v_cmp_gt_i32_e32 vcc_lo, 0, v33
	v_sub_f32_e32 v35, 0x40490fdb, v34
	v_cndmask_b32_e64 v36, 0, 0x40490fdb, vcc_lo
	v_cmp_gt_f32_e32 vcc_lo, 0, v33
	s_delay_alu instid0(VALU_DEP_3) | instskip(NEXT) | instid1(VALU_DEP_1)
	v_cndmask_b32_e32 v34, v34, v35, vcc_lo
	v_cndmask_b32_e64 v9, v34, v36, s5
	v_cndmask_b32_e32 v34, 0x3f490fdb, v32, vcc_lo
	s_and_b32 vcc_lo, s4, s35
	s_delay_alu instid0(VALU_DEP_1) | instskip(SKIP_1) | instid1(VALU_DEP_2)
	v_cndmask_b32_e32 v9, v9, v34, vcc_lo
	v_cmp_o_f32_e32 vcc_lo, v33, v33
	v_cndmask_b32_e64 v34, 0x7fc00000, |v9|, vcc_lo
.LBB69_400:                             ;   in Loop: Header=BB69_217 Depth=1
	s_or_b32 exec_lo, exec_lo, s34
                                        ; implicit-def: $vgpr9
	s_and_not1_saveexec_b32 s4, s33
	s_cbranch_execnz .LBB69_402
	s_branch .LBB69_403
.LBB69_401:                             ;   in Loop: Header=BB69_217 Depth=1
	s_and_not1_saveexec_b32 s4, s33
	s_cbranch_execz .LBB69_403
.LBB69_402:                             ;   in Loop: Header=BB69_217 Depth=1
	v_max_f32_e32 v33, 2.0, v9
	v_min_f32_e32 v9, 2.0, v9
	v_cmp_lt_f32_e64 vcc_lo, |v4|, 2.0
	s_delay_alu instid0(VALU_DEP_3) | instskip(NEXT) | instid1(VALU_DEP_3)
	v_frexp_mant_f32_e32 v34, v33
	v_frexp_mant_f32_e32 v35, v9
	v_frexp_exp_i32_f32_e32 v9, v9
	s_delay_alu instid0(VALU_DEP_3) | instskip(SKIP_3) | instid1(VALU_DEP_1)
	v_rcp_f32_e32 v34, v34
	s_waitcnt_depctr 0xfff
	v_mul_f32_e32 v34, v35, v34
	v_frexp_exp_i32_f32_e32 v33, v33
	v_sub_nc_u32_e32 v9, v9, v33
	s_delay_alu instid0(VALU_DEP_1) | instskip(NEXT) | instid1(VALU_DEP_1)
	v_ldexp_f32 v9, v34, v9
	v_mul_f32_e32 v33, v9, v9
	s_delay_alu instid0(VALU_DEP_1) | instskip(NEXT) | instid1(VALU_DEP_1)
	v_fmaak_f32 v34, s27, v33, 0xbc7a590c
	v_fmaak_f32 v34, v33, v34, 0x3d29fb3f
	s_delay_alu instid0(VALU_DEP_1) | instskip(NEXT) | instid1(VALU_DEP_1)
	v_fmaak_f32 v34, v33, v34, 0xbd97d4d7
	v_fmaak_f32 v34, v33, v34, 0x3dd931b2
	;; [unrolled: 3-line block ×3, first 2 shown]
	s_delay_alu instid0(VALU_DEP_1) | instskip(NEXT) | instid1(VALU_DEP_1)
	v_fmaak_f32 v34, v33, v34, 0xbeaaaa62
	v_mul_f32_e32 v33, v33, v34
	s_delay_alu instid0(VALU_DEP_1) | instskip(NEXT) | instid1(VALU_DEP_1)
	v_fmac_f32_e32 v9, v9, v33
	v_sub_f32_e32 v33, 0x3fc90fdb, v9
	s_delay_alu instid0(VALU_DEP_1) | instskip(SKIP_1) | instid1(VALU_DEP_2)
	v_cndmask_b32_e32 v9, v9, v33, vcc_lo
	v_cmp_lg_f32_e32 vcc_lo, 0, v4
	v_sub_f32_e32 v33, 0x40490fdb, v9
	s_delay_alu instid0(VALU_DEP_1) | instskip(NEXT) | instid1(VALU_DEP_1)
	v_cndmask_b32_e32 v9, v9, v33, vcc_lo
	v_and_b32_e32 v34, 0x7fffffff, v9
.LBB69_403:                             ;   in Loop: Header=BB69_217 Depth=1
	s_or_b32 exec_lo, exec_lo, s4
	s_delay_alu instid0(VALU_DEP_1) | instskip(SKIP_1) | instid1(VALU_DEP_2)
	v_mul_f32_e32 v33, 0.5, v34
	v_bfi_b32 v9, 0x7fffffff, v8, v5
	v_bfi_b32 v8, 0x7fffffff, v33, v4
                                        ; implicit-def: $vgpr4
.LBB69_404:                             ;   in Loop: Header=BB69_217 Depth=1
	s_and_not1_saveexec_b32 s4, s31
	s_cbranch_execz .LBB69_406
; %bb.405:                              ;   in Loop: Header=BB69_217 Depth=1
	v_dual_mov_b32 v8, s14 :: v_dual_mov_b32 v9, s15
	flat_store_b32 v[8:9], v31 dlc
	s_waitcnt_vscnt null, 0x0
	flat_load_b32 v8, v[8:9] glc dlc
	s_waitcnt vmcnt(0) lgkmcnt(0)
	v_dual_add_f32 v33, 1.0, v8 :: v_dual_mov_b32 v8, s16
	v_mov_b32_e32 v9, s17
	flat_store_b32 v[8:9], v33 dlc
	s_waitcnt_vscnt null, 0x0
	flat_load_b32 v8, v[8:9] glc dlc
	s_waitcnt vmcnt(0) lgkmcnt(0)
	v_dual_mov_b32 v8, v4 :: v_dual_mov_b32 v9, v5
.LBB69_406:                             ;   in Loop: Header=BB69_217 Depth=1
	s_or_b32 exec_lo, exec_lo, s4
                                        ; implicit-def: $vgpr4
.LBB69_407:                             ;   in Loop: Header=BB69_217 Depth=1
	s_and_not1_saveexec_b32 s4, s30
	s_cbranch_execz .LBB69_421
; %bb.408:                              ;   in Loop: Header=BB69_217 Depth=1
	v_and_b32_e32 v8, 0x7f800000, v5
	v_and_b32_e32 v33, 0x7f800000, v4
	v_cmp_neq_f32_e64 s5, 0x7f800000, |v5|
	s_delay_alu instid0(VALU_DEP_2) | instskip(NEXT) | instid1(VALU_DEP_1)
	v_sub_nc_u32_e32 v9, v8, v33
	v_cmp_gt_i32_e32 vcc_lo, 0x6800000, v9
                                        ; implicit-def: $vgpr9
	s_delay_alu instid0(VALU_DEP_3) | instskip(NEXT) | instid1(SALU_CYCLE_1)
	s_and_b32 s5, s5, vcc_lo
	s_and_saveexec_b32 s30, s5
	s_delay_alu instid0(SALU_CYCLE_1)
	s_xor_b32 s5, exec_lo, s30
	s_cbranch_execz .LBB69_418
; %bb.409:                              ;   in Loop: Header=BB69_217 Depth=1
	v_sub_nc_u32_e32 v9, v33, v8
	s_delay_alu instid0(VALU_DEP_1) | instskip(SKIP_1) | instid1(SALU_CYCLE_1)
	v_cmp_gt_i32_e32 vcc_lo, 0x6800000, v9
                                        ; implicit-def: $vgpr9
	s_and_saveexec_b32 s30, vcc_lo
	s_xor_b32 s30, exec_lo, s30
	s_cbranch_execz .LBB69_415
; %bb.410:                              ;   in Loop: Header=BB69_217 Depth=1
	s_mov_b32 s31, exec_lo
                                        ; implicit-def: $vgpr9
	v_cmpx_lt_u32_e32 0x59000000, v8
	s_xor_b32 s31, exec_lo, s31
	s_cbranch_execz .LBB69_412
; %bb.411:                              ;   in Loop: Header=BB69_217 Depth=1
	v_sub_nc_u32_e32 v8, 0x7f800000, v8
	s_delay_alu instid0(VALU_DEP_1) | instskip(SKIP_1) | instid1(VALU_DEP_2)
	v_mul_f32_e32 v9, v4, v8
	v_mul_f32_e32 v5, v5, v8
	;; [unrolled: 1-line block ×3, first 2 shown]
	s_delay_alu instid0(VALU_DEP_1) | instskip(NEXT) | instid1(VALU_DEP_1)
	v_fmac_f32_e32 v9, v5, v5
	v_div_scale_f32 v33, null, v9, v9, v5
	s_delay_alu instid0(VALU_DEP_1) | instskip(SKIP_2) | instid1(VALU_DEP_1)
	v_rcp_f32_e32 v34, v33
	s_waitcnt_depctr 0xfff
	v_fma_f32 v35, -v33, v34, 1.0
	v_fmac_f32_e32 v34, v35, v34
	v_div_scale_f32 v35, vcc_lo, v5, v9, v5
	s_delay_alu instid0(VALU_DEP_1) | instskip(NEXT) | instid1(VALU_DEP_1)
	v_mul_f32_e32 v36, v35, v34
	v_fma_f32 v37, -v33, v36, v35
	s_delay_alu instid0(VALU_DEP_1) | instskip(NEXT) | instid1(VALU_DEP_1)
	v_fmac_f32_e32 v36, v37, v34
	v_fma_f32 v33, -v33, v36, v35
	s_delay_alu instid0(VALU_DEP_1) | instskip(NEXT) | instid1(VALU_DEP_1)
	v_div_fmas_f32 v33, v33, v34, v36
	v_div_fixup_f32 v5, v33, v9, v5
	s_delay_alu instid0(VALU_DEP_1)
	v_mul_f32_e32 v9, v5, v8
.LBB69_412:                             ;   in Loop: Header=BB69_217 Depth=1
	s_and_not1_saveexec_b32 s31, s31
	s_cbranch_execz .LBB69_414
; %bb.413:                              ;   in Loop: Header=BB69_217 Depth=1
	v_mul_f32_e32 v8, v4, v4
	s_delay_alu instid0(VALU_DEP_1) | instskip(NEXT) | instid1(VALU_DEP_1)
	v_fmac_f32_e32 v8, v5, v5
	v_div_scale_f32 v9, null, v8, v8, v5
	s_delay_alu instid0(VALU_DEP_1) | instskip(SKIP_2) | instid1(VALU_DEP_1)
	v_rcp_f32_e32 v33, v9
	s_waitcnt_depctr 0xfff
	v_fma_f32 v34, -v9, v33, 1.0
	v_fmac_f32_e32 v33, v34, v33
	v_div_scale_f32 v34, vcc_lo, v5, v8, v5
	s_delay_alu instid0(VALU_DEP_1) | instskip(NEXT) | instid1(VALU_DEP_1)
	v_mul_f32_e32 v35, v34, v33
	v_fma_f32 v36, -v9, v35, v34
	s_delay_alu instid0(VALU_DEP_1) | instskip(NEXT) | instid1(VALU_DEP_1)
	v_fmac_f32_e32 v35, v36, v33
	v_fma_f32 v9, -v9, v35, v34
	s_delay_alu instid0(VALU_DEP_1) | instskip(NEXT) | instid1(VALU_DEP_1)
	v_div_fmas_f32 v9, v9, v33, v35
	v_div_fixup_f32 v9, v9, v8, v5
.LBB69_414:                             ;   in Loop: Header=BB69_217 Depth=1
	s_or_b32 exec_lo, exec_lo, s31
.LBB69_415:                             ;   in Loop: Header=BB69_217 Depth=1
	s_and_not1_saveexec_b32 s30, s30
	s_cbranch_execz .LBB69_417
; %bb.416:                              ;   in Loop: Header=BB69_217 Depth=1
	v_div_scale_f32 v8, null, v4, v4, v5
	v_div_scale_f32 v34, vcc_lo, v5, v4, v5
	s_delay_alu instid0(VALU_DEP_2) | instskip(SKIP_2) | instid1(VALU_DEP_1)
	v_rcp_f32_e32 v9, v8
	s_waitcnt_depctr 0xfff
	v_fma_f32 v33, -v8, v9, 1.0
	v_fmac_f32_e32 v9, v33, v9
	s_delay_alu instid0(VALU_DEP_1) | instskip(NEXT) | instid1(VALU_DEP_1)
	v_mul_f32_e32 v33, v34, v9
	v_fma_f32 v35, -v8, v33, v34
	s_delay_alu instid0(VALU_DEP_1) | instskip(NEXT) | instid1(VALU_DEP_1)
	v_fmac_f32_e32 v33, v35, v9
	v_fma_f32 v8, -v8, v33, v34
	s_delay_alu instid0(VALU_DEP_1) | instskip(NEXT) | instid1(VALU_DEP_1)
	v_div_fmas_f32 v8, v8, v9, v33
	v_div_fixup_f32 v5, v8, v4, v5
	s_delay_alu instid0(VALU_DEP_1) | instskip(NEXT) | instid1(VALU_DEP_1)
	v_div_scale_f32 v8, null, v4, v4, v5
	v_rcp_f32_e32 v9, v8
	s_waitcnt_depctr 0xfff
	v_fma_f32 v33, -v8, v9, 1.0
	s_delay_alu instid0(VALU_DEP_1) | instskip(SKIP_1) | instid1(VALU_DEP_1)
	v_fmac_f32_e32 v9, v33, v9
	v_div_scale_f32 v33, vcc_lo, v5, v4, v5
	v_mul_f32_e32 v34, v33, v9
	s_delay_alu instid0(VALU_DEP_1) | instskip(NEXT) | instid1(VALU_DEP_1)
	v_fma_f32 v35, -v8, v34, v33
	v_fmac_f32_e32 v34, v35, v9
	s_delay_alu instid0(VALU_DEP_1) | instskip(NEXT) | instid1(VALU_DEP_1)
	v_fma_f32 v8, -v8, v34, v33
	v_div_fmas_f32 v8, v8, v9, v34
	s_delay_alu instid0(VALU_DEP_1)
	v_div_fixup_f32 v9, v8, v4, v5
.LBB69_417:                             ;   in Loop: Header=BB69_217 Depth=1
	s_or_b32 exec_lo, exec_lo, s30
.LBB69_418:                             ;   in Loop: Header=BB69_217 Depth=1
	s_and_not1_saveexec_b32 s5, s5
; %bb.419:                              ;   in Loop: Header=BB69_217 Depth=1
	v_div_scale_f32 v8, null, v5, v5, 1.0
	s_delay_alu instid0(VALU_DEP_1) | instskip(SKIP_2) | instid1(VALU_DEP_1)
	v_rcp_f32_e32 v9, v8
	s_waitcnt_depctr 0xfff
	v_fma_f32 v33, -v8, v9, 1.0
	v_fmac_f32_e32 v9, v33, v9
	v_div_scale_f32 v33, vcc_lo, 1.0, v5, 1.0
	s_delay_alu instid0(VALU_DEP_1) | instskip(NEXT) | instid1(VALU_DEP_1)
	v_mul_f32_e32 v34, v33, v9
	v_fma_f32 v35, -v8, v34, v33
	s_delay_alu instid0(VALU_DEP_1) | instskip(NEXT) | instid1(VALU_DEP_1)
	v_fmac_f32_e32 v34, v35, v9
	v_fma_f32 v8, -v8, v34, v33
	s_delay_alu instid0(VALU_DEP_1) | instskip(NEXT) | instid1(VALU_DEP_1)
	v_div_fmas_f32 v8, v8, v9, v34
	v_div_fixup_f32 v9, v8, v5, 1.0
; %bb.420:                              ;   in Loop: Header=BB69_217 Depth=1
	s_or_b32 exec_lo, exec_lo, s5
	v_dual_mov_b32 v34, s13 :: v_dual_mov_b32 v33, s12
	flat_load_b32 v5, v[33:34] glc dlc
	s_waitcnt vmcnt(0) lgkmcnt(0)
	v_add_f32_e32 v5, 0x3fc90fdb, v5
	s_delay_alu instid0(VALU_DEP_1)
	v_bfi_b32 v8, 0x7fffffff, v5, v4
.LBB69_421:                             ;   in Loop: Header=BB69_217 Depth=1
	s_or_b32 exec_lo, exec_lo, s4
                                        ; implicit-def: $vgpr5
.LBB69_422:                             ;   in Loop: Header=BB69_217 Depth=1
	s_and_not1_saveexec_b32 s4, s29
	s_cbranch_execz .LBB69_432
; %bb.423:                              ;   in Loop: Header=BB69_217 Depth=1
	v_cmp_neq_f32_e64 s5, 0x7f800000, |v5|
                                        ; implicit-def: $vgpr8
	s_delay_alu instid0(VALU_DEP_1) | instskip(NEXT) | instid1(SALU_CYCLE_1)
	s_and_saveexec_b32 s29, s5
	s_xor_b32 s5, exec_lo, s29
	s_cbranch_execz .LBB69_429
; %bb.424:                              ;   in Loop: Header=BB69_217 Depth=1
	v_cmp_neq_f32_e64 s29, 0x7f800000, |v4|
                                        ; implicit-def: $vgpr8
	s_delay_alu instid0(VALU_DEP_1) | instskip(NEXT) | instid1(SALU_CYCLE_1)
	s_and_saveexec_b32 s30, s29
	s_xor_b32 s29, exec_lo, s30
; %bb.425:                              ;   in Loop: Header=BB69_217 Depth=1
	v_add_f32_e32 v4, 0, v4
	s_delay_alu instid0(VALU_DEP_1)
	v_add_f32_e32 v8, v5, v4
                                        ; implicit-def: $vgpr5
; %bb.426:                              ;   in Loop: Header=BB69_217 Depth=1
	s_or_saveexec_b32 s29, s29
	s_delay_alu instid0(VALU_DEP_1)
	v_mov_b32_e32 v9, v8
	s_xor_b32 exec_lo, exec_lo, s29
	s_cbranch_execz .LBB69_428
; %bb.427:                              ;   in Loop: Header=BB69_217 Depth=1
	v_dual_mov_b32 v8, s12 :: v_dual_mov_b32 v9, s13
	flat_load_b32 v8, v[8:9] glc dlc
	s_waitcnt vmcnt(0)
	v_bfi_b32 v9, 0x7fffffff, 0, v5
	s_waitcnt lgkmcnt(0)
	v_add_f32_e32 v8, 0x3fc90fdb, v8
	s_delay_alu instid0(VALU_DEP_1)
	v_bfi_b32 v8, 0x7fffffff, v8, v4
.LBB69_428:                             ;   in Loop: Header=BB69_217 Depth=1
	s_or_b32 exec_lo, exec_lo, s29
                                        ; implicit-def: $vgpr5
.LBB69_429:                             ;   in Loop: Header=BB69_217 Depth=1
	s_and_not1_saveexec_b32 s5, s5
; %bb.430:                              ;   in Loop: Header=BB69_217 Depth=1
	v_bfi_b32 v9, 0x7fffffff, 0, v5
	v_add_f32_e32 v8, v4, v4
; %bb.431:                              ;   in Loop: Header=BB69_217 Depth=1
	s_or_b32 exec_lo, exec_lo, s5
.LBB69_432:                             ;   in Loop: Header=BB69_217 Depth=1
	s_delay_alu instid0(SALU_CYCLE_1)
	s_or_b32 exec_lo, exec_lo, s4
                                        ; implicit-def: $vgpr4
.LBB69_433:                             ;   in Loop: Header=BB69_217 Depth=1
	s_and_not1_saveexec_b32 s4, s28
	s_cbranch_execz .LBB69_435
; %bb.434:                              ;   in Loop: Header=BB69_217 Depth=1
	v_rcp_f32_e64 v8, |v4|
	v_cmp_gt_f32_e64 vcc_lo, |v4|, 1.0
	s_waitcnt_depctr 0xfff
	v_cndmask_b32_e64 v8, |v4|, v8, vcc_lo
	s_delay_alu instid0(VALU_DEP_1) | instskip(NEXT) | instid1(VALU_DEP_1)
	v_mul_f32_e32 v9, v8, v8
	v_fmaak_f32 v33, s27, v9, 0xbc7a590c
	s_delay_alu instid0(VALU_DEP_1) | instskip(NEXT) | instid1(VALU_DEP_1)
	v_fmaak_f32 v33, v9, v33, 0x3d29fb3f
	v_fmaak_f32 v33, v9, v33, 0xbd97d4d7
	s_delay_alu instid0(VALU_DEP_1) | instskip(NEXT) | instid1(VALU_DEP_1)
	v_fmaak_f32 v33, v9, v33, 0x3dd931b2
	;; [unrolled: 3-line block ×3, first 2 shown]
	v_fmaak_f32 v33, v9, v33, 0xbeaaaa62
	s_delay_alu instid0(VALU_DEP_1) | instskip(NEXT) | instid1(VALU_DEP_1)
	v_mul_f32_e32 v9, v9, v33
	v_fmac_f32_e32 v8, v8, v9
	s_delay_alu instid0(VALU_DEP_1) | instskip(NEXT) | instid1(VALU_DEP_1)
	v_sub_f32_e32 v9, 0x3fc90fdb, v8
	v_dual_cndmask_b32 v8, v8, v9 :: v_dual_mov_b32 v9, v5
	s_delay_alu instid0(VALU_DEP_1)
	v_bfi_b32 v8, 0x7fffffff, v8, v4
.LBB69_435:                             ;   in Loop: Header=BB69_217 Depth=1
	s_or_b32 exec_lo, exec_lo, s4
                                        ; implicit-def: $vgpr5
	s_and_not1_saveexec_b32 s4, s11
	s_cbranch_execnz .LBB69_389
.LBB69_436:                             ;   in Loop: Header=BB69_217 Depth=1
	s_or_b32 exec_lo, exec_lo, s4
	s_and_saveexec_b32 s4, s0
	s_delay_alu instid0(SALU_CYCLE_1)
	s_xor_b32 s0, exec_lo, s4
	s_cbranch_execz .LBB69_390
.LBB69_437:                             ;   in Loop: Header=BB69_217 Depth=1
	v_add_co_u32 v4, vcc_lo, v16, s6
	v_add_co_ci_u32_e32 v5, vcc_lo, s7, v17, vcc_lo
	global_store_b64 v[4:5], v[6:7], off offset:-4
	s_or_b32 exec_lo, exec_lo, s0
	s_and_saveexec_b32 s0, s1
	s_cbranch_execnz .LBB69_391
.LBB69_438:                             ;   in Loop: Header=BB69_217 Depth=1
	s_or_b32 exec_lo, exec_lo, s0
	s_and_saveexec_b32 s0, s2
	s_cbranch_execz .LBB69_392
.LBB69_439:                             ;   in Loop: Header=BB69_217 Depth=1
	v_add_co_u32 v4, vcc_lo, v28, s6
	v_add_co_ci_u32_e32 v5, vcc_lo, s7, v29, vcc_lo
	global_store_b64 v[4:5], v[12:13], off offset:-4
	s_or_b32 exec_lo, exec_lo, s0
	s_and_saveexec_b32 s0, s3
	s_cbranch_execz .LBB69_216
.LBB69_440:                             ;   in Loop: Header=BB69_217 Depth=1
	v_add_co_u32 v4, vcc_lo, v24, s6
	v_add_co_ci_u32_e32 v5, vcc_lo, s7, v25, vcc_lo
	global_store_b64 v[4:5], v[8:9], off offset:-4
	s_branch .LBB69_216
.LBB69_441:
	s_endpgm
	.section	.rodata,"a",@progbits
	.p2align	6, 0x0
	.amdhsa_kernel _ZN2at6native12_GLOBAL__N_125multi_tensor_apply_kernelINS1_18TensorListMetadataILi2EEENS1_14UnaryOpFunctorIN3c107complexIfEELi2ELi1ELi1EEEJNS0_4AtanIS8_EEEEEvT_T0_DpT1_
		.amdhsa_group_segment_fixed_size 0
		.amdhsa_private_segment_fixed_size 16
		.amdhsa_kernarg_size 3408
		.amdhsa_user_sgpr_count 15
		.amdhsa_user_sgpr_dispatch_ptr 0
		.amdhsa_user_sgpr_queue_ptr 0
		.amdhsa_user_sgpr_kernarg_segment_ptr 1
		.amdhsa_user_sgpr_dispatch_id 0
		.amdhsa_user_sgpr_private_segment_size 0
		.amdhsa_wavefront_size32 1
		.amdhsa_uses_dynamic_stack 0
		.amdhsa_enable_private_segment 1
		.amdhsa_system_sgpr_workgroup_id_x 1
		.amdhsa_system_sgpr_workgroup_id_y 0
		.amdhsa_system_sgpr_workgroup_id_z 0
		.amdhsa_system_sgpr_workgroup_info 0
		.amdhsa_system_vgpr_workitem_id 0
		.amdhsa_next_free_vgpr 45
		.amdhsa_next_free_sgpr 37
		.amdhsa_reserve_vcc 1
		.amdhsa_float_round_mode_32 0
		.amdhsa_float_round_mode_16_64 0
		.amdhsa_float_denorm_mode_32 3
		.amdhsa_float_denorm_mode_16_64 3
		.amdhsa_dx10_clamp 1
		.amdhsa_ieee_mode 1
		.amdhsa_fp16_overflow 0
		.amdhsa_workgroup_processor_mode 1
		.amdhsa_memory_ordered 1
		.amdhsa_forward_progress 0
		.amdhsa_shared_vgpr_count 0
		.amdhsa_exception_fp_ieee_invalid_op 0
		.amdhsa_exception_fp_denorm_src 0
		.amdhsa_exception_fp_ieee_div_zero 0
		.amdhsa_exception_fp_ieee_overflow 0
		.amdhsa_exception_fp_ieee_underflow 0
		.amdhsa_exception_fp_ieee_inexact 0
		.amdhsa_exception_int_div_zero 0
	.end_amdhsa_kernel
	.section	.text._ZN2at6native12_GLOBAL__N_125multi_tensor_apply_kernelINS1_18TensorListMetadataILi2EEENS1_14UnaryOpFunctorIN3c107complexIfEELi2ELi1ELi1EEEJNS0_4AtanIS8_EEEEEvT_T0_DpT1_,"axG",@progbits,_ZN2at6native12_GLOBAL__N_125multi_tensor_apply_kernelINS1_18TensorListMetadataILi2EEENS1_14UnaryOpFunctorIN3c107complexIfEELi2ELi1ELi1EEEJNS0_4AtanIS8_EEEEEvT_T0_DpT1_,comdat
.Lfunc_end69:
	.size	_ZN2at6native12_GLOBAL__N_125multi_tensor_apply_kernelINS1_18TensorListMetadataILi2EEENS1_14UnaryOpFunctorIN3c107complexIfEELi2ELi1ELi1EEEJNS0_4AtanIS8_EEEEEvT_T0_DpT1_, .Lfunc_end69-_ZN2at6native12_GLOBAL__N_125multi_tensor_apply_kernelINS1_18TensorListMetadataILi2EEENS1_14UnaryOpFunctorIN3c107complexIfEELi2ELi1ELi1EEEJNS0_4AtanIS8_EEEEEvT_T0_DpT1_
                                        ; -- End function
	.section	.AMDGPU.csdata,"",@progbits
; Kernel info:
; codeLenInByte = 34972
; NumSgprs: 39
; NumVgprs: 45
; ScratchSize: 16
; MemoryBound: 0
; FloatMode: 240
; IeeeMode: 1
; LDSByteSize: 0 bytes/workgroup (compile time only)
; SGPRBlocks: 4
; VGPRBlocks: 5
; NumSGPRsForWavesPerEU: 39
; NumVGPRsForWavesPerEU: 45
; Occupancy: 16
; WaveLimiterHint : 0
; COMPUTE_PGM_RSRC2:SCRATCH_EN: 1
; COMPUTE_PGM_RSRC2:USER_SGPR: 15
; COMPUTE_PGM_RSRC2:TRAP_HANDLER: 0
; COMPUTE_PGM_RSRC2:TGID_X_EN: 1
; COMPUTE_PGM_RSRC2:TGID_Y_EN: 0
; COMPUTE_PGM_RSRC2:TGID_Z_EN: 0
; COMPUTE_PGM_RSRC2:TIDIG_COMP_CNT: 0
	.section	.text._ZN2at6native12_GLOBAL__N_125multi_tensor_apply_kernelINS1_18TensorListMetadataILi2EEENS1_14UnaryOpFunctorIN3c104HalfELi2ELi1ELi1EEEJNS0_4AtanIfEEEEEvT_T0_DpT1_,"axG",@progbits,_ZN2at6native12_GLOBAL__N_125multi_tensor_apply_kernelINS1_18TensorListMetadataILi2EEENS1_14UnaryOpFunctorIN3c104HalfELi2ELi1ELi1EEEJNS0_4AtanIfEEEEEvT_T0_DpT1_,comdat
	.globl	_ZN2at6native12_GLOBAL__N_125multi_tensor_apply_kernelINS1_18TensorListMetadataILi2EEENS1_14UnaryOpFunctorIN3c104HalfELi2ELi1ELi1EEEJNS0_4AtanIfEEEEEvT_T0_DpT1_ ; -- Begin function _ZN2at6native12_GLOBAL__N_125multi_tensor_apply_kernelINS1_18TensorListMetadataILi2EEENS1_14UnaryOpFunctorIN3c104HalfELi2ELi1ELi1EEEJNS0_4AtanIfEEEEEvT_T0_DpT1_
	.p2align	8
	.type	_ZN2at6native12_GLOBAL__N_125multi_tensor_apply_kernelINS1_18TensorListMetadataILi2EEENS1_14UnaryOpFunctorIN3c104HalfELi2ELi1ELi1EEEJNS0_4AtanIfEEEEEvT_T0_DpT1_,@function
_ZN2at6native12_GLOBAL__N_125multi_tensor_apply_kernelINS1_18TensorListMetadataILi2EEENS1_14UnaryOpFunctorIN3c104HalfELi2ELi1ELi1EEEJNS0_4AtanIfEEEEEvT_T0_DpT1_: ; @_ZN2at6native12_GLOBAL__N_125multi_tensor_apply_kernelINS1_18TensorListMetadataILi2EEENS1_14UnaryOpFunctorIN3c104HalfELi2ELi1ELi1EEEJNS0_4AtanIfEEEEEvT_T0_DpT1_
; %bb.0:
	v_mov_b32_e32 v1, s15
	s_add_u32 s2, s0, s15
	s_mul_hi_u32 s3, s15, 3
	s_mul_i32 s15, s15, 3
	s_addc_u32 s4, s1, 0
	global_load_u8 v1, v1, s[0:1] offset:1536
	s_add_u32 s2, s2, s15
	s_addc_u32 s3, s4, s3
	s_mov_b32 s7, 0
	s_load_b32 s2, s[2:3], 0x740
	s_mov_b32 s11, s7
	s_mov_b32 s21, s7
	s_waitcnt vmcnt(0)
	v_readfirstlane_b32 s5, v1
	s_delay_alu instid0(VALU_DEP_1)
	s_lshl_b32 s3, s5, 3
	s_clause 0x2
	s_load_b64 s[12:13], s[0:1], s3 offset:0x0
	s_load_b64 s[14:15], s[0:1], s3 offset:0x200
	;; [unrolled: 1-line block ×3, first 2 shown]
	s_waitcnt lgkmcnt(0)
	s_ashr_i32 s3, s2, 31
	s_delay_alu instid0(SALU_CYCLE_1) | instskip(NEXT) | instid1(SALU_CYCLE_1)
	s_lshl_b64 s[8:9], s[2:3], 17
	s_add_u32 s16, s12, s8
	s_addc_u32 s17, s13, s9
	s_and_b32 s6, s16, 7
	s_add_u32 s18, s14, s8
	s_addc_u32 s19, s15, s9
	s_and_b32 s10, s4, 3
	s_and_b32 s20, s18, 7
	s_or_b64 s[6:7], s[6:7], s[10:11]
	s_lshl_b64 s[2:3], s[2:3], 16
	s_or_b64 s[6:7], s[20:21], s[6:7]
	s_sub_u32 s10, s4, s2
	s_subb_u32 s11, s5, s3
	s_cmp_eq_u64 s[6:7], 0
	s_mov_b32 s2, -1
	s_cbranch_scc0 .LBB70_5
; %bb.1:
	v_dual_mov_b32 v2, 0 :: v_dual_lshlrev_b32 v1, 2, v0
	s_mov_b32 s20, exec_lo
	s_delay_alu instid0(VALU_DEP_1)
	v_cmpx_gt_i64_e64 s[10:11], v[1:2]
	s_cbranch_execz .LBB70_4
; %bb.2:
	s_load_b32 s2, s[0:1], 0xc5c
	v_lshlrev_b32_e32 v3, 3, v0
	s_mov_b32 s21, 0
	s_mov_b32 s24, 0x3b2d2a58
	s_waitcnt lgkmcnt(0)
	s_and_b32 s2, s2, 0xffff
	s_delay_alu instid0(SALU_CYCLE_1)
	v_add_lshl_u32 v1, v0, s2, 2
	s_lshl_b32 s22, s2, 2
	s_lshl_b32 s23, s2, 3
.LBB70_3:                               ; =>This Inner Loop Header: Depth=1
	v_add_co_u32 v4, s2, s16, v3
	s_delay_alu instid0(VALU_DEP_1) | instskip(SKIP_1) | instid1(VALU_DEP_1)
	v_add_co_ci_u32_e64 v5, null, s17, 0, s2
	v_add_co_u32 v6, s2, s18, v3
	v_add_co_ci_u32_e64 v7, null, s19, 0, s2
	global_load_b64 v[4:5], v[4:5], off
	v_cmp_le_i64_e32 vcc_lo, s[10:11], v[1:2]
	v_cmp_lt_u64_e64 s2, 0xffff, v[1:2]
	v_add_co_u32 v1, s3, v1, s22
	s_delay_alu instid0(VALU_DEP_1) | instskip(NEXT) | instid1(VALU_DEP_3)
	v_add_co_ci_u32_e64 v2, s3, 0, v2, s3
	s_or_b32 s2, vcc_lo, s2
	s_add_u32 s16, s16, s23
	s_addc_u32 s17, s17, 0
	s_add_u32 s18, s18, s23
	s_addc_u32 s19, s19, 0
	s_and_b32 s2, exec_lo, s2
	s_delay_alu instid0(SALU_CYCLE_1)
	s_or_b32 s21, s2, s21
	s_waitcnt vmcnt(0)
	v_lshrrev_b32_e32 v8, 16, v4
	v_lshrrev_b32_e32 v9, 16, v5
	v_cvt_f32_f16_e32 v10, v4
	v_cvt_f32_f16_e32 v11, v5
	s_delay_alu instid0(VALU_DEP_4) | instskip(NEXT) | instid1(VALU_DEP_4)
	v_cvt_f32_f16_e32 v12, v8
	v_cvt_f32_f16_e32 v13, v9
	s_delay_alu instid0(VALU_DEP_4) | instskip(NEXT) | instid1(VALU_DEP_3)
	v_rcp_f32_e64 v14, |v10|
	v_rcp_f32_e64 v15, |v11|
	v_cmp_gt_f32_e64 s4, |v11|, 1.0
	v_rcp_f32_e64 v16, |v12|
	v_rcp_f32_e64 v17, |v13|
	v_cmp_gt_f32_e64 s5, |v10|, 1.0
	v_cmp_gt_f32_e64 s6, |v12|, 1.0
	;; [unrolled: 1-line block ×3, first 2 shown]
	s_delay_alu instid0(VALU_DEP_3) | instskip(NEXT) | instid1(TRANS32_DEP_3)
	v_cndmask_b32_e64 v10, |v10|, v14, s5
	v_cndmask_b32_e64 v11, |v11|, v15, s4
	s_delay_alu instid0(TRANS32_DEP_2) | instid1(VALU_DEP_4)
	v_cndmask_b32_e64 v12, |v12|, v16, s6
	s_delay_alu instid0(TRANS32_DEP_1) | instid1(VALU_DEP_4)
	v_cndmask_b32_e64 v13, |v13|, v17, s7
	s_delay_alu instid0(VALU_DEP_3) | instskip(NEXT) | instid1(VALU_DEP_2)
	v_dual_mul_f32 v14, v10, v10 :: v_dual_mul_f32 v15, v11, v11
	v_dual_mul_f32 v16, v12, v12 :: v_dual_mul_f32 v17, v13, v13
	s_delay_alu instid0(VALU_DEP_2) | instskip(NEXT) | instid1(VALU_DEP_2)
	v_dual_fmaak_f32 v18, s24, v14, 0xbc7a590c :: v_dual_fmaak_f32 v19, s24, v15, 0xbc7a590c
	v_dual_fmaak_f32 v20, s24, v16, 0xbc7a590c :: v_dual_fmaak_f32 v21, s24, v17, 0xbc7a590c
	s_delay_alu instid0(VALU_DEP_2) | instskip(NEXT) | instid1(VALU_DEP_2)
	v_dual_fmaak_f32 v18, v14, v18, 0x3d29fb3f :: v_dual_fmaak_f32 v19, v15, v19, 0x3d29fb3f
	v_dual_fmaak_f32 v20, v16, v20, 0x3d29fb3f :: v_dual_fmaak_f32 v21, v17, v21, 0x3d29fb3f
	;; [unrolled: 3-line block ×7, first 2 shown]
	s_delay_alu instid0(VALU_DEP_2) | instskip(NEXT) | instid1(VALU_DEP_2)
	v_dual_mul_f32 v14, v14, v18 :: v_dual_mul_f32 v15, v15, v19
	v_dual_mul_f32 v16, v16, v20 :: v_dual_mul_f32 v17, v17, v21
	s_delay_alu instid0(VALU_DEP_2) | instskip(NEXT) | instid1(VALU_DEP_2)
	v_dual_fmac_f32 v10, v10, v14 :: v_dual_fmac_f32 v11, v11, v15
	v_dual_fmac_f32 v12, v12, v16 :: v_dual_fmac_f32 v13, v13, v17
	s_delay_alu instid0(VALU_DEP_2) | instskip(NEXT) | instid1(VALU_DEP_2)
	v_dual_sub_f32 v14, 0x3fc90fdb, v10 :: v_dual_sub_f32 v15, 0x3fc90fdb, v11
	v_dual_sub_f32 v16, 0x3fc90fdb, v12 :: v_dual_sub_f32 v17, 0x3fc90fdb, v13
	s_delay_alu instid0(VALU_DEP_2) | instskip(NEXT) | instid1(VALU_DEP_3)
	v_cndmask_b32_e64 v10, v10, v14, s5
	v_cndmask_b32_e64 v11, v11, v15, s4
	s_delay_alu instid0(VALU_DEP_3) | instskip(NEXT) | instid1(VALU_DEP_4)
	v_cndmask_b32_e64 v12, v12, v16, s6
	v_cndmask_b32_e64 v13, v13, v17, s7
	s_delay_alu instid0(VALU_DEP_4) | instskip(NEXT) | instid1(VALU_DEP_4)
	v_cvt_f16_f32_e32 v10, v10
	v_cvt_f16_f32_e32 v11, v11
	s_delay_alu instid0(VALU_DEP_4) | instskip(NEXT) | instid1(VALU_DEP_4)
	v_cvt_f16_f32_e32 v12, v12
	v_cvt_f16_f32_e32 v13, v13
	s_delay_alu instid0(VALU_DEP_4) | instskip(NEXT) | instid1(VALU_DEP_4)
	v_bfi_b32 v4, 0x7fff, v10, v4
	v_bfi_b32 v5, 0x7fff, v11, v5
	s_delay_alu instid0(VALU_DEP_4) | instskip(NEXT) | instid1(VALU_DEP_4)
	v_bfi_b32 v8, 0x7fff, v12, v8
	v_bfi_b32 v9, 0x7fff, v13, v9
	s_delay_alu instid0(VALU_DEP_2) | instskip(NEXT) | instid1(VALU_DEP_2)
	v_pack_b32_f16 v4, v4, v8
	v_pack_b32_f16 v5, v5, v9
	global_store_b64 v[6:7], v[4:5], off
	s_and_not1_b32 exec_lo, exec_lo, s21
	s_cbranch_execnz .LBB70_3
.LBB70_4:
	s_or_b32 exec_lo, exec_lo, s20
	s_mov_b32 s2, 0
.LBB70_5:
	s_delay_alu instid0(SALU_CYCLE_1)
	s_and_not1_b32 vcc_lo, exec_lo, s2
	s_cbranch_vccnz .LBB70_25
; %bb.6:
	v_cmp_lt_i64_e64 s2, s[10:11], 1
	s_delay_alu instid0(VALU_DEP_1)
	s_and_b32 vcc_lo, exec_lo, s2
	s_cbranch_vccnz .LBB70_25
; %bb.7:
	s_load_b32 s0, s[0:1], 0xc5c
	v_dual_mov_b32 v10, 0 :: v_dual_lshlrev_b32 v9, 1, v0
	v_cmp_gt_u64_e64 s1, 0x10000, s[10:11]
	s_mov_b64 s[6:7], 0
	s_delay_alu instid0(VALU_DEP_2) | instskip(NEXT) | instid1(VALU_DEP_1)
	v_add_co_u32 v1, s2, s12, v9
	v_add_co_ci_u32_e64 v2, null, s13, 0, s2
	v_add_co_u32 v3, s2, s14, v9
	s_delay_alu instid0(VALU_DEP_1)
	v_add_co_ci_u32_e64 v4, null, s15, 0, s2
	s_waitcnt lgkmcnt(0)
	s_and_b32 s0, s0, 0xffff
	s_and_b32 s1, s1, exec_lo
	v_mad_u64_u32 v[7:8], null, s0, 6, v[9:10]
	s_cselect_b32 s5, s11, 0
	s_cselect_b32 s4, s10, 0x10000
	s_mul_i32 s2, s0, 3
	s_lshl_b32 s16, s0, 2
	s_lshl_b32 s1, s0, 1
	v_add_co_u32 v14, s3, s16, v9
	v_add_co_u32 v9, s2, s2, v0
	s_delay_alu instid0(VALU_DEP_1) | instskip(SKIP_3) | instid1(VALU_DEP_3)
	v_add_co_ci_u32_e64 v10, null, 0, 0, s2
	v_add_co_u32 v13, s2, v0, s0
	v_add_co_u32 v5, vcc_lo, s12, v7
	v_add_co_ci_u32_e32 v6, vcc_lo, s13, v8, vcc_lo
	v_lshlrev_b32_e32 v21, 1, v13
	v_add_co_u32 v7, vcc_lo, s14, v7
	v_add_co_ci_u32_e64 v15, null, 0, 0, s3
	v_add_co_ci_u32_e32 v8, vcc_lo, s15, v8, vcc_lo
	v_add_co_u32 v17, s1, s1, v0
	v_add_co_u32 v11, vcc_lo, s12, v14
	v_add_co_ci_u32_e64 v18, null, 0, 0, s1
	v_add_co_u32 v19, s1, s12, v21
	v_add_co_ci_u32_e32 v12, vcc_lo, s13, v15, vcc_lo
	v_add_co_u32 v14, vcc_lo, s14, v14
	v_add_co_ci_u32_e64 v20, null, s13, 0, s1
	v_add_co_u32 v21, s1, s14, v21
	v_add_co_ci_u32_e32 v15, vcc_lo, s15, v15, vcc_lo
	v_add_co_ci_u32_e64 v16, null, 0, 0, s2
	v_add_co_ci_u32_e64 v22, null, s15, 0, s1
	s_lshl_b32 s12, s0, 3
	s_mov_b32 s13, 0x3b2d2a58
	s_branch .LBB70_9
.LBB70_8:                               ;   in Loop: Header=BB70_9 Depth=1
	s_or_b32 exec_lo, exec_lo, s0
	v_add_co_u32 v1, vcc_lo, v1, s12
	v_add_co_ci_u32_e32 v2, vcc_lo, 0, v2, vcc_lo
	v_add_co_u32 v3, vcc_lo, v3, s12
	v_add_co_ci_u32_e32 v4, vcc_lo, 0, v4, vcc_lo
	;; [unrolled: 2-line block ×5, first 2 shown]
	s_add_u32 s6, s6, s16
	v_add_co_u32 v14, vcc_lo, v14, s12
	s_addc_u32 s7, s7, 0
	v_add_co_ci_u32_e32 v15, vcc_lo, 0, v15, vcc_lo
	v_cmp_ge_i64_e64 s0, s[6:7], s[10:11]
	v_cmp_lt_u64_e64 s1, 0xffff, s[6:7]
	v_add_co_u32 v19, vcc_lo, v19, s12
	v_add_co_ci_u32_e32 v20, vcc_lo, 0, v20, vcc_lo
	v_add_co_u32 v21, vcc_lo, v21, s12
	v_add_co_ci_u32_e32 v22, vcc_lo, 0, v22, vcc_lo
	s_or_b32 s0, s0, s1
	s_delay_alu instid0(SALU_CYCLE_1)
	s_and_b32 vcc_lo, exec_lo, s0
	s_cbranch_vccnz .LBB70_25
.LBB70_9:                               ; =>This Inner Loop Header: Depth=1
	s_waitcnt vmcnt(0)
	v_add_co_u32 v23, s0, v0, s6
	s_delay_alu instid0(VALU_DEP_1) | instskip(SKIP_1) | instid1(VALU_DEP_2)
	v_add_co_ci_u32_e64 v24, null, 0, s7, s0
	v_mov_b32_e32 v26, 0
	v_cmp_gt_u64_e64 s2, s[4:5], v[23:24]
	s_delay_alu instid0(VALU_DEP_1)
	s_and_saveexec_b32 s0, s2
	s_cbranch_execz .LBB70_11
; %bb.10:                               ;   in Loop: Header=BB70_9 Depth=1
	v_add_co_u32 v23, vcc_lo, v1, s8
	v_add_co_ci_u32_e32 v24, vcc_lo, s9, v2, vcc_lo
	global_load_u16 v26, v[23:24], off
.LBB70_11:                              ;   in Loop: Header=BB70_9 Depth=1
	s_or_b32 exec_lo, exec_lo, s0
	v_add_co_u32 v23, vcc_lo, v13, s6
	v_add_co_ci_u32_e32 v24, vcc_lo, s7, v16, vcc_lo
	v_mov_b32_e32 v25, 0
	s_delay_alu instid0(VALU_DEP_2) | instskip(NEXT) | instid1(VALU_DEP_1)
	v_cmp_gt_u64_e64 s1, s[4:5], v[23:24]
	s_and_saveexec_b32 s0, s1
	s_cbranch_execz .LBB70_13
; %bb.12:                               ;   in Loop: Header=BB70_9 Depth=1
	v_add_co_u32 v23, vcc_lo, v19, s8
	v_add_co_ci_u32_e32 v24, vcc_lo, s9, v20, vcc_lo
	global_load_u16 v25, v[23:24], off
.LBB70_13:                              ;   in Loop: Header=BB70_9 Depth=1
	s_or_b32 exec_lo, exec_lo, s0
	v_add_co_u32 v23, vcc_lo, v17, s6
	v_add_co_ci_u32_e32 v24, vcc_lo, s7, v18, vcc_lo
	s_delay_alu instid0(VALU_DEP_1) | instskip(SKIP_1) | instid1(VALU_DEP_2)
	v_cmp_gt_u64_e64 s0, s[4:5], v[23:24]
	v_dual_mov_b32 v23, 0 :: v_dual_mov_b32 v24, 0
	s_and_saveexec_b32 s3, s0
	s_cbranch_execz .LBB70_15
; %bb.14:                               ;   in Loop: Header=BB70_9 Depth=1
	v_add_co_u32 v27, vcc_lo, v11, s8
	v_add_co_ci_u32_e32 v28, vcc_lo, s9, v12, vcc_lo
	global_load_u16 v24, v[27:28], off
.LBB70_15:                              ;   in Loop: Header=BB70_9 Depth=1
	s_or_b32 exec_lo, exec_lo, s3
	v_add_co_u32 v27, vcc_lo, v9, s6
	v_add_co_ci_u32_e32 v28, vcc_lo, s7, v10, vcc_lo
	s_delay_alu instid0(VALU_DEP_1)
	v_cmp_gt_u64_e32 vcc_lo, s[4:5], v[27:28]
	s_and_saveexec_b32 s14, vcc_lo
	s_cbranch_execnz .LBB70_20
; %bb.16:                               ;   in Loop: Header=BB70_9 Depth=1
	s_or_b32 exec_lo, exec_lo, s14
	s_and_saveexec_b32 s3, s2
	s_cbranch_execnz .LBB70_21
.LBB70_17:                              ;   in Loop: Header=BB70_9 Depth=1
	s_or_b32 exec_lo, exec_lo, s3
	s_and_saveexec_b32 s2, s1
	s_cbranch_execnz .LBB70_22
.LBB70_18:                              ;   in Loop: Header=BB70_9 Depth=1
	s_or_b32 exec_lo, exec_lo, s2
	s_and_saveexec_b32 s1, s0
	s_cbranch_execnz .LBB70_23
.LBB70_19:                              ;   in Loop: Header=BB70_9 Depth=1
	s_or_b32 exec_lo, exec_lo, s1
	s_and_saveexec_b32 s0, vcc_lo
	s_cbranch_execz .LBB70_8
	s_branch .LBB70_24
.LBB70_20:                              ;   in Loop: Header=BB70_9 Depth=1
	v_add_co_u32 v27, s3, v5, s8
	s_delay_alu instid0(VALU_DEP_1)
	v_add_co_ci_u32_e64 v28, s3, s9, v6, s3
	global_load_u16 v23, v[27:28], off
	s_or_b32 exec_lo, exec_lo, s14
	s_and_saveexec_b32 s3, s2
	s_cbranch_execz .LBB70_17
.LBB70_21:                              ;   in Loop: Header=BB70_9 Depth=1
	s_waitcnt vmcnt(0)
	v_cvt_f32_f16_e32 v27, v26
	s_delay_alu instid0(VALU_DEP_1) | instskip(SKIP_3) | instid1(VALU_DEP_1)
	v_rcp_f32_e64 v28, |v27|
	v_cmp_gt_f32_e64 s2, |v27|, 1.0
	s_waitcnt_depctr 0xfff
	v_cndmask_b32_e64 v27, |v27|, v28, s2
	v_mul_f32_e32 v28, v27, v27
	s_delay_alu instid0(VALU_DEP_1) | instskip(NEXT) | instid1(VALU_DEP_1)
	v_fmaak_f32 v29, s13, v28, 0xbc7a590c
	v_fmaak_f32 v29, v28, v29, 0x3d29fb3f
	s_delay_alu instid0(VALU_DEP_1) | instskip(NEXT) | instid1(VALU_DEP_1)
	v_fmaak_f32 v29, v28, v29, 0xbd97d4d7
	v_fmaak_f32 v29, v28, v29, 0x3dd931b2
	;; [unrolled: 3-line block ×3, first 2 shown]
	s_delay_alu instid0(VALU_DEP_1) | instskip(NEXT) | instid1(VALU_DEP_1)
	v_fmaak_f32 v29, v28, v29, 0xbeaaaa62
	v_mul_f32_e32 v28, v28, v29
	s_delay_alu instid0(VALU_DEP_1) | instskip(NEXT) | instid1(VALU_DEP_1)
	v_fmac_f32_e32 v27, v27, v28
	v_sub_f32_e32 v28, 0x3fc90fdb, v27
	s_delay_alu instid0(VALU_DEP_1) | instskip(NEXT) | instid1(VALU_DEP_1)
	v_cndmask_b32_e64 v27, v27, v28, s2
	v_cvt_f16_f32_e32 v27, v27
	s_delay_alu instid0(VALU_DEP_1) | instskip(SKIP_1) | instid1(VALU_DEP_1)
	v_bfi_b32 v28, 0x7fff, v27, v26
	v_add_co_u32 v26, s2, v3, s8
	v_add_co_ci_u32_e64 v27, s2, s9, v4, s2
	global_store_b16 v[26:27], v28, off
	s_or_b32 exec_lo, exec_lo, s3
	s_and_saveexec_b32 s2, s1
	s_cbranch_execz .LBB70_18
.LBB70_22:                              ;   in Loop: Header=BB70_9 Depth=1
	s_waitcnt vmcnt(0)
	v_cvt_f32_f16_e32 v26, v25
	s_delay_alu instid0(VALU_DEP_1) | instskip(SKIP_3) | instid1(VALU_DEP_1)
	v_rcp_f32_e64 v27, |v26|
	v_cmp_gt_f32_e64 s1, |v26|, 1.0
	s_waitcnt_depctr 0xfff
	v_cndmask_b32_e64 v26, |v26|, v27, s1
	v_mul_f32_e32 v27, v26, v26
	s_delay_alu instid0(VALU_DEP_1) | instskip(NEXT) | instid1(VALU_DEP_1)
	v_fmaak_f32 v28, s13, v27, 0xbc7a590c
	v_fmaak_f32 v28, v27, v28, 0x3d29fb3f
	s_delay_alu instid0(VALU_DEP_1) | instskip(NEXT) | instid1(VALU_DEP_1)
	v_fmaak_f32 v28, v27, v28, 0xbd97d4d7
	v_fmaak_f32 v28, v27, v28, 0x3dd931b2
	;; [unrolled: 3-line block ×3, first 2 shown]
	s_delay_alu instid0(VALU_DEP_1) | instskip(NEXT) | instid1(VALU_DEP_1)
	v_fmaak_f32 v28, v27, v28, 0xbeaaaa62
	v_mul_f32_e32 v27, v27, v28
	s_delay_alu instid0(VALU_DEP_1) | instskip(NEXT) | instid1(VALU_DEP_1)
	v_fmac_f32_e32 v26, v26, v27
	v_sub_f32_e32 v27, 0x3fc90fdb, v26
	s_delay_alu instid0(VALU_DEP_1) | instskip(NEXT) | instid1(VALU_DEP_1)
	v_cndmask_b32_e64 v26, v26, v27, s1
	v_cvt_f16_f32_e32 v26, v26
	s_delay_alu instid0(VALU_DEP_1) | instskip(SKIP_1) | instid1(VALU_DEP_1)
	v_bfi_b32 v27, 0x7fff, v26, v25
	v_add_co_u32 v25, s1, v21, s8
	v_add_co_ci_u32_e64 v26, s1, s9, v22, s1
	global_store_b16 v[25:26], v27, off
	s_or_b32 exec_lo, exec_lo, s2
	s_and_saveexec_b32 s1, s0
	s_cbranch_execz .LBB70_19
.LBB70_23:                              ;   in Loop: Header=BB70_9 Depth=1
	s_waitcnt vmcnt(0)
	v_cvt_f32_f16_e32 v25, v24
	s_delay_alu instid0(VALU_DEP_1) | instskip(SKIP_3) | instid1(VALU_DEP_1)
	v_rcp_f32_e64 v26, |v25|
	v_cmp_gt_f32_e64 s0, |v25|, 1.0
	s_waitcnt_depctr 0xfff
	v_cndmask_b32_e64 v25, |v25|, v26, s0
	v_mul_f32_e32 v26, v25, v25
	s_delay_alu instid0(VALU_DEP_1) | instskip(NEXT) | instid1(VALU_DEP_1)
	v_fmaak_f32 v27, s13, v26, 0xbc7a590c
	v_fmaak_f32 v27, v26, v27, 0x3d29fb3f
	s_delay_alu instid0(VALU_DEP_1) | instskip(NEXT) | instid1(VALU_DEP_1)
	v_fmaak_f32 v27, v26, v27, 0xbd97d4d7
	v_fmaak_f32 v27, v26, v27, 0x3dd931b2
	;; [unrolled: 3-line block ×3, first 2 shown]
	s_delay_alu instid0(VALU_DEP_1) | instskip(NEXT) | instid1(VALU_DEP_1)
	v_fmaak_f32 v27, v26, v27, 0xbeaaaa62
	v_mul_f32_e32 v26, v26, v27
	s_delay_alu instid0(VALU_DEP_1) | instskip(NEXT) | instid1(VALU_DEP_1)
	v_fmac_f32_e32 v25, v25, v26
	v_sub_f32_e32 v26, 0x3fc90fdb, v25
	s_delay_alu instid0(VALU_DEP_1) | instskip(NEXT) | instid1(VALU_DEP_1)
	v_cndmask_b32_e64 v25, v25, v26, s0
	v_cvt_f16_f32_e32 v25, v25
	s_delay_alu instid0(VALU_DEP_1) | instskip(SKIP_1) | instid1(VALU_DEP_1)
	v_bfi_b32 v26, 0x7fff, v25, v24
	v_add_co_u32 v24, s0, v14, s8
	v_add_co_ci_u32_e64 v25, s0, s9, v15, s0
	global_store_b16 v[24:25], v26, off
	s_or_b32 exec_lo, exec_lo, s1
	s_and_saveexec_b32 s0, vcc_lo
	s_cbranch_execz .LBB70_8
.LBB70_24:                              ;   in Loop: Header=BB70_9 Depth=1
	s_waitcnt vmcnt(0)
	v_cvt_f32_f16_e32 v24, v23
	s_delay_alu instid0(VALU_DEP_1) | instskip(SKIP_3) | instid1(VALU_DEP_1)
	v_rcp_f32_e64 v25, |v24|
	v_cmp_gt_f32_e64 vcc_lo, |v24|, 1.0
	s_waitcnt_depctr 0xfff
	v_cndmask_b32_e64 v24, |v24|, v25, vcc_lo
	v_mul_f32_e32 v25, v24, v24
	s_delay_alu instid0(VALU_DEP_1) | instskip(NEXT) | instid1(VALU_DEP_1)
	v_fmaak_f32 v26, s13, v25, 0xbc7a590c
	v_fmaak_f32 v26, v25, v26, 0x3d29fb3f
	s_delay_alu instid0(VALU_DEP_1) | instskip(NEXT) | instid1(VALU_DEP_1)
	v_fmaak_f32 v26, v25, v26, 0xbd97d4d7
	v_fmaak_f32 v26, v25, v26, 0x3dd931b2
	;; [unrolled: 3-line block ×3, first 2 shown]
	s_delay_alu instid0(VALU_DEP_1) | instskip(NEXT) | instid1(VALU_DEP_1)
	v_fmaak_f32 v26, v25, v26, 0xbeaaaa62
	v_mul_f32_e32 v25, v25, v26
	s_delay_alu instid0(VALU_DEP_1) | instskip(NEXT) | instid1(VALU_DEP_1)
	v_fmac_f32_e32 v24, v24, v25
	v_sub_f32_e32 v25, 0x3fc90fdb, v24
	s_delay_alu instid0(VALU_DEP_1) | instskip(NEXT) | instid1(VALU_DEP_1)
	v_cndmask_b32_e32 v24, v24, v25, vcc_lo
	v_cvt_f16_f32_e32 v24, v24
	s_delay_alu instid0(VALU_DEP_1)
	v_bfi_b32 v25, 0x7fff, v24, v23
	v_add_co_u32 v23, vcc_lo, v7, s8
	v_add_co_ci_u32_e32 v24, vcc_lo, s9, v8, vcc_lo
	global_store_b16 v[23:24], v25, off
	s_branch .LBB70_8
.LBB70_25:
	s_nop 0
	s_sendmsg sendmsg(MSG_DEALLOC_VGPRS)
	s_endpgm
	.section	.rodata,"a",@progbits
	.p2align	6, 0x0
	.amdhsa_kernel _ZN2at6native12_GLOBAL__N_125multi_tensor_apply_kernelINS1_18TensorListMetadataILi2EEENS1_14UnaryOpFunctorIN3c104HalfELi2ELi1ELi1EEEJNS0_4AtanIfEEEEEvT_T0_DpT1_
		.amdhsa_group_segment_fixed_size 0
		.amdhsa_private_segment_fixed_size 0
		.amdhsa_kernarg_size 3408
		.amdhsa_user_sgpr_count 15
		.amdhsa_user_sgpr_dispatch_ptr 0
		.amdhsa_user_sgpr_queue_ptr 0
		.amdhsa_user_sgpr_kernarg_segment_ptr 1
		.amdhsa_user_sgpr_dispatch_id 0
		.amdhsa_user_sgpr_private_segment_size 0
		.amdhsa_wavefront_size32 1
		.amdhsa_uses_dynamic_stack 0
		.amdhsa_enable_private_segment 0
		.amdhsa_system_sgpr_workgroup_id_x 1
		.amdhsa_system_sgpr_workgroup_id_y 0
		.amdhsa_system_sgpr_workgroup_id_z 0
		.amdhsa_system_sgpr_workgroup_info 0
		.amdhsa_system_vgpr_workitem_id 0
		.amdhsa_next_free_vgpr 30
		.amdhsa_next_free_sgpr 25
		.amdhsa_reserve_vcc 1
		.amdhsa_float_round_mode_32 0
		.amdhsa_float_round_mode_16_64 0
		.amdhsa_float_denorm_mode_32 3
		.amdhsa_float_denorm_mode_16_64 3
		.amdhsa_dx10_clamp 1
		.amdhsa_ieee_mode 1
		.amdhsa_fp16_overflow 0
		.amdhsa_workgroup_processor_mode 1
		.amdhsa_memory_ordered 1
		.amdhsa_forward_progress 0
		.amdhsa_shared_vgpr_count 0
		.amdhsa_exception_fp_ieee_invalid_op 0
		.amdhsa_exception_fp_denorm_src 0
		.amdhsa_exception_fp_ieee_div_zero 0
		.amdhsa_exception_fp_ieee_overflow 0
		.amdhsa_exception_fp_ieee_underflow 0
		.amdhsa_exception_fp_ieee_inexact 0
		.amdhsa_exception_int_div_zero 0
	.end_amdhsa_kernel
	.section	.text._ZN2at6native12_GLOBAL__N_125multi_tensor_apply_kernelINS1_18TensorListMetadataILi2EEENS1_14UnaryOpFunctorIN3c104HalfELi2ELi1ELi1EEEJNS0_4AtanIfEEEEEvT_T0_DpT1_,"axG",@progbits,_ZN2at6native12_GLOBAL__N_125multi_tensor_apply_kernelINS1_18TensorListMetadataILi2EEENS1_14UnaryOpFunctorIN3c104HalfELi2ELi1ELi1EEEJNS0_4AtanIfEEEEEvT_T0_DpT1_,comdat
.Lfunc_end70:
	.size	_ZN2at6native12_GLOBAL__N_125multi_tensor_apply_kernelINS1_18TensorListMetadataILi2EEENS1_14UnaryOpFunctorIN3c104HalfELi2ELi1ELi1EEEJNS0_4AtanIfEEEEEvT_T0_DpT1_, .Lfunc_end70-_ZN2at6native12_GLOBAL__N_125multi_tensor_apply_kernelINS1_18TensorListMetadataILi2EEENS1_14UnaryOpFunctorIN3c104HalfELi2ELi1ELi1EEEJNS0_4AtanIfEEEEEvT_T0_DpT1_
                                        ; -- End function
	.section	.AMDGPU.csdata,"",@progbits
; Kernel info:
; codeLenInByte = 2556
; NumSgprs: 27
; NumVgprs: 30
; ScratchSize: 0
; MemoryBound: 0
; FloatMode: 240
; IeeeMode: 1
; LDSByteSize: 0 bytes/workgroup (compile time only)
; SGPRBlocks: 3
; VGPRBlocks: 3
; NumSGPRsForWavesPerEU: 27
; NumVGPRsForWavesPerEU: 30
; Occupancy: 16
; WaveLimiterHint : 0
; COMPUTE_PGM_RSRC2:SCRATCH_EN: 0
; COMPUTE_PGM_RSRC2:USER_SGPR: 15
; COMPUTE_PGM_RSRC2:TRAP_HANDLER: 0
; COMPUTE_PGM_RSRC2:TGID_X_EN: 1
; COMPUTE_PGM_RSRC2:TGID_Y_EN: 0
; COMPUTE_PGM_RSRC2:TGID_Z_EN: 0
; COMPUTE_PGM_RSRC2:TIDIG_COMP_CNT: 0
	.section	.text._ZN2at6native12_GLOBAL__N_125multi_tensor_apply_kernelINS1_18TensorListMetadataILi2EEENS1_14UnaryOpFunctorIN3c108BFloat16ELi2ELi1ELi1EEEJNS0_4AtanIfEEEEEvT_T0_DpT1_,"axG",@progbits,_ZN2at6native12_GLOBAL__N_125multi_tensor_apply_kernelINS1_18TensorListMetadataILi2EEENS1_14UnaryOpFunctorIN3c108BFloat16ELi2ELi1ELi1EEEJNS0_4AtanIfEEEEEvT_T0_DpT1_,comdat
	.globl	_ZN2at6native12_GLOBAL__N_125multi_tensor_apply_kernelINS1_18TensorListMetadataILi2EEENS1_14UnaryOpFunctorIN3c108BFloat16ELi2ELi1ELi1EEEJNS0_4AtanIfEEEEEvT_T0_DpT1_ ; -- Begin function _ZN2at6native12_GLOBAL__N_125multi_tensor_apply_kernelINS1_18TensorListMetadataILi2EEENS1_14UnaryOpFunctorIN3c108BFloat16ELi2ELi1ELi1EEEJNS0_4AtanIfEEEEEvT_T0_DpT1_
	.p2align	8
	.type	_ZN2at6native12_GLOBAL__N_125multi_tensor_apply_kernelINS1_18TensorListMetadataILi2EEENS1_14UnaryOpFunctorIN3c108BFloat16ELi2ELi1ELi1EEEJNS0_4AtanIfEEEEEvT_T0_DpT1_,@function
_ZN2at6native12_GLOBAL__N_125multi_tensor_apply_kernelINS1_18TensorListMetadataILi2EEENS1_14UnaryOpFunctorIN3c108BFloat16ELi2ELi1ELi1EEEJNS0_4AtanIfEEEEEvT_T0_DpT1_: ; @_ZN2at6native12_GLOBAL__N_125multi_tensor_apply_kernelINS1_18TensorListMetadataILi2EEENS1_14UnaryOpFunctorIN3c108BFloat16ELi2ELi1ELi1EEEJNS0_4AtanIfEEEEEvT_T0_DpT1_
; %bb.0:
	v_mov_b32_e32 v1, s15
	s_add_u32 s2, s0, s15
	s_mul_hi_u32 s3, s15, 3
	s_mul_i32 s15, s15, 3
	s_addc_u32 s4, s1, 0
	global_load_u8 v1, v1, s[0:1] offset:1536
	s_add_u32 s2, s2, s15
	s_addc_u32 s3, s4, s3
	s_mov_b32 s7, 0
	s_load_b32 s2, s[2:3], 0x740
	s_mov_b32 s17, s7
	s_mov_b32 s11, s7
	s_waitcnt vmcnt(0)
	v_readfirstlane_b32 s5, v1
	s_delay_alu instid0(VALU_DEP_1)
	s_lshl_b32 s3, s5, 3
	s_clause 0x2
	s_load_b64 s[12:13], s[0:1], s3 offset:0x0
	s_load_b64 s[14:15], s[0:1], s3 offset:0x200
	;; [unrolled: 1-line block ×3, first 2 shown]
	s_waitcnt lgkmcnt(0)
	s_ashr_i32 s3, s2, 31
	s_delay_alu instid0(SALU_CYCLE_1) | instskip(SKIP_4) | instid1(SALU_CYCLE_1)
	s_lshl_b64 s[8:9], s[2:3], 17
	s_lshl_b64 s[2:3], s[2:3], 16
	s_and_b32 s6, s12, 7
	s_and_b32 s10, s14, 7
	;; [unrolled: 1-line block ×3, first 2 shown]
	s_or_b64 s[6:7], s[6:7], s[16:17]
	s_delay_alu instid0(SALU_CYCLE_1)
	s_or_b64 s[6:7], s[10:11], s[6:7]
	s_sub_u32 s10, s4, s2
	s_subb_u32 s11, s5, s3
	s_cmp_eq_u64 s[6:7], 0
	s_mov_b32 s2, -1
	s_cbranch_scc0 .LBB71_5
; %bb.1:
	v_dual_mov_b32 v2, 0 :: v_dual_lshlrev_b32 v1, 2, v0
	s_mov_b32 s16, exec_lo
	s_delay_alu instid0(VALU_DEP_1)
	v_cmpx_gt_i64_e64 s[10:11], v[1:2]
	s_cbranch_execz .LBB71_4
; %bb.2:
	s_load_b32 s2, s[0:1], 0xc5c
	v_lshlrev_b32_e32 v1, 3, v0
	s_mov_b32 s17, 0
	s_mov_b32 s20, 0x3b2d2a58
	s_delay_alu instid0(VALU_DEP_1) | instskip(NEXT) | instid1(VALU_DEP_1)
	v_add_co_u32 v3, s3, s8, v1
	v_add_co_ci_u32_e64 v4, null, s9, 0, s3
	s_waitcnt lgkmcnt(0)
	s_and_b32 s2, s2, 0xffff
	s_delay_alu instid0(SALU_CYCLE_1)
	v_add_lshl_u32 v1, v0, s2, 2
	s_lshl_b32 s18, s2, 3
	s_lshl_b32 s19, s2, 2
.LBB71_3:                               ; =>This Inner Loop Header: Depth=1
	v_add_co_u32 v5, vcc_lo, s12, v3
	v_add_co_ci_u32_e32 v6, vcc_lo, s13, v4, vcc_lo
	v_add_co_u32 v7, vcc_lo, s14, v3
	v_add_co_ci_u32_e32 v8, vcc_lo, s15, v4, vcc_lo
	global_load_b64 v[5:6], v[5:6], off
	v_cmp_le_i64_e32 vcc_lo, s[10:11], v[1:2]
	v_cmp_lt_u64_e64 s2, 0xffff, v[1:2]
	v_add_co_u32 v3, s3, v3, s18
	s_delay_alu instid0(VALU_DEP_1) | instskip(SKIP_1) | instid1(VALU_DEP_4)
	v_add_co_ci_u32_e64 v4, s3, 0, v4, s3
	v_add_co_u32 v1, s3, v1, s19
	s_or_b32 s2, vcc_lo, s2
	v_add_co_ci_u32_e64 v2, s3, 0, v2, s3
	s_and_b32 s2, exec_lo, s2
	s_delay_alu instid0(SALU_CYCLE_1) | instskip(SKIP_2) | instid1(VALU_DEP_1)
	s_or_b32 s17, s2, s17
	s_waitcnt vmcnt(0)
	v_and_b32_e32 v10, 0xffff0000, v5
	v_rcp_f32_e64 v12, |v10|
	v_cmp_gt_f32_e64 s4, |v10|, 1.0
	s_waitcnt_depctr 0xfff
	v_cndmask_b32_e64 v12, |v10|, v12, s4
	v_lshlrev_b32_e32 v9, 16, v5
	v_alignbit_b32 v5, v6, v5, 16
	v_and_b32_e32 v6, 0xffff0000, v6
	s_delay_alu instid0(VALU_DEP_4) | instskip(NEXT) | instid1(VALU_DEP_4)
	v_mul_f32_e32 v16, v12, v12
	v_rcp_f32_e64 v11, |v9|
	v_cmp_gt_f32_e64 s6, |v9|, 1.0
	s_delay_alu instid0(VALU_DEP_3) | instskip(SKIP_4) | instid1(VALU_DEP_2)
	v_rcp_f32_e64 v13, |v6|
	v_cmp_gt_f32_e64 s5, |v6|, 1.0
	s_waitcnt_depctr 0xfff
	v_cndmask_b32_e64 v11, |v9|, v11, s6
	v_cndmask_b32_e64 v13, |v6|, v13, s5
	v_mul_f32_e32 v15, v11, v11
	s_delay_alu instid0(VALU_DEP_2) | instskip(NEXT) | instid1(VALU_DEP_1)
	v_dual_mul_f32 v17, v13, v13 :: v_dual_fmaak_f32 v20, s20, v16, 0xbc7a590c
	v_fmaak_f32 v21, s20, v17, 0xbc7a590c
	s_delay_alu instid0(VALU_DEP_1) | instskip(NEXT) | instid1(VALU_DEP_1)
	v_dual_fmaak_f32 v20, v16, v20, 0x3d29fb3f :: v_dual_fmaak_f32 v21, v17, v21, 0x3d29fb3f
	v_dual_fmaak_f32 v20, v16, v20, 0xbd97d4d7 :: v_dual_fmaak_f32 v21, v17, v21, 0xbd97d4d7
	s_delay_alu instid0(VALU_DEP_1) | instskip(NEXT) | instid1(VALU_DEP_1)
	v_dual_fmaak_f32 v20, v16, v20, 0x3dd931b2 :: v_dual_fmaak_f32 v21, v17, v21, 0x3dd931b2
	v_dual_fmaak_f32 v20, v16, v20, 0xbe1160e6 :: v_dual_fmaak_f32 v21, v17, v21, 0xbe1160e6
	s_delay_alu instid0(VALU_DEP_1) | instskip(NEXT) | instid1(VALU_DEP_1)
	v_dual_fmaak_f32 v20, v16, v20, 0x3e4cb8bf :: v_dual_fmaak_f32 v21, v17, v21, 0x3e4cb8bf
	v_fmaak_f32 v20, v16, v20, 0xbeaaaa62
	v_and_b32_e32 v5, 0xffff0000, v5
	s_delay_alu instid0(VALU_DEP_2) | instskip(NEXT) | instid1(VALU_DEP_2)
	v_dual_fmaak_f32 v21, v17, v21, 0xbeaaaa62 :: v_dual_mul_f32 v16, v16, v20
	v_rcp_f32_e64 v14, |v5|
	v_cmp_gt_f32_e64 s7, |v5|, 1.0
	s_delay_alu instid0(VALU_DEP_2) | instskip(NEXT) | instid1(VALU_DEP_1)
	v_mul_f32_e32 v17, v17, v21
	v_dual_fmac_f32 v13, v13, v17 :: v_dual_fmac_f32 v12, v12, v16
	s_waitcnt_depctr 0xfff
	v_cndmask_b32_e64 v14, |v5|, v14, s7
	v_fmaak_f32 v18, s20, v15, 0xbc7a590c
	v_sub_f32_e32 v17, 0x3fc90fdb, v13
	s_delay_alu instid0(VALU_DEP_3) | instskip(NEXT) | instid1(VALU_DEP_3)
	v_mul_f32_e32 v19, v14, v14
	v_fmaak_f32 v18, v15, v18, 0x3d29fb3f
	s_delay_alu instid0(VALU_DEP_3) | instskip(NEXT) | instid1(VALU_DEP_2)
	v_cndmask_b32_e64 v13, v13, v17, s5
	v_fmaak_f32 v18, v15, v18, 0xbd97d4d7
	s_delay_alu instid0(VALU_DEP_2) | instskip(NEXT) | instid1(VALU_DEP_2)
	v_bfi_b32 v6, 0x7fffffff, v13, v6
	v_fmaak_f32 v18, v15, v18, 0x3dd931b2
	s_delay_alu instid0(VALU_DEP_2) | instskip(NEXT) | instid1(VALU_DEP_2)
	v_bfe_u32 v13, v6, 16, 1
	v_fmaak_f32 v18, v15, v18, 0xbe1160e6
	s_delay_alu instid0(VALU_DEP_2) | instskip(NEXT) | instid1(VALU_DEP_2)
	v_add3_u32 v13, v6, v13, 0x7fff
	v_fmaak_f32 v18, v15, v18, 0x3e4cb8bf
	s_delay_alu instid0(VALU_DEP_2) | instskip(NEXT) | instid1(VALU_DEP_2)
	v_and_b32_e32 v13, 0xffff0000, v13
	v_fmaak_f32 v18, v15, v18, 0xbeaaaa62
	s_delay_alu instid0(VALU_DEP_1) | instskip(NEXT) | instid1(VALU_DEP_1)
	v_dual_fmaak_f32 v22, s20, v19, 0xbc7a590c :: v_dual_mul_f32 v15, v15, v18
	v_fmaak_f32 v22, v19, v22, 0x3d29fb3f
	s_delay_alu instid0(VALU_DEP_2) | instskip(NEXT) | instid1(VALU_DEP_2)
	v_fmac_f32_e32 v11, v11, v15
	v_fmaak_f32 v22, v19, v22, 0xbd97d4d7
	s_delay_alu instid0(VALU_DEP_2) | instskip(NEXT) | instid1(VALU_DEP_2)
	v_sub_f32_e32 v16, 0x3fc90fdb, v11
	v_fmaak_f32 v22, v19, v22, 0x3dd931b2
	s_delay_alu instid0(VALU_DEP_1) | instskip(NEXT) | instid1(VALU_DEP_1)
	v_fmaak_f32 v22, v19, v22, 0xbe1160e6
	v_fmaak_f32 v22, v19, v22, 0x3e4cb8bf
	s_delay_alu instid0(VALU_DEP_1) | instskip(NEXT) | instid1(VALU_DEP_1)
	v_fmaak_f32 v18, v19, v22, 0xbeaaaa62
	v_mul_f32_e32 v15, v19, v18
	s_delay_alu instid0(VALU_DEP_1) | instskip(SKIP_1) | instid1(VALU_DEP_2)
	v_dual_fmac_f32 v14, v14, v15 :: v_dual_sub_f32 v15, 0x3fc90fdb, v12
	v_cndmask_b32_e64 v11, v11, v16, s6
	v_sub_f32_e32 v16, 0x3fc90fdb, v14
	s_delay_alu instid0(VALU_DEP_3) | instskip(NEXT) | instid1(VALU_DEP_3)
	v_cndmask_b32_e64 v12, v12, v15, s4
	v_bfi_b32 v9, 0x7fffffff, v11, v9
	s_delay_alu instid0(VALU_DEP_3) | instskip(NEXT) | instid1(VALU_DEP_3)
	v_cndmask_b32_e64 v11, v14, v16, s7
	v_bfi_b32 v10, 0x7fffffff, v12, v10
	s_delay_alu instid0(VALU_DEP_3) | instskip(SKIP_1) | instid1(VALU_DEP_4)
	v_bfe_u32 v12, v9, 16, 1
	v_cmp_o_f32_e64 s4, v9, v9
	v_bfi_b32 v5, 0x7fffffff, v11, v5
	s_delay_alu instid0(VALU_DEP_4) | instskip(NEXT) | instid1(VALU_DEP_4)
	v_bfe_u32 v11, v10, 16, 1
	v_add3_u32 v12, v9, v12, 0x7fff
	v_cmp_o_f32_e64 s5, v10, v10
	s_delay_alu instid0(VALU_DEP_4) | instskip(NEXT) | instid1(VALU_DEP_4)
	v_bfe_u32 v14, v5, 16, 1
	v_add3_u32 v11, v10, v11, 0x7fff
	s_delay_alu instid0(VALU_DEP_4) | instskip(NEXT) | instid1(VALU_DEP_3)
	v_lshrrev_b32_e32 v12, 16, v12
	v_add3_u32 v14, v5, v14, 0x7fff
	s_delay_alu instid0(VALU_DEP_3) | instskip(NEXT) | instid1(VALU_DEP_2)
	v_and_b32_e32 v11, 0xffff0000, v11
	v_lshrrev_b32_e32 v9, 16, v14
	s_delay_alu instid0(VALU_DEP_2) | instskip(SKIP_2) | instid1(VALU_DEP_1)
	v_cndmask_b32_e64 v10, 0x7fc00000, v11, s5
	v_cndmask_b32_e64 v11, 0x7fc0, v12, s4
	v_cmp_o_f32_e64 s4, v6, v6
	v_cndmask_b32_e64 v6, 0x7fc00000, v13, s4
	v_cmp_o_f32_e64 s4, v5, v5
	s_delay_alu instid0(VALU_DEP_1) | instskip(SKIP_1) | instid1(VALU_DEP_2)
	v_cndmask_b32_e64 v5, 0x7fc0, v9, s4
	v_or_b32_e32 v9, v11, v10
	v_or3_b32 v6, 0, v5, v6
	s_delay_alu instid0(VALU_DEP_2)
	v_or3_b32 v5, v9, 0, 0
	global_store_b64 v[7:8], v[5:6], off
	s_and_not1_b32 exec_lo, exec_lo, s17
	s_cbranch_execnz .LBB71_3
.LBB71_4:
	s_or_b32 exec_lo, exec_lo, s16
	s_mov_b32 s2, 0
.LBB71_5:
	s_delay_alu instid0(SALU_CYCLE_1)
	s_and_not1_b32 vcc_lo, exec_lo, s2
	s_cbranch_vccnz .LBB71_25
; %bb.6:
	v_cmp_lt_i64_e64 s2, s[10:11], 1
	s_delay_alu instid0(VALU_DEP_1)
	s_and_b32 vcc_lo, exec_lo, s2
	s_cbranch_vccnz .LBB71_25
; %bb.7:
	s_load_b32 s0, s[0:1], 0xc5c
	v_dual_mov_b32 v10, 0 :: v_dual_lshlrev_b32 v9, 1, v0
	v_cmp_gt_u64_e64 s1, 0x10000, s[10:11]
	s_mov_b64 s[6:7], 0
	s_delay_alu instid0(VALU_DEP_2) | instskip(NEXT) | instid1(VALU_DEP_1)
	v_add_co_u32 v1, s2, s12, v9
	v_add_co_ci_u32_e64 v2, null, s13, 0, s2
	v_add_co_u32 v3, s2, s14, v9
	s_delay_alu instid0(VALU_DEP_1)
	v_add_co_ci_u32_e64 v4, null, s15, 0, s2
	s_waitcnt lgkmcnt(0)
	s_and_b32 s0, s0, 0xffff
	s_and_b32 s1, s1, exec_lo
	v_mad_u64_u32 v[7:8], null, s0, 6, v[9:10]
	s_cselect_b32 s5, s11, 0
	s_cselect_b32 s4, s10, 0x10000
	s_mul_i32 s2, s0, 3
	s_lshl_b32 s16, s0, 2
	s_lshl_b32 s1, s0, 1
	v_add_co_u32 v14, s3, s16, v9
	v_add_co_u32 v9, s2, s2, v0
	s_delay_alu instid0(VALU_DEP_1) | instskip(SKIP_3) | instid1(VALU_DEP_3)
	v_add_co_ci_u32_e64 v10, null, 0, 0, s2
	v_add_co_u32 v13, s2, v0, s0
	v_add_co_u32 v5, vcc_lo, s12, v7
	v_add_co_ci_u32_e32 v6, vcc_lo, s13, v8, vcc_lo
	v_lshlrev_b32_e32 v21, 1, v13
	v_add_co_u32 v7, vcc_lo, s14, v7
	v_add_co_ci_u32_e64 v15, null, 0, 0, s3
	v_add_co_ci_u32_e32 v8, vcc_lo, s15, v8, vcc_lo
	v_add_co_u32 v17, s1, s1, v0
	v_add_co_u32 v11, vcc_lo, s12, v14
	v_add_co_ci_u32_e64 v18, null, 0, 0, s1
	v_add_co_u32 v19, s1, s12, v21
	v_add_co_ci_u32_e32 v12, vcc_lo, s13, v15, vcc_lo
	v_add_co_u32 v14, vcc_lo, s14, v14
	v_add_co_ci_u32_e64 v20, null, s13, 0, s1
	v_add_co_u32 v21, s1, s14, v21
	v_add_co_ci_u32_e32 v15, vcc_lo, s15, v15, vcc_lo
	v_add_co_ci_u32_e64 v16, null, 0, 0, s2
	v_add_co_ci_u32_e64 v22, null, s15, 0, s1
	s_lshl_b32 s12, s0, 3
	s_mov_b32 s13, 0x3b2d2a58
	s_branch .LBB71_9
.LBB71_8:                               ;   in Loop: Header=BB71_9 Depth=1
	s_or_b32 exec_lo, exec_lo, s0
	v_add_co_u32 v1, vcc_lo, v1, s12
	v_add_co_ci_u32_e32 v2, vcc_lo, 0, v2, vcc_lo
	v_add_co_u32 v3, vcc_lo, v3, s12
	v_add_co_ci_u32_e32 v4, vcc_lo, 0, v4, vcc_lo
	;; [unrolled: 2-line block ×5, first 2 shown]
	s_add_u32 s6, s6, s16
	v_add_co_u32 v14, vcc_lo, v14, s12
	s_addc_u32 s7, s7, 0
	v_add_co_ci_u32_e32 v15, vcc_lo, 0, v15, vcc_lo
	v_cmp_ge_i64_e64 s0, s[6:7], s[10:11]
	v_cmp_lt_u64_e64 s1, 0xffff, s[6:7]
	v_add_co_u32 v19, vcc_lo, v19, s12
	v_add_co_ci_u32_e32 v20, vcc_lo, 0, v20, vcc_lo
	v_add_co_u32 v21, vcc_lo, v21, s12
	v_add_co_ci_u32_e32 v22, vcc_lo, 0, v22, vcc_lo
	s_or_b32 s0, s0, s1
	s_delay_alu instid0(SALU_CYCLE_1)
	s_and_b32 vcc_lo, exec_lo, s0
	s_cbranch_vccnz .LBB71_25
.LBB71_9:                               ; =>This Inner Loop Header: Depth=1
	s_waitcnt vmcnt(0)
	v_add_co_u32 v23, s0, v0, s6
	s_delay_alu instid0(VALU_DEP_1) | instskip(SKIP_1) | instid1(VALU_DEP_2)
	v_add_co_ci_u32_e64 v24, null, 0, s7, s0
	v_mov_b32_e32 v26, 0
	v_cmp_gt_u64_e64 s2, s[4:5], v[23:24]
	s_delay_alu instid0(VALU_DEP_1)
	s_and_saveexec_b32 s0, s2
	s_cbranch_execz .LBB71_11
; %bb.10:                               ;   in Loop: Header=BB71_9 Depth=1
	v_add_co_u32 v23, vcc_lo, v1, s8
	v_add_co_ci_u32_e32 v24, vcc_lo, s9, v2, vcc_lo
	global_load_u16 v26, v[23:24], off
.LBB71_11:                              ;   in Loop: Header=BB71_9 Depth=1
	s_or_b32 exec_lo, exec_lo, s0
	v_add_co_u32 v23, vcc_lo, v13, s6
	v_add_co_ci_u32_e32 v24, vcc_lo, s7, v16, vcc_lo
	v_mov_b32_e32 v25, 0
	s_delay_alu instid0(VALU_DEP_2) | instskip(NEXT) | instid1(VALU_DEP_1)
	v_cmp_gt_u64_e64 s1, s[4:5], v[23:24]
	s_and_saveexec_b32 s0, s1
	s_cbranch_execz .LBB71_13
; %bb.12:                               ;   in Loop: Header=BB71_9 Depth=1
	v_add_co_u32 v23, vcc_lo, v19, s8
	v_add_co_ci_u32_e32 v24, vcc_lo, s9, v20, vcc_lo
	global_load_u16 v25, v[23:24], off
.LBB71_13:                              ;   in Loop: Header=BB71_9 Depth=1
	s_or_b32 exec_lo, exec_lo, s0
	v_add_co_u32 v23, vcc_lo, v17, s6
	v_add_co_ci_u32_e32 v24, vcc_lo, s7, v18, vcc_lo
	s_delay_alu instid0(VALU_DEP_1) | instskip(SKIP_1) | instid1(VALU_DEP_2)
	v_cmp_gt_u64_e64 s0, s[4:5], v[23:24]
	v_dual_mov_b32 v23, 0 :: v_dual_mov_b32 v24, 0
	s_and_saveexec_b32 s3, s0
	s_cbranch_execz .LBB71_15
; %bb.14:                               ;   in Loop: Header=BB71_9 Depth=1
	v_add_co_u32 v27, vcc_lo, v11, s8
	v_add_co_ci_u32_e32 v28, vcc_lo, s9, v12, vcc_lo
	global_load_u16 v24, v[27:28], off
.LBB71_15:                              ;   in Loop: Header=BB71_9 Depth=1
	s_or_b32 exec_lo, exec_lo, s3
	v_add_co_u32 v27, vcc_lo, v9, s6
	v_add_co_ci_u32_e32 v28, vcc_lo, s7, v10, vcc_lo
	s_delay_alu instid0(VALU_DEP_1)
	v_cmp_gt_u64_e32 vcc_lo, s[4:5], v[27:28]
	s_and_saveexec_b32 s14, vcc_lo
	s_cbranch_execnz .LBB71_20
; %bb.16:                               ;   in Loop: Header=BB71_9 Depth=1
	s_or_b32 exec_lo, exec_lo, s14
	s_and_saveexec_b32 s3, s2
	s_cbranch_execnz .LBB71_21
.LBB71_17:                              ;   in Loop: Header=BB71_9 Depth=1
	s_or_b32 exec_lo, exec_lo, s3
	s_and_saveexec_b32 s2, s1
	s_cbranch_execnz .LBB71_22
.LBB71_18:                              ;   in Loop: Header=BB71_9 Depth=1
	s_or_b32 exec_lo, exec_lo, s2
	s_and_saveexec_b32 s1, s0
	s_cbranch_execnz .LBB71_23
.LBB71_19:                              ;   in Loop: Header=BB71_9 Depth=1
	s_or_b32 exec_lo, exec_lo, s1
	s_and_saveexec_b32 s0, vcc_lo
	s_cbranch_execz .LBB71_8
	s_branch .LBB71_24
.LBB71_20:                              ;   in Loop: Header=BB71_9 Depth=1
	v_add_co_u32 v27, s3, v5, s8
	s_delay_alu instid0(VALU_DEP_1)
	v_add_co_ci_u32_e64 v28, s3, s9, v6, s3
	global_load_u16 v23, v[27:28], off
	s_or_b32 exec_lo, exec_lo, s14
	s_and_saveexec_b32 s3, s2
	s_cbranch_execz .LBB71_17
.LBB71_21:                              ;   in Loop: Header=BB71_9 Depth=1
	s_waitcnt vmcnt(0)
	v_lshlrev_b32_e32 v26, 16, v26
	s_delay_alu instid0(VALU_DEP_1) | instskip(SKIP_3) | instid1(VALU_DEP_1)
	v_rcp_f32_e64 v27, |v26|
	v_cmp_gt_f32_e64 s2, |v26|, 1.0
	s_waitcnt_depctr 0xfff
	v_cndmask_b32_e64 v27, |v26|, v27, s2
	v_mul_f32_e32 v28, v27, v27
	s_delay_alu instid0(VALU_DEP_1) | instskip(NEXT) | instid1(VALU_DEP_1)
	v_fmaak_f32 v29, s13, v28, 0xbc7a590c
	v_fmaak_f32 v29, v28, v29, 0x3d29fb3f
	s_delay_alu instid0(VALU_DEP_1) | instskip(NEXT) | instid1(VALU_DEP_1)
	v_fmaak_f32 v29, v28, v29, 0xbd97d4d7
	v_fmaak_f32 v29, v28, v29, 0x3dd931b2
	;; [unrolled: 3-line block ×3, first 2 shown]
	s_delay_alu instid0(VALU_DEP_1) | instskip(NEXT) | instid1(VALU_DEP_1)
	v_fmaak_f32 v29, v28, v29, 0xbeaaaa62
	v_mul_f32_e32 v28, v28, v29
	s_delay_alu instid0(VALU_DEP_1) | instskip(NEXT) | instid1(VALU_DEP_1)
	v_fmac_f32_e32 v27, v27, v28
	v_sub_f32_e32 v28, 0x3fc90fdb, v27
	s_delay_alu instid0(VALU_DEP_1) | instskip(NEXT) | instid1(VALU_DEP_1)
	v_cndmask_b32_e64 v27, v27, v28, s2
	v_bfi_b32 v26, 0x7fffffff, v27, v26
	s_delay_alu instid0(VALU_DEP_1) | instskip(SKIP_1) | instid1(VALU_DEP_2)
	v_bfe_u32 v27, v26, 16, 1
	v_cmp_o_f32_e64 s2, v26, v26
	v_add3_u32 v27, v26, v27, 0x7fff
	s_delay_alu instid0(VALU_DEP_1) | instskip(NEXT) | instid1(VALU_DEP_1)
	v_lshrrev_b32_e32 v27, 16, v27
	v_cndmask_b32_e64 v28, 0x7fc0, v27, s2
	v_add_co_u32 v26, s2, v3, s8
	s_delay_alu instid0(VALU_DEP_1)
	v_add_co_ci_u32_e64 v27, s2, s9, v4, s2
	global_store_b16 v[26:27], v28, off
	s_or_b32 exec_lo, exec_lo, s3
	s_and_saveexec_b32 s2, s1
	s_cbranch_execz .LBB71_18
.LBB71_22:                              ;   in Loop: Header=BB71_9 Depth=1
	s_waitcnt vmcnt(0)
	v_lshlrev_b32_e32 v25, 16, v25
	s_delay_alu instid0(VALU_DEP_1) | instskip(SKIP_3) | instid1(VALU_DEP_1)
	v_rcp_f32_e64 v26, |v25|
	v_cmp_gt_f32_e64 s1, |v25|, 1.0
	s_waitcnt_depctr 0xfff
	v_cndmask_b32_e64 v26, |v25|, v26, s1
	v_mul_f32_e32 v27, v26, v26
	s_delay_alu instid0(VALU_DEP_1) | instskip(NEXT) | instid1(VALU_DEP_1)
	v_fmaak_f32 v28, s13, v27, 0xbc7a590c
	v_fmaak_f32 v28, v27, v28, 0x3d29fb3f
	s_delay_alu instid0(VALU_DEP_1) | instskip(NEXT) | instid1(VALU_DEP_1)
	v_fmaak_f32 v28, v27, v28, 0xbd97d4d7
	v_fmaak_f32 v28, v27, v28, 0x3dd931b2
	;; [unrolled: 3-line block ×3, first 2 shown]
	s_delay_alu instid0(VALU_DEP_1) | instskip(NEXT) | instid1(VALU_DEP_1)
	v_fmaak_f32 v28, v27, v28, 0xbeaaaa62
	v_mul_f32_e32 v27, v27, v28
	s_delay_alu instid0(VALU_DEP_1) | instskip(NEXT) | instid1(VALU_DEP_1)
	v_fmac_f32_e32 v26, v26, v27
	v_sub_f32_e32 v27, 0x3fc90fdb, v26
	s_delay_alu instid0(VALU_DEP_1) | instskip(NEXT) | instid1(VALU_DEP_1)
	v_cndmask_b32_e64 v26, v26, v27, s1
	v_bfi_b32 v25, 0x7fffffff, v26, v25
	s_delay_alu instid0(VALU_DEP_1) | instskip(SKIP_1) | instid1(VALU_DEP_2)
	v_bfe_u32 v26, v25, 16, 1
	v_cmp_o_f32_e64 s1, v25, v25
	v_add3_u32 v26, v25, v26, 0x7fff
	s_delay_alu instid0(VALU_DEP_1) | instskip(NEXT) | instid1(VALU_DEP_1)
	v_lshrrev_b32_e32 v26, 16, v26
	v_cndmask_b32_e64 v27, 0x7fc0, v26, s1
	v_add_co_u32 v25, s1, v21, s8
	s_delay_alu instid0(VALU_DEP_1)
	v_add_co_ci_u32_e64 v26, s1, s9, v22, s1
	global_store_b16 v[25:26], v27, off
	s_or_b32 exec_lo, exec_lo, s2
	s_and_saveexec_b32 s1, s0
	s_cbranch_execz .LBB71_19
.LBB71_23:                              ;   in Loop: Header=BB71_9 Depth=1
	s_waitcnt vmcnt(0)
	v_lshlrev_b32_e32 v24, 16, v24
	s_delay_alu instid0(VALU_DEP_1) | instskip(SKIP_3) | instid1(VALU_DEP_1)
	v_rcp_f32_e64 v25, |v24|
	v_cmp_gt_f32_e64 s0, |v24|, 1.0
	s_waitcnt_depctr 0xfff
	v_cndmask_b32_e64 v25, |v24|, v25, s0
	v_mul_f32_e32 v26, v25, v25
	s_delay_alu instid0(VALU_DEP_1) | instskip(NEXT) | instid1(VALU_DEP_1)
	v_fmaak_f32 v27, s13, v26, 0xbc7a590c
	v_fmaak_f32 v27, v26, v27, 0x3d29fb3f
	s_delay_alu instid0(VALU_DEP_1) | instskip(NEXT) | instid1(VALU_DEP_1)
	v_fmaak_f32 v27, v26, v27, 0xbd97d4d7
	v_fmaak_f32 v27, v26, v27, 0x3dd931b2
	;; [unrolled: 3-line block ×3, first 2 shown]
	s_delay_alu instid0(VALU_DEP_1) | instskip(NEXT) | instid1(VALU_DEP_1)
	v_fmaak_f32 v27, v26, v27, 0xbeaaaa62
	v_mul_f32_e32 v26, v26, v27
	s_delay_alu instid0(VALU_DEP_1) | instskip(NEXT) | instid1(VALU_DEP_1)
	v_fmac_f32_e32 v25, v25, v26
	v_sub_f32_e32 v26, 0x3fc90fdb, v25
	s_delay_alu instid0(VALU_DEP_1) | instskip(NEXT) | instid1(VALU_DEP_1)
	v_cndmask_b32_e64 v25, v25, v26, s0
	v_bfi_b32 v24, 0x7fffffff, v25, v24
	s_delay_alu instid0(VALU_DEP_1) | instskip(SKIP_1) | instid1(VALU_DEP_2)
	v_bfe_u32 v25, v24, 16, 1
	v_cmp_o_f32_e64 s0, v24, v24
	v_add3_u32 v25, v24, v25, 0x7fff
	s_delay_alu instid0(VALU_DEP_1) | instskip(NEXT) | instid1(VALU_DEP_1)
	v_lshrrev_b32_e32 v25, 16, v25
	v_cndmask_b32_e64 v26, 0x7fc0, v25, s0
	v_add_co_u32 v24, s0, v14, s8
	s_delay_alu instid0(VALU_DEP_1)
	v_add_co_ci_u32_e64 v25, s0, s9, v15, s0
	global_store_b16 v[24:25], v26, off
	s_or_b32 exec_lo, exec_lo, s1
	s_and_saveexec_b32 s0, vcc_lo
	s_cbranch_execz .LBB71_8
.LBB71_24:                              ;   in Loop: Header=BB71_9 Depth=1
	s_waitcnt vmcnt(0)
	v_lshlrev_b32_e32 v23, 16, v23
	s_delay_alu instid0(VALU_DEP_1) | instskip(SKIP_3) | instid1(VALU_DEP_1)
	v_rcp_f32_e64 v24, |v23|
	v_cmp_gt_f32_e64 vcc_lo, |v23|, 1.0
	s_waitcnt_depctr 0xfff
	v_cndmask_b32_e64 v24, |v23|, v24, vcc_lo
	v_mul_f32_e32 v25, v24, v24
	s_delay_alu instid0(VALU_DEP_1) | instskip(NEXT) | instid1(VALU_DEP_1)
	v_fmaak_f32 v26, s13, v25, 0xbc7a590c
	v_fmaak_f32 v26, v25, v26, 0x3d29fb3f
	s_delay_alu instid0(VALU_DEP_1) | instskip(NEXT) | instid1(VALU_DEP_1)
	v_fmaak_f32 v26, v25, v26, 0xbd97d4d7
	v_fmaak_f32 v26, v25, v26, 0x3dd931b2
	;; [unrolled: 3-line block ×3, first 2 shown]
	s_delay_alu instid0(VALU_DEP_1) | instskip(NEXT) | instid1(VALU_DEP_1)
	v_fmaak_f32 v26, v25, v26, 0xbeaaaa62
	v_mul_f32_e32 v25, v25, v26
	s_delay_alu instid0(VALU_DEP_1) | instskip(NEXT) | instid1(VALU_DEP_1)
	v_fmac_f32_e32 v24, v24, v25
	v_sub_f32_e32 v25, 0x3fc90fdb, v24
	s_delay_alu instid0(VALU_DEP_1) | instskip(NEXT) | instid1(VALU_DEP_1)
	v_cndmask_b32_e32 v24, v24, v25, vcc_lo
	v_bfi_b32 v23, 0x7fffffff, v24, v23
	s_delay_alu instid0(VALU_DEP_1) | instskip(SKIP_1) | instid1(VALU_DEP_2)
	v_bfe_u32 v24, v23, 16, 1
	v_cmp_o_f32_e32 vcc_lo, v23, v23
	v_add3_u32 v24, v23, v24, 0x7fff
	s_delay_alu instid0(VALU_DEP_1) | instskip(NEXT) | instid1(VALU_DEP_1)
	v_lshrrev_b32_e32 v24, 16, v24
	v_cndmask_b32_e32 v25, 0x7fc0, v24, vcc_lo
	v_add_co_u32 v23, vcc_lo, v7, s8
	v_add_co_ci_u32_e32 v24, vcc_lo, s9, v8, vcc_lo
	global_store_b16 v[23:24], v25, off
	s_branch .LBB71_8
.LBB71_25:
	s_nop 0
	s_sendmsg sendmsg(MSG_DEALLOC_VGPRS)
	s_endpgm
	.section	.rodata,"a",@progbits
	.p2align	6, 0x0
	.amdhsa_kernel _ZN2at6native12_GLOBAL__N_125multi_tensor_apply_kernelINS1_18TensorListMetadataILi2EEENS1_14UnaryOpFunctorIN3c108BFloat16ELi2ELi1ELi1EEEJNS0_4AtanIfEEEEEvT_T0_DpT1_
		.amdhsa_group_segment_fixed_size 0
		.amdhsa_private_segment_fixed_size 0
		.amdhsa_kernarg_size 3408
		.amdhsa_user_sgpr_count 15
		.amdhsa_user_sgpr_dispatch_ptr 0
		.amdhsa_user_sgpr_queue_ptr 0
		.amdhsa_user_sgpr_kernarg_segment_ptr 1
		.amdhsa_user_sgpr_dispatch_id 0
		.amdhsa_user_sgpr_private_segment_size 0
		.amdhsa_wavefront_size32 1
		.amdhsa_uses_dynamic_stack 0
		.amdhsa_enable_private_segment 0
		.amdhsa_system_sgpr_workgroup_id_x 1
		.amdhsa_system_sgpr_workgroup_id_y 0
		.amdhsa_system_sgpr_workgroup_id_z 0
		.amdhsa_system_sgpr_workgroup_info 0
		.amdhsa_system_vgpr_workitem_id 0
		.amdhsa_next_free_vgpr 30
		.amdhsa_next_free_sgpr 21
		.amdhsa_reserve_vcc 1
		.amdhsa_float_round_mode_32 0
		.amdhsa_float_round_mode_16_64 0
		.amdhsa_float_denorm_mode_32 3
		.amdhsa_float_denorm_mode_16_64 3
		.amdhsa_dx10_clamp 1
		.amdhsa_ieee_mode 1
		.amdhsa_fp16_overflow 0
		.amdhsa_workgroup_processor_mode 1
		.amdhsa_memory_ordered 1
		.amdhsa_forward_progress 0
		.amdhsa_shared_vgpr_count 0
		.amdhsa_exception_fp_ieee_invalid_op 0
		.amdhsa_exception_fp_denorm_src 0
		.amdhsa_exception_fp_ieee_div_zero 0
		.amdhsa_exception_fp_ieee_overflow 0
		.amdhsa_exception_fp_ieee_underflow 0
		.amdhsa_exception_fp_ieee_inexact 0
		.amdhsa_exception_int_div_zero 0
	.end_amdhsa_kernel
	.section	.text._ZN2at6native12_GLOBAL__N_125multi_tensor_apply_kernelINS1_18TensorListMetadataILi2EEENS1_14UnaryOpFunctorIN3c108BFloat16ELi2ELi1ELi1EEEJNS0_4AtanIfEEEEEvT_T0_DpT1_,"axG",@progbits,_ZN2at6native12_GLOBAL__N_125multi_tensor_apply_kernelINS1_18TensorListMetadataILi2EEENS1_14UnaryOpFunctorIN3c108BFloat16ELi2ELi1ELi1EEEJNS0_4AtanIfEEEEEvT_T0_DpT1_,comdat
.Lfunc_end71:
	.size	_ZN2at6native12_GLOBAL__N_125multi_tensor_apply_kernelINS1_18TensorListMetadataILi2EEENS1_14UnaryOpFunctorIN3c108BFloat16ELi2ELi1ELi1EEEJNS0_4AtanIfEEEEEvT_T0_DpT1_, .Lfunc_end71-_ZN2at6native12_GLOBAL__N_125multi_tensor_apply_kernelINS1_18TensorListMetadataILi2EEENS1_14UnaryOpFunctorIN3c108BFloat16ELi2ELi1ELi1EEEJNS0_4AtanIfEEEEEvT_T0_DpT1_
                                        ; -- End function
	.section	.AMDGPU.csdata,"",@progbits
; Kernel info:
; codeLenInByte = 3000
; NumSgprs: 23
; NumVgprs: 30
; ScratchSize: 0
; MemoryBound: 0
; FloatMode: 240
; IeeeMode: 1
; LDSByteSize: 0 bytes/workgroup (compile time only)
; SGPRBlocks: 2
; VGPRBlocks: 3
; NumSGPRsForWavesPerEU: 23
; NumVGPRsForWavesPerEU: 30
; Occupancy: 16
; WaveLimiterHint : 0
; COMPUTE_PGM_RSRC2:SCRATCH_EN: 0
; COMPUTE_PGM_RSRC2:USER_SGPR: 15
; COMPUTE_PGM_RSRC2:TRAP_HANDLER: 0
; COMPUTE_PGM_RSRC2:TGID_X_EN: 1
; COMPUTE_PGM_RSRC2:TGID_Y_EN: 0
; COMPUTE_PGM_RSRC2:TGID_Z_EN: 0
; COMPUTE_PGM_RSRC2:TIDIG_COMP_CNT: 0
	.section	.text._ZN2at6native12_GLOBAL__N_125multi_tensor_apply_kernelINS1_18TensorListMetadataILi1EEENS1_14UnaryOpFunctorIdLi1ELi1ELi0EEEJNS0_4AtanIdEEEEEvT_T0_DpT1_,"axG",@progbits,_ZN2at6native12_GLOBAL__N_125multi_tensor_apply_kernelINS1_18TensorListMetadataILi1EEENS1_14UnaryOpFunctorIdLi1ELi1ELi0EEEJNS0_4AtanIdEEEEEvT_T0_DpT1_,comdat
	.globl	_ZN2at6native12_GLOBAL__N_125multi_tensor_apply_kernelINS1_18TensorListMetadataILi1EEENS1_14UnaryOpFunctorIdLi1ELi1ELi0EEEJNS0_4AtanIdEEEEEvT_T0_DpT1_ ; -- Begin function _ZN2at6native12_GLOBAL__N_125multi_tensor_apply_kernelINS1_18TensorListMetadataILi1EEENS1_14UnaryOpFunctorIdLi1ELi1ELi0EEEJNS0_4AtanIdEEEEEvT_T0_DpT1_
	.p2align	8
	.type	_ZN2at6native12_GLOBAL__N_125multi_tensor_apply_kernelINS1_18TensorListMetadataILi1EEENS1_14UnaryOpFunctorIdLi1ELi1ELi0EEEJNS0_4AtanIdEEEEEvT_T0_DpT1_,@function
_ZN2at6native12_GLOBAL__N_125multi_tensor_apply_kernelINS1_18TensorListMetadataILi1EEENS1_14UnaryOpFunctorIdLi1ELi1ELi0EEEJNS0_4AtanIdEEEEEvT_T0_DpT1_: ; @_ZN2at6native12_GLOBAL__N_125multi_tensor_apply_kernelINS1_18TensorListMetadataILi1EEENS1_14UnaryOpFunctorIdLi1ELi1ELi0EEEJNS0_4AtanIdEEEEEvT_T0_DpT1_
; %bb.0:
	v_mov_b32_e32 v1, s15
	s_add_u32 s2, s0, s15
	s_mul_hi_u32 s3, s15, 3
	s_mul_i32 s15, s15, 3
	s_addc_u32 s4, s1, 0
	global_load_u8 v1, v1, s[0:1] offset:1760
	s_add_u32 s2, s2, s15
	s_addc_u32 s3, s4, s3
	s_mov_b32 s13, 0
	s_load_b32 s2, s[2:3], 0x820
	s_waitcnt vmcnt(0)
	v_readfirstlane_b32 s5, v1
	s_delay_alu instid0(VALU_DEP_1)
	s_lshl_b32 s3, s5, 3
	s_clause 0x1
	s_load_b64 s[8:9], s[0:1], s3 offset:0x0
	s_load_b64 s[4:5], s[0:1], s3 offset:0x370
	s_waitcnt lgkmcnt(0)
	s_ashr_i32 s3, s2, 31
	s_delay_alu instid0(SALU_CYCLE_1)
	s_lshl_b64 s[10:11], s[2:3], 19
	s_lshl_b64 s[2:3], s[2:3], 16
	s_and_b32 s12, s8, 31
	s_sub_u32 s6, s4, s2
	s_subb_u32 s7, s5, s3
	s_and_b32 s2, s4, 3
	s_mov_b32 s3, s13
	s_delay_alu instid0(SALU_CYCLE_1) | instskip(NEXT) | instid1(SALU_CYCLE_1)
	s_or_b64 s[2:3], s[12:13], s[2:3]
	s_cmp_eq_u64 s[2:3], 0
	s_cbranch_scc1 .LBB72_21
; %bb.1:
	v_cmp_lt_i64_e64 s2, s[6:7], 1
	s_delay_alu instid0(VALU_DEP_1)
	s_and_b32 vcc_lo, exec_lo, s2
	s_cbranch_vccnz .LBB72_20
; %bb.2:
	s_load_b32 s2, s[0:1], 0xd3c
	v_cmp_gt_u64_e64 s3, 0x10000, s[6:7]
	v_lshlrev_b32_e32 v1, 3, v0
	s_mov_b32 s14, 0xbd3237f4
	s_mov_b32 s16, 0xb5e68a13
	;; [unrolled: 1-line block ×17, first 2 shown]
	s_waitcnt lgkmcnt(0)
	s_and_b32 s2, s2, 0xffff
	s_and_b32 s3, s3, exec_lo
	v_add_co_u32 v13, s5, v0, s2
	s_cselect_b32 s13, s7, 0
	s_cselect_b32 s12, s6, 0x10000
	s_lshl_b32 s3, s2, 1
	s_lshl_b32 s33, s2, 2
	v_lshlrev_b32_e32 v3, 3, v13
	s_add_u32 s60, s8, s10
	v_add_co_u32 v16, s3, s3, v0
	s_mul_i32 s4, s2, 3
	s_addc_u32 s61, s9, s11
	v_add_co_ci_u32_e64 v17, null, 0, 0, s3
	v_add_co_u32 v1, s3, s60, v1
	v_add_co_u32 v14, s4, s4, v0
	v_add_co_ci_u32_e64 v2, null, s61, 0, s3
	v_add_co_u32 v3, s3, s60, v3
	v_add_co_ci_u32_e64 v15, null, 0, 0, s4
	v_add_co_ci_u32_e64 v18, null, 0, 0, s5
	;; [unrolled: 1-line block ×3, first 2 shown]
	s_mov_b32 s50, 0x92376b7d
	s_mov_b32 s52, 0x999952cc
	;; [unrolled: 1-line block ×5, first 2 shown]
	s_lshl_b32 s62, s2, 5
	s_mov_b32 s15, 0xbf23e260
	s_mov_b32 s17, 0x3eeba404
	;; [unrolled: 1-line block ×22, first 2 shown]
	s_mul_i32 s63, s2, 24
	s_lshl_b32 s64, s2, 4
	s_mov_b64 s[60:61], 0
	s_branch .LBB72_4
.LBB72_3:                               ;   in Loop: Header=BB72_4 Depth=1
	s_or_b32 exec_lo, exec_lo, s3
	s_add_u32 s60, s60, s33
	s_addc_u32 s61, s61, 0
	v_add_co_u32 v1, vcc_lo, v1, s62
	v_cmp_lt_i64_e64 s2, s[60:61], s[6:7]
	v_cmp_gt_u64_e64 s3, 0x10000, s[60:61]
	v_add_co_ci_u32_e32 v2, vcc_lo, 0, v2, vcc_lo
	v_add_co_u32 v3, vcc_lo, v3, s62
	v_add_co_ci_u32_e32 v4, vcc_lo, 0, v4, vcc_lo
	s_delay_alu instid0(VALU_DEP_4) | instskip(NEXT) | instid1(SALU_CYCLE_1)
	s_and_b32 s2, s2, s3
	s_and_b32 vcc_lo, exec_lo, s2
	s_cbranch_vccz .LBB72_20
.LBB72_4:                               ; =>This Inner Loop Header: Depth=1
	s_waitcnt vmcnt(0)
	v_add_co_u32 v5, s2, v0, s60
	s_delay_alu instid0(VALU_DEP_1) | instskip(SKIP_2) | instid1(VALU_DEP_3)
	v_add_co_ci_u32_e64 v6, null, 0, s61, s2
	v_mov_b32_e32 v9, 0
	v_mov_b32_e32 v10, 0
	v_cmp_gt_u64_e32 vcc_lo, s[12:13], v[5:6]
	s_delay_alu instid0(VALU_DEP_2)
	v_dual_mov_b32 v12, v10 :: v_dual_mov_b32 v11, v9
	s_and_saveexec_b32 s2, vcc_lo
	s_cbranch_execz .LBB72_6
; %bb.5:                                ;   in Loop: Header=BB72_4 Depth=1
	global_load_b64 v[11:12], v[1:2], off
.LBB72_6:                               ;   in Loop: Header=BB72_4 Depth=1
	s_or_b32 exec_lo, exec_lo, s2
	v_add_co_u32 v5, s2, v13, s60
	s_delay_alu instid0(VALU_DEP_1) | instskip(NEXT) | instid1(VALU_DEP_1)
	v_add_co_ci_u32_e64 v6, s2, s61, v18, s2
	v_cmp_gt_u64_e64 s4, s[12:13], v[5:6]
	s_delay_alu instid0(VALU_DEP_1)
	s_and_saveexec_b32 s2, s4
	s_cbranch_execz .LBB72_8
; %bb.7:                                ;   in Loop: Header=BB72_4 Depth=1
	global_load_b64 v[9:10], v[3:4], off
.LBB72_8:                               ;   in Loop: Header=BB72_4 Depth=1
	s_or_b32 exec_lo, exec_lo, s2
	v_add_co_u32 v7, s2, v16, s60
	s_delay_alu instid0(VALU_DEP_1) | instskip(SKIP_2) | instid1(VALU_DEP_3)
	v_add_co_ci_u32_e64 v8, s2, s61, v17, s2
	v_mov_b32_e32 v5, 0
	v_mov_b32_e32 v6, 0
	v_cmp_gt_u64_e64 s3, s[12:13], v[7:8]
	s_delay_alu instid0(VALU_DEP_2) | instskip(NEXT) | instid1(VALU_DEP_2)
	v_dual_mov_b32 v8, v6 :: v_dual_mov_b32 v7, v5
	s_and_saveexec_b32 s5, s3
	s_cbranch_execz .LBB72_10
; %bb.9:                                ;   in Loop: Header=BB72_4 Depth=1
	v_add_co_u32 v7, s2, v1, s64
	s_delay_alu instid0(VALU_DEP_1)
	v_add_co_ci_u32_e64 v8, s2, 0, v2, s2
	global_load_b64 v[7:8], v[7:8], off
.LBB72_10:                              ;   in Loop: Header=BB72_4 Depth=1
	s_or_b32 exec_lo, exec_lo, s5
	v_add_co_u32 v19, s2, v14, s60
	s_delay_alu instid0(VALU_DEP_1) | instskip(NEXT) | instid1(VALU_DEP_1)
	v_add_co_ci_u32_e64 v20, s2, s61, v15, s2
	v_cmp_gt_u64_e64 s2, s[12:13], v[19:20]
	s_delay_alu instid0(VALU_DEP_1)
	s_and_saveexec_b32 s65, s2
	s_cbranch_execnz .LBB72_15
; %bb.11:                               ;   in Loop: Header=BB72_4 Depth=1
	s_or_b32 exec_lo, exec_lo, s65
	s_and_saveexec_b32 s5, vcc_lo
	s_cbranch_execnz .LBB72_16
.LBB72_12:                              ;   in Loop: Header=BB72_4 Depth=1
	s_or_b32 exec_lo, exec_lo, s5
	s_and_saveexec_b32 s5, s4
	s_cbranch_execnz .LBB72_17
.LBB72_13:                              ;   in Loop: Header=BB72_4 Depth=1
	s_or_b32 exec_lo, exec_lo, s5
	s_and_saveexec_b32 s4, s3
	s_cbranch_execnz .LBB72_18
.LBB72_14:                              ;   in Loop: Header=BB72_4 Depth=1
	s_or_b32 exec_lo, exec_lo, s4
	s_and_saveexec_b32 s3, s2
	s_cbranch_execz .LBB72_3
	s_branch .LBB72_19
.LBB72_15:                              ;   in Loop: Header=BB72_4 Depth=1
	v_add_co_u32 v5, s5, v1, s63
	s_delay_alu instid0(VALU_DEP_1)
	v_add_co_ci_u32_e64 v6, s5, 0, v2, s5
	global_load_b64 v[5:6], v[5:6], off
	s_or_b32 exec_lo, exec_lo, s65
	s_and_saveexec_b32 s5, vcc_lo
	s_cbranch_execz .LBB72_12
.LBB72_16:                              ;   in Loop: Header=BB72_4 Depth=1
	s_waitcnt vmcnt(0)
	v_dual_mov_b32 v19, v11 :: v_dual_and_b32 v20, 0x7fffffff, v12
	s_delay_alu instid0(VALU_DEP_1) | instskip(SKIP_1) | instid1(VALU_DEP_2)
	v_div_scale_f64 v[21:22], null, v[19:20], v[19:20], 1.0
	v_div_scale_f64 v[27:28], vcc_lo, 1.0, v[19:20], 1.0
	v_rcp_f64_e32 v[23:24], v[21:22]
	s_waitcnt_depctr 0xfff
	v_fma_f64 v[25:26], -v[21:22], v[23:24], 1.0
	s_delay_alu instid0(VALU_DEP_1) | instskip(NEXT) | instid1(VALU_DEP_1)
	v_fma_f64 v[23:24], v[23:24], v[25:26], v[23:24]
	v_fma_f64 v[25:26], -v[21:22], v[23:24], 1.0
	s_delay_alu instid0(VALU_DEP_1) | instskip(NEXT) | instid1(VALU_DEP_1)
	v_fma_f64 v[23:24], v[23:24], v[25:26], v[23:24]
	v_mul_f64 v[25:26], v[27:28], v[23:24]
	s_delay_alu instid0(VALU_DEP_1) | instskip(NEXT) | instid1(VALU_DEP_1)
	v_fma_f64 v[21:22], -v[21:22], v[25:26], v[27:28]
	v_div_fmas_f64 v[21:22], v[21:22], v[23:24], v[25:26]
	v_cmp_gt_f64_e64 vcc_lo, |v[11:12]|, 1.0
	s_delay_alu instid0(VALU_DEP_2) | instskip(NEXT) | instid1(VALU_DEP_1)
	v_div_fixup_f64 v[21:22], v[21:22], |v[11:12]|, 1.0
	v_dual_cndmask_b32 v20, v20, v22 :: v_dual_cndmask_b32 v19, v19, v21
	s_delay_alu instid0(VALU_DEP_1) | instskip(NEXT) | instid1(VALU_DEP_1)
	v_mul_f64 v[21:22], v[19:20], v[19:20]
	v_fma_f64 v[23:24], v[21:22], s[16:17], s[14:15]
	s_delay_alu instid0(VALU_DEP_1) | instskip(NEXT) | instid1(VALU_DEP_1)
	v_fma_f64 v[23:24], v[21:22], v[23:24], s[18:19]
	v_fma_f64 v[23:24], v[21:22], v[23:24], s[20:21]
	s_delay_alu instid0(VALU_DEP_1) | instskip(NEXT) | instid1(VALU_DEP_1)
	v_fma_f64 v[23:24], v[21:22], v[23:24], s[22:23]
	;; [unrolled: 3-line block ×9, first 2 shown]
	v_fma_f64 v[23:24], v[21:22], v[23:24], s[54:55]
	s_delay_alu instid0(VALU_DEP_1) | instskip(NEXT) | instid1(VALU_DEP_1)
	v_mul_f64 v[21:22], v[21:22], v[23:24]
	v_fma_f64 v[19:20], v[19:20], v[21:22], v[19:20]
	s_delay_alu instid0(VALU_DEP_1) | instskip(NEXT) | instid1(VALU_DEP_1)
	v_fma_f64 v[21:22], s[58:59], s[56:57], -v[19:20]
	v_dual_cndmask_b32 v20, v20, v22 :: v_dual_cndmask_b32 v11, v19, v21
	s_delay_alu instid0(VALU_DEP_1)
	v_bfi_b32 v12, 0x7fffffff, v20, v12
	global_store_b64 v[1:2], v[11:12], off
	s_or_b32 exec_lo, exec_lo, s5
	s_and_saveexec_b32 s5, s4
	s_cbranch_execz .LBB72_13
.LBB72_17:                              ;   in Loop: Header=BB72_4 Depth=1
	s_waitcnt vmcnt(0)
	v_dual_mov_b32 v11, v9 :: v_dual_and_b32 v12, 0x7fffffff, v10
	s_delay_alu instid0(VALU_DEP_1) | instskip(SKIP_1) | instid1(VALU_DEP_2)
	v_div_scale_f64 v[19:20], null, v[11:12], v[11:12], 1.0
	v_div_scale_f64 v[25:26], vcc_lo, 1.0, v[11:12], 1.0
	v_rcp_f64_e32 v[21:22], v[19:20]
	s_waitcnt_depctr 0xfff
	v_fma_f64 v[23:24], -v[19:20], v[21:22], 1.0
	s_delay_alu instid0(VALU_DEP_1) | instskip(NEXT) | instid1(VALU_DEP_1)
	v_fma_f64 v[21:22], v[21:22], v[23:24], v[21:22]
	v_fma_f64 v[23:24], -v[19:20], v[21:22], 1.0
	s_delay_alu instid0(VALU_DEP_1) | instskip(NEXT) | instid1(VALU_DEP_1)
	v_fma_f64 v[21:22], v[21:22], v[23:24], v[21:22]
	v_mul_f64 v[23:24], v[25:26], v[21:22]
	s_delay_alu instid0(VALU_DEP_1) | instskip(NEXT) | instid1(VALU_DEP_1)
	v_fma_f64 v[19:20], -v[19:20], v[23:24], v[25:26]
	v_div_fmas_f64 v[19:20], v[19:20], v[21:22], v[23:24]
	v_cmp_gt_f64_e64 vcc_lo, |v[9:10]|, 1.0
	s_delay_alu instid0(VALU_DEP_2) | instskip(NEXT) | instid1(VALU_DEP_1)
	v_div_fixup_f64 v[19:20], v[19:20], |v[9:10]|, 1.0
	v_dual_cndmask_b32 v12, v12, v20 :: v_dual_cndmask_b32 v11, v11, v19
	s_delay_alu instid0(VALU_DEP_1) | instskip(NEXT) | instid1(VALU_DEP_1)
	v_mul_f64 v[19:20], v[11:12], v[11:12]
	v_fma_f64 v[21:22], v[19:20], s[16:17], s[14:15]
	s_delay_alu instid0(VALU_DEP_1) | instskip(NEXT) | instid1(VALU_DEP_1)
	v_fma_f64 v[21:22], v[19:20], v[21:22], s[18:19]
	v_fma_f64 v[21:22], v[19:20], v[21:22], s[20:21]
	s_delay_alu instid0(VALU_DEP_1) | instskip(NEXT) | instid1(VALU_DEP_1)
	v_fma_f64 v[21:22], v[19:20], v[21:22], s[22:23]
	;; [unrolled: 3-line block ×9, first 2 shown]
	v_fma_f64 v[21:22], v[19:20], v[21:22], s[54:55]
	s_delay_alu instid0(VALU_DEP_1) | instskip(NEXT) | instid1(VALU_DEP_1)
	v_mul_f64 v[19:20], v[19:20], v[21:22]
	v_fma_f64 v[11:12], v[11:12], v[19:20], v[11:12]
	s_delay_alu instid0(VALU_DEP_1) | instskip(NEXT) | instid1(VALU_DEP_1)
	v_fma_f64 v[19:20], s[58:59], s[56:57], -v[11:12]
	v_dual_cndmask_b32 v12, v12, v20 :: v_dual_cndmask_b32 v9, v11, v19
	s_delay_alu instid0(VALU_DEP_1)
	v_bfi_b32 v10, 0x7fffffff, v12, v10
	global_store_b64 v[3:4], v[9:10], off
	s_or_b32 exec_lo, exec_lo, s5
	s_and_saveexec_b32 s4, s3
	s_cbranch_execz .LBB72_14
.LBB72_18:                              ;   in Loop: Header=BB72_4 Depth=1
	s_waitcnt vmcnt(0)
	v_dual_mov_b32 v9, v7 :: v_dual_and_b32 v10, 0x7fffffff, v8
	s_delay_alu instid0(VALU_DEP_1) | instskip(SKIP_1) | instid1(VALU_DEP_2)
	v_div_scale_f64 v[11:12], null, v[9:10], v[9:10], 1.0
	v_div_scale_f64 v[23:24], vcc_lo, 1.0, v[9:10], 1.0
	v_rcp_f64_e32 v[19:20], v[11:12]
	s_waitcnt_depctr 0xfff
	v_fma_f64 v[21:22], -v[11:12], v[19:20], 1.0
	s_delay_alu instid0(VALU_DEP_1) | instskip(NEXT) | instid1(VALU_DEP_1)
	v_fma_f64 v[19:20], v[19:20], v[21:22], v[19:20]
	v_fma_f64 v[21:22], -v[11:12], v[19:20], 1.0
	s_delay_alu instid0(VALU_DEP_1) | instskip(NEXT) | instid1(VALU_DEP_1)
	v_fma_f64 v[19:20], v[19:20], v[21:22], v[19:20]
	v_mul_f64 v[21:22], v[23:24], v[19:20]
	s_delay_alu instid0(VALU_DEP_1) | instskip(NEXT) | instid1(VALU_DEP_1)
	v_fma_f64 v[11:12], -v[11:12], v[21:22], v[23:24]
	v_div_fmas_f64 v[11:12], v[11:12], v[19:20], v[21:22]
	v_cmp_gt_f64_e64 vcc_lo, |v[7:8]|, 1.0
	s_delay_alu instid0(VALU_DEP_2) | instskip(NEXT) | instid1(VALU_DEP_1)
	v_div_fixup_f64 v[11:12], v[11:12], |v[7:8]|, 1.0
	v_dual_cndmask_b32 v10, v10, v12 :: v_dual_cndmask_b32 v9, v9, v11
	s_delay_alu instid0(VALU_DEP_1) | instskip(NEXT) | instid1(VALU_DEP_1)
	v_mul_f64 v[11:12], v[9:10], v[9:10]
	v_fma_f64 v[19:20], v[11:12], s[16:17], s[14:15]
	s_delay_alu instid0(VALU_DEP_1) | instskip(NEXT) | instid1(VALU_DEP_1)
	v_fma_f64 v[19:20], v[11:12], v[19:20], s[18:19]
	v_fma_f64 v[19:20], v[11:12], v[19:20], s[20:21]
	s_delay_alu instid0(VALU_DEP_1) | instskip(NEXT) | instid1(VALU_DEP_1)
	v_fma_f64 v[19:20], v[11:12], v[19:20], s[22:23]
	;; [unrolled: 3-line block ×9, first 2 shown]
	v_fma_f64 v[19:20], v[11:12], v[19:20], s[54:55]
	s_delay_alu instid0(VALU_DEP_1) | instskip(NEXT) | instid1(VALU_DEP_1)
	v_mul_f64 v[11:12], v[11:12], v[19:20]
	v_fma_f64 v[9:10], v[9:10], v[11:12], v[9:10]
	s_delay_alu instid0(VALU_DEP_1) | instskip(NEXT) | instid1(VALU_DEP_1)
	v_fma_f64 v[11:12], s[58:59], s[56:57], -v[9:10]
	v_dual_cndmask_b32 v10, v10, v12 :: v_dual_cndmask_b32 v7, v9, v11
	v_add_co_u32 v9, vcc_lo, v1, s64
	s_delay_alu instid0(VALU_DEP_2)
	v_bfi_b32 v8, 0x7fffffff, v10, v8
	v_add_co_ci_u32_e32 v10, vcc_lo, 0, v2, vcc_lo
	global_store_b64 v[9:10], v[7:8], off
	s_or_b32 exec_lo, exec_lo, s4
	s_and_saveexec_b32 s3, s2
	s_cbranch_execz .LBB72_3
.LBB72_19:                              ;   in Loop: Header=BB72_4 Depth=1
	s_waitcnt vmcnt(0)
	v_dual_mov_b32 v7, v5 :: v_dual_and_b32 v8, 0x7fffffff, v6
	s_delay_alu instid0(VALU_DEP_1) | instskip(SKIP_1) | instid1(VALU_DEP_2)
	v_div_scale_f64 v[9:10], null, v[7:8], v[7:8], 1.0
	v_div_scale_f64 v[21:22], vcc_lo, 1.0, v[7:8], 1.0
	v_rcp_f64_e32 v[11:12], v[9:10]
	s_waitcnt_depctr 0xfff
	v_fma_f64 v[19:20], -v[9:10], v[11:12], 1.0
	s_delay_alu instid0(VALU_DEP_1) | instskip(NEXT) | instid1(VALU_DEP_1)
	v_fma_f64 v[11:12], v[11:12], v[19:20], v[11:12]
	v_fma_f64 v[19:20], -v[9:10], v[11:12], 1.0
	s_delay_alu instid0(VALU_DEP_1) | instskip(NEXT) | instid1(VALU_DEP_1)
	v_fma_f64 v[11:12], v[11:12], v[19:20], v[11:12]
	v_mul_f64 v[19:20], v[21:22], v[11:12]
	s_delay_alu instid0(VALU_DEP_1) | instskip(NEXT) | instid1(VALU_DEP_1)
	v_fma_f64 v[9:10], -v[9:10], v[19:20], v[21:22]
	v_div_fmas_f64 v[9:10], v[9:10], v[11:12], v[19:20]
	v_cmp_gt_f64_e64 vcc_lo, |v[5:6]|, 1.0
	s_delay_alu instid0(VALU_DEP_2) | instskip(NEXT) | instid1(VALU_DEP_1)
	v_div_fixup_f64 v[9:10], v[9:10], |v[5:6]|, 1.0
	v_dual_cndmask_b32 v8, v8, v10 :: v_dual_cndmask_b32 v7, v7, v9
	s_delay_alu instid0(VALU_DEP_1) | instskip(NEXT) | instid1(VALU_DEP_1)
	v_mul_f64 v[9:10], v[7:8], v[7:8]
	v_fma_f64 v[11:12], v[9:10], s[16:17], s[14:15]
	s_delay_alu instid0(VALU_DEP_1) | instskip(NEXT) | instid1(VALU_DEP_1)
	v_fma_f64 v[11:12], v[9:10], v[11:12], s[18:19]
	v_fma_f64 v[11:12], v[9:10], v[11:12], s[20:21]
	s_delay_alu instid0(VALU_DEP_1) | instskip(NEXT) | instid1(VALU_DEP_1)
	v_fma_f64 v[11:12], v[9:10], v[11:12], s[22:23]
	;; [unrolled: 3-line block ×9, first 2 shown]
	v_fma_f64 v[11:12], v[9:10], v[11:12], s[54:55]
	s_delay_alu instid0(VALU_DEP_1) | instskip(NEXT) | instid1(VALU_DEP_1)
	v_mul_f64 v[9:10], v[9:10], v[11:12]
	v_fma_f64 v[7:8], v[7:8], v[9:10], v[7:8]
	s_delay_alu instid0(VALU_DEP_1) | instskip(NEXT) | instid1(VALU_DEP_1)
	v_fma_f64 v[9:10], s[58:59], s[56:57], -v[7:8]
	v_dual_cndmask_b32 v8, v8, v10 :: v_dual_cndmask_b32 v5, v7, v9
	v_add_co_u32 v7, vcc_lo, v1, s63
	s_delay_alu instid0(VALU_DEP_2)
	v_bfi_b32 v6, 0x7fffffff, v8, v6
	v_add_co_ci_u32_e32 v8, vcc_lo, 0, v2, vcc_lo
	global_store_b64 v[7:8], v[5:6], off
	s_branch .LBB72_3
.LBB72_20:
	s_cbranch_execz .LBB72_22
	s_branch .LBB72_25
.LBB72_21:
.LBB72_22:
	v_dual_mov_b32 v2, 0 :: v_dual_lshlrev_b32 v1, 2, v0
	s_mov_b32 s5, 0
	s_mov_b32 s2, exec_lo
	s_delay_alu instid0(VALU_DEP_1)
	v_cmpx_gt_i64_e64 s[6:7], v[1:2]
	s_cbranch_execz .LBB72_25
; %bb.23:
	s_load_b32 s0, s[0:1], 0xd3c
	v_lshlrev_b32_e32 v3, 5, v0
	s_mov_b32 s12, 0xbd3237f4
	s_mov_b32 s14, 0xb5e68a13
	;; [unrolled: 1-line block ×18, first 2 shown]
	s_waitcnt lgkmcnt(0)
	s_and_b32 s0, s0, 0xffff
	s_mov_b32 s50, 0xeeb562d6
	s_lshl_b32 s33, s0, 2
	s_add_u32 s1, s8, s10
	v_add_lshl_u32 v1, v0, s0, 2
	s_addc_u32 s2, s9, s11
	v_add_co_u32 v0, s1, s1, v3
	s_delay_alu instid0(VALU_DEP_1) | instskip(SKIP_1) | instid1(VALU_DEP_2)
	v_add_co_ci_u32_e64 v4, null, s2, 0, s1
	s_mov_b32 s8, 0x5711927a
	v_add_co_u32 v3, vcc_lo, v0, 16
	s_delay_alu instid0(VALU_DEP_2)
	v_add_co_ci_u32_e32 v4, vcc_lo, 0, v4, vcc_lo
	s_mov_b32 s10, 0xe82d3ff0
	s_mov_b32 s52, 0x336a0500
	;; [unrolled: 1-line block ×24, first 2 shown]
	s_lshl_b32 s54, s0, 5
.LBB72_24:                              ; =>This Inner Loop Header: Depth=1
	s_clause 0x1
	global_load_b128 v[5:8], v[3:4], off offset:-16
	global_load_b128 v[9:12], v[3:4], off
	v_cmp_le_i64_e64 s3, s[6:7], v[1:2]
	v_cmp_lt_u64_e64 s4, 0xffff, v[1:2]
	s_waitcnt vmcnt(1)
	v_dual_mov_b32 v13, v5 :: v_dual_and_b32 v14, 0x7fffffff, v6
	v_dual_mov_b32 v15, v7 :: v_dual_and_b32 v16, 0x7fffffff, v8
	s_waitcnt vmcnt(0)
	v_dual_mov_b32 v17, v9 :: v_dual_and_b32 v18, 0x7fffffff, v10
	s_delay_alu instid0(VALU_DEP_3) | instskip(SKIP_2) | instid1(VALU_DEP_4)
	v_div_scale_f64 v[19:20], null, v[13:14], v[13:14], 1.0
	v_dual_mov_b32 v21, v11 :: v_dual_and_b32 v22, 0x7fffffff, v12
	v_div_scale_f64 v[23:24], null, v[15:16], v[15:16], 1.0
	v_div_scale_f64 v[25:26], null, v[17:18], v[17:18], 1.0
	s_delay_alu instid0(VALU_DEP_3) | instskip(SKIP_2) | instid1(VALU_DEP_4)
	v_div_scale_f64 v[27:28], null, v[21:22], v[21:22], 1.0
	v_div_scale_f64 v[45:46], vcc_lo, 1.0, v[13:14], 1.0
	v_rcp_f64_e32 v[29:30], v[19:20]
	v_rcp_f64_e32 v[31:32], v[23:24]
	s_delay_alu instid0(VALU_DEP_3) | instskip(NEXT) | instid1(VALU_DEP_2)
	v_rcp_f64_e32 v[33:34], v[25:26]
	v_rcp_f64_e32 v[35:36], v[27:28]
	v_fma_f64 v[37:38], -v[19:20], v[29:30], 1.0
	s_delay_alu instid0(TRANS32_DEP_3)
	v_fma_f64 v[39:40], -v[23:24], v[31:32], 1.0
	s_waitcnt_depctr 0xfff
	v_fma_f64 v[41:42], -v[25:26], v[33:34], 1.0
	v_fma_f64 v[43:44], -v[27:28], v[35:36], 1.0
	v_fma_f64 v[29:30], v[29:30], v[37:38], v[29:30]
	v_fma_f64 v[31:32], v[31:32], v[39:40], v[31:32]
	s_delay_alu instid0(VALU_DEP_4) | instskip(NEXT) | instid1(VALU_DEP_4)
	v_fma_f64 v[33:34], v[33:34], v[41:42], v[33:34]
	v_fma_f64 v[35:36], v[35:36], v[43:44], v[35:36]
	s_delay_alu instid0(VALU_DEP_4) | instskip(NEXT) | instid1(VALU_DEP_4)
	v_fma_f64 v[37:38], -v[19:20], v[29:30], 1.0
	v_fma_f64 v[39:40], -v[23:24], v[31:32], 1.0
	s_delay_alu instid0(VALU_DEP_4) | instskip(NEXT) | instid1(VALU_DEP_4)
	v_fma_f64 v[41:42], -v[25:26], v[33:34], 1.0
	v_fma_f64 v[43:44], -v[27:28], v[35:36], 1.0
	s_delay_alu instid0(VALU_DEP_4)
	v_fma_f64 v[29:30], v[29:30], v[37:38], v[29:30]
	v_div_scale_f64 v[37:38], s0, 1.0, v[15:16], 1.0
	v_fma_f64 v[31:32], v[31:32], v[39:40], v[31:32]
	v_div_scale_f64 v[39:40], s1, 1.0, v[17:18], 1.0
	;; [unrolled: 2-line block ×3, first 2 shown]
	v_fma_f64 v[35:36], v[35:36], v[43:44], v[35:36]
	v_mul_f64 v[43:44], v[45:46], v[29:30]
	v_mul_f64 v[47:48], v[37:38], v[31:32]
	;; [unrolled: 1-line block ×3, first 2 shown]
	s_delay_alu instid0(VALU_DEP_4) | instskip(NEXT) | instid1(VALU_DEP_4)
	v_mul_f64 v[51:52], v[41:42], v[35:36]
	v_fma_f64 v[19:20], -v[19:20], v[43:44], v[45:46]
	s_delay_alu instid0(VALU_DEP_4) | instskip(NEXT) | instid1(VALU_DEP_4)
	v_fma_f64 v[23:24], -v[23:24], v[47:48], v[37:38]
	v_fma_f64 v[25:26], -v[25:26], v[49:50], v[39:40]
	s_delay_alu instid0(VALU_DEP_4) | instskip(NEXT) | instid1(VALU_DEP_4)
	v_fma_f64 v[27:28], -v[27:28], v[51:52], v[41:42]
	v_div_fmas_f64 v[19:20], v[19:20], v[29:30], v[43:44]
	s_mov_b32 vcc_lo, s0
	v_cmp_gt_f64_e64 s0, |v[7:8]|, 1.0
	v_div_fmas_f64 v[23:24], v[23:24], v[31:32], v[47:48]
	s_mov_b32 vcc_lo, s1
	v_cmp_gt_f64_e64 s1, |v[9:10]|, 1.0
	;; [unrolled: 3-line block ×3, first 2 shown]
	v_div_fmas_f64 v[27:28], v[27:28], v[35:36], v[51:52]
	v_cmp_gt_f64_e64 vcc_lo, |v[5:6]|, 1.0
	v_div_fixup_f64 v[19:20], v[19:20], |v[5:6]|, 1.0
	v_div_fixup_f64 v[23:24], v[23:24], |v[7:8]|, 1.0
	;; [unrolled: 1-line block ×4, first 2 shown]
	s_delay_alu instid0(VALU_DEP_4) | instskip(NEXT) | instid1(VALU_DEP_4)
	v_dual_cndmask_b32 v14, v14, v20 :: v_dual_cndmask_b32 v13, v5, v19
	v_cndmask_b32_e64 v16, v16, v24, s0
	v_cndmask_b32_e64 v15, v7, v23, s0
	s_delay_alu instid0(VALU_DEP_3)
	v_mul_f64 v[19:20], v[13:14], v[13:14]
	v_cndmask_b32_e64 v18, v18, v26, s1
	v_cndmask_b32_e64 v17, v9, v25, s1
	;; [unrolled: 1-line block ×4, first 2 shown]
	v_mul_f64 v[23:24], v[15:16], v[15:16]
	s_delay_alu instid0(VALU_DEP_4) | instskip(NEXT) | instid1(VALU_DEP_3)
	v_mul_f64 v[25:26], v[17:18], v[17:18]
	v_mul_f64 v[27:28], v[21:22], v[21:22]
	v_fma_f64 v[29:30], v[19:20], s[14:15], s[12:13]
	s_delay_alu instid0(VALU_DEP_4) | instskip(NEXT) | instid1(VALU_DEP_4)
	v_fma_f64 v[31:32], v[23:24], s[14:15], s[12:13]
	v_fma_f64 v[33:34], v[25:26], s[14:15], s[12:13]
	s_delay_alu instid0(VALU_DEP_4) | instskip(NEXT) | instid1(VALU_DEP_4)
	v_fma_f64 v[35:36], v[27:28], s[14:15], s[12:13]
	;; [unrolled: 3-line block ×38, first 2 shown]
	v_mul_f64 v[19:20], v[19:20], v[29:30]
	s_delay_alu instid0(VALU_DEP_4) | instskip(NEXT) | instid1(VALU_DEP_4)
	v_mul_f64 v[23:24], v[23:24], v[31:32]
	v_mul_f64 v[25:26], v[25:26], v[33:34]
	s_delay_alu instid0(VALU_DEP_4) | instskip(NEXT) | instid1(VALU_DEP_4)
	v_mul_f64 v[27:28], v[27:28], v[35:36]
	v_fma_f64 v[13:14], v[13:14], v[19:20], v[13:14]
	s_delay_alu instid0(VALU_DEP_4) | instskip(NEXT) | instid1(VALU_DEP_4)
	v_fma_f64 v[15:16], v[15:16], v[23:24], v[15:16]
	v_fma_f64 v[17:18], v[17:18], v[25:26], v[17:18]
	s_delay_alu instid0(VALU_DEP_4) | instskip(NEXT) | instid1(VALU_DEP_4)
	v_fma_f64 v[19:20], v[21:22], v[27:28], v[21:22]
	v_fma_f64 v[21:22], s[52:53], s[50:51], -v[13:14]
	s_delay_alu instid0(VALU_DEP_4) | instskip(NEXT) | instid1(VALU_DEP_4)
	v_fma_f64 v[23:24], s[52:53], s[50:51], -v[15:16]
	v_fma_f64 v[25:26], s[52:53], s[50:51], -v[17:18]
	s_delay_alu instid0(VALU_DEP_4) | instskip(NEXT) | instid1(VALU_DEP_4)
	v_fma_f64 v[27:28], s[52:53], s[50:51], -v[19:20]
	v_dual_cndmask_b32 v5, v13, v21 :: v_dual_cndmask_b32 v0, v14, v22
	v_add_co_u32 v1, vcc_lo, v1, s33
	v_add_co_ci_u32_e32 v2, vcc_lo, 0, v2, vcc_lo
	v_cndmask_b32_e64 v13, v16, v24, s0
	v_cndmask_b32_e64 v7, v15, v23, s0
	;; [unrolled: 1-line block ×3, first 2 shown]
	v_bfi_b32 v6, 0x7fffffff, v0, v6
	v_cndmask_b32_e64 v15, v20, v28, s2
	v_bfi_b32 v8, 0x7fffffff, v13, v8
	v_cndmask_b32_e64 v9, v17, v25, s1
	v_cndmask_b32_e64 v11, v19, v27, s2
	v_bfi_b32 v10, 0x7fffffff, v14, v10
	v_bfi_b32 v12, 0x7fffffff, v15, v12
	s_clause 0x1
	global_store_b128 v[3:4], v[5:8], off offset:-16
	global_store_b128 v[3:4], v[9:12], off
	v_add_co_u32 v3, vcc_lo, v3, s54
	s_or_b32 s0, s3, s4
	v_add_co_ci_u32_e32 v4, vcc_lo, 0, v4, vcc_lo
	s_and_b32 s0, exec_lo, s0
	s_delay_alu instid0(SALU_CYCLE_1) | instskip(NEXT) | instid1(SALU_CYCLE_1)
	s_or_b32 s5, s0, s5
	s_and_not1_b32 exec_lo, exec_lo, s5
	s_cbranch_execnz .LBB72_24
.LBB72_25:
	s_nop 0
	s_sendmsg sendmsg(MSG_DEALLOC_VGPRS)
	s_endpgm
	.section	.rodata,"a",@progbits
	.p2align	6, 0x0
	.amdhsa_kernel _ZN2at6native12_GLOBAL__N_125multi_tensor_apply_kernelINS1_18TensorListMetadataILi1EEENS1_14UnaryOpFunctorIdLi1ELi1ELi0EEEJNS0_4AtanIdEEEEEvT_T0_DpT1_
		.amdhsa_group_segment_fixed_size 0
		.amdhsa_private_segment_fixed_size 0
		.amdhsa_kernarg_size 3632
		.amdhsa_user_sgpr_count 15
		.amdhsa_user_sgpr_dispatch_ptr 0
		.amdhsa_user_sgpr_queue_ptr 0
		.amdhsa_user_sgpr_kernarg_segment_ptr 1
		.amdhsa_user_sgpr_dispatch_id 0
		.amdhsa_user_sgpr_private_segment_size 0
		.amdhsa_wavefront_size32 1
		.amdhsa_uses_dynamic_stack 0
		.amdhsa_enable_private_segment 0
		.amdhsa_system_sgpr_workgroup_id_x 1
		.amdhsa_system_sgpr_workgroup_id_y 0
		.amdhsa_system_sgpr_workgroup_id_z 0
		.amdhsa_system_sgpr_workgroup_info 0
		.amdhsa_system_vgpr_workitem_id 0
		.amdhsa_next_free_vgpr 53
		.amdhsa_next_free_sgpr 66
		.amdhsa_reserve_vcc 1
		.amdhsa_float_round_mode_32 0
		.amdhsa_float_round_mode_16_64 0
		.amdhsa_float_denorm_mode_32 3
		.amdhsa_float_denorm_mode_16_64 3
		.amdhsa_dx10_clamp 1
		.amdhsa_ieee_mode 1
		.amdhsa_fp16_overflow 0
		.amdhsa_workgroup_processor_mode 1
		.amdhsa_memory_ordered 1
		.amdhsa_forward_progress 0
		.amdhsa_shared_vgpr_count 0
		.amdhsa_exception_fp_ieee_invalid_op 0
		.amdhsa_exception_fp_denorm_src 0
		.amdhsa_exception_fp_ieee_div_zero 0
		.amdhsa_exception_fp_ieee_overflow 0
		.amdhsa_exception_fp_ieee_underflow 0
		.amdhsa_exception_fp_ieee_inexact 0
		.amdhsa_exception_int_div_zero 0
	.end_amdhsa_kernel
	.section	.text._ZN2at6native12_GLOBAL__N_125multi_tensor_apply_kernelINS1_18TensorListMetadataILi1EEENS1_14UnaryOpFunctorIdLi1ELi1ELi0EEEJNS0_4AtanIdEEEEEvT_T0_DpT1_,"axG",@progbits,_ZN2at6native12_GLOBAL__N_125multi_tensor_apply_kernelINS1_18TensorListMetadataILi1EEENS1_14UnaryOpFunctorIdLi1ELi1ELi0EEEJNS0_4AtanIdEEEEEvT_T0_DpT1_,comdat
.Lfunc_end72:
	.size	_ZN2at6native12_GLOBAL__N_125multi_tensor_apply_kernelINS1_18TensorListMetadataILi1EEENS1_14UnaryOpFunctorIdLi1ELi1ELi0EEEJNS0_4AtanIdEEEEEvT_T0_DpT1_, .Lfunc_end72-_ZN2at6native12_GLOBAL__N_125multi_tensor_apply_kernelINS1_18TensorListMetadataILi1EEENS1_14UnaryOpFunctorIdLi1ELi1ELi0EEEJNS0_4AtanIdEEEEEvT_T0_DpT1_
                                        ; -- End function
	.section	.AMDGPU.csdata,"",@progbits
; Kernel info:
; codeLenInByte = 4944
; NumSgprs: 68
; NumVgprs: 53
; ScratchSize: 0
; MemoryBound: 0
; FloatMode: 240
; IeeeMode: 1
; LDSByteSize: 0 bytes/workgroup (compile time only)
; SGPRBlocks: 8
; VGPRBlocks: 6
; NumSGPRsForWavesPerEU: 68
; NumVGPRsForWavesPerEU: 53
; Occupancy: 16
; WaveLimiterHint : 0
; COMPUTE_PGM_RSRC2:SCRATCH_EN: 0
; COMPUTE_PGM_RSRC2:USER_SGPR: 15
; COMPUTE_PGM_RSRC2:TRAP_HANDLER: 0
; COMPUTE_PGM_RSRC2:TGID_X_EN: 1
; COMPUTE_PGM_RSRC2:TGID_Y_EN: 0
; COMPUTE_PGM_RSRC2:TGID_Z_EN: 0
; COMPUTE_PGM_RSRC2:TIDIG_COMP_CNT: 0
	.section	.text._ZN2at6native12_GLOBAL__N_125multi_tensor_apply_kernelINS1_18TensorListMetadataILi1EEENS1_14UnaryOpFunctorIfLi1ELi1ELi0EEEJNS0_4AtanIfEEEEEvT_T0_DpT1_,"axG",@progbits,_ZN2at6native12_GLOBAL__N_125multi_tensor_apply_kernelINS1_18TensorListMetadataILi1EEENS1_14UnaryOpFunctorIfLi1ELi1ELi0EEEJNS0_4AtanIfEEEEEvT_T0_DpT1_,comdat
	.globl	_ZN2at6native12_GLOBAL__N_125multi_tensor_apply_kernelINS1_18TensorListMetadataILi1EEENS1_14UnaryOpFunctorIfLi1ELi1ELi0EEEJNS0_4AtanIfEEEEEvT_T0_DpT1_ ; -- Begin function _ZN2at6native12_GLOBAL__N_125multi_tensor_apply_kernelINS1_18TensorListMetadataILi1EEENS1_14UnaryOpFunctorIfLi1ELi1ELi0EEEJNS0_4AtanIfEEEEEvT_T0_DpT1_
	.p2align	8
	.type	_ZN2at6native12_GLOBAL__N_125multi_tensor_apply_kernelINS1_18TensorListMetadataILi1EEENS1_14UnaryOpFunctorIfLi1ELi1ELi0EEEJNS0_4AtanIfEEEEEvT_T0_DpT1_,@function
_ZN2at6native12_GLOBAL__N_125multi_tensor_apply_kernelINS1_18TensorListMetadataILi1EEENS1_14UnaryOpFunctorIfLi1ELi1ELi0EEEJNS0_4AtanIfEEEEEvT_T0_DpT1_: ; @_ZN2at6native12_GLOBAL__N_125multi_tensor_apply_kernelINS1_18TensorListMetadataILi1EEENS1_14UnaryOpFunctorIfLi1ELi1ELi0EEEJNS0_4AtanIfEEEEEvT_T0_DpT1_
; %bb.0:
	v_mov_b32_e32 v1, s15
	s_add_u32 s2, s0, s15
	s_mul_hi_u32 s3, s15, 3
	s_mul_i32 s15, s15, 3
	s_addc_u32 s4, s1, 0
	global_load_u8 v1, v1, s[0:1] offset:1760
	s_add_u32 s2, s2, s15
	s_addc_u32 s3, s4, s3
	s_mov_b32 s13, 0
	s_load_b32 s2, s[2:3], 0x820
	s_waitcnt vmcnt(0)
	v_readfirstlane_b32 s5, v1
	s_delay_alu instid0(VALU_DEP_1)
	s_lshl_b32 s3, s5, 3
	s_clause 0x1
	s_load_b64 s[8:9], s[0:1], s3 offset:0x0
	s_load_b64 s[4:5], s[0:1], s3 offset:0x370
	s_waitcnt lgkmcnt(0)
	s_ashr_i32 s3, s2, 31
	s_delay_alu instid0(SALU_CYCLE_1)
	s_lshl_b64 s[10:11], s[2:3], 18
	s_lshl_b64 s[2:3], s[2:3], 16
	s_and_b32 s12, s8, 15
	s_sub_u32 s6, s4, s2
	s_subb_u32 s7, s5, s3
	s_and_b32 s2, s4, 3
	s_mov_b32 s3, s13
	s_delay_alu instid0(SALU_CYCLE_1) | instskip(NEXT) | instid1(SALU_CYCLE_1)
	s_or_b64 s[2:3], s[12:13], s[2:3]
	s_cmp_eq_u64 s[2:3], 0
	s_cbranch_scc1 .LBB73_21
; %bb.1:
	v_cmp_lt_i64_e64 s2, s[6:7], 1
	s_delay_alu instid0(VALU_DEP_1)
	s_and_b32 vcc_lo, exec_lo, s2
	s_cbranch_vccnz .LBB73_20
; %bb.2:
	s_load_b32 s2, s[0:1], 0xd3c
	v_cmp_gt_u64_e64 s3, 0x10000, s[6:7]
	v_lshlrev_b32_e32 v1, 2, v0
	s_mov_b32 s20, 0x3b2d2a58
	s_waitcnt lgkmcnt(0)
	s_and_b32 s2, s2, 0xffff
	s_delay_alu instid0(VALU_DEP_2)
	s_and_b32 s3, s3, exec_lo
	v_add_co_u32 v5, s5, v0, s2
	s_cselect_b32 s13, s7, 0
	s_cselect_b32 s12, s6, 0x10000
	s_lshl_b32 s3, s2, 1
	s_lshl_b32 s16, s2, 2
	v_lshlrev_b32_e32 v3, 2, v5
	v_add_co_ci_u32_e64 v6, null, 0, 0, s5
	s_add_u32 s5, s8, s10
	v_add_co_u32 v9, s3, s3, v0
	s_mul_i32 s4, s2, 3
	s_addc_u32 s14, s9, s11
	v_add_co_ci_u32_e64 v10, null, 0, 0, s3
	v_add_co_u32 v1, s3, s5, v1
	v_add_co_u32 v7, s4, s4, v0
	v_add_co_ci_u32_e64 v2, null, s14, 0, s3
	v_add_co_u32 v3, s3, s5, v3
	v_add_co_ci_u32_e64 v8, null, 0, 0, s4
	v_add_co_ci_u32_e64 v4, null, s14, 0, s3
	s_mul_i32 s17, s2, 12
	s_lshl_b32 s18, s2, 4
	s_lshl_b32 s19, s2, 3
	s_mov_b64 s[14:15], 0
	s_branch .LBB73_4
.LBB73_3:                               ;   in Loop: Header=BB73_4 Depth=1
	s_or_b32 exec_lo, exec_lo, s2
	s_add_u32 s14, s14, s16
	s_addc_u32 s15, s15, 0
	v_add_co_u32 v1, vcc_lo, v1, s18
	v_cmp_lt_i64_e64 s2, s[14:15], s[6:7]
	v_cmp_gt_u64_e64 s3, 0x10000, s[14:15]
	v_add_co_ci_u32_e32 v2, vcc_lo, 0, v2, vcc_lo
	v_add_co_u32 v3, vcc_lo, v3, s18
	v_add_co_ci_u32_e32 v4, vcc_lo, 0, v4, vcc_lo
	s_delay_alu instid0(VALU_DEP_4) | instskip(NEXT) | instid1(SALU_CYCLE_1)
	s_and_b32 s2, s2, s3
	s_and_b32 vcc_lo, exec_lo, s2
	s_cbranch_vccz .LBB73_20
.LBB73_4:                               ; =>This Inner Loop Header: Depth=1
	s_waitcnt vmcnt(0)
	v_add_co_u32 v11, s2, v0, s14
	s_delay_alu instid0(VALU_DEP_1) | instskip(SKIP_1) | instid1(VALU_DEP_2)
	v_add_co_ci_u32_e64 v12, null, 0, s15, s2
	v_mov_b32_e32 v14, 0
	v_cmp_gt_u64_e64 s4, s[12:13], v[11:12]
	s_delay_alu instid0(VALU_DEP_1)
	s_and_saveexec_b32 s2, s4
	s_cbranch_execz .LBB73_6
; %bb.5:                                ;   in Loop: Header=BB73_4 Depth=1
	global_load_b32 v14, v[1:2], off
.LBB73_6:                               ;   in Loop: Header=BB73_4 Depth=1
	s_or_b32 exec_lo, exec_lo, s2
	v_add_co_u32 v11, vcc_lo, v5, s14
	v_add_co_ci_u32_e32 v12, vcc_lo, s15, v6, vcc_lo
	v_mov_b32_e32 v13, 0
	s_delay_alu instid0(VALU_DEP_2) | instskip(NEXT) | instid1(VALU_DEP_1)
	v_cmp_gt_u64_e64 s3, s[12:13], v[11:12]
	s_and_saveexec_b32 s2, s3
	s_cbranch_execz .LBB73_8
; %bb.7:                                ;   in Loop: Header=BB73_4 Depth=1
	global_load_b32 v13, v[3:4], off
.LBB73_8:                               ;   in Loop: Header=BB73_4 Depth=1
	s_or_b32 exec_lo, exec_lo, s2
	v_add_co_u32 v11, vcc_lo, v9, s14
	v_add_co_ci_u32_e32 v12, vcc_lo, s15, v10, vcc_lo
	s_delay_alu instid0(VALU_DEP_1) | instskip(SKIP_1) | instid1(VALU_DEP_2)
	v_cmp_gt_u64_e64 s2, s[12:13], v[11:12]
	v_dual_mov_b32 v11, 0 :: v_dual_mov_b32 v12, 0
	s_and_saveexec_b32 s5, s2
	s_cbranch_execz .LBB73_10
; %bb.9:                                ;   in Loop: Header=BB73_4 Depth=1
	v_add_co_u32 v15, vcc_lo, v1, s19
	v_add_co_ci_u32_e32 v16, vcc_lo, 0, v2, vcc_lo
	global_load_b32 v12, v[15:16], off
.LBB73_10:                              ;   in Loop: Header=BB73_4 Depth=1
	s_or_b32 exec_lo, exec_lo, s5
	v_add_co_u32 v15, vcc_lo, v7, s14
	v_add_co_ci_u32_e32 v16, vcc_lo, s15, v8, vcc_lo
	s_delay_alu instid0(VALU_DEP_1)
	v_cmp_gt_u64_e32 vcc_lo, s[12:13], v[15:16]
	s_and_saveexec_b32 s21, vcc_lo
	s_cbranch_execnz .LBB73_15
; %bb.11:                               ;   in Loop: Header=BB73_4 Depth=1
	s_or_b32 exec_lo, exec_lo, s21
	s_and_saveexec_b32 s5, s4
	s_cbranch_execnz .LBB73_16
.LBB73_12:                              ;   in Loop: Header=BB73_4 Depth=1
	s_or_b32 exec_lo, exec_lo, s5
	s_and_saveexec_b32 s4, s3
	s_cbranch_execnz .LBB73_17
.LBB73_13:                              ;   in Loop: Header=BB73_4 Depth=1
	s_or_b32 exec_lo, exec_lo, s4
	s_and_saveexec_b32 s3, s2
	s_cbranch_execnz .LBB73_18
.LBB73_14:                              ;   in Loop: Header=BB73_4 Depth=1
	s_or_b32 exec_lo, exec_lo, s3
	s_and_saveexec_b32 s2, vcc_lo
	s_cbranch_execz .LBB73_3
	s_branch .LBB73_19
.LBB73_15:                              ;   in Loop: Header=BB73_4 Depth=1
	v_add_co_u32 v15, s5, v1, s17
	s_delay_alu instid0(VALU_DEP_1)
	v_add_co_ci_u32_e64 v16, s5, 0, v2, s5
	global_load_b32 v11, v[15:16], off
	s_or_b32 exec_lo, exec_lo, s21
	s_and_saveexec_b32 s5, s4
	s_cbranch_execz .LBB73_12
.LBB73_16:                              ;   in Loop: Header=BB73_4 Depth=1
	s_waitcnt vmcnt(0)
	v_rcp_f32_e64 v15, |v14|
	v_cmp_gt_f32_e64 s4, |v14|, 1.0
	s_waitcnt_depctr 0xfff
	v_cndmask_b32_e64 v15, |v14|, v15, s4
	s_delay_alu instid0(VALU_DEP_1) | instskip(NEXT) | instid1(VALU_DEP_1)
	v_mul_f32_e32 v16, v15, v15
	v_fmaak_f32 v17, s20, v16, 0xbc7a590c
	s_delay_alu instid0(VALU_DEP_1) | instskip(NEXT) | instid1(VALU_DEP_1)
	v_fmaak_f32 v17, v16, v17, 0x3d29fb3f
	v_fmaak_f32 v17, v16, v17, 0xbd97d4d7
	s_delay_alu instid0(VALU_DEP_1) | instskip(NEXT) | instid1(VALU_DEP_1)
	v_fmaak_f32 v17, v16, v17, 0x3dd931b2
	;; [unrolled: 3-line block ×3, first 2 shown]
	v_fmaak_f32 v17, v16, v17, 0xbeaaaa62
	s_delay_alu instid0(VALU_DEP_1) | instskip(NEXT) | instid1(VALU_DEP_1)
	v_mul_f32_e32 v16, v16, v17
	v_fmac_f32_e32 v15, v15, v16
	s_delay_alu instid0(VALU_DEP_1) | instskip(NEXT) | instid1(VALU_DEP_1)
	v_sub_f32_e32 v16, 0x3fc90fdb, v15
	v_cndmask_b32_e64 v15, v15, v16, s4
	s_delay_alu instid0(VALU_DEP_1)
	v_bfi_b32 v14, 0x7fffffff, v15, v14
	global_store_b32 v[1:2], v14, off
	s_or_b32 exec_lo, exec_lo, s5
	s_and_saveexec_b32 s4, s3
	s_cbranch_execz .LBB73_13
.LBB73_17:                              ;   in Loop: Header=BB73_4 Depth=1
	s_waitcnt vmcnt(0)
	v_rcp_f32_e64 v14, |v13|
	v_cmp_gt_f32_e64 s3, |v13|, 1.0
	s_waitcnt_depctr 0xfff
	v_cndmask_b32_e64 v14, |v13|, v14, s3
	s_delay_alu instid0(VALU_DEP_1) | instskip(NEXT) | instid1(VALU_DEP_1)
	v_mul_f32_e32 v15, v14, v14
	v_fmaak_f32 v16, s20, v15, 0xbc7a590c
	s_delay_alu instid0(VALU_DEP_1) | instskip(NEXT) | instid1(VALU_DEP_1)
	v_fmaak_f32 v16, v15, v16, 0x3d29fb3f
	v_fmaak_f32 v16, v15, v16, 0xbd97d4d7
	s_delay_alu instid0(VALU_DEP_1) | instskip(NEXT) | instid1(VALU_DEP_1)
	v_fmaak_f32 v16, v15, v16, 0x3dd931b2
	;; [unrolled: 3-line block ×3, first 2 shown]
	v_fmaak_f32 v16, v15, v16, 0xbeaaaa62
	s_delay_alu instid0(VALU_DEP_1) | instskip(NEXT) | instid1(VALU_DEP_1)
	v_mul_f32_e32 v15, v15, v16
	v_fmac_f32_e32 v14, v14, v15
	s_delay_alu instid0(VALU_DEP_1) | instskip(NEXT) | instid1(VALU_DEP_1)
	v_sub_f32_e32 v15, 0x3fc90fdb, v14
	v_cndmask_b32_e64 v14, v14, v15, s3
	s_delay_alu instid0(VALU_DEP_1)
	v_bfi_b32 v13, 0x7fffffff, v14, v13
	global_store_b32 v[3:4], v13, off
	s_or_b32 exec_lo, exec_lo, s4
	s_and_saveexec_b32 s3, s2
	s_cbranch_execz .LBB73_14
.LBB73_18:                              ;   in Loop: Header=BB73_4 Depth=1
	s_waitcnt vmcnt(0)
	v_rcp_f32_e64 v13, |v12|
	v_cmp_gt_f32_e64 s2, |v12|, 1.0
	s_waitcnt_depctr 0xfff
	v_cndmask_b32_e64 v13, |v12|, v13, s2
	s_delay_alu instid0(VALU_DEP_1) | instskip(NEXT) | instid1(VALU_DEP_1)
	v_mul_f32_e32 v14, v13, v13
	v_fmaak_f32 v15, s20, v14, 0xbc7a590c
	s_delay_alu instid0(VALU_DEP_1) | instskip(NEXT) | instid1(VALU_DEP_1)
	v_fmaak_f32 v15, v14, v15, 0x3d29fb3f
	v_fmaak_f32 v15, v14, v15, 0xbd97d4d7
	s_delay_alu instid0(VALU_DEP_1) | instskip(NEXT) | instid1(VALU_DEP_1)
	v_fmaak_f32 v15, v14, v15, 0x3dd931b2
	;; [unrolled: 3-line block ×3, first 2 shown]
	v_fmaak_f32 v15, v14, v15, 0xbeaaaa62
	s_delay_alu instid0(VALU_DEP_1) | instskip(NEXT) | instid1(VALU_DEP_1)
	v_mul_f32_e32 v14, v14, v15
	v_fmac_f32_e32 v13, v13, v14
	s_delay_alu instid0(VALU_DEP_1) | instskip(NEXT) | instid1(VALU_DEP_1)
	v_sub_f32_e32 v14, 0x3fc90fdb, v13
	v_cndmask_b32_e64 v13, v13, v14, s2
	s_delay_alu instid0(VALU_DEP_1) | instskip(SKIP_1) | instid1(VALU_DEP_1)
	v_bfi_b32 v14, 0x7fffffff, v13, v12
	v_add_co_u32 v12, s2, v1, s19
	v_add_co_ci_u32_e64 v13, s2, 0, v2, s2
	global_store_b32 v[12:13], v14, off
	s_or_b32 exec_lo, exec_lo, s3
	s_and_saveexec_b32 s2, vcc_lo
	s_cbranch_execz .LBB73_3
.LBB73_19:                              ;   in Loop: Header=BB73_4 Depth=1
	s_waitcnt vmcnt(0)
	v_rcp_f32_e64 v12, |v11|
	v_cmp_gt_f32_e64 vcc_lo, |v11|, 1.0
	s_waitcnt_depctr 0xfff
	v_cndmask_b32_e64 v12, |v11|, v12, vcc_lo
	s_delay_alu instid0(VALU_DEP_1) | instskip(NEXT) | instid1(VALU_DEP_1)
	v_mul_f32_e32 v13, v12, v12
	v_fmaak_f32 v14, s20, v13, 0xbc7a590c
	s_delay_alu instid0(VALU_DEP_1) | instskip(NEXT) | instid1(VALU_DEP_1)
	v_fmaak_f32 v14, v13, v14, 0x3d29fb3f
	v_fmaak_f32 v14, v13, v14, 0xbd97d4d7
	s_delay_alu instid0(VALU_DEP_1) | instskip(NEXT) | instid1(VALU_DEP_1)
	v_fmaak_f32 v14, v13, v14, 0x3dd931b2
	;; [unrolled: 3-line block ×3, first 2 shown]
	v_fmaak_f32 v14, v13, v14, 0xbeaaaa62
	s_delay_alu instid0(VALU_DEP_1) | instskip(NEXT) | instid1(VALU_DEP_1)
	v_mul_f32_e32 v13, v13, v14
	v_fmac_f32_e32 v12, v12, v13
	s_delay_alu instid0(VALU_DEP_1) | instskip(NEXT) | instid1(VALU_DEP_1)
	v_sub_f32_e32 v13, 0x3fc90fdb, v12
	v_cndmask_b32_e32 v12, v12, v13, vcc_lo
	s_delay_alu instid0(VALU_DEP_1)
	v_bfi_b32 v13, 0x7fffffff, v12, v11
	v_add_co_u32 v11, vcc_lo, v1, s17
	v_add_co_ci_u32_e32 v12, vcc_lo, 0, v2, vcc_lo
	global_store_b32 v[11:12], v13, off
	s_branch .LBB73_3
.LBB73_20:
	s_cbranch_execz .LBB73_22
	s_branch .LBB73_25
.LBB73_21:
.LBB73_22:
	v_dual_mov_b32 v2, 0 :: v_dual_lshlrev_b32 v1, 2, v0
	s_mov_b32 s4, 0
	s_mov_b32 s2, exec_lo
	s_delay_alu instid0(VALU_DEP_1)
	v_cmpx_gt_i64_e64 s[6:7], v[1:2]
	s_cbranch_execz .LBB73_25
; %bb.23:
	s_load_b32 s0, s[0:1], 0xd3c
	v_lshlrev_b32_e32 v1, 4, v0
	s_waitcnt lgkmcnt(0)
	s_and_b32 s0, s0, 0xffff
	s_delay_alu instid0(SALU_CYCLE_1) | instskip(SKIP_3) | instid1(VALU_DEP_1)
	s_lshl_b32 s5, s0, 2
	s_add_u32 s1, s8, s10
	s_addc_u32 s2, s9, s11
	v_add_co_u32 v3, s1, s1, v1
	v_add_co_ci_u32_e64 v4, null, s2, 0, s1
	v_add_lshl_u32 v1, v0, s0, 2
	s_delay_alu instid0(VALU_DEP_3) | instskip(NEXT) | instid1(VALU_DEP_3)
	v_add_co_u32 v3, vcc_lo, v3, 8
	v_add_co_ci_u32_e32 v4, vcc_lo, 0, v4, vcc_lo
	s_lshl_b32 s8, s0, 4
	s_mov_b32 s9, 0x3b2d2a58
.LBB73_24:                              ; =>This Inner Loop Header: Depth=1
	global_load_b128 v[5:8], v[3:4], off offset:-8
	v_cmp_le_i64_e64 s3, s[6:7], v[1:2]
	s_waitcnt vmcnt(0)
	v_rcp_f32_e64 v0, |v5|
	v_rcp_f32_e64 v9, |v6|
	;; [unrolled: 1-line block ×4, first 2 shown]
	v_cmp_gt_f32_e64 vcc_lo, |v5|, 1.0
	v_cmp_gt_f32_e64 s0, |v6|, 1.0
	v_cmp_gt_f32_e64 s1, |v7|, 1.0
	;; [unrolled: 1-line block ×3, first 2 shown]
	s_delay_alu instid0(VALU_DEP_4)
	v_cndmask_b32_e64 v0, |v5|, v0, vcc_lo
	s_delay_alu instid0(TRANS32_DEP_3) | instid1(VALU_DEP_4)
	v_cndmask_b32_e64 v9, |v6|, v9, s0
	s_delay_alu instid0(TRANS32_DEP_2) | instid1(VALU_DEP_4)
	v_cndmask_b32_e64 v10, |v7|, v10, s1
	s_delay_alu instid0(TRANS32_DEP_1) | instid1(VALU_DEP_4)
	v_cndmask_b32_e64 v11, |v8|, v11, s2
	s_delay_alu instid0(VALU_DEP_3) | instskip(NEXT) | instid1(VALU_DEP_2)
	v_dual_mul_f32 v12, v0, v0 :: v_dual_mul_f32 v13, v9, v9
	v_dual_mul_f32 v14, v10, v10 :: v_dual_mul_f32 v15, v11, v11
	s_delay_alu instid0(VALU_DEP_2) | instskip(NEXT) | instid1(VALU_DEP_2)
	v_dual_fmaak_f32 v16, s9, v12, 0xbc7a590c :: v_dual_fmaak_f32 v17, s9, v13, 0xbc7a590c
	v_dual_fmaak_f32 v18, s9, v14, 0xbc7a590c :: v_dual_fmaak_f32 v19, s9, v15, 0xbc7a590c
	s_delay_alu instid0(VALU_DEP_2) | instskip(NEXT) | instid1(VALU_DEP_2)
	v_dual_fmaak_f32 v16, v12, v16, 0x3d29fb3f :: v_dual_fmaak_f32 v17, v13, v17, 0x3d29fb3f
	v_dual_fmaak_f32 v18, v14, v18, 0x3d29fb3f :: v_dual_fmaak_f32 v19, v15, v19, 0x3d29fb3f
	;; [unrolled: 3-line block ×7, first 2 shown]
	s_delay_alu instid0(VALU_DEP_2) | instskip(NEXT) | instid1(VALU_DEP_2)
	v_dual_mul_f32 v12, v12, v16 :: v_dual_mul_f32 v13, v13, v17
	v_dual_mul_f32 v14, v14, v18 :: v_dual_mul_f32 v15, v15, v19
	s_delay_alu instid0(VALU_DEP_2) | instskip(NEXT) | instid1(VALU_DEP_2)
	v_dual_fmac_f32 v0, v0, v12 :: v_dual_fmac_f32 v9, v9, v13
	v_dual_fmac_f32 v10, v10, v14 :: v_dual_fmac_f32 v11, v11, v15
	s_delay_alu instid0(VALU_DEP_2) | instskip(NEXT) | instid1(VALU_DEP_2)
	v_dual_sub_f32 v12, 0x3fc90fdb, v0 :: v_dual_sub_f32 v13, 0x3fc90fdb, v9
	v_dual_sub_f32 v14, 0x3fc90fdb, v10 :: v_dual_sub_f32 v15, 0x3fc90fdb, v11
	s_delay_alu instid0(VALU_DEP_2) | instskip(NEXT) | instid1(VALU_DEP_3)
	v_cndmask_b32_e32 v0, v0, v12, vcc_lo
	v_cndmask_b32_e64 v9, v9, v13, s0
	s_delay_alu instid0(VALU_DEP_3) | instskip(NEXT) | instid1(VALU_DEP_4)
	v_cndmask_b32_e64 v10, v10, v14, s1
	v_cndmask_b32_e64 v11, v11, v15, s2
	v_cmp_lt_u64_e32 vcc_lo, 0xffff, v[1:2]
	v_bfi_b32 v5, 0x7fffffff, v0, v5
	v_bfi_b32 v6, 0x7fffffff, v9, v6
	;; [unrolled: 1-line block ×4, first 2 shown]
	v_add_co_u32 v1, s0, v1, s5
	s_delay_alu instid0(VALU_DEP_1)
	v_add_co_ci_u32_e64 v2, s0, 0, v2, s0
	s_or_b32 s0, s3, vcc_lo
	global_store_b128 v[3:4], v[5:8], off offset:-8
	v_add_co_u32 v3, vcc_lo, v3, s8
	v_add_co_ci_u32_e32 v4, vcc_lo, 0, v4, vcc_lo
	s_and_b32 s0, exec_lo, s0
	s_delay_alu instid0(SALU_CYCLE_1) | instskip(NEXT) | instid1(SALU_CYCLE_1)
	s_or_b32 s4, s0, s4
	s_and_not1_b32 exec_lo, exec_lo, s4
	s_cbranch_execnz .LBB73_24
.LBB73_25:
	s_nop 0
	s_sendmsg sendmsg(MSG_DEALLOC_VGPRS)
	s_endpgm
	.section	.rodata,"a",@progbits
	.p2align	6, 0x0
	.amdhsa_kernel _ZN2at6native12_GLOBAL__N_125multi_tensor_apply_kernelINS1_18TensorListMetadataILi1EEENS1_14UnaryOpFunctorIfLi1ELi1ELi0EEEJNS0_4AtanIfEEEEEvT_T0_DpT1_
		.amdhsa_group_segment_fixed_size 0
		.amdhsa_private_segment_fixed_size 0
		.amdhsa_kernarg_size 3632
		.amdhsa_user_sgpr_count 15
		.amdhsa_user_sgpr_dispatch_ptr 0
		.amdhsa_user_sgpr_queue_ptr 0
		.amdhsa_user_sgpr_kernarg_segment_ptr 1
		.amdhsa_user_sgpr_dispatch_id 0
		.amdhsa_user_sgpr_private_segment_size 0
		.amdhsa_wavefront_size32 1
		.amdhsa_uses_dynamic_stack 0
		.amdhsa_enable_private_segment 0
		.amdhsa_system_sgpr_workgroup_id_x 1
		.amdhsa_system_sgpr_workgroup_id_y 0
		.amdhsa_system_sgpr_workgroup_id_z 0
		.amdhsa_system_sgpr_workgroup_info 0
		.amdhsa_system_vgpr_workitem_id 0
		.amdhsa_next_free_vgpr 20
		.amdhsa_next_free_sgpr 22
		.amdhsa_reserve_vcc 1
		.amdhsa_float_round_mode_32 0
		.amdhsa_float_round_mode_16_64 0
		.amdhsa_float_denorm_mode_32 3
		.amdhsa_float_denorm_mode_16_64 3
		.amdhsa_dx10_clamp 1
		.amdhsa_ieee_mode 1
		.amdhsa_fp16_overflow 0
		.amdhsa_workgroup_processor_mode 1
		.amdhsa_memory_ordered 1
		.amdhsa_forward_progress 0
		.amdhsa_shared_vgpr_count 0
		.amdhsa_exception_fp_ieee_invalid_op 0
		.amdhsa_exception_fp_denorm_src 0
		.amdhsa_exception_fp_ieee_div_zero 0
		.amdhsa_exception_fp_ieee_overflow 0
		.amdhsa_exception_fp_ieee_underflow 0
		.amdhsa_exception_fp_ieee_inexact 0
		.amdhsa_exception_int_div_zero 0
	.end_amdhsa_kernel
	.section	.text._ZN2at6native12_GLOBAL__N_125multi_tensor_apply_kernelINS1_18TensorListMetadataILi1EEENS1_14UnaryOpFunctorIfLi1ELi1ELi0EEEJNS0_4AtanIfEEEEEvT_T0_DpT1_,"axG",@progbits,_ZN2at6native12_GLOBAL__N_125multi_tensor_apply_kernelINS1_18TensorListMetadataILi1EEENS1_14UnaryOpFunctorIfLi1ELi1ELi0EEEJNS0_4AtanIfEEEEEvT_T0_DpT1_,comdat
.Lfunc_end73:
	.size	_ZN2at6native12_GLOBAL__N_125multi_tensor_apply_kernelINS1_18TensorListMetadataILi1EEENS1_14UnaryOpFunctorIfLi1ELi1ELi0EEEJNS0_4AtanIfEEEEEvT_T0_DpT1_, .Lfunc_end73-_ZN2at6native12_GLOBAL__N_125multi_tensor_apply_kernelINS1_18TensorListMetadataILi1EEENS1_14UnaryOpFunctorIfLi1ELi1ELi0EEEJNS0_4AtanIfEEEEEvT_T0_DpT1_
                                        ; -- End function
	.section	.AMDGPU.csdata,"",@progbits
; Kernel info:
; codeLenInByte = 2148
; NumSgprs: 24
; NumVgprs: 20
; ScratchSize: 0
; MemoryBound: 0
; FloatMode: 240
; IeeeMode: 1
; LDSByteSize: 0 bytes/workgroup (compile time only)
; SGPRBlocks: 2
; VGPRBlocks: 2
; NumSGPRsForWavesPerEU: 24
; NumVGPRsForWavesPerEU: 20
; Occupancy: 16
; WaveLimiterHint : 0
; COMPUTE_PGM_RSRC2:SCRATCH_EN: 0
; COMPUTE_PGM_RSRC2:USER_SGPR: 15
; COMPUTE_PGM_RSRC2:TRAP_HANDLER: 0
; COMPUTE_PGM_RSRC2:TGID_X_EN: 1
; COMPUTE_PGM_RSRC2:TGID_Y_EN: 0
; COMPUTE_PGM_RSRC2:TGID_Z_EN: 0
; COMPUTE_PGM_RSRC2:TIDIG_COMP_CNT: 0
	.section	.text._ZN2at6native12_GLOBAL__N_125multi_tensor_apply_kernelINS1_18TensorListMetadataILi1EEENS1_14UnaryOpFunctorIN3c107complexIdEELi1ELi1ELi0EEEJNS0_4AtanIS8_EEEEEvT_T0_DpT1_,"axG",@progbits,_ZN2at6native12_GLOBAL__N_125multi_tensor_apply_kernelINS1_18TensorListMetadataILi1EEENS1_14UnaryOpFunctorIN3c107complexIdEELi1ELi1ELi0EEEJNS0_4AtanIS8_EEEEEvT_T0_DpT1_,comdat
	.globl	_ZN2at6native12_GLOBAL__N_125multi_tensor_apply_kernelINS1_18TensorListMetadataILi1EEENS1_14UnaryOpFunctorIN3c107complexIdEELi1ELi1ELi0EEEJNS0_4AtanIS8_EEEEEvT_T0_DpT1_ ; -- Begin function _ZN2at6native12_GLOBAL__N_125multi_tensor_apply_kernelINS1_18TensorListMetadataILi1EEENS1_14UnaryOpFunctorIN3c107complexIdEELi1ELi1ELi0EEEJNS0_4AtanIS8_EEEEEvT_T0_DpT1_
	.p2align	8
	.type	_ZN2at6native12_GLOBAL__N_125multi_tensor_apply_kernelINS1_18TensorListMetadataILi1EEENS1_14UnaryOpFunctorIN3c107complexIdEELi1ELi1ELi0EEEJNS0_4AtanIS8_EEEEEvT_T0_DpT1_,@function
_ZN2at6native12_GLOBAL__N_125multi_tensor_apply_kernelINS1_18TensorListMetadataILi1EEENS1_14UnaryOpFunctorIN3c107complexIdEELi1ELi1ELi0EEEJNS0_4AtanIS8_EEEEEvT_T0_DpT1_: ; @_ZN2at6native12_GLOBAL__N_125multi_tensor_apply_kernelINS1_18TensorListMetadataILi1EEENS1_14UnaryOpFunctorIN3c107complexIdEELi1ELi1ELi0EEEJNS0_4AtanIS8_EEEEEvT_T0_DpT1_
; %bb.0:
	v_mov_b32_e32 v1, s15
	s_add_u32 s2, s0, s15
	s_mul_hi_u32 s3, s15, 3
	s_mul_i32 s15, s15, 3
	s_addc_u32 s4, s1, 0
	global_load_u8 v1, v1, s[0:1] offset:1760
	s_add_u32 s2, s2, s15
	s_addc_u32 s3, s4, s3
	s_mov_b32 s7, 0
	s_load_b32 s2, s[2:3], 0x820
	s_waitcnt vmcnt(0)
	v_readfirstlane_b32 s5, v1
	s_delay_alu instid0(VALU_DEP_1)
	s_lshl_b32 s3, s5, 3
	s_clause 0x1
	s_load_b64 s[8:9], s[0:1], s3 offset:0x0
	s_load_b64 s[4:5], s[0:1], s3 offset:0x370
	s_waitcnt lgkmcnt(0)
	s_ashr_i32 s3, s2, 31
	s_delay_alu instid0(SALU_CYCLE_1) | instskip(NEXT) | instid1(SALU_CYCLE_1)
	s_lshl_b64 s[10:11], s[2:3], 20
	s_add_u32 s33, s8, s10
	s_addc_u32 s84, s9, s11
	s_lshl_b64 s[2:3], s[2:3], 16
	s_and_b32 s6, s33, 63
	s_sub_u32 s14, s4, s2
	s_subb_u32 s15, s5, s3
	s_and_b32 s2, s4, 3
	s_mov_b32 s3, s7
	s_delay_alu instid0(SALU_CYCLE_1) | instskip(NEXT) | instid1(SALU_CYCLE_1)
	s_or_b64 s[2:3], s[6:7], s[2:3]
	s_cmp_eq_u64 s[2:3], 0
	s_cbranch_scc1 .LBB74_21
; %bb.1:
	v_cmp_lt_i64_e64 s2, s[14:15], 1
	s_delay_alu instid0(VALU_DEP_1)
	s_and_b32 vcc_lo, exec_lo, s2
	s_cbranch_vccnz .LBB74_20
; %bb.2:
	s_load_b32 s2, s[0:1], 0xd3c
	v_dual_mov_b32 v17, 0 :: v_dual_mov_b32 v32, 0x4002d97c
	v_cmp_gt_u64_e64 s3, 0x10000, s[14:15]
	v_lshlrev_b32_e32 v19, 4, v0
	s_delay_alu instid0(VALU_DEP_3)
	v_dual_mov_b32 v31, 0x7f3321d2 :: v_dual_mov_b32 v20, v17
	s_mov_b32 s16, 0x54442d18
	s_mov_b32 s18, 0xbd3237f4
	s_mov_b32 s20, 0xb5e68a13
	s_mov_b32 s22, 0x69efb384
	s_mov_b32 s24, 0xaf56de9b
	s_mov_b32 s26, 0xa595c56f
	s_mov_b32 s28, 0xa57d9582
	s_mov_b32 s30, 0x5f08b19f
	s_mov_b32 s34, 0xfc27006a
	s_mov_b32 s36, 0x5711927a
	s_mov_b32 s38, 0xe82d3ff0
	s_mov_b32 s40, 0x6ef28734
	s_mov_b32 s42, 0x6a214619
	s_waitcnt lgkmcnt(0)
	s_and_b32 s2, s2, 0xffff
	s_and_b32 s3, s3, exec_lo
	v_mad_u64_u32 v[21:22], null, s2, 48, v[19:20]
	s_cselect_b32 s13, s15, 0
	s_cselect_b32 s12, s14, 0x10000
	s_lshl_b32 s3, s2, 1
	s_mul_i32 s4, s2, 3
	s_lshl_b32 s85, s2, 2
	s_lshl_b32 s86, s2, 6
	v_add_co_u32 v23, s5, v0, s2
	s_lshl_b32 s2, s2, 5
	v_add_co_u32 v20, s4, s4, v0
	v_add_co_u32 v1, s2, s2, v19
	s_delay_alu instid0(VALU_DEP_1)
	v_add_co_ci_u32_e64 v26, null, 0, 0, s2
	v_add_co_u32 v29, s2, s3, v0
	v_add_co_ci_u32_e64 v24, null, 0, 0, s5
	v_add_co_ci_u32_e64 v25, null, 0, 0, s4
	v_lshlrev_b32_e32 v27, 4, v23
	v_or_b32_e32 v28, 8, v1
	v_or_b32_e32 v21, 8, v21
	v_add_co_ci_u32_e64 v30, null, 0, 0, s2
	s_mov_b32 s44, 0x8427b883
	s_mov_b32 s46, 0x8b207f05
	;; [unrolled: 1-line block ×47, first 2 shown]
	s_mov_b64 s[78:79], 0
	s_mov_b32 s81, 0x400921fb
	s_mov_b32 s82, 0x55555780
	s_branch .LBB74_4
.LBB74_3:                               ;   in Loop: Header=BB74_4 Depth=1
	s_or_b32 exec_lo, exec_lo, s5
	s_add_u32 s78, s78, s85
	s_addc_u32 s79, s79, 0
	s_delay_alu instid0(SALU_CYCLE_1) | instskip(SKIP_1) | instid1(VALU_DEP_1)
	v_cmp_lt_i64_e64 s2, s[78:79], s[14:15]
	v_cmp_gt_u64_e64 s3, 0x10000, s[78:79]
	s_and_b32 s2, s2, s3
	s_add_u32 s33, s33, s86
	s_addc_u32 s84, s84, 0
	s_and_b32 vcc_lo, exec_lo, s2
	s_cbranch_vccz .LBB74_20
.LBB74_4:                               ; =>This Inner Loop Header: Depth=1
	s_waitcnt vmcnt(0)
	v_add_co_u32 v1, s2, v0, s78
	s_delay_alu instid0(VALU_DEP_1) | instskip(SKIP_2) | instid1(VALU_DEP_3)
	v_add_co_ci_u32_e64 v2, null, 0, s79, s2
	v_mov_b32_e32 v11, 0
	v_mov_b32_e32 v12, 0
	v_cmp_gt_u64_e32 vcc_lo, s[12:13], v[1:2]
	s_delay_alu instid0(VALU_DEP_2)
	v_dual_mov_b32 v16, v12 :: v_dual_mov_b32 v15, v11
	v_dual_mov_b32 v14, v12 :: v_dual_mov_b32 v13, v11
	s_and_saveexec_b32 s2, vcc_lo
	s_cbranch_execz .LBB74_6
; %bb.5:                                ;   in Loop: Header=BB74_4 Depth=1
	v_add_co_u32 v1, s3, s33, v19
	s_delay_alu instid0(VALU_DEP_1)
	v_add_co_ci_u32_e64 v2, null, s84, 0, s3
	global_load_b128 v[13:16], v[1:2], off
.LBB74_6:                               ;   in Loop: Header=BB74_4 Depth=1
	s_or_b32 exec_lo, exec_lo, s2
	v_add_co_u32 v1, s2, v23, s78
	s_delay_alu instid0(VALU_DEP_1) | instskip(SKIP_1) | instid1(VALU_DEP_2)
	v_add_co_ci_u32_e64 v2, s2, s79, v24, s2
	v_dual_mov_b32 v9, v11 :: v_dual_mov_b32 v10, v12
	v_cmp_gt_u64_e64 s4, s[12:13], v[1:2]
	s_delay_alu instid0(VALU_DEP_1)
	s_and_saveexec_b32 s2, s4
	s_cbranch_execz .LBB74_8
; %bb.7:                                ;   in Loop: Header=BB74_4 Depth=1
	v_add_co_u32 v1, s3, s33, v27
	s_delay_alu instid0(VALU_DEP_1)
	v_add_co_ci_u32_e64 v2, null, s84, 0, s3
	global_load_b128 v[9:12], v[1:2], off
.LBB74_8:                               ;   in Loop: Header=BB74_4 Depth=1
	s_or_b32 exec_lo, exec_lo, s2
	v_add_co_u32 v1, s2, v29, s78
	s_delay_alu instid0(VALU_DEP_1) | instskip(SKIP_2) | instid1(VALU_DEP_3)
	v_add_co_ci_u32_e64 v2, s2, s79, v30, s2
	v_mov_b32_e32 v3, 0
	v_mov_b32_e32 v4, 0
	v_cmp_gt_u64_e64 s3, s[12:13], v[1:2]
	s_delay_alu instid0(VALU_DEP_2) | instskip(SKIP_1) | instid1(VALU_DEP_3)
	v_dual_mov_b32 v8, v4 :: v_dual_mov_b32 v7, v3
	v_dual_mov_b32 v6, v4 :: v_dual_mov_b32 v5, v3
	s_and_saveexec_b32 s5, s3
	s_cbranch_execz .LBB74_10
; %bb.9:                                ;   in Loop: Header=BB74_4 Depth=1
	v_add_co_u32 v1, s2, s33, v28
	s_delay_alu instid0(VALU_DEP_1)
	v_add_co_ci_u32_e64 v2, s2, s84, v26, s2
	global_load_b128 v[5:8], v[1:2], off offset:-8
.LBB74_10:                              ;   in Loop: Header=BB74_4 Depth=1
	s_or_b32 exec_lo, exec_lo, s5
	v_add_co_u32 v1, s2, v20, s78
	s_delay_alu instid0(VALU_DEP_1) | instskip(NEXT) | instid1(VALU_DEP_1)
	v_add_co_ci_u32_e64 v2, s2, s79, v25, s2
	v_cmp_gt_u64_e64 s2, s[12:13], v[1:2]
	v_dual_mov_b32 v1, v3 :: v_dual_mov_b32 v2, v4
	s_delay_alu instid0(VALU_DEP_2)
	s_and_saveexec_b32 s6, s2
	s_cbranch_execnz .LBB74_15
; %bb.11:                               ;   in Loop: Header=BB74_4 Depth=1
	s_or_b32 exec_lo, exec_lo, s6
	s_and_saveexec_b32 s87, vcc_lo
	s_cbranch_execnz .LBB74_16
.LBB74_12:                              ;   in Loop: Header=BB74_4 Depth=1
	s_or_b32 exec_lo, exec_lo, s87
	s_and_saveexec_b32 s7, s4
	s_cbranch_execnz .LBB74_17
.LBB74_13:                              ;   in Loop: Header=BB74_4 Depth=1
	s_or_b32 exec_lo, exec_lo, s7
	s_and_saveexec_b32 s6, s3
	s_cbranch_execnz .LBB74_18
.LBB74_14:                              ;   in Loop: Header=BB74_4 Depth=1
	s_or_b32 exec_lo, exec_lo, s6
	s_and_saveexec_b32 s5, s2
	s_cbranch_execz .LBB74_3
	s_branch .LBB74_19
.LBB74_15:                              ;   in Loop: Header=BB74_4 Depth=1
	v_add_co_u32 v1, s5, s33, v21
	s_delay_alu instid0(VALU_DEP_1)
	v_add_co_ci_u32_e64 v2, s5, s84, v22, s5
	global_load_b128 v[1:4], v[1:2], off offset:-8
	s_or_b32 exec_lo, exec_lo, s6
	s_and_saveexec_b32 s87, vcc_lo
	s_cbranch_execz .LBB74_12
.LBB74_16:                              ;   in Loop: Header=BB74_4 Depth=1
	s_waitcnt vmcnt(0)
	v_fma_f64 v[33:34], v[15:16], 0, v[13:14]
	v_fma_f64 v[13:14], v[13:14], 0, -v[15:16]
	s_mov_b32 s83, s61
	s_mov_b32 s80, s16
	s_delay_alu instid0(VALU_DEP_2) | instskip(NEXT) | instid1(VALU_DEP_2)
	v_mul_f64 v[15:16], v[33:34], v[33:34]
	v_add_f64 v[35:36], v[13:14], 1.0
	v_add_f64 v[37:38], -v[13:14], 1.0
	v_fma_f64 v[13:14], -v[13:14], v[13:14], 1.0
	s_delay_alu instid0(VALU_DEP_3) | instskip(NEXT) | instid1(VALU_DEP_3)
	v_fma_f64 v[35:36], v[35:36], v[35:36], v[15:16]
	v_fma_f64 v[15:16], v[37:38], v[37:38], v[15:16]
	s_delay_alu instid0(VALU_DEP_3) | instskip(NEXT) | instid1(VALU_DEP_3)
	v_fma_f64 v[13:14], -v[33:34], v[33:34], v[13:14]
	v_frexp_mant_f64_e32 v[37:38], v[35:36]
	s_delay_alu instid0(VALU_DEP_3) | instskip(SKIP_2) | instid1(VALU_DEP_4)
	v_frexp_mant_f64_e32 v[39:40], v[15:16]
	v_frexp_exp_i32_f64_e32 v18, v[35:36]
	v_frexp_exp_i32_f64_e32 v41, v[15:16]
	v_cmp_gt_f64_e32 vcc_lo, s[60:61], v[37:38]
	s_delay_alu instid0(VALU_DEP_4) | instskip(NEXT) | instid1(VALU_DEP_4)
	v_cmp_gt_f64_e64 s5, s[60:61], v[39:40]
	v_subrev_co_ci_u32_e64 v77, s6, 0, v18, vcc_lo
	v_cndmask_b32_e64 v18, 0x3ff00000, 2.0, vcc_lo
	s_delay_alu instid0(VALU_DEP_3) | instskip(SKIP_1) | instid1(VALU_DEP_3)
	v_subrev_co_ci_u32_e64 v78, vcc_lo, 0, v41, s5
	v_cmp_gt_i32_e64 s6, 0, v14
	v_mul_f64 v[37:38], v[37:38], v[17:18]
	v_cndmask_b32_e64 v18, 0x3ff00000, 2.0, s5
	v_cmp_class_f64_e64 s5, v[15:16], 0x204
	s_delay_alu instid0(VALU_DEP_2) | instskip(SKIP_3) | instid1(VALU_DEP_4)
	v_mul_f64 v[39:40], v[39:40], v[17:18]
	v_ashrrev_i32_e32 v18, 31, v14
	v_add_f64 v[41:42], v[37:38], 1.0
	v_add_f64 v[53:54], v[37:38], -1.0
	v_add_f64 v[43:44], v[39:40], 1.0
	s_delay_alu instid0(VALU_DEP_3) | instskip(SKIP_1) | instid1(VALU_DEP_2)
	v_rcp_f64_e32 v[45:46], v[41:42]
	v_add_f64 v[61:62], v[41:42], -1.0
	v_rcp_f64_e32 v[47:48], v[43:44]
	v_add_f64 v[65:66], v[43:44], -1.0
	s_delay_alu instid0(VALU_DEP_2) | instskip(SKIP_3) | instid1(VALU_DEP_2)
	v_add_f64 v[37:38], v[37:38], -v[61:62]
	s_waitcnt_depctr 0xfff
	v_fma_f64 v[49:50], -v[41:42], v[45:46], 1.0
	v_fma_f64 v[51:52], -v[43:44], v[47:48], 1.0
	v_fma_f64 v[45:46], v[49:50], v[45:46], v[45:46]
	s_delay_alu instid0(VALU_DEP_2) | instskip(NEXT) | instid1(VALU_DEP_2)
	v_fma_f64 v[47:48], v[51:52], v[47:48], v[47:48]
	v_fma_f64 v[49:50], -v[41:42], v[45:46], 1.0
	s_delay_alu instid0(VALU_DEP_2) | instskip(NEXT) | instid1(VALU_DEP_2)
	v_fma_f64 v[51:52], -v[43:44], v[47:48], 1.0
	v_fma_f64 v[45:46], v[49:50], v[45:46], v[45:46]
	v_add_f64 v[49:50], v[39:40], -1.0
	v_add_f64 v[39:40], v[39:40], -v[65:66]
	s_delay_alu instid0(VALU_DEP_4) | instskip(SKIP_2) | instid1(VALU_DEP_3)
	v_fma_f64 v[47:48], v[51:52], v[47:48], v[47:48]
	v_add_f64 v[51:52], v[33:34], v[33:34]
	v_mul_f64 v[33:34], v[53:54], v[45:46]
	v_mul_f64 v[55:56], v[49:50], v[47:48]
	s_delay_alu instid0(VALU_DEP_3) | instskip(SKIP_4) | instid1(VALU_DEP_4)
	v_min_f64 v[57:58], |v[13:14]|, |v[51:52]|
	v_max_f64 v[59:60], |v[13:14]|, |v[51:52]|
	v_cmp_eq_f64_e64 s7, 0, v[51:52]
	v_mul_f64 v[63:64], v[41:42], v[33:34]
	v_mul_f64 v[67:68], v[43:44], v[55:56]
	v_div_scale_f64 v[69:70], null, v[59:60], v[59:60], v[57:58]
	v_div_scale_f64 v[75:76], vcc_lo, v[57:58], v[59:60], v[57:58]
	s_delay_alu instid0(VALU_DEP_4) | instskip(NEXT) | instid1(VALU_DEP_4)
	v_fma_f64 v[41:42], v[33:34], v[41:42], -v[63:64]
	v_fma_f64 v[43:44], v[55:56], v[43:44], -v[67:68]
	s_delay_alu instid0(VALU_DEP_4) | instskip(NEXT) | instid1(VALU_DEP_2)
	v_rcp_f64_e32 v[61:62], v[69:70]
	v_fma_f64 v[37:38], v[33:34], v[37:38], v[41:42]
	s_delay_alu instid0(VALU_DEP_2) | instskip(SKIP_4) | instid1(VALU_DEP_3)
	v_fma_f64 v[39:40], v[55:56], v[39:40], v[43:44]
	s_waitcnt_depctr 0xfff
	v_fma_f64 v[41:42], -v[69:70], v[61:62], 1.0
	v_add_f64 v[43:44], v[63:64], v[37:38]
	v_add_f64 v[65:66], v[67:68], v[39:40]
	v_fma_f64 v[41:42], v[61:62], v[41:42], v[61:62]
	s_delay_alu instid0(VALU_DEP_3) | instskip(SKIP_1) | instid1(VALU_DEP_4)
	v_add_f64 v[61:62], v[53:54], -v[43:44]
	v_add_f64 v[63:64], v[43:44], -v[63:64]
	;; [unrolled: 1-line block ×4, first 2 shown]
	v_fma_f64 v[73:74], -v[69:70], v[41:42], 1.0
	v_add_f64 v[53:54], v[53:54], -v[61:62]
	v_add_f64 v[37:38], v[63:64], -v[37:38]
	;; [unrolled: 1-line block ×4, first 2 shown]
	v_fma_f64 v[41:42], v[41:42], v[73:74], v[41:42]
	v_add_f64 v[43:44], v[53:54], -v[43:44]
	s_delay_alu instid0(VALU_DEP_4) | instskip(SKIP_1) | instid1(VALU_DEP_4)
	v_add_f64 v[49:50], v[49:50], -v[65:66]
	v_cvt_f64_i32_e32 v[65:66], v78
	v_mul_f64 v[53:54], v[75:76], v[41:42]
	s_delay_alu instid0(VALU_DEP_4) | instskip(NEXT) | instid1(VALU_DEP_4)
	v_add_f64 v[37:38], v[37:38], v[43:44]
	v_add_f64 v[39:40], v[39:40], v[49:50]
	s_delay_alu instid0(VALU_DEP_3) | instskip(NEXT) | instid1(VALU_DEP_3)
	v_fma_f64 v[43:44], -v[69:70], v[53:54], v[75:76]
	v_add_f64 v[37:38], v[61:62], v[37:38]
	s_delay_alu instid0(VALU_DEP_3) | instskip(NEXT) | instid1(VALU_DEP_3)
	v_add_f64 v[39:40], v[71:72], v[39:40]
	v_div_fmas_f64 v[41:42], v[43:44], v[41:42], v[53:54]
	v_cmp_lt_f64_e64 vcc_lo, |v[13:14]|, |v[51:52]|
	s_delay_alu instid0(VALU_DEP_4) | instskip(NEXT) | instid1(VALU_DEP_4)
	v_mul_f64 v[37:38], v[45:46], v[37:38]
	v_mul_f64 v[39:40], v[47:48], v[39:40]
	s_delay_alu instid0(VALU_DEP_4) | instskip(NEXT) | instid1(VALU_DEP_3)
	v_div_fixup_f64 v[41:42], v[41:42], v[59:60], v[57:58]
	v_add_f64 v[43:44], v[33:34], v[37:38]
	s_delay_alu instid0(VALU_DEP_3) | instskip(NEXT) | instid1(VALU_DEP_3)
	v_add_f64 v[45:46], v[55:56], v[39:40]
	v_mul_f64 v[47:48], v[41:42], v[41:42]
	s_delay_alu instid0(VALU_DEP_3) | instskip(SKIP_1) | instid1(VALU_DEP_4)
	v_mul_f64 v[49:50], v[43:44], v[43:44]
	v_add_f64 v[33:34], v[43:44], -v[33:34]
	v_mul_f64 v[53:54], v[45:46], v[45:46]
	s_delay_alu instid0(VALU_DEP_4) | instskip(NEXT) | instid1(VALU_DEP_4)
	v_fma_f64 v[57:58], v[47:48], s[20:21], s[18:19]
	v_fma_f64 v[59:60], v[49:50], s[68:69], s[66:67]
	v_mul_f64 v[63:64], v[43:44], v[49:50]
	v_add_f64 v[33:34], v[37:38], -v[33:34]
	v_fma_f64 v[61:62], v[53:54], s[68:69], s[66:67]
	v_fma_f64 v[57:58], v[47:48], v[57:58], s[22:23]
	;; [unrolled: 1-line block ×3, first 2 shown]
	s_delay_alu instid0(VALU_DEP_4) | instskip(NEXT) | instid1(VALU_DEP_4)
	v_ldexp_f64 v[33:34], v[33:34], 1
	v_fma_f64 v[61:62], v[53:54], v[61:62], s[70:71]
	s_delay_alu instid0(VALU_DEP_4) | instskip(NEXT) | instid1(VALU_DEP_4)
	v_fma_f64 v[57:58], v[47:48], v[57:58], s[24:25]
	v_fma_f64 v[59:60], v[49:50], v[59:60], s[72:73]
	s_delay_alu instid0(VALU_DEP_3) | instskip(NEXT) | instid1(VALU_DEP_3)
	v_fma_f64 v[61:62], v[53:54], v[61:62], s[72:73]
	v_fma_f64 v[57:58], v[47:48], v[57:58], s[26:27]
	s_delay_alu instid0(VALU_DEP_3) | instskip(NEXT) | instid1(VALU_DEP_3)
	;; [unrolled: 3-line block ×4, first 2 shown]
	v_fma_f64 v[61:62], v[53:54], v[61:62], s[76:77]
	v_fma_f64 v[57:58], v[47:48], v[57:58], s[30:31]
	s_delay_alu instid0(VALU_DEP_3) | instskip(SKIP_1) | instid1(VALU_DEP_4)
	v_fma_f64 v[49:50], v[49:50], v[59:60], s[82:83]
	v_mul_f64 v[59:60], v[45:46], v[53:54]
	v_fma_f64 v[53:54], v[53:54], v[61:62], s[82:83]
	v_ldexp_f64 v[61:62], v[43:44], 1
	v_cmp_class_f64_e64 s83, v[13:14], 0x204
	v_fma_f64 v[57:58], v[47:48], v[57:58], s[34:35]
	v_mul_f64 v[49:50], v[63:64], v[49:50]
	v_ldexp_f64 v[63:64], v[45:46], 1
	v_add_f64 v[45:46], v[45:46], -v[55:56]
	v_mul_f64 v[53:54], v[59:60], v[53:54]
	v_cvt_f64_i32_e32 v[59:60], v77
	v_fma_f64 v[57:58], v[47:48], v[57:58], s[36:37]
	v_add_f64 v[43:44], v[61:62], v[49:50]
	v_add_f64 v[39:40], v[39:40], -v[45:46]
	v_add_f64 v[55:56], v[63:64], v[53:54]
	v_mul_f64 v[67:68], v[59:60], s[62:63]
	v_fma_f64 v[57:58], v[47:48], v[57:58], s[38:39]
	v_add_f64 v[37:38], v[43:44], -v[61:62]
	v_mul_f64 v[61:62], v[65:66], s[62:63]
	v_ldexp_f64 v[39:40], v[39:40], 1
	v_add_f64 v[45:46], v[55:56], -v[63:64]
	v_fma_f64 v[63:64], v[59:60], s[62:63], -v[67:68]
	v_fma_f64 v[57:58], v[47:48], v[57:58], s[40:41]
	v_add_f64 v[37:38], v[49:50], -v[37:38]
	v_fma_f64 v[49:50], v[65:66], s[62:63], -v[61:62]
	v_add_f64 v[45:46], v[53:54], -v[45:46]
	s_delay_alu instid0(VALU_DEP_4)
	v_fma_f64 v[53:54], v[47:48], v[57:58], s[42:43]
	v_fma_f64 v[57:58], v[59:60], s[64:65], v[63:64]
	v_add_f64 v[33:34], v[33:34], v[37:38]
	v_fma_f64 v[37:38], v[65:66], s[64:65], v[49:50]
	v_add_f64 v[39:40], v[39:40], v[45:46]
	;; [unrolled: 2-line block ×3, first 2 shown]
	v_add_f64 v[53:54], v[43:44], v[33:34]
	v_add_f64 v[59:60], v[61:62], v[37:38]
	;; [unrolled: 1-line block ×3, first 2 shown]
	v_fma_f64 v[45:46], v[47:48], v[45:46], s[46:47]
	v_add_f64 v[67:68], v[49:50], -v[67:68]
	v_add_f64 v[65:66], v[49:50], v[53:54]
	v_add_f64 v[61:62], v[59:60], -v[61:62]
	v_add_f64 v[43:44], v[53:54], -v[43:44]
	v_add_f64 v[69:70], v[59:60], v[63:64]
	v_add_f64 v[55:56], v[63:64], -v[55:56]
	v_fma_f64 v[45:46], v[47:48], v[45:46], s[48:49]
	v_add_f64 v[57:58], v[57:58], -v[67:68]
	v_add_f64 v[71:72], v[65:66], -v[49:50]
	;; [unrolled: 1-line block ×6, first 2 shown]
	v_fma_f64 v[45:46], v[47:48], v[45:46], s[50:51]
	v_add_f64 v[75:76], v[65:66], -v[71:72]
	v_add_f64 v[43:44], v[53:54], -v[71:72]
	;; [unrolled: 1-line block ×4, first 2 shown]
	v_fma_f64 v[45:46], v[47:48], v[45:46], s[52:53]
	v_add_f64 v[49:50], v[49:50], -v[75:76]
	s_delay_alu instid0(VALU_DEP_4) | instskip(SKIP_1) | instid1(VALU_DEP_4)
	v_add_f64 v[55:56], v[59:60], -v[77:78]
	v_add_f64 v[59:60], v[57:58], v[33:34]
	v_fma_f64 v[45:46], v[47:48], v[45:46], s[54:55]
	s_delay_alu instid0(VALU_DEP_4)
	v_add_f64 v[43:44], v[43:44], v[49:50]
	v_add_f64 v[49:50], v[37:38], v[39:40]
	;; [unrolled: 1-line block ×3, first 2 shown]
	v_add_f64 v[55:56], v[59:60], -v[57:58]
	v_fma_f64 v[45:46], v[47:48], v[45:46], s[56:57]
	v_add_f64 v[43:44], v[59:60], v[43:44]
	v_add_f64 v[61:62], v[49:50], -v[37:38]
	v_add_f64 v[53:54], v[49:50], v[53:54]
	v_add_f64 v[59:60], v[59:60], -v[55:56]
	v_add_f64 v[33:34], v[33:34], -v[55:56]
	v_fma_f64 v[45:46], v[47:48], v[45:46], s[58:59]
	v_add_f64 v[63:64], v[65:66], v[43:44]
	v_add_f64 v[49:50], v[49:50], -v[61:62]
	v_add_f64 v[39:40], v[39:40], -v[61:62]
	v_add_f64 v[67:68], v[69:70], v[53:54]
	v_mul_f64 v[45:46], v[47:48], v[45:46]
	v_add_f64 v[47:48], v[57:58], -v[59:60]
	v_add_f64 v[55:56], v[63:64], -v[65:66]
	;; [unrolled: 1-line block ×4, first 2 shown]
	v_fma_f64 v[41:42], v[41:42], v[45:46], v[41:42]
	v_add_f64 v[33:34], v[33:34], v[47:48]
	v_add_f64 v[43:44], v[43:44], -v[55:56]
	v_add_f64 v[37:38], v[39:40], v[37:38]
	v_add_f64 v[39:40], v[53:54], -v[49:50]
	v_add_f64 v[45:46], -v[41:42], s[16:17]
	s_delay_alu instid0(VALU_DEP_4) | instskip(SKIP_1) | instid1(VALU_DEP_4)
	v_add_f64 v[33:34], v[33:34], v[43:44]
	v_cndmask_b32_e64 v43, 0x54442d18, v31, s6
	v_add_f64 v[37:38], v[37:38], v[39:40]
	s_delay_alu instid0(VALU_DEP_4) | instskip(SKIP_1) | instid1(VALU_DEP_2)
	v_dual_cndmask_b32 v40, v42, v46 :: v_dual_cndmask_b32 v39, v41, v45
	v_cmp_class_f64_e64 vcc_lo, v[35:36], 0x204
	v_add_f64 v[41:42], -v[39:40], s[80:81]
	v_cmp_class_f64_e64 s80, v[51:52], 0x204
	v_add_f64 v[33:34], v[63:64], v[33:34]
	v_and_b32_e32 v44, 0x54442d18, v18
	v_add_f64 v[37:38], v[67:68], v[37:38]
	v_cndmask_b32_e64 v39, v39, v41, s6
	s_delay_alu instid0(VALU_DEP_4) | instskip(SKIP_1) | instid1(VALU_DEP_4)
	v_dual_cndmask_b32 v33, v33, v35 :: v_dual_cndmask_b32 v34, v34, v36
	v_cmp_neq_f64_e32 vcc_lo, 0, v[35:36]
	v_cndmask_b32_e64 v35, v37, v15, s5
	v_cndmask_b32_e64 v36, v38, v16, s5
	v_cmp_neq_f64_e64 s5, 0, v[15:16]
	v_cndmask_b32_e64 v15, 0x3fe921fb, v32, s6
	v_and_b32_e32 v16, 0x400921fb, v18
	v_cndmask_b32_e64 v18, v40, v42, s6
	v_cndmask_b32_e64 v37, v39, v44, s7
	s_and_b32 s6, s80, s83
	v_bfi_b32 v15, 0x7fffffff, v15, v52
	s_delay_alu instid0(VALU_DEP_3) | instskip(NEXT) | instid1(VALU_DEP_3)
	v_cndmask_b32_e64 v16, v18, v16, s7
	v_cndmask_b32_e64 v37, v37, v43, s6
	s_delay_alu instid0(VALU_DEP_2)
	v_cndmask_b32_e64 v18, v16, v15, s6
	v_cmp_o_f64_e64 s6, v[13:14], v[51:52]
	v_cndmask_b32_e32 v13, 0, v33, vcc_lo
	v_cndmask_b32_e32 v14, 0xfff00000, v34, vcc_lo
	v_cndmask_b32_e64 v16, 0xfff00000, v36, s5
	v_cndmask_b32_e64 v15, 0, v35, s5
	s_delay_alu instid0(VALU_DEP_1) | instskip(SKIP_2) | instid1(VALU_DEP_2)
	v_add_f64 v[13:14], v[13:14], -v[15:16]
	v_cndmask_b32_e64 v16, 0x7ff80000, v18, s6
	v_cndmask_b32_e64 v15, 0, v37, s6
	v_bfi_b32 v16, 0x7fffffff, v16, v52
	s_delay_alu instid0(VALU_DEP_1) | instskip(SKIP_1) | instid1(VALU_DEP_1)
	v_mul_f64 v[33:34], v[15:16], 0.5
	v_ldexp_f64 v[13:14], v[13:14], -2
	v_fma_f64 v[15:16], 0x80000000, v[33:34], -v[13:14]
	v_fma_f64 v[13:14], 0x80000000, v[13:14], v[33:34]
	v_add_co_u32 v33, s5, s33, v19
	s_delay_alu instid0(VALU_DEP_1)
	v_add_co_ci_u32_e64 v34, null, s84, 0, s5
	global_store_b128 v[33:34], v[13:16], off
	s_or_b32 exec_lo, exec_lo, s87
	s_and_saveexec_b32 s7, s4
	s_cbranch_execz .LBB74_13
.LBB74_17:                              ;   in Loop: Header=BB74_4 Depth=1
	s_waitcnt vmcnt(0)
	v_fma_f64 v[13:14], v[11:12], 0, v[9:10]
	v_fma_f64 v[9:10], v[9:10], 0, -v[11:12]
	s_mov_b32 s83, s61
	s_mov_b32 s80, s16
	s_delay_alu instid0(VALU_DEP_2) | instskip(NEXT) | instid1(VALU_DEP_2)
	v_mul_f64 v[11:12], v[13:14], v[13:14]
	v_add_f64 v[15:16], v[9:10], 1.0
	v_add_f64 v[33:34], -v[9:10], 1.0
	v_fma_f64 v[9:10], -v[9:10], v[9:10], 1.0
	s_delay_alu instid0(VALU_DEP_3) | instskip(NEXT) | instid1(VALU_DEP_3)
	v_fma_f64 v[15:16], v[15:16], v[15:16], v[11:12]
	v_fma_f64 v[11:12], v[33:34], v[33:34], v[11:12]
	s_delay_alu instid0(VALU_DEP_3) | instskip(NEXT) | instid1(VALU_DEP_3)
	v_fma_f64 v[9:10], -v[13:14], v[13:14], v[9:10]
	v_frexp_mant_f64_e32 v[33:34], v[15:16]
	s_delay_alu instid0(VALU_DEP_3) | instskip(NEXT) | instid1(VALU_DEP_2)
	v_frexp_mant_f64_e32 v[35:36], v[11:12]
	v_cmp_gt_f64_e64 s4, s[60:61], v[33:34]
	s_delay_alu instid0(VALU_DEP_2) | instskip(NEXT) | instid1(VALU_DEP_2)
	v_cmp_gt_f64_e64 s5, s[60:61], v[35:36]
	v_cndmask_b32_e64 v18, 0x3ff00000, 2.0, s4
	s_delay_alu instid0(VALU_DEP_1) | instskip(NEXT) | instid1(VALU_DEP_3)
	v_mul_f64 v[33:34], v[33:34], v[17:18]
	v_cndmask_b32_e64 v18, 0x3ff00000, 2.0, s5
	s_delay_alu instid0(VALU_DEP_1) | instskip(SKIP_1) | instid1(VALU_DEP_4)
	v_mul_f64 v[35:36], v[35:36], v[17:18]
	v_frexp_exp_i32_f64_e32 v18, v[15:16]
	v_add_f64 v[37:38], v[33:34], 1.0
	v_add_f64 v[49:50], v[33:34], -1.0
	s_delay_alu instid0(VALU_DEP_4) | instskip(NEXT) | instid1(VALU_DEP_3)
	v_add_f64 v[39:40], v[35:36], 1.0
	v_rcp_f64_e32 v[41:42], v[37:38]
	v_add_f64 v[57:58], v[37:38], -1.0
	s_delay_alu instid0(VALU_DEP_2) | instskip(SKIP_1) | instid1(VALU_DEP_2)
	v_rcp_f64_e32 v[43:44], v[39:40]
	v_add_f64 v[61:62], v[39:40], -1.0
	v_add_f64 v[33:34], v[33:34], -v[57:58]
	s_waitcnt_depctr 0xfff
	v_fma_f64 v[45:46], -v[37:38], v[41:42], 1.0
	v_fma_f64 v[47:48], -v[39:40], v[43:44], 1.0
	s_delay_alu instid0(VALU_DEP_2) | instskip(NEXT) | instid1(VALU_DEP_2)
	v_fma_f64 v[41:42], v[45:46], v[41:42], v[41:42]
	v_fma_f64 v[43:44], v[47:48], v[43:44], v[43:44]
	s_delay_alu instid0(VALU_DEP_2) | instskip(NEXT) | instid1(VALU_DEP_2)
	v_fma_f64 v[45:46], -v[37:38], v[41:42], 1.0
	v_fma_f64 v[47:48], -v[39:40], v[43:44], 1.0
	s_delay_alu instid0(VALU_DEP_2) | instskip(SKIP_2) | instid1(VALU_DEP_4)
	v_fma_f64 v[41:42], v[45:46], v[41:42], v[41:42]
	v_add_f64 v[45:46], v[35:36], -1.0
	v_add_f64 v[35:36], v[35:36], -v[61:62]
	v_fma_f64 v[43:44], v[47:48], v[43:44], v[43:44]
	v_add_f64 v[47:48], v[13:14], v[13:14]
	v_mul_f64 v[13:14], v[49:50], v[41:42]
	s_delay_alu instid0(VALU_DEP_3) | instskip(NEXT) | instid1(VALU_DEP_3)
	v_mul_f64 v[51:52], v[45:46], v[43:44]
	v_max_f64 v[53:54], |v[9:10]|, |v[47:48]|
	v_min_f64 v[55:56], |v[9:10]|, |v[47:48]|
	v_cmp_eq_f64_e64 s6, 0, v[47:48]
	v_mul_f64 v[59:60], v[37:38], v[13:14]
	v_mul_f64 v[63:64], v[39:40], v[51:52]
	s_delay_alu instid0(VALU_DEP_4) | instskip(SKIP_1) | instid1(VALU_DEP_4)
	v_div_scale_f64 v[65:66], null, v[53:54], v[53:54], v[55:56]
	v_div_scale_f64 v[71:72], vcc_lo, v[55:56], v[53:54], v[55:56]
	v_fma_f64 v[37:38], v[13:14], v[37:38], -v[59:60]
	s_delay_alu instid0(VALU_DEP_4) | instskip(NEXT) | instid1(VALU_DEP_4)
	v_fma_f64 v[39:40], v[51:52], v[39:40], -v[63:64]
	v_rcp_f64_e32 v[57:58], v[65:66]
	s_delay_alu instid0(VALU_DEP_2) | instskip(NEXT) | instid1(VALU_DEP_2)
	v_fma_f64 v[33:34], v[13:14], v[33:34], v[37:38]
	v_fma_f64 v[35:36], v[51:52], v[35:36], v[39:40]
	s_waitcnt_depctr 0xfff
	v_fma_f64 v[37:38], -v[65:66], v[57:58], 1.0
	v_add_f64 v[39:40], v[59:60], v[33:34]
	v_add_f64 v[61:62], v[63:64], v[35:36]
	s_delay_alu instid0(VALU_DEP_3) | instskip(NEXT) | instid1(VALU_DEP_3)
	v_fma_f64 v[37:38], v[57:58], v[37:38], v[57:58]
	v_add_f64 v[57:58], v[49:50], -v[39:40]
	v_add_f64 v[59:60], v[39:40], -v[59:60]
	s_delay_alu instid0(VALU_DEP_4)
	v_add_f64 v[67:68], v[45:46], -v[61:62]
	v_add_f64 v[63:64], v[61:62], -v[63:64]
	v_fma_f64 v[69:70], -v[65:66], v[37:38], 1.0
	v_add_f64 v[49:50], v[49:50], -v[57:58]
	v_add_f64 v[33:34], v[59:60], -v[33:34]
	;; [unrolled: 1-line block ×4, first 2 shown]
	v_fma_f64 v[37:38], v[37:38], v[69:70], v[37:38]
	v_add_f64 v[39:40], v[49:50], -v[39:40]
	s_delay_alu instid0(VALU_DEP_4) | instskip(SKIP_1) | instid1(VALU_DEP_4)
	v_add_f64 v[45:46], v[45:46], -v[61:62]
	v_frexp_exp_i32_f64_e32 v61, v[11:12]
	v_mul_f64 v[49:50], v[71:72], v[37:38]
	s_delay_alu instid0(VALU_DEP_4) | instskip(NEXT) | instid1(VALU_DEP_4)
	v_add_f64 v[33:34], v[33:34], v[39:40]
	v_add_f64 v[35:36], v[35:36], v[45:46]
	s_delay_alu instid0(VALU_DEP_3) | instskip(NEXT) | instid1(VALU_DEP_3)
	v_fma_f64 v[39:40], -v[65:66], v[49:50], v[71:72]
	v_add_f64 v[33:34], v[57:58], v[33:34]
	s_delay_alu instid0(VALU_DEP_3) | instskip(NEXT) | instid1(VALU_DEP_3)
	v_add_f64 v[35:36], v[67:68], v[35:36]
	v_div_fmas_f64 v[37:38], v[39:40], v[37:38], v[49:50]
	v_subrev_co_ci_u32_e64 v18, vcc_lo, 0, v18, s4
	v_subrev_co_ci_u32_e64 v61, vcc_lo, 0, v61, s5
	v_cmp_lt_f64_e64 vcc_lo, |v[9:10]|, |v[47:48]|
	v_cmp_class_f64_e64 s4, v[11:12], 0x204
	v_cmp_gt_i32_e64 s5, 0, v10
	s_delay_alu instid0(VALU_DEP_4) | instskip(SKIP_3) | instid1(VALU_DEP_3)
	v_cvt_f64_i32_e32 v[61:62], v61
	v_mul_f64 v[33:34], v[41:42], v[33:34]
	v_mul_f64 v[35:36], v[43:44], v[35:36]
	v_div_fixup_f64 v[37:38], v[37:38], v[53:54], v[55:56]
	v_add_f64 v[39:40], v[13:14], v[33:34]
	s_delay_alu instid0(VALU_DEP_3) | instskip(NEXT) | instid1(VALU_DEP_3)
	v_add_f64 v[41:42], v[51:52], v[35:36]
	v_mul_f64 v[43:44], v[37:38], v[37:38]
	s_delay_alu instid0(VALU_DEP_3) | instskip(SKIP_1) | instid1(VALU_DEP_4)
	v_mul_f64 v[45:46], v[39:40], v[39:40]
	v_add_f64 v[13:14], v[39:40], -v[13:14]
	v_mul_f64 v[49:50], v[41:42], v[41:42]
	s_delay_alu instid0(VALU_DEP_4) | instskip(NEXT) | instid1(VALU_DEP_4)
	v_fma_f64 v[53:54], v[43:44], s[20:21], s[18:19]
	v_fma_f64 v[55:56], v[45:46], s[68:69], s[66:67]
	v_mul_f64 v[59:60], v[39:40], v[45:46]
	v_add_f64 v[13:14], v[33:34], -v[13:14]
	v_fma_f64 v[57:58], v[49:50], s[68:69], s[66:67]
	v_fma_f64 v[53:54], v[43:44], v[53:54], s[22:23]
	;; [unrolled: 1-line block ×3, first 2 shown]
	s_delay_alu instid0(VALU_DEP_4) | instskip(NEXT) | instid1(VALU_DEP_4)
	v_ldexp_f64 v[13:14], v[13:14], 1
	v_fma_f64 v[57:58], v[49:50], v[57:58], s[70:71]
	s_delay_alu instid0(VALU_DEP_4) | instskip(NEXT) | instid1(VALU_DEP_4)
	v_fma_f64 v[53:54], v[43:44], v[53:54], s[24:25]
	v_fma_f64 v[55:56], v[45:46], v[55:56], s[72:73]
	s_delay_alu instid0(VALU_DEP_3) | instskip(NEXT) | instid1(VALU_DEP_3)
	v_fma_f64 v[57:58], v[49:50], v[57:58], s[72:73]
	v_fma_f64 v[53:54], v[43:44], v[53:54], s[26:27]
	s_delay_alu instid0(VALU_DEP_3) | instskip(NEXT) | instid1(VALU_DEP_3)
	;; [unrolled: 3-line block ×4, first 2 shown]
	v_fma_f64 v[57:58], v[49:50], v[57:58], s[76:77]
	v_fma_f64 v[53:54], v[43:44], v[53:54], s[30:31]
	s_delay_alu instid0(VALU_DEP_3) | instskip(SKIP_1) | instid1(VALU_DEP_4)
	v_fma_f64 v[45:46], v[45:46], v[55:56], s[82:83]
	v_mul_f64 v[55:56], v[41:42], v[49:50]
	v_fma_f64 v[49:50], v[49:50], v[57:58], s[82:83]
	v_ldexp_f64 v[57:58], v[39:40], 1
	v_cmp_class_f64_e64 s83, v[9:10], 0x204
	v_fma_f64 v[53:54], v[43:44], v[53:54], s[34:35]
	v_mul_f64 v[45:46], v[59:60], v[45:46]
	v_ldexp_f64 v[59:60], v[41:42], 1
	v_add_f64 v[41:42], v[41:42], -v[51:52]
	v_mul_f64 v[49:50], v[55:56], v[49:50]
	v_cvt_f64_i32_e32 v[55:56], v18
	v_ashrrev_i32_e32 v18, 31, v10
	v_fma_f64 v[53:54], v[43:44], v[53:54], s[36:37]
	v_add_f64 v[39:40], v[57:58], v[45:46]
	v_add_f64 v[35:36], v[35:36], -v[41:42]
	v_add_f64 v[51:52], v[59:60], v[49:50]
	v_mul_f64 v[63:64], v[55:56], s[62:63]
	v_fma_f64 v[53:54], v[43:44], v[53:54], s[38:39]
	v_add_f64 v[33:34], v[39:40], -v[57:58]
	v_mul_f64 v[57:58], v[61:62], s[62:63]
	v_ldexp_f64 v[35:36], v[35:36], 1
	v_add_f64 v[41:42], v[51:52], -v[59:60]
	v_fma_f64 v[59:60], v[55:56], s[62:63], -v[63:64]
	v_fma_f64 v[53:54], v[43:44], v[53:54], s[40:41]
	v_add_f64 v[33:34], v[45:46], -v[33:34]
	v_fma_f64 v[45:46], v[61:62], s[62:63], -v[57:58]
	v_add_f64 v[41:42], v[49:50], -v[41:42]
	s_delay_alu instid0(VALU_DEP_4)
	v_fma_f64 v[49:50], v[43:44], v[53:54], s[42:43]
	v_fma_f64 v[53:54], v[55:56], s[64:65], v[59:60]
	v_add_f64 v[13:14], v[13:14], v[33:34]
	v_fma_f64 v[33:34], v[61:62], s[64:65], v[45:46]
	v_add_f64 v[35:36], v[35:36], v[41:42]
	;; [unrolled: 2-line block ×3, first 2 shown]
	v_add_f64 v[49:50], v[39:40], v[13:14]
	v_add_f64 v[55:56], v[57:58], v[33:34]
	;; [unrolled: 1-line block ×3, first 2 shown]
	v_fma_f64 v[41:42], v[43:44], v[41:42], s[46:47]
	v_add_f64 v[63:64], v[45:46], -v[63:64]
	v_add_f64 v[61:62], v[45:46], v[49:50]
	v_add_f64 v[57:58], v[55:56], -v[57:58]
	v_add_f64 v[39:40], v[49:50], -v[39:40]
	v_add_f64 v[65:66], v[55:56], v[59:60]
	v_add_f64 v[51:52], v[59:60], -v[51:52]
	v_fma_f64 v[41:42], v[43:44], v[41:42], s[48:49]
	v_add_f64 v[53:54], v[53:54], -v[63:64]
	v_add_f64 v[67:68], v[61:62], -v[45:46]
	;; [unrolled: 1-line block ×6, first 2 shown]
	v_fma_f64 v[41:42], v[43:44], v[41:42], s[50:51]
	v_add_f64 v[71:72], v[61:62], -v[67:68]
	v_add_f64 v[39:40], v[49:50], -v[67:68]
	;; [unrolled: 1-line block ×4, first 2 shown]
	v_fma_f64 v[41:42], v[43:44], v[41:42], s[52:53]
	v_add_f64 v[45:46], v[45:46], -v[71:72]
	s_delay_alu instid0(VALU_DEP_4) | instskip(SKIP_1) | instid1(VALU_DEP_4)
	v_add_f64 v[51:52], v[55:56], -v[73:74]
	v_add_f64 v[55:56], v[53:54], v[13:14]
	v_fma_f64 v[41:42], v[43:44], v[41:42], s[54:55]
	s_delay_alu instid0(VALU_DEP_4)
	v_add_f64 v[39:40], v[39:40], v[45:46]
	v_add_f64 v[45:46], v[33:34], v[35:36]
	v_add_f64 v[49:50], v[49:50], v[51:52]
	v_add_f64 v[51:52], v[55:56], -v[53:54]
	v_fma_f64 v[41:42], v[43:44], v[41:42], s[56:57]
	v_add_f64 v[39:40], v[55:56], v[39:40]
	v_add_f64 v[57:58], v[45:46], -v[33:34]
	v_add_f64 v[49:50], v[45:46], v[49:50]
	v_add_f64 v[55:56], v[55:56], -v[51:52]
	v_add_f64 v[13:14], v[13:14], -v[51:52]
	v_fma_f64 v[41:42], v[43:44], v[41:42], s[58:59]
	v_add_f64 v[59:60], v[61:62], v[39:40]
	v_add_f64 v[45:46], v[45:46], -v[57:58]
	v_add_f64 v[35:36], v[35:36], -v[57:58]
	v_add_f64 v[63:64], v[65:66], v[49:50]
	v_mul_f64 v[41:42], v[43:44], v[41:42]
	v_add_f64 v[43:44], v[53:54], -v[55:56]
	v_add_f64 v[51:52], v[59:60], -v[61:62]
	v_add_f64 v[33:34], v[33:34], -v[45:46]
	v_add_f64 v[45:46], v[63:64], -v[65:66]
	v_fma_f64 v[37:38], v[37:38], v[41:42], v[37:38]
	v_add_f64 v[13:14], v[13:14], v[43:44]
	v_add_f64 v[39:40], v[39:40], -v[51:52]
	v_add_f64 v[33:34], v[35:36], v[33:34]
	v_add_f64 v[35:36], v[49:50], -v[45:46]
	v_add_f64 v[41:42], -v[37:38], s[16:17]
	s_delay_alu instid0(VALU_DEP_4) | instskip(SKIP_1) | instid1(VALU_DEP_4)
	v_add_f64 v[13:14], v[13:14], v[39:40]
	v_cndmask_b32_e64 v39, 0x54442d18, v31, s5
	v_add_f64 v[33:34], v[33:34], v[35:36]
	s_delay_alu instid0(VALU_DEP_4) | instskip(SKIP_1) | instid1(VALU_DEP_2)
	v_dual_cndmask_b32 v36, v38, v42 :: v_dual_cndmask_b32 v35, v37, v41
	v_cmp_class_f64_e64 vcc_lo, v[15:16], 0x204
	v_add_f64 v[37:38], -v[35:36], s[80:81]
	v_cmp_class_f64_e64 s80, v[47:48], 0x204
	v_add_f64 v[13:14], v[59:60], v[13:14]
	v_and_b32_e32 v40, 0x54442d18, v18
	v_add_f64 v[33:34], v[63:64], v[33:34]
	v_cndmask_b32_e64 v35, v35, v37, s5
	s_delay_alu instid0(VALU_DEP_4) | instskip(SKIP_1) | instid1(VALU_DEP_4)
	v_dual_cndmask_b32 v13, v13, v15 :: v_dual_cndmask_b32 v14, v14, v16
	v_cmp_neq_f64_e32 vcc_lo, 0, v[15:16]
	v_cndmask_b32_e64 v15, v33, v11, s4
	v_cndmask_b32_e64 v16, v34, v12, s4
	v_cmp_neq_f64_e64 s4, 0, v[11:12]
	v_cndmask_b32_e64 v11, 0x3fe921fb, v32, s5
	v_and_b32_e32 v12, 0x400921fb, v18
	v_cndmask_b32_e64 v18, v36, v38, s5
	v_cndmask_b32_e64 v33, v35, v40, s6
	s_and_b32 s5, s80, s83
	v_bfi_b32 v11, 0x7fffffff, v11, v48
	s_delay_alu instid0(VALU_DEP_3) | instskip(NEXT) | instid1(VALU_DEP_3)
	v_cndmask_b32_e64 v12, v18, v12, s6
	v_cndmask_b32_e64 v33, v33, v39, s5
	s_delay_alu instid0(VALU_DEP_2)
	v_cndmask_b32_e64 v18, v12, v11, s5
	v_cmp_o_f64_e64 s5, v[9:10], v[47:48]
	v_cndmask_b32_e32 v9, 0, v13, vcc_lo
	v_cndmask_b32_e32 v10, 0xfff00000, v14, vcc_lo
	v_cndmask_b32_e64 v12, 0xfff00000, v16, s4
	v_cndmask_b32_e64 v11, 0, v15, s4
	s_delay_alu instid0(VALU_DEP_1) | instskip(SKIP_2) | instid1(VALU_DEP_2)
	v_add_f64 v[9:10], v[9:10], -v[11:12]
	v_cndmask_b32_e64 v12, 0x7ff80000, v18, s5
	v_cndmask_b32_e64 v11, 0, v33, s5
	v_bfi_b32 v12, 0x7fffffff, v12, v48
	s_delay_alu instid0(VALU_DEP_1) | instskip(SKIP_1) | instid1(VALU_DEP_1)
	v_mul_f64 v[11:12], v[11:12], 0.5
	v_ldexp_f64 v[13:14], v[9:10], -2
	v_fma_f64 v[9:10], 0x80000000, v[13:14], v[11:12]
	v_fma_f64 v[11:12], 0x80000000, v[11:12], -v[13:14]
	v_add_co_u32 v13, s4, s33, v27
	s_delay_alu instid0(VALU_DEP_1)
	v_add_co_ci_u32_e64 v14, null, s84, 0, s4
	global_store_b128 v[13:14], v[9:12], off
	s_or_b32 exec_lo, exec_lo, s7
	s_and_saveexec_b32 s6, s3
	s_cbranch_execz .LBB74_14
.LBB74_18:                              ;   in Loop: Header=BB74_4 Depth=1
	s_waitcnt vmcnt(0)
	v_fma_f64 v[9:10], v[7:8], 0, v[5:6]
	v_fma_f64 v[5:6], v[5:6], 0, -v[7:8]
	s_mov_b32 s83, s61
	s_mov_b32 s80, s16
	s_delay_alu instid0(VALU_DEP_2) | instskip(NEXT) | instid1(VALU_DEP_2)
	v_mul_f64 v[7:8], v[9:10], v[9:10]
	v_add_f64 v[11:12], v[5:6], 1.0
	v_add_f64 v[13:14], -v[5:6], 1.0
	v_fma_f64 v[5:6], -v[5:6], v[5:6], 1.0
	s_delay_alu instid0(VALU_DEP_3) | instskip(NEXT) | instid1(VALU_DEP_3)
	v_fma_f64 v[11:12], v[11:12], v[11:12], v[7:8]
	v_fma_f64 v[7:8], v[13:14], v[13:14], v[7:8]
	s_delay_alu instid0(VALU_DEP_3) | instskip(NEXT) | instid1(VALU_DEP_3)
	v_fma_f64 v[5:6], -v[9:10], v[9:10], v[5:6]
	v_frexp_mant_f64_e32 v[13:14], v[11:12]
	s_delay_alu instid0(VALU_DEP_3) | instskip(NEXT) | instid1(VALU_DEP_2)
	v_frexp_mant_f64_e32 v[15:16], v[7:8]
	v_cmp_gt_f64_e64 s3, s[60:61], v[13:14]
	s_delay_alu instid0(VALU_DEP_2) | instskip(NEXT) | instid1(VALU_DEP_2)
	v_cmp_gt_f64_e64 s4, s[60:61], v[15:16]
	v_cndmask_b32_e64 v18, 0x3ff00000, 2.0, s3
	s_delay_alu instid0(VALU_DEP_1) | instskip(NEXT) | instid1(VALU_DEP_3)
	v_mul_f64 v[13:14], v[13:14], v[17:18]
	v_cndmask_b32_e64 v18, 0x3ff00000, 2.0, s4
	s_delay_alu instid0(VALU_DEP_1) | instskip(SKIP_1) | instid1(VALU_DEP_4)
	v_mul_f64 v[15:16], v[15:16], v[17:18]
	v_frexp_exp_i32_f64_e32 v18, v[11:12]
	v_add_f64 v[33:34], v[13:14], 1.0
	v_add_f64 v[45:46], v[13:14], -1.0
	s_delay_alu instid0(VALU_DEP_4) | instskip(NEXT) | instid1(VALU_DEP_3)
	v_add_f64 v[35:36], v[15:16], 1.0
	v_rcp_f64_e32 v[37:38], v[33:34]
	v_add_f64 v[53:54], v[33:34], -1.0
	s_delay_alu instid0(VALU_DEP_2) | instskip(SKIP_1) | instid1(VALU_DEP_2)
	v_rcp_f64_e32 v[39:40], v[35:36]
	v_add_f64 v[57:58], v[35:36], -1.0
	v_add_f64 v[13:14], v[13:14], -v[53:54]
	s_waitcnt_depctr 0xfff
	v_fma_f64 v[41:42], -v[33:34], v[37:38], 1.0
	v_fma_f64 v[43:44], -v[35:36], v[39:40], 1.0
	s_delay_alu instid0(VALU_DEP_2) | instskip(NEXT) | instid1(VALU_DEP_2)
	v_fma_f64 v[37:38], v[41:42], v[37:38], v[37:38]
	v_fma_f64 v[39:40], v[43:44], v[39:40], v[39:40]
	s_delay_alu instid0(VALU_DEP_2) | instskip(NEXT) | instid1(VALU_DEP_2)
	v_fma_f64 v[41:42], -v[33:34], v[37:38], 1.0
	v_fma_f64 v[43:44], -v[35:36], v[39:40], 1.0
	s_delay_alu instid0(VALU_DEP_2) | instskip(SKIP_2) | instid1(VALU_DEP_4)
	v_fma_f64 v[37:38], v[41:42], v[37:38], v[37:38]
	v_add_f64 v[41:42], v[15:16], -1.0
	v_add_f64 v[15:16], v[15:16], -v[57:58]
	v_fma_f64 v[39:40], v[43:44], v[39:40], v[39:40]
	v_add_f64 v[43:44], v[9:10], v[9:10]
	v_mul_f64 v[9:10], v[45:46], v[37:38]
	s_delay_alu instid0(VALU_DEP_3) | instskip(NEXT) | instid1(VALU_DEP_3)
	v_mul_f64 v[47:48], v[41:42], v[39:40]
	v_max_f64 v[49:50], |v[5:6]|, |v[43:44]|
	v_min_f64 v[51:52], |v[5:6]|, |v[43:44]|
	v_cmp_eq_f64_e64 s5, 0, v[43:44]
	v_cmp_class_f64_e64 s7, v[43:44], 0x204
	v_mul_f64 v[55:56], v[33:34], v[9:10]
	v_mul_f64 v[59:60], v[35:36], v[47:48]
	v_div_scale_f64 v[61:62], null, v[49:50], v[49:50], v[51:52]
	v_div_scale_f64 v[67:68], vcc_lo, v[51:52], v[49:50], v[51:52]
	s_delay_alu instid0(VALU_DEP_4) | instskip(NEXT) | instid1(VALU_DEP_4)
	v_fma_f64 v[33:34], v[9:10], v[33:34], -v[55:56]
	v_fma_f64 v[35:36], v[47:48], v[35:36], -v[59:60]
	s_delay_alu instid0(VALU_DEP_4) | instskip(NEXT) | instid1(VALU_DEP_2)
	v_rcp_f64_e32 v[53:54], v[61:62]
	v_fma_f64 v[13:14], v[9:10], v[13:14], v[33:34]
	s_delay_alu instid0(VALU_DEP_2) | instskip(SKIP_4) | instid1(VALU_DEP_3)
	v_fma_f64 v[15:16], v[47:48], v[15:16], v[35:36]
	s_waitcnt_depctr 0xfff
	v_fma_f64 v[33:34], -v[61:62], v[53:54], 1.0
	v_add_f64 v[35:36], v[55:56], v[13:14]
	v_add_f64 v[57:58], v[59:60], v[15:16]
	v_fma_f64 v[33:34], v[53:54], v[33:34], v[53:54]
	s_delay_alu instid0(VALU_DEP_3) | instskip(SKIP_1) | instid1(VALU_DEP_4)
	v_add_f64 v[53:54], v[45:46], -v[35:36]
	v_add_f64 v[55:56], v[35:36], -v[55:56]
	v_add_f64 v[63:64], v[41:42], -v[57:58]
	v_add_f64 v[59:60], v[57:58], -v[59:60]
	v_fma_f64 v[65:66], -v[61:62], v[33:34], 1.0
	v_add_f64 v[45:46], v[45:46], -v[53:54]
	v_add_f64 v[13:14], v[55:56], -v[13:14]
	;; [unrolled: 1-line block ×4, first 2 shown]
	v_fma_f64 v[33:34], v[33:34], v[65:66], v[33:34]
	v_add_f64 v[35:36], v[45:46], -v[35:36]
	s_delay_alu instid0(VALU_DEP_4) | instskip(SKIP_1) | instid1(VALU_DEP_4)
	v_add_f64 v[41:42], v[41:42], -v[57:58]
	v_frexp_exp_i32_f64_e32 v57, v[7:8]
	v_mul_f64 v[45:46], v[67:68], v[33:34]
	s_delay_alu instid0(VALU_DEP_4) | instskip(NEXT) | instid1(VALU_DEP_4)
	v_add_f64 v[13:14], v[13:14], v[35:36]
	v_add_f64 v[15:16], v[15:16], v[41:42]
	s_delay_alu instid0(VALU_DEP_3) | instskip(NEXT) | instid1(VALU_DEP_3)
	v_fma_f64 v[35:36], -v[61:62], v[45:46], v[67:68]
	v_add_f64 v[13:14], v[53:54], v[13:14]
	s_delay_alu instid0(VALU_DEP_3) | instskip(NEXT) | instid1(VALU_DEP_3)
	v_add_f64 v[15:16], v[63:64], v[15:16]
	v_div_fmas_f64 v[33:34], v[35:36], v[33:34], v[45:46]
	v_subrev_co_ci_u32_e64 v18, vcc_lo, 0, v18, s3
	v_subrev_co_ci_u32_e64 v57, vcc_lo, 0, v57, s4
	v_cmp_lt_f64_e64 vcc_lo, |v[5:6]|, |v[43:44]|
	v_cmp_class_f64_e64 s3, v[7:8], 0x204
	v_cmp_gt_i32_e64 s4, 0, v6
	s_delay_alu instid0(VALU_DEP_4) | instskip(SKIP_3) | instid1(VALU_DEP_3)
	v_cvt_f64_i32_e32 v[57:58], v57
	v_mul_f64 v[13:14], v[37:38], v[13:14]
	v_mul_f64 v[15:16], v[39:40], v[15:16]
	v_div_fixup_f64 v[33:34], v[33:34], v[49:50], v[51:52]
	v_add_f64 v[35:36], v[9:10], v[13:14]
	s_delay_alu instid0(VALU_DEP_3) | instskip(NEXT) | instid1(VALU_DEP_3)
	v_add_f64 v[37:38], v[47:48], v[15:16]
	v_mul_f64 v[39:40], v[33:34], v[33:34]
	s_delay_alu instid0(VALU_DEP_3) | instskip(SKIP_1) | instid1(VALU_DEP_4)
	v_mul_f64 v[41:42], v[35:36], v[35:36]
	v_add_f64 v[9:10], v[35:36], -v[9:10]
	v_mul_f64 v[45:46], v[37:38], v[37:38]
	s_delay_alu instid0(VALU_DEP_4) | instskip(NEXT) | instid1(VALU_DEP_4)
	v_fma_f64 v[49:50], v[39:40], s[20:21], s[18:19]
	v_fma_f64 v[51:52], v[41:42], s[68:69], s[66:67]
	v_mul_f64 v[55:56], v[35:36], v[41:42]
	v_add_f64 v[9:10], v[13:14], -v[9:10]
	v_fma_f64 v[53:54], v[45:46], s[68:69], s[66:67]
	v_fma_f64 v[49:50], v[39:40], v[49:50], s[22:23]
	;; [unrolled: 1-line block ×3, first 2 shown]
	s_delay_alu instid0(VALU_DEP_4) | instskip(NEXT) | instid1(VALU_DEP_4)
	v_ldexp_f64 v[9:10], v[9:10], 1
	v_fma_f64 v[53:54], v[45:46], v[53:54], s[70:71]
	s_delay_alu instid0(VALU_DEP_4) | instskip(NEXT) | instid1(VALU_DEP_4)
	v_fma_f64 v[49:50], v[39:40], v[49:50], s[24:25]
	v_fma_f64 v[51:52], v[41:42], v[51:52], s[72:73]
	s_delay_alu instid0(VALU_DEP_3) | instskip(NEXT) | instid1(VALU_DEP_3)
	v_fma_f64 v[53:54], v[45:46], v[53:54], s[72:73]
	v_fma_f64 v[49:50], v[39:40], v[49:50], s[26:27]
	s_delay_alu instid0(VALU_DEP_3) | instskip(NEXT) | instid1(VALU_DEP_3)
	;; [unrolled: 3-line block ×4, first 2 shown]
	v_fma_f64 v[53:54], v[45:46], v[53:54], s[76:77]
	v_fma_f64 v[49:50], v[39:40], v[49:50], s[30:31]
	s_delay_alu instid0(VALU_DEP_3) | instskip(SKIP_1) | instid1(VALU_DEP_4)
	v_fma_f64 v[41:42], v[41:42], v[51:52], s[82:83]
	v_mul_f64 v[51:52], v[37:38], v[45:46]
	v_fma_f64 v[45:46], v[45:46], v[53:54], s[82:83]
	v_ldexp_f64 v[53:54], v[35:36], 1
	v_fma_f64 v[49:50], v[39:40], v[49:50], s[34:35]
	v_mul_f64 v[41:42], v[55:56], v[41:42]
	v_ldexp_f64 v[55:56], v[37:38], 1
	v_add_f64 v[37:38], v[37:38], -v[47:48]
	v_mul_f64 v[45:46], v[51:52], v[45:46]
	v_cvt_f64_i32_e32 v[51:52], v18
	v_ashrrev_i32_e32 v18, 31, v6
	v_fma_f64 v[49:50], v[39:40], v[49:50], s[36:37]
	v_add_f64 v[35:36], v[53:54], v[41:42]
	v_add_f64 v[15:16], v[15:16], -v[37:38]
	v_add_f64 v[47:48], v[55:56], v[45:46]
	v_mul_f64 v[59:60], v[51:52], s[62:63]
	v_fma_f64 v[49:50], v[39:40], v[49:50], s[38:39]
	v_add_f64 v[13:14], v[35:36], -v[53:54]
	v_mul_f64 v[53:54], v[57:58], s[62:63]
	v_ldexp_f64 v[15:16], v[15:16], 1
	v_add_f64 v[37:38], v[47:48], -v[55:56]
	v_fma_f64 v[55:56], v[51:52], s[62:63], -v[59:60]
	v_fma_f64 v[49:50], v[39:40], v[49:50], s[40:41]
	v_add_f64 v[13:14], v[41:42], -v[13:14]
	v_fma_f64 v[41:42], v[57:58], s[62:63], -v[53:54]
	v_add_f64 v[37:38], v[45:46], -v[37:38]
	s_delay_alu instid0(VALU_DEP_4)
	v_fma_f64 v[45:46], v[39:40], v[49:50], s[42:43]
	v_fma_f64 v[49:50], v[51:52], s[64:65], v[55:56]
	v_add_f64 v[9:10], v[9:10], v[13:14]
	v_fma_f64 v[13:14], v[57:58], s[64:65], v[41:42]
	v_add_f64 v[15:16], v[15:16], v[37:38]
	;; [unrolled: 2-line block ×3, first 2 shown]
	v_add_f64 v[45:46], v[35:36], v[9:10]
	v_add_f64 v[51:52], v[53:54], v[13:14]
	;; [unrolled: 1-line block ×3, first 2 shown]
	v_fma_f64 v[37:38], v[39:40], v[37:38], s[46:47]
	v_add_f64 v[59:60], v[41:42], -v[59:60]
	v_add_f64 v[57:58], v[41:42], v[45:46]
	v_add_f64 v[53:54], v[51:52], -v[53:54]
	v_add_f64 v[35:36], v[45:46], -v[35:36]
	v_add_f64 v[61:62], v[51:52], v[55:56]
	v_add_f64 v[47:48], v[55:56], -v[47:48]
	v_fma_f64 v[37:38], v[39:40], v[37:38], s[48:49]
	v_add_f64 v[49:50], v[49:50], -v[59:60]
	v_add_f64 v[63:64], v[57:58], -v[41:42]
	;; [unrolled: 1-line block ×6, first 2 shown]
	v_fma_f64 v[37:38], v[39:40], v[37:38], s[50:51]
	v_add_f64 v[67:68], v[57:58], -v[63:64]
	v_add_f64 v[35:36], v[45:46], -v[63:64]
	;; [unrolled: 1-line block ×4, first 2 shown]
	v_fma_f64 v[37:38], v[39:40], v[37:38], s[52:53]
	v_add_f64 v[41:42], v[41:42], -v[67:68]
	s_delay_alu instid0(VALU_DEP_4) | instskip(SKIP_1) | instid1(VALU_DEP_4)
	v_add_f64 v[47:48], v[51:52], -v[69:70]
	v_add_f64 v[51:52], v[49:50], v[9:10]
	v_fma_f64 v[37:38], v[39:40], v[37:38], s[54:55]
	s_delay_alu instid0(VALU_DEP_4)
	v_add_f64 v[35:36], v[35:36], v[41:42]
	v_add_f64 v[41:42], v[13:14], v[15:16]
	;; [unrolled: 1-line block ×3, first 2 shown]
	v_add_f64 v[47:48], v[51:52], -v[49:50]
	v_fma_f64 v[37:38], v[39:40], v[37:38], s[56:57]
	v_add_f64 v[35:36], v[51:52], v[35:36]
	v_add_f64 v[53:54], v[41:42], -v[13:14]
	v_add_f64 v[45:46], v[41:42], v[45:46]
	v_add_f64 v[51:52], v[51:52], -v[47:48]
	v_add_f64 v[9:10], v[9:10], -v[47:48]
	v_fma_f64 v[37:38], v[39:40], v[37:38], s[58:59]
	v_add_f64 v[55:56], v[57:58], v[35:36]
	v_add_f64 v[41:42], v[41:42], -v[53:54]
	v_add_f64 v[15:16], v[15:16], -v[53:54]
	v_add_f64 v[59:60], v[61:62], v[45:46]
	v_mul_f64 v[37:38], v[39:40], v[37:38]
	v_add_f64 v[39:40], v[49:50], -v[51:52]
	v_add_f64 v[47:48], v[55:56], -v[57:58]
	;; [unrolled: 1-line block ×4, first 2 shown]
	v_fma_f64 v[33:34], v[33:34], v[37:38], v[33:34]
	v_add_f64 v[9:10], v[9:10], v[39:40]
	v_add_f64 v[35:36], v[35:36], -v[47:48]
	v_add_f64 v[13:14], v[15:16], v[13:14]
	v_add_f64 v[15:16], v[45:46], -v[41:42]
	v_add_f64 v[37:38], -v[33:34], s[16:17]
	s_delay_alu instid0(VALU_DEP_4) | instskip(SKIP_1) | instid1(VALU_DEP_4)
	v_add_f64 v[9:10], v[9:10], v[35:36]
	v_cndmask_b32_e64 v35, 0x54442d18, v31, s4
	v_add_f64 v[13:14], v[13:14], v[15:16]
	s_delay_alu instid0(VALU_DEP_4) | instskip(SKIP_1) | instid1(VALU_DEP_2)
	v_dual_cndmask_b32 v16, v34, v38 :: v_dual_cndmask_b32 v15, v33, v37
	v_cmp_class_f64_e64 vcc_lo, v[11:12], 0x204
	v_add_f64 v[33:34], -v[15:16], s[80:81]
	v_cmp_class_f64_e64 s80, v[5:6], 0x204
	v_add_f64 v[9:10], v[55:56], v[9:10]
	v_and_b32_e32 v36, 0x54442d18, v18
	v_add_f64 v[13:14], v[59:60], v[13:14]
	v_cndmask_b32_e64 v15, v15, v33, s4
	s_delay_alu instid0(VALU_DEP_4) | instskip(SKIP_1) | instid1(VALU_DEP_4)
	v_dual_cndmask_b32 v9, v9, v11 :: v_dual_cndmask_b32 v10, v10, v12
	v_cmp_neq_f64_e32 vcc_lo, 0, v[11:12]
	v_cndmask_b32_e64 v11, v13, v7, s3
	v_cndmask_b32_e64 v12, v14, v8, s3
	v_cmp_neq_f64_e64 s3, 0, v[7:8]
	v_cndmask_b32_e64 v7, 0x3fe921fb, v32, s4
	v_and_b32_e32 v8, 0x400921fb, v18
	v_cndmask_b32_e64 v13, v16, v34, s4
	v_cndmask_b32_e64 v14, v15, v36, s5
	s_and_b32 s4, s7, s80
	v_bfi_b32 v7, 0x7fffffff, v7, v44
	s_delay_alu instid0(VALU_DEP_3) | instskip(NEXT) | instid1(VALU_DEP_3)
	v_cndmask_b32_e64 v8, v13, v8, s5
	v_cndmask_b32_e64 v14, v14, v35, s4
	s_delay_alu instid0(VALU_DEP_2)
	v_cndmask_b32_e64 v13, v8, v7, s4
	v_cmp_o_f64_e64 s4, v[5:6], v[43:44]
	v_cndmask_b32_e32 v5, 0, v9, vcc_lo
	v_cndmask_b32_e32 v6, 0xfff00000, v10, vcc_lo
	v_cndmask_b32_e64 v8, 0xfff00000, v12, s3
	v_cndmask_b32_e64 v7, 0, v11, s3
	s_delay_alu instid0(VALU_DEP_1) | instskip(SKIP_2) | instid1(VALU_DEP_2)
	v_add_f64 v[5:6], v[5:6], -v[7:8]
	v_cndmask_b32_e64 v8, 0x7ff80000, v13, s4
	v_cndmask_b32_e64 v7, 0, v14, s4
	v_bfi_b32 v8, 0x7fffffff, v8, v44
	s_delay_alu instid0(VALU_DEP_1) | instskip(SKIP_1) | instid1(VALU_DEP_1)
	v_mul_f64 v[7:8], v[7:8], 0.5
	v_ldexp_f64 v[9:10], v[5:6], -2
	v_fma_f64 v[5:6], 0x80000000, v[9:10], v[7:8]
	v_fma_f64 v[7:8], 0x80000000, v[7:8], -v[9:10]
	v_add_co_u32 v9, vcc_lo, s33, v28
	v_add_co_ci_u32_e32 v10, vcc_lo, s84, v26, vcc_lo
	global_store_b128 v[9:10], v[5:8], off offset:-8
	s_or_b32 exec_lo, exec_lo, s6
	s_and_saveexec_b32 s5, s2
	s_cbranch_execz .LBB74_3
.LBB74_19:                              ;   in Loop: Header=BB74_4 Depth=1
	s_waitcnt vmcnt(0)
	v_fma_f64 v[5:6], v[3:4], 0, v[1:2]
	v_fma_f64 v[1:2], v[1:2], 0, -v[3:4]
	s_mov_b32 s83, s61
	s_mov_b32 s80, s16
	s_delay_alu instid0(VALU_DEP_2) | instskip(NEXT) | instid1(VALU_DEP_2)
	v_mul_f64 v[3:4], v[5:6], v[5:6]
	v_add_f64 v[7:8], v[1:2], 1.0
	v_add_f64 v[9:10], -v[1:2], 1.0
	v_fma_f64 v[1:2], -v[1:2], v[1:2], 1.0
	s_delay_alu instid0(VALU_DEP_3) | instskip(NEXT) | instid1(VALU_DEP_3)
	v_fma_f64 v[7:8], v[7:8], v[7:8], v[3:4]
	v_fma_f64 v[3:4], v[9:10], v[9:10], v[3:4]
	s_delay_alu instid0(VALU_DEP_3) | instskip(NEXT) | instid1(VALU_DEP_3)
	v_fma_f64 v[1:2], -v[5:6], v[5:6], v[1:2]
	v_frexp_mant_f64_e32 v[9:10], v[7:8]
	s_delay_alu instid0(VALU_DEP_3) | instskip(NEXT) | instid1(VALU_DEP_3)
	v_frexp_mant_f64_e32 v[11:12], v[3:4]
	v_cmp_class_f64_e64 s7, v[1:2], 0x204
	s_delay_alu instid0(VALU_DEP_3) | instskip(NEXT) | instid1(VALU_DEP_3)
	v_cmp_gt_f64_e64 s2, s[60:61], v[9:10]
	v_cmp_gt_f64_e64 s3, s[60:61], v[11:12]
	s_delay_alu instid0(VALU_DEP_2) | instskip(NEXT) | instid1(VALU_DEP_1)
	v_cndmask_b32_e64 v18, 0x3ff00000, 2.0, s2
	v_mul_f64 v[9:10], v[9:10], v[17:18]
	s_delay_alu instid0(VALU_DEP_3) | instskip(NEXT) | instid1(VALU_DEP_1)
	v_cndmask_b32_e64 v18, 0x3ff00000, 2.0, s3
	v_mul_f64 v[11:12], v[11:12], v[17:18]
	v_frexp_exp_i32_f64_e32 v18, v[7:8]
	s_delay_alu instid0(VALU_DEP_4) | instskip(SKIP_1) | instid1(VALU_DEP_4)
	v_add_f64 v[13:14], v[9:10], 1.0
	v_add_f64 v[41:42], v[9:10], -1.0
	v_add_f64 v[15:16], v[11:12], 1.0
	s_delay_alu instid0(VALU_DEP_3) | instskip(SKIP_1) | instid1(VALU_DEP_2)
	v_rcp_f64_e32 v[33:34], v[13:14]
	v_add_f64 v[49:50], v[13:14], -1.0
	v_rcp_f64_e32 v[35:36], v[15:16]
	v_add_f64 v[53:54], v[15:16], -1.0
	s_delay_alu instid0(VALU_DEP_2) | instskip(SKIP_3) | instid1(VALU_DEP_2)
	v_add_f64 v[9:10], v[9:10], -v[49:50]
	s_waitcnt_depctr 0xfff
	v_fma_f64 v[37:38], -v[13:14], v[33:34], 1.0
	v_fma_f64 v[39:40], -v[15:16], v[35:36], 1.0
	v_fma_f64 v[33:34], v[37:38], v[33:34], v[33:34]
	s_delay_alu instid0(VALU_DEP_2) | instskip(NEXT) | instid1(VALU_DEP_2)
	v_fma_f64 v[35:36], v[39:40], v[35:36], v[35:36]
	v_fma_f64 v[37:38], -v[13:14], v[33:34], 1.0
	s_delay_alu instid0(VALU_DEP_2) | instskip(NEXT) | instid1(VALU_DEP_2)
	v_fma_f64 v[39:40], -v[15:16], v[35:36], 1.0
	v_fma_f64 v[33:34], v[37:38], v[33:34], v[33:34]
	v_add_f64 v[37:38], v[11:12], -1.0
	v_add_f64 v[11:12], v[11:12], -v[53:54]
	s_delay_alu instid0(VALU_DEP_4) | instskip(SKIP_2) | instid1(VALU_DEP_3)
	v_fma_f64 v[35:36], v[39:40], v[35:36], v[35:36]
	v_add_f64 v[39:40], v[5:6], v[5:6]
	v_mul_f64 v[5:6], v[41:42], v[33:34]
	v_mul_f64 v[43:44], v[37:38], v[35:36]
	s_delay_alu instid0(VALU_DEP_3)
	v_max_f64 v[45:46], |v[1:2]|, |v[39:40]|
	v_min_f64 v[47:48], |v[1:2]|, |v[39:40]|
	v_cmp_eq_f64_e64 s4, 0, v[39:40]
	v_cmp_class_f64_e64 s6, v[39:40], 0x204
	v_mul_f64 v[51:52], v[13:14], v[5:6]
	v_mul_f64 v[55:56], v[15:16], v[43:44]
	v_div_scale_f64 v[57:58], null, v[45:46], v[45:46], v[47:48]
	v_div_scale_f64 v[63:64], vcc_lo, v[47:48], v[45:46], v[47:48]
	s_delay_alu instid0(VALU_DEP_4) | instskip(NEXT) | instid1(VALU_DEP_4)
	v_fma_f64 v[13:14], v[5:6], v[13:14], -v[51:52]
	v_fma_f64 v[15:16], v[43:44], v[15:16], -v[55:56]
	s_delay_alu instid0(VALU_DEP_4) | instskip(NEXT) | instid1(VALU_DEP_2)
	v_rcp_f64_e32 v[49:50], v[57:58]
	v_fma_f64 v[9:10], v[5:6], v[9:10], v[13:14]
	s_delay_alu instid0(VALU_DEP_2) | instskip(SKIP_4) | instid1(VALU_DEP_3)
	v_fma_f64 v[11:12], v[43:44], v[11:12], v[15:16]
	s_waitcnt_depctr 0xfff
	v_fma_f64 v[13:14], -v[57:58], v[49:50], 1.0
	v_add_f64 v[15:16], v[51:52], v[9:10]
	v_add_f64 v[53:54], v[55:56], v[11:12]
	v_fma_f64 v[13:14], v[49:50], v[13:14], v[49:50]
	s_delay_alu instid0(VALU_DEP_3) | instskip(SKIP_1) | instid1(VALU_DEP_4)
	v_add_f64 v[49:50], v[41:42], -v[15:16]
	v_add_f64 v[51:52], v[15:16], -v[51:52]
	;; [unrolled: 1-line block ×4, first 2 shown]
	v_fma_f64 v[61:62], -v[57:58], v[13:14], 1.0
	v_add_f64 v[41:42], v[41:42], -v[49:50]
	v_add_f64 v[9:10], v[51:52], -v[9:10]
	;; [unrolled: 1-line block ×4, first 2 shown]
	v_fma_f64 v[13:14], v[13:14], v[61:62], v[13:14]
	v_add_f64 v[15:16], v[41:42], -v[15:16]
	s_delay_alu instid0(VALU_DEP_4) | instskip(SKIP_1) | instid1(VALU_DEP_4)
	v_add_f64 v[37:38], v[37:38], -v[53:54]
	v_frexp_exp_i32_f64_e32 v53, v[3:4]
	v_mul_f64 v[41:42], v[63:64], v[13:14]
	s_delay_alu instid0(VALU_DEP_4) | instskip(NEXT) | instid1(VALU_DEP_4)
	v_add_f64 v[9:10], v[9:10], v[15:16]
	v_add_f64 v[11:12], v[11:12], v[37:38]
	s_delay_alu instid0(VALU_DEP_3) | instskip(NEXT) | instid1(VALU_DEP_3)
	v_fma_f64 v[15:16], -v[57:58], v[41:42], v[63:64]
	v_add_f64 v[9:10], v[49:50], v[9:10]
	s_delay_alu instid0(VALU_DEP_3) | instskip(NEXT) | instid1(VALU_DEP_3)
	v_add_f64 v[11:12], v[59:60], v[11:12]
	v_div_fmas_f64 v[13:14], v[15:16], v[13:14], v[41:42]
	v_subrev_co_ci_u32_e64 v18, vcc_lo, 0, v18, s2
	v_subrev_co_ci_u32_e64 v53, vcc_lo, 0, v53, s3
	v_cmp_lt_f64_e64 vcc_lo, |v[1:2]|, |v[39:40]|
	v_cmp_class_f64_e64 s2, v[3:4], 0x204
	v_cmp_gt_i32_e64 s3, 0, v2
	s_delay_alu instid0(VALU_DEP_4) | instskip(SKIP_3) | instid1(VALU_DEP_3)
	v_cvt_f64_i32_e32 v[53:54], v53
	v_mul_f64 v[9:10], v[33:34], v[9:10]
	v_mul_f64 v[11:12], v[35:36], v[11:12]
	v_div_fixup_f64 v[13:14], v[13:14], v[45:46], v[47:48]
	v_add_f64 v[15:16], v[5:6], v[9:10]
	s_delay_alu instid0(VALU_DEP_3) | instskip(NEXT) | instid1(VALU_DEP_3)
	v_add_f64 v[33:34], v[43:44], v[11:12]
	v_mul_f64 v[35:36], v[13:14], v[13:14]
	s_delay_alu instid0(VALU_DEP_3) | instskip(SKIP_1) | instid1(VALU_DEP_4)
	v_mul_f64 v[37:38], v[15:16], v[15:16]
	v_add_f64 v[5:6], v[15:16], -v[5:6]
	v_mul_f64 v[41:42], v[33:34], v[33:34]
	s_delay_alu instid0(VALU_DEP_4) | instskip(NEXT) | instid1(VALU_DEP_4)
	v_fma_f64 v[45:46], v[35:36], s[20:21], s[18:19]
	v_fma_f64 v[47:48], v[37:38], s[68:69], s[66:67]
	v_mul_f64 v[51:52], v[15:16], v[37:38]
	v_add_f64 v[5:6], v[9:10], -v[5:6]
	v_fma_f64 v[49:50], v[41:42], s[68:69], s[66:67]
	v_fma_f64 v[45:46], v[35:36], v[45:46], s[22:23]
	;; [unrolled: 1-line block ×3, first 2 shown]
	s_delay_alu instid0(VALU_DEP_4) | instskip(NEXT) | instid1(VALU_DEP_4)
	v_ldexp_f64 v[5:6], v[5:6], 1
	v_fma_f64 v[49:50], v[41:42], v[49:50], s[70:71]
	s_delay_alu instid0(VALU_DEP_4) | instskip(NEXT) | instid1(VALU_DEP_4)
	v_fma_f64 v[45:46], v[35:36], v[45:46], s[24:25]
	v_fma_f64 v[47:48], v[37:38], v[47:48], s[72:73]
	s_delay_alu instid0(VALU_DEP_3) | instskip(NEXT) | instid1(VALU_DEP_3)
	v_fma_f64 v[49:50], v[41:42], v[49:50], s[72:73]
	v_fma_f64 v[45:46], v[35:36], v[45:46], s[26:27]
	s_delay_alu instid0(VALU_DEP_3) | instskip(NEXT) | instid1(VALU_DEP_3)
	;; [unrolled: 3-line block ×4, first 2 shown]
	v_fma_f64 v[49:50], v[41:42], v[49:50], s[76:77]
	v_fma_f64 v[45:46], v[35:36], v[45:46], s[30:31]
	s_delay_alu instid0(VALU_DEP_3) | instskip(SKIP_1) | instid1(VALU_DEP_4)
	v_fma_f64 v[37:38], v[37:38], v[47:48], s[82:83]
	v_mul_f64 v[47:48], v[33:34], v[41:42]
	v_fma_f64 v[41:42], v[41:42], v[49:50], s[82:83]
	v_ldexp_f64 v[49:50], v[15:16], 1
	v_fma_f64 v[45:46], v[35:36], v[45:46], s[34:35]
	v_mul_f64 v[37:38], v[51:52], v[37:38]
	v_ldexp_f64 v[51:52], v[33:34], 1
	v_add_f64 v[33:34], v[33:34], -v[43:44]
	v_mul_f64 v[41:42], v[47:48], v[41:42]
	v_cvt_f64_i32_e32 v[47:48], v18
	v_fma_f64 v[45:46], v[35:36], v[45:46], s[36:37]
	v_add_f64 v[15:16], v[49:50], v[37:38]
	v_add_f64 v[11:12], v[11:12], -v[33:34]
	v_add_f64 v[43:44], v[51:52], v[41:42]
	v_mul_f64 v[55:56], v[47:48], s[62:63]
	v_fma_f64 v[45:46], v[35:36], v[45:46], s[38:39]
	v_add_f64 v[9:10], v[15:16], -v[49:50]
	v_mul_f64 v[49:50], v[53:54], s[62:63]
	v_ldexp_f64 v[11:12], v[11:12], 1
	v_add_f64 v[33:34], v[43:44], -v[51:52]
	v_fma_f64 v[51:52], v[47:48], s[62:63], -v[55:56]
	v_fma_f64 v[45:46], v[35:36], v[45:46], s[40:41]
	v_add_f64 v[9:10], v[37:38], -v[9:10]
	v_fma_f64 v[37:38], v[53:54], s[62:63], -v[49:50]
	v_add_f64 v[33:34], v[41:42], -v[33:34]
	s_delay_alu instid0(VALU_DEP_4)
	v_fma_f64 v[41:42], v[35:36], v[45:46], s[42:43]
	v_fma_f64 v[45:46], v[47:48], s[64:65], v[51:52]
	v_add_f64 v[5:6], v[5:6], v[9:10]
	v_fma_f64 v[9:10], v[53:54], s[64:65], v[37:38]
	v_add_f64 v[11:12], v[11:12], v[33:34]
	;; [unrolled: 2-line block ×3, first 2 shown]
	v_add_f64 v[41:42], v[15:16], v[5:6]
	v_add_f64 v[47:48], v[49:50], v[9:10]
	;; [unrolled: 1-line block ×3, first 2 shown]
	v_fma_f64 v[33:34], v[35:36], v[33:34], s[46:47]
	v_add_f64 v[55:56], v[37:38], -v[55:56]
	v_add_f64 v[53:54], v[37:38], v[41:42]
	v_add_f64 v[49:50], v[47:48], -v[49:50]
	v_add_f64 v[15:16], v[41:42], -v[15:16]
	v_add_f64 v[57:58], v[47:48], v[51:52]
	v_add_f64 v[43:44], v[51:52], -v[43:44]
	v_fma_f64 v[33:34], v[35:36], v[33:34], s[48:49]
	v_add_f64 v[45:46], v[45:46], -v[55:56]
	v_add_f64 v[59:60], v[53:54], -v[37:38]
	;; [unrolled: 1-line block ×6, first 2 shown]
	v_fma_f64 v[33:34], v[35:36], v[33:34], s[50:51]
	v_add_f64 v[63:64], v[53:54], -v[59:60]
	v_add_f64 v[15:16], v[41:42], -v[59:60]
	;; [unrolled: 1-line block ×4, first 2 shown]
	v_fma_f64 v[33:34], v[35:36], v[33:34], s[52:53]
	v_add_f64 v[37:38], v[37:38], -v[63:64]
	s_delay_alu instid0(VALU_DEP_4) | instskip(SKIP_1) | instid1(VALU_DEP_4)
	v_add_f64 v[43:44], v[47:48], -v[65:66]
	v_add_f64 v[47:48], v[45:46], v[5:6]
	v_fma_f64 v[33:34], v[35:36], v[33:34], s[54:55]
	s_delay_alu instid0(VALU_DEP_4)
	v_add_f64 v[15:16], v[15:16], v[37:38]
	v_add_f64 v[37:38], v[9:10], v[11:12]
	;; [unrolled: 1-line block ×3, first 2 shown]
	v_add_f64 v[43:44], v[47:48], -v[45:46]
	v_fma_f64 v[33:34], v[35:36], v[33:34], s[56:57]
	v_add_f64 v[15:16], v[47:48], v[15:16]
	v_add_f64 v[49:50], v[37:38], -v[9:10]
	v_add_f64 v[41:42], v[37:38], v[41:42]
	v_add_f64 v[47:48], v[47:48], -v[43:44]
	v_add_f64 v[5:6], v[5:6], -v[43:44]
	v_fma_f64 v[33:34], v[35:36], v[33:34], s[58:59]
	v_add_f64 v[51:52], v[53:54], v[15:16]
	v_add_f64 v[37:38], v[37:38], -v[49:50]
	v_add_f64 v[11:12], v[11:12], -v[49:50]
	v_add_f64 v[55:56], v[57:58], v[41:42]
	v_mul_f64 v[33:34], v[35:36], v[33:34]
	v_add_f64 v[35:36], v[45:46], -v[47:48]
	v_add_f64 v[43:44], v[51:52], -v[53:54]
	;; [unrolled: 1-line block ×4, first 2 shown]
	v_fma_f64 v[13:14], v[13:14], v[33:34], v[13:14]
	v_add_f64 v[5:6], v[5:6], v[35:36]
	v_add_f64 v[15:16], v[15:16], -v[43:44]
	v_add_f64 v[9:10], v[11:12], v[9:10]
	v_add_f64 v[11:12], v[41:42], -v[37:38]
	v_add_f64 v[33:34], -v[13:14], s[16:17]
	s_delay_alu instid0(VALU_DEP_4)
	v_add_f64 v[5:6], v[5:6], v[15:16]
	v_ashrrev_i32_e32 v15, 31, v2
	v_cndmask_b32_e64 v16, 0x54442d18, v31, s3
	v_add_f64 v[9:10], v[9:10], v[11:12]
	v_dual_cndmask_b32 v12, v14, v34 :: v_dual_cndmask_b32 v11, v13, v33
	v_cmp_class_f64_e64 vcc_lo, v[7:8], 0x204
	s_delay_alu instid0(VALU_DEP_2) | instskip(SKIP_2) | instid1(VALU_DEP_3)
	v_add_f64 v[13:14], -v[11:12], s[80:81]
	v_add_f64 v[5:6], v[51:52], v[5:6]
	v_add_f64 v[9:10], v[55:56], v[9:10]
	v_cndmask_b32_e64 v11, v11, v13, s3
	s_delay_alu instid0(VALU_DEP_3)
	v_dual_cndmask_b32 v5, v5, v7 :: v_dual_cndmask_b32 v6, v6, v8
	v_cmp_neq_f64_e32 vcc_lo, 0, v[7:8]
	v_and_b32_e32 v18, 0x54442d18, v15
	v_cndmask_b32_e64 v7, v9, v3, s2
	v_cndmask_b32_e64 v8, v10, v4, s2
	v_cmp_neq_f64_e64 s2, 0, v[3:4]
	v_cndmask_b32_e64 v3, 0x3fe921fb, v32, s3
	v_and_b32_e32 v4, 0x400921fb, v15
	v_cndmask_b32_e64 v9, v12, v14, s3
	v_cndmask_b32_e64 v10, v11, v18, s4
	s_and_b32 s3, s6, s7
	v_bfi_b32 v3, 0x7fffffff, v3, v40
	s_delay_alu instid0(VALU_DEP_3) | instskip(NEXT) | instid1(VALU_DEP_3)
	v_cndmask_b32_e64 v4, v9, v4, s4
	v_cndmask_b32_e64 v10, v10, v16, s3
	s_delay_alu instid0(VALU_DEP_2)
	v_cndmask_b32_e64 v9, v4, v3, s3
	v_cmp_o_f64_e64 s3, v[1:2], v[39:40]
	v_cndmask_b32_e32 v1, 0, v5, vcc_lo
	v_cndmask_b32_e32 v2, 0xfff00000, v6, vcc_lo
	v_cndmask_b32_e64 v4, 0xfff00000, v8, s2
	v_cndmask_b32_e64 v3, 0, v7, s2
	s_delay_alu instid0(VALU_DEP_1) | instskip(SKIP_2) | instid1(VALU_DEP_2)
	v_add_f64 v[1:2], v[1:2], -v[3:4]
	v_cndmask_b32_e64 v4, 0x7ff80000, v9, s3
	v_cndmask_b32_e64 v3, 0, v10, s3
	v_bfi_b32 v4, 0x7fffffff, v4, v40
	s_delay_alu instid0(VALU_DEP_1) | instskip(SKIP_1) | instid1(VALU_DEP_1)
	v_mul_f64 v[3:4], v[3:4], 0.5
	v_ldexp_f64 v[5:6], v[1:2], -2
	v_fma_f64 v[1:2], 0x80000000, v[5:6], v[3:4]
	v_fma_f64 v[3:4], 0x80000000, v[3:4], -v[5:6]
	v_add_co_u32 v5, vcc_lo, s33, v21
	v_add_co_ci_u32_e32 v6, vcc_lo, s84, v22, vcc_lo
	global_store_b128 v[5:6], v[1:4], off offset:-8
	s_branch .LBB74_3
.LBB74_20:
	s_cbranch_execz .LBB74_22
	s_branch .LBB74_25
.LBB74_21:
.LBB74_22:
	s_waitcnt vmcnt(0)
	v_dual_mov_b32 v16, 0 :: v_dual_lshlrev_b32 v1, 2, v0
	s_mov_b32 s33, 0
	s_mov_b32 s2, exec_lo
	s_delay_alu instid0(VALU_DEP_1) | instskip(NEXT) | instid1(VALU_DEP_1)
	v_mov_b32_e32 v2, v16
	v_cmpx_gt_i64_e64 s[14:15], v[1:2]
	s_cbranch_execz .LBB74_25
; %bb.23:
	s_load_b32 s0, s[0:1], 0xd3c
	v_lshlrev_b32_e32 v1, 6, v0
	v_dual_mov_b32 v19, v16 :: v_dual_mov_b32 v76, 0x7f3321d2
	s_mov_b32 s16, 0x55555555
	v_mov_b32_e32 v77, 0x4002d97c
	s_mov_b32 s17, 0x3fe55555
	s_mov_b32 s18, 0x6b47b09a
	;; [unrolled: 1-line block ×14, first 2 shown]
	s_waitcnt lgkmcnt(0)
	s_and_b32 s0, s0, 0xffff
	s_mov_b32 s46, 0xa57d9582
	s_lshl_b32 s80, s0, 2
	s_add_u32 s1, s8, s10
	v_add_lshl_u32 v18, v0, s0, 2
	s_addc_u32 s2, s9, s11
	s_lshl_b32 s81, s0, 6
	v_add_co_u32 v20, s0, s1, v1
	s_delay_alu instid0(VALU_DEP_1)
	v_add_co_ci_u32_e64 v21, null, s2, 0, s0
	s_mov_b32 s48, 0x5f08b19f
	s_mov_b32 s50, 0xfc27006a
	;; [unrolled: 1-line block ×47, first 2 shown]
.LBB74_24:                              ; =>This Inner Loop Header: Depth=1
	s_clause 0x3
	global_load_b128 v[4:7], v[20:21], off
	global_load_b128 v[0:3], v[20:21], off offset:16
	global_load_b128 v[12:15], v[20:21], off offset:32
	global_load_b128 v[8:11], v[20:21], off offset:48
	s_mov_b32 s12, s76
	s_waitcnt vmcnt(3)
	v_fma_f64 v[22:23], v[6:7], 0, v[4:5]
	v_fma_f64 v[24:25], v[4:5], 0, -v[6:7]
	s_waitcnt vmcnt(2)
	v_fma_f64 v[26:27], v[2:3], 0, v[0:1]
	v_fma_f64 v[0:1], v[0:1], 0, -v[2:3]
	;; [unrolled: 3-line block ×3, first 2 shown]
	s_waitcnt vmcnt(0)
	v_fma_f64 v[42:43], v[10:11], 0, v[8:9]
	v_mul_f64 v[6:7], v[22:23], v[22:23]
	v_add_f64 v[2:3], -v[24:25], 1.0
	v_add_f64 v[32:33], v[24:25], 1.0
	v_mul_f64 v[28:29], v[26:27], v[26:27]
	v_add_f64 v[30:31], v[0:1], 1.0
	v_add_f64 v[12:13], -v[0:1], 1.0
	v_add_f64 v[38:39], -v[14:15], 1.0
	v_mul_f64 v[46:47], v[42:43], v[42:43]
	v_fma_f64 v[44:45], -v[0:1], v[0:1], 1.0
	v_add_f64 v[0:1], v[22:23], v[22:23]
	v_fma_f64 v[56:57], -v[14:15], v[14:15], 1.0
	v_fma_f64 v[4:5], v[2:3], v[2:3], v[6:7]
	v_fma_f64 v[6:7], v[32:33], v[32:33], v[6:7]
	v_add_f64 v[32:33], v[14:15], 1.0
	v_fma_f64 v[2:3], v[30:31], v[30:31], v[28:29]
	v_fma_f64 v[30:31], v[8:9], 0, -v[10:11]
	v_fma_f64 v[8:9], -v[24:25], v[24:25], 1.0
	v_mul_f64 v[24:25], v[34:35], v[34:35]
	v_fma_f64 v[10:11], v[12:13], v[12:13], v[28:29]
	v_add_f64 v[14:15], v[26:27], v[26:27]
	v_cmp_eq_f64_e64 s10, 0, v[0:1]
	v_cmp_class_f64_e64 s87, v[0:1], 0x204
	v_frexp_mant_f64_e32 v[36:37], v[4:5]
	v_frexp_mant_f64_e32 v[40:41], v[6:7]
	v_frexp_exp_i32_f64_e32 v60, v[4:5]
	v_frexp_mant_f64_e32 v[28:29], v[2:3]
	v_add_f64 v[48:49], v[30:31], 1.0
	v_add_f64 v[50:51], -v[30:31], 1.0
	v_fma_f64 v[12:13], v[32:33], v[32:33], v[24:25]
	v_frexp_exp_i32_f64_e32 v62, v[2:3]
	v_fma_f64 v[24:25], v[38:39], v[38:39], v[24:25]
	v_frexp_mant_f64_e32 v[52:53], v[10:11]
	v_fma_f64 v[8:9], -v[22:23], v[22:23], v[8:9]
	v_fma_f64 v[58:59], -v[30:31], v[30:31], 1.0
	v_fma_f64 v[30:31], -v[26:27], v[26:27], v[44:45]
	v_add_f64 v[26:27], v[34:35], v[34:35]
	v_cmp_class_f64_e64 s6, v[10:11], 0x204
	v_cmp_eq_f64_e64 s11, 0, v[14:15]
	v_cmp_class_f64_e64 s85, v[14:15], 0x204
	v_cmp_gt_f64_e32 vcc_lo, s[16:17], v[36:37]
	v_cmp_gt_f64_e64 s0, s[16:17], v[40:41]
	v_cmp_gt_f64_e64 s1, s[16:17], v[28:29]
	v_fma_f64 v[32:33], v[48:49], v[48:49], v[46:47]
	v_fma_f64 v[22:23], v[50:51], v[50:51], v[46:47]
	v_frexp_mant_f64_e32 v[50:51], v[12:13]
	v_frexp_exp_i32_f64_e32 v48, v[10:11]
	v_cmp_class_f64_e64 s7, v[12:13], 0x204
	v_cmp_class_f64_e64 s8, v[24:25], 0x204
	v_max_f64 v[38:39], |v[8:9]|, |v[0:1]|
	v_cmp_class_f64_e64 s89, v[8:9], 0x204
	v_max_f64 v[44:45], |v[30:31]|, |v[14:15]|
	v_min_f64 v[46:47], |v[30:31]|, |v[14:15]|
	v_cmp_class_f64_e64 s83, v[26:27], 0x204
	v_cmp_class_f64_e64 s88, v[30:31], 0x204
	v_cmp_gt_i32_e64 s4, 0, v31
	v_subrev_co_ci_u32_e64 v79, s2, 0, v60, vcc_lo
	v_cndmask_b32_e64 v17, 0x3ff00000, 2.0, s0
	v_frexp_mant_f64_e32 v[60:61], v[24:25]
	v_frexp_exp_i32_f64_e32 v83, v[32:33]
	v_frexp_exp_i32_f64_e32 v105, v[22:23]
	v_cmp_class_f64_e64 s9, v[32:33], 0x204
	v_mul_f64 v[54:55], v[40:41], v[16:17]
	v_cndmask_b32_e64 v17, 0x3ff00000, 2.0, vcc_lo
	v_subrev_co_ci_u32_e64 v78, vcc_lo, 0, v62, s1
	v_cmp_gt_f64_e32 vcc_lo, s[16:17], v[52:53]
	v_min_f64 v[40:41], |v[8:9]|, |v[0:1]|
	s_delay_alu instid0(VALU_DEP_4)
	v_mul_f64 v[62:63], v[36:37], v[16:17]
	v_cndmask_b32_e64 v17, 0x3ff00000, 2.0, s1
	v_fma_f64 v[36:37], -v[34:35], v[34:35], v[56:57]
	v_fma_f64 v[34:35], -v[42:43], v[42:43], v[58:59]
	v_cmp_gt_f64_e64 s1, s[16:17], v[50:51]
	v_frexp_exp_i32_f64_e32 v58, v[12:13]
	v_mul_f64 v[64:65], v[28:29], v[16:17]
	v_add_f64 v[28:29], v[42:43], v[42:43]
	v_frexp_mant_f64_e32 v[42:43], v[32:33]
	v_frexp_mant_f64_e32 v[56:57], v[22:23]
	v_frexp_exp_i32_f64_e32 v59, v[24:25]
	v_div_scale_f64 v[91:92], null, v[44:45], v[44:45], v[46:47]
	v_cmp_gt_f64_e64 s2, s[16:17], v[60:61]
	v_add_f64 v[72:73], v[54:55], 1.0
	v_add_f64 v[135:136], v[54:55], -1.0
	v_cndmask_b32_e64 v17, 0x3ff00000, 2.0, vcc_lo
	v_div_scale_f64 v[74:75], null, v[38:39], v[38:39], v[40:41]
	v_add_f64 v[85:86], v[62:63], 1.0
	v_subrev_co_ci_u32_e64 v82, s3, 0, v48, vcc_lo
	s_delay_alu instid0(VALU_DEP_4)
	v_mul_f64 v[87:88], v[52:53], v[16:17]
	v_cndmask_b32_e64 v17, 0x3ff00000, 2.0, s1
	v_add_f64 v[89:90], v[64:65], 1.0
	v_subrev_co_ci_u32_e64 v80, s3, 0, v58, s1
	v_cmp_gt_f64_e32 vcc_lo, s[16:17], v[42:43]
	v_cmp_gt_f64_e64 s1, s[16:17], v[56:57]
	v_mul_f64 v[93:94], v[50:51], v[16:17]
	v_max_f64 v[48:49], |v[36:37]|, |v[26:27]|
	v_min_f64 v[66:67], |v[36:37]|, |v[26:27]|
	v_max_f64 v[68:69], |v[34:35]|, |v[28:29]|
	v_min_f64 v[70:71], |v[34:35]|, |v[28:29]|
	v_add_f64 v[147:148], v[62:63], -1.0
	v_add_f64 v[149:150], v[64:65], -1.0
	v_cmp_gt_i32_e64 s5, 0, v37
	v_cmp_class_f64_e64 s86, v[36:37], 0x204
	v_cmp_class_f64_e64 s82, v[28:29], 0x204
	;; [unrolled: 1-line block ×3, first 2 shown]
	v_cndmask_b32_e64 v17, 0x3ff00000, 2.0, s2
	v_subrev_co_ci_u32_e64 v81, s3, 0, v59, s2
	v_rcp_f64_e32 v[52:53], v[72:73]
	s_delay_alu instid0(VALU_DEP_2)
	v_mul_f64 v[60:61], v[60:61], v[16:17]
	v_rcp_f64_e32 v[50:51], v[74:75]
	v_rcp_f64_e32 v[58:59], v[85:86]
	v_add_f64 v[95:96], v[87:88], 1.0
	v_rcp_f64_e32 v[97:98], v[89:90]
	v_cndmask_b32_e64 v17, 0x3ff00000, 2.0, vcc_lo
	v_subrev_co_ci_u32_e64 v84, s2, 0, v83, vcc_lo
	v_subrev_co_ci_u32_e64 v83, vcc_lo, 0, v105, s1
	s_delay_alu instid0(VALU_DEP_3) | instskip(SKIP_4) | instid1(VALU_DEP_3)
	v_mul_f64 v[42:43], v[42:43], v[16:17]
	v_cndmask_b32_e64 v17, 0x3ff00000, 2.0, s1
	v_rcp_f64_e32 v[105:106], v[91:92]
	v_div_scale_f64 v[101:102], null, v[48:49], v[48:49], v[66:67]
	v_div_scale_f64 v[103:104], null, v[68:69], v[68:69], v[70:71]
	v_mul_f64 v[107:108], v[56:57], v[16:17]
	v_add_f64 v[109:110], v[93:94], 1.0
	v_div_scale_f64 v[145:146], vcc_lo, v[40:41], v[38:39], v[40:41]
	v_frexp_exp_i32_f64_e32 v17, v[6:7]
	v_add_f64 v[111:112], v[60:61], 1.0
	v_fma_f64 v[99:100], -v[72:73], v[52:53], 1.0
	v_fma_f64 v[56:57], -v[74:75], v[50:51], 1.0
	s_delay_alu instid0(TRANS32_DEP_3) | instskip(SKIP_1) | instid1(TRANS32_DEP_3)
	v_fma_f64 v[115:116], -v[85:86], v[58:59], 1.0
	v_rcp_f64_e32 v[113:114], v[95:96]
	v_fma_f64 v[117:118], -v[89:90], v[97:98], 1.0
	v_add_f64 v[123:124], v[42:43], 1.0
	s_delay_alu instid0(TRANS32_DEP_2)
	v_fma_f64 v[121:122], -v[91:92], v[105:106], 1.0
	v_rcp_f64_e32 v[119:120], v[103:104]
	v_add_f64 v[125:126], v[107:108], 1.0
	v_add_f64 v[157:158], v[109:110], -1.0
	v_rcp_f64_e32 v[127:128], v[111:112]
	v_fma_f64 v[52:53], v[99:100], v[52:53], v[52:53]
	v_rcp_f64_e32 v[99:100], v[101:102]
	v_add_f64 v[159:160], v[111:112], -1.0
	v_fma_f64 v[50:51], v[50:51], v[56:57], v[50:51]
	v_rcp_f64_e32 v[56:57], v[109:110]
	v_fma_f64 v[58:59], v[115:116], v[58:59], v[58:59]
	v_fma_f64 v[115:116], -v[95:96], v[113:114], 1.0
	v_fma_f64 v[97:98], v[117:118], v[97:98], v[97:98]
	v_fma_f64 v[105:106], v[105:106], v[121:122], v[105:106]
	v_rcp_f64_e32 v[121:122], v[123:124]
	v_rcp_f64_e32 v[133:134], v[125:126]
	v_fma_f64 v[131:132], -v[103:104], v[119:120], 1.0
	v_fma_f64 v[117:118], -v[72:73], v[52:53], 1.0
	;; [unrolled: 1-line block ×3, first 2 shown]
	v_add_f64 v[159:160], v[60:61], -v[159:160]
	v_fma_f64 v[129:130], -v[101:102], v[99:100], 1.0
	v_fma_f64 v[137:138], -v[74:75], v[50:51], 1.0
	;; [unrolled: 1-line block ×3, first 2 shown]
	s_delay_alu instid0(TRANS32_DEP_3) | instskip(SKIP_3) | instid1(TRANS32_DEP_2)
	v_fma_f64 v[139:140], -v[109:110], v[56:57], 1.0
	v_fma_f64 v[113:114], v[115:116], v[113:114], v[113:114]
	v_fma_f64 v[115:116], -v[89:90], v[97:98], 1.0
	v_fma_f64 v[151:152], -v[91:92], v[105:106], 1.0
	;; [unrolled: 1-line block ×3, first 2 shown]
	v_fma_f64 v[119:120], v[119:120], v[131:132], v[119:120]
	v_add_f64 v[131:132], v[89:90], -1.0
	s_delay_alu instid0(TRANS32_DEP_1)
	v_fma_f64 v[155:156], -v[125:126], v[133:134], 1.0
	v_fma_f64 v[117:118], v[117:118], v[52:53], v[52:53]
	v_fma_f64 v[127:128], v[141:142], v[127:128], v[127:128]
	v_add_f64 v[52:53], v[72:73], -1.0
	v_fma_f64 v[99:100], v[99:100], v[129:130], v[99:100]
	v_add_f64 v[129:130], v[85:86], -1.0
	v_fma_f64 v[137:138], v[50:51], v[137:138], v[50:51]
	v_fma_f64 v[56:57], v[139:140], v[56:57], v[56:57]
	;; [unrolled: 1-line block ×3, first 2 shown]
	v_fma_f64 v[141:142], -v[95:96], v[113:114], 1.0
	v_fma_f64 v[97:98], v[115:116], v[97:98], v[97:98]
	v_div_scale_f64 v[115:116], s1, v[46:47], v[44:45], v[46:47]
	v_fma_f64 v[105:106], v[105:106], v[151:152], v[105:106]
	v_fma_f64 v[121:122], v[153:154], v[121:122], v[121:122]
	v_add_f64 v[153:154], v[87:88], -1.0
	v_add_f64 v[64:65], v[64:65], -v[131:132]
	v_fma_f64 v[163:164], -v[103:104], v[119:120], 1.0
	v_mul_f64 v[50:51], v[135:136], v[117:118]
	v_fma_f64 v[151:152], -v[111:112], v[127:128], 1.0
	v_add_f64 v[143:144], v[54:55], -v[52:53]
	v_fma_f64 v[161:162], -v[101:102], v[99:100], 1.0
	v_add_f64 v[62:63], v[62:63], -v[129:130]
	v_fma_f64 v[129:130], v[155:156], v[133:134], v[133:134]
	v_mul_f64 v[131:132], v[145:146], v[137:138]
	v_add_f64 v[54:55], v[95:96], -1.0
	v_fma_f64 v[133:134], -v[109:110], v[56:57], 1.0
	v_mul_f64 v[58:59], v[147:148], v[139:140]
	v_fma_f64 v[113:114], v[141:142], v[113:114], v[113:114]
	v_add_f64 v[155:156], v[93:94], -1.0
	v_mul_f64 v[52:53], v[149:150], v[97:98]
	v_add_f64 v[93:94], v[93:94], -v[157:158]
	v_add_f64 v[157:158], v[60:61], -1.0
	v_fma_f64 v[119:120], v[119:120], v[163:164], v[119:120]
	v_mul_f64 v[141:142], v[72:73], v[50:51]
	v_fma_f64 v[127:128], v[151:152], v[127:128], v[127:128]
	v_fma_f64 v[99:100], v[99:100], v[161:162], v[99:100]
	v_mul_f64 v[161:162], v[115:116], v[105:106]
	v_fma_f64 v[163:164], -v[125:126], v[129:130], 1.0
	v_fma_f64 v[145:146], -v[74:75], v[131:132], v[145:146]
	v_add_f64 v[87:88], v[87:88], -v[54:55]
	v_fma_f64 v[133:134], v[133:134], v[56:57], v[56:57]
	v_mul_f64 v[74:75], v[85:86], v[58:59]
	v_mul_f64 v[60:61], v[153:154], v[113:114]
	v_fma_f64 v[54:55], -v[123:124], v[121:122], 1.0
	v_mul_f64 v[151:152], v[89:90], v[52:53]
	v_fma_f64 v[72:73], v[50:51], v[72:73], -v[141:142]
	v_fma_f64 v[91:92], -v[91:92], v[161:162], v[115:116]
	v_add_f64 v[115:116], v[123:124], -1.0
	v_fma_f64 v[129:130], v[163:164], v[129:130], v[129:130]
	v_mul_f64 v[56:57], v[155:156], v[133:134]
	v_fma_f64 v[85:86], v[58:59], v[85:86], -v[74:75]
	v_fma_f64 v[121:122], v[54:55], v[121:122], v[121:122]
	v_fma_f64 v[89:90], v[52:53], v[89:90], -v[151:152]
	v_mul_f64 v[54:55], v[157:158], v[127:128]
	v_fma_f64 v[72:73], v[50:51], v[143:144], v[72:73]
	v_mul_f64 v[143:144], v[95:96], v[60:61]
	v_add_f64 v[115:116], v[42:43], -v[115:116]
	v_add_f64 v[42:43], v[42:43], -1.0
	v_mul_f64 v[163:164], v[109:110], v[56:57]
	v_fma_f64 v[85:86], v[58:59], v[62:63], v[85:86]
	v_fma_f64 v[89:90], v[52:53], v[64:65], v[89:90]
	v_mul_f64 v[165:166], v[111:112], v[54:55]
	v_fma_f64 v[62:63], v[60:61], v[95:96], -v[143:144]
	v_fma_f64 v[64:65], v[56:57], v[109:110], -v[163:164]
	s_delay_alu instid0(VALU_DEP_3) | instskip(NEXT) | instid1(VALU_DEP_3)
	v_fma_f64 v[95:96], v[54:55], v[111:112], -v[165:166]
	v_fma_f64 v[87:88], v[60:61], v[87:88], v[62:63]
	v_mul_f64 v[62:63], v[42:43], v[121:122]
	s_delay_alu instid0(VALU_DEP_4) | instskip(SKIP_2) | instid1(VALU_DEP_4)
	v_fma_f64 v[93:94], v[56:57], v[93:94], v[64:65]
	v_add_f64 v[64:65], v[125:126], -1.0
	v_fma_f64 v[95:96], v[54:55], v[159:160], v[95:96]
	v_mul_f64 v[109:110], v[123:124], v[62:63]
	s_delay_alu instid0(VALU_DEP_3) | instskip(SKIP_1) | instid1(VALU_DEP_3)
	v_add_f64 v[111:112], v[107:108], -v[64:65]
	v_add_f64 v[107:108], v[107:108], -1.0
	v_fma_f64 v[64:65], v[62:63], v[123:124], -v[109:110]
	s_delay_alu instid0(VALU_DEP_1) | instskip(NEXT) | instid1(VALU_DEP_3)
	v_fma_f64 v[115:116], v[62:63], v[115:116], v[64:65]
	v_mul_f64 v[64:65], v[107:108], v[129:130]
	s_delay_alu instid0(VALU_DEP_1) | instskip(NEXT) | instid1(VALU_DEP_1)
	v_mul_f64 v[123:124], v[125:126], v[64:65]
	v_fma_f64 v[125:126], v[64:65], v[125:126], -v[123:124]
	s_delay_alu instid0(VALU_DEP_1) | instskip(SKIP_1) | instid1(VALU_DEP_1)
	v_fma_f64 v[111:112], v[64:65], v[111:112], v[125:126]
	v_add_f64 v[125:126], v[141:142], v[72:73]
	v_add_f64 v[141:142], v[125:126], -v[141:142]
	s_delay_alu instid0(VALU_DEP_1) | instskip(SKIP_1) | instid1(VALU_DEP_1)
	v_add_f64 v[72:73], v[141:142], -v[72:73]
	v_add_f64 v[141:142], v[74:75], v[85:86]
	v_add_f64 v[74:75], v[141:142], -v[74:75]
	s_delay_alu instid0(VALU_DEP_1) | instskip(SKIP_1) | instid1(VALU_DEP_1)
	v_add_f64 v[74:75], v[74:75], -v[85:86]
	v_add_f64 v[85:86], v[135:136], -v[125:126]
	;; [unrolled: 1-line block ×3, first 2 shown]
	s_delay_alu instid0(VALU_DEP_1) | instskip(SKIP_1) | instid1(VALU_DEP_2)
	v_add_f64 v[125:126], v[135:136], -v[125:126]
	v_add_f64 v[135:136], v[151:152], v[89:90]
	v_add_f64 v[72:73], v[72:73], v[125:126]
	s_delay_alu instid0(VALU_DEP_2) | instskip(SKIP_1) | instid1(VALU_DEP_3)
	v_add_f64 v[151:152], v[135:136], -v[151:152]
	v_add_f64 v[125:126], v[149:150], -v[135:136]
	v_add_f64 v[72:73], v[85:86], v[72:73]
	s_delay_alu instid0(VALU_DEP_3) | instskip(SKIP_2) | instid1(VALU_DEP_2)
	v_add_f64 v[89:90], v[151:152], -v[89:90]
	v_add_f64 v[151:152], v[143:144], v[87:88]
	v_div_scale_f64 v[85:86], s3, v[70:71], v[68:69], v[70:71]
	v_add_f64 v[143:144], v[151:152], -v[143:144]
	s_delay_alu instid0(VALU_DEP_1) | instskip(SKIP_1) | instid1(VALU_DEP_1)
	v_add_f64 v[87:88], v[143:144], -v[87:88]
	v_add_f64 v[143:144], v[163:164], v[93:94]
	v_add_f64 v[159:160], v[143:144], -v[163:164]
	s_delay_alu instid0(VALU_DEP_1) | instskip(SKIP_1) | instid1(VALU_DEP_1)
	v_add_f64 v[93:94], v[159:160], -v[93:94]
	v_add_f64 v[159:160], v[165:166], v[95:96]
	;; [unrolled: 4-line block ×4, first 2 shown]
	v_add_f64 v[123:124], v[115:116], -v[123:124]
	s_delay_alu instid0(VALU_DEP_1) | instskip(SKIP_1) | instid1(VALU_DEP_1)
	v_add_f64 v[111:112], v[123:124], -v[111:112]
	v_add_f64 v[123:124], v[147:148], -v[141:142]
	v_add_f64 v[147:148], v[147:148], -v[123:124]
	s_delay_alu instid0(VALU_DEP_1) | instskip(SKIP_1) | instid1(VALU_DEP_2)
	v_add_f64 v[141:142], v[147:148], -v[141:142]
	v_add_f64 v[147:148], v[149:150], -v[125:126]
	v_add_f64 v[74:75], v[74:75], v[141:142]
	s_delay_alu instid0(VALU_DEP_2) | instskip(SKIP_2) | instid1(VALU_DEP_3)
	v_add_f64 v[135:136], v[147:148], -v[135:136]
	v_add_f64 v[147:148], v[153:154], -v[151:152]
	v_div_scale_f64 v[141:142], s2, v[66:67], v[48:49], v[66:67]
	v_add_f64 v[89:90], v[89:90], v[135:136]
	s_delay_alu instid0(VALU_DEP_3) | instskip(NEXT) | instid1(VALU_DEP_3)
	v_add_f64 v[149:150], v[153:154], -v[147:148]
	v_mul_f64 v[135:136], v[141:142], v[99:100]
	s_delay_alu instid0(VALU_DEP_3) | instskip(NEXT) | instid1(VALU_DEP_3)
	v_add_f64 v[89:90], v[125:126], v[89:90]
	v_add_f64 v[149:150], v[149:150], -v[151:152]
	v_add_f64 v[151:152], v[155:156], -v[143:144]
	s_delay_alu instid0(VALU_DEP_4) | instskip(NEXT) | instid1(VALU_DEP_4)
	v_fma_f64 v[101:102], -v[101:102], v[135:136], v[141:142]
	v_mul_f64 v[89:90], v[97:98], v[89:90]
	s_delay_alu instid0(VALU_DEP_4) | instskip(NEXT) | instid1(VALU_DEP_4)
	v_add_f64 v[87:88], v[87:88], v[149:150]
	v_add_f64 v[153:154], v[155:156], -v[151:152]
	v_mul_f64 v[149:150], v[85:86], v[119:120]
	s_delay_alu instid0(VALU_DEP_3) | instskip(NEXT) | instid1(VALU_DEP_3)
	v_add_f64 v[87:88], v[147:148], v[87:88]
	v_add_f64 v[143:144], v[153:154], -v[143:144]
	v_add_f64 v[153:154], v[157:158], -v[159:160]
	s_delay_alu instid0(VALU_DEP_4)
	v_fma_f64 v[85:86], -v[103:104], v[149:150], v[85:86]
	v_div_fmas_f64 v[103:104], v[145:146], v[137:138], v[131:132]
	s_mov_b32 vcc_lo, s1
	v_cmp_lt_f64_e64 s1, |v[36:37]|, |v[26:27]|
	v_div_fmas_f64 v[91:92], v[91:92], v[105:106], v[161:162]
	s_mov_b32 vcc_lo, s2
	v_cmp_lt_f64_e64 s2, |v[34:35]|, |v[28:29]|
	v_div_fmas_f64 v[99:100], v[101:102], v[99:100], v[135:136]
	s_mov_b32 vcc_lo, s3
	v_cmp_gt_i32_e64 s3, 0, v9
	v_mul_f64 v[87:88], v[113:114], v[87:88]
	v_add_f64 v[93:94], v[93:94], v[143:144]
	v_add_f64 v[155:156], v[157:158], -v[153:154]
	v_add_f64 v[157:158], v[42:43], -v[163:164]
	v_div_fmas_f64 v[85:86], v[85:86], v[119:120], v[149:150]
	v_cvt_f64_i32_e32 v[143:144], v79
	v_cvt_f64_i32_e32 v[78:79], v78
	v_subrev_co_ci_u32_e64 v17, vcc_lo, 0, v17, s0
	v_cmp_lt_f64_e64 vcc_lo, |v[8:9]|, |v[0:1]|
	v_cmp_lt_f64_e64 s0, |v[30:31]|, |v[14:15]|
	v_add_f64 v[155:156], v[155:156], -v[159:160]
	v_add_f64 v[159:160], v[107:108], -v[115:116]
	;; [unrolled: 1-line block ×3, first 2 shown]
	s_delay_alu instid0(VALU_DEP_3) | instskip(NEXT) | instid1(VALU_DEP_3)
	v_add_f64 v[95:96], v[95:96], v[155:156]
	v_add_f64 v[107:108], v[107:108], -v[159:160]
	s_delay_alu instid0(VALU_DEP_3)
	v_add_f64 v[42:43], v[42:43], -v[163:164]
	v_mul_f64 v[155:156], v[78:79], s[30:31]
	v_cvt_f64_i32_e32 v[163:164], v17
	v_ashrrev_i32_e32 v17, 31, v9
	v_add_f64 v[107:108], v[107:108], -v[115:116]
	v_add_f64 v[115:116], v[123:124], v[74:75]
	v_mul_f64 v[74:75], v[117:118], v[72:73]
	v_add_f64 v[105:106], v[109:110], v[42:43]
	v_div_fixup_f64 v[42:43], v[103:104], v[38:39], v[40:41]
	v_div_fixup_f64 v[38:39], v[91:92], v[44:45], v[46:47]
	v_add_f64 v[91:92], v[151:152], v[93:94]
	v_add_f64 v[93:94], v[153:154], v[95:96]
	v_div_fixup_f64 v[44:45], v[99:100], v[48:49], v[66:67]
	v_div_fixup_f64 v[40:41], v[85:86], v[68:69], v[70:71]
	v_mul_f64 v[153:154], v[143:144], s[30:31]
	v_fma_f64 v[161:162], v[78:79], s[30:31], -v[155:156]
	v_add_f64 v[107:108], v[111:112], v[107:108]
	v_mul_f64 v[72:73], v[139:140], v[115:116]
	v_add_f64 v[109:110], v[50:51], v[74:75]
	v_add_f64 v[95:96], v[157:158], v[105:106]
	v_mul_f64 v[46:47], v[42:43], v[42:43]
	v_mul_f64 v[48:49], v[38:39], v[38:39]
	;; [unrolled: 1-line block ×4, first 2 shown]
	v_add_f64 v[93:94], v[52:53], v[89:90]
	v_mul_f64 v[66:67], v[44:45], v[44:45]
	v_mul_f64 v[68:69], v[40:41], v[40:41]
	v_fma_f64 v[157:158], v[143:144], s[30:31], -v[153:154]
	v_fma_f64 v[78:79], v[78:79], s[34:35], v[161:162]
	v_add_f64 v[97:98], v[159:160], v[107:108]
	v_add_f64 v[101:102], v[58:59], v[72:73]
	v_mul_f64 v[103:104], v[109:110], v[109:110]
	v_mul_f64 v[91:92], v[121:122], v[95:96]
	v_add_f64 v[95:96], v[60:61], v[87:88]
	v_fma_f64 v[111:112], v[48:49], s[38:39], s[36:37]
	v_add_f64 v[113:114], v[56:57], v[70:71]
	v_add_f64 v[115:116], v[54:55], v[85:86]
	v_mul_f64 v[119:120], v[93:94], v[93:94]
	v_fma_f64 v[107:108], v[46:47], s[38:39], s[36:37]
	v_fma_f64 v[127:128], v[66:67], s[38:39], s[36:37]
	v_cvt_f64_i32_e32 v[159:160], v82
	v_fma_f64 v[143:144], v[143:144], s[34:35], v[157:158]
	v_add_f64 v[50:51], v[109:110], -v[50:51]
	v_add_f64 v[52:53], v[93:94], -v[52:53]
	v_cvt_f64_i32_e32 v[82:83], v83
	v_mul_f64 v[97:98], v[129:130], v[97:98]
	v_mul_f64 v[99:100], v[101:102], v[101:102]
	v_fma_f64 v[105:106], v[103:104], s[20:21], s[18:19]
	v_add_f64 v[117:118], v[62:63], v[91:92]
	v_mul_f64 v[121:122], v[95:96], v[95:96]
	v_fma_f64 v[129:130], v[68:69], s[38:39], s[36:37]
	v_mul_f64 v[131:132], v[113:114], v[113:114]
	v_mul_f64 v[133:134], v[115:116], v[115:116]
	v_fma_f64 v[111:112], v[48:49], v[111:112], s[40:41]
	v_fma_f64 v[137:138], v[119:120], s[20:21], s[18:19]
	;; [unrolled: 1-line block ×4, first 2 shown]
	v_mul_f64 v[157:158], v[159:160], s[30:31]
	v_add_f64 v[58:59], v[101:102], -v[58:59]
	v_add_f64 v[50:51], v[74:75], -v[50:51]
	v_cvt_f64_i32_e32 v[74:75], v80
	v_cvt_f64_i32_e32 v[80:81], v81
	v_add_f64 v[60:61], v[95:96], -v[60:61]
	v_add_f64 v[56:57], v[113:114], -v[56:57]
	;; [unrolled: 1-line block ×4, first 2 shown]
	v_add_f64 v[123:124], v[64:65], v[97:98]
	v_fma_f64 v[125:126], v[99:100], s[20:21], s[18:19]
	v_fma_f64 v[105:106], v[103:104], v[105:106], s[22:23]
	v_mul_f64 v[135:136], v[117:118], v[117:118]
	v_fma_f64 v[139:140], v[121:122], s[20:21], s[18:19]
	v_fma_f64 v[129:130], v[68:69], v[129:130], s[40:41]
	;; [unrolled: 1-line block ×8, first 2 shown]
	v_mul_f64 v[161:162], v[101:102], v[99:100]
	v_add_f64 v[62:63], v[117:118], -v[62:63]
	v_ldexp_f64 v[50:51], v[50:51], 1
	v_add_f64 v[58:59], v[72:73], -v[58:59]
	v_add_f64 v[60:61], v[87:88], -v[60:61]
	;; [unrolled: 1-line block ×4, first 2 shown]
	v_ldexp_f64 v[52:53], v[52:53], 1
	v_mul_f64 v[141:142], v[123:124], v[123:124]
	v_fma_f64 v[125:126], v[99:100], v[125:126], s[22:23]
	v_fma_f64 v[105:106], v[103:104], v[105:106], s[24:25]
	;; [unrolled: 1-line block ×11, first 2 shown]
	v_add_f64 v[64:65], v[123:124], -v[64:65]
	v_add_f64 v[62:63], v[91:92], -v[62:63]
	v_ldexp_f64 v[58:59], v[58:59], 1
	v_ldexp_f64 v[60:61], v[60:61], 1
	;; [unrolled: 1-line block ×4, first 2 shown]
	v_fma_f64 v[151:152], v[141:142], s[20:21], s[18:19]
	v_fma_f64 v[125:126], v[99:100], v[125:126], s[24:25]
	;; [unrolled: 1-line block ×12, first 2 shown]
	v_add_f64 v[64:65], v[97:98], -v[64:65]
	v_ldexp_f64 v[62:63], v[62:63], 1
	v_fma_f64 v[151:152], v[141:142], v[151:152], s[22:23]
	v_fma_f64 v[125:126], v[99:100], v[125:126], s[26:27]
	;; [unrolled: 1-line block ×12, first 2 shown]
	v_ldexp_f64 v[64:65], v[64:65], 1
	v_fma_f64 v[151:152], v[141:142], v[151:152], s[24:25]
	v_fma_f64 v[125:126], v[99:100], v[125:126], s[28:29]
	;; [unrolled: 1-line block ×3, first 2 shown]
	v_mul_f64 v[103:104], v[109:110], v[103:104]
	v_fma_f64 v[149:150], v[135:136], v[149:150], s[26:27]
	v_fma_f64 v[139:140], v[121:122], v[139:140], s[28:29]
	;; [unrolled: 1-line block ×6, first 2 shown]
	v_mul_f64 v[119:120], v[93:94], v[119:120]
	v_fma_f64 v[107:108], v[46:47], v[107:108], s[50:51]
	v_fma_f64 v[127:128], v[66:67], v[127:128], s[50:51]
	;; [unrolled: 1-line block ×4, first 2 shown]
	v_fma_f64 v[125:126], v[159:160], s[30:31], -v[157:158]
	v_mul_f64 v[103:104], v[103:104], v[105:106]
	v_ldexp_f64 v[105:106], v[109:110], 1
	v_fma_f64 v[109:110], v[133:134], v[147:148], s[28:29]
	v_mul_f64 v[147:148], v[163:164], s[30:31]
	v_fma_f64 v[149:150], v[135:136], v[149:150], s[28:29]
	v_fma_f64 v[139:140], v[121:122], v[139:140], s[78:79]
	v_mul_f64 v[121:122], v[95:96], v[121:122]
	v_fma_f64 v[129:130], v[68:69], v[129:130], s[50:51]
	v_fma_f64 v[111:112], v[48:49], v[111:112], s[52:53]
	v_mul_f64 v[119:120], v[119:120], v[137:138]
	v_ldexp_f64 v[137:138], v[93:94], 1
	v_fma_f64 v[107:108], v[46:47], v[107:108], s[52:53]
	v_cvt_f64_i32_e32 v[93:94], v84
	v_fma_f64 v[127:128], v[66:67], v[127:128], s[52:53]
	v_fma_f64 v[151:152], v[141:142], v[151:152], s[28:29]
	v_mul_f64 v[99:100], v[161:162], v[99:100]
	v_ldexp_f64 v[161:162], v[101:102], 1
	v_fma_f64 v[125:126], v[159:160], s[34:35], v[125:126]
	v_add_f64 v[159:160], v[105:106], v[103:104]
	v_mul_f64 v[101:102], v[113:114], v[131:132]
	v_fma_f64 v[131:132], v[131:132], v[145:146], s[78:79]
	v_mul_f64 v[145:146], v[115:116], v[133:134]
	v_fma_f64 v[109:110], v[133:134], v[109:110], s[78:79]
	v_fma_f64 v[133:134], v[163:164], s[30:31], -v[147:148]
	v_fma_f64 v[149:150], v[135:136], v[149:150], s[78:79]
	v_mul_f64 v[135:136], v[117:118], v[135:136]
	v_mul_f64 v[121:122], v[121:122], v[139:140]
	v_ldexp_f64 v[139:140], v[95:96], 1
	v_fma_f64 v[129:130], v[68:69], v[129:130], s[52:53]
	v_fma_f64 v[111:112], v[48:49], v[111:112], s[54:55]
	;; [unrolled: 1-line block ×5, first 2 shown]
	v_mul_f64 v[141:142], v[123:124], v[141:142]
	v_add_f64 v[95:96], v[161:162], v[99:100]
	v_add_f64 v[105:106], v[159:160], -v[105:106]
	v_mul_f64 v[101:102], v[101:102], v[131:132]
	v_ldexp_f64 v[131:132], v[113:114], 1
	v_mul_f64 v[109:110], v[145:146], v[109:110]
	v_ldexp_f64 v[145:146], v[115:116], 1
	v_fma_f64 v[133:134], v[163:164], s[34:35], v[133:134]
	v_mul_f64 v[135:136], v[135:136], v[149:150]
	v_ldexp_f64 v[149:150], v[117:118], 1
	v_add_f64 v[163:164], v[137:138], v[119:120]
	v_add_f64 v[113:114], v[139:140], v[121:122]
	v_mul_f64 v[115:116], v[74:75], s[30:31]
	v_mul_f64 v[117:118], v[80:81], s[30:31]
	v_fma_f64 v[129:130], v[68:69], v[129:130], s[54:55]
	v_fma_f64 v[111:112], v[48:49], v[111:112], s[56:57]
	;; [unrolled: 1-line block ×4, first 2 shown]
	v_mul_f64 v[141:142], v[141:142], v[151:152]
	v_ldexp_f64 v[151:152], v[123:124], 1
	v_mul_f64 v[123:124], v[93:94], s[30:31]
	v_add_f64 v[161:162], v[95:96], -v[161:162]
	v_add_f64 v[103:104], v[103:104], -v[105:106]
	v_mul_f64 v[105:106], v[82:83], s[30:31]
	v_add_f64 v[72:73], v[131:132], v[101:102]
	v_add_f64 v[89:90], v[145:146], v[109:110]
	;; [unrolled: 1-line block ×3, first 2 shown]
	v_add_f64 v[137:138], v[163:164], -v[137:138]
	v_add_f64 v[139:140], v[113:114], -v[139:140]
	v_fma_f64 v[84:85], v[74:75], s[30:31], -v[115:116]
	v_fma_f64 v[91:92], v[80:81], s[30:31], -v[117:118]
	v_fma_f64 v[129:130], v[68:69], v[129:130], s[56:57]
	v_fma_f64 v[111:112], v[48:49], v[111:112], s[58:59]
	v_fma_f64 v[107:108], v[46:47], v[107:108], s[58:59]
	v_add_f64 v[70:71], v[151:152], v[141:142]
	v_add_f64 v[99:100], v[99:100], -v[161:162]
	v_fma_f64 v[161:162], v[93:94], s[30:31], -v[123:124]
	v_add_f64 v[50:51], v[50:51], v[103:104]
	v_fma_f64 v[103:104], v[82:83], s[30:31], -v[105:106]
	v_add_f64 v[131:132], v[72:73], -v[131:132]
	v_add_f64 v[145:146], v[89:90], -v[145:146]
	;; [unrolled: 1-line block ×5, first 2 shown]
	v_fma_f64 v[74:75], v[74:75], s[34:35], v[84:85]
	v_fma_f64 v[80:81], v[80:81], s[34:35], v[91:92]
	v_add_f64 v[91:92], v[153:154], v[143:144]
	v_fma_f64 v[111:112], v[48:49], v[111:112], s[60:61]
	v_fma_f64 v[107:108], v[46:47], v[107:108], s[60:61]
	v_add_f64 v[97:98], v[70:71], -v[151:152]
	v_add_f64 v[58:59], v[58:59], v[99:100]
	v_fma_f64 v[84:85], v[93:94], s[34:35], v[161:162]
	v_add_f64 v[93:94], v[155:156], v[78:79]
	v_fma_f64 v[82:83], v[82:83], s[34:35], v[103:104]
	v_fma_f64 v[103:104], v[66:67], v[127:128], s[58:59]
	;; [unrolled: 1-line block ×3, first 2 shown]
	v_add_f64 v[101:102], v[101:102], -v[131:132]
	v_add_f64 v[109:110], v[109:110], -v[145:146]
	v_add_f64 v[129:130], v[147:148], v[133:134]
	v_add_f64 v[99:100], v[135:136], -v[149:150]
	v_add_f64 v[131:132], v[159:160], v[50:51]
	v_add_f64 v[52:53], v[52:53], v[119:120]
	;; [unrolled: 1-line block ×6, first 2 shown]
	v_fma_f64 v[111:112], v[48:49], v[111:112], s[62:63]
	v_fma_f64 v[107:108], v[46:47], v[107:108], s[62:63]
	v_add_f64 v[97:98], v[141:142], -v[97:98]
	v_add_f64 v[141:142], v[91:92], -v[153:154]
	v_add_f64 v[137:138], v[123:124], v[84:85]
	v_add_f64 v[139:140], v[105:106], v[82:83]
	v_fma_f64 v[103:104], v[66:67], v[103:104], s[60:61]
	v_fma_f64 v[127:128], v[68:69], v[127:128], s[60:61]
	v_add_f64 v[56:57], v[56:57], v[101:102]
	v_add_f64 v[101:102], v[93:94], -v[155:156]
	v_add_f64 v[54:55], v[54:55], v[109:110]
	v_add_f64 v[109:110], v[95:96], v[58:59]
	;; [unrolled: 1-line block ×6, first 2 shown]
	v_add_f64 v[151:152], v[119:120], -v[157:158]
	v_add_f64 v[153:154], v[131:132], -v[159:160]
	v_fma_f64 v[111:112], v[48:49], v[111:112], s[64:65]
	v_fma_f64 v[107:108], v[46:47], v[107:108], s[64:65]
	v_add_f64 v[64:65], v[64:65], v[97:98]
	v_add_f64 v[97:98], v[121:122], -v[115:116]
	v_add_f64 v[115:116], v[135:136], -v[117:118]
	;; [unrolled: 1-line block ×5, first 2 shown]
	v_fma_f64 v[103:104], v[66:67], v[103:104], s[62:63]
	v_fma_f64 v[127:128], v[68:69], v[127:128], s[62:63]
	v_add_f64 v[141:142], v[143:144], -v[141:142]
	v_add_f64 v[143:144], v[72:73], v[56:57]
	v_add_f64 v[78:79], v[78:79], -v[101:102]
	v_add_f64 v[101:102], v[89:90], v[54:55]
	v_add_f64 v[147:148], v[91:92], v[109:110]
	;; [unrolled: 1-line block ×3, first 2 shown]
	v_add_f64 v[157:158], v[99:100], -v[129:130]
	v_add_f64 v[159:160], v[93:94], v[145:146]
	v_add_f64 v[95:96], v[109:110], -v[95:96]
	v_add_f64 v[161:162], v[119:120], v[149:150]
	v_add_f64 v[125:126], v[125:126], -v[151:152]
	v_add_f64 v[113:114], v[149:150], -v[113:114]
	v_fma_f64 v[111:112], v[48:49], v[111:112], s[66:67]
	v_add_f64 v[50:51], v[50:51], -v[153:154]
	v_fma_f64 v[107:108], v[46:47], v[107:108], s[66:67]
	v_add_f64 v[151:152], v[70:71], v[64:65]
	v_add_f64 v[74:75], v[74:75], -v[97:98]
	v_add_f64 v[80:81], v[80:81], -v[115:116]
	;; [unrolled: 1-line block ×5, first 2 shown]
	v_fma_f64 v[103:104], v[66:67], v[103:104], s[64:65]
	v_fma_f64 v[105:106], v[68:69], v[127:128], s[64:65]
	v_add_f64 v[115:116], v[145:146], -v[163:164]
	v_add_f64 v[72:73], v[143:144], -v[72:73]
	v_add_f64 v[117:118], v[121:122], v[143:144]
	v_add_f64 v[123:124], v[135:136], v[101:102]
	v_add_f64 v[127:128], v[147:148], -v[91:92]
	v_add_f64 v[133:134], v[137:138], v[155:156]
	v_add_f64 v[153:154], v[99:100], -v[157:158]
	v_add_f64 v[163:164], v[159:160], -v[93:94]
	;; [unrolled: 1-line block ×6, first 2 shown]
	v_fma_f64 v[111:112], v[48:49], v[111:112], s[68:69]
	v_add_f64 v[89:90], v[101:102], -v[89:90]
	v_fma_f64 v[107:108], v[46:47], v[107:108], s[68:69]
	v_add_f64 v[86:87], v[155:156], -v[87:88]
	v_add_f64 v[157:158], v[139:140], v[151:152]
	v_add_f64 v[70:71], v[151:152], -v[70:71]
	v_fma_f64 v[103:104], v[66:67], v[103:104], s[66:67]
	v_fma_f64 v[105:106], v[68:69], v[105:106], s[66:67]
	v_add_f64 v[52:53], v[52:53], -v[115:116]
	v_add_f64 v[56:57], v[56:57], -v[72:73]
	;; [unrolled: 1-line block ×12, first 2 shown]
	v_fma_f64 v[111:112], v[48:49], v[111:112], s[70:71]
	v_add_f64 v[54:55], v[54:55], -v[89:90]
	v_fma_f64 v[107:108], v[46:47], v[107:108], s[70:71]
	v_add_f64 v[62:63], v[62:63], -v[86:87]
	v_add_f64 v[163:164], v[157:158], -v[139:140]
	;; [unrolled: 1-line block ×3, first 2 shown]
	v_fma_f64 v[103:104], v[66:67], v[103:104], s[68:69]
	v_fma_f64 v[105:106], v[68:69], v[105:106], s[68:69]
	v_add_f64 v[143:144], v[143:144], -v[72:73]
	v_add_f64 v[72:73], v[117:118], -v[72:73]
	;; [unrolled: 1-line block ×8, first 2 shown]
	v_add_f64 v[127:128], v[141:142], v[58:59]
	v_add_f64 v[95:96], v[119:120], -v[95:96]
	v_fma_f64 v[111:112], v[48:49], v[111:112], s[72:73]
	v_fma_f64 v[107:108], v[46:47], v[107:108], s[72:73]
	v_add_f64 v[119:120], v[157:158], -v[163:164]
	v_add_f64 v[70:71], v[151:152], -v[163:164]
	v_fma_f64 v[103:104], v[66:67], v[103:104], s[70:71]
	v_fma_f64 v[105:106], v[68:69], v[105:106], s[70:71]
	v_add_f64 v[72:73], v[121:122], -v[72:73]
	v_add_f64 v[121:122], v[131:132], v[129:130]
	v_add_f64 v[101:102], v[135:136], -v[115:116]
	v_add_f64 v[90:91], v[109:110], v[91:92]
	v_add_f64 v[109:110], v[78:79], v[52:53]
	;; [unrolled: 1-line block ×3, first 2 shown]
	v_add_f64 v[113:114], v[137:138], -v[153:154]
	v_add_f64 v[129:130], v[125:126], v[60:61]
	v_add_f64 v[94:95], v[149:150], v[95:96]
	;; [unrolled: 1-line block ×4, first 2 shown]
	v_fma_f64 v[111:112], v[48:49], v[111:112], s[74:75]
	v_add_f64 v[137:138], v[127:128], -v[141:142]
	v_add_f64 v[115:116], v[139:140], -v[119:120]
	v_add_f64 v[119:120], v[97:98], v[50:51]
	v_fma_f64 v[103:104], v[66:67], v[103:104], s[72:73]
	v_fma_f64 v[105:106], v[68:69], v[105:106], s[72:73]
	v_add_f64 v[72:73], v[143:144], v[72:73]
	v_add_f64 v[88:89], v[88:89], v[101:102]
	v_fma_f64 v[101:102], v[46:47], v[107:108], s[74:75]
	v_add_f64 v[107:108], v[84:85], v[62:63]
	v_add_f64 v[90:91], v[127:128], v[90:91]
	;; [unrolled: 1-line block ×4, first 2 shown]
	v_add_f64 v[139:140], v[109:110], -v[78:79]
	v_add_f64 v[92:93], v[109:110], v[92:93]
	v_add_f64 v[143:144], v[129:130], -v[125:126]
	v_add_f64 v[94:95], v[129:130], v[94:95]
	v_add_f64 v[145:146], v[131:132], -v[74:75]
	v_add_f64 v[149:150], v[135:136], -v[80:81]
	v_mul_f64 v[48:49], v[48:49], v[111:112]
	v_add_f64 v[127:128], v[127:128], -v[137:138]
	v_add_f64 v[58:59], v[58:59], -v[137:138]
	v_add_f64 v[70:71], v[70:71], v[115:116]
	v_add_f64 v[115:116], v[119:120], -v[97:98]
	v_add_f64 v[121:122], v[119:120], v[121:122]
	v_fma_f64 v[103:104], v[66:67], v[103:104], s[74:75]
	v_fma_f64 v[105:106], v[68:69], v[105:106], s[74:75]
	v_add_f64 v[72:73], v[131:132], v[72:73]
	v_add_f64 v[88:89], v[135:136], v[88:89]
	v_mul_f64 v[46:47], v[46:47], v[101:102]
	v_add_f64 v[101:102], v[107:108], -v[84:85]
	v_add_f64 v[153:154], v[147:148], v[90:91]
	v_add_f64 v[86:87], v[107:108], v[86:87]
	v_add_f64 v[111:112], v[113:114], -v[82:83]
	v_add_f64 v[109:110], v[109:110], -v[139:140]
	v_add_f64 v[155:156], v[159:160], v[92:93]
	v_add_f64 v[129:130], v[129:130], -v[143:144]
	v_add_f64 v[163:164], v[161:162], v[94:95]
	v_add_f64 v[52:53], v[52:53], -v[139:140]
	v_add_f64 v[60:61], v[60:61], -v[143:144]
	v_fma_f64 v[38:39], v[38:39], v[48:49], v[38:39]
	v_add_f64 v[56:57], v[56:57], -v[145:146]
	v_add_f64 v[54:55], v[54:55], -v[149:150]
	v_add_f64 v[70:71], v[113:114], v[70:71]
	v_add_f64 v[119:120], v[119:120], -v[115:116]
	v_add_f64 v[151:152], v[99:100], v[121:122]
	v_add_f64 v[50:51], v[50:51], -v[115:116]
	v_add_f64 v[115:116], v[141:142], -v[127:128]
	v_mul_f64 v[66:67], v[66:67], v[103:104]
	v_add_f64 v[103:104], v[131:132], -v[145:146]
	v_mul_f64 v[68:69], v[68:69], v[105:106]
	v_add_f64 v[105:106], v[135:136], -v[149:150]
	v_add_f64 v[131:132], v[117:118], v[72:73]
	v_add_f64 v[135:136], v[123:124], v[88:89]
	v_fma_f64 v[42:43], v[42:43], v[46:47], v[42:43]
	v_add_f64 v[46:47], v[107:108], -v[101:102]
	v_add_f64 v[62:63], v[62:63], -v[101:102]
	v_add_f64 v[107:108], v[133:134], v[86:87]
	v_add_f64 v[48:49], v[113:114], -v[111:112]
	v_add_f64 v[78:79], v[78:79], -v[109:110]
	v_add_f64 v[109:110], v[155:156], -v[159:160]
	v_add_f64 v[125:126], v[125:126], -v[129:130]
	v_add_f64 v[127:128], v[163:164], -v[161:162]
	v_add_f64 v[64:65], v[64:65], -v[111:112]
	v_add_f64 v[113:114], v[157:158], v[70:71]
	v_add_f64 v[96:97], v[97:98], -v[119:120]
	v_add_f64 v[98:99], v[151:152], -v[99:100]
	;; [unrolled: 1-line block ×3, first 2 shown]
	v_add_f64 v[58:59], v[58:59], v[115:116]
	v_fma_f64 v[44:45], v[44:45], v[66:67], v[44:45]
	v_add_f64 v[66:67], v[74:75], -v[103:104]
	v_fma_f64 v[40:41], v[40:41], v[68:69], v[40:41]
	v_add_f64 v[80:81], v[80:81], -v[105:106]
	v_add_f64 v[74:75], v[131:132], -v[117:118]
	;; [unrolled: 1-line block ×6, first 2 shown]
	v_add_f64 v[52:53], v[52:53], v[78:79]
	v_add_f64 v[78:79], v[92:93], -v[109:110]
	v_add_f64 v[60:61], v[60:61], v[125:126]
	v_add_f64 v[94:95], v[94:95], -v[127:128]
	v_add_f64 v[92:93], -v[42:43], s[76:77]
	v_add_f64 v[82:83], v[113:114], -v[157:158]
	v_add_f64 v[50:51], v[50:51], v[96:97]
	v_add_f64 v[68:69], v[121:122], -v[98:99]
	v_add_f64 v[90:91], v[90:91], -v[119:120]
	v_add_f64 v[96:97], -v[38:39], s[76:77]
	v_add_f64 v[56:57], v[56:57], v[66:67]
	v_add_f64 v[54:55], v[54:55], v[80:81]
	v_ashrrev_i32_e32 v80, 31, v31
	v_add_f64 v[66:67], v[72:73], -v[74:75]
	v_add_f64 v[74:75], -v[44:45], s[76:77]
	v_add_f64 v[72:73], v[88:89], -v[103:104]
	v_ashrrev_i32_e32 v81, 31, v37
	v_add_f64 v[46:47], v[62:63], v[46:47]
	v_add_f64 v[62:63], v[86:87], -v[84:85]
	v_add_f64 v[48:49], v[64:65], v[48:49]
	s_delay_alu instid0(VALU_DEP_4)
	v_and_b32_e32 v84, 0x400921fb, v81
	v_add_f64 v[52:53], v[52:53], v[78:79]
	v_cndmask_b32_e64 v78, 0x54442d18, v76, s4
	v_add_f64 v[60:61], v[60:61], v[94:95]
	v_dual_cndmask_b32 v43, v43, v93 :: v_dual_cndmask_b32 v42, v42, v92
	v_cmp_gt_i32_e32 vcc_lo, 0, v35
	v_cndmask_b32_e64 v79, 0x54442d18, v76, s5
	v_cndmask_b32_e32 v85, 0x3fe921fb, v77, vcc_lo
	v_add_f64 v[64:65], v[70:71], -v[82:83]
	v_add_f64 v[70:71], -v[40:41], s[76:77]
	v_add_f64 v[50:51], v[50:51], v[68:69]
	v_add_f64 v[58:59], v[58:59], v[90:91]
	v_cndmask_b32_e64 v39, v39, v97, s0
	v_cndmask_b32_e64 v38, v38, v96, s0
	v_cmp_class_f64_e64 s0, v[6:7], 0x204
	v_cndmask_b32_e64 v83, 0x54442d18, v76, s3
	v_ashrrev_i32_e32 v82, 31, v35
	v_add_f64 v[56:57], v[56:57], v[66:67]
	v_cndmask_b32_e64 v45, v45, v75, s1
	v_add_f64 v[54:55], v[54:55], v[72:73]
	v_cndmask_b32_e64 v44, v44, v74, s1
	v_cmp_class_f64_e64 s1, v[4:5], 0x204
	v_cndmask_b32_e64 v72, 0x3fe921fb, v77, s4
	v_add_f64 v[46:47], v[46:47], v[62:63]
	v_add_f64 v[62:63], -v[42:43], s[12:13]
	v_add_f64 v[66:67], -v[44:45], s[12:13]
	v_add_f64 v[52:53], v[155:156], v[52:53]
	v_and_b32_e32 v75, 0x54442d18, v80
	v_add_f64 v[60:61], v[163:164], v[60:61]
	v_and_b32_e32 v86, 0x400921fb, v82
	v_and_b32_e32 v82, 0x54442d18, v82
	v_bfi_b32 v72, 0x7fffffff, v72, v15
	v_add_f64 v[48:49], v[48:49], v[64:65]
	v_cndmask_b32_e64 v41, v41, v71, s2
	v_cndmask_b32_e64 v40, v40, v70, s2
	v_add_f64 v[64:65], -v[38:39], s[12:13]
	v_add_f64 v[50:51], v[151:152], v[50:51]
	v_add_f64 v[58:59], v[153:154], v[58:59]
	v_cmp_class_f64_e64 s2, v[2:3], 0x204
	v_add_f64 v[68:69], -v[40:41], s[12:13]
	v_cmp_eq_f64_e64 s12, 0, v[26:27]
	v_cndmask_b32_e32 v70, 0x54442d18, v76, vcc_lo
	v_and_b32_e32 v73, 0x400921fb, v17
	v_add_f64 v[56:57], v[131:132], v[56:57]
	v_and_b32_e32 v17, 0x54442d18, v17
	v_add_f64 v[54:55], v[135:136], v[54:55]
	v_and_b32_e32 v74, 0x400921fb, v80
	v_cndmask_b32_e64 v71, 0x3fe921fb, v77, s3
	v_cndmask_b32_e64 v80, 0x3fe921fb, v77, s5
	v_add_f64 v[46:47], v[107:108], v[46:47]
	v_cndmask_b32_e64 v42, v42, v62, s3
	v_cndmask_b32_e64 v44, v44, v66, s5
	;; [unrolled: 1-line block ×3, first 2 shown]
	v_cmp_eq_f64_e64 s3, 0, v[28:29]
	v_cndmask_b32_e64 v45, v45, v67, s5
	v_cndmask_b32_e64 v17, v42, v17, s10
	v_cmp_neq_f64_e64 s5, 0, v[12:13]
	v_bfi_b32 v71, 0x7fffffff, v71, v1
	v_bfi_b32 v80, 0x7fffffff, v80, v27
	;; [unrolled: 1-line block ×3, first 2 shown]
	v_add_f64 v[48:49], v[113:114], v[48:49]
	v_cndmask_b32_e64 v38, v38, v64, s4
	v_cndmask_b32_e64 v39, v39, v65, s4
	v_cmp_neq_f64_e64 s4, 0, v[10:11]
	v_dual_cndmask_b32 v41, v41, v69 :: v_dual_cndmask_b32 v40, v40, v68
	v_cmp_neq_f64_e32 vcc_lo, 0, v[6:7]
	v_and_b32_e32 v81, 0x54442d18, v81
	v_cndmask_b32_e64 v38, v38, v75, s11
	s_delay_alu instid0(VALU_DEP_2)
	v_cndmask_b32_e64 v42, v44, v81, s12
	v_cndmask_b32_e64 v44, v50, v6, s0
	;; [unrolled: 1-line block ×5, first 2 shown]
	v_cmp_neq_f64_e64 s1, 0, v[4:5]
	v_cndmask_b32_e64 v51, v52, v2, s2
	v_cndmask_b32_e64 v4, v53, v3, s2
	v_cmp_neq_f64_e64 s2, 0, v[2:3]
	v_cmp_class_f64_e64 s0, v[22:23], 0x204
	v_cndmask_b32_e64 v52, v60, v10, s6
	v_cndmask_b32_e64 v53, v61, v11, s6
	v_cmp_neq_f64_e64 s6, 0, v[24:25]
	v_cndmask_b32_e64 v11, v56, v12, s7
	v_cndmask_b32_e64 v10, v57, v13, s7
	;; [unrolled: 1-line block ×4, first 2 shown]
	v_cmp_neq_f64_e64 s7, 0, v[32:33]
	v_cmp_neq_f64_e64 s8, 0, v[22:23]
	v_cndmask_b32_e64 v2, v43, v73, s10
	v_cndmask_b32_e64 v24, v46, v32, s9
	;; [unrolled: 1-line block ×5, first 2 shown]
	s_and_b32 s9, s87, s89
	v_cndmask_b32_e64 v33, v40, v82, s3
	v_cndmask_b32_e64 v39, v2, v71, s9
	v_cndmask_b32_e64 v17, v17, v83, s9
	v_cmp_o_f64_e64 s9, v[8:9], v[0:1]
	v_cndmask_b32_e64 v0, v41, v86, s3
	s_and_b32 s3, s85, s88
	s_and_b32 s10, s83, s86
	v_cndmask_b32_e32 v2, 0, v44, vcc_lo
	v_cndmask_b32_e64 v40, v3, v72, s3
	v_cndmask_b32_e64 v38, v38, v78, s3
	v_cmp_o_f64_e64 s3, v[30:31], v[14:15]
	v_cndmask_b32_e64 v30, v5, v80, s10
	s_and_b32 s11, s82, s84
	v_cndmask_b32_e32 v3, 0xfff00000, v50, vcc_lo
	v_cndmask_b32_e64 v31, v42, v79, s10
	v_cmp_o_f64_e64 s10, v[36:37], v[26:27]
	v_cndmask_b32_e64 v26, v0, v62, s11
	v_cmp_o_f64_e64 s12, v[34:35], v[28:29]
	v_cndmask_b32_e64 v5, 0xfff00000, v6, s1
	v_cndmask_b32_e64 v8, 0xfff00000, v53, s4
	;; [unrolled: 1-line block ×9, first 2 shown]
	v_add_f64 v[2:3], v[2:3], -v[4:5]
	v_cndmask_b32_e64 v5, 0, v51, s2
	v_cndmask_b32_e64 v9, 0, v11, s5
	;; [unrolled: 1-line block ×7, first 2 shown]
	v_add_f64 v[4:5], v[5:6], -v[7:8]
	v_add_f64 v[6:7], v[9:10], -v[11:12]
	v_cmp_le_i64_e32 vcc_lo, s[14:15], v[18:19]
	v_cmp_lt_u64_e64 s0, 0xffff, v[18:19]
	v_add_f64 v[8:9], v[13:14], -v[22:23]
	v_cndmask_b32_e64 v13, v33, v70, s11
	v_cndmask_b32_e64 v11, 0x7ff80000, v39, s9
	;; [unrolled: 1-line block ×3, first 2 shown]
	v_add_co_u32 v18, s1, v18, s80
	s_or_b32 s0, vcc_lo, s0
	s_delay_alu instid0(VALU_DEP_3)
	v_bfi_b32 v1, 0x7fffffff, v11, v1
	v_add_co_ci_u32_e64 v19, s1, 0, v19, s1
	v_cndmask_b32_e64 v17, 0x7ff80000, v40, s3
	v_cndmask_b32_e64 v10, 0, v38, s3
	s_and_b32 s0, exec_lo, s0
	v_cndmask_b32_e64 v24, 0x7ff80000, v30, s10
	s_delay_alu instid0(VALU_DEP_3)
	v_bfi_b32 v11, 0x7fffffff, v17, v15
	v_cndmask_b32_e64 v14, 0x7ff80000, v26, s12
	v_cndmask_b32_e64 v12, 0, v31, s10
	v_cndmask_b32_e64 v22, 0, v13, s12
	v_bfi_b32 v13, 0x7fffffff, v24, v27
	v_mul_f64 v[10:11], v[10:11], 0.5
	v_bfi_b32 v23, 0x7fffffff, v14, v29
	v_mul_f64 v[14:15], v[0:1], 0.5
	s_or_b32 s33, s0, s33
	v_mul_f64 v[12:13], v[12:13], 0.5
	v_ldexp_f64 v[2:3], v[2:3], -2
	v_mul_f64 v[22:23], v[22:23], 0.5
	v_ldexp_f64 v[24:25], v[4:5], -2
	v_ldexp_f64 v[26:27], v[6:7], -2
	;; [unrolled: 1-line block ×3, first 2 shown]
	v_fma_f64 v[0:1], 0x80000000, v[2:3], v[14:15]
	v_fma_f64 v[2:3], 0x80000000, v[14:15], -v[2:3]
	v_fma_f64 v[4:5], 0x80000000, v[24:25], v[10:11]
	v_fma_f64 v[6:7], 0x80000000, v[10:11], -v[24:25]
	;; [unrolled: 2-line block ×4, first 2 shown]
	s_clause 0x3
	global_store_b128 v[20:21], v[0:3], off
	global_store_b128 v[20:21], v[4:7], off offset:16
	global_store_b128 v[20:21], v[8:11], off offset:32
	;; [unrolled: 1-line block ×3, first 2 shown]
	v_add_co_u32 v20, vcc_lo, v20, s81
	v_add_co_ci_u32_e32 v21, vcc_lo, 0, v21, vcc_lo
	s_and_not1_b32 exec_lo, exec_lo, s33
	s_cbranch_execnz .LBB74_24
.LBB74_25:
	s_nop 0
	s_sendmsg sendmsg(MSG_DEALLOC_VGPRS)
	s_endpgm
	.section	.rodata,"a",@progbits
	.p2align	6, 0x0
	.amdhsa_kernel _ZN2at6native12_GLOBAL__N_125multi_tensor_apply_kernelINS1_18TensorListMetadataILi1EEENS1_14UnaryOpFunctorIN3c107complexIdEELi1ELi1ELi0EEEJNS0_4AtanIS8_EEEEEvT_T0_DpT1_
		.amdhsa_group_segment_fixed_size 0
		.amdhsa_private_segment_fixed_size 0
		.amdhsa_kernarg_size 3632
		.amdhsa_user_sgpr_count 15
		.amdhsa_user_sgpr_dispatch_ptr 0
		.amdhsa_user_sgpr_queue_ptr 0
		.amdhsa_user_sgpr_kernarg_segment_ptr 1
		.amdhsa_user_sgpr_dispatch_id 0
		.amdhsa_user_sgpr_private_segment_size 0
		.amdhsa_wavefront_size32 1
		.amdhsa_uses_dynamic_stack 0
		.amdhsa_enable_private_segment 0
		.amdhsa_system_sgpr_workgroup_id_x 1
		.amdhsa_system_sgpr_workgroup_id_y 0
		.amdhsa_system_sgpr_workgroup_id_z 0
		.amdhsa_system_sgpr_workgroup_info 0
		.amdhsa_system_vgpr_workitem_id 0
		.amdhsa_next_free_vgpr 167
		.amdhsa_next_free_sgpr 90
		.amdhsa_reserve_vcc 1
		.amdhsa_float_round_mode_32 0
		.amdhsa_float_round_mode_16_64 0
		.amdhsa_float_denorm_mode_32 3
		.amdhsa_float_denorm_mode_16_64 3
		.amdhsa_dx10_clamp 1
		.amdhsa_ieee_mode 1
		.amdhsa_fp16_overflow 0
		.amdhsa_workgroup_processor_mode 1
		.amdhsa_memory_ordered 1
		.amdhsa_forward_progress 0
		.amdhsa_shared_vgpr_count 0
		.amdhsa_exception_fp_ieee_invalid_op 0
		.amdhsa_exception_fp_denorm_src 0
		.amdhsa_exception_fp_ieee_div_zero 0
		.amdhsa_exception_fp_ieee_overflow 0
		.amdhsa_exception_fp_ieee_underflow 0
		.amdhsa_exception_fp_ieee_inexact 0
		.amdhsa_exception_int_div_zero 0
	.end_amdhsa_kernel
	.section	.text._ZN2at6native12_GLOBAL__N_125multi_tensor_apply_kernelINS1_18TensorListMetadataILi1EEENS1_14UnaryOpFunctorIN3c107complexIdEELi1ELi1ELi0EEEJNS0_4AtanIS8_EEEEEvT_T0_DpT1_,"axG",@progbits,_ZN2at6native12_GLOBAL__N_125multi_tensor_apply_kernelINS1_18TensorListMetadataILi1EEENS1_14UnaryOpFunctorIN3c107complexIdEELi1ELi1ELi0EEEJNS0_4AtanIS8_EEEEEvT_T0_DpT1_,comdat
.Lfunc_end74:
	.size	_ZN2at6native12_GLOBAL__N_125multi_tensor_apply_kernelINS1_18TensorListMetadataILi1EEENS1_14UnaryOpFunctorIN3c107complexIdEELi1ELi1ELi0EEEJNS0_4AtanIS8_EEEEEvT_T0_DpT1_, .Lfunc_end74-_ZN2at6native12_GLOBAL__N_125multi_tensor_apply_kernelINS1_18TensorListMetadataILi1EEENS1_14UnaryOpFunctorIN3c107complexIdEELi1ELi1ELi0EEEJNS0_4AtanIS8_EEEEEvT_T0_DpT1_
                                        ; -- End function
	.section	.AMDGPU.csdata,"",@progbits
; Kernel info:
; codeLenInByte = 18260
; NumSgprs: 92
; NumVgprs: 167
; ScratchSize: 0
; MemoryBound: 1
; FloatMode: 240
; IeeeMode: 1
; LDSByteSize: 0 bytes/workgroup (compile time only)
; SGPRBlocks: 11
; VGPRBlocks: 20
; NumSGPRsForWavesPerEU: 92
; NumVGPRsForWavesPerEU: 167
; Occupancy: 9
; WaveLimiterHint : 0
; COMPUTE_PGM_RSRC2:SCRATCH_EN: 0
; COMPUTE_PGM_RSRC2:USER_SGPR: 15
; COMPUTE_PGM_RSRC2:TRAP_HANDLER: 0
; COMPUTE_PGM_RSRC2:TGID_X_EN: 1
; COMPUTE_PGM_RSRC2:TGID_Y_EN: 0
; COMPUTE_PGM_RSRC2:TGID_Z_EN: 0
; COMPUTE_PGM_RSRC2:TIDIG_COMP_CNT: 0
	.section	.text._ZN2at6native12_GLOBAL__N_125multi_tensor_apply_kernelINS1_18TensorListMetadataILi1EEENS1_14UnaryOpFunctorIN3c107complexIfEELi1ELi1ELi0EEEJNS0_4AtanIS8_EEEEEvT_T0_DpT1_,"axG",@progbits,_ZN2at6native12_GLOBAL__N_125multi_tensor_apply_kernelINS1_18TensorListMetadataILi1EEENS1_14UnaryOpFunctorIN3c107complexIfEELi1ELi1ELi0EEEJNS0_4AtanIS8_EEEEEvT_T0_DpT1_,comdat
	.globl	_ZN2at6native12_GLOBAL__N_125multi_tensor_apply_kernelINS1_18TensorListMetadataILi1EEENS1_14UnaryOpFunctorIN3c107complexIfEELi1ELi1ELi0EEEJNS0_4AtanIS8_EEEEEvT_T0_DpT1_ ; -- Begin function _ZN2at6native12_GLOBAL__N_125multi_tensor_apply_kernelINS1_18TensorListMetadataILi1EEENS1_14UnaryOpFunctorIN3c107complexIfEELi1ELi1ELi0EEEJNS0_4AtanIS8_EEEEEvT_T0_DpT1_
	.p2align	8
	.type	_ZN2at6native12_GLOBAL__N_125multi_tensor_apply_kernelINS1_18TensorListMetadataILi1EEENS1_14UnaryOpFunctorIN3c107complexIfEELi1ELi1ELi0EEEJNS0_4AtanIS8_EEEEEvT_T0_DpT1_,@function
_ZN2at6native12_GLOBAL__N_125multi_tensor_apply_kernelINS1_18TensorListMetadataILi1EEENS1_14UnaryOpFunctorIN3c107complexIfEELi1ELi1ELi0EEEJNS0_4AtanIS8_EEEEEvT_T0_DpT1_: ; @_ZN2at6native12_GLOBAL__N_125multi_tensor_apply_kernelINS1_18TensorListMetadataILi1EEENS1_14UnaryOpFunctorIN3c107complexIfEELi1ELi1ELi0EEEJNS0_4AtanIS8_EEEEEvT_T0_DpT1_
; %bb.0:
	v_mov_b32_e32 v1, s15
	s_add_u32 s2, s0, s15
	s_mul_hi_u32 s3, s15, 3
	s_mul_i32 s15, s15, 3
	s_addc_u32 s4, s1, 0
	global_load_u8 v1, v1, s[0:1] offset:1760
	s_add_u32 s2, s2, s15
	s_addc_u32 s3, s4, s3
	s_mov_b32 s13, 0
	s_load_b32 s2, s[2:3], 0x820
	s_waitcnt vmcnt(0)
	v_readfirstlane_b32 s5, v1
	s_delay_alu instid0(VALU_DEP_1)
	s_lshl_b32 s3, s5, 3
	s_clause 0x1
	s_load_b64 s[4:5], s[0:1], s3 offset:0x0
	s_load_b64 s[6:7], s[0:1], s3 offset:0x370
	s_waitcnt lgkmcnt(0)
	s_ashr_i32 s3, s2, 31
	s_delay_alu instid0(SALU_CYCLE_1) | instskip(NEXT) | instid1(SALU_CYCLE_1)
	s_lshl_b64 s[8:9], s[2:3], 19
	s_add_u32 s8, s4, s8
	s_addc_u32 s9, s5, s9
	s_lshl_b64 s[2:3], s[2:3], 16
	s_and_b32 s12, s8, 31
	s_sub_u32 s10, s6, s2
	s_subb_u32 s11, s7, s3
	s_and_b32 s2, s6, 3
	s_mov_b32 s3, s13
	s_delay_alu instid0(SALU_CYCLE_1) | instskip(NEXT) | instid1(SALU_CYCLE_1)
	s_or_b64 s[2:3], s[12:13], s[2:3]
	s_cmp_eq_u64 s[2:3], 0
	s_cbranch_scc1 .LBB75_229
; %bb.1:
	v_cmp_lt_i64_e64 s2, s[10:11], 1
	s_delay_alu instid0(VALU_DEP_1)
	s_and_b32 vcc_lo, exec_lo, s2
	s_cbranch_vccnz .LBB75_228
; %bb.2:
	s_load_b32 s2, s[0:1], 0xd3c
	v_cmp_gt_u64_e64 s3, 0x10000, s[10:11]
	v_dual_mov_b32 v2, 0 :: v_dual_lshlrev_b32 v1, 3, v0
	s_mov_b64 s[12:13], src_private_base
	s_mov_b32 s12, 8
	v_mov_b32_e32 v26, 0xd800000
	v_mov_b32_e32 v27, 0x4016cbe4
	s_mov_b32 s14, 0
	s_mov_b32 s16, 4
	;; [unrolled: 1-line block ×4, first 2 shown]
	s_mov_b64 s[20:21], 0
	s_mov_b32 s26, 0x3e9b6dac
	s_mov_b32 s27, 0x3b2d2a58
	s_mov_b64 s[22:23], s[8:9]
	v_mov_b32_e32 v25, 0x248d3132
	s_waitcnt lgkmcnt(0)
	s_and_b32 s2, s2, 0xffff
	s_and_b32 s3, s3, exec_lo
	v_mad_u64_u32 v[3:4], null, s2, 24, v[1:2]
	s_cselect_b32 s19, s11, 0
	s_cselect_b32 s18, s10, 0x10000
	s_lshl_b32 s3, s2, 1
	s_mul_i32 s4, s2, 3
	s_lshl_b32 s24, s2, 2
	s_lshl_b32 s25, s2, 5
	v_add_co_u32 v2, s5, v0, s2
	s_lshl_b32 s2, s2, 4
	v_add_co_u32 v18, s4, s4, v0
	v_add_co_u32 v5, s2, s2, v1
	s_delay_alu instid0(VALU_DEP_1)
	v_add_co_ci_u32_e64 v21, null, 0, 0, s2
	v_add_co_u32 v23, s2, s3, v0
	v_add_co_ci_u32_e64 v17, null, 0, 0, s5
	v_or_b32_e32 v3, 4, v3
	v_add_co_ci_u32_e64 v19, null, 0, 0, s4
	v_lshlrev_b32_e32 v20, 3, v2
	v_or_b32_e32 v22, 4, v5
	v_add_co_ci_u32_e64 v24, null, 0, 0, s2
	v_dual_mov_b32 v5, s12 :: v_dual_mov_b32 v6, s13
	s_branch .LBB75_4
.LBB75_3:                               ;   in Loop: Header=BB75_4 Depth=1
	s_or_b32 exec_lo, exec_lo, s2
	s_add_u32 s20, s20, s24
	s_addc_u32 s21, s21, 0
	s_delay_alu instid0(SALU_CYCLE_1) | instskip(SKIP_1) | instid1(VALU_DEP_1)
	v_cmp_ge_i64_e64 s2, s[20:21], s[10:11]
	v_cmp_lt_u64_e64 s3, 0xffff, s[20:21]
	s_or_b32 s2, s2, s3
	s_add_u32 s22, s22, s25
	s_addc_u32 s23, s23, 0
	s_and_b32 vcc_lo, exec_lo, s2
	s_cbranch_vccnz .LBB75_228
.LBB75_4:                               ; =>This Inner Loop Header: Depth=1
	v_add_co_u32 v7, s2, v0, s20
	s_delay_alu instid0(VALU_DEP_1) | instskip(SKIP_1) | instid1(VALU_DEP_2)
	v_add_co_ci_u32_e64 v8, null, 0, s21, s2
	v_dual_mov_b32 v14, 0 :: v_dual_mov_b32 v13, 0
	v_cmp_gt_u64_e64 s2, s[18:19], v[7:8]
	s_delay_alu instid0(VALU_DEP_1)
	s_and_saveexec_b32 s3, s2
	s_cbranch_execz .LBB75_6
; %bb.5:                                ;   in Loop: Header=BB75_4 Depth=1
	v_add_co_u32 v7, s4, s22, v1
	s_delay_alu instid0(VALU_DEP_1)
	v_add_co_ci_u32_e64 v8, null, s23, 0, s4
	global_load_b64 v[13:14], v[7:8], off
.LBB75_6:                               ;   in Loop: Header=BB75_4 Depth=1
	s_or_b32 exec_lo, exec_lo, s3
	v_add_co_u32 v7, vcc_lo, v2, s20
	v_add_co_ci_u32_e32 v8, vcc_lo, s21, v17, vcc_lo
	v_dual_mov_b32 v12, 0 :: v_dual_mov_b32 v15, 0
	v_mov_b32_e32 v16, 0
	s_delay_alu instid0(VALU_DEP_3) | instskip(NEXT) | instid1(VALU_DEP_1)
	v_cmp_gt_u64_e64 s3, s[18:19], v[7:8]
	s_and_saveexec_b32 s4, s3
	s_cbranch_execz .LBB75_8
; %bb.7:                                ;   in Loop: Header=BB75_4 Depth=1
	v_add_co_u32 v7, s5, s22, v20
	s_delay_alu instid0(VALU_DEP_1)
	v_add_co_ci_u32_e64 v8, null, s23, 0, s5
	global_load_b64 v[15:16], v[7:8], off
.LBB75_8:                               ;   in Loop: Header=BB75_4 Depth=1
	s_or_b32 exec_lo, exec_lo, s4
	v_add_co_u32 v7, vcc_lo, v23, s20
	v_add_co_ci_u32_e32 v8, vcc_lo, s21, v24, vcc_lo
	v_mov_b32_e32 v11, 0
	s_delay_alu instid0(VALU_DEP_2) | instskip(NEXT) | instid1(VALU_DEP_1)
	v_cmp_gt_u64_e64 s4, s[18:19], v[7:8]
	s_and_saveexec_b32 s5, s4
	s_cbranch_execz .LBB75_10
; %bb.9:                                ;   in Loop: Header=BB75_4 Depth=1
	v_add_co_u32 v7, vcc_lo, s22, v22
	v_add_co_ci_u32_e32 v8, vcc_lo, s23, v21, vcc_lo
	global_load_b64 v[11:12], v[7:8], off offset:-4
.LBB75_10:                              ;   in Loop: Header=BB75_4 Depth=1
	s_or_b32 exec_lo, exec_lo, s5
	v_add_co_u32 v7, vcc_lo, v18, s20
	v_add_co_ci_u32_e32 v8, vcc_lo, s21, v19, vcc_lo
	s_delay_alu instid0(VALU_DEP_1) | instskip(SKIP_1) | instid1(VALU_DEP_2)
	v_cmp_gt_u64_e64 s5, s[18:19], v[7:8]
	v_dual_mov_b32 v8, 0 :: v_dual_mov_b32 v7, 0
	s_and_saveexec_b32 s6, s5
	s_cbranch_execz .LBB75_12
; %bb.11:                               ;   in Loop: Header=BB75_4 Depth=1
	v_add_co_u32 v7, vcc_lo, s22, v3
	v_add_co_ci_u32_e32 v8, vcc_lo, s23, v4, vcc_lo
	global_load_b64 v[7:8], v[7:8], off offset:-4
.LBB75_12:                              ;   in Loop: Header=BB75_4 Depth=1
	s_or_b32 exec_lo, exec_lo, s6
	s_waitcnt vmcnt(0)
	v_cmp_neq_f32_e32 vcc_lo, 0, v13
	v_cmp_nle_f32_e64 s6, |v14|, 1.0
	flat_store_b32 v[5:6], v25 dlc
	s_waitcnt_vscnt null, 0x0
                                        ; implicit-def: $vgpr9
	s_or_b32 s6, vcc_lo, s6
	s_delay_alu instid0(SALU_CYCLE_1) | instskip(NEXT) | instid1(SALU_CYCLE_1)
	s_and_saveexec_b32 s7, s6
	s_xor_b32 s28, exec_lo, s7
	s_cbranch_execz .LBB75_62
; %bb.13:                               ;   in Loop: Header=BB75_4 Depth=1
                                        ; implicit-def: $vgpr9
	s_mov_b32 s6, exec_lo
	v_cmpx_neq_f32_e32 0, v14
	s_xor_b32 s29, exec_lo, s6
	s_cbranch_execz .LBB75_59
; %bb.14:                               ;   in Loop: Header=BB75_4 Depth=1
	v_cmp_o_f32_e32 vcc_lo, v14, v14
	v_cmp_o_f32_e64 s6, v13, v13
                                        ; implicit-def: $vgpr9
	s_delay_alu instid0(VALU_DEP_1) | instskip(NEXT) | instid1(SALU_CYCLE_1)
	s_and_b32 s6, vcc_lo, s6
	s_and_saveexec_b32 s7, s6
	s_delay_alu instid0(SALU_CYCLE_1)
	s_xor_b32 s30, exec_lo, s7
	s_cbranch_execz .LBB75_48
; %bb.15:                               ;   in Loop: Header=BB75_4 Depth=1
	v_max_f32_e64 v10, |v13|, |v13|
	v_max_f32_e64 v9, |v14|, |v14|
	s_delay_alu instid0(VALU_DEP_1) | instskip(NEXT) | instid1(VALU_DEP_1)
	v_max_f32_e32 v9, v9, v10
	v_cmp_nlt_f32_e32 vcc_lo, 0x4b000000, v9
                                        ; implicit-def: $vgpr9
	s_and_saveexec_b32 s6, vcc_lo
	s_delay_alu instid0(SALU_CYCLE_1)
	s_xor_b32 s31, exec_lo, s6
	s_cbranch_execz .LBB75_33
; %bb.16:                               ;   in Loop: Header=BB75_4 Depth=1
	v_cmp_ngt_f32_e64 s6, 0x399cc471, |v14|
	v_cmp_ngt_f32_e64 s7, 0x399cc471, |v13|
                                        ; implicit-def: $vgpr9
	s_delay_alu instid0(VALU_DEP_1) | instskip(NEXT) | instid1(SALU_CYCLE_1)
	s_or_b32 s6, s6, s7
	s_and_saveexec_b32 s7, s6
	s_delay_alu instid0(SALU_CYCLE_1)
	s_xor_b32 s33, exec_lo, s7
	s_cbranch_execz .LBB75_30
; %bb.17:                               ;   in Loop: Header=BB75_4 Depth=1
	v_cmp_neq_f32_e64 s7, |v14|, 1.0
	v_cmp_ngt_f32_e64 s6, 0x34000000, |v13|
                                        ; implicit-def: $vgpr9
	s_delay_alu instid0(VALU_DEP_1) | instskip(NEXT) | instid1(SALU_CYCLE_1)
	s_or_b32 s34, s7, s6
	s_and_saveexec_b32 s35, s34
	s_delay_alu instid0(SALU_CYCLE_1)
	s_xor_b32 s34, exec_lo, s35
	s_cbranch_execz .LBB75_19
; %bb.18:                               ;   in Loop: Header=BB75_4 Depth=1
	v_add_f32_e64 v9, |v14|, -1.0
	v_cmp_gt_f32_e64 vcc_lo, 0x20000000, |v13|
	v_mul_f32_e64 v29, |v14|, 4.0
	s_delay_alu instid0(VALU_DEP_3) | instskip(NEXT) | instid1(VALU_DEP_1)
	v_mul_f32_e32 v9, v9, v9
	v_fma_f32 v28, v13, v13, v9
	s_delay_alu instid0(VALU_DEP_1) | instskip(NEXT) | instid1(VALU_DEP_1)
	v_cndmask_b32_e32 v9, v28, v9, vcc_lo
	v_div_scale_f32 v28, null, v9, v9, v29
	v_div_scale_f32 v32, vcc_lo, v29, v9, v29
	s_delay_alu instid0(VALU_DEP_2) | instskip(SKIP_2) | instid1(VALU_DEP_1)
	v_rcp_f32_e32 v30, v28
	s_waitcnt_depctr 0xfff
	v_fma_f32 v31, -v28, v30, 1.0
	v_fmac_f32_e32 v30, v31, v30
	s_delay_alu instid0(VALU_DEP_1) | instskip(NEXT) | instid1(VALU_DEP_1)
	v_mul_f32_e32 v31, v32, v30
	v_fma_f32 v33, -v28, v31, v32
	s_delay_alu instid0(VALU_DEP_1) | instskip(NEXT) | instid1(VALU_DEP_1)
	v_fmac_f32_e32 v31, v33, v30
	v_fma_f32 v28, -v28, v31, v32
	s_delay_alu instid0(VALU_DEP_1) | instskip(NEXT) | instid1(VALU_DEP_1)
	v_div_fmas_f32 v28, v28, v30, v31
	v_div_fixup_f32 v9, v28, v9, v29
	s_delay_alu instid0(VALU_DEP_1) | instskip(NEXT) | instid1(VALU_DEP_1)
	v_add_f32_e32 v30, 1.0, v9
	v_cvt_f64_f32_e32 v[28:29], v30
	s_delay_alu instid0(VALU_DEP_1) | instskip(SKIP_1) | instid1(VALU_DEP_1)
	v_frexp_exp_i32_f64_e32 v28, v[28:29]
	v_frexp_mant_f32_e32 v29, v30
	v_cmp_gt_f32_e32 vcc_lo, 0x3f2aaaab, v29
	v_add_f32_e32 v29, -1.0, v30
	s_delay_alu instid0(VALU_DEP_1) | instskip(NEXT) | instid1(VALU_DEP_1)
	v_sub_f32_e32 v32, v29, v30
	v_add_f32_e32 v32, 1.0, v32
	v_subrev_co_ci_u32_e32 v28, vcc_lo, 0, v28, vcc_lo
	v_cmp_eq_f32_e32 vcc_lo, 0x7f800000, v9
	s_delay_alu instid0(VALU_DEP_2) | instskip(SKIP_1) | instid1(VALU_DEP_2)
	v_sub_nc_u32_e32 v31, 0, v28
	v_cvt_f32_i32_e32 v28, v28
	v_ldexp_f32 v30, v30, v31
	v_sub_f32_e32 v29, v9, v29
	s_delay_alu instid0(VALU_DEP_1) | instskip(NEXT) | instid1(VALU_DEP_1)
	v_add_f32_e32 v29, v29, v32
	v_ldexp_f32 v29, v29, v31
	s_delay_alu instid0(VALU_DEP_4) | instskip(NEXT) | instid1(VALU_DEP_1)
	v_add_f32_e32 v31, -1.0, v30
	v_dual_add_f32 v33, 1.0, v30 :: v_dual_add_f32 v34, 1.0, v31
	s_delay_alu instid0(VALU_DEP_1) | instskip(NEXT) | instid1(VALU_DEP_1)
	v_add_f32_e32 v32, -1.0, v33
	v_sub_f32_e32 v32, v30, v32
	s_delay_alu instid0(VALU_DEP_3) | instskip(NEXT) | instid1(VALU_DEP_2)
	v_sub_f32_e32 v30, v30, v34
	v_add_f32_e32 v32, v29, v32
	s_delay_alu instid0(VALU_DEP_2) | instskip(NEXT) | instid1(VALU_DEP_1)
	v_add_f32_e32 v29, v29, v30
	v_dual_add_f32 v34, v33, v32 :: v_dual_add_f32 v35, v31, v29
	s_delay_alu instid0(VALU_DEP_1) | instskip(SKIP_1) | instid1(VALU_DEP_1)
	v_rcp_f32_e32 v30, v34
	v_sub_f32_e32 v33, v34, v33
	v_dual_sub_f32 v31, v35, v31 :: v_dual_sub_f32 v32, v32, v33
	s_waitcnt_depctr 0xfff
	v_dual_sub_f32 v29, v29, v31 :: v_dual_mul_f32 v36, v35, v30
	s_delay_alu instid0(VALU_DEP_1) | instskip(NEXT) | instid1(VALU_DEP_1)
	v_mul_f32_e32 v37, v34, v36
	v_fma_f32 v33, v36, v34, -v37
	s_delay_alu instid0(VALU_DEP_1) | instskip(NEXT) | instid1(VALU_DEP_1)
	v_fmac_f32_e32 v33, v36, v32
	v_add_f32_e32 v38, v37, v33
	s_delay_alu instid0(VALU_DEP_1) | instskip(SKIP_1) | instid1(VALU_DEP_2)
	v_sub_f32_e32 v39, v35, v38
	v_sub_f32_e32 v31, v38, v37
	;; [unrolled: 1-line block ×3, first 2 shown]
	s_delay_alu instid0(VALU_DEP_2) | instskip(NEXT) | instid1(VALU_DEP_2)
	v_sub_f32_e32 v31, v31, v33
	v_sub_f32_e32 v35, v35, v38
	s_delay_alu instid0(VALU_DEP_1) | instskip(NEXT) | instid1(VALU_DEP_1)
	v_add_f32_e32 v29, v29, v35
	v_add_f32_e32 v29, v31, v29
	s_delay_alu instid0(VALU_DEP_1) | instskip(NEXT) | instid1(VALU_DEP_1)
	v_add_f32_e32 v31, v39, v29
	v_mul_f32_e32 v33, v30, v31
	s_delay_alu instid0(VALU_DEP_1) | instskip(NEXT) | instid1(VALU_DEP_1)
	v_mul_f32_e32 v35, v34, v33
	v_fma_f32 v34, v33, v34, -v35
	s_delay_alu instid0(VALU_DEP_1) | instskip(SKIP_1) | instid1(VALU_DEP_2)
	v_fmac_f32_e32 v34, v33, v32
	v_sub_f32_e32 v38, v39, v31
	v_add_f32_e32 v32, v35, v34
	s_delay_alu instid0(VALU_DEP_2) | instskip(NEXT) | instid1(VALU_DEP_2)
	v_add_f32_e32 v29, v29, v38
	v_sub_f32_e32 v37, v31, v32
	v_sub_f32_e32 v35, v32, v35
	s_delay_alu instid0(VALU_DEP_2) | instskip(NEXT) | instid1(VALU_DEP_1)
	v_sub_f32_e32 v31, v31, v37
	v_sub_f32_e32 v31, v31, v32
	s_delay_alu instid0(VALU_DEP_1) | instskip(SKIP_1) | instid1(VALU_DEP_1)
	v_dual_sub_f32 v32, v35, v34 :: v_dual_add_f32 v29, v29, v31
	v_add_f32_e32 v31, v36, v33
	v_dual_add_f32 v29, v32, v29 :: v_dual_sub_f32 v32, v31, v36
	s_delay_alu instid0(VALU_DEP_1) | instskip(NEXT) | instid1(VALU_DEP_1)
	v_add_f32_e32 v29, v37, v29
	v_dual_sub_f32 v32, v33, v32 :: v_dual_mul_f32 v29, v30, v29
	s_delay_alu instid0(VALU_DEP_1) | instskip(NEXT) | instid1(VALU_DEP_1)
	v_add_f32_e32 v29, v32, v29
	v_add_f32_e32 v30, v31, v29
	s_delay_alu instid0(VALU_DEP_1) | instskip(NEXT) | instid1(VALU_DEP_1)
	v_mul_f32_e32 v32, v30, v30
	v_fmaak_f32 v33, s26, v32, 0x3ecc95a3
	v_mul_f32_e32 v34, v30, v32
	s_delay_alu instid0(VALU_DEP_2) | instskip(SKIP_2) | instid1(VALU_DEP_3)
	v_fmaak_f32 v32, v32, v33, 0x3f2aaada
	v_ldexp_f32 v33, v30, 1
	v_sub_f32_e32 v30, v30, v31
	v_mul_f32_e32 v32, v34, v32
	s_delay_alu instid0(VALU_DEP_2) | instskip(NEXT) | instid1(VALU_DEP_2)
	v_dual_mul_f32 v34, 0x3f317218, v28 :: v_dual_sub_f32 v29, v29, v30
	v_add_f32_e32 v31, v33, v32
	s_delay_alu instid0(VALU_DEP_2) | instskip(NEXT) | instid1(VALU_DEP_2)
	v_ldexp_f32 v29, v29, 1
	v_sub_f32_e32 v30, v31, v33
	s_delay_alu instid0(VALU_DEP_4) | instskip(NEXT) | instid1(VALU_DEP_1)
	v_fma_f32 v33, 0x3f317218, v28, -v34
	v_dual_sub_f32 v30, v32, v30 :: v_dual_fmac_f32 v33, 0xb102e308, v28
	s_delay_alu instid0(VALU_DEP_1) | instskip(NEXT) | instid1(VALU_DEP_1)
	v_dual_add_f32 v28, v29, v30 :: v_dual_add_f32 v29, v34, v33
	v_add_f32_e32 v30, v31, v28
	s_delay_alu instid0(VALU_DEP_2) | instskip(NEXT) | instid1(VALU_DEP_2)
	v_sub_f32_e32 v34, v29, v34
	v_dual_add_f32 v32, v29, v30 :: v_dual_sub_f32 v31, v30, v31
	s_delay_alu instid0(VALU_DEP_2) | instskip(NEXT) | instid1(VALU_DEP_2)
	v_sub_f32_e32 v33, v33, v34
	v_sub_f32_e32 v35, v32, v29
	s_delay_alu instid0(VALU_DEP_3) | instskip(NEXT) | instid1(VALU_DEP_2)
	v_sub_f32_e32 v28, v28, v31
	v_sub_f32_e32 v36, v32, v35
	s_delay_alu instid0(VALU_DEP_2) | instskip(NEXT) | instid1(VALU_DEP_2)
	v_dual_sub_f32 v30, v30, v35 :: v_dual_add_f32 v31, v33, v28
	v_sub_f32_e32 v29, v29, v36
	s_delay_alu instid0(VALU_DEP_1) | instskip(NEXT) | instid1(VALU_DEP_3)
	v_add_f32_e32 v29, v30, v29
	v_sub_f32_e32 v30, v31, v33
	s_delay_alu instid0(VALU_DEP_2) | instskip(NEXT) | instid1(VALU_DEP_2)
	v_add_f32_e32 v29, v31, v29
	v_sub_f32_e32 v31, v31, v30
	v_sub_f32_e32 v28, v28, v30
	s_delay_alu instid0(VALU_DEP_2) | instskip(NEXT) | instid1(VALU_DEP_1)
	v_dual_add_f32 v34, v32, v29 :: v_dual_sub_f32 v31, v33, v31
	v_sub_f32_e32 v30, v34, v32
	s_delay_alu instid0(VALU_DEP_1) | instskip(NEXT) | instid1(VALU_DEP_1)
	v_dual_add_f32 v28, v28, v31 :: v_dual_sub_f32 v29, v29, v30
	v_add_f32_e32 v28, v28, v29
	s_delay_alu instid0(VALU_DEP_1) | instskip(NEXT) | instid1(VALU_DEP_1)
	v_add_f32_e32 v28, v34, v28
	v_cndmask_b32_e32 v28, v28, v9, vcc_lo
	v_cmp_ngt_f32_e32 vcc_lo, -1.0, v9
	s_delay_alu instid0(VALU_DEP_2) | instskip(SKIP_1) | instid1(VALU_DEP_2)
	v_cndmask_b32_e32 v28, 0x7fc00000, v28, vcc_lo
	v_cmp_neq_f32_e32 vcc_lo, -1.0, v9
	v_cndmask_b32_e32 v28, 0xff800000, v28, vcc_lo
	v_cmp_gt_f32_e64 vcc_lo, 0x33800000, |v9|
	s_delay_alu instid0(VALU_DEP_2) | instskip(NEXT) | instid1(VALU_DEP_1)
	v_cndmask_b32_e32 v9, v28, v9, vcc_lo
	v_mul_f32_e32 v9, 0x3e800000, v9
	s_and_not1_saveexec_b32 s34, s34
	s_cbranch_execz .LBB75_21
	s_branch .LBB75_20
.LBB75_19:                              ;   in Loop: Header=BB75_4 Depth=1
	s_and_not1_saveexec_b32 s34, s34
	s_cbranch_execz .LBB75_21
.LBB75_20:                              ;   in Loop: Header=BB75_4 Depth=1
	v_cmp_gt_f32_e64 s35, 0x800000, |v13|
	s_delay_alu instid0(VALU_DEP_1) | instskip(NEXT) | instid1(VALU_DEP_1)
	v_cndmask_b32_e64 v9, 1.0, 0x4f800000, s35
	v_mul_f32_e64 v9, |v13|, v9
	s_delay_alu instid0(VALU_DEP_1) | instskip(SKIP_3) | instid1(VALU_DEP_2)
	v_log_f32_e32 v9, v9
	s_waitcnt_depctr 0xfff
	v_mul_f32_e32 v28, 0x3f317217, v9
	v_cmp_gt_f32_e64 vcc_lo, 0x7f800000, |v9|
	v_fma_f32 v29, 0x3f317217, v9, -v28
	s_delay_alu instid0(VALU_DEP_1) | instskip(NEXT) | instid1(VALU_DEP_1)
	v_fmac_f32_e32 v29, 0x3377d1cf, v9
	v_add_f32_e32 v28, v28, v29
	s_delay_alu instid0(VALU_DEP_1) | instskip(SKIP_1) | instid1(VALU_DEP_1)
	v_cndmask_b32_e32 v9, v9, v28, vcc_lo
	v_cndmask_b32_e64 v28, 0, 0x41b17218, s35
	v_sub_f32_e32 v9, v9, v28
	s_delay_alu instid0(VALU_DEP_1) | instskip(NEXT) | instid1(VALU_DEP_1)
	v_sub_f32_e32 v9, 0x3f317218, v9
	v_mul_f32_e32 v9, 0.5, v9
.LBB75_21:                              ;   in Loop: Header=BB75_4 Depth=1
	s_or_b32 exec_lo, exec_lo, s34
                                        ; implicit-def: $vgpr29
	s_and_saveexec_b32 s34, s7
	s_delay_alu instid0(SALU_CYCLE_1)
	s_xor_b32 s34, exec_lo, s34
	s_cbranch_execz .LBB75_27
; %bb.22:                               ;   in Loop: Header=BB75_4 Depth=1
	v_sub_f32_e64 v28, 1.0, |v14|
	v_add_f32_e64 v29, |v14|, 1.0
	v_add_f32_e64 v10, |v13|, |v13|
	s_delay_alu instid0(VALU_DEP_2) | instskip(SKIP_1) | instid1(SALU_CYCLE_1)
	v_mul_f32_e32 v28, v28, v29
                                        ; implicit-def: $vgpr29
	s_and_saveexec_b32 s7, s6
	s_xor_b32 s7, exec_lo, s7
	s_cbranch_execz .LBB75_24
; %bb.23:                               ;   in Loop: Header=BB75_4 Depth=1
	s_delay_alu instid0(VALU_DEP_1) | instskip(SKIP_3) | instid1(VALU_DEP_4)
	v_fma_f32 v28, -v13, v13, v28
	v_max_f32_e64 v29, |v10|, |v10|
	v_cmp_eq_f32_e64 s6, 0, v10
	v_cmp_class_f32_e64 s35, v10, 0x204
	v_cmp_gt_f32_e64 vcc_lo, |v10|, |v28|
	s_delay_alu instid0(VALU_DEP_4) | instskip(SKIP_2) | instid1(VALU_DEP_3)
	v_max_f32_e64 v30, |v28|, v29
	v_min_f32_e64 v29, |v28|, v29
	v_cmp_class_f32_e64 s36, v28, 0x204
	v_frexp_mant_f32_e32 v31, v30
	v_frexp_exp_i32_f32_e32 v30, v30
	s_delay_alu instid0(VALU_DEP_4) | instskip(SKIP_1) | instid1(VALU_DEP_4)
	v_frexp_exp_i32_f32_e32 v32, v29
	v_frexp_mant_f32_e32 v29, v29
	v_rcp_f32_e32 v31, v31
	s_delay_alu instid0(VALU_DEP_2) | instskip(SKIP_2) | instid1(VALU_DEP_1)
	v_sub_nc_u32_e32 v30, v32, v30
	s_waitcnt_depctr 0xfff
	v_mul_f32_e32 v29, v29, v31
	v_ldexp_f32 v29, v29, v30
	s_delay_alu instid0(VALU_DEP_1) | instskip(NEXT) | instid1(VALU_DEP_1)
	v_mul_f32_e32 v30, v29, v29
	v_fmaak_f32 v31, s27, v30, 0xbc7a590c
	s_delay_alu instid0(VALU_DEP_1) | instskip(NEXT) | instid1(VALU_DEP_1)
	v_fmaak_f32 v31, v30, v31, 0x3d29fb3f
	v_fmaak_f32 v31, v30, v31, 0xbd97d4d7
	s_delay_alu instid0(VALU_DEP_1) | instskip(NEXT) | instid1(VALU_DEP_1)
	v_fmaak_f32 v31, v30, v31, 0x3dd931b2
	;; [unrolled: 3-line block ×3, first 2 shown]
	v_fmaak_f32 v31, v30, v31, 0xbeaaaa62
	s_delay_alu instid0(VALU_DEP_1) | instskip(NEXT) | instid1(VALU_DEP_1)
	v_mul_f32_e32 v30, v30, v31
	v_fmac_f32_e32 v29, v29, v30
	s_delay_alu instid0(VALU_DEP_1) | instskip(NEXT) | instid1(VALU_DEP_1)
	v_sub_f32_e32 v30, 0x3fc90fdb, v29
	v_cndmask_b32_e32 v29, v29, v30, vcc_lo
	v_cmp_gt_i32_e32 vcc_lo, 0, v28
	s_delay_alu instid0(VALU_DEP_2) | instskip(SKIP_2) | instid1(VALU_DEP_3)
	v_sub_f32_e32 v30, 0x40490fdb, v29
	v_cndmask_b32_e64 v31, 0, 0x40490fdb, vcc_lo
	v_cmp_gt_f32_e32 vcc_lo, 0, v28
	v_cndmask_b32_e32 v29, v29, v30, vcc_lo
	v_cndmask_b32_e32 v30, 0x3f490fdb, v27, vcc_lo
	s_and_b32 vcc_lo, s35, s36
	s_delay_alu instid0(VALU_DEP_2) | instskip(NEXT) | instid1(VALU_DEP_1)
	v_cndmask_b32_e64 v29, v29, v31, s6
	v_cndmask_b32_e32 v29, v29, v30, vcc_lo
	v_cmp_o_f32_e32 vcc_lo, v28, v10
	s_delay_alu instid0(VALU_DEP_2) | instskip(NEXT) | instid1(VALU_DEP_1)
	v_cndmask_b32_e32 v28, 0x7fc00000, v29, vcc_lo
	v_bfi_b32 v29, 0x7fffffff, v28, v10
                                        ; implicit-def: $vgpr10
                                        ; implicit-def: $vgpr28
.LBB75_24:                              ;   in Loop: Header=BB75_4 Depth=1
	s_and_not1_saveexec_b32 s35, s7
	s_cbranch_execz .LBB75_26
; %bb.25:                               ;   in Loop: Header=BB75_4 Depth=1
	v_max_f32_e32 v29, v10, v10
	v_max_f32_e64 v30, |v28|, |v28|
	v_cmp_gt_f32_e64 vcc_lo, v10, |v28|
	v_cmp_eq_f32_e64 s7, 0, v10
	v_cmp_class_f32_e64 s36, v28, 0x204
	v_cmp_eq_f32_e64 s6, 0x7f800000, v10
	v_max_f32_e32 v31, v30, v29
	v_min_f32_e32 v29, v30, v29
	s_delay_alu instid0(VALU_DEP_2) | instskip(SKIP_1) | instid1(VALU_DEP_2)
	v_frexp_mant_f32_e32 v32, v31
	v_frexp_exp_i32_f32_e32 v31, v31
	v_rcp_f32_e32 v30, v32
	s_delay_alu instid0(VALU_DEP_3) | instskip(SKIP_1) | instid1(VALU_DEP_2)
	v_frexp_exp_i32_f32_e32 v32, v29
	v_frexp_mant_f32_e32 v29, v29
	v_sub_nc_u32_e32 v31, v32, v31
	s_waitcnt_depctr 0xfff
	v_mul_f32_e32 v29, v29, v30
	s_delay_alu instid0(VALU_DEP_1) | instskip(NEXT) | instid1(VALU_DEP_1)
	v_ldexp_f32 v29, v29, v31
	v_mul_f32_e32 v30, v29, v29
	s_delay_alu instid0(VALU_DEP_1) | instskip(NEXT) | instid1(VALU_DEP_1)
	v_fmaak_f32 v31, s27, v30, 0xbc7a590c
	v_fmaak_f32 v31, v30, v31, 0x3d29fb3f
	s_delay_alu instid0(VALU_DEP_1) | instskip(NEXT) | instid1(VALU_DEP_1)
	v_fmaak_f32 v31, v30, v31, 0xbd97d4d7
	v_fmaak_f32 v31, v30, v31, 0x3dd931b2
	;; [unrolled: 3-line block ×3, first 2 shown]
	s_delay_alu instid0(VALU_DEP_1) | instskip(NEXT) | instid1(VALU_DEP_1)
	v_fmaak_f32 v31, v30, v31, 0xbeaaaa62
	v_mul_f32_e32 v30, v30, v31
	s_delay_alu instid0(VALU_DEP_1) | instskip(NEXT) | instid1(VALU_DEP_1)
	v_fmac_f32_e32 v29, v29, v30
	v_sub_f32_e32 v30, 0x3fc90fdb, v29
	s_delay_alu instid0(VALU_DEP_1) | instskip(SKIP_1) | instid1(VALU_DEP_2)
	v_cndmask_b32_e32 v29, v29, v30, vcc_lo
	v_cmp_gt_i32_e32 vcc_lo, 0, v28
	v_sub_f32_e32 v30, 0x40490fdb, v29
	v_cndmask_b32_e64 v31, 0, 0x40490fdb, vcc_lo
	v_cmp_gt_f32_e32 vcc_lo, 0, v28
	s_delay_alu instid0(VALU_DEP_3) | instskip(NEXT) | instid1(VALU_DEP_1)
	v_cndmask_b32_e32 v29, v29, v30, vcc_lo
	v_cndmask_b32_e64 v10, v29, v31, s7
	v_cndmask_b32_e32 v29, 0x3f490fdb, v27, vcc_lo
	s_and_b32 vcc_lo, s6, s36
	s_delay_alu instid0(VALU_DEP_1) | instskip(SKIP_1) | instid1(VALU_DEP_2)
	v_cndmask_b32_e32 v10, v10, v29, vcc_lo
	v_cmp_o_f32_e32 vcc_lo, v28, v28
	v_cndmask_b32_e64 v29, 0x7fc00000, |v10|, vcc_lo
.LBB75_26:                              ;   in Loop: Header=BB75_4 Depth=1
	s_or_b32 exec_lo, exec_lo, s35
                                        ; implicit-def: $vgpr10
	s_and_not1_saveexec_b32 s6, s34
	s_cbranch_execnz .LBB75_28
	s_branch .LBB75_29
.LBB75_27:                              ;   in Loop: Header=BB75_4 Depth=1
	s_and_not1_saveexec_b32 s6, s34
	s_cbranch_execz .LBB75_29
.LBB75_28:                              ;   in Loop: Header=BB75_4 Depth=1
	v_max_f32_e32 v28, 2.0, v10
	v_min_f32_e32 v10, 2.0, v10
	v_cmp_lt_f32_e64 vcc_lo, |v13|, 2.0
	s_delay_alu instid0(VALU_DEP_3) | instskip(NEXT) | instid1(VALU_DEP_3)
	v_frexp_mant_f32_e32 v29, v28
	v_frexp_mant_f32_e32 v30, v10
	v_frexp_exp_i32_f32_e32 v10, v10
	s_delay_alu instid0(VALU_DEP_3) | instskip(SKIP_3) | instid1(VALU_DEP_1)
	v_rcp_f32_e32 v29, v29
	s_waitcnt_depctr 0xfff
	v_mul_f32_e32 v29, v30, v29
	v_frexp_exp_i32_f32_e32 v28, v28
	v_sub_nc_u32_e32 v10, v10, v28
	s_delay_alu instid0(VALU_DEP_1) | instskip(NEXT) | instid1(VALU_DEP_1)
	v_ldexp_f32 v10, v29, v10
	v_mul_f32_e32 v28, v10, v10
	s_delay_alu instid0(VALU_DEP_1) | instskip(NEXT) | instid1(VALU_DEP_1)
	v_fmaak_f32 v29, s27, v28, 0xbc7a590c
	v_fmaak_f32 v29, v28, v29, 0x3d29fb3f
	s_delay_alu instid0(VALU_DEP_1) | instskip(NEXT) | instid1(VALU_DEP_1)
	v_fmaak_f32 v29, v28, v29, 0xbd97d4d7
	v_fmaak_f32 v29, v28, v29, 0x3dd931b2
	s_delay_alu instid0(VALU_DEP_1) | instskip(NEXT) | instid1(VALU_DEP_1)
	v_fmaak_f32 v29, v28, v29, 0xbe1160e6
	v_fmaak_f32 v29, v28, v29, 0x3e4cb8bf
	s_delay_alu instid0(VALU_DEP_1) | instskip(NEXT) | instid1(VALU_DEP_1)
	v_fmaak_f32 v29, v28, v29, 0xbeaaaa62
	v_mul_f32_e32 v28, v28, v29
	s_delay_alu instid0(VALU_DEP_1) | instskip(NEXT) | instid1(VALU_DEP_1)
	v_fmac_f32_e32 v10, v10, v28
	v_sub_f32_e32 v28, 0x3fc90fdb, v10
	s_delay_alu instid0(VALU_DEP_1) | instskip(SKIP_1) | instid1(VALU_DEP_2)
	v_cndmask_b32_e32 v10, v10, v28, vcc_lo
	v_cmp_lg_f32_e32 vcc_lo, 0, v13
	v_sub_f32_e32 v28, 0x40490fdb, v10
	s_delay_alu instid0(VALU_DEP_1) | instskip(NEXT) | instid1(VALU_DEP_1)
	v_cndmask_b32_e32 v10, v10, v28, vcc_lo
	v_and_b32_e32 v29, 0x7fffffff, v10
.LBB75_29:                              ;   in Loop: Header=BB75_4 Depth=1
	s_or_b32 exec_lo, exec_lo, s6
	s_delay_alu instid0(VALU_DEP_1) | instskip(SKIP_1) | instid1(VALU_DEP_2)
	v_mul_f32_e32 v28, 0.5, v29
	v_bfi_b32 v10, 0x7fffffff, v9, v14
	v_bfi_b32 v9, 0x7fffffff, v28, v13
                                        ; implicit-def: $vgpr13
.LBB75_30:                              ;   in Loop: Header=BB75_4 Depth=1
	s_and_not1_saveexec_b32 s6, s33
	s_cbranch_execz .LBB75_32
; %bb.31:                               ;   in Loop: Header=BB75_4 Depth=1
	v_dual_mov_b32 v9, s14 :: v_dual_mov_b32 v10, s15
	flat_store_b32 v[9:10], v26 dlc
	s_waitcnt_vscnt null, 0x0
	flat_load_b32 v9, v[9:10] glc dlc
	s_waitcnt vmcnt(0) lgkmcnt(0)
	v_dual_add_f32 v28, 1.0, v9 :: v_dual_mov_b32 v9, s16
	v_mov_b32_e32 v10, s17
	flat_store_b32 v[9:10], v28 dlc
	s_waitcnt_vscnt null, 0x0
	flat_load_b32 v9, v[9:10] glc dlc
	s_waitcnt vmcnt(0) lgkmcnt(0)
	v_dual_mov_b32 v9, v13 :: v_dual_mov_b32 v10, v14
.LBB75_32:                              ;   in Loop: Header=BB75_4 Depth=1
	s_or_b32 exec_lo, exec_lo, s6
                                        ; implicit-def: $vgpr13
.LBB75_33:                              ;   in Loop: Header=BB75_4 Depth=1
	s_and_not1_saveexec_b32 s6, s31
	s_cbranch_execz .LBB75_47
; %bb.34:                               ;   in Loop: Header=BB75_4 Depth=1
	v_and_b32_e32 v9, 0x7f800000, v14
	v_and_b32_e32 v28, 0x7f800000, v13
	v_cmp_neq_f32_e64 s7, 0x7f800000, |v14|
	s_delay_alu instid0(VALU_DEP_2) | instskip(NEXT) | instid1(VALU_DEP_1)
	v_sub_nc_u32_e32 v10, v9, v28
	v_cmp_gt_i32_e32 vcc_lo, 0x6800000, v10
                                        ; implicit-def: $vgpr10
	s_delay_alu instid0(VALU_DEP_3) | instskip(NEXT) | instid1(SALU_CYCLE_1)
	s_and_b32 s7, s7, vcc_lo
	s_and_saveexec_b32 s31, s7
	s_delay_alu instid0(SALU_CYCLE_1)
	s_xor_b32 s7, exec_lo, s31
	s_cbranch_execz .LBB75_44
; %bb.35:                               ;   in Loop: Header=BB75_4 Depth=1
	v_sub_nc_u32_e32 v10, v28, v9
	s_delay_alu instid0(VALU_DEP_1) | instskip(SKIP_1) | instid1(SALU_CYCLE_1)
	v_cmp_gt_i32_e32 vcc_lo, 0x6800000, v10
                                        ; implicit-def: $vgpr10
	s_and_saveexec_b32 s31, vcc_lo
	s_xor_b32 s31, exec_lo, s31
	s_cbranch_execz .LBB75_41
; %bb.36:                               ;   in Loop: Header=BB75_4 Depth=1
	s_mov_b32 s33, exec_lo
                                        ; implicit-def: $vgpr10
	v_cmpx_lt_u32_e32 0x59000000, v9
	s_xor_b32 s33, exec_lo, s33
	s_cbranch_execz .LBB75_38
; %bb.37:                               ;   in Loop: Header=BB75_4 Depth=1
	v_sub_nc_u32_e32 v9, 0x7f800000, v9
	s_delay_alu instid0(VALU_DEP_1) | instskip(SKIP_1) | instid1(VALU_DEP_2)
	v_mul_f32_e32 v10, v13, v9
	v_mul_f32_e32 v14, v14, v9
	;; [unrolled: 1-line block ×3, first 2 shown]
	s_delay_alu instid0(VALU_DEP_1) | instskip(NEXT) | instid1(VALU_DEP_1)
	v_fmac_f32_e32 v10, v14, v14
	v_div_scale_f32 v28, null, v10, v10, v14
	s_delay_alu instid0(VALU_DEP_1) | instskip(SKIP_2) | instid1(VALU_DEP_1)
	v_rcp_f32_e32 v29, v28
	s_waitcnt_depctr 0xfff
	v_fma_f32 v30, -v28, v29, 1.0
	v_fmac_f32_e32 v29, v30, v29
	v_div_scale_f32 v30, vcc_lo, v14, v10, v14
	s_delay_alu instid0(VALU_DEP_1) | instskip(NEXT) | instid1(VALU_DEP_1)
	v_mul_f32_e32 v31, v30, v29
	v_fma_f32 v32, -v28, v31, v30
	s_delay_alu instid0(VALU_DEP_1) | instskip(NEXT) | instid1(VALU_DEP_1)
	v_fmac_f32_e32 v31, v32, v29
	v_fma_f32 v28, -v28, v31, v30
	s_delay_alu instid0(VALU_DEP_1) | instskip(NEXT) | instid1(VALU_DEP_1)
	v_div_fmas_f32 v28, v28, v29, v31
	v_div_fixup_f32 v10, v28, v10, v14
	s_delay_alu instid0(VALU_DEP_1)
	v_mul_f32_e32 v10, v10, v9
.LBB75_38:                              ;   in Loop: Header=BB75_4 Depth=1
	s_and_not1_saveexec_b32 s33, s33
	s_cbranch_execz .LBB75_40
; %bb.39:                               ;   in Loop: Header=BB75_4 Depth=1
	v_mul_f32_e32 v9, v13, v13
	s_delay_alu instid0(VALU_DEP_1) | instskip(NEXT) | instid1(VALU_DEP_1)
	v_fmac_f32_e32 v9, v14, v14
	v_div_scale_f32 v10, null, v9, v9, v14
	s_delay_alu instid0(VALU_DEP_1) | instskip(SKIP_2) | instid1(VALU_DEP_1)
	v_rcp_f32_e32 v28, v10
	s_waitcnt_depctr 0xfff
	v_fma_f32 v29, -v10, v28, 1.0
	v_fmac_f32_e32 v28, v29, v28
	v_div_scale_f32 v29, vcc_lo, v14, v9, v14
	s_delay_alu instid0(VALU_DEP_1) | instskip(NEXT) | instid1(VALU_DEP_1)
	v_mul_f32_e32 v30, v29, v28
	v_fma_f32 v31, -v10, v30, v29
	s_delay_alu instid0(VALU_DEP_1) | instskip(NEXT) | instid1(VALU_DEP_1)
	v_fmac_f32_e32 v30, v31, v28
	v_fma_f32 v10, -v10, v30, v29
	s_delay_alu instid0(VALU_DEP_1) | instskip(NEXT) | instid1(VALU_DEP_1)
	v_div_fmas_f32 v10, v10, v28, v30
	v_div_fixup_f32 v10, v10, v9, v14
.LBB75_40:                              ;   in Loop: Header=BB75_4 Depth=1
	s_or_b32 exec_lo, exec_lo, s33
.LBB75_41:                              ;   in Loop: Header=BB75_4 Depth=1
	s_and_not1_saveexec_b32 s31, s31
	s_cbranch_execz .LBB75_43
; %bb.42:                               ;   in Loop: Header=BB75_4 Depth=1
	v_div_scale_f32 v9, null, v13, v13, v14
	v_div_scale_f32 v29, vcc_lo, v14, v13, v14
	s_delay_alu instid0(VALU_DEP_2) | instskip(SKIP_2) | instid1(VALU_DEP_1)
	v_rcp_f32_e32 v10, v9
	s_waitcnt_depctr 0xfff
	v_fma_f32 v28, -v9, v10, 1.0
	v_fmac_f32_e32 v10, v28, v10
	s_delay_alu instid0(VALU_DEP_1) | instskip(NEXT) | instid1(VALU_DEP_1)
	v_mul_f32_e32 v28, v29, v10
	v_fma_f32 v30, -v9, v28, v29
	s_delay_alu instid0(VALU_DEP_1) | instskip(NEXT) | instid1(VALU_DEP_1)
	v_fmac_f32_e32 v28, v30, v10
	v_fma_f32 v9, -v9, v28, v29
	s_delay_alu instid0(VALU_DEP_1) | instskip(NEXT) | instid1(VALU_DEP_1)
	v_div_fmas_f32 v9, v9, v10, v28
	v_div_fixup_f32 v9, v9, v13, v14
	s_delay_alu instid0(VALU_DEP_1) | instskip(NEXT) | instid1(VALU_DEP_1)
	v_div_scale_f32 v10, null, v13, v13, v9
	v_rcp_f32_e32 v14, v10
	s_waitcnt_depctr 0xfff
	v_fma_f32 v28, -v10, v14, 1.0
	s_delay_alu instid0(VALU_DEP_1) | instskip(SKIP_1) | instid1(VALU_DEP_1)
	v_fmac_f32_e32 v14, v28, v14
	v_div_scale_f32 v28, vcc_lo, v9, v13, v9
	v_mul_f32_e32 v29, v28, v14
	s_delay_alu instid0(VALU_DEP_1) | instskip(NEXT) | instid1(VALU_DEP_1)
	v_fma_f32 v30, -v10, v29, v28
	v_fmac_f32_e32 v29, v30, v14
	s_delay_alu instid0(VALU_DEP_1) | instskip(NEXT) | instid1(VALU_DEP_1)
	v_fma_f32 v10, -v10, v29, v28
	v_div_fmas_f32 v10, v10, v14, v29
	s_delay_alu instid0(VALU_DEP_1)
	v_div_fixup_f32 v10, v10, v13, v9
.LBB75_43:                              ;   in Loop: Header=BB75_4 Depth=1
	s_or_b32 exec_lo, exec_lo, s31
.LBB75_44:                              ;   in Loop: Header=BB75_4 Depth=1
	s_and_not1_saveexec_b32 s7, s7
; %bb.45:                               ;   in Loop: Header=BB75_4 Depth=1
	v_div_scale_f32 v9, null, v14, v14, 1.0
	s_delay_alu instid0(VALU_DEP_1) | instskip(SKIP_2) | instid1(VALU_DEP_1)
	v_rcp_f32_e32 v10, v9
	s_waitcnt_depctr 0xfff
	v_fma_f32 v28, -v9, v10, 1.0
	v_fmac_f32_e32 v10, v28, v10
	v_div_scale_f32 v28, vcc_lo, 1.0, v14, 1.0
	s_delay_alu instid0(VALU_DEP_1) | instskip(NEXT) | instid1(VALU_DEP_1)
	v_mul_f32_e32 v29, v28, v10
	v_fma_f32 v30, -v9, v29, v28
	s_delay_alu instid0(VALU_DEP_1) | instskip(NEXT) | instid1(VALU_DEP_1)
	v_fmac_f32_e32 v29, v30, v10
	v_fma_f32 v9, -v9, v29, v28
	s_delay_alu instid0(VALU_DEP_1) | instskip(NEXT) | instid1(VALU_DEP_1)
	v_div_fmas_f32 v9, v9, v10, v29
	v_div_fixup_f32 v10, v9, v14, 1.0
; %bb.46:                               ;   in Loop: Header=BB75_4 Depth=1
	s_or_b32 exec_lo, exec_lo, s7
	v_dual_mov_b32 v29, s13 :: v_dual_mov_b32 v28, s12
	flat_load_b32 v9, v[28:29] glc dlc
	s_waitcnt vmcnt(0) lgkmcnt(0)
	v_add_f32_e32 v9, 0x3fc90fdb, v9
	s_delay_alu instid0(VALU_DEP_1)
	v_bfi_b32 v9, 0x7fffffff, v9, v13
.LBB75_47:                              ;   in Loop: Header=BB75_4 Depth=1
	s_or_b32 exec_lo, exec_lo, s6
                                        ; implicit-def: $vgpr14
.LBB75_48:                              ;   in Loop: Header=BB75_4 Depth=1
	s_and_not1_saveexec_b32 s6, s30
	s_cbranch_execz .LBB75_58
; %bb.49:                               ;   in Loop: Header=BB75_4 Depth=1
	v_cmp_neq_f32_e64 s7, 0x7f800000, |v14|
                                        ; implicit-def: $vgpr9
	s_delay_alu instid0(VALU_DEP_1) | instskip(NEXT) | instid1(SALU_CYCLE_1)
	s_and_saveexec_b32 s30, s7
	s_xor_b32 s7, exec_lo, s30
	s_cbranch_execz .LBB75_55
; %bb.50:                               ;   in Loop: Header=BB75_4 Depth=1
	v_cmp_neq_f32_e64 s30, 0x7f800000, |v13|
                                        ; implicit-def: $vgpr9
	s_delay_alu instid0(VALU_DEP_1) | instskip(NEXT) | instid1(SALU_CYCLE_1)
	s_and_saveexec_b32 s31, s30
	s_xor_b32 s30, exec_lo, s31
; %bb.51:                               ;   in Loop: Header=BB75_4 Depth=1
	v_add_f32_e32 v9, 0, v13
	s_delay_alu instid0(VALU_DEP_1)
	v_add_f32_e32 v9, v14, v9
                                        ; implicit-def: $vgpr14
; %bb.52:                               ;   in Loop: Header=BB75_4 Depth=1
	s_or_saveexec_b32 s30, s30
	s_delay_alu instid0(VALU_DEP_1)
	v_mov_b32_e32 v10, v9
	s_xor_b32 exec_lo, exec_lo, s30
	s_cbranch_execz .LBB75_54
; %bb.53:                               ;   in Loop: Header=BB75_4 Depth=1
	v_dual_mov_b32 v9, s12 :: v_dual_mov_b32 v10, s13
	flat_load_b32 v9, v[9:10] glc dlc
	s_waitcnt vmcnt(0)
	v_bfi_b32 v10, 0x7fffffff, 0, v14
	s_waitcnt lgkmcnt(0)
	v_add_f32_e32 v9, 0x3fc90fdb, v9
	s_delay_alu instid0(VALU_DEP_1)
	v_bfi_b32 v9, 0x7fffffff, v9, v13
.LBB75_54:                              ;   in Loop: Header=BB75_4 Depth=1
	s_or_b32 exec_lo, exec_lo, s30
                                        ; implicit-def: $vgpr14
.LBB75_55:                              ;   in Loop: Header=BB75_4 Depth=1
	s_and_not1_saveexec_b32 s7, s7
; %bb.56:                               ;   in Loop: Header=BB75_4 Depth=1
	v_bfi_b32 v10, 0x7fffffff, 0, v14
	v_add_f32_e32 v9, v13, v13
; %bb.57:                               ;   in Loop: Header=BB75_4 Depth=1
	s_or_b32 exec_lo, exec_lo, s7
.LBB75_58:                              ;   in Loop: Header=BB75_4 Depth=1
	s_delay_alu instid0(SALU_CYCLE_1)
	s_or_b32 exec_lo, exec_lo, s6
                                        ; implicit-def: $vgpr13
.LBB75_59:                              ;   in Loop: Header=BB75_4 Depth=1
	s_and_not1_saveexec_b32 s6, s29
	s_cbranch_execz .LBB75_61
; %bb.60:                               ;   in Loop: Header=BB75_4 Depth=1
	v_rcp_f32_e64 v9, |v13|
	v_cmp_gt_f32_e64 vcc_lo, |v13|, 1.0
	s_waitcnt_depctr 0xfff
	v_cndmask_b32_e64 v9, |v13|, v9, vcc_lo
	s_delay_alu instid0(VALU_DEP_1) | instskip(NEXT) | instid1(VALU_DEP_1)
	v_mul_f32_e32 v10, v9, v9
	v_fmaak_f32 v28, s27, v10, 0xbc7a590c
	s_delay_alu instid0(VALU_DEP_1) | instskip(NEXT) | instid1(VALU_DEP_1)
	v_fmaak_f32 v28, v10, v28, 0x3d29fb3f
	v_fmaak_f32 v28, v10, v28, 0xbd97d4d7
	s_delay_alu instid0(VALU_DEP_1) | instskip(NEXT) | instid1(VALU_DEP_1)
	v_fmaak_f32 v28, v10, v28, 0x3dd931b2
	;; [unrolled: 3-line block ×3, first 2 shown]
	v_fmaak_f32 v28, v10, v28, 0xbeaaaa62
	s_delay_alu instid0(VALU_DEP_1) | instskip(NEXT) | instid1(VALU_DEP_1)
	v_mul_f32_e32 v10, v10, v28
	v_fmac_f32_e32 v9, v9, v10
	s_delay_alu instid0(VALU_DEP_1) | instskip(NEXT) | instid1(VALU_DEP_1)
	v_sub_f32_e32 v10, 0x3fc90fdb, v9
	v_dual_cndmask_b32 v9, v9, v10 :: v_dual_mov_b32 v10, v14
	s_delay_alu instid0(VALU_DEP_1)
	v_bfi_b32 v9, 0x7fffffff, v9, v13
.LBB75_61:                              ;   in Loop: Header=BB75_4 Depth=1
	s_or_b32 exec_lo, exec_lo, s6
                                        ; implicit-def: $vgpr14
.LBB75_62:                              ;   in Loop: Header=BB75_4 Depth=1
	s_and_not1_saveexec_b32 s6, s28
	s_cbranch_execz .LBB75_64
; %bb.63:                               ;   in Loop: Header=BB75_4 Depth=1
	v_sub_f32_e64 v9, 1.0, |v14|
	v_add_f32_e64 v28, |v14|, 1.0
	v_cmp_gt_f32_e64 s7, 0x39800000, |v14|
	s_delay_alu instid0(VALU_DEP_3) | instskip(SKIP_1) | instid1(VALU_DEP_1)
	v_rcp_f32_e32 v10, v9
	v_sub_f32_e32 v30, 1.0, v9
	v_sub_f32_e64 v30, v30, |v14|
	s_waitcnt_depctr 0xfff
	v_mul_f32_e32 v29, v28, v10
	s_delay_alu instid0(VALU_DEP_1) | instskip(NEXT) | instid1(VALU_DEP_1)
	v_mul_f32_e32 v31, v9, v29
	v_fma_f32 v9, v29, v9, -v31
	s_delay_alu instid0(VALU_DEP_1) | instskip(NEXT) | instid1(VALU_DEP_1)
	v_fmac_f32_e32 v9, v29, v30
	v_add_f32_e32 v30, v31, v9
	s_delay_alu instid0(VALU_DEP_1) | instskip(NEXT) | instid1(VALU_DEP_1)
	v_sub_f32_e32 v32, v28, v30
	v_sub_f32_e32 v33, v28, v32
	v_dual_sub_f32 v31, v30, v31 :: v_dual_add_f32 v28, -1.0, v28
	s_delay_alu instid0(VALU_DEP_1) | instskip(NEXT) | instid1(VALU_DEP_2)
	v_dual_sub_f32 v30, v33, v30 :: v_dual_sub_f32 v9, v31, v9
	v_sub_f32_e64 v28, |v14|, v28
	s_delay_alu instid0(VALU_DEP_2) | instskip(NEXT) | instid1(VALU_DEP_1)
	v_add_f32_e32 v9, v9, v30
	v_add_f32_e32 v9, v28, v9
	s_delay_alu instid0(VALU_DEP_1) | instskip(NEXT) | instid1(VALU_DEP_1)
	v_add_f32_e32 v9, v32, v9
	v_mul_f32_e32 v28, v10, v9
	s_delay_alu instid0(VALU_DEP_1) | instskip(NEXT) | instid1(VALU_DEP_1)
	v_add_f32_e32 v30, v29, v28
	v_cvt_f64_f32_e32 v[9:10], v30
	v_sub_f32_e32 v29, v30, v29
	s_delay_alu instid0(VALU_DEP_2) | instskip(SKIP_1) | instid1(VALU_DEP_1)
	v_frexp_exp_i32_f64_e32 v9, v[9:10]
	v_frexp_mant_f32_e32 v10, v30
	v_cmp_gt_f32_e32 vcc_lo, 0x3f2aaaab, v10
	s_delay_alu instid0(VALU_DEP_3) | instskip(SKIP_1) | instid1(VALU_DEP_2)
	v_subrev_co_ci_u32_e32 v9, vcc_lo, 0, v9, vcc_lo
	v_cmp_ngt_f32_e64 vcc_lo, |v14|, 1.0
	v_sub_nc_u32_e32 v10, 0, v9
	v_cvt_f32_i32_e32 v9, v9
	s_delay_alu instid0(VALU_DEP_2) | instskip(SKIP_1) | instid1(VALU_DEP_2)
	v_ldexp_f32 v31, v30, v10
	v_sub_f32_e32 v28, v28, v29
	v_add_f32_e32 v30, 1.0, v31
	s_delay_alu instid0(VALU_DEP_2) | instskip(NEXT) | instid1(VALU_DEP_2)
	v_ldexp_f32 v10, v28, v10
	v_dual_add_f32 v28, -1.0, v31 :: v_dual_add_f32 v29, -1.0, v30
	s_delay_alu instid0(VALU_DEP_1) | instskip(NEXT) | instid1(VALU_DEP_1)
	v_dual_add_f32 v32, 1.0, v28 :: v_dual_sub_f32 v29, v31, v29
	v_sub_f32_e32 v31, v31, v32
	s_delay_alu instid0(VALU_DEP_2) | instskip(NEXT) | instid1(VALU_DEP_2)
	v_add_f32_e32 v29, v10, v29
	v_add_f32_e32 v10, v10, v31
	s_delay_alu instid0(VALU_DEP_1) | instskip(NEXT) | instid1(VALU_DEP_1)
	v_dual_add_f32 v32, v30, v29 :: v_dual_add_f32 v33, v28, v10
	v_rcp_f32_e32 v31, v32
	v_sub_f32_e32 v30, v32, v30
	s_delay_alu instid0(VALU_DEP_2) | instskip(NEXT) | instid1(VALU_DEP_1)
	v_sub_f32_e32 v28, v33, v28
	v_dual_sub_f32 v29, v29, v30 :: v_dual_sub_f32 v10, v10, v28
	s_waitcnt_depctr 0xfff
	v_mul_f32_e32 v34, v33, v31
	s_delay_alu instid0(VALU_DEP_1) | instskip(NEXT) | instid1(VALU_DEP_1)
	v_mul_f32_e32 v35, v32, v34
	v_fma_f32 v30, v34, v32, -v35
	s_delay_alu instid0(VALU_DEP_1) | instskip(NEXT) | instid1(VALU_DEP_1)
	v_fmac_f32_e32 v30, v34, v29
	v_add_f32_e32 v36, v35, v30
	s_delay_alu instid0(VALU_DEP_1) | instskip(NEXT) | instid1(VALU_DEP_1)
	v_sub_f32_e32 v37, v33, v36
	v_dual_sub_f32 v33, v33, v37 :: v_dual_sub_f32 v28, v36, v35
	s_delay_alu instid0(VALU_DEP_1) | instskip(NEXT) | instid1(VALU_DEP_1)
	v_dual_sub_f32 v33, v33, v36 :: v_dual_sub_f32 v28, v28, v30
	v_add_f32_e32 v10, v10, v33
	s_delay_alu instid0(VALU_DEP_1) | instskip(NEXT) | instid1(VALU_DEP_1)
	v_add_f32_e32 v10, v28, v10
	v_add_f32_e32 v28, v37, v10
	s_delay_alu instid0(VALU_DEP_1) | instskip(NEXT) | instid1(VALU_DEP_1)
	v_mul_f32_e32 v30, v31, v28
	v_dual_sub_f32 v36, v37, v28 :: v_dual_mul_f32 v33, v32, v30
	s_delay_alu instid0(VALU_DEP_1) | instskip(NEXT) | instid1(VALU_DEP_1)
	v_fma_f32 v32, v30, v32, -v33
	v_fmac_f32_e32 v32, v30, v29
	s_delay_alu instid0(VALU_DEP_1) | instskip(NEXT) | instid1(VALU_DEP_1)
	v_add_f32_e32 v29, v33, v32
	v_sub_f32_e32 v35, v28, v29
	v_dual_sub_f32 v33, v29, v33 :: v_dual_add_f32 v10, v10, v36
	s_delay_alu instid0(VALU_DEP_2) | instskip(NEXT) | instid1(VALU_DEP_1)
	v_sub_f32_e32 v28, v28, v35
	v_dual_sub_f32 v28, v28, v29 :: v_dual_sub_f32 v29, v33, v32
	s_delay_alu instid0(VALU_DEP_1) | instskip(SKIP_1) | instid1(VALU_DEP_2)
	v_add_f32_e32 v10, v10, v28
	v_add_f32_e32 v28, v34, v30
	;; [unrolled: 1-line block ×3, first 2 shown]
	s_delay_alu instid0(VALU_DEP_2) | instskip(NEXT) | instid1(VALU_DEP_1)
	v_sub_f32_e32 v29, v28, v34
	v_dual_add_f32 v10, v35, v10 :: v_dual_sub_f32 v29, v30, v29
	s_delay_alu instid0(VALU_DEP_1) | instskip(NEXT) | instid1(VALU_DEP_1)
	v_mul_f32_e32 v10, v31, v10
	v_add_f32_e32 v10, v29, v10
	s_delay_alu instid0(VALU_DEP_1) | instskip(NEXT) | instid1(VALU_DEP_1)
	v_add_f32_e32 v29, v28, v10
	v_sub_f32_e32 v28, v29, v28
	s_delay_alu instid0(VALU_DEP_1) | instskip(NEXT) | instid1(VALU_DEP_1)
	v_sub_f32_e32 v10, v10, v28
	v_ldexp_f32 v10, v10, 1
	v_mul_f32_e32 v30, v29, v29
	s_delay_alu instid0(VALU_DEP_1) | instskip(SKIP_1) | instid1(VALU_DEP_2)
	v_fmaak_f32 v31, s26, v30, 0x3ecc95a3
	v_mul_f32_e32 v32, v29, v30
	v_fmaak_f32 v30, v30, v31, 0x3f2aaada
	v_ldexp_f32 v31, v29, 1
	s_delay_alu instid0(VALU_DEP_2) | instskip(NEXT) | instid1(VALU_DEP_1)
	v_mul_f32_e32 v30, v32, v30
	v_dual_mul_f32 v32, 0x3f317218, v9 :: v_dual_add_f32 v29, v31, v30
	s_delay_alu instid0(VALU_DEP_1) | instskip(NEXT) | instid1(VALU_DEP_2)
	v_sub_f32_e32 v28, v29, v31
	v_fma_f32 v31, 0x3f317218, v9, -v32
	s_delay_alu instid0(VALU_DEP_1) | instskip(NEXT) | instid1(VALU_DEP_1)
	v_dual_sub_f32 v28, v30, v28 :: v_dual_fmac_f32 v31, 0xb102e308, v9
	v_dual_add_f32 v9, v10, v28 :: v_dual_add_f32 v10, v32, v31
	s_delay_alu instid0(VALU_DEP_1) | instskip(NEXT) | instid1(VALU_DEP_2)
	v_add_f32_e32 v28, v29, v9
	v_sub_f32_e32 v32, v10, v32
	s_delay_alu instid0(VALU_DEP_2) | instskip(NEXT) | instid1(VALU_DEP_2)
	v_dual_add_f32 v30, v10, v28 :: v_dual_sub_f32 v29, v28, v29
	v_sub_f32_e32 v31, v31, v32
	s_delay_alu instid0(VALU_DEP_2) | instskip(NEXT) | instid1(VALU_DEP_3)
	v_sub_f32_e32 v33, v30, v10
	v_sub_f32_e32 v9, v9, v29
	s_delay_alu instid0(VALU_DEP_2) | instskip(SKIP_1) | instid1(VALU_DEP_2)
	v_sub_f32_e32 v34, v30, v33
	v_sub_f32_e32 v28, v28, v33
	v_dual_add_f32 v29, v31, v9 :: v_dual_sub_f32 v10, v10, v34
	s_delay_alu instid0(VALU_DEP_1) | instskip(NEXT) | instid1(VALU_DEP_2)
	v_add_f32_e32 v10, v28, v10
	v_sub_f32_e32 v28, v29, v31
	s_delay_alu instid0(VALU_DEP_2) | instskip(NEXT) | instid1(VALU_DEP_2)
	v_add_f32_e32 v10, v29, v10
	v_sub_f32_e32 v29, v29, v28
	s_delay_alu instid0(VALU_DEP_2) | instskip(NEXT) | instid1(VALU_DEP_1)
	v_dual_sub_f32 v9, v9, v28 :: v_dual_add_f32 v32, v30, v10
	v_dual_sub_f32 v28, v31, v29 :: v_dual_sub_f32 v29, v32, v30
	s_delay_alu instid0(VALU_DEP_1) | instskip(NEXT) | instid1(VALU_DEP_1)
	v_dual_add_f32 v9, v9, v28 :: v_dual_sub_f32 v10, v10, v29
	v_add_f32_e32 v9, v9, v10
	s_delay_alu instid0(VALU_DEP_1) | instskip(NEXT) | instid1(VALU_DEP_1)
	v_add_f32_e32 v9, v32, v9
	v_mul_f32_e32 v9, 0.5, v9
	s_delay_alu instid0(VALU_DEP_1) | instskip(NEXT) | instid1(VALU_DEP_1)
	v_cndmask_b32_e64 v9, v9, |v14|, s7
	v_cndmask_b32_e32 v9, 0x7fc00000, v9, vcc_lo
	v_cmp_neq_f32_e64 vcc_lo, |v14|, 1.0
	s_delay_alu instid0(VALU_DEP_2) | instskip(NEXT) | instid1(VALU_DEP_1)
	v_cndmask_b32_e32 v9, 0x7f800000, v9, vcc_lo
	v_bfi_b32 v10, 0x7fffffff, v9, v14
	v_mov_b32_e32 v9, v13
.LBB75_64:                              ;   in Loop: Header=BB75_4 Depth=1
	s_or_b32 exec_lo, exec_lo, s6
	v_cmp_neq_f32_e32 vcc_lo, 0, v15
	v_cmp_nle_f32_e64 s6, |v16|, 1.0
	v_dual_mov_b32 v14, s13 :: v_dual_mov_b32 v13, s12
	s_delay_alu instid0(VALU_DEP_2) | instskip(SKIP_3) | instid1(SALU_CYCLE_1)
	s_or_b32 s6, vcc_lo, s6
	flat_store_b32 v[13:14], v25 dlc
	s_waitcnt_vscnt null, 0x0
                                        ; implicit-def: $vgpr13
	s_and_saveexec_b32 s7, s6
	s_xor_b32 s28, exec_lo, s7
	s_cbranch_execz .LBB75_114
; %bb.65:                               ;   in Loop: Header=BB75_4 Depth=1
                                        ; implicit-def: $vgpr13
	s_mov_b32 s6, exec_lo
	v_cmpx_neq_f32_e32 0, v16
	s_xor_b32 s29, exec_lo, s6
	s_cbranch_execz .LBB75_111
; %bb.66:                               ;   in Loop: Header=BB75_4 Depth=1
	v_cmp_o_f32_e32 vcc_lo, v16, v16
	v_cmp_o_f32_e64 s6, v15, v15
                                        ; implicit-def: $vgpr13
	s_delay_alu instid0(VALU_DEP_1) | instskip(NEXT) | instid1(SALU_CYCLE_1)
	s_and_b32 s6, vcc_lo, s6
	s_and_saveexec_b32 s7, s6
	s_delay_alu instid0(SALU_CYCLE_1)
	s_xor_b32 s30, exec_lo, s7
	s_cbranch_execz .LBB75_100
; %bb.67:                               ;   in Loop: Header=BB75_4 Depth=1
	v_max_f32_e64 v14, |v15|, |v15|
	v_max_f32_e64 v13, |v16|, |v16|
	s_delay_alu instid0(VALU_DEP_1) | instskip(NEXT) | instid1(VALU_DEP_1)
	v_max_f32_e32 v13, v13, v14
	v_cmp_nlt_f32_e32 vcc_lo, 0x4b000000, v13
                                        ; implicit-def: $vgpr13
	s_and_saveexec_b32 s6, vcc_lo
	s_delay_alu instid0(SALU_CYCLE_1)
	s_xor_b32 s31, exec_lo, s6
	s_cbranch_execz .LBB75_85
; %bb.68:                               ;   in Loop: Header=BB75_4 Depth=1
	v_cmp_ngt_f32_e64 s6, 0x399cc471, |v16|
	v_cmp_ngt_f32_e64 s7, 0x399cc471, |v15|
                                        ; implicit-def: $vgpr13
	s_delay_alu instid0(VALU_DEP_1) | instskip(NEXT) | instid1(SALU_CYCLE_1)
	s_or_b32 s6, s6, s7
	s_and_saveexec_b32 s7, s6
	s_delay_alu instid0(SALU_CYCLE_1)
	s_xor_b32 s33, exec_lo, s7
	s_cbranch_execz .LBB75_82
; %bb.69:                               ;   in Loop: Header=BB75_4 Depth=1
	v_cmp_neq_f32_e64 s7, |v16|, 1.0
	v_cmp_ngt_f32_e64 s6, 0x34000000, |v15|
                                        ; implicit-def: $vgpr13
	s_delay_alu instid0(VALU_DEP_1) | instskip(NEXT) | instid1(SALU_CYCLE_1)
	s_or_b32 s34, s7, s6
	s_and_saveexec_b32 s35, s34
	s_delay_alu instid0(SALU_CYCLE_1)
	s_xor_b32 s34, exec_lo, s35
	s_cbranch_execz .LBB75_71
; %bb.70:                               ;   in Loop: Header=BB75_4 Depth=1
	v_add_f32_e64 v13, |v16|, -1.0
	v_cmp_gt_f32_e64 vcc_lo, 0x20000000, |v15|
	v_mul_f32_e64 v29, |v16|, 4.0
	s_delay_alu instid0(VALU_DEP_3) | instskip(NEXT) | instid1(VALU_DEP_1)
	v_mul_f32_e32 v13, v13, v13
	v_fma_f32 v28, v15, v15, v13
	s_delay_alu instid0(VALU_DEP_1) | instskip(NEXT) | instid1(VALU_DEP_1)
	v_cndmask_b32_e32 v13, v28, v13, vcc_lo
	v_div_scale_f32 v28, null, v13, v13, v29
	v_div_scale_f32 v32, vcc_lo, v29, v13, v29
	s_delay_alu instid0(VALU_DEP_2) | instskip(SKIP_2) | instid1(VALU_DEP_1)
	v_rcp_f32_e32 v30, v28
	s_waitcnt_depctr 0xfff
	v_fma_f32 v31, -v28, v30, 1.0
	v_fmac_f32_e32 v30, v31, v30
	s_delay_alu instid0(VALU_DEP_1) | instskip(NEXT) | instid1(VALU_DEP_1)
	v_mul_f32_e32 v31, v32, v30
	v_fma_f32 v33, -v28, v31, v32
	s_delay_alu instid0(VALU_DEP_1) | instskip(NEXT) | instid1(VALU_DEP_1)
	v_fmac_f32_e32 v31, v33, v30
	v_fma_f32 v28, -v28, v31, v32
	s_delay_alu instid0(VALU_DEP_1) | instskip(NEXT) | instid1(VALU_DEP_1)
	v_div_fmas_f32 v28, v28, v30, v31
	v_div_fixup_f32 v13, v28, v13, v29
	s_delay_alu instid0(VALU_DEP_1) | instskip(NEXT) | instid1(VALU_DEP_1)
	v_add_f32_e32 v30, 1.0, v13
	v_cvt_f64_f32_e32 v[28:29], v30
	s_delay_alu instid0(VALU_DEP_1) | instskip(SKIP_1) | instid1(VALU_DEP_1)
	v_frexp_exp_i32_f64_e32 v28, v[28:29]
	v_frexp_mant_f32_e32 v29, v30
	v_cmp_gt_f32_e32 vcc_lo, 0x3f2aaaab, v29
	v_add_f32_e32 v29, -1.0, v30
	s_delay_alu instid0(VALU_DEP_1) | instskip(NEXT) | instid1(VALU_DEP_1)
	v_sub_f32_e32 v32, v29, v30
	v_add_f32_e32 v32, 1.0, v32
	v_subrev_co_ci_u32_e32 v28, vcc_lo, 0, v28, vcc_lo
	v_cmp_eq_f32_e32 vcc_lo, 0x7f800000, v13
	s_delay_alu instid0(VALU_DEP_2) | instskip(SKIP_1) | instid1(VALU_DEP_2)
	v_sub_nc_u32_e32 v31, 0, v28
	v_cvt_f32_i32_e32 v28, v28
	v_ldexp_f32 v30, v30, v31
	v_sub_f32_e32 v29, v13, v29
	s_delay_alu instid0(VALU_DEP_1) | instskip(NEXT) | instid1(VALU_DEP_1)
	v_add_f32_e32 v29, v29, v32
	v_ldexp_f32 v29, v29, v31
	s_delay_alu instid0(VALU_DEP_4) | instskip(NEXT) | instid1(VALU_DEP_1)
	v_add_f32_e32 v31, -1.0, v30
	v_dual_add_f32 v33, 1.0, v30 :: v_dual_add_f32 v34, 1.0, v31
	s_delay_alu instid0(VALU_DEP_1) | instskip(NEXT) | instid1(VALU_DEP_1)
	v_add_f32_e32 v32, -1.0, v33
	v_sub_f32_e32 v32, v30, v32
	s_delay_alu instid0(VALU_DEP_3) | instskip(NEXT) | instid1(VALU_DEP_2)
	v_sub_f32_e32 v30, v30, v34
	v_add_f32_e32 v32, v29, v32
	s_delay_alu instid0(VALU_DEP_2) | instskip(NEXT) | instid1(VALU_DEP_1)
	v_add_f32_e32 v29, v29, v30
	v_dual_add_f32 v34, v33, v32 :: v_dual_add_f32 v35, v31, v29
	s_delay_alu instid0(VALU_DEP_1) | instskip(SKIP_1) | instid1(VALU_DEP_1)
	v_rcp_f32_e32 v30, v34
	v_sub_f32_e32 v33, v34, v33
	v_dual_sub_f32 v31, v35, v31 :: v_dual_sub_f32 v32, v32, v33
	s_waitcnt_depctr 0xfff
	v_dual_sub_f32 v29, v29, v31 :: v_dual_mul_f32 v36, v35, v30
	s_delay_alu instid0(VALU_DEP_1) | instskip(NEXT) | instid1(VALU_DEP_1)
	v_mul_f32_e32 v37, v34, v36
	v_fma_f32 v33, v36, v34, -v37
	s_delay_alu instid0(VALU_DEP_1) | instskip(NEXT) | instid1(VALU_DEP_1)
	v_fmac_f32_e32 v33, v36, v32
	v_add_f32_e32 v38, v37, v33
	s_delay_alu instid0(VALU_DEP_1) | instskip(SKIP_1) | instid1(VALU_DEP_2)
	v_sub_f32_e32 v39, v35, v38
	v_sub_f32_e32 v31, v38, v37
	;; [unrolled: 1-line block ×3, first 2 shown]
	s_delay_alu instid0(VALU_DEP_2) | instskip(NEXT) | instid1(VALU_DEP_2)
	v_sub_f32_e32 v31, v31, v33
	v_sub_f32_e32 v35, v35, v38
	s_delay_alu instid0(VALU_DEP_1) | instskip(NEXT) | instid1(VALU_DEP_1)
	v_add_f32_e32 v29, v29, v35
	v_add_f32_e32 v29, v31, v29
	s_delay_alu instid0(VALU_DEP_1) | instskip(NEXT) | instid1(VALU_DEP_1)
	v_add_f32_e32 v31, v39, v29
	v_mul_f32_e32 v33, v30, v31
	s_delay_alu instid0(VALU_DEP_1) | instskip(NEXT) | instid1(VALU_DEP_1)
	v_mul_f32_e32 v35, v34, v33
	v_fma_f32 v34, v33, v34, -v35
	s_delay_alu instid0(VALU_DEP_1) | instskip(SKIP_1) | instid1(VALU_DEP_2)
	v_fmac_f32_e32 v34, v33, v32
	v_sub_f32_e32 v38, v39, v31
	v_add_f32_e32 v32, v35, v34
	s_delay_alu instid0(VALU_DEP_2) | instskip(NEXT) | instid1(VALU_DEP_2)
	v_add_f32_e32 v29, v29, v38
	v_sub_f32_e32 v37, v31, v32
	v_sub_f32_e32 v35, v32, v35
	s_delay_alu instid0(VALU_DEP_2) | instskip(NEXT) | instid1(VALU_DEP_1)
	v_sub_f32_e32 v31, v31, v37
	v_sub_f32_e32 v31, v31, v32
	s_delay_alu instid0(VALU_DEP_1) | instskip(SKIP_1) | instid1(VALU_DEP_1)
	v_dual_sub_f32 v32, v35, v34 :: v_dual_add_f32 v29, v29, v31
	v_add_f32_e32 v31, v36, v33
	v_dual_add_f32 v29, v32, v29 :: v_dual_sub_f32 v32, v31, v36
	s_delay_alu instid0(VALU_DEP_1) | instskip(NEXT) | instid1(VALU_DEP_1)
	v_add_f32_e32 v29, v37, v29
	v_dual_sub_f32 v32, v33, v32 :: v_dual_mul_f32 v29, v30, v29
	s_delay_alu instid0(VALU_DEP_1) | instskip(NEXT) | instid1(VALU_DEP_1)
	v_add_f32_e32 v29, v32, v29
	v_add_f32_e32 v30, v31, v29
	s_delay_alu instid0(VALU_DEP_1) | instskip(NEXT) | instid1(VALU_DEP_1)
	v_mul_f32_e32 v32, v30, v30
	v_fmaak_f32 v33, s26, v32, 0x3ecc95a3
	v_mul_f32_e32 v34, v30, v32
	s_delay_alu instid0(VALU_DEP_2) | instskip(SKIP_2) | instid1(VALU_DEP_3)
	v_fmaak_f32 v32, v32, v33, 0x3f2aaada
	v_ldexp_f32 v33, v30, 1
	v_sub_f32_e32 v30, v30, v31
	v_mul_f32_e32 v32, v34, v32
	s_delay_alu instid0(VALU_DEP_2) | instskip(NEXT) | instid1(VALU_DEP_2)
	v_dual_mul_f32 v34, 0x3f317218, v28 :: v_dual_sub_f32 v29, v29, v30
	v_add_f32_e32 v31, v33, v32
	s_delay_alu instid0(VALU_DEP_2) | instskip(NEXT) | instid1(VALU_DEP_2)
	v_ldexp_f32 v29, v29, 1
	v_sub_f32_e32 v30, v31, v33
	s_delay_alu instid0(VALU_DEP_4) | instskip(NEXT) | instid1(VALU_DEP_1)
	v_fma_f32 v33, 0x3f317218, v28, -v34
	v_dual_sub_f32 v30, v32, v30 :: v_dual_fmac_f32 v33, 0xb102e308, v28
	s_delay_alu instid0(VALU_DEP_1) | instskip(NEXT) | instid1(VALU_DEP_1)
	v_dual_add_f32 v28, v29, v30 :: v_dual_add_f32 v29, v34, v33
	v_add_f32_e32 v30, v31, v28
	s_delay_alu instid0(VALU_DEP_2) | instskip(NEXT) | instid1(VALU_DEP_2)
	v_sub_f32_e32 v34, v29, v34
	v_dual_add_f32 v32, v29, v30 :: v_dual_sub_f32 v31, v30, v31
	s_delay_alu instid0(VALU_DEP_2) | instskip(NEXT) | instid1(VALU_DEP_2)
	v_sub_f32_e32 v33, v33, v34
	v_sub_f32_e32 v35, v32, v29
	s_delay_alu instid0(VALU_DEP_3) | instskip(NEXT) | instid1(VALU_DEP_2)
	v_sub_f32_e32 v28, v28, v31
	v_sub_f32_e32 v36, v32, v35
	s_delay_alu instid0(VALU_DEP_2) | instskip(NEXT) | instid1(VALU_DEP_2)
	v_dual_sub_f32 v30, v30, v35 :: v_dual_add_f32 v31, v33, v28
	v_sub_f32_e32 v29, v29, v36
	s_delay_alu instid0(VALU_DEP_1) | instskip(NEXT) | instid1(VALU_DEP_3)
	v_add_f32_e32 v29, v30, v29
	v_sub_f32_e32 v30, v31, v33
	s_delay_alu instid0(VALU_DEP_2) | instskip(NEXT) | instid1(VALU_DEP_2)
	v_add_f32_e32 v29, v31, v29
	v_sub_f32_e32 v31, v31, v30
	v_sub_f32_e32 v28, v28, v30
	s_delay_alu instid0(VALU_DEP_2) | instskip(NEXT) | instid1(VALU_DEP_1)
	v_dual_add_f32 v34, v32, v29 :: v_dual_sub_f32 v31, v33, v31
	v_sub_f32_e32 v30, v34, v32
	s_delay_alu instid0(VALU_DEP_1) | instskip(NEXT) | instid1(VALU_DEP_1)
	v_dual_add_f32 v28, v28, v31 :: v_dual_sub_f32 v29, v29, v30
	v_add_f32_e32 v28, v28, v29
	s_delay_alu instid0(VALU_DEP_1) | instskip(NEXT) | instid1(VALU_DEP_1)
	v_add_f32_e32 v28, v34, v28
	v_cndmask_b32_e32 v28, v28, v13, vcc_lo
	v_cmp_ngt_f32_e32 vcc_lo, -1.0, v13
	s_delay_alu instid0(VALU_DEP_2) | instskip(SKIP_1) | instid1(VALU_DEP_2)
	v_cndmask_b32_e32 v28, 0x7fc00000, v28, vcc_lo
	v_cmp_neq_f32_e32 vcc_lo, -1.0, v13
	v_cndmask_b32_e32 v28, 0xff800000, v28, vcc_lo
	v_cmp_gt_f32_e64 vcc_lo, 0x33800000, |v13|
	s_delay_alu instid0(VALU_DEP_2) | instskip(NEXT) | instid1(VALU_DEP_1)
	v_cndmask_b32_e32 v13, v28, v13, vcc_lo
	v_mul_f32_e32 v13, 0x3e800000, v13
	s_and_not1_saveexec_b32 s34, s34
	s_cbranch_execz .LBB75_73
	s_branch .LBB75_72
.LBB75_71:                              ;   in Loop: Header=BB75_4 Depth=1
	s_and_not1_saveexec_b32 s34, s34
	s_cbranch_execz .LBB75_73
.LBB75_72:                              ;   in Loop: Header=BB75_4 Depth=1
	v_cmp_gt_f32_e64 s35, 0x800000, |v15|
	s_delay_alu instid0(VALU_DEP_1) | instskip(NEXT) | instid1(VALU_DEP_1)
	v_cndmask_b32_e64 v13, 1.0, 0x4f800000, s35
	v_mul_f32_e64 v13, |v15|, v13
	s_delay_alu instid0(VALU_DEP_1) | instskip(SKIP_3) | instid1(VALU_DEP_2)
	v_log_f32_e32 v13, v13
	s_waitcnt_depctr 0xfff
	v_mul_f32_e32 v28, 0x3f317217, v13
	v_cmp_gt_f32_e64 vcc_lo, 0x7f800000, |v13|
	v_fma_f32 v29, 0x3f317217, v13, -v28
	s_delay_alu instid0(VALU_DEP_1) | instskip(NEXT) | instid1(VALU_DEP_1)
	v_fmac_f32_e32 v29, 0x3377d1cf, v13
	v_add_f32_e32 v28, v28, v29
	s_delay_alu instid0(VALU_DEP_1) | instskip(SKIP_1) | instid1(VALU_DEP_1)
	v_cndmask_b32_e32 v13, v13, v28, vcc_lo
	v_cndmask_b32_e64 v28, 0, 0x41b17218, s35
	v_sub_f32_e32 v13, v13, v28
	s_delay_alu instid0(VALU_DEP_1) | instskip(NEXT) | instid1(VALU_DEP_1)
	v_sub_f32_e32 v13, 0x3f317218, v13
	v_mul_f32_e32 v13, 0.5, v13
.LBB75_73:                              ;   in Loop: Header=BB75_4 Depth=1
	s_or_b32 exec_lo, exec_lo, s34
                                        ; implicit-def: $vgpr29
	s_and_saveexec_b32 s34, s7
	s_delay_alu instid0(SALU_CYCLE_1)
	s_xor_b32 s34, exec_lo, s34
	s_cbranch_execz .LBB75_79
; %bb.74:                               ;   in Loop: Header=BB75_4 Depth=1
	v_sub_f32_e64 v28, 1.0, |v16|
	v_add_f32_e64 v29, |v16|, 1.0
	v_add_f32_e64 v14, |v15|, |v15|
	s_delay_alu instid0(VALU_DEP_2) | instskip(SKIP_1) | instid1(SALU_CYCLE_1)
	v_mul_f32_e32 v28, v28, v29
                                        ; implicit-def: $vgpr29
	s_and_saveexec_b32 s7, s6
	s_xor_b32 s7, exec_lo, s7
	s_cbranch_execz .LBB75_76
; %bb.75:                               ;   in Loop: Header=BB75_4 Depth=1
	s_delay_alu instid0(VALU_DEP_1) | instskip(SKIP_3) | instid1(VALU_DEP_4)
	v_fma_f32 v28, -v15, v15, v28
	v_max_f32_e64 v29, |v14|, |v14|
	v_cmp_eq_f32_e64 s6, 0, v14
	v_cmp_class_f32_e64 s35, v14, 0x204
	v_cmp_gt_f32_e64 vcc_lo, |v14|, |v28|
	s_delay_alu instid0(VALU_DEP_4) | instskip(SKIP_2) | instid1(VALU_DEP_3)
	v_max_f32_e64 v30, |v28|, v29
	v_min_f32_e64 v29, |v28|, v29
	v_cmp_class_f32_e64 s36, v28, 0x204
	v_frexp_mant_f32_e32 v31, v30
	v_frexp_exp_i32_f32_e32 v30, v30
	s_delay_alu instid0(VALU_DEP_4) | instskip(SKIP_1) | instid1(VALU_DEP_4)
	v_frexp_exp_i32_f32_e32 v32, v29
	v_frexp_mant_f32_e32 v29, v29
	v_rcp_f32_e32 v31, v31
	s_delay_alu instid0(VALU_DEP_2) | instskip(SKIP_2) | instid1(VALU_DEP_1)
	v_sub_nc_u32_e32 v30, v32, v30
	s_waitcnt_depctr 0xfff
	v_mul_f32_e32 v29, v29, v31
	v_ldexp_f32 v29, v29, v30
	s_delay_alu instid0(VALU_DEP_1) | instskip(NEXT) | instid1(VALU_DEP_1)
	v_mul_f32_e32 v30, v29, v29
	v_fmaak_f32 v31, s27, v30, 0xbc7a590c
	s_delay_alu instid0(VALU_DEP_1) | instskip(NEXT) | instid1(VALU_DEP_1)
	v_fmaak_f32 v31, v30, v31, 0x3d29fb3f
	v_fmaak_f32 v31, v30, v31, 0xbd97d4d7
	s_delay_alu instid0(VALU_DEP_1) | instskip(NEXT) | instid1(VALU_DEP_1)
	v_fmaak_f32 v31, v30, v31, 0x3dd931b2
	;; [unrolled: 3-line block ×3, first 2 shown]
	v_fmaak_f32 v31, v30, v31, 0xbeaaaa62
	s_delay_alu instid0(VALU_DEP_1) | instskip(NEXT) | instid1(VALU_DEP_1)
	v_mul_f32_e32 v30, v30, v31
	v_fmac_f32_e32 v29, v29, v30
	s_delay_alu instid0(VALU_DEP_1) | instskip(NEXT) | instid1(VALU_DEP_1)
	v_sub_f32_e32 v30, 0x3fc90fdb, v29
	v_cndmask_b32_e32 v29, v29, v30, vcc_lo
	v_cmp_gt_i32_e32 vcc_lo, 0, v28
	s_delay_alu instid0(VALU_DEP_2) | instskip(SKIP_2) | instid1(VALU_DEP_3)
	v_sub_f32_e32 v30, 0x40490fdb, v29
	v_cndmask_b32_e64 v31, 0, 0x40490fdb, vcc_lo
	v_cmp_gt_f32_e32 vcc_lo, 0, v28
	v_cndmask_b32_e32 v29, v29, v30, vcc_lo
	v_cndmask_b32_e32 v30, 0x3f490fdb, v27, vcc_lo
	s_and_b32 vcc_lo, s35, s36
	s_delay_alu instid0(VALU_DEP_2) | instskip(NEXT) | instid1(VALU_DEP_1)
	v_cndmask_b32_e64 v29, v29, v31, s6
	v_cndmask_b32_e32 v29, v29, v30, vcc_lo
	v_cmp_o_f32_e32 vcc_lo, v28, v14
	s_delay_alu instid0(VALU_DEP_2) | instskip(NEXT) | instid1(VALU_DEP_1)
	v_cndmask_b32_e32 v28, 0x7fc00000, v29, vcc_lo
	v_bfi_b32 v29, 0x7fffffff, v28, v14
                                        ; implicit-def: $vgpr14
                                        ; implicit-def: $vgpr28
.LBB75_76:                              ;   in Loop: Header=BB75_4 Depth=1
	s_and_not1_saveexec_b32 s35, s7
	s_cbranch_execz .LBB75_78
; %bb.77:                               ;   in Loop: Header=BB75_4 Depth=1
	v_max_f32_e32 v29, v14, v14
	v_max_f32_e64 v30, |v28|, |v28|
	v_cmp_gt_f32_e64 vcc_lo, v14, |v28|
	v_cmp_eq_f32_e64 s7, 0, v14
	v_cmp_class_f32_e64 s36, v28, 0x204
	v_cmp_eq_f32_e64 s6, 0x7f800000, v14
	v_max_f32_e32 v31, v30, v29
	v_min_f32_e32 v29, v30, v29
	s_delay_alu instid0(VALU_DEP_2) | instskip(SKIP_1) | instid1(VALU_DEP_2)
	v_frexp_mant_f32_e32 v32, v31
	v_frexp_exp_i32_f32_e32 v31, v31
	v_rcp_f32_e32 v30, v32
	s_delay_alu instid0(VALU_DEP_3) | instskip(SKIP_1) | instid1(VALU_DEP_2)
	v_frexp_exp_i32_f32_e32 v32, v29
	v_frexp_mant_f32_e32 v29, v29
	v_sub_nc_u32_e32 v31, v32, v31
	s_waitcnt_depctr 0xfff
	v_mul_f32_e32 v29, v29, v30
	s_delay_alu instid0(VALU_DEP_1) | instskip(NEXT) | instid1(VALU_DEP_1)
	v_ldexp_f32 v29, v29, v31
	v_mul_f32_e32 v30, v29, v29
	s_delay_alu instid0(VALU_DEP_1) | instskip(NEXT) | instid1(VALU_DEP_1)
	v_fmaak_f32 v31, s27, v30, 0xbc7a590c
	v_fmaak_f32 v31, v30, v31, 0x3d29fb3f
	s_delay_alu instid0(VALU_DEP_1) | instskip(NEXT) | instid1(VALU_DEP_1)
	v_fmaak_f32 v31, v30, v31, 0xbd97d4d7
	v_fmaak_f32 v31, v30, v31, 0x3dd931b2
	;; [unrolled: 3-line block ×3, first 2 shown]
	s_delay_alu instid0(VALU_DEP_1) | instskip(NEXT) | instid1(VALU_DEP_1)
	v_fmaak_f32 v31, v30, v31, 0xbeaaaa62
	v_mul_f32_e32 v30, v30, v31
	s_delay_alu instid0(VALU_DEP_1) | instskip(NEXT) | instid1(VALU_DEP_1)
	v_fmac_f32_e32 v29, v29, v30
	v_sub_f32_e32 v30, 0x3fc90fdb, v29
	s_delay_alu instid0(VALU_DEP_1) | instskip(SKIP_1) | instid1(VALU_DEP_2)
	v_cndmask_b32_e32 v29, v29, v30, vcc_lo
	v_cmp_gt_i32_e32 vcc_lo, 0, v28
	v_sub_f32_e32 v30, 0x40490fdb, v29
	v_cndmask_b32_e64 v31, 0, 0x40490fdb, vcc_lo
	v_cmp_gt_f32_e32 vcc_lo, 0, v28
	s_delay_alu instid0(VALU_DEP_3) | instskip(NEXT) | instid1(VALU_DEP_1)
	v_cndmask_b32_e32 v29, v29, v30, vcc_lo
	v_cndmask_b32_e64 v14, v29, v31, s7
	v_cndmask_b32_e32 v29, 0x3f490fdb, v27, vcc_lo
	s_and_b32 vcc_lo, s6, s36
	s_delay_alu instid0(VALU_DEP_1) | instskip(SKIP_1) | instid1(VALU_DEP_2)
	v_cndmask_b32_e32 v14, v14, v29, vcc_lo
	v_cmp_o_f32_e32 vcc_lo, v28, v28
	v_cndmask_b32_e64 v29, 0x7fc00000, |v14|, vcc_lo
.LBB75_78:                              ;   in Loop: Header=BB75_4 Depth=1
	s_or_b32 exec_lo, exec_lo, s35
                                        ; implicit-def: $vgpr14
	s_and_not1_saveexec_b32 s6, s34
	s_cbranch_execnz .LBB75_80
	s_branch .LBB75_81
.LBB75_79:                              ;   in Loop: Header=BB75_4 Depth=1
	s_and_not1_saveexec_b32 s6, s34
	s_cbranch_execz .LBB75_81
.LBB75_80:                              ;   in Loop: Header=BB75_4 Depth=1
	v_max_f32_e32 v28, 2.0, v14
	v_min_f32_e32 v14, 2.0, v14
	v_cmp_lt_f32_e64 vcc_lo, |v15|, 2.0
	s_delay_alu instid0(VALU_DEP_3) | instskip(NEXT) | instid1(VALU_DEP_3)
	v_frexp_mant_f32_e32 v29, v28
	v_frexp_mant_f32_e32 v30, v14
	v_frexp_exp_i32_f32_e32 v14, v14
	s_delay_alu instid0(VALU_DEP_3) | instskip(SKIP_3) | instid1(VALU_DEP_1)
	v_rcp_f32_e32 v29, v29
	s_waitcnt_depctr 0xfff
	v_mul_f32_e32 v29, v30, v29
	v_frexp_exp_i32_f32_e32 v28, v28
	v_sub_nc_u32_e32 v14, v14, v28
	s_delay_alu instid0(VALU_DEP_1) | instskip(NEXT) | instid1(VALU_DEP_1)
	v_ldexp_f32 v14, v29, v14
	v_mul_f32_e32 v28, v14, v14
	s_delay_alu instid0(VALU_DEP_1) | instskip(NEXT) | instid1(VALU_DEP_1)
	v_fmaak_f32 v29, s27, v28, 0xbc7a590c
	v_fmaak_f32 v29, v28, v29, 0x3d29fb3f
	s_delay_alu instid0(VALU_DEP_1) | instskip(NEXT) | instid1(VALU_DEP_1)
	v_fmaak_f32 v29, v28, v29, 0xbd97d4d7
	v_fmaak_f32 v29, v28, v29, 0x3dd931b2
	;; [unrolled: 3-line block ×3, first 2 shown]
	s_delay_alu instid0(VALU_DEP_1) | instskip(NEXT) | instid1(VALU_DEP_1)
	v_fmaak_f32 v29, v28, v29, 0xbeaaaa62
	v_mul_f32_e32 v28, v28, v29
	s_delay_alu instid0(VALU_DEP_1) | instskip(NEXT) | instid1(VALU_DEP_1)
	v_fmac_f32_e32 v14, v14, v28
	v_sub_f32_e32 v28, 0x3fc90fdb, v14
	s_delay_alu instid0(VALU_DEP_1) | instskip(SKIP_1) | instid1(VALU_DEP_2)
	v_cndmask_b32_e32 v14, v14, v28, vcc_lo
	v_cmp_lg_f32_e32 vcc_lo, 0, v15
	v_sub_f32_e32 v28, 0x40490fdb, v14
	s_delay_alu instid0(VALU_DEP_1) | instskip(NEXT) | instid1(VALU_DEP_1)
	v_cndmask_b32_e32 v14, v14, v28, vcc_lo
	v_and_b32_e32 v29, 0x7fffffff, v14
.LBB75_81:                              ;   in Loop: Header=BB75_4 Depth=1
	s_or_b32 exec_lo, exec_lo, s6
	s_delay_alu instid0(VALU_DEP_1) | instskip(SKIP_1) | instid1(VALU_DEP_2)
	v_mul_f32_e32 v28, 0.5, v29
	v_bfi_b32 v14, 0x7fffffff, v13, v16
	v_bfi_b32 v13, 0x7fffffff, v28, v15
                                        ; implicit-def: $vgpr15
.LBB75_82:                              ;   in Loop: Header=BB75_4 Depth=1
	s_and_not1_saveexec_b32 s6, s33
	s_cbranch_execz .LBB75_84
; %bb.83:                               ;   in Loop: Header=BB75_4 Depth=1
	v_dual_mov_b32 v13, s14 :: v_dual_mov_b32 v14, s15
	flat_store_b32 v[13:14], v26 dlc
	s_waitcnt_vscnt null, 0x0
	flat_load_b32 v13, v[13:14] glc dlc
	s_waitcnt vmcnt(0) lgkmcnt(0)
	v_dual_add_f32 v28, 1.0, v13 :: v_dual_mov_b32 v13, s16
	v_mov_b32_e32 v14, s17
	flat_store_b32 v[13:14], v28 dlc
	s_waitcnt_vscnt null, 0x0
	flat_load_b32 v13, v[13:14] glc dlc
	s_waitcnt vmcnt(0) lgkmcnt(0)
	v_dual_mov_b32 v13, v15 :: v_dual_mov_b32 v14, v16
.LBB75_84:                              ;   in Loop: Header=BB75_4 Depth=1
	s_or_b32 exec_lo, exec_lo, s6
                                        ; implicit-def: $vgpr15
.LBB75_85:                              ;   in Loop: Header=BB75_4 Depth=1
	s_and_not1_saveexec_b32 s6, s31
	s_cbranch_execz .LBB75_99
; %bb.86:                               ;   in Loop: Header=BB75_4 Depth=1
	v_and_b32_e32 v13, 0x7f800000, v16
	v_and_b32_e32 v28, 0x7f800000, v15
	v_cmp_neq_f32_e64 s7, 0x7f800000, |v16|
	s_delay_alu instid0(VALU_DEP_2) | instskip(NEXT) | instid1(VALU_DEP_1)
	v_sub_nc_u32_e32 v14, v13, v28
	v_cmp_gt_i32_e32 vcc_lo, 0x6800000, v14
                                        ; implicit-def: $vgpr14
	s_delay_alu instid0(VALU_DEP_3) | instskip(NEXT) | instid1(SALU_CYCLE_1)
	s_and_b32 s7, s7, vcc_lo
	s_and_saveexec_b32 s31, s7
	s_delay_alu instid0(SALU_CYCLE_1)
	s_xor_b32 s7, exec_lo, s31
	s_cbranch_execz .LBB75_96
; %bb.87:                               ;   in Loop: Header=BB75_4 Depth=1
	v_sub_nc_u32_e32 v14, v28, v13
	s_delay_alu instid0(VALU_DEP_1) | instskip(SKIP_1) | instid1(SALU_CYCLE_1)
	v_cmp_gt_i32_e32 vcc_lo, 0x6800000, v14
                                        ; implicit-def: $vgpr14
	s_and_saveexec_b32 s31, vcc_lo
	s_xor_b32 s31, exec_lo, s31
	s_cbranch_execz .LBB75_93
; %bb.88:                               ;   in Loop: Header=BB75_4 Depth=1
	s_mov_b32 s33, exec_lo
                                        ; implicit-def: $vgpr14
	v_cmpx_lt_u32_e32 0x59000000, v13
	s_xor_b32 s33, exec_lo, s33
	s_cbranch_execz .LBB75_90
; %bb.89:                               ;   in Loop: Header=BB75_4 Depth=1
	v_sub_nc_u32_e32 v13, 0x7f800000, v13
	s_delay_alu instid0(VALU_DEP_1) | instskip(SKIP_1) | instid1(VALU_DEP_2)
	v_mul_f32_e32 v14, v15, v13
	v_mul_f32_e32 v16, v16, v13
	;; [unrolled: 1-line block ×3, first 2 shown]
	s_delay_alu instid0(VALU_DEP_1) | instskip(NEXT) | instid1(VALU_DEP_1)
	v_fmac_f32_e32 v14, v16, v16
	v_div_scale_f32 v28, null, v14, v14, v16
	s_delay_alu instid0(VALU_DEP_1) | instskip(SKIP_2) | instid1(VALU_DEP_1)
	v_rcp_f32_e32 v29, v28
	s_waitcnt_depctr 0xfff
	v_fma_f32 v30, -v28, v29, 1.0
	v_fmac_f32_e32 v29, v30, v29
	v_div_scale_f32 v30, vcc_lo, v16, v14, v16
	s_delay_alu instid0(VALU_DEP_1) | instskip(NEXT) | instid1(VALU_DEP_1)
	v_mul_f32_e32 v31, v30, v29
	v_fma_f32 v32, -v28, v31, v30
	s_delay_alu instid0(VALU_DEP_1) | instskip(NEXT) | instid1(VALU_DEP_1)
	v_fmac_f32_e32 v31, v32, v29
	v_fma_f32 v28, -v28, v31, v30
	s_delay_alu instid0(VALU_DEP_1) | instskip(NEXT) | instid1(VALU_DEP_1)
	v_div_fmas_f32 v28, v28, v29, v31
	v_div_fixup_f32 v14, v28, v14, v16
	s_delay_alu instid0(VALU_DEP_1)
	v_mul_f32_e32 v14, v14, v13
.LBB75_90:                              ;   in Loop: Header=BB75_4 Depth=1
	s_and_not1_saveexec_b32 s33, s33
	s_cbranch_execz .LBB75_92
; %bb.91:                               ;   in Loop: Header=BB75_4 Depth=1
	v_mul_f32_e32 v13, v15, v15
	s_delay_alu instid0(VALU_DEP_1) | instskip(NEXT) | instid1(VALU_DEP_1)
	v_fmac_f32_e32 v13, v16, v16
	v_div_scale_f32 v14, null, v13, v13, v16
	s_delay_alu instid0(VALU_DEP_1) | instskip(SKIP_2) | instid1(VALU_DEP_1)
	v_rcp_f32_e32 v28, v14
	s_waitcnt_depctr 0xfff
	v_fma_f32 v29, -v14, v28, 1.0
	v_fmac_f32_e32 v28, v29, v28
	v_div_scale_f32 v29, vcc_lo, v16, v13, v16
	s_delay_alu instid0(VALU_DEP_1) | instskip(NEXT) | instid1(VALU_DEP_1)
	v_mul_f32_e32 v30, v29, v28
	v_fma_f32 v31, -v14, v30, v29
	s_delay_alu instid0(VALU_DEP_1) | instskip(NEXT) | instid1(VALU_DEP_1)
	v_fmac_f32_e32 v30, v31, v28
	v_fma_f32 v14, -v14, v30, v29
	s_delay_alu instid0(VALU_DEP_1) | instskip(NEXT) | instid1(VALU_DEP_1)
	v_div_fmas_f32 v14, v14, v28, v30
	v_div_fixup_f32 v14, v14, v13, v16
.LBB75_92:                              ;   in Loop: Header=BB75_4 Depth=1
	s_or_b32 exec_lo, exec_lo, s33
.LBB75_93:                              ;   in Loop: Header=BB75_4 Depth=1
	s_and_not1_saveexec_b32 s31, s31
	s_cbranch_execz .LBB75_95
; %bb.94:                               ;   in Loop: Header=BB75_4 Depth=1
	v_div_scale_f32 v13, null, v15, v15, v16
	v_div_scale_f32 v29, vcc_lo, v16, v15, v16
	s_delay_alu instid0(VALU_DEP_2) | instskip(SKIP_2) | instid1(VALU_DEP_1)
	v_rcp_f32_e32 v14, v13
	s_waitcnt_depctr 0xfff
	v_fma_f32 v28, -v13, v14, 1.0
	v_fmac_f32_e32 v14, v28, v14
	s_delay_alu instid0(VALU_DEP_1) | instskip(NEXT) | instid1(VALU_DEP_1)
	v_mul_f32_e32 v28, v29, v14
	v_fma_f32 v30, -v13, v28, v29
	s_delay_alu instid0(VALU_DEP_1) | instskip(NEXT) | instid1(VALU_DEP_1)
	v_fmac_f32_e32 v28, v30, v14
	v_fma_f32 v13, -v13, v28, v29
	s_delay_alu instid0(VALU_DEP_1) | instskip(NEXT) | instid1(VALU_DEP_1)
	v_div_fmas_f32 v13, v13, v14, v28
	v_div_fixup_f32 v13, v13, v15, v16
	s_delay_alu instid0(VALU_DEP_1) | instskip(NEXT) | instid1(VALU_DEP_1)
	v_div_scale_f32 v14, null, v15, v15, v13
	v_rcp_f32_e32 v16, v14
	s_waitcnt_depctr 0xfff
	v_fma_f32 v28, -v14, v16, 1.0
	s_delay_alu instid0(VALU_DEP_1) | instskip(SKIP_1) | instid1(VALU_DEP_1)
	v_fmac_f32_e32 v16, v28, v16
	v_div_scale_f32 v28, vcc_lo, v13, v15, v13
	v_mul_f32_e32 v29, v28, v16
	s_delay_alu instid0(VALU_DEP_1) | instskip(NEXT) | instid1(VALU_DEP_1)
	v_fma_f32 v30, -v14, v29, v28
	v_fmac_f32_e32 v29, v30, v16
	s_delay_alu instid0(VALU_DEP_1) | instskip(NEXT) | instid1(VALU_DEP_1)
	v_fma_f32 v14, -v14, v29, v28
	v_div_fmas_f32 v14, v14, v16, v29
	s_delay_alu instid0(VALU_DEP_1)
	v_div_fixup_f32 v14, v14, v15, v13
.LBB75_95:                              ;   in Loop: Header=BB75_4 Depth=1
	s_or_b32 exec_lo, exec_lo, s31
.LBB75_96:                              ;   in Loop: Header=BB75_4 Depth=1
	s_and_not1_saveexec_b32 s7, s7
; %bb.97:                               ;   in Loop: Header=BB75_4 Depth=1
	v_div_scale_f32 v13, null, v16, v16, 1.0
	s_delay_alu instid0(VALU_DEP_1) | instskip(SKIP_2) | instid1(VALU_DEP_1)
	v_rcp_f32_e32 v14, v13
	s_waitcnt_depctr 0xfff
	v_fma_f32 v28, -v13, v14, 1.0
	v_fmac_f32_e32 v14, v28, v14
	v_div_scale_f32 v28, vcc_lo, 1.0, v16, 1.0
	s_delay_alu instid0(VALU_DEP_1) | instskip(NEXT) | instid1(VALU_DEP_1)
	v_mul_f32_e32 v29, v28, v14
	v_fma_f32 v30, -v13, v29, v28
	s_delay_alu instid0(VALU_DEP_1) | instskip(NEXT) | instid1(VALU_DEP_1)
	v_fmac_f32_e32 v29, v30, v14
	v_fma_f32 v13, -v13, v29, v28
	s_delay_alu instid0(VALU_DEP_1) | instskip(NEXT) | instid1(VALU_DEP_1)
	v_div_fmas_f32 v13, v13, v14, v29
	v_div_fixup_f32 v14, v13, v16, 1.0
; %bb.98:                               ;   in Loop: Header=BB75_4 Depth=1
	s_or_b32 exec_lo, exec_lo, s7
	v_dual_mov_b32 v29, s13 :: v_dual_mov_b32 v28, s12
	flat_load_b32 v13, v[28:29] glc dlc
	s_waitcnt vmcnt(0) lgkmcnt(0)
	v_add_f32_e32 v13, 0x3fc90fdb, v13
	s_delay_alu instid0(VALU_DEP_1)
	v_bfi_b32 v13, 0x7fffffff, v13, v15
.LBB75_99:                              ;   in Loop: Header=BB75_4 Depth=1
	s_or_b32 exec_lo, exec_lo, s6
                                        ; implicit-def: $vgpr16
.LBB75_100:                             ;   in Loop: Header=BB75_4 Depth=1
	s_and_not1_saveexec_b32 s6, s30
	s_cbranch_execz .LBB75_110
; %bb.101:                              ;   in Loop: Header=BB75_4 Depth=1
	v_cmp_neq_f32_e64 s7, 0x7f800000, |v16|
                                        ; implicit-def: $vgpr13
	s_delay_alu instid0(VALU_DEP_1) | instskip(NEXT) | instid1(SALU_CYCLE_1)
	s_and_saveexec_b32 s30, s7
	s_xor_b32 s7, exec_lo, s30
	s_cbranch_execz .LBB75_107
; %bb.102:                              ;   in Loop: Header=BB75_4 Depth=1
	v_cmp_neq_f32_e64 s30, 0x7f800000, |v15|
                                        ; implicit-def: $vgpr13
	s_delay_alu instid0(VALU_DEP_1) | instskip(NEXT) | instid1(SALU_CYCLE_1)
	s_and_saveexec_b32 s31, s30
	s_xor_b32 s30, exec_lo, s31
; %bb.103:                              ;   in Loop: Header=BB75_4 Depth=1
	v_add_f32_e32 v13, 0, v15
	s_delay_alu instid0(VALU_DEP_1)
	v_add_f32_e32 v13, v16, v13
                                        ; implicit-def: $vgpr16
; %bb.104:                              ;   in Loop: Header=BB75_4 Depth=1
	s_or_saveexec_b32 s30, s30
	s_delay_alu instid0(VALU_DEP_1)
	v_mov_b32_e32 v14, v13
	s_xor_b32 exec_lo, exec_lo, s30
	s_cbranch_execz .LBB75_106
; %bb.105:                              ;   in Loop: Header=BB75_4 Depth=1
	v_dual_mov_b32 v14, s13 :: v_dual_mov_b32 v13, s12
	flat_load_b32 v13, v[13:14] glc dlc
	s_waitcnt vmcnt(0)
	v_bfi_b32 v14, 0x7fffffff, 0, v16
	s_waitcnt lgkmcnt(0)
	v_add_f32_e32 v13, 0x3fc90fdb, v13
	s_delay_alu instid0(VALU_DEP_1)
	v_bfi_b32 v13, 0x7fffffff, v13, v15
.LBB75_106:                             ;   in Loop: Header=BB75_4 Depth=1
	s_or_b32 exec_lo, exec_lo, s30
                                        ; implicit-def: $vgpr16
.LBB75_107:                             ;   in Loop: Header=BB75_4 Depth=1
	s_and_not1_saveexec_b32 s7, s7
; %bb.108:                              ;   in Loop: Header=BB75_4 Depth=1
	v_bfi_b32 v14, 0x7fffffff, 0, v16
	v_add_f32_e32 v13, v15, v15
; %bb.109:                              ;   in Loop: Header=BB75_4 Depth=1
	s_or_b32 exec_lo, exec_lo, s7
.LBB75_110:                             ;   in Loop: Header=BB75_4 Depth=1
	s_delay_alu instid0(SALU_CYCLE_1)
	s_or_b32 exec_lo, exec_lo, s6
                                        ; implicit-def: $vgpr15
.LBB75_111:                             ;   in Loop: Header=BB75_4 Depth=1
	s_and_not1_saveexec_b32 s6, s29
	s_cbranch_execz .LBB75_113
; %bb.112:                              ;   in Loop: Header=BB75_4 Depth=1
	v_rcp_f32_e64 v13, |v15|
	v_cmp_gt_f32_e64 vcc_lo, |v15|, 1.0
	s_waitcnt_depctr 0xfff
	v_cndmask_b32_e64 v13, |v15|, v13, vcc_lo
	s_delay_alu instid0(VALU_DEP_1) | instskip(NEXT) | instid1(VALU_DEP_1)
	v_mul_f32_e32 v14, v13, v13
	v_fmaak_f32 v28, s27, v14, 0xbc7a590c
	s_delay_alu instid0(VALU_DEP_1) | instskip(NEXT) | instid1(VALU_DEP_1)
	v_fmaak_f32 v28, v14, v28, 0x3d29fb3f
	v_fmaak_f32 v28, v14, v28, 0xbd97d4d7
	s_delay_alu instid0(VALU_DEP_1) | instskip(NEXT) | instid1(VALU_DEP_1)
	v_fmaak_f32 v28, v14, v28, 0x3dd931b2
	;; [unrolled: 3-line block ×3, first 2 shown]
	v_fmaak_f32 v28, v14, v28, 0xbeaaaa62
	s_delay_alu instid0(VALU_DEP_1) | instskip(NEXT) | instid1(VALU_DEP_1)
	v_mul_f32_e32 v14, v14, v28
	v_fmac_f32_e32 v13, v13, v14
	s_delay_alu instid0(VALU_DEP_1) | instskip(NEXT) | instid1(VALU_DEP_1)
	v_sub_f32_e32 v14, 0x3fc90fdb, v13
	v_dual_cndmask_b32 v13, v13, v14 :: v_dual_mov_b32 v14, v16
	s_delay_alu instid0(VALU_DEP_1)
	v_bfi_b32 v13, 0x7fffffff, v13, v15
.LBB75_113:                             ;   in Loop: Header=BB75_4 Depth=1
	s_or_b32 exec_lo, exec_lo, s6
                                        ; implicit-def: $vgpr16
.LBB75_114:                             ;   in Loop: Header=BB75_4 Depth=1
	s_and_not1_saveexec_b32 s6, s28
	s_cbranch_execz .LBB75_116
; %bb.115:                              ;   in Loop: Header=BB75_4 Depth=1
	v_sub_f32_e64 v13, 1.0, |v16|
	v_add_f32_e64 v28, |v16|, 1.0
	v_cmp_gt_f32_e64 s7, 0x39800000, |v16|
	s_delay_alu instid0(VALU_DEP_3) | instskip(SKIP_1) | instid1(VALU_DEP_1)
	v_rcp_f32_e32 v14, v13
	v_sub_f32_e32 v30, 1.0, v13
	v_sub_f32_e64 v30, v30, |v16|
	s_waitcnt_depctr 0xfff
	v_mul_f32_e32 v29, v28, v14
	s_delay_alu instid0(VALU_DEP_1) | instskip(NEXT) | instid1(VALU_DEP_1)
	v_mul_f32_e32 v31, v13, v29
	v_fma_f32 v13, v29, v13, -v31
	s_delay_alu instid0(VALU_DEP_1) | instskip(NEXT) | instid1(VALU_DEP_1)
	v_fmac_f32_e32 v13, v29, v30
	v_add_f32_e32 v30, v31, v13
	s_delay_alu instid0(VALU_DEP_1) | instskip(NEXT) | instid1(VALU_DEP_1)
	v_sub_f32_e32 v32, v28, v30
	v_sub_f32_e32 v33, v28, v32
	v_dual_sub_f32 v31, v30, v31 :: v_dual_add_f32 v28, -1.0, v28
	s_delay_alu instid0(VALU_DEP_1) | instskip(NEXT) | instid1(VALU_DEP_2)
	v_dual_sub_f32 v30, v33, v30 :: v_dual_sub_f32 v13, v31, v13
	v_sub_f32_e64 v28, |v16|, v28
	s_delay_alu instid0(VALU_DEP_2) | instskip(NEXT) | instid1(VALU_DEP_1)
	v_add_f32_e32 v13, v13, v30
	v_add_f32_e32 v13, v28, v13
	s_delay_alu instid0(VALU_DEP_1) | instskip(NEXT) | instid1(VALU_DEP_1)
	v_add_f32_e32 v13, v32, v13
	v_mul_f32_e32 v28, v14, v13
	s_delay_alu instid0(VALU_DEP_1) | instskip(NEXT) | instid1(VALU_DEP_1)
	v_add_f32_e32 v30, v29, v28
	v_cvt_f64_f32_e32 v[13:14], v30
	v_sub_f32_e32 v29, v30, v29
	s_delay_alu instid0(VALU_DEP_2) | instskip(SKIP_1) | instid1(VALU_DEP_1)
	v_frexp_exp_i32_f64_e32 v13, v[13:14]
	v_frexp_mant_f32_e32 v14, v30
	v_cmp_gt_f32_e32 vcc_lo, 0x3f2aaaab, v14
	s_delay_alu instid0(VALU_DEP_3) | instskip(SKIP_1) | instid1(VALU_DEP_2)
	v_subrev_co_ci_u32_e32 v13, vcc_lo, 0, v13, vcc_lo
	v_cmp_ngt_f32_e64 vcc_lo, |v16|, 1.0
	v_sub_nc_u32_e32 v14, 0, v13
	v_cvt_f32_i32_e32 v13, v13
	s_delay_alu instid0(VALU_DEP_2) | instskip(SKIP_1) | instid1(VALU_DEP_2)
	v_ldexp_f32 v31, v30, v14
	v_sub_f32_e32 v28, v28, v29
	v_add_f32_e32 v30, 1.0, v31
	s_delay_alu instid0(VALU_DEP_2) | instskip(NEXT) | instid1(VALU_DEP_2)
	v_ldexp_f32 v14, v28, v14
	v_dual_add_f32 v28, -1.0, v31 :: v_dual_add_f32 v29, -1.0, v30
	s_delay_alu instid0(VALU_DEP_1) | instskip(NEXT) | instid1(VALU_DEP_1)
	v_dual_add_f32 v32, 1.0, v28 :: v_dual_sub_f32 v29, v31, v29
	v_sub_f32_e32 v31, v31, v32
	s_delay_alu instid0(VALU_DEP_2) | instskip(NEXT) | instid1(VALU_DEP_2)
	v_add_f32_e32 v29, v14, v29
	v_add_f32_e32 v14, v14, v31
	s_delay_alu instid0(VALU_DEP_1) | instskip(NEXT) | instid1(VALU_DEP_1)
	v_dual_add_f32 v32, v30, v29 :: v_dual_add_f32 v33, v28, v14
	v_rcp_f32_e32 v31, v32
	v_sub_f32_e32 v30, v32, v30
	s_delay_alu instid0(VALU_DEP_2) | instskip(NEXT) | instid1(VALU_DEP_1)
	v_sub_f32_e32 v28, v33, v28
	v_dual_sub_f32 v29, v29, v30 :: v_dual_sub_f32 v14, v14, v28
	s_waitcnt_depctr 0xfff
	v_mul_f32_e32 v34, v33, v31
	s_delay_alu instid0(VALU_DEP_1) | instskip(NEXT) | instid1(VALU_DEP_1)
	v_mul_f32_e32 v35, v32, v34
	v_fma_f32 v30, v34, v32, -v35
	s_delay_alu instid0(VALU_DEP_1) | instskip(NEXT) | instid1(VALU_DEP_1)
	v_fmac_f32_e32 v30, v34, v29
	v_add_f32_e32 v36, v35, v30
	s_delay_alu instid0(VALU_DEP_1) | instskip(NEXT) | instid1(VALU_DEP_1)
	v_sub_f32_e32 v37, v33, v36
	v_dual_sub_f32 v33, v33, v37 :: v_dual_sub_f32 v28, v36, v35
	s_delay_alu instid0(VALU_DEP_1) | instskip(NEXT) | instid1(VALU_DEP_1)
	v_dual_sub_f32 v33, v33, v36 :: v_dual_sub_f32 v28, v28, v30
	v_add_f32_e32 v14, v14, v33
	s_delay_alu instid0(VALU_DEP_1) | instskip(NEXT) | instid1(VALU_DEP_1)
	v_add_f32_e32 v14, v28, v14
	v_add_f32_e32 v28, v37, v14
	s_delay_alu instid0(VALU_DEP_1) | instskip(NEXT) | instid1(VALU_DEP_1)
	v_mul_f32_e32 v30, v31, v28
	v_dual_sub_f32 v36, v37, v28 :: v_dual_mul_f32 v33, v32, v30
	s_delay_alu instid0(VALU_DEP_1) | instskip(NEXT) | instid1(VALU_DEP_1)
	v_fma_f32 v32, v30, v32, -v33
	v_fmac_f32_e32 v32, v30, v29
	s_delay_alu instid0(VALU_DEP_1) | instskip(NEXT) | instid1(VALU_DEP_1)
	v_add_f32_e32 v29, v33, v32
	v_sub_f32_e32 v35, v28, v29
	v_dual_sub_f32 v33, v29, v33 :: v_dual_add_f32 v14, v14, v36
	s_delay_alu instid0(VALU_DEP_2) | instskip(NEXT) | instid1(VALU_DEP_1)
	v_sub_f32_e32 v28, v28, v35
	v_dual_sub_f32 v28, v28, v29 :: v_dual_sub_f32 v29, v33, v32
	s_delay_alu instid0(VALU_DEP_1) | instskip(SKIP_1) | instid1(VALU_DEP_2)
	v_add_f32_e32 v14, v14, v28
	v_add_f32_e32 v28, v34, v30
	;; [unrolled: 1-line block ×3, first 2 shown]
	s_delay_alu instid0(VALU_DEP_2) | instskip(NEXT) | instid1(VALU_DEP_1)
	v_sub_f32_e32 v29, v28, v34
	v_dual_add_f32 v14, v35, v14 :: v_dual_sub_f32 v29, v30, v29
	s_delay_alu instid0(VALU_DEP_1) | instskip(NEXT) | instid1(VALU_DEP_1)
	v_mul_f32_e32 v14, v31, v14
	v_add_f32_e32 v14, v29, v14
	s_delay_alu instid0(VALU_DEP_1) | instskip(NEXT) | instid1(VALU_DEP_1)
	v_add_f32_e32 v29, v28, v14
	v_sub_f32_e32 v28, v29, v28
	s_delay_alu instid0(VALU_DEP_1) | instskip(NEXT) | instid1(VALU_DEP_1)
	v_sub_f32_e32 v14, v14, v28
	v_ldexp_f32 v14, v14, 1
	v_mul_f32_e32 v30, v29, v29
	s_delay_alu instid0(VALU_DEP_1) | instskip(SKIP_1) | instid1(VALU_DEP_2)
	v_fmaak_f32 v31, s26, v30, 0x3ecc95a3
	v_mul_f32_e32 v32, v29, v30
	v_fmaak_f32 v30, v30, v31, 0x3f2aaada
	v_ldexp_f32 v31, v29, 1
	s_delay_alu instid0(VALU_DEP_2) | instskip(NEXT) | instid1(VALU_DEP_1)
	v_mul_f32_e32 v30, v32, v30
	v_dual_mul_f32 v32, 0x3f317218, v13 :: v_dual_add_f32 v29, v31, v30
	s_delay_alu instid0(VALU_DEP_1) | instskip(NEXT) | instid1(VALU_DEP_2)
	v_sub_f32_e32 v28, v29, v31
	v_fma_f32 v31, 0x3f317218, v13, -v32
	s_delay_alu instid0(VALU_DEP_1) | instskip(NEXT) | instid1(VALU_DEP_1)
	v_dual_sub_f32 v28, v30, v28 :: v_dual_fmac_f32 v31, 0xb102e308, v13
	v_dual_add_f32 v13, v14, v28 :: v_dual_add_f32 v14, v32, v31
	s_delay_alu instid0(VALU_DEP_1) | instskip(NEXT) | instid1(VALU_DEP_2)
	v_add_f32_e32 v28, v29, v13
	v_sub_f32_e32 v32, v14, v32
	s_delay_alu instid0(VALU_DEP_2) | instskip(NEXT) | instid1(VALU_DEP_2)
	v_dual_add_f32 v30, v14, v28 :: v_dual_sub_f32 v29, v28, v29
	v_sub_f32_e32 v31, v31, v32
	s_delay_alu instid0(VALU_DEP_2) | instskip(NEXT) | instid1(VALU_DEP_3)
	v_sub_f32_e32 v33, v30, v14
	v_sub_f32_e32 v13, v13, v29
	s_delay_alu instid0(VALU_DEP_2) | instskip(SKIP_1) | instid1(VALU_DEP_2)
	v_sub_f32_e32 v34, v30, v33
	v_sub_f32_e32 v28, v28, v33
	v_dual_add_f32 v29, v31, v13 :: v_dual_sub_f32 v14, v14, v34
	s_delay_alu instid0(VALU_DEP_1) | instskip(NEXT) | instid1(VALU_DEP_2)
	v_add_f32_e32 v14, v28, v14
	v_sub_f32_e32 v28, v29, v31
	s_delay_alu instid0(VALU_DEP_2) | instskip(NEXT) | instid1(VALU_DEP_2)
	v_add_f32_e32 v14, v29, v14
	v_sub_f32_e32 v29, v29, v28
	s_delay_alu instid0(VALU_DEP_2) | instskip(NEXT) | instid1(VALU_DEP_1)
	v_dual_sub_f32 v13, v13, v28 :: v_dual_add_f32 v32, v30, v14
	v_dual_sub_f32 v28, v31, v29 :: v_dual_sub_f32 v29, v32, v30
	s_delay_alu instid0(VALU_DEP_1) | instskip(NEXT) | instid1(VALU_DEP_1)
	v_dual_add_f32 v13, v13, v28 :: v_dual_sub_f32 v14, v14, v29
	v_add_f32_e32 v13, v13, v14
	s_delay_alu instid0(VALU_DEP_1) | instskip(NEXT) | instid1(VALU_DEP_1)
	v_add_f32_e32 v13, v32, v13
	v_mul_f32_e32 v13, 0.5, v13
	s_delay_alu instid0(VALU_DEP_1) | instskip(NEXT) | instid1(VALU_DEP_1)
	v_cndmask_b32_e64 v13, v13, |v16|, s7
	v_cndmask_b32_e32 v13, 0x7fc00000, v13, vcc_lo
	v_cmp_neq_f32_e64 vcc_lo, |v16|, 1.0
	s_delay_alu instid0(VALU_DEP_2) | instskip(NEXT) | instid1(VALU_DEP_1)
	v_cndmask_b32_e32 v13, 0x7f800000, v13, vcc_lo
	v_bfi_b32 v14, 0x7fffffff, v13, v16
	v_mov_b32_e32 v13, v15
.LBB75_116:                             ;   in Loop: Header=BB75_4 Depth=1
	s_or_b32 exec_lo, exec_lo, s6
	v_cmp_neq_f32_e32 vcc_lo, 0, v11
	v_cmp_nle_f32_e64 s6, |v12|, 1.0
	v_dual_mov_b32 v16, s13 :: v_dual_mov_b32 v15, s12
	s_delay_alu instid0(VALU_DEP_2) | instskip(SKIP_3) | instid1(SALU_CYCLE_1)
	s_or_b32 s6, vcc_lo, s6
	flat_store_b32 v[15:16], v25 dlc
	s_waitcnt_vscnt null, 0x0
                                        ; implicit-def: $vgpr15
	s_and_saveexec_b32 s7, s6
	s_xor_b32 s28, exec_lo, s7
	s_cbranch_execz .LBB75_166
; %bb.117:                              ;   in Loop: Header=BB75_4 Depth=1
                                        ; implicit-def: $vgpr15
	s_mov_b32 s6, exec_lo
	v_cmpx_neq_f32_e32 0, v12
	s_xor_b32 s29, exec_lo, s6
	s_cbranch_execz .LBB75_163
; %bb.118:                              ;   in Loop: Header=BB75_4 Depth=1
	v_cmp_o_f32_e32 vcc_lo, v12, v12
	v_cmp_o_f32_e64 s6, v11, v11
                                        ; implicit-def: $vgpr15
	s_delay_alu instid0(VALU_DEP_1) | instskip(NEXT) | instid1(SALU_CYCLE_1)
	s_and_b32 s6, vcc_lo, s6
	s_and_saveexec_b32 s7, s6
	s_delay_alu instid0(SALU_CYCLE_1)
	s_xor_b32 s30, exec_lo, s7
	s_cbranch_execz .LBB75_152
; %bb.119:                              ;   in Loop: Header=BB75_4 Depth=1
	v_max_f32_e64 v16, |v11|, |v11|
	v_max_f32_e64 v15, |v12|, |v12|
	s_delay_alu instid0(VALU_DEP_1) | instskip(NEXT) | instid1(VALU_DEP_1)
	v_max_f32_e32 v15, v15, v16
	v_cmp_nlt_f32_e32 vcc_lo, 0x4b000000, v15
                                        ; implicit-def: $vgpr15
	s_and_saveexec_b32 s6, vcc_lo
	s_delay_alu instid0(SALU_CYCLE_1)
	s_xor_b32 s31, exec_lo, s6
	s_cbranch_execz .LBB75_137
; %bb.120:                              ;   in Loop: Header=BB75_4 Depth=1
	v_cmp_ngt_f32_e64 s6, 0x399cc471, |v12|
	v_cmp_ngt_f32_e64 s7, 0x399cc471, |v11|
                                        ; implicit-def: $vgpr15
	s_delay_alu instid0(VALU_DEP_1) | instskip(NEXT) | instid1(SALU_CYCLE_1)
	s_or_b32 s6, s6, s7
	s_and_saveexec_b32 s7, s6
	s_delay_alu instid0(SALU_CYCLE_1)
	s_xor_b32 s33, exec_lo, s7
	s_cbranch_execz .LBB75_134
; %bb.121:                              ;   in Loop: Header=BB75_4 Depth=1
	v_cmp_neq_f32_e64 s7, |v12|, 1.0
	v_cmp_ngt_f32_e64 s6, 0x34000000, |v11|
                                        ; implicit-def: $vgpr15
	s_delay_alu instid0(VALU_DEP_1) | instskip(NEXT) | instid1(SALU_CYCLE_1)
	s_or_b32 s34, s7, s6
	s_and_saveexec_b32 s35, s34
	s_delay_alu instid0(SALU_CYCLE_1)
	s_xor_b32 s34, exec_lo, s35
	s_cbranch_execz .LBB75_123
; %bb.122:                              ;   in Loop: Header=BB75_4 Depth=1
	v_add_f32_e64 v15, |v12|, -1.0
	v_cmp_gt_f32_e64 vcc_lo, 0x20000000, |v11|
	v_mul_f32_e64 v29, |v12|, 4.0
	s_delay_alu instid0(VALU_DEP_3) | instskip(NEXT) | instid1(VALU_DEP_1)
	v_mul_f32_e32 v15, v15, v15
	v_fma_f32 v28, v11, v11, v15
	s_delay_alu instid0(VALU_DEP_1) | instskip(NEXT) | instid1(VALU_DEP_1)
	v_cndmask_b32_e32 v15, v28, v15, vcc_lo
	v_div_scale_f32 v28, null, v15, v15, v29
	s_delay_alu instid0(VALU_DEP_1) | instskip(SKIP_2) | instid1(VALU_DEP_1)
	v_rcp_f32_e32 v30, v28
	s_waitcnt_depctr 0xfff
	v_fma_f32 v31, -v28, v30, 1.0
	v_fmac_f32_e32 v30, v31, v30
	v_div_scale_f32 v32, vcc_lo, v29, v15, v29
	s_delay_alu instid0(VALU_DEP_1) | instskip(NEXT) | instid1(VALU_DEP_1)
	v_mul_f32_e32 v31, v32, v30
	v_fma_f32 v33, -v28, v31, v32
	s_delay_alu instid0(VALU_DEP_1) | instskip(NEXT) | instid1(VALU_DEP_1)
	v_fmac_f32_e32 v31, v33, v30
	v_fma_f32 v28, -v28, v31, v32
	s_delay_alu instid0(VALU_DEP_1) | instskip(NEXT) | instid1(VALU_DEP_1)
	v_div_fmas_f32 v28, v28, v30, v31
	v_div_fixup_f32 v15, v28, v15, v29
	s_delay_alu instid0(VALU_DEP_1) | instskip(NEXT) | instid1(VALU_DEP_1)
	v_add_f32_e32 v30, 1.0, v15
	v_cvt_f64_f32_e32 v[28:29], v30
	s_delay_alu instid0(VALU_DEP_1) | instskip(SKIP_1) | instid1(VALU_DEP_1)
	v_frexp_exp_i32_f64_e32 v28, v[28:29]
	v_frexp_mant_f32_e32 v29, v30
	v_cmp_gt_f32_e32 vcc_lo, 0x3f2aaaab, v29
	v_add_f32_e32 v29, -1.0, v30
	s_delay_alu instid0(VALU_DEP_1) | instskip(NEXT) | instid1(VALU_DEP_1)
	v_sub_f32_e32 v32, v29, v30
	v_add_f32_e32 v32, 1.0, v32
	v_subrev_co_ci_u32_e32 v28, vcc_lo, 0, v28, vcc_lo
	v_cmp_eq_f32_e32 vcc_lo, 0x7f800000, v15
	s_delay_alu instid0(VALU_DEP_2) | instskip(SKIP_1) | instid1(VALU_DEP_2)
	v_sub_nc_u32_e32 v31, 0, v28
	v_cvt_f32_i32_e32 v28, v28
	v_ldexp_f32 v30, v30, v31
	v_sub_f32_e32 v29, v15, v29
	s_delay_alu instid0(VALU_DEP_1) | instskip(NEXT) | instid1(VALU_DEP_1)
	v_add_f32_e32 v29, v29, v32
	v_ldexp_f32 v29, v29, v31
	s_delay_alu instid0(VALU_DEP_4) | instskip(NEXT) | instid1(VALU_DEP_1)
	v_add_f32_e32 v31, -1.0, v30
	v_dual_add_f32 v33, 1.0, v30 :: v_dual_add_f32 v34, 1.0, v31
	s_delay_alu instid0(VALU_DEP_1) | instskip(NEXT) | instid1(VALU_DEP_1)
	v_add_f32_e32 v32, -1.0, v33
	v_sub_f32_e32 v32, v30, v32
	s_delay_alu instid0(VALU_DEP_3) | instskip(NEXT) | instid1(VALU_DEP_2)
	v_sub_f32_e32 v30, v30, v34
	v_add_f32_e32 v32, v29, v32
	s_delay_alu instid0(VALU_DEP_2) | instskip(NEXT) | instid1(VALU_DEP_1)
	v_add_f32_e32 v29, v29, v30
	v_dual_add_f32 v34, v33, v32 :: v_dual_add_f32 v35, v31, v29
	s_delay_alu instid0(VALU_DEP_1) | instskip(SKIP_1) | instid1(VALU_DEP_1)
	v_rcp_f32_e32 v30, v34
	v_sub_f32_e32 v33, v34, v33
	v_dual_sub_f32 v31, v35, v31 :: v_dual_sub_f32 v32, v32, v33
	s_waitcnt_depctr 0xfff
	v_dual_sub_f32 v29, v29, v31 :: v_dual_mul_f32 v36, v35, v30
	s_delay_alu instid0(VALU_DEP_1) | instskip(NEXT) | instid1(VALU_DEP_1)
	v_mul_f32_e32 v37, v34, v36
	v_fma_f32 v33, v36, v34, -v37
	s_delay_alu instid0(VALU_DEP_1) | instskip(NEXT) | instid1(VALU_DEP_1)
	v_fmac_f32_e32 v33, v36, v32
	v_add_f32_e32 v38, v37, v33
	s_delay_alu instid0(VALU_DEP_1) | instskip(SKIP_1) | instid1(VALU_DEP_2)
	v_sub_f32_e32 v39, v35, v38
	v_sub_f32_e32 v31, v38, v37
	;; [unrolled: 1-line block ×3, first 2 shown]
	s_delay_alu instid0(VALU_DEP_2) | instskip(NEXT) | instid1(VALU_DEP_2)
	v_sub_f32_e32 v31, v31, v33
	v_sub_f32_e32 v35, v35, v38
	s_delay_alu instid0(VALU_DEP_1) | instskip(NEXT) | instid1(VALU_DEP_1)
	v_add_f32_e32 v29, v29, v35
	v_add_f32_e32 v29, v31, v29
	s_delay_alu instid0(VALU_DEP_1) | instskip(NEXT) | instid1(VALU_DEP_1)
	v_add_f32_e32 v31, v39, v29
	v_mul_f32_e32 v33, v30, v31
	s_delay_alu instid0(VALU_DEP_1) | instskip(NEXT) | instid1(VALU_DEP_1)
	v_mul_f32_e32 v35, v34, v33
	v_fma_f32 v34, v33, v34, -v35
	s_delay_alu instid0(VALU_DEP_1) | instskip(SKIP_1) | instid1(VALU_DEP_2)
	v_fmac_f32_e32 v34, v33, v32
	v_sub_f32_e32 v38, v39, v31
	v_add_f32_e32 v32, v35, v34
	s_delay_alu instid0(VALU_DEP_2) | instskip(NEXT) | instid1(VALU_DEP_2)
	v_add_f32_e32 v29, v29, v38
	v_sub_f32_e32 v37, v31, v32
	v_sub_f32_e32 v35, v32, v35
	s_delay_alu instid0(VALU_DEP_2) | instskip(NEXT) | instid1(VALU_DEP_1)
	v_sub_f32_e32 v31, v31, v37
	v_sub_f32_e32 v31, v31, v32
	s_delay_alu instid0(VALU_DEP_1) | instskip(SKIP_1) | instid1(VALU_DEP_1)
	v_dual_sub_f32 v32, v35, v34 :: v_dual_add_f32 v29, v29, v31
	v_add_f32_e32 v31, v36, v33
	v_dual_add_f32 v29, v32, v29 :: v_dual_sub_f32 v32, v31, v36
	s_delay_alu instid0(VALU_DEP_1) | instskip(NEXT) | instid1(VALU_DEP_1)
	v_add_f32_e32 v29, v37, v29
	v_dual_sub_f32 v32, v33, v32 :: v_dual_mul_f32 v29, v30, v29
	s_delay_alu instid0(VALU_DEP_1) | instskip(NEXT) | instid1(VALU_DEP_1)
	v_add_f32_e32 v29, v32, v29
	v_add_f32_e32 v30, v31, v29
	s_delay_alu instid0(VALU_DEP_1) | instskip(NEXT) | instid1(VALU_DEP_1)
	v_mul_f32_e32 v32, v30, v30
	v_fmaak_f32 v33, s26, v32, 0x3ecc95a3
	v_mul_f32_e32 v34, v30, v32
	s_delay_alu instid0(VALU_DEP_2) | instskip(SKIP_2) | instid1(VALU_DEP_3)
	v_fmaak_f32 v32, v32, v33, 0x3f2aaada
	v_ldexp_f32 v33, v30, 1
	v_sub_f32_e32 v30, v30, v31
	v_mul_f32_e32 v32, v34, v32
	s_delay_alu instid0(VALU_DEP_2) | instskip(NEXT) | instid1(VALU_DEP_2)
	v_dual_mul_f32 v34, 0x3f317218, v28 :: v_dual_sub_f32 v29, v29, v30
	v_add_f32_e32 v31, v33, v32
	s_delay_alu instid0(VALU_DEP_2) | instskip(NEXT) | instid1(VALU_DEP_2)
	v_ldexp_f32 v29, v29, 1
	v_sub_f32_e32 v30, v31, v33
	s_delay_alu instid0(VALU_DEP_4) | instskip(NEXT) | instid1(VALU_DEP_1)
	v_fma_f32 v33, 0x3f317218, v28, -v34
	v_dual_sub_f32 v30, v32, v30 :: v_dual_fmac_f32 v33, 0xb102e308, v28
	s_delay_alu instid0(VALU_DEP_1) | instskip(NEXT) | instid1(VALU_DEP_1)
	v_dual_add_f32 v28, v29, v30 :: v_dual_add_f32 v29, v34, v33
	v_add_f32_e32 v30, v31, v28
	s_delay_alu instid0(VALU_DEP_2) | instskip(NEXT) | instid1(VALU_DEP_2)
	v_sub_f32_e32 v34, v29, v34
	v_dual_add_f32 v32, v29, v30 :: v_dual_sub_f32 v31, v30, v31
	s_delay_alu instid0(VALU_DEP_2) | instskip(NEXT) | instid1(VALU_DEP_2)
	v_sub_f32_e32 v33, v33, v34
	v_sub_f32_e32 v35, v32, v29
	s_delay_alu instid0(VALU_DEP_3) | instskip(NEXT) | instid1(VALU_DEP_2)
	v_sub_f32_e32 v28, v28, v31
	v_sub_f32_e32 v36, v32, v35
	s_delay_alu instid0(VALU_DEP_2) | instskip(NEXT) | instid1(VALU_DEP_2)
	v_dual_sub_f32 v30, v30, v35 :: v_dual_add_f32 v31, v33, v28
	v_sub_f32_e32 v29, v29, v36
	s_delay_alu instid0(VALU_DEP_1) | instskip(NEXT) | instid1(VALU_DEP_3)
	v_add_f32_e32 v29, v30, v29
	v_sub_f32_e32 v30, v31, v33
	s_delay_alu instid0(VALU_DEP_2) | instskip(NEXT) | instid1(VALU_DEP_2)
	v_add_f32_e32 v29, v31, v29
	v_sub_f32_e32 v31, v31, v30
	v_sub_f32_e32 v28, v28, v30
	s_delay_alu instid0(VALU_DEP_2) | instskip(NEXT) | instid1(VALU_DEP_1)
	v_dual_add_f32 v34, v32, v29 :: v_dual_sub_f32 v31, v33, v31
	v_sub_f32_e32 v30, v34, v32
	s_delay_alu instid0(VALU_DEP_1) | instskip(NEXT) | instid1(VALU_DEP_1)
	v_dual_add_f32 v28, v28, v31 :: v_dual_sub_f32 v29, v29, v30
	v_add_f32_e32 v28, v28, v29
	s_delay_alu instid0(VALU_DEP_1) | instskip(NEXT) | instid1(VALU_DEP_1)
	v_add_f32_e32 v28, v34, v28
	v_cndmask_b32_e32 v28, v28, v15, vcc_lo
	v_cmp_ngt_f32_e32 vcc_lo, -1.0, v15
	s_delay_alu instid0(VALU_DEP_2) | instskip(SKIP_1) | instid1(VALU_DEP_2)
	v_cndmask_b32_e32 v28, 0x7fc00000, v28, vcc_lo
	v_cmp_neq_f32_e32 vcc_lo, -1.0, v15
	v_cndmask_b32_e32 v28, 0xff800000, v28, vcc_lo
	v_cmp_gt_f32_e64 vcc_lo, 0x33800000, |v15|
	s_delay_alu instid0(VALU_DEP_2) | instskip(NEXT) | instid1(VALU_DEP_1)
	v_cndmask_b32_e32 v15, v28, v15, vcc_lo
	v_mul_f32_e32 v15, 0x3e800000, v15
	s_and_not1_saveexec_b32 s34, s34
	s_cbranch_execz .LBB75_125
	s_branch .LBB75_124
.LBB75_123:                             ;   in Loop: Header=BB75_4 Depth=1
	s_and_not1_saveexec_b32 s34, s34
	s_cbranch_execz .LBB75_125
.LBB75_124:                             ;   in Loop: Header=BB75_4 Depth=1
	v_cmp_gt_f32_e64 s35, 0x800000, |v11|
	s_delay_alu instid0(VALU_DEP_1) | instskip(NEXT) | instid1(VALU_DEP_1)
	v_cndmask_b32_e64 v15, 1.0, 0x4f800000, s35
	v_mul_f32_e64 v15, |v11|, v15
	s_delay_alu instid0(VALU_DEP_1) | instskip(SKIP_3) | instid1(VALU_DEP_2)
	v_log_f32_e32 v15, v15
	s_waitcnt_depctr 0xfff
	v_mul_f32_e32 v28, 0x3f317217, v15
	v_cmp_gt_f32_e64 vcc_lo, 0x7f800000, |v15|
	v_fma_f32 v29, 0x3f317217, v15, -v28
	s_delay_alu instid0(VALU_DEP_1) | instskip(NEXT) | instid1(VALU_DEP_1)
	v_fmac_f32_e32 v29, 0x3377d1cf, v15
	v_add_f32_e32 v28, v28, v29
	s_delay_alu instid0(VALU_DEP_1) | instskip(SKIP_1) | instid1(VALU_DEP_1)
	v_cndmask_b32_e32 v15, v15, v28, vcc_lo
	v_cndmask_b32_e64 v28, 0, 0x41b17218, s35
	v_sub_f32_e32 v15, v15, v28
	s_delay_alu instid0(VALU_DEP_1) | instskip(NEXT) | instid1(VALU_DEP_1)
	v_sub_f32_e32 v15, 0x3f317218, v15
	v_mul_f32_e32 v15, 0.5, v15
.LBB75_125:                             ;   in Loop: Header=BB75_4 Depth=1
	s_or_b32 exec_lo, exec_lo, s34
                                        ; implicit-def: $vgpr29
	s_and_saveexec_b32 s34, s7
	s_delay_alu instid0(SALU_CYCLE_1)
	s_xor_b32 s34, exec_lo, s34
	s_cbranch_execz .LBB75_131
; %bb.126:                              ;   in Loop: Header=BB75_4 Depth=1
	v_sub_f32_e64 v28, 1.0, |v12|
	v_add_f32_e64 v29, |v12|, 1.0
	v_add_f32_e64 v16, |v11|, |v11|
	s_delay_alu instid0(VALU_DEP_2) | instskip(SKIP_1) | instid1(SALU_CYCLE_1)
	v_mul_f32_e32 v28, v28, v29
                                        ; implicit-def: $vgpr29
	s_and_saveexec_b32 s7, s6
	s_xor_b32 s7, exec_lo, s7
	s_cbranch_execz .LBB75_128
; %bb.127:                              ;   in Loop: Header=BB75_4 Depth=1
	s_delay_alu instid0(VALU_DEP_1) | instskip(SKIP_3) | instid1(VALU_DEP_4)
	v_fma_f32 v28, -v11, v11, v28
	v_max_f32_e64 v29, |v16|, |v16|
	v_cmp_eq_f32_e64 s6, 0, v16
	v_cmp_class_f32_e64 s35, v16, 0x204
	v_cmp_gt_f32_e64 vcc_lo, |v16|, |v28|
	s_delay_alu instid0(VALU_DEP_4) | instskip(SKIP_2) | instid1(VALU_DEP_3)
	v_max_f32_e64 v30, |v28|, v29
	v_min_f32_e64 v29, |v28|, v29
	v_cmp_class_f32_e64 s36, v28, 0x204
	v_frexp_mant_f32_e32 v31, v30
	v_frexp_exp_i32_f32_e32 v30, v30
	s_delay_alu instid0(VALU_DEP_4) | instskip(SKIP_1) | instid1(VALU_DEP_4)
	v_frexp_exp_i32_f32_e32 v32, v29
	v_frexp_mant_f32_e32 v29, v29
	v_rcp_f32_e32 v31, v31
	s_delay_alu instid0(VALU_DEP_2) | instskip(SKIP_2) | instid1(VALU_DEP_1)
	v_sub_nc_u32_e32 v30, v32, v30
	s_waitcnt_depctr 0xfff
	v_mul_f32_e32 v29, v29, v31
	v_ldexp_f32 v29, v29, v30
	s_delay_alu instid0(VALU_DEP_1) | instskip(NEXT) | instid1(VALU_DEP_1)
	v_mul_f32_e32 v30, v29, v29
	v_fmaak_f32 v31, s27, v30, 0xbc7a590c
	s_delay_alu instid0(VALU_DEP_1) | instskip(NEXT) | instid1(VALU_DEP_1)
	v_fmaak_f32 v31, v30, v31, 0x3d29fb3f
	v_fmaak_f32 v31, v30, v31, 0xbd97d4d7
	s_delay_alu instid0(VALU_DEP_1) | instskip(NEXT) | instid1(VALU_DEP_1)
	v_fmaak_f32 v31, v30, v31, 0x3dd931b2
	;; [unrolled: 3-line block ×3, first 2 shown]
	v_fmaak_f32 v31, v30, v31, 0xbeaaaa62
	s_delay_alu instid0(VALU_DEP_1) | instskip(NEXT) | instid1(VALU_DEP_1)
	v_mul_f32_e32 v30, v30, v31
	v_fmac_f32_e32 v29, v29, v30
	s_delay_alu instid0(VALU_DEP_1) | instskip(NEXT) | instid1(VALU_DEP_1)
	v_sub_f32_e32 v30, 0x3fc90fdb, v29
	v_cndmask_b32_e32 v29, v29, v30, vcc_lo
	v_cmp_gt_i32_e32 vcc_lo, 0, v28
	s_delay_alu instid0(VALU_DEP_2) | instskip(SKIP_2) | instid1(VALU_DEP_3)
	v_sub_f32_e32 v30, 0x40490fdb, v29
	v_cndmask_b32_e64 v31, 0, 0x40490fdb, vcc_lo
	v_cmp_gt_f32_e32 vcc_lo, 0, v28
	v_cndmask_b32_e32 v29, v29, v30, vcc_lo
	v_cndmask_b32_e32 v30, 0x3f490fdb, v27, vcc_lo
	s_and_b32 vcc_lo, s35, s36
	s_delay_alu instid0(VALU_DEP_2) | instskip(NEXT) | instid1(VALU_DEP_1)
	v_cndmask_b32_e64 v29, v29, v31, s6
	v_cndmask_b32_e32 v29, v29, v30, vcc_lo
	v_cmp_o_f32_e32 vcc_lo, v28, v16
	s_delay_alu instid0(VALU_DEP_2) | instskip(NEXT) | instid1(VALU_DEP_1)
	v_cndmask_b32_e32 v28, 0x7fc00000, v29, vcc_lo
	v_bfi_b32 v29, 0x7fffffff, v28, v16
                                        ; implicit-def: $vgpr16
                                        ; implicit-def: $vgpr28
.LBB75_128:                             ;   in Loop: Header=BB75_4 Depth=1
	s_and_not1_saveexec_b32 s35, s7
	s_cbranch_execz .LBB75_130
; %bb.129:                              ;   in Loop: Header=BB75_4 Depth=1
	v_max_f32_e32 v29, v16, v16
	v_max_f32_e64 v30, |v28|, |v28|
	v_cmp_gt_f32_e64 vcc_lo, v16, |v28|
	v_cmp_eq_f32_e64 s7, 0, v16
	v_cmp_class_f32_e64 s36, v28, 0x204
	v_cmp_eq_f32_e64 s6, 0x7f800000, v16
	v_max_f32_e32 v31, v30, v29
	v_min_f32_e32 v29, v30, v29
	s_delay_alu instid0(VALU_DEP_2) | instskip(SKIP_1) | instid1(VALU_DEP_2)
	v_frexp_mant_f32_e32 v32, v31
	v_frexp_exp_i32_f32_e32 v31, v31
	v_rcp_f32_e32 v30, v32
	s_delay_alu instid0(VALU_DEP_3) | instskip(SKIP_1) | instid1(VALU_DEP_2)
	v_frexp_exp_i32_f32_e32 v32, v29
	v_frexp_mant_f32_e32 v29, v29
	v_sub_nc_u32_e32 v31, v32, v31
	s_waitcnt_depctr 0xfff
	v_mul_f32_e32 v29, v29, v30
	s_delay_alu instid0(VALU_DEP_1) | instskip(NEXT) | instid1(VALU_DEP_1)
	v_ldexp_f32 v29, v29, v31
	v_mul_f32_e32 v30, v29, v29
	s_delay_alu instid0(VALU_DEP_1) | instskip(NEXT) | instid1(VALU_DEP_1)
	v_fmaak_f32 v31, s27, v30, 0xbc7a590c
	v_fmaak_f32 v31, v30, v31, 0x3d29fb3f
	s_delay_alu instid0(VALU_DEP_1) | instskip(NEXT) | instid1(VALU_DEP_1)
	v_fmaak_f32 v31, v30, v31, 0xbd97d4d7
	v_fmaak_f32 v31, v30, v31, 0x3dd931b2
	;; [unrolled: 3-line block ×3, first 2 shown]
	s_delay_alu instid0(VALU_DEP_1) | instskip(NEXT) | instid1(VALU_DEP_1)
	v_fmaak_f32 v31, v30, v31, 0xbeaaaa62
	v_mul_f32_e32 v30, v30, v31
	s_delay_alu instid0(VALU_DEP_1) | instskip(NEXT) | instid1(VALU_DEP_1)
	v_fmac_f32_e32 v29, v29, v30
	v_sub_f32_e32 v30, 0x3fc90fdb, v29
	s_delay_alu instid0(VALU_DEP_1) | instskip(SKIP_1) | instid1(VALU_DEP_2)
	v_cndmask_b32_e32 v29, v29, v30, vcc_lo
	v_cmp_gt_i32_e32 vcc_lo, 0, v28
	v_sub_f32_e32 v30, 0x40490fdb, v29
	v_cndmask_b32_e64 v31, 0, 0x40490fdb, vcc_lo
	v_cmp_gt_f32_e32 vcc_lo, 0, v28
	s_delay_alu instid0(VALU_DEP_3) | instskip(NEXT) | instid1(VALU_DEP_1)
	v_cndmask_b32_e32 v29, v29, v30, vcc_lo
	v_cndmask_b32_e64 v16, v29, v31, s7
	v_cndmask_b32_e32 v29, 0x3f490fdb, v27, vcc_lo
	s_and_b32 vcc_lo, s6, s36
	s_delay_alu instid0(VALU_DEP_1) | instskip(SKIP_1) | instid1(VALU_DEP_2)
	v_cndmask_b32_e32 v16, v16, v29, vcc_lo
	v_cmp_o_f32_e32 vcc_lo, v28, v28
	v_cndmask_b32_e64 v29, 0x7fc00000, |v16|, vcc_lo
.LBB75_130:                             ;   in Loop: Header=BB75_4 Depth=1
	s_or_b32 exec_lo, exec_lo, s35
                                        ; implicit-def: $vgpr16
	s_and_not1_saveexec_b32 s6, s34
	s_cbranch_execnz .LBB75_132
	s_branch .LBB75_133
.LBB75_131:                             ;   in Loop: Header=BB75_4 Depth=1
	s_and_not1_saveexec_b32 s6, s34
	s_cbranch_execz .LBB75_133
.LBB75_132:                             ;   in Loop: Header=BB75_4 Depth=1
	v_max_f32_e32 v28, 2.0, v16
	v_min_f32_e32 v16, 2.0, v16
	v_cmp_lt_f32_e64 vcc_lo, |v11|, 2.0
	s_delay_alu instid0(VALU_DEP_3) | instskip(NEXT) | instid1(VALU_DEP_3)
	v_frexp_mant_f32_e32 v29, v28
	v_frexp_mant_f32_e32 v30, v16
	v_frexp_exp_i32_f32_e32 v16, v16
	s_delay_alu instid0(VALU_DEP_3) | instskip(SKIP_3) | instid1(VALU_DEP_1)
	v_rcp_f32_e32 v29, v29
	s_waitcnt_depctr 0xfff
	v_mul_f32_e32 v29, v30, v29
	v_frexp_exp_i32_f32_e32 v28, v28
	v_sub_nc_u32_e32 v16, v16, v28
	s_delay_alu instid0(VALU_DEP_1) | instskip(NEXT) | instid1(VALU_DEP_1)
	v_ldexp_f32 v16, v29, v16
	v_mul_f32_e32 v28, v16, v16
	s_delay_alu instid0(VALU_DEP_1) | instskip(NEXT) | instid1(VALU_DEP_1)
	v_fmaak_f32 v29, s27, v28, 0xbc7a590c
	v_fmaak_f32 v29, v28, v29, 0x3d29fb3f
	s_delay_alu instid0(VALU_DEP_1) | instskip(NEXT) | instid1(VALU_DEP_1)
	v_fmaak_f32 v29, v28, v29, 0xbd97d4d7
	v_fmaak_f32 v29, v28, v29, 0x3dd931b2
	;; [unrolled: 3-line block ×3, first 2 shown]
	s_delay_alu instid0(VALU_DEP_1) | instskip(NEXT) | instid1(VALU_DEP_1)
	v_fmaak_f32 v29, v28, v29, 0xbeaaaa62
	v_mul_f32_e32 v28, v28, v29
	s_delay_alu instid0(VALU_DEP_1) | instskip(NEXT) | instid1(VALU_DEP_1)
	v_fmac_f32_e32 v16, v16, v28
	v_sub_f32_e32 v28, 0x3fc90fdb, v16
	s_delay_alu instid0(VALU_DEP_1) | instskip(SKIP_1) | instid1(VALU_DEP_2)
	v_cndmask_b32_e32 v16, v16, v28, vcc_lo
	v_cmp_lg_f32_e32 vcc_lo, 0, v11
	v_sub_f32_e32 v28, 0x40490fdb, v16
	s_delay_alu instid0(VALU_DEP_1) | instskip(NEXT) | instid1(VALU_DEP_1)
	v_cndmask_b32_e32 v16, v16, v28, vcc_lo
	v_and_b32_e32 v29, 0x7fffffff, v16
.LBB75_133:                             ;   in Loop: Header=BB75_4 Depth=1
	s_or_b32 exec_lo, exec_lo, s6
	s_delay_alu instid0(VALU_DEP_1) | instskip(SKIP_1) | instid1(VALU_DEP_2)
	v_mul_f32_e32 v28, 0.5, v29
	v_bfi_b32 v16, 0x7fffffff, v15, v12
	v_bfi_b32 v15, 0x7fffffff, v28, v11
                                        ; implicit-def: $vgpr11
.LBB75_134:                             ;   in Loop: Header=BB75_4 Depth=1
	s_and_not1_saveexec_b32 s6, s33
	s_cbranch_execz .LBB75_136
; %bb.135:                              ;   in Loop: Header=BB75_4 Depth=1
	v_dual_mov_b32 v16, s15 :: v_dual_mov_b32 v15, s14
	flat_store_b32 v[15:16], v26 dlc
	s_waitcnt_vscnt null, 0x0
	flat_load_b32 v15, v[15:16] glc dlc
	s_waitcnt vmcnt(0) lgkmcnt(0)
	v_dual_add_f32 v28, 1.0, v15 :: v_dual_mov_b32 v15, s16
	v_mov_b32_e32 v16, s17
	flat_store_b32 v[15:16], v28 dlc
	s_waitcnt_vscnt null, 0x0
	flat_load_b32 v15, v[15:16] glc dlc
	s_waitcnt vmcnt(0) lgkmcnt(0)
	v_dual_mov_b32 v15, v11 :: v_dual_mov_b32 v16, v12
.LBB75_136:                             ;   in Loop: Header=BB75_4 Depth=1
	s_or_b32 exec_lo, exec_lo, s6
                                        ; implicit-def: $vgpr11
.LBB75_137:                             ;   in Loop: Header=BB75_4 Depth=1
	s_and_not1_saveexec_b32 s6, s31
	s_cbranch_execz .LBB75_151
; %bb.138:                              ;   in Loop: Header=BB75_4 Depth=1
	v_and_b32_e32 v15, 0x7f800000, v12
	v_and_b32_e32 v28, 0x7f800000, v11
	v_cmp_neq_f32_e64 s7, 0x7f800000, |v12|
	s_delay_alu instid0(VALU_DEP_2) | instskip(NEXT) | instid1(VALU_DEP_1)
	v_sub_nc_u32_e32 v16, v15, v28
	v_cmp_gt_i32_e32 vcc_lo, 0x6800000, v16
                                        ; implicit-def: $vgpr16
	s_delay_alu instid0(VALU_DEP_3) | instskip(NEXT) | instid1(SALU_CYCLE_1)
	s_and_b32 s7, s7, vcc_lo
	s_and_saveexec_b32 s31, s7
	s_delay_alu instid0(SALU_CYCLE_1)
	s_xor_b32 s7, exec_lo, s31
	s_cbranch_execz .LBB75_148
; %bb.139:                              ;   in Loop: Header=BB75_4 Depth=1
	v_sub_nc_u32_e32 v16, v28, v15
	s_delay_alu instid0(VALU_DEP_1) | instskip(SKIP_1) | instid1(SALU_CYCLE_1)
	v_cmp_gt_i32_e32 vcc_lo, 0x6800000, v16
                                        ; implicit-def: $vgpr16
	s_and_saveexec_b32 s31, vcc_lo
	s_xor_b32 s31, exec_lo, s31
	s_cbranch_execz .LBB75_145
; %bb.140:                              ;   in Loop: Header=BB75_4 Depth=1
	s_mov_b32 s33, exec_lo
                                        ; implicit-def: $vgpr16
	v_cmpx_lt_u32_e32 0x59000000, v15
	s_xor_b32 s33, exec_lo, s33
	s_cbranch_execz .LBB75_142
; %bb.141:                              ;   in Loop: Header=BB75_4 Depth=1
	v_sub_nc_u32_e32 v15, 0x7f800000, v15
	s_delay_alu instid0(VALU_DEP_1) | instskip(SKIP_1) | instid1(VALU_DEP_2)
	v_mul_f32_e32 v16, v11, v15
	v_mul_f32_e32 v12, v12, v15
	;; [unrolled: 1-line block ×3, first 2 shown]
	s_delay_alu instid0(VALU_DEP_1) | instskip(NEXT) | instid1(VALU_DEP_1)
	v_fmac_f32_e32 v16, v12, v12
	v_div_scale_f32 v28, null, v16, v16, v12
	s_delay_alu instid0(VALU_DEP_1) | instskip(SKIP_2) | instid1(VALU_DEP_1)
	v_rcp_f32_e32 v29, v28
	s_waitcnt_depctr 0xfff
	v_fma_f32 v30, -v28, v29, 1.0
	v_fmac_f32_e32 v29, v30, v29
	v_div_scale_f32 v30, vcc_lo, v12, v16, v12
	s_delay_alu instid0(VALU_DEP_1) | instskip(NEXT) | instid1(VALU_DEP_1)
	v_mul_f32_e32 v31, v30, v29
	v_fma_f32 v32, -v28, v31, v30
	s_delay_alu instid0(VALU_DEP_1) | instskip(NEXT) | instid1(VALU_DEP_1)
	v_fmac_f32_e32 v31, v32, v29
	v_fma_f32 v28, -v28, v31, v30
	s_delay_alu instid0(VALU_DEP_1) | instskip(NEXT) | instid1(VALU_DEP_1)
	v_div_fmas_f32 v28, v28, v29, v31
	v_div_fixup_f32 v12, v28, v16, v12
	s_delay_alu instid0(VALU_DEP_1)
	v_mul_f32_e32 v16, v12, v15
.LBB75_142:                             ;   in Loop: Header=BB75_4 Depth=1
	s_and_not1_saveexec_b32 s33, s33
	s_cbranch_execz .LBB75_144
; %bb.143:                              ;   in Loop: Header=BB75_4 Depth=1
	v_mul_f32_e32 v15, v11, v11
	s_delay_alu instid0(VALU_DEP_1) | instskip(NEXT) | instid1(VALU_DEP_1)
	v_fmac_f32_e32 v15, v12, v12
	v_div_scale_f32 v16, null, v15, v15, v12
	s_delay_alu instid0(VALU_DEP_1) | instskip(SKIP_2) | instid1(VALU_DEP_1)
	v_rcp_f32_e32 v28, v16
	s_waitcnt_depctr 0xfff
	v_fma_f32 v29, -v16, v28, 1.0
	v_fmac_f32_e32 v28, v29, v28
	v_div_scale_f32 v29, vcc_lo, v12, v15, v12
	s_delay_alu instid0(VALU_DEP_1) | instskip(NEXT) | instid1(VALU_DEP_1)
	v_mul_f32_e32 v30, v29, v28
	v_fma_f32 v31, -v16, v30, v29
	s_delay_alu instid0(VALU_DEP_1) | instskip(NEXT) | instid1(VALU_DEP_1)
	v_fmac_f32_e32 v30, v31, v28
	v_fma_f32 v16, -v16, v30, v29
	s_delay_alu instid0(VALU_DEP_1) | instskip(NEXT) | instid1(VALU_DEP_1)
	v_div_fmas_f32 v16, v16, v28, v30
	v_div_fixup_f32 v16, v16, v15, v12
.LBB75_144:                             ;   in Loop: Header=BB75_4 Depth=1
	s_or_b32 exec_lo, exec_lo, s33
.LBB75_145:                             ;   in Loop: Header=BB75_4 Depth=1
	s_and_not1_saveexec_b32 s31, s31
	s_cbranch_execz .LBB75_147
; %bb.146:                              ;   in Loop: Header=BB75_4 Depth=1
	v_div_scale_f32 v15, null, v11, v11, v12
	v_div_scale_f32 v29, vcc_lo, v12, v11, v12
	s_delay_alu instid0(VALU_DEP_2) | instskip(SKIP_2) | instid1(VALU_DEP_1)
	v_rcp_f32_e32 v16, v15
	s_waitcnt_depctr 0xfff
	v_fma_f32 v28, -v15, v16, 1.0
	v_fmac_f32_e32 v16, v28, v16
	s_delay_alu instid0(VALU_DEP_1) | instskip(NEXT) | instid1(VALU_DEP_1)
	v_mul_f32_e32 v28, v29, v16
	v_fma_f32 v30, -v15, v28, v29
	s_delay_alu instid0(VALU_DEP_1) | instskip(NEXT) | instid1(VALU_DEP_1)
	v_fmac_f32_e32 v28, v30, v16
	v_fma_f32 v15, -v15, v28, v29
	s_delay_alu instid0(VALU_DEP_1) | instskip(NEXT) | instid1(VALU_DEP_1)
	v_div_fmas_f32 v15, v15, v16, v28
	v_div_fixup_f32 v12, v15, v11, v12
	s_delay_alu instid0(VALU_DEP_1) | instskip(NEXT) | instid1(VALU_DEP_1)
	v_div_scale_f32 v15, null, v11, v11, v12
	v_rcp_f32_e32 v16, v15
	s_waitcnt_depctr 0xfff
	v_fma_f32 v28, -v15, v16, 1.0
	s_delay_alu instid0(VALU_DEP_1) | instskip(SKIP_1) | instid1(VALU_DEP_1)
	v_fmac_f32_e32 v16, v28, v16
	v_div_scale_f32 v28, vcc_lo, v12, v11, v12
	v_mul_f32_e32 v29, v28, v16
	s_delay_alu instid0(VALU_DEP_1) | instskip(NEXT) | instid1(VALU_DEP_1)
	v_fma_f32 v30, -v15, v29, v28
	v_fmac_f32_e32 v29, v30, v16
	s_delay_alu instid0(VALU_DEP_1) | instskip(NEXT) | instid1(VALU_DEP_1)
	v_fma_f32 v15, -v15, v29, v28
	v_div_fmas_f32 v15, v15, v16, v29
	s_delay_alu instid0(VALU_DEP_1)
	v_div_fixup_f32 v16, v15, v11, v12
.LBB75_147:                             ;   in Loop: Header=BB75_4 Depth=1
	s_or_b32 exec_lo, exec_lo, s31
.LBB75_148:                             ;   in Loop: Header=BB75_4 Depth=1
	s_and_not1_saveexec_b32 s7, s7
; %bb.149:                              ;   in Loop: Header=BB75_4 Depth=1
	v_div_scale_f32 v15, null, v12, v12, 1.0
	s_delay_alu instid0(VALU_DEP_1) | instskip(SKIP_2) | instid1(VALU_DEP_1)
	v_rcp_f32_e32 v16, v15
	s_waitcnt_depctr 0xfff
	v_fma_f32 v28, -v15, v16, 1.0
	v_fmac_f32_e32 v16, v28, v16
	v_div_scale_f32 v28, vcc_lo, 1.0, v12, 1.0
	s_delay_alu instid0(VALU_DEP_1) | instskip(NEXT) | instid1(VALU_DEP_1)
	v_mul_f32_e32 v29, v28, v16
	v_fma_f32 v30, -v15, v29, v28
	s_delay_alu instid0(VALU_DEP_1) | instskip(NEXT) | instid1(VALU_DEP_1)
	v_fmac_f32_e32 v29, v30, v16
	v_fma_f32 v15, -v15, v29, v28
	s_delay_alu instid0(VALU_DEP_1) | instskip(NEXT) | instid1(VALU_DEP_1)
	v_div_fmas_f32 v15, v15, v16, v29
	v_div_fixup_f32 v16, v15, v12, 1.0
; %bb.150:                              ;   in Loop: Header=BB75_4 Depth=1
	s_or_b32 exec_lo, exec_lo, s7
	v_dual_mov_b32 v29, s13 :: v_dual_mov_b32 v28, s12
	flat_load_b32 v12, v[28:29] glc dlc
	s_waitcnt vmcnt(0) lgkmcnt(0)
	v_add_f32_e32 v12, 0x3fc90fdb, v12
	s_delay_alu instid0(VALU_DEP_1)
	v_bfi_b32 v15, 0x7fffffff, v12, v11
.LBB75_151:                             ;   in Loop: Header=BB75_4 Depth=1
	s_or_b32 exec_lo, exec_lo, s6
                                        ; implicit-def: $vgpr12
.LBB75_152:                             ;   in Loop: Header=BB75_4 Depth=1
	s_and_not1_saveexec_b32 s6, s30
	s_cbranch_execz .LBB75_162
; %bb.153:                              ;   in Loop: Header=BB75_4 Depth=1
	v_cmp_neq_f32_e64 s7, 0x7f800000, |v12|
                                        ; implicit-def: $vgpr15
	s_delay_alu instid0(VALU_DEP_1) | instskip(NEXT) | instid1(SALU_CYCLE_1)
	s_and_saveexec_b32 s30, s7
	s_xor_b32 s7, exec_lo, s30
	s_cbranch_execz .LBB75_159
; %bb.154:                              ;   in Loop: Header=BB75_4 Depth=1
	v_cmp_neq_f32_e64 s30, 0x7f800000, |v11|
                                        ; implicit-def: $vgpr15
	s_delay_alu instid0(VALU_DEP_1) | instskip(NEXT) | instid1(SALU_CYCLE_1)
	s_and_saveexec_b32 s31, s30
	s_xor_b32 s30, exec_lo, s31
; %bb.155:                              ;   in Loop: Header=BB75_4 Depth=1
	v_add_f32_e32 v11, 0, v11
	s_delay_alu instid0(VALU_DEP_1)
	v_add_f32_e32 v15, v12, v11
                                        ; implicit-def: $vgpr12
; %bb.156:                              ;   in Loop: Header=BB75_4 Depth=1
	s_or_saveexec_b32 s30, s30
	s_delay_alu instid0(VALU_DEP_1)
	v_mov_b32_e32 v16, v15
	s_xor_b32 exec_lo, exec_lo, s30
	s_cbranch_execz .LBB75_158
; %bb.157:                              ;   in Loop: Header=BB75_4 Depth=1
	v_dual_mov_b32 v16, s13 :: v_dual_mov_b32 v15, s12
	flat_load_b32 v15, v[15:16] glc dlc
	s_waitcnt vmcnt(0)
	v_bfi_b32 v16, 0x7fffffff, 0, v12
	s_waitcnt lgkmcnt(0)
	v_add_f32_e32 v15, 0x3fc90fdb, v15
	s_delay_alu instid0(VALU_DEP_1)
	v_bfi_b32 v15, 0x7fffffff, v15, v11
.LBB75_158:                             ;   in Loop: Header=BB75_4 Depth=1
	s_or_b32 exec_lo, exec_lo, s30
                                        ; implicit-def: $vgpr12
.LBB75_159:                             ;   in Loop: Header=BB75_4 Depth=1
	s_and_not1_saveexec_b32 s7, s7
; %bb.160:                              ;   in Loop: Header=BB75_4 Depth=1
	v_bfi_b32 v16, 0x7fffffff, 0, v12
	v_add_f32_e32 v15, v11, v11
; %bb.161:                              ;   in Loop: Header=BB75_4 Depth=1
	s_or_b32 exec_lo, exec_lo, s7
.LBB75_162:                             ;   in Loop: Header=BB75_4 Depth=1
	s_delay_alu instid0(SALU_CYCLE_1)
	s_or_b32 exec_lo, exec_lo, s6
                                        ; implicit-def: $vgpr11
.LBB75_163:                             ;   in Loop: Header=BB75_4 Depth=1
	s_and_not1_saveexec_b32 s6, s29
	s_cbranch_execz .LBB75_165
; %bb.164:                              ;   in Loop: Header=BB75_4 Depth=1
	v_rcp_f32_e64 v15, |v11|
	v_cmp_gt_f32_e64 vcc_lo, |v11|, 1.0
	s_waitcnt_depctr 0xfff
	v_cndmask_b32_e64 v15, |v11|, v15, vcc_lo
	s_delay_alu instid0(VALU_DEP_1) | instskip(NEXT) | instid1(VALU_DEP_1)
	v_mul_f32_e32 v16, v15, v15
	v_fmaak_f32 v28, s27, v16, 0xbc7a590c
	s_delay_alu instid0(VALU_DEP_1) | instskip(NEXT) | instid1(VALU_DEP_1)
	v_fmaak_f32 v28, v16, v28, 0x3d29fb3f
	v_fmaak_f32 v28, v16, v28, 0xbd97d4d7
	s_delay_alu instid0(VALU_DEP_1) | instskip(NEXT) | instid1(VALU_DEP_1)
	v_fmaak_f32 v28, v16, v28, 0x3dd931b2
	;; [unrolled: 3-line block ×3, first 2 shown]
	v_fmaak_f32 v28, v16, v28, 0xbeaaaa62
	s_delay_alu instid0(VALU_DEP_1) | instskip(NEXT) | instid1(VALU_DEP_1)
	v_mul_f32_e32 v16, v16, v28
	v_fmac_f32_e32 v15, v15, v16
	s_delay_alu instid0(VALU_DEP_1) | instskip(NEXT) | instid1(VALU_DEP_1)
	v_sub_f32_e32 v16, 0x3fc90fdb, v15
	v_dual_cndmask_b32 v15, v15, v16 :: v_dual_mov_b32 v16, v12
	s_delay_alu instid0(VALU_DEP_1)
	v_bfi_b32 v15, 0x7fffffff, v15, v11
.LBB75_165:                             ;   in Loop: Header=BB75_4 Depth=1
	s_or_b32 exec_lo, exec_lo, s6
                                        ; implicit-def: $vgpr12
.LBB75_166:                             ;   in Loop: Header=BB75_4 Depth=1
	s_and_not1_saveexec_b32 s6, s28
	s_cbranch_execz .LBB75_168
; %bb.167:                              ;   in Loop: Header=BB75_4 Depth=1
	v_sub_f32_e64 v15, 1.0, |v12|
	v_add_f32_e64 v28, |v12|, 1.0
	v_cmp_gt_f32_e64 s7, 0x39800000, |v12|
	s_delay_alu instid0(VALU_DEP_3) | instskip(SKIP_1) | instid1(VALU_DEP_1)
	v_rcp_f32_e32 v16, v15
	v_sub_f32_e32 v30, 1.0, v15
	v_sub_f32_e64 v30, v30, |v12|
	s_waitcnt_depctr 0xfff
	v_mul_f32_e32 v29, v28, v16
	s_delay_alu instid0(VALU_DEP_1) | instskip(NEXT) | instid1(VALU_DEP_1)
	v_mul_f32_e32 v31, v15, v29
	v_fma_f32 v15, v29, v15, -v31
	s_delay_alu instid0(VALU_DEP_1) | instskip(NEXT) | instid1(VALU_DEP_1)
	v_fmac_f32_e32 v15, v29, v30
	v_add_f32_e32 v30, v31, v15
	s_delay_alu instid0(VALU_DEP_1) | instskip(NEXT) | instid1(VALU_DEP_1)
	v_sub_f32_e32 v32, v28, v30
	v_sub_f32_e32 v33, v28, v32
	v_dual_sub_f32 v31, v30, v31 :: v_dual_add_f32 v28, -1.0, v28
	s_delay_alu instid0(VALU_DEP_1) | instskip(NEXT) | instid1(VALU_DEP_2)
	v_dual_sub_f32 v30, v33, v30 :: v_dual_sub_f32 v15, v31, v15
	v_sub_f32_e64 v28, |v12|, v28
	s_delay_alu instid0(VALU_DEP_2) | instskip(NEXT) | instid1(VALU_DEP_1)
	v_add_f32_e32 v15, v15, v30
	v_add_f32_e32 v15, v28, v15
	s_delay_alu instid0(VALU_DEP_1) | instskip(NEXT) | instid1(VALU_DEP_1)
	v_add_f32_e32 v15, v32, v15
	v_mul_f32_e32 v28, v16, v15
	s_delay_alu instid0(VALU_DEP_1) | instskip(NEXT) | instid1(VALU_DEP_1)
	v_add_f32_e32 v30, v29, v28
	v_sub_f32_e32 v29, v30, v29
	v_cvt_f64_f32_e32 v[15:16], v30
	s_delay_alu instid0(VALU_DEP_1) | instskip(SKIP_1) | instid1(VALU_DEP_1)
	v_frexp_exp_i32_f64_e32 v15, v[15:16]
	v_frexp_mant_f32_e32 v16, v30
	v_cmp_gt_f32_e32 vcc_lo, 0x3f2aaaab, v16
	s_delay_alu instid0(VALU_DEP_3) | instskip(SKIP_1) | instid1(VALU_DEP_2)
	v_subrev_co_ci_u32_e32 v15, vcc_lo, 0, v15, vcc_lo
	v_cmp_ngt_f32_e64 vcc_lo, |v12|, 1.0
	v_sub_nc_u32_e32 v16, 0, v15
	v_cvt_f32_i32_e32 v15, v15
	s_delay_alu instid0(VALU_DEP_2) | instskip(NEXT) | instid1(VALU_DEP_1)
	v_ldexp_f32 v31, v30, v16
	v_add_f32_e32 v30, 1.0, v31
	s_delay_alu instid0(VALU_DEP_1) | instskip(NEXT) | instid1(VALU_DEP_1)
	v_dual_sub_f32 v28, v28, v29 :: v_dual_add_f32 v29, -1.0, v30
	v_ldexp_f32 v16, v28, v16
	s_delay_alu instid0(VALU_DEP_2) | instskip(NEXT) | instid1(VALU_DEP_1)
	v_dual_add_f32 v28, -1.0, v31 :: v_dual_sub_f32 v29, v31, v29
	v_dual_add_f32 v32, 1.0, v28 :: v_dual_add_f32 v29, v16, v29
	s_delay_alu instid0(VALU_DEP_1) | instskip(NEXT) | instid1(VALU_DEP_1)
	v_dual_sub_f32 v31, v31, v32 :: v_dual_add_f32 v32, v30, v29
	v_sub_f32_e32 v30, v32, v30
	s_delay_alu instid0(VALU_DEP_2) | instskip(SKIP_1) | instid1(VALU_DEP_1)
	v_add_f32_e32 v16, v16, v31
	v_rcp_f32_e32 v31, v32
	v_add_f32_e32 v33, v28, v16
	s_waitcnt_depctr 0xfff
	v_mul_f32_e32 v34, v33, v31
	v_sub_f32_e32 v29, v29, v30
	s_delay_alu instid0(VALU_DEP_2) | instskip(NEXT) | instid1(VALU_DEP_1)
	v_mul_f32_e32 v35, v32, v34
	v_fma_f32 v30, v34, v32, -v35
	s_delay_alu instid0(VALU_DEP_1) | instskip(SKIP_1) | instid1(VALU_DEP_2)
	v_fmac_f32_e32 v30, v34, v29
	v_sub_f32_e32 v28, v33, v28
	v_add_f32_e32 v36, v35, v30
	s_delay_alu instid0(VALU_DEP_2) | instskip(NEXT) | instid1(VALU_DEP_2)
	v_sub_f32_e32 v16, v16, v28
	v_sub_f32_e32 v37, v33, v36
	s_delay_alu instid0(VALU_DEP_1) | instskip(NEXT) | instid1(VALU_DEP_1)
	v_dual_sub_f32 v33, v33, v37 :: v_dual_sub_f32 v28, v36, v35
	v_dual_sub_f32 v33, v33, v36 :: v_dual_sub_f32 v28, v28, v30
	s_delay_alu instid0(VALU_DEP_1) | instskip(NEXT) | instid1(VALU_DEP_1)
	v_add_f32_e32 v16, v16, v33
	v_add_f32_e32 v16, v28, v16
	s_delay_alu instid0(VALU_DEP_1) | instskip(NEXT) | instid1(VALU_DEP_1)
	v_add_f32_e32 v28, v37, v16
	v_mul_f32_e32 v30, v31, v28
	s_delay_alu instid0(VALU_DEP_1) | instskip(NEXT) | instid1(VALU_DEP_1)
	v_dual_mul_f32 v33, v32, v30 :: v_dual_sub_f32 v36, v37, v28
	v_fma_f32 v32, v30, v32, -v33
	s_delay_alu instid0(VALU_DEP_2) | instskip(NEXT) | instid1(VALU_DEP_2)
	v_add_f32_e32 v16, v16, v36
	v_fmac_f32_e32 v32, v30, v29
	s_delay_alu instid0(VALU_DEP_1) | instskip(NEXT) | instid1(VALU_DEP_1)
	v_add_f32_e32 v29, v33, v32
	v_sub_f32_e32 v35, v28, v29
	s_delay_alu instid0(VALU_DEP_1) | instskip(NEXT) | instid1(VALU_DEP_1)
	v_dual_sub_f32 v33, v29, v33 :: v_dual_sub_f32 v28, v28, v35
	v_dual_sub_f32 v28, v28, v29 :: v_dual_sub_f32 v29, v33, v32
	s_delay_alu instid0(VALU_DEP_1) | instskip(SKIP_1) | instid1(VALU_DEP_1)
	v_add_f32_e32 v16, v16, v28
	v_add_f32_e32 v28, v34, v30
	v_dual_add_f32 v16, v29, v16 :: v_dual_sub_f32 v29, v28, v34
	s_delay_alu instid0(VALU_DEP_1) | instskip(NEXT) | instid1(VALU_DEP_1)
	v_dual_add_f32 v16, v35, v16 :: v_dual_sub_f32 v29, v30, v29
	v_mul_f32_e32 v16, v31, v16
	s_delay_alu instid0(VALU_DEP_1) | instskip(NEXT) | instid1(VALU_DEP_1)
	v_add_f32_e32 v16, v29, v16
	v_add_f32_e32 v29, v28, v16
	s_delay_alu instid0(VALU_DEP_1) | instskip(NEXT) | instid1(VALU_DEP_1)
	v_mul_f32_e32 v30, v29, v29
	v_fmaak_f32 v31, s26, v30, 0x3ecc95a3
	v_mul_f32_e32 v32, v29, v30
	s_delay_alu instid0(VALU_DEP_2) | instskip(SKIP_2) | instid1(VALU_DEP_3)
	v_fmaak_f32 v30, v30, v31, 0x3f2aaada
	v_ldexp_f32 v31, v29, 1
	v_sub_f32_e32 v28, v29, v28
	v_mul_f32_e32 v30, v32, v30
	v_mul_f32_e32 v32, 0x3f317218, v15
	s_delay_alu instid0(VALU_DEP_2) | instskip(NEXT) | instid1(VALU_DEP_1)
	v_dual_sub_f32 v16, v16, v28 :: v_dual_add_f32 v29, v31, v30
	v_ldexp_f32 v16, v16, 1
	s_delay_alu instid0(VALU_DEP_2) | instskip(NEXT) | instid1(VALU_DEP_4)
	v_sub_f32_e32 v28, v29, v31
	v_fma_f32 v31, 0x3f317218, v15, -v32
	s_delay_alu instid0(VALU_DEP_1) | instskip(NEXT) | instid1(VALU_DEP_1)
	v_dual_sub_f32 v28, v30, v28 :: v_dual_fmac_f32 v31, 0xb102e308, v15
	v_add_f32_e32 v15, v16, v28
	s_delay_alu instid0(VALU_DEP_2) | instskip(NEXT) | instid1(VALU_DEP_2)
	v_add_f32_e32 v16, v32, v31
	v_add_f32_e32 v28, v29, v15
	s_delay_alu instid0(VALU_DEP_2) | instskip(NEXT) | instid1(VALU_DEP_2)
	v_sub_f32_e32 v32, v16, v32
	v_add_f32_e32 v30, v16, v28
	v_sub_f32_e32 v29, v28, v29
	s_delay_alu instid0(VALU_DEP_3) | instskip(NEXT) | instid1(VALU_DEP_3)
	v_sub_f32_e32 v31, v31, v32
	v_sub_f32_e32 v33, v30, v16
	s_delay_alu instid0(VALU_DEP_3) | instskip(NEXT) | instid1(VALU_DEP_2)
	v_sub_f32_e32 v15, v15, v29
	v_sub_f32_e32 v34, v30, v33
	s_delay_alu instid0(VALU_DEP_2) | instskip(NEXT) | instid1(VALU_DEP_2)
	v_dual_sub_f32 v28, v28, v33 :: v_dual_add_f32 v29, v31, v15
	v_sub_f32_e32 v16, v16, v34
	s_delay_alu instid0(VALU_DEP_1) | instskip(NEXT) | instid1(VALU_DEP_3)
	v_add_f32_e32 v16, v28, v16
	v_sub_f32_e32 v28, v29, v31
	s_delay_alu instid0(VALU_DEP_2) | instskip(NEXT) | instid1(VALU_DEP_2)
	v_add_f32_e32 v16, v29, v16
	v_sub_f32_e32 v29, v29, v28
	v_sub_f32_e32 v15, v15, v28
	s_delay_alu instid0(VALU_DEP_3) | instskip(NEXT) | instid1(VALU_DEP_1)
	v_add_f32_e32 v32, v30, v16
	v_dual_sub_f32 v28, v31, v29 :: v_dual_sub_f32 v29, v32, v30
	s_delay_alu instid0(VALU_DEP_1) | instskip(NEXT) | instid1(VALU_DEP_1)
	v_dual_add_f32 v15, v15, v28 :: v_dual_sub_f32 v16, v16, v29
	v_add_f32_e32 v15, v15, v16
	s_delay_alu instid0(VALU_DEP_1) | instskip(NEXT) | instid1(VALU_DEP_1)
	v_add_f32_e32 v15, v32, v15
	v_mul_f32_e32 v15, 0.5, v15
	s_delay_alu instid0(VALU_DEP_1) | instskip(NEXT) | instid1(VALU_DEP_1)
	v_cndmask_b32_e64 v15, v15, |v12|, s7
	v_cndmask_b32_e32 v15, 0x7fc00000, v15, vcc_lo
	v_cmp_neq_f32_e64 vcc_lo, |v12|, 1.0
	s_delay_alu instid0(VALU_DEP_2) | instskip(NEXT) | instid1(VALU_DEP_1)
	v_cndmask_b32_e32 v15, 0x7f800000, v15, vcc_lo
	v_bfi_b32 v16, 0x7fffffff, v15, v12
	v_mov_b32_e32 v15, v11
.LBB75_168:                             ;   in Loop: Header=BB75_4 Depth=1
	s_or_b32 exec_lo, exec_lo, s6
	v_cmp_neq_f32_e32 vcc_lo, 0, v7
	v_cmp_nle_f32_e64 s6, |v8|, 1.0
	v_dual_mov_b32 v11, s12 :: v_dual_mov_b32 v12, s13
	s_delay_alu instid0(VALU_DEP_2) | instskip(SKIP_3) | instid1(SALU_CYCLE_1)
	s_or_b32 s6, vcc_lo, s6
	flat_store_b32 v[11:12], v25 dlc
	s_waitcnt_vscnt null, 0x0
                                        ; implicit-def: $vgpr11
	s_and_saveexec_b32 s7, s6
	s_xor_b32 s28, exec_lo, s7
	s_cbranch_execz .LBB75_175
; %bb.169:                              ;   in Loop: Header=BB75_4 Depth=1
                                        ; implicit-def: $vgpr11
	s_mov_b32 s6, exec_lo
	v_cmpx_neq_f32_e32 0, v8
	s_xor_b32 s29, exec_lo, s6
	s_cbranch_execz .LBB75_220
; %bb.170:                              ;   in Loop: Header=BB75_4 Depth=1
	v_cmp_o_f32_e32 vcc_lo, v8, v8
	v_cmp_o_f32_e64 s6, v7, v7
                                        ; implicit-def: $vgpr11
	s_delay_alu instid0(VALU_DEP_1) | instskip(NEXT) | instid1(SALU_CYCLE_1)
	s_and_b32 s6, vcc_lo, s6
	s_and_saveexec_b32 s7, s6
	s_delay_alu instid0(SALU_CYCLE_1)
	s_xor_b32 s30, exec_lo, s7
	s_cbranch_execz .LBB75_209
; %bb.171:                              ;   in Loop: Header=BB75_4 Depth=1
	v_max_f32_e64 v12, |v7|, |v7|
	v_max_f32_e64 v11, |v8|, |v8|
	s_delay_alu instid0(VALU_DEP_1) | instskip(NEXT) | instid1(VALU_DEP_1)
	v_max_f32_e32 v11, v11, v12
	v_cmp_nlt_f32_e32 vcc_lo, 0x4b000000, v11
                                        ; implicit-def: $vgpr11
	s_and_saveexec_b32 s6, vcc_lo
	s_delay_alu instid0(SALU_CYCLE_1)
	s_xor_b32 s31, exec_lo, s6
	s_cbranch_execz .LBB75_194
; %bb.172:                              ;   in Loop: Header=BB75_4 Depth=1
	v_cmp_ngt_f32_e64 s6, 0x399cc471, |v8|
	v_cmp_ngt_f32_e64 s7, 0x399cc471, |v7|
                                        ; implicit-def: $vgpr11
	s_delay_alu instid0(VALU_DEP_1) | instskip(NEXT) | instid1(SALU_CYCLE_1)
	s_or_b32 s6, s6, s7
	s_and_saveexec_b32 s7, s6
	s_delay_alu instid0(SALU_CYCLE_1)
	s_xor_b32 s33, exec_lo, s7
	s_cbranch_execz .LBB75_191
; %bb.173:                              ;   in Loop: Header=BB75_4 Depth=1
	v_cmp_neq_f32_e64 s7, |v8|, 1.0
	v_cmp_ngt_f32_e64 s6, 0x34000000, |v7|
                                        ; implicit-def: $vgpr11
	s_delay_alu instid0(VALU_DEP_1) | instskip(NEXT) | instid1(SALU_CYCLE_1)
	s_or_b32 s34, s7, s6
	s_and_saveexec_b32 s35, s34
	s_delay_alu instid0(SALU_CYCLE_1)
	s_xor_b32 s34, exec_lo, s35
	s_cbranch_execz .LBB75_180
; %bb.174:                              ;   in Loop: Header=BB75_4 Depth=1
	v_add_f32_e64 v11, |v8|, -1.0
	v_cmp_gt_f32_e64 vcc_lo, 0x20000000, |v7|
	v_mul_f32_e64 v29, |v8|, 4.0
	s_delay_alu instid0(VALU_DEP_3) | instskip(NEXT) | instid1(VALU_DEP_1)
	v_mul_f32_e32 v11, v11, v11
	v_fma_f32 v28, v7, v7, v11
	s_delay_alu instid0(VALU_DEP_1) | instskip(NEXT) | instid1(VALU_DEP_1)
	v_cndmask_b32_e32 v11, v28, v11, vcc_lo
	v_div_scale_f32 v28, null, v11, v11, v29
	s_delay_alu instid0(VALU_DEP_1) | instskip(SKIP_2) | instid1(VALU_DEP_1)
	v_rcp_f32_e32 v30, v28
	s_waitcnt_depctr 0xfff
	v_fma_f32 v31, -v28, v30, 1.0
	v_fmac_f32_e32 v30, v31, v30
	v_div_scale_f32 v32, vcc_lo, v29, v11, v29
	s_delay_alu instid0(VALU_DEP_1) | instskip(NEXT) | instid1(VALU_DEP_1)
	v_mul_f32_e32 v31, v32, v30
	v_fma_f32 v33, -v28, v31, v32
	s_delay_alu instid0(VALU_DEP_1) | instskip(NEXT) | instid1(VALU_DEP_1)
	v_fmac_f32_e32 v31, v33, v30
	v_fma_f32 v28, -v28, v31, v32
	s_delay_alu instid0(VALU_DEP_1) | instskip(NEXT) | instid1(VALU_DEP_1)
	v_div_fmas_f32 v28, v28, v30, v31
	v_div_fixup_f32 v11, v28, v11, v29
	s_delay_alu instid0(VALU_DEP_1) | instskip(NEXT) | instid1(VALU_DEP_1)
	v_add_f32_e32 v30, 1.0, v11
	v_cvt_f64_f32_e32 v[28:29], v30
	s_delay_alu instid0(VALU_DEP_1) | instskip(SKIP_1) | instid1(VALU_DEP_1)
	v_frexp_exp_i32_f64_e32 v28, v[28:29]
	v_frexp_mant_f32_e32 v29, v30
	v_cmp_gt_f32_e32 vcc_lo, 0x3f2aaaab, v29
	v_add_f32_e32 v29, -1.0, v30
	s_delay_alu instid0(VALU_DEP_1) | instskip(NEXT) | instid1(VALU_DEP_1)
	v_sub_f32_e32 v32, v29, v30
	v_add_f32_e32 v32, 1.0, v32
	v_subrev_co_ci_u32_e32 v28, vcc_lo, 0, v28, vcc_lo
	v_cmp_eq_f32_e32 vcc_lo, 0x7f800000, v11
	s_delay_alu instid0(VALU_DEP_2) | instskip(SKIP_1) | instid1(VALU_DEP_2)
	v_sub_nc_u32_e32 v31, 0, v28
	v_cvt_f32_i32_e32 v28, v28
	v_ldexp_f32 v30, v30, v31
	v_sub_f32_e32 v29, v11, v29
	s_delay_alu instid0(VALU_DEP_1) | instskip(NEXT) | instid1(VALU_DEP_1)
	v_add_f32_e32 v29, v29, v32
	v_ldexp_f32 v29, v29, v31
	s_delay_alu instid0(VALU_DEP_4) | instskip(NEXT) | instid1(VALU_DEP_1)
	v_add_f32_e32 v31, -1.0, v30
	v_dual_add_f32 v33, 1.0, v30 :: v_dual_add_f32 v34, 1.0, v31
	s_delay_alu instid0(VALU_DEP_1) | instskip(NEXT) | instid1(VALU_DEP_1)
	v_add_f32_e32 v32, -1.0, v33
	v_sub_f32_e32 v32, v30, v32
	s_delay_alu instid0(VALU_DEP_3) | instskip(NEXT) | instid1(VALU_DEP_2)
	v_sub_f32_e32 v30, v30, v34
	v_add_f32_e32 v32, v29, v32
	s_delay_alu instid0(VALU_DEP_2) | instskip(NEXT) | instid1(VALU_DEP_1)
	v_add_f32_e32 v29, v29, v30
	v_dual_add_f32 v34, v33, v32 :: v_dual_add_f32 v35, v31, v29
	s_delay_alu instid0(VALU_DEP_1) | instskip(SKIP_1) | instid1(VALU_DEP_1)
	v_rcp_f32_e32 v30, v34
	v_sub_f32_e32 v33, v34, v33
	v_dual_sub_f32 v31, v35, v31 :: v_dual_sub_f32 v32, v32, v33
	s_waitcnt_depctr 0xfff
	v_dual_sub_f32 v29, v29, v31 :: v_dual_mul_f32 v36, v35, v30
	s_delay_alu instid0(VALU_DEP_1) | instskip(NEXT) | instid1(VALU_DEP_1)
	v_mul_f32_e32 v37, v34, v36
	v_fma_f32 v33, v36, v34, -v37
	s_delay_alu instid0(VALU_DEP_1) | instskip(NEXT) | instid1(VALU_DEP_1)
	v_fmac_f32_e32 v33, v36, v32
	v_add_f32_e32 v38, v37, v33
	s_delay_alu instid0(VALU_DEP_1) | instskip(SKIP_1) | instid1(VALU_DEP_2)
	v_sub_f32_e32 v39, v35, v38
	v_sub_f32_e32 v31, v38, v37
	;; [unrolled: 1-line block ×3, first 2 shown]
	s_delay_alu instid0(VALU_DEP_2) | instskip(NEXT) | instid1(VALU_DEP_2)
	v_sub_f32_e32 v31, v31, v33
	v_sub_f32_e32 v35, v35, v38
	s_delay_alu instid0(VALU_DEP_1) | instskip(NEXT) | instid1(VALU_DEP_1)
	v_add_f32_e32 v29, v29, v35
	v_add_f32_e32 v29, v31, v29
	s_delay_alu instid0(VALU_DEP_1) | instskip(NEXT) | instid1(VALU_DEP_1)
	v_add_f32_e32 v31, v39, v29
	v_mul_f32_e32 v33, v30, v31
	s_delay_alu instid0(VALU_DEP_1) | instskip(NEXT) | instid1(VALU_DEP_1)
	v_mul_f32_e32 v35, v34, v33
	v_fma_f32 v34, v33, v34, -v35
	s_delay_alu instid0(VALU_DEP_1) | instskip(SKIP_1) | instid1(VALU_DEP_2)
	v_fmac_f32_e32 v34, v33, v32
	v_sub_f32_e32 v38, v39, v31
	v_add_f32_e32 v32, v35, v34
	s_delay_alu instid0(VALU_DEP_2) | instskip(NEXT) | instid1(VALU_DEP_2)
	v_add_f32_e32 v29, v29, v38
	v_sub_f32_e32 v37, v31, v32
	v_sub_f32_e32 v35, v32, v35
	s_delay_alu instid0(VALU_DEP_2) | instskip(NEXT) | instid1(VALU_DEP_1)
	v_sub_f32_e32 v31, v31, v37
	v_sub_f32_e32 v31, v31, v32
	s_delay_alu instid0(VALU_DEP_1) | instskip(SKIP_1) | instid1(VALU_DEP_1)
	v_dual_sub_f32 v32, v35, v34 :: v_dual_add_f32 v29, v29, v31
	v_add_f32_e32 v31, v36, v33
	v_dual_add_f32 v29, v32, v29 :: v_dual_sub_f32 v32, v31, v36
	s_delay_alu instid0(VALU_DEP_1) | instskip(NEXT) | instid1(VALU_DEP_1)
	v_add_f32_e32 v29, v37, v29
	v_dual_sub_f32 v32, v33, v32 :: v_dual_mul_f32 v29, v30, v29
	s_delay_alu instid0(VALU_DEP_1) | instskip(NEXT) | instid1(VALU_DEP_1)
	v_add_f32_e32 v29, v32, v29
	v_add_f32_e32 v30, v31, v29
	s_delay_alu instid0(VALU_DEP_1) | instskip(NEXT) | instid1(VALU_DEP_1)
	v_mul_f32_e32 v32, v30, v30
	v_fmaak_f32 v33, s26, v32, 0x3ecc95a3
	v_mul_f32_e32 v34, v30, v32
	s_delay_alu instid0(VALU_DEP_2) | instskip(SKIP_2) | instid1(VALU_DEP_3)
	v_fmaak_f32 v32, v32, v33, 0x3f2aaada
	v_ldexp_f32 v33, v30, 1
	v_sub_f32_e32 v30, v30, v31
	v_mul_f32_e32 v32, v34, v32
	s_delay_alu instid0(VALU_DEP_2) | instskip(NEXT) | instid1(VALU_DEP_2)
	v_dual_mul_f32 v34, 0x3f317218, v28 :: v_dual_sub_f32 v29, v29, v30
	v_add_f32_e32 v31, v33, v32
	s_delay_alu instid0(VALU_DEP_2) | instskip(NEXT) | instid1(VALU_DEP_2)
	v_ldexp_f32 v29, v29, 1
	v_sub_f32_e32 v30, v31, v33
	s_delay_alu instid0(VALU_DEP_4) | instskip(NEXT) | instid1(VALU_DEP_1)
	v_fma_f32 v33, 0x3f317218, v28, -v34
	v_dual_sub_f32 v30, v32, v30 :: v_dual_fmac_f32 v33, 0xb102e308, v28
	s_delay_alu instid0(VALU_DEP_1) | instskip(NEXT) | instid1(VALU_DEP_1)
	v_dual_add_f32 v28, v29, v30 :: v_dual_add_f32 v29, v34, v33
	v_add_f32_e32 v30, v31, v28
	s_delay_alu instid0(VALU_DEP_2) | instskip(NEXT) | instid1(VALU_DEP_2)
	v_sub_f32_e32 v34, v29, v34
	v_dual_add_f32 v32, v29, v30 :: v_dual_sub_f32 v31, v30, v31
	s_delay_alu instid0(VALU_DEP_2) | instskip(NEXT) | instid1(VALU_DEP_2)
	v_sub_f32_e32 v33, v33, v34
	v_sub_f32_e32 v35, v32, v29
	s_delay_alu instid0(VALU_DEP_3) | instskip(NEXT) | instid1(VALU_DEP_2)
	v_sub_f32_e32 v28, v28, v31
	v_sub_f32_e32 v36, v32, v35
	s_delay_alu instid0(VALU_DEP_2) | instskip(NEXT) | instid1(VALU_DEP_2)
	v_dual_sub_f32 v30, v30, v35 :: v_dual_add_f32 v31, v33, v28
	v_sub_f32_e32 v29, v29, v36
	s_delay_alu instid0(VALU_DEP_1) | instskip(NEXT) | instid1(VALU_DEP_3)
	v_add_f32_e32 v29, v30, v29
	v_sub_f32_e32 v30, v31, v33
	s_delay_alu instid0(VALU_DEP_2) | instskip(NEXT) | instid1(VALU_DEP_2)
	v_add_f32_e32 v29, v31, v29
	v_sub_f32_e32 v31, v31, v30
	v_sub_f32_e32 v28, v28, v30
	s_delay_alu instid0(VALU_DEP_2) | instskip(NEXT) | instid1(VALU_DEP_1)
	v_dual_add_f32 v34, v32, v29 :: v_dual_sub_f32 v31, v33, v31
	v_sub_f32_e32 v30, v34, v32
	s_delay_alu instid0(VALU_DEP_1) | instskip(NEXT) | instid1(VALU_DEP_1)
	v_dual_add_f32 v28, v28, v31 :: v_dual_sub_f32 v29, v29, v30
	v_add_f32_e32 v28, v28, v29
	s_delay_alu instid0(VALU_DEP_1) | instskip(NEXT) | instid1(VALU_DEP_1)
	v_add_f32_e32 v28, v34, v28
	v_cndmask_b32_e32 v28, v28, v11, vcc_lo
	v_cmp_ngt_f32_e32 vcc_lo, -1.0, v11
	s_delay_alu instid0(VALU_DEP_2) | instskip(SKIP_1) | instid1(VALU_DEP_2)
	v_cndmask_b32_e32 v28, 0x7fc00000, v28, vcc_lo
	v_cmp_neq_f32_e32 vcc_lo, -1.0, v11
	v_cndmask_b32_e32 v28, 0xff800000, v28, vcc_lo
	v_cmp_gt_f32_e64 vcc_lo, 0x33800000, |v11|
	s_delay_alu instid0(VALU_DEP_2) | instskip(NEXT) | instid1(VALU_DEP_1)
	v_cndmask_b32_e32 v11, v28, v11, vcc_lo
	v_mul_f32_e32 v11, 0x3e800000, v11
	s_and_not1_saveexec_b32 s34, s34
	s_cbranch_execz .LBB75_182
	s_branch .LBB75_181
.LBB75_175:                             ;   in Loop: Header=BB75_4 Depth=1
	s_and_not1_saveexec_b32 s6, s28
	s_cbranch_execz .LBB75_223
.LBB75_176:                             ;   in Loop: Header=BB75_4 Depth=1
	v_sub_f32_e64 v11, 1.0, |v8|
	v_add_f32_e64 v28, |v8|, 1.0
	v_cmp_gt_f32_e64 s7, 0x39800000, |v8|
	s_delay_alu instid0(VALU_DEP_3) | instskip(SKIP_1) | instid1(VALU_DEP_1)
	v_rcp_f32_e32 v12, v11
	v_sub_f32_e32 v30, 1.0, v11
	v_sub_f32_e64 v30, v30, |v8|
	s_waitcnt_depctr 0xfff
	v_mul_f32_e32 v29, v28, v12
	s_delay_alu instid0(VALU_DEP_1) | instskip(NEXT) | instid1(VALU_DEP_1)
	v_mul_f32_e32 v31, v11, v29
	v_fma_f32 v11, v29, v11, -v31
	s_delay_alu instid0(VALU_DEP_1) | instskip(NEXT) | instid1(VALU_DEP_1)
	v_fmac_f32_e32 v11, v29, v30
	v_add_f32_e32 v30, v31, v11
	s_delay_alu instid0(VALU_DEP_1) | instskip(NEXT) | instid1(VALU_DEP_1)
	v_sub_f32_e32 v32, v28, v30
	v_sub_f32_e32 v33, v28, v32
	v_dual_sub_f32 v31, v30, v31 :: v_dual_add_f32 v28, -1.0, v28
	s_delay_alu instid0(VALU_DEP_1) | instskip(NEXT) | instid1(VALU_DEP_2)
	v_dual_sub_f32 v30, v33, v30 :: v_dual_sub_f32 v11, v31, v11
	v_sub_f32_e64 v28, |v8|, v28
	s_delay_alu instid0(VALU_DEP_2) | instskip(NEXT) | instid1(VALU_DEP_1)
	v_add_f32_e32 v11, v11, v30
	v_add_f32_e32 v11, v28, v11
	s_delay_alu instid0(VALU_DEP_1) | instskip(NEXT) | instid1(VALU_DEP_1)
	v_add_f32_e32 v11, v32, v11
	v_mul_f32_e32 v28, v12, v11
	s_delay_alu instid0(VALU_DEP_1) | instskip(NEXT) | instid1(VALU_DEP_1)
	v_add_f32_e32 v30, v29, v28
	v_sub_f32_e32 v29, v30, v29
	v_cvt_f64_f32_e32 v[11:12], v30
	s_delay_alu instid0(VALU_DEP_1) | instskip(SKIP_1) | instid1(VALU_DEP_1)
	v_frexp_exp_i32_f64_e32 v11, v[11:12]
	v_frexp_mant_f32_e32 v12, v30
	v_cmp_gt_f32_e32 vcc_lo, 0x3f2aaaab, v12
	s_delay_alu instid0(VALU_DEP_3) | instskip(SKIP_1) | instid1(VALU_DEP_2)
	v_subrev_co_ci_u32_e32 v11, vcc_lo, 0, v11, vcc_lo
	v_cmp_ngt_f32_e64 vcc_lo, |v8|, 1.0
	v_sub_nc_u32_e32 v12, 0, v11
	v_cvt_f32_i32_e32 v11, v11
	s_delay_alu instid0(VALU_DEP_2) | instskip(NEXT) | instid1(VALU_DEP_1)
	v_ldexp_f32 v31, v30, v12
	v_add_f32_e32 v30, 1.0, v31
	s_delay_alu instid0(VALU_DEP_1) | instskip(NEXT) | instid1(VALU_DEP_1)
	v_dual_sub_f32 v28, v28, v29 :: v_dual_add_f32 v29, -1.0, v30
	v_ldexp_f32 v12, v28, v12
	s_delay_alu instid0(VALU_DEP_2) | instskip(NEXT) | instid1(VALU_DEP_1)
	v_dual_add_f32 v28, -1.0, v31 :: v_dual_sub_f32 v29, v31, v29
	v_dual_add_f32 v32, 1.0, v28 :: v_dual_add_f32 v29, v12, v29
	s_delay_alu instid0(VALU_DEP_1) | instskip(NEXT) | instid1(VALU_DEP_1)
	v_dual_sub_f32 v31, v31, v32 :: v_dual_add_f32 v32, v30, v29
	v_sub_f32_e32 v30, v32, v30
	s_delay_alu instid0(VALU_DEP_2) | instskip(SKIP_1) | instid1(VALU_DEP_1)
	v_add_f32_e32 v12, v12, v31
	v_rcp_f32_e32 v31, v32
	v_add_f32_e32 v33, v28, v12
	s_waitcnt_depctr 0xfff
	v_mul_f32_e32 v34, v33, v31
	v_sub_f32_e32 v29, v29, v30
	s_delay_alu instid0(VALU_DEP_2) | instskip(NEXT) | instid1(VALU_DEP_1)
	v_mul_f32_e32 v35, v32, v34
	v_fma_f32 v30, v34, v32, -v35
	s_delay_alu instid0(VALU_DEP_1) | instskip(SKIP_1) | instid1(VALU_DEP_2)
	v_fmac_f32_e32 v30, v34, v29
	v_sub_f32_e32 v28, v33, v28
	v_add_f32_e32 v36, v35, v30
	s_delay_alu instid0(VALU_DEP_2) | instskip(NEXT) | instid1(VALU_DEP_2)
	v_sub_f32_e32 v12, v12, v28
	v_sub_f32_e32 v37, v33, v36
	s_delay_alu instid0(VALU_DEP_1) | instskip(NEXT) | instid1(VALU_DEP_1)
	v_dual_sub_f32 v33, v33, v37 :: v_dual_sub_f32 v28, v36, v35
	v_dual_sub_f32 v33, v33, v36 :: v_dual_sub_f32 v28, v28, v30
	s_delay_alu instid0(VALU_DEP_1) | instskip(NEXT) | instid1(VALU_DEP_1)
	v_add_f32_e32 v12, v12, v33
	v_add_f32_e32 v12, v28, v12
	s_delay_alu instid0(VALU_DEP_1) | instskip(NEXT) | instid1(VALU_DEP_1)
	v_add_f32_e32 v28, v37, v12
	v_mul_f32_e32 v30, v31, v28
	s_delay_alu instid0(VALU_DEP_1) | instskip(NEXT) | instid1(VALU_DEP_1)
	v_dual_mul_f32 v33, v32, v30 :: v_dual_sub_f32 v36, v37, v28
	v_fma_f32 v32, v30, v32, -v33
	s_delay_alu instid0(VALU_DEP_2) | instskip(NEXT) | instid1(VALU_DEP_2)
	v_add_f32_e32 v12, v12, v36
	v_fmac_f32_e32 v32, v30, v29
	s_delay_alu instid0(VALU_DEP_1) | instskip(NEXT) | instid1(VALU_DEP_1)
	v_add_f32_e32 v29, v33, v32
	v_sub_f32_e32 v35, v28, v29
	s_delay_alu instid0(VALU_DEP_1) | instskip(NEXT) | instid1(VALU_DEP_1)
	v_dual_sub_f32 v33, v29, v33 :: v_dual_sub_f32 v28, v28, v35
	v_dual_sub_f32 v28, v28, v29 :: v_dual_sub_f32 v29, v33, v32
	s_delay_alu instid0(VALU_DEP_1) | instskip(SKIP_1) | instid1(VALU_DEP_1)
	v_add_f32_e32 v12, v12, v28
	v_add_f32_e32 v28, v34, v30
	v_dual_add_f32 v12, v29, v12 :: v_dual_sub_f32 v29, v28, v34
	s_delay_alu instid0(VALU_DEP_1) | instskip(NEXT) | instid1(VALU_DEP_1)
	v_dual_add_f32 v12, v35, v12 :: v_dual_sub_f32 v29, v30, v29
	v_mul_f32_e32 v12, v31, v12
	s_delay_alu instid0(VALU_DEP_1) | instskip(NEXT) | instid1(VALU_DEP_1)
	v_add_f32_e32 v12, v29, v12
	v_add_f32_e32 v29, v28, v12
	s_delay_alu instid0(VALU_DEP_1) | instskip(NEXT) | instid1(VALU_DEP_1)
	v_mul_f32_e32 v30, v29, v29
	v_fmaak_f32 v31, s26, v30, 0x3ecc95a3
	v_mul_f32_e32 v32, v29, v30
	s_delay_alu instid0(VALU_DEP_2) | instskip(SKIP_2) | instid1(VALU_DEP_3)
	v_fmaak_f32 v30, v30, v31, 0x3f2aaada
	v_ldexp_f32 v31, v29, 1
	v_sub_f32_e32 v28, v29, v28
	v_mul_f32_e32 v30, v32, v30
	v_mul_f32_e32 v32, 0x3f317218, v11
	s_delay_alu instid0(VALU_DEP_2) | instskip(NEXT) | instid1(VALU_DEP_1)
	v_dual_sub_f32 v12, v12, v28 :: v_dual_add_f32 v29, v31, v30
	v_ldexp_f32 v12, v12, 1
	s_delay_alu instid0(VALU_DEP_2) | instskip(NEXT) | instid1(VALU_DEP_4)
	v_sub_f32_e32 v28, v29, v31
	v_fma_f32 v31, 0x3f317218, v11, -v32
	s_delay_alu instid0(VALU_DEP_1) | instskip(NEXT) | instid1(VALU_DEP_1)
	v_dual_sub_f32 v28, v30, v28 :: v_dual_fmac_f32 v31, 0xb102e308, v11
	v_add_f32_e32 v11, v12, v28
	s_delay_alu instid0(VALU_DEP_2) | instskip(NEXT) | instid1(VALU_DEP_2)
	v_add_f32_e32 v12, v32, v31
	v_add_f32_e32 v28, v29, v11
	s_delay_alu instid0(VALU_DEP_2) | instskip(NEXT) | instid1(VALU_DEP_2)
	v_sub_f32_e32 v32, v12, v32
	v_add_f32_e32 v30, v12, v28
	v_sub_f32_e32 v29, v28, v29
	s_delay_alu instid0(VALU_DEP_3) | instskip(NEXT) | instid1(VALU_DEP_3)
	v_sub_f32_e32 v31, v31, v32
	v_sub_f32_e32 v33, v30, v12
	s_delay_alu instid0(VALU_DEP_3) | instskip(NEXT) | instid1(VALU_DEP_2)
	v_sub_f32_e32 v11, v11, v29
	v_sub_f32_e32 v34, v30, v33
	s_delay_alu instid0(VALU_DEP_2) | instskip(NEXT) | instid1(VALU_DEP_2)
	v_dual_sub_f32 v28, v28, v33 :: v_dual_add_f32 v29, v31, v11
	v_sub_f32_e32 v12, v12, v34
	s_delay_alu instid0(VALU_DEP_1) | instskip(NEXT) | instid1(VALU_DEP_3)
	v_add_f32_e32 v12, v28, v12
	v_sub_f32_e32 v28, v29, v31
	s_delay_alu instid0(VALU_DEP_2) | instskip(NEXT) | instid1(VALU_DEP_2)
	v_add_f32_e32 v12, v29, v12
	v_sub_f32_e32 v29, v29, v28
	v_sub_f32_e32 v11, v11, v28
	s_delay_alu instid0(VALU_DEP_3) | instskip(NEXT) | instid1(VALU_DEP_1)
	v_add_f32_e32 v32, v30, v12
	v_dual_sub_f32 v28, v31, v29 :: v_dual_sub_f32 v29, v32, v30
	s_delay_alu instid0(VALU_DEP_1) | instskip(NEXT) | instid1(VALU_DEP_1)
	v_dual_add_f32 v11, v11, v28 :: v_dual_sub_f32 v12, v12, v29
	v_add_f32_e32 v11, v11, v12
	s_delay_alu instid0(VALU_DEP_1) | instskip(NEXT) | instid1(VALU_DEP_1)
	v_add_f32_e32 v11, v32, v11
	v_mul_f32_e32 v11, 0.5, v11
	s_delay_alu instid0(VALU_DEP_1) | instskip(NEXT) | instid1(VALU_DEP_1)
	v_cndmask_b32_e64 v11, v11, |v8|, s7
	v_cndmask_b32_e32 v11, 0x7fc00000, v11, vcc_lo
	v_cmp_neq_f32_e64 vcc_lo, |v8|, 1.0
	s_delay_alu instid0(VALU_DEP_2) | instskip(NEXT) | instid1(VALU_DEP_1)
	v_cndmask_b32_e32 v11, 0x7f800000, v11, vcc_lo
	v_bfi_b32 v12, 0x7fffffff, v11, v8
	v_mov_b32_e32 v11, v7
	s_or_b32 exec_lo, exec_lo, s6
	s_and_saveexec_b32 s6, s2
	s_delay_alu instid0(SALU_CYCLE_1)
	s_xor_b32 s2, exec_lo, s6
	s_cbranch_execnz .LBB75_224
.LBB75_177:                             ;   in Loop: Header=BB75_4 Depth=1
	s_or_b32 exec_lo, exec_lo, s2
	s_and_saveexec_b32 s2, s3
	s_cbranch_execz .LBB75_225
.LBB75_178:                             ;   in Loop: Header=BB75_4 Depth=1
	v_add_co_u32 v7, s3, s22, v20
	s_delay_alu instid0(VALU_DEP_1)
	v_add_co_ci_u32_e64 v8, null, s23, 0, s3
	global_store_b64 v[7:8], v[13:14], off
	s_or_b32 exec_lo, exec_lo, s2
	s_and_saveexec_b32 s2, s4
	s_cbranch_execnz .LBB75_226
.LBB75_179:                             ;   in Loop: Header=BB75_4 Depth=1
	s_or_b32 exec_lo, exec_lo, s2
	s_and_saveexec_b32 s2, s5
	s_cbranch_execz .LBB75_3
	s_branch .LBB75_227
.LBB75_180:                             ;   in Loop: Header=BB75_4 Depth=1
	s_and_not1_saveexec_b32 s34, s34
	s_cbranch_execz .LBB75_182
.LBB75_181:                             ;   in Loop: Header=BB75_4 Depth=1
	v_cmp_gt_f32_e64 s35, 0x800000, |v7|
	s_delay_alu instid0(VALU_DEP_1) | instskip(NEXT) | instid1(VALU_DEP_1)
	v_cndmask_b32_e64 v11, 1.0, 0x4f800000, s35
	v_mul_f32_e64 v11, |v7|, v11
	s_delay_alu instid0(VALU_DEP_1) | instskip(SKIP_3) | instid1(VALU_DEP_2)
	v_log_f32_e32 v11, v11
	s_waitcnt_depctr 0xfff
	v_mul_f32_e32 v28, 0x3f317217, v11
	v_cmp_gt_f32_e64 vcc_lo, 0x7f800000, |v11|
	v_fma_f32 v29, 0x3f317217, v11, -v28
	s_delay_alu instid0(VALU_DEP_1) | instskip(NEXT) | instid1(VALU_DEP_1)
	v_fmac_f32_e32 v29, 0x3377d1cf, v11
	v_add_f32_e32 v28, v28, v29
	s_delay_alu instid0(VALU_DEP_1) | instskip(SKIP_1) | instid1(VALU_DEP_1)
	v_cndmask_b32_e32 v11, v11, v28, vcc_lo
	v_cndmask_b32_e64 v28, 0, 0x41b17218, s35
	v_sub_f32_e32 v11, v11, v28
	s_delay_alu instid0(VALU_DEP_1) | instskip(NEXT) | instid1(VALU_DEP_1)
	v_sub_f32_e32 v11, 0x3f317218, v11
	v_mul_f32_e32 v11, 0.5, v11
.LBB75_182:                             ;   in Loop: Header=BB75_4 Depth=1
	s_or_b32 exec_lo, exec_lo, s34
                                        ; implicit-def: $vgpr29
	s_and_saveexec_b32 s34, s7
	s_delay_alu instid0(SALU_CYCLE_1)
	s_xor_b32 s34, exec_lo, s34
	s_cbranch_execz .LBB75_188
; %bb.183:                              ;   in Loop: Header=BB75_4 Depth=1
	v_sub_f32_e64 v28, 1.0, |v8|
	v_add_f32_e64 v29, |v8|, 1.0
	v_add_f32_e64 v12, |v7|, |v7|
	s_delay_alu instid0(VALU_DEP_2) | instskip(SKIP_1) | instid1(SALU_CYCLE_1)
	v_mul_f32_e32 v28, v28, v29
                                        ; implicit-def: $vgpr29
	s_and_saveexec_b32 s7, s6
	s_xor_b32 s7, exec_lo, s7
	s_cbranch_execz .LBB75_185
; %bb.184:                              ;   in Loop: Header=BB75_4 Depth=1
	s_delay_alu instid0(VALU_DEP_1) | instskip(SKIP_3) | instid1(VALU_DEP_4)
	v_fma_f32 v28, -v7, v7, v28
	v_max_f32_e64 v29, |v12|, |v12|
	v_cmp_eq_f32_e64 s6, 0, v12
	v_cmp_class_f32_e64 s35, v12, 0x204
	v_cmp_gt_f32_e64 vcc_lo, |v12|, |v28|
	s_delay_alu instid0(VALU_DEP_4) | instskip(SKIP_2) | instid1(VALU_DEP_3)
	v_max_f32_e64 v30, |v28|, v29
	v_min_f32_e64 v29, |v28|, v29
	v_cmp_class_f32_e64 s36, v28, 0x204
	v_frexp_mant_f32_e32 v31, v30
	v_frexp_exp_i32_f32_e32 v30, v30
	s_delay_alu instid0(VALU_DEP_4) | instskip(SKIP_1) | instid1(VALU_DEP_4)
	v_frexp_exp_i32_f32_e32 v32, v29
	v_frexp_mant_f32_e32 v29, v29
	v_rcp_f32_e32 v31, v31
	s_delay_alu instid0(VALU_DEP_2) | instskip(SKIP_2) | instid1(VALU_DEP_1)
	v_sub_nc_u32_e32 v30, v32, v30
	s_waitcnt_depctr 0xfff
	v_mul_f32_e32 v29, v29, v31
	v_ldexp_f32 v29, v29, v30
	s_delay_alu instid0(VALU_DEP_1) | instskip(NEXT) | instid1(VALU_DEP_1)
	v_mul_f32_e32 v30, v29, v29
	v_fmaak_f32 v31, s27, v30, 0xbc7a590c
	s_delay_alu instid0(VALU_DEP_1) | instskip(NEXT) | instid1(VALU_DEP_1)
	v_fmaak_f32 v31, v30, v31, 0x3d29fb3f
	v_fmaak_f32 v31, v30, v31, 0xbd97d4d7
	s_delay_alu instid0(VALU_DEP_1) | instskip(NEXT) | instid1(VALU_DEP_1)
	v_fmaak_f32 v31, v30, v31, 0x3dd931b2
	;; [unrolled: 3-line block ×3, first 2 shown]
	v_fmaak_f32 v31, v30, v31, 0xbeaaaa62
	s_delay_alu instid0(VALU_DEP_1) | instskip(NEXT) | instid1(VALU_DEP_1)
	v_mul_f32_e32 v30, v30, v31
	v_fmac_f32_e32 v29, v29, v30
	s_delay_alu instid0(VALU_DEP_1) | instskip(NEXT) | instid1(VALU_DEP_1)
	v_sub_f32_e32 v30, 0x3fc90fdb, v29
	v_cndmask_b32_e32 v29, v29, v30, vcc_lo
	v_cmp_gt_i32_e32 vcc_lo, 0, v28
	s_delay_alu instid0(VALU_DEP_2) | instskip(SKIP_2) | instid1(VALU_DEP_3)
	v_sub_f32_e32 v30, 0x40490fdb, v29
	v_cndmask_b32_e64 v31, 0, 0x40490fdb, vcc_lo
	v_cmp_gt_f32_e32 vcc_lo, 0, v28
	v_cndmask_b32_e32 v29, v29, v30, vcc_lo
	v_cndmask_b32_e32 v30, 0x3f490fdb, v27, vcc_lo
	s_and_b32 vcc_lo, s35, s36
	s_delay_alu instid0(VALU_DEP_2) | instskip(NEXT) | instid1(VALU_DEP_1)
	v_cndmask_b32_e64 v29, v29, v31, s6
	v_cndmask_b32_e32 v29, v29, v30, vcc_lo
	v_cmp_o_f32_e32 vcc_lo, v28, v12
	s_delay_alu instid0(VALU_DEP_2) | instskip(NEXT) | instid1(VALU_DEP_1)
	v_cndmask_b32_e32 v28, 0x7fc00000, v29, vcc_lo
	v_bfi_b32 v29, 0x7fffffff, v28, v12
                                        ; implicit-def: $vgpr12
                                        ; implicit-def: $vgpr28
.LBB75_185:                             ;   in Loop: Header=BB75_4 Depth=1
	s_and_not1_saveexec_b32 s35, s7
	s_cbranch_execz .LBB75_187
; %bb.186:                              ;   in Loop: Header=BB75_4 Depth=1
	v_max_f32_e32 v29, v12, v12
	v_max_f32_e64 v30, |v28|, |v28|
	v_cmp_gt_f32_e64 vcc_lo, v12, |v28|
	v_cmp_eq_f32_e64 s7, 0, v12
	v_cmp_class_f32_e64 s36, v28, 0x204
	v_cmp_eq_f32_e64 s6, 0x7f800000, v12
	v_max_f32_e32 v31, v30, v29
	v_min_f32_e32 v29, v30, v29
	s_delay_alu instid0(VALU_DEP_2) | instskip(SKIP_1) | instid1(VALU_DEP_2)
	v_frexp_mant_f32_e32 v32, v31
	v_frexp_exp_i32_f32_e32 v31, v31
	v_rcp_f32_e32 v30, v32
	s_delay_alu instid0(VALU_DEP_3) | instskip(SKIP_1) | instid1(VALU_DEP_2)
	v_frexp_exp_i32_f32_e32 v32, v29
	v_frexp_mant_f32_e32 v29, v29
	v_sub_nc_u32_e32 v31, v32, v31
	s_waitcnt_depctr 0xfff
	v_mul_f32_e32 v29, v29, v30
	s_delay_alu instid0(VALU_DEP_1) | instskip(NEXT) | instid1(VALU_DEP_1)
	v_ldexp_f32 v29, v29, v31
	v_mul_f32_e32 v30, v29, v29
	s_delay_alu instid0(VALU_DEP_1) | instskip(NEXT) | instid1(VALU_DEP_1)
	v_fmaak_f32 v31, s27, v30, 0xbc7a590c
	v_fmaak_f32 v31, v30, v31, 0x3d29fb3f
	s_delay_alu instid0(VALU_DEP_1) | instskip(NEXT) | instid1(VALU_DEP_1)
	v_fmaak_f32 v31, v30, v31, 0xbd97d4d7
	v_fmaak_f32 v31, v30, v31, 0x3dd931b2
	;; [unrolled: 3-line block ×3, first 2 shown]
	s_delay_alu instid0(VALU_DEP_1) | instskip(NEXT) | instid1(VALU_DEP_1)
	v_fmaak_f32 v31, v30, v31, 0xbeaaaa62
	v_mul_f32_e32 v30, v30, v31
	s_delay_alu instid0(VALU_DEP_1) | instskip(NEXT) | instid1(VALU_DEP_1)
	v_fmac_f32_e32 v29, v29, v30
	v_sub_f32_e32 v30, 0x3fc90fdb, v29
	s_delay_alu instid0(VALU_DEP_1) | instskip(SKIP_1) | instid1(VALU_DEP_2)
	v_cndmask_b32_e32 v29, v29, v30, vcc_lo
	v_cmp_gt_i32_e32 vcc_lo, 0, v28
	v_sub_f32_e32 v30, 0x40490fdb, v29
	v_cndmask_b32_e64 v31, 0, 0x40490fdb, vcc_lo
	v_cmp_gt_f32_e32 vcc_lo, 0, v28
	s_delay_alu instid0(VALU_DEP_3) | instskip(NEXT) | instid1(VALU_DEP_1)
	v_cndmask_b32_e32 v29, v29, v30, vcc_lo
	v_cndmask_b32_e64 v12, v29, v31, s7
	v_cndmask_b32_e32 v29, 0x3f490fdb, v27, vcc_lo
	s_and_b32 vcc_lo, s6, s36
	s_delay_alu instid0(VALU_DEP_1) | instskip(SKIP_1) | instid1(VALU_DEP_2)
	v_cndmask_b32_e32 v12, v12, v29, vcc_lo
	v_cmp_o_f32_e32 vcc_lo, v28, v28
	v_cndmask_b32_e64 v29, 0x7fc00000, |v12|, vcc_lo
.LBB75_187:                             ;   in Loop: Header=BB75_4 Depth=1
	s_or_b32 exec_lo, exec_lo, s35
                                        ; implicit-def: $vgpr12
	s_and_not1_saveexec_b32 s6, s34
	s_cbranch_execnz .LBB75_189
	s_branch .LBB75_190
.LBB75_188:                             ;   in Loop: Header=BB75_4 Depth=1
	s_and_not1_saveexec_b32 s6, s34
	s_cbranch_execz .LBB75_190
.LBB75_189:                             ;   in Loop: Header=BB75_4 Depth=1
	v_max_f32_e32 v28, 2.0, v12
	v_min_f32_e32 v12, 2.0, v12
	v_cmp_lt_f32_e64 vcc_lo, |v7|, 2.0
	s_delay_alu instid0(VALU_DEP_3) | instskip(NEXT) | instid1(VALU_DEP_3)
	v_frexp_mant_f32_e32 v29, v28
	v_frexp_mant_f32_e32 v30, v12
	v_frexp_exp_i32_f32_e32 v12, v12
	s_delay_alu instid0(VALU_DEP_3) | instskip(SKIP_3) | instid1(VALU_DEP_1)
	v_rcp_f32_e32 v29, v29
	s_waitcnt_depctr 0xfff
	v_mul_f32_e32 v29, v30, v29
	v_frexp_exp_i32_f32_e32 v28, v28
	v_sub_nc_u32_e32 v12, v12, v28
	s_delay_alu instid0(VALU_DEP_1) | instskip(NEXT) | instid1(VALU_DEP_1)
	v_ldexp_f32 v12, v29, v12
	v_mul_f32_e32 v28, v12, v12
	s_delay_alu instid0(VALU_DEP_1) | instskip(NEXT) | instid1(VALU_DEP_1)
	v_fmaak_f32 v29, s27, v28, 0xbc7a590c
	v_fmaak_f32 v29, v28, v29, 0x3d29fb3f
	s_delay_alu instid0(VALU_DEP_1) | instskip(NEXT) | instid1(VALU_DEP_1)
	v_fmaak_f32 v29, v28, v29, 0xbd97d4d7
	v_fmaak_f32 v29, v28, v29, 0x3dd931b2
	;; [unrolled: 3-line block ×3, first 2 shown]
	s_delay_alu instid0(VALU_DEP_1) | instskip(NEXT) | instid1(VALU_DEP_1)
	v_fmaak_f32 v29, v28, v29, 0xbeaaaa62
	v_mul_f32_e32 v28, v28, v29
	s_delay_alu instid0(VALU_DEP_1) | instskip(NEXT) | instid1(VALU_DEP_1)
	v_fmac_f32_e32 v12, v12, v28
	v_sub_f32_e32 v28, 0x3fc90fdb, v12
	s_delay_alu instid0(VALU_DEP_1) | instskip(SKIP_1) | instid1(VALU_DEP_2)
	v_cndmask_b32_e32 v12, v12, v28, vcc_lo
	v_cmp_lg_f32_e32 vcc_lo, 0, v7
	v_sub_f32_e32 v28, 0x40490fdb, v12
	s_delay_alu instid0(VALU_DEP_1) | instskip(NEXT) | instid1(VALU_DEP_1)
	v_cndmask_b32_e32 v12, v12, v28, vcc_lo
	v_and_b32_e32 v29, 0x7fffffff, v12
.LBB75_190:                             ;   in Loop: Header=BB75_4 Depth=1
	s_or_b32 exec_lo, exec_lo, s6
	s_delay_alu instid0(VALU_DEP_1) | instskip(SKIP_1) | instid1(VALU_DEP_2)
	v_mul_f32_e32 v28, 0.5, v29
	v_bfi_b32 v12, 0x7fffffff, v11, v8
	v_bfi_b32 v11, 0x7fffffff, v28, v7
                                        ; implicit-def: $vgpr7
.LBB75_191:                             ;   in Loop: Header=BB75_4 Depth=1
	s_and_not1_saveexec_b32 s6, s33
	s_cbranch_execz .LBB75_193
; %bb.192:                              ;   in Loop: Header=BB75_4 Depth=1
	v_dual_mov_b32 v11, s14 :: v_dual_mov_b32 v12, s15
	flat_store_b32 v[11:12], v26 dlc
	s_waitcnt_vscnt null, 0x0
	flat_load_b32 v11, v[11:12] glc dlc
	s_waitcnt vmcnt(0) lgkmcnt(0)
	v_dual_add_f32 v28, 1.0, v11 :: v_dual_mov_b32 v11, s16
	v_mov_b32_e32 v12, s17
	flat_store_b32 v[11:12], v28 dlc
	s_waitcnt_vscnt null, 0x0
	flat_load_b32 v11, v[11:12] glc dlc
	s_waitcnt vmcnt(0) lgkmcnt(0)
	v_dual_mov_b32 v11, v7 :: v_dual_mov_b32 v12, v8
.LBB75_193:                             ;   in Loop: Header=BB75_4 Depth=1
	s_or_b32 exec_lo, exec_lo, s6
                                        ; implicit-def: $vgpr7
.LBB75_194:                             ;   in Loop: Header=BB75_4 Depth=1
	s_and_not1_saveexec_b32 s6, s31
	s_cbranch_execz .LBB75_208
; %bb.195:                              ;   in Loop: Header=BB75_4 Depth=1
	v_and_b32_e32 v11, 0x7f800000, v8
	v_and_b32_e32 v28, 0x7f800000, v7
	v_cmp_neq_f32_e64 s7, 0x7f800000, |v8|
	s_delay_alu instid0(VALU_DEP_2) | instskip(NEXT) | instid1(VALU_DEP_1)
	v_sub_nc_u32_e32 v12, v11, v28
	v_cmp_gt_i32_e32 vcc_lo, 0x6800000, v12
                                        ; implicit-def: $vgpr12
	s_delay_alu instid0(VALU_DEP_3) | instskip(NEXT) | instid1(SALU_CYCLE_1)
	s_and_b32 s7, s7, vcc_lo
	s_and_saveexec_b32 s31, s7
	s_delay_alu instid0(SALU_CYCLE_1)
	s_xor_b32 s7, exec_lo, s31
	s_cbranch_execz .LBB75_205
; %bb.196:                              ;   in Loop: Header=BB75_4 Depth=1
	v_sub_nc_u32_e32 v12, v28, v11
	s_delay_alu instid0(VALU_DEP_1) | instskip(SKIP_1) | instid1(SALU_CYCLE_1)
	v_cmp_gt_i32_e32 vcc_lo, 0x6800000, v12
                                        ; implicit-def: $vgpr12
	s_and_saveexec_b32 s31, vcc_lo
	s_xor_b32 s31, exec_lo, s31
	s_cbranch_execz .LBB75_202
; %bb.197:                              ;   in Loop: Header=BB75_4 Depth=1
	s_mov_b32 s33, exec_lo
                                        ; implicit-def: $vgpr12
	v_cmpx_lt_u32_e32 0x59000000, v11
	s_xor_b32 s33, exec_lo, s33
	s_cbranch_execz .LBB75_199
; %bb.198:                              ;   in Loop: Header=BB75_4 Depth=1
	v_sub_nc_u32_e32 v11, 0x7f800000, v11
	s_delay_alu instid0(VALU_DEP_1) | instskip(SKIP_1) | instid1(VALU_DEP_2)
	v_mul_f32_e32 v12, v7, v11
	v_mul_f32_e32 v8, v8, v11
	;; [unrolled: 1-line block ×3, first 2 shown]
	s_delay_alu instid0(VALU_DEP_1) | instskip(NEXT) | instid1(VALU_DEP_1)
	v_fmac_f32_e32 v12, v8, v8
	v_div_scale_f32 v28, null, v12, v12, v8
	s_delay_alu instid0(VALU_DEP_1) | instskip(SKIP_2) | instid1(VALU_DEP_1)
	v_rcp_f32_e32 v29, v28
	s_waitcnt_depctr 0xfff
	v_fma_f32 v30, -v28, v29, 1.0
	v_fmac_f32_e32 v29, v30, v29
	v_div_scale_f32 v30, vcc_lo, v8, v12, v8
	s_delay_alu instid0(VALU_DEP_1) | instskip(NEXT) | instid1(VALU_DEP_1)
	v_mul_f32_e32 v31, v30, v29
	v_fma_f32 v32, -v28, v31, v30
	s_delay_alu instid0(VALU_DEP_1) | instskip(NEXT) | instid1(VALU_DEP_1)
	v_fmac_f32_e32 v31, v32, v29
	v_fma_f32 v28, -v28, v31, v30
	s_delay_alu instid0(VALU_DEP_1) | instskip(NEXT) | instid1(VALU_DEP_1)
	v_div_fmas_f32 v28, v28, v29, v31
	v_div_fixup_f32 v8, v28, v12, v8
	s_delay_alu instid0(VALU_DEP_1)
	v_mul_f32_e32 v12, v8, v11
.LBB75_199:                             ;   in Loop: Header=BB75_4 Depth=1
	s_and_not1_saveexec_b32 s33, s33
	s_cbranch_execz .LBB75_201
; %bb.200:                              ;   in Loop: Header=BB75_4 Depth=1
	v_mul_f32_e32 v11, v7, v7
	s_delay_alu instid0(VALU_DEP_1) | instskip(NEXT) | instid1(VALU_DEP_1)
	v_fmac_f32_e32 v11, v8, v8
	v_div_scale_f32 v12, null, v11, v11, v8
	s_delay_alu instid0(VALU_DEP_1) | instskip(SKIP_2) | instid1(VALU_DEP_1)
	v_rcp_f32_e32 v28, v12
	s_waitcnt_depctr 0xfff
	v_fma_f32 v29, -v12, v28, 1.0
	v_fmac_f32_e32 v28, v29, v28
	v_div_scale_f32 v29, vcc_lo, v8, v11, v8
	s_delay_alu instid0(VALU_DEP_1) | instskip(NEXT) | instid1(VALU_DEP_1)
	v_mul_f32_e32 v30, v29, v28
	v_fma_f32 v31, -v12, v30, v29
	s_delay_alu instid0(VALU_DEP_1) | instskip(NEXT) | instid1(VALU_DEP_1)
	v_fmac_f32_e32 v30, v31, v28
	v_fma_f32 v12, -v12, v30, v29
	s_delay_alu instid0(VALU_DEP_1) | instskip(NEXT) | instid1(VALU_DEP_1)
	v_div_fmas_f32 v12, v12, v28, v30
	v_div_fixup_f32 v12, v12, v11, v8
.LBB75_201:                             ;   in Loop: Header=BB75_4 Depth=1
	s_or_b32 exec_lo, exec_lo, s33
.LBB75_202:                             ;   in Loop: Header=BB75_4 Depth=1
	s_and_not1_saveexec_b32 s31, s31
	s_cbranch_execz .LBB75_204
; %bb.203:                              ;   in Loop: Header=BB75_4 Depth=1
	v_div_scale_f32 v11, null, v7, v7, v8
	v_div_scale_f32 v29, vcc_lo, v8, v7, v8
	s_delay_alu instid0(VALU_DEP_2) | instskip(SKIP_2) | instid1(VALU_DEP_1)
	v_rcp_f32_e32 v12, v11
	s_waitcnt_depctr 0xfff
	v_fma_f32 v28, -v11, v12, 1.0
	v_fmac_f32_e32 v12, v28, v12
	s_delay_alu instid0(VALU_DEP_1) | instskip(NEXT) | instid1(VALU_DEP_1)
	v_mul_f32_e32 v28, v29, v12
	v_fma_f32 v30, -v11, v28, v29
	s_delay_alu instid0(VALU_DEP_1) | instskip(NEXT) | instid1(VALU_DEP_1)
	v_fmac_f32_e32 v28, v30, v12
	v_fma_f32 v11, -v11, v28, v29
	s_delay_alu instid0(VALU_DEP_1) | instskip(NEXT) | instid1(VALU_DEP_1)
	v_div_fmas_f32 v11, v11, v12, v28
	v_div_fixup_f32 v8, v11, v7, v8
	s_delay_alu instid0(VALU_DEP_1) | instskip(NEXT) | instid1(VALU_DEP_1)
	v_div_scale_f32 v11, null, v7, v7, v8
	v_rcp_f32_e32 v12, v11
	s_waitcnt_depctr 0xfff
	v_fma_f32 v28, -v11, v12, 1.0
	s_delay_alu instid0(VALU_DEP_1) | instskip(SKIP_1) | instid1(VALU_DEP_1)
	v_fmac_f32_e32 v12, v28, v12
	v_div_scale_f32 v28, vcc_lo, v8, v7, v8
	v_mul_f32_e32 v29, v28, v12
	s_delay_alu instid0(VALU_DEP_1) | instskip(NEXT) | instid1(VALU_DEP_1)
	v_fma_f32 v30, -v11, v29, v28
	v_fmac_f32_e32 v29, v30, v12
	s_delay_alu instid0(VALU_DEP_1) | instskip(NEXT) | instid1(VALU_DEP_1)
	v_fma_f32 v11, -v11, v29, v28
	v_div_fmas_f32 v11, v11, v12, v29
	s_delay_alu instid0(VALU_DEP_1)
	v_div_fixup_f32 v12, v11, v7, v8
.LBB75_204:                             ;   in Loop: Header=BB75_4 Depth=1
	s_or_b32 exec_lo, exec_lo, s31
.LBB75_205:                             ;   in Loop: Header=BB75_4 Depth=1
	s_and_not1_saveexec_b32 s7, s7
; %bb.206:                              ;   in Loop: Header=BB75_4 Depth=1
	v_div_scale_f32 v11, null, v8, v8, 1.0
	s_delay_alu instid0(VALU_DEP_1) | instskip(SKIP_2) | instid1(VALU_DEP_1)
	v_rcp_f32_e32 v12, v11
	s_waitcnt_depctr 0xfff
	v_fma_f32 v28, -v11, v12, 1.0
	v_fmac_f32_e32 v12, v28, v12
	v_div_scale_f32 v28, vcc_lo, 1.0, v8, 1.0
	s_delay_alu instid0(VALU_DEP_1) | instskip(NEXT) | instid1(VALU_DEP_1)
	v_mul_f32_e32 v29, v28, v12
	v_fma_f32 v30, -v11, v29, v28
	s_delay_alu instid0(VALU_DEP_1) | instskip(NEXT) | instid1(VALU_DEP_1)
	v_fmac_f32_e32 v29, v30, v12
	v_fma_f32 v11, -v11, v29, v28
	s_delay_alu instid0(VALU_DEP_1) | instskip(NEXT) | instid1(VALU_DEP_1)
	v_div_fmas_f32 v11, v11, v12, v29
	v_div_fixup_f32 v12, v11, v8, 1.0
; %bb.207:                              ;   in Loop: Header=BB75_4 Depth=1
	s_or_b32 exec_lo, exec_lo, s7
	v_dual_mov_b32 v29, s13 :: v_dual_mov_b32 v28, s12
	flat_load_b32 v8, v[28:29] glc dlc
	s_waitcnt vmcnt(0) lgkmcnt(0)
	v_add_f32_e32 v8, 0x3fc90fdb, v8
	s_delay_alu instid0(VALU_DEP_1)
	v_bfi_b32 v11, 0x7fffffff, v8, v7
.LBB75_208:                             ;   in Loop: Header=BB75_4 Depth=1
	s_or_b32 exec_lo, exec_lo, s6
                                        ; implicit-def: $vgpr8
.LBB75_209:                             ;   in Loop: Header=BB75_4 Depth=1
	s_and_not1_saveexec_b32 s6, s30
	s_cbranch_execz .LBB75_219
; %bb.210:                              ;   in Loop: Header=BB75_4 Depth=1
	v_cmp_neq_f32_e64 s7, 0x7f800000, |v8|
                                        ; implicit-def: $vgpr11
	s_delay_alu instid0(VALU_DEP_1) | instskip(NEXT) | instid1(SALU_CYCLE_1)
	s_and_saveexec_b32 s30, s7
	s_xor_b32 s7, exec_lo, s30
	s_cbranch_execz .LBB75_216
; %bb.211:                              ;   in Loop: Header=BB75_4 Depth=1
	v_cmp_neq_f32_e64 s30, 0x7f800000, |v7|
                                        ; implicit-def: $vgpr11
	s_delay_alu instid0(VALU_DEP_1) | instskip(NEXT) | instid1(SALU_CYCLE_1)
	s_and_saveexec_b32 s31, s30
	s_xor_b32 s30, exec_lo, s31
; %bb.212:                              ;   in Loop: Header=BB75_4 Depth=1
	v_add_f32_e32 v7, 0, v7
	s_delay_alu instid0(VALU_DEP_1)
	v_add_f32_e32 v11, v8, v7
                                        ; implicit-def: $vgpr8
; %bb.213:                              ;   in Loop: Header=BB75_4 Depth=1
	s_or_saveexec_b32 s30, s30
	s_delay_alu instid0(VALU_DEP_1)
	v_mov_b32_e32 v12, v11
	s_xor_b32 exec_lo, exec_lo, s30
	s_cbranch_execz .LBB75_215
; %bb.214:                              ;   in Loop: Header=BB75_4 Depth=1
	v_dual_mov_b32 v11, s12 :: v_dual_mov_b32 v12, s13
	flat_load_b32 v11, v[11:12] glc dlc
	s_waitcnt vmcnt(0)
	v_bfi_b32 v12, 0x7fffffff, 0, v8
	s_waitcnt lgkmcnt(0)
	v_add_f32_e32 v11, 0x3fc90fdb, v11
	s_delay_alu instid0(VALU_DEP_1)
	v_bfi_b32 v11, 0x7fffffff, v11, v7
.LBB75_215:                             ;   in Loop: Header=BB75_4 Depth=1
	s_or_b32 exec_lo, exec_lo, s30
                                        ; implicit-def: $vgpr8
.LBB75_216:                             ;   in Loop: Header=BB75_4 Depth=1
	s_and_not1_saveexec_b32 s7, s7
; %bb.217:                              ;   in Loop: Header=BB75_4 Depth=1
	v_bfi_b32 v12, 0x7fffffff, 0, v8
	v_add_f32_e32 v11, v7, v7
; %bb.218:                              ;   in Loop: Header=BB75_4 Depth=1
	s_or_b32 exec_lo, exec_lo, s7
.LBB75_219:                             ;   in Loop: Header=BB75_4 Depth=1
	s_delay_alu instid0(SALU_CYCLE_1)
	s_or_b32 exec_lo, exec_lo, s6
                                        ; implicit-def: $vgpr7
.LBB75_220:                             ;   in Loop: Header=BB75_4 Depth=1
	s_and_not1_saveexec_b32 s6, s29
	s_cbranch_execz .LBB75_222
; %bb.221:                              ;   in Loop: Header=BB75_4 Depth=1
	v_rcp_f32_e64 v11, |v7|
	v_cmp_gt_f32_e64 vcc_lo, |v7|, 1.0
	s_waitcnt_depctr 0xfff
	v_cndmask_b32_e64 v11, |v7|, v11, vcc_lo
	s_delay_alu instid0(VALU_DEP_1) | instskip(NEXT) | instid1(VALU_DEP_1)
	v_mul_f32_e32 v12, v11, v11
	v_fmaak_f32 v28, s27, v12, 0xbc7a590c
	s_delay_alu instid0(VALU_DEP_1) | instskip(NEXT) | instid1(VALU_DEP_1)
	v_fmaak_f32 v28, v12, v28, 0x3d29fb3f
	v_fmaak_f32 v28, v12, v28, 0xbd97d4d7
	s_delay_alu instid0(VALU_DEP_1) | instskip(NEXT) | instid1(VALU_DEP_1)
	v_fmaak_f32 v28, v12, v28, 0x3dd931b2
	;; [unrolled: 3-line block ×3, first 2 shown]
	v_fmaak_f32 v28, v12, v28, 0xbeaaaa62
	s_delay_alu instid0(VALU_DEP_1) | instskip(NEXT) | instid1(VALU_DEP_1)
	v_mul_f32_e32 v12, v12, v28
	v_fmac_f32_e32 v11, v11, v12
	s_delay_alu instid0(VALU_DEP_1) | instskip(NEXT) | instid1(VALU_DEP_1)
	v_sub_f32_e32 v12, 0x3fc90fdb, v11
	v_dual_cndmask_b32 v11, v11, v12 :: v_dual_mov_b32 v12, v8
	s_delay_alu instid0(VALU_DEP_1)
	v_bfi_b32 v11, 0x7fffffff, v11, v7
.LBB75_222:                             ;   in Loop: Header=BB75_4 Depth=1
	s_or_b32 exec_lo, exec_lo, s6
                                        ; implicit-def: $vgpr8
	s_and_not1_saveexec_b32 s6, s28
	s_cbranch_execnz .LBB75_176
.LBB75_223:                             ;   in Loop: Header=BB75_4 Depth=1
	s_or_b32 exec_lo, exec_lo, s6
	s_and_saveexec_b32 s6, s2
	s_delay_alu instid0(SALU_CYCLE_1)
	s_xor_b32 s2, exec_lo, s6
	s_cbranch_execz .LBB75_177
.LBB75_224:                             ;   in Loop: Header=BB75_4 Depth=1
	v_add_co_u32 v7, s6, s22, v1
	s_delay_alu instid0(VALU_DEP_1)
	v_add_co_ci_u32_e64 v8, null, s23, 0, s6
	global_store_b64 v[7:8], v[9:10], off
	s_or_b32 exec_lo, exec_lo, s2
	s_and_saveexec_b32 s2, s3
	s_cbranch_execnz .LBB75_178
.LBB75_225:                             ;   in Loop: Header=BB75_4 Depth=1
	s_or_b32 exec_lo, exec_lo, s2
	s_and_saveexec_b32 s2, s4
	s_cbranch_execz .LBB75_179
.LBB75_226:                             ;   in Loop: Header=BB75_4 Depth=1
	v_add_co_u32 v7, vcc_lo, s22, v22
	v_add_co_ci_u32_e32 v8, vcc_lo, s23, v21, vcc_lo
	global_store_b64 v[7:8], v[15:16], off offset:-4
	s_or_b32 exec_lo, exec_lo, s2
	s_and_saveexec_b32 s2, s5
	s_cbranch_execz .LBB75_3
.LBB75_227:                             ;   in Loop: Header=BB75_4 Depth=1
	v_add_co_u32 v7, vcc_lo, s22, v3
	v_add_co_ci_u32_e32 v8, vcc_lo, s23, v4, vcc_lo
	global_store_b64 v[7:8], v[11:12], off offset:-4
	s_branch .LBB75_3
.LBB75_228:
	s_cbranch_execz .LBB75_230
	s_branch .LBB75_441
.LBB75_229:
.LBB75_230:
	v_dual_mov_b32 v2, 0 :: v_dual_lshlrev_b32 v1, 2, v0
	s_mov_b32 s14, 0
	s_mov_b32 s2, exec_lo
	s_delay_alu instid0(VALU_DEP_1)
	v_cmpx_gt_i64_e64 s[10:11], v[1:2]
	s_cbranch_execz .LBB75_441
; %bb.231:
	s_mov_b64 s[4:5], src_private_base
	s_mov_b32 s4, 8
	v_dual_mov_b32 v1, v2 :: v_dual_mov_b32 v18, 0x248d3132
	v_dual_mov_b32 v15, s5 :: v_dual_mov_b32 v14, s4
	v_mov_b32_e32 v19, 0xd800000
	v_mov_b32_e32 v20, 0x4016cbe4
	s_add_u32 s2, s0, 0xd30
	s_addc_u32 s3, s1, 0
	s_mov_b32 s6, 0
	s_mov_b32 s7, s5
	s_mov_b32 s12, 4
	s_mov_b32 s13, s5
	s_mov_b32 s15, 0x3e9b6dac
	s_mov_b32 s16, 0x3b2d2a58
	s_branch .LBB75_233
.LBB75_232:                             ;   in Loop: Header=BB75_233 Depth=1
	s_or_b32 exec_lo, exec_lo, s0
	s_clause 0x1
	global_store_b128 v[16:17], v[6:9], off
	global_store_b128 v[16:17], v[10:13], off offset:16
	s_load_b32 s0, s[2:3], 0xc
	s_waitcnt lgkmcnt(0)
	s_and_b32 s0, s0, 0xffff
	s_delay_alu instid0(SALU_CYCLE_1) | instskip(SKIP_1) | instid1(VALU_DEP_1)
	v_add_co_u32 v0, vcc_lo, v0, s0
	v_add_co_ci_u32_e32 v1, vcc_lo, 0, v1, vcc_lo
	v_lshlrev_b64 v[2:3], 2, v[0:1]
	s_delay_alu instid0(VALU_DEP_1) | instskip(SKIP_1) | instid1(VALU_DEP_1)
	v_cmp_le_i64_e32 vcc_lo, s[10:11], v[2:3]
	v_cmp_lt_u64_e64 s0, 0xffff, v[2:3]
	s_or_b32 s0, vcc_lo, s0
	s_delay_alu instid0(SALU_CYCLE_1) | instskip(NEXT) | instid1(SALU_CYCLE_1)
	s_and_b32 s0, exec_lo, s0
	s_or_b32 s14, s0, s14
	s_delay_alu instid0(SALU_CYCLE_1)
	s_and_not1_b32 exec_lo, exec_lo, s14
	s_cbranch_execz .LBB75_441
.LBB75_233:                             ; =>This Inner Loop Header: Depth=1
	v_lshlrev_b64 v[2:3], 5, v[0:1]
                                        ; implicit-def: $vgpr6
	s_delay_alu instid0(VALU_DEP_1) | instskip(NEXT) | instid1(VALU_DEP_2)
	v_add_co_u32 v16, vcc_lo, s8, v2
	v_add_co_ci_u32_e32 v17, vcc_lo, s9, v3, vcc_lo
	s_clause 0x1
	global_load_b128 v[10:13], v[16:17], off
	global_load_b128 v[2:5], v[16:17], off offset:16
	flat_store_b32 v[14:15], v18 dlc
	s_waitcnt_vscnt null, 0x0
	s_waitcnt vmcnt(1)
	v_cmp_neq_f32_e32 vcc_lo, 0, v10
	v_cmp_nle_f32_e64 s0, |v11|, 1.0
	s_delay_alu instid0(VALU_DEP_1) | instskip(NEXT) | instid1(SALU_CYCLE_1)
	s_or_b32 s0, vcc_lo, s0
	s_and_saveexec_b32 s1, s0
	s_delay_alu instid0(SALU_CYCLE_1)
	s_xor_b32 s17, exec_lo, s1
	s_cbranch_execz .LBB75_283
; %bb.234:                              ;   in Loop: Header=BB75_233 Depth=1
                                        ; implicit-def: $vgpr6
	s_mov_b32 s0, exec_lo
	v_cmpx_neq_f32_e32 0, v11
	s_xor_b32 s18, exec_lo, s0
	s_cbranch_execz .LBB75_280
; %bb.235:                              ;   in Loop: Header=BB75_233 Depth=1
	v_cmp_o_f32_e32 vcc_lo, v11, v11
	v_cmp_o_f32_e64 s0, v10, v10
                                        ; implicit-def: $vgpr6
	s_delay_alu instid0(VALU_DEP_1) | instskip(NEXT) | instid1(SALU_CYCLE_1)
	s_and_b32 s0, vcc_lo, s0
	s_and_saveexec_b32 s1, s0
	s_delay_alu instid0(SALU_CYCLE_1)
	s_xor_b32 s19, exec_lo, s1
	s_cbranch_execz .LBB75_269
; %bb.236:                              ;   in Loop: Header=BB75_233 Depth=1
	v_max_f32_e64 v6, |v11|, |v11|
	v_max_f32_e64 v7, |v10|, |v10|
	s_delay_alu instid0(VALU_DEP_1) | instskip(NEXT) | instid1(VALU_DEP_1)
	v_max_f32_e32 v6, v7, v6
	v_cmp_nlt_f32_e32 vcc_lo, 0x4b000000, v6
                                        ; implicit-def: $vgpr6
	s_and_saveexec_b32 s0, vcc_lo
	s_delay_alu instid0(SALU_CYCLE_1)
	s_xor_b32 s20, exec_lo, s0
	s_cbranch_execz .LBB75_254
; %bb.237:                              ;   in Loop: Header=BB75_233 Depth=1
	v_cmp_ngt_f32_e64 s0, 0x399cc471, |v11|
	v_cmp_ngt_f32_e64 s1, 0x399cc471, |v10|
                                        ; implicit-def: $vgpr6
	s_delay_alu instid0(VALU_DEP_1) | instskip(NEXT) | instid1(SALU_CYCLE_1)
	s_or_b32 s0, s1, s0
	s_and_saveexec_b32 s1, s0
	s_delay_alu instid0(SALU_CYCLE_1)
	s_xor_b32 s21, exec_lo, s1
	s_cbranch_execz .LBB75_251
; %bb.238:                              ;   in Loop: Header=BB75_233 Depth=1
	v_cmp_neq_f32_e64 s1, |v11|, 1.0
	v_cmp_ngt_f32_e64 s0, 0x34000000, |v10|
                                        ; implicit-def: $vgpr6
	s_delay_alu instid0(VALU_DEP_1) | instskip(NEXT) | instid1(SALU_CYCLE_1)
	s_or_b32 s22, s0, s1
	s_and_saveexec_b32 s23, s22
	s_delay_alu instid0(SALU_CYCLE_1)
	s_xor_b32 s22, exec_lo, s23
	s_cbranch_execz .LBB75_240
; %bb.239:                              ;   in Loop: Header=BB75_233 Depth=1
	v_add_f32_e64 v6, |v11|, -1.0
	v_cmp_gt_f32_e64 vcc_lo, 0x20000000, |v10|
	v_mul_f32_e64 v9, |v11|, 4.0
	s_delay_alu instid0(VALU_DEP_3) | instskip(NEXT) | instid1(VALU_DEP_1)
	v_mul_f32_e32 v6, v6, v6
	v_fma_f32 v8, v10, v10, v6
	s_delay_alu instid0(VALU_DEP_1) | instskip(NEXT) | instid1(VALU_DEP_1)
	v_cndmask_b32_e32 v6, v8, v6, vcc_lo
	v_div_scale_f32 v8, null, v6, v6, v9
	s_delay_alu instid0(VALU_DEP_1) | instskip(SKIP_2) | instid1(VALU_DEP_1)
	v_rcp_f32_e32 v21, v8
	s_waitcnt_depctr 0xfff
	v_fma_f32 v22, -v8, v21, 1.0
	v_fmac_f32_e32 v21, v22, v21
	v_div_scale_f32 v23, vcc_lo, v9, v6, v9
	s_delay_alu instid0(VALU_DEP_1) | instskip(NEXT) | instid1(VALU_DEP_1)
	v_mul_f32_e32 v22, v23, v21
	v_fma_f32 v24, -v8, v22, v23
	s_delay_alu instid0(VALU_DEP_1) | instskip(NEXT) | instid1(VALU_DEP_1)
	v_fmac_f32_e32 v22, v24, v21
	v_fma_f32 v8, -v8, v22, v23
	s_delay_alu instid0(VALU_DEP_1) | instskip(NEXT) | instid1(VALU_DEP_1)
	v_div_fmas_f32 v8, v8, v21, v22
	v_div_fixup_f32 v6, v8, v6, v9
	s_delay_alu instid0(VALU_DEP_1) | instskip(NEXT) | instid1(VALU_DEP_1)
	v_add_f32_e32 v21, 1.0, v6
	v_cvt_f64_f32_e32 v[8:9], v21
	s_delay_alu instid0(VALU_DEP_1) | instskip(SKIP_1) | instid1(VALU_DEP_1)
	v_frexp_exp_i32_f64_e32 v8, v[8:9]
	v_frexp_mant_f32_e32 v9, v21
	v_cmp_gt_f32_e32 vcc_lo, 0x3f2aaaab, v9
	v_add_f32_e32 v9, -1.0, v21
	s_delay_alu instid0(VALU_DEP_1) | instskip(NEXT) | instid1(VALU_DEP_1)
	v_sub_f32_e32 v23, v9, v21
	v_add_f32_e32 v23, 1.0, v23
	v_subrev_co_ci_u32_e32 v8, vcc_lo, 0, v8, vcc_lo
	v_cmp_eq_f32_e32 vcc_lo, 0x7f800000, v6
	s_delay_alu instid0(VALU_DEP_2) | instskip(SKIP_1) | instid1(VALU_DEP_2)
	v_sub_nc_u32_e32 v22, 0, v8
	v_cvt_f32_i32_e32 v8, v8
	v_ldexp_f32 v21, v21, v22
	s_delay_alu instid0(VALU_DEP_1) | instskip(SKIP_1) | instid1(VALU_DEP_1)
	v_add_f32_e32 v24, 1.0, v21
	v_sub_f32_e32 v9, v6, v9
	v_add_f32_e32 v9, v9, v23
	s_delay_alu instid0(VALU_DEP_3) | instskip(NEXT) | instid1(VALU_DEP_2)
	v_add_f32_e32 v23, -1.0, v24
	v_ldexp_f32 v9, v9, v22
	s_delay_alu instid0(VALU_DEP_2) | instskip(NEXT) | instid1(VALU_DEP_1)
	v_dual_add_f32 v22, -1.0, v21 :: v_dual_sub_f32 v23, v21, v23
	v_add_f32_e32 v25, 1.0, v22
	s_delay_alu instid0(VALU_DEP_2) | instskip(NEXT) | instid1(VALU_DEP_2)
	v_add_f32_e32 v23, v9, v23
	v_sub_f32_e32 v21, v21, v25
	s_delay_alu instid0(VALU_DEP_2) | instskip(NEXT) | instid1(VALU_DEP_2)
	v_add_f32_e32 v25, v24, v23
	v_add_f32_e32 v9, v9, v21
	s_delay_alu instid0(VALU_DEP_2) | instskip(SKIP_1) | instid1(VALU_DEP_1)
	v_rcp_f32_e32 v21, v25
	v_sub_f32_e32 v24, v25, v24
	v_dual_add_f32 v26, v22, v9 :: v_dual_sub_f32 v23, v23, v24
	s_delay_alu instid0(VALU_DEP_1) | instskip(SKIP_2) | instid1(VALU_DEP_1)
	v_sub_f32_e32 v22, v26, v22
	s_waitcnt_depctr 0xfff
	v_mul_f32_e32 v27, v26, v21
	v_mul_f32_e32 v28, v25, v27
	s_delay_alu instid0(VALU_DEP_1) | instskip(NEXT) | instid1(VALU_DEP_1)
	v_fma_f32 v24, v27, v25, -v28
	v_fmac_f32_e32 v24, v27, v23
	s_delay_alu instid0(VALU_DEP_1) | instskip(NEXT) | instid1(VALU_DEP_1)
	v_add_f32_e32 v29, v28, v24
	v_sub_f32_e32 v30, v26, v29
	s_delay_alu instid0(VALU_DEP_1) | instskip(SKIP_2) | instid1(VALU_DEP_3)
	v_sub_f32_e32 v26, v26, v30
	v_sub_f32_e32 v9, v9, v22
	;; [unrolled: 1-line block ×4, first 2 shown]
	s_delay_alu instid0(VALU_DEP_1) | instskip(NEXT) | instid1(VALU_DEP_1)
	v_dual_sub_f32 v22, v22, v24 :: v_dual_add_f32 v9, v9, v26
	v_add_f32_e32 v9, v22, v9
	s_delay_alu instid0(VALU_DEP_1) | instskip(NEXT) | instid1(VALU_DEP_1)
	v_add_f32_e32 v22, v30, v9
	v_mul_f32_e32 v24, v21, v22
	s_delay_alu instid0(VALU_DEP_1) | instskip(NEXT) | instid1(VALU_DEP_1)
	v_dual_sub_f32 v29, v30, v22 :: v_dual_mul_f32 v26, v25, v24
	v_fma_f32 v25, v24, v25, -v26
	s_delay_alu instid0(VALU_DEP_1) | instskip(NEXT) | instid1(VALU_DEP_1)
	v_fmac_f32_e32 v25, v24, v23
	v_add_f32_e32 v23, v26, v25
	s_delay_alu instid0(VALU_DEP_1) | instskip(NEXT) | instid1(VALU_DEP_1)
	v_dual_add_f32 v9, v9, v29 :: v_dual_sub_f32 v28, v22, v23
	v_sub_f32_e32 v22, v22, v28
	s_delay_alu instid0(VALU_DEP_1) | instskip(NEXT) | instid1(VALU_DEP_1)
	v_sub_f32_e32 v22, v22, v23
	v_dual_add_f32 v9, v9, v22 :: v_dual_add_f32 v22, v27, v24
	v_sub_f32_e32 v26, v23, v26
	s_delay_alu instid0(VALU_DEP_1) | instskip(NEXT) | instid1(VALU_DEP_1)
	v_sub_f32_e32 v23, v26, v25
	v_add_f32_e32 v9, v23, v9
	s_delay_alu instid0(VALU_DEP_4) | instskip(NEXT) | instid1(VALU_DEP_2)
	v_sub_f32_e32 v23, v22, v27
	v_add_f32_e32 v9, v28, v9
	s_delay_alu instid0(VALU_DEP_2) | instskip(NEXT) | instid1(VALU_DEP_2)
	v_sub_f32_e32 v23, v24, v23
	v_mul_f32_e32 v9, v21, v9
	s_delay_alu instid0(VALU_DEP_1) | instskip(NEXT) | instid1(VALU_DEP_1)
	v_add_f32_e32 v9, v23, v9
	v_add_f32_e32 v21, v22, v9
	s_delay_alu instid0(VALU_DEP_1) | instskip(NEXT) | instid1(VALU_DEP_1)
	v_mul_f32_e32 v23, v21, v21
	v_fmaak_f32 v24, s15, v23, 0x3ecc95a3
	v_mul_f32_e32 v25, v21, v23
	s_delay_alu instid0(VALU_DEP_2) | instskip(SKIP_2) | instid1(VALU_DEP_3)
	v_fmaak_f32 v23, v23, v24, 0x3f2aaada
	v_ldexp_f32 v24, v21, 1
	v_sub_f32_e32 v21, v21, v22
	v_mul_f32_e32 v23, v25, v23
	v_mul_f32_e32 v25, 0x3f317218, v8
	s_delay_alu instid0(VALU_DEP_2) | instskip(NEXT) | instid1(VALU_DEP_1)
	v_dual_sub_f32 v9, v9, v21 :: v_dual_add_f32 v22, v24, v23
	v_ldexp_f32 v9, v9, 1
	s_delay_alu instid0(VALU_DEP_2) | instskip(NEXT) | instid1(VALU_DEP_4)
	v_sub_f32_e32 v21, v22, v24
	v_fma_f32 v24, 0x3f317218, v8, -v25
	s_delay_alu instid0(VALU_DEP_1) | instskip(NEXT) | instid1(VALU_DEP_1)
	v_dual_sub_f32 v21, v23, v21 :: v_dual_fmac_f32 v24, 0xb102e308, v8
	v_add_f32_e32 v8, v9, v21
	s_delay_alu instid0(VALU_DEP_2) | instskip(NEXT) | instid1(VALU_DEP_2)
	v_add_f32_e32 v9, v25, v24
	v_add_f32_e32 v21, v22, v8
	s_delay_alu instid0(VALU_DEP_2) | instskip(NEXT) | instid1(VALU_DEP_2)
	v_sub_f32_e32 v25, v9, v25
	v_add_f32_e32 v23, v9, v21
	v_sub_f32_e32 v22, v21, v22
	s_delay_alu instid0(VALU_DEP_3) | instskip(NEXT) | instid1(VALU_DEP_3)
	v_sub_f32_e32 v24, v24, v25
	v_sub_f32_e32 v26, v23, v9
	s_delay_alu instid0(VALU_DEP_3) | instskip(NEXT) | instid1(VALU_DEP_2)
	v_sub_f32_e32 v8, v8, v22
	v_sub_f32_e32 v27, v23, v26
	s_delay_alu instid0(VALU_DEP_2) | instskip(NEXT) | instid1(VALU_DEP_2)
	v_dual_sub_f32 v21, v21, v26 :: v_dual_add_f32 v22, v24, v8
	v_sub_f32_e32 v9, v9, v27
	s_delay_alu instid0(VALU_DEP_1) | instskip(NEXT) | instid1(VALU_DEP_3)
	v_add_f32_e32 v9, v21, v9
	v_sub_f32_e32 v21, v22, v24
	s_delay_alu instid0(VALU_DEP_2) | instskip(NEXT) | instid1(VALU_DEP_2)
	v_add_f32_e32 v9, v22, v9
	v_sub_f32_e32 v22, v22, v21
	v_sub_f32_e32 v8, v8, v21
	s_delay_alu instid0(VALU_DEP_2) | instskip(NEXT) | instid1(VALU_DEP_1)
	v_dual_add_f32 v25, v23, v9 :: v_dual_sub_f32 v22, v24, v22
	v_dual_sub_f32 v21, v25, v23 :: v_dual_add_f32 v8, v8, v22
	s_delay_alu instid0(VALU_DEP_1) | instskip(NEXT) | instid1(VALU_DEP_1)
	v_sub_f32_e32 v9, v9, v21
	v_add_f32_e32 v8, v8, v9
	s_delay_alu instid0(VALU_DEP_1) | instskip(NEXT) | instid1(VALU_DEP_1)
	v_add_f32_e32 v8, v25, v8
	v_cndmask_b32_e32 v8, v8, v6, vcc_lo
	v_cmp_ngt_f32_e32 vcc_lo, -1.0, v6
	s_delay_alu instid0(VALU_DEP_2) | instskip(SKIP_1) | instid1(VALU_DEP_2)
	v_cndmask_b32_e32 v8, 0x7fc00000, v8, vcc_lo
	v_cmp_neq_f32_e32 vcc_lo, -1.0, v6
	v_cndmask_b32_e32 v8, 0xff800000, v8, vcc_lo
	v_cmp_gt_f32_e64 vcc_lo, 0x33800000, |v6|
	s_delay_alu instid0(VALU_DEP_2) | instskip(NEXT) | instid1(VALU_DEP_1)
	v_cndmask_b32_e32 v6, v8, v6, vcc_lo
	v_mul_f32_e32 v6, 0x3e800000, v6
	s_and_not1_saveexec_b32 s22, s22
	s_cbranch_execz .LBB75_242
	s_branch .LBB75_241
.LBB75_240:                             ;   in Loop: Header=BB75_233 Depth=1
	s_and_not1_saveexec_b32 s22, s22
	s_cbranch_execz .LBB75_242
.LBB75_241:                             ;   in Loop: Header=BB75_233 Depth=1
	v_cmp_gt_f32_e64 s23, 0x800000, |v10|
	s_delay_alu instid0(VALU_DEP_1) | instskip(NEXT) | instid1(VALU_DEP_1)
	v_cndmask_b32_e64 v6, 1.0, 0x4f800000, s23
	v_mul_f32_e64 v6, |v10|, v6
	s_delay_alu instid0(VALU_DEP_1) | instskip(SKIP_3) | instid1(VALU_DEP_2)
	v_log_f32_e32 v6, v6
	s_waitcnt_depctr 0xfff
	v_mul_f32_e32 v8, 0x3f317217, v6
	v_cmp_gt_f32_e64 vcc_lo, 0x7f800000, |v6|
	v_fma_f32 v9, 0x3f317217, v6, -v8
	s_delay_alu instid0(VALU_DEP_1) | instskip(NEXT) | instid1(VALU_DEP_1)
	v_fmac_f32_e32 v9, 0x3377d1cf, v6
	v_add_f32_e32 v8, v8, v9
	s_delay_alu instid0(VALU_DEP_1) | instskip(SKIP_1) | instid1(VALU_DEP_1)
	v_cndmask_b32_e32 v6, v6, v8, vcc_lo
	v_cndmask_b32_e64 v8, 0, 0x41b17218, s23
	v_sub_f32_e32 v6, v6, v8
	s_delay_alu instid0(VALU_DEP_1) | instskip(NEXT) | instid1(VALU_DEP_1)
	v_sub_f32_e32 v6, 0x3f317218, v6
	v_mul_f32_e32 v6, 0.5, v6
.LBB75_242:                             ;   in Loop: Header=BB75_233 Depth=1
	s_or_b32 exec_lo, exec_lo, s22
                                        ; implicit-def: $vgpr9
	s_and_saveexec_b32 s22, s1
	s_delay_alu instid0(SALU_CYCLE_1)
	s_xor_b32 s22, exec_lo, s22
	s_cbranch_execz .LBB75_248
; %bb.243:                              ;   in Loop: Header=BB75_233 Depth=1
	v_sub_f32_e64 v8, 1.0, |v11|
	v_add_f32_e64 v9, |v11|, 1.0
	v_add_f32_e64 v7, |v10|, |v10|
	s_delay_alu instid0(VALU_DEP_2) | instskip(SKIP_1) | instid1(SALU_CYCLE_1)
	v_mul_f32_e32 v8, v8, v9
                                        ; implicit-def: $vgpr9
	s_and_saveexec_b32 s1, s0
	s_xor_b32 s1, exec_lo, s1
	s_cbranch_execz .LBB75_245
; %bb.244:                              ;   in Loop: Header=BB75_233 Depth=1
	s_delay_alu instid0(VALU_DEP_1) | instskip(SKIP_3) | instid1(VALU_DEP_4)
	v_fma_f32 v8, -v10, v10, v8
	v_max_f32_e64 v9, |v7|, |v7|
	v_cmp_eq_f32_e64 s0, 0, v7
	v_cmp_class_f32_e64 s23, v7, 0x204
	v_cmp_gt_f32_e64 vcc_lo, |v7|, |v8|
	s_delay_alu instid0(VALU_DEP_4) | instskip(SKIP_2) | instid1(VALU_DEP_3)
	v_max_f32_e64 v21, |v8|, v9
	v_min_f32_e64 v9, |v8|, v9
	v_cmp_class_f32_e64 s24, v8, 0x204
	v_frexp_mant_f32_e32 v22, v21
	v_frexp_exp_i32_f32_e32 v21, v21
	s_delay_alu instid0(VALU_DEP_4) | instskip(SKIP_1) | instid1(VALU_DEP_4)
	v_frexp_exp_i32_f32_e32 v23, v9
	v_frexp_mant_f32_e32 v9, v9
	v_rcp_f32_e32 v22, v22
	s_delay_alu instid0(VALU_DEP_2) | instskip(SKIP_2) | instid1(VALU_DEP_1)
	v_sub_nc_u32_e32 v21, v23, v21
	s_waitcnt_depctr 0xfff
	v_mul_f32_e32 v9, v9, v22
	v_ldexp_f32 v9, v9, v21
	s_delay_alu instid0(VALU_DEP_1) | instskip(NEXT) | instid1(VALU_DEP_1)
	v_mul_f32_e32 v21, v9, v9
	v_fmaak_f32 v22, s16, v21, 0xbc7a590c
	s_delay_alu instid0(VALU_DEP_1) | instskip(NEXT) | instid1(VALU_DEP_1)
	v_fmaak_f32 v22, v21, v22, 0x3d29fb3f
	v_fmaak_f32 v22, v21, v22, 0xbd97d4d7
	s_delay_alu instid0(VALU_DEP_1) | instskip(NEXT) | instid1(VALU_DEP_1)
	v_fmaak_f32 v22, v21, v22, 0x3dd931b2
	;; [unrolled: 3-line block ×3, first 2 shown]
	v_fmaak_f32 v22, v21, v22, 0xbeaaaa62
	s_delay_alu instid0(VALU_DEP_1) | instskip(NEXT) | instid1(VALU_DEP_1)
	v_mul_f32_e32 v21, v21, v22
	v_fmac_f32_e32 v9, v9, v21
	s_delay_alu instid0(VALU_DEP_1) | instskip(NEXT) | instid1(VALU_DEP_1)
	v_sub_f32_e32 v21, 0x3fc90fdb, v9
	v_cndmask_b32_e32 v9, v9, v21, vcc_lo
	v_cmp_gt_i32_e32 vcc_lo, 0, v8
	s_delay_alu instid0(VALU_DEP_2) | instskip(SKIP_2) | instid1(VALU_DEP_3)
	v_sub_f32_e32 v21, 0x40490fdb, v9
	v_cndmask_b32_e64 v22, 0, 0x40490fdb, vcc_lo
	v_cmp_gt_f32_e32 vcc_lo, 0, v8
	v_cndmask_b32_e32 v9, v9, v21, vcc_lo
	v_cndmask_b32_e32 v21, 0x3f490fdb, v20, vcc_lo
	s_and_b32 vcc_lo, s23, s24
	s_delay_alu instid0(VALU_DEP_2) | instskip(NEXT) | instid1(VALU_DEP_1)
	v_cndmask_b32_e64 v9, v9, v22, s0
	v_cndmask_b32_e32 v9, v9, v21, vcc_lo
	v_cmp_o_f32_e32 vcc_lo, v8, v7
	s_delay_alu instid0(VALU_DEP_2) | instskip(NEXT) | instid1(VALU_DEP_1)
	v_cndmask_b32_e32 v8, 0x7fc00000, v9, vcc_lo
	v_bfi_b32 v9, 0x7fffffff, v8, v7
                                        ; implicit-def: $vgpr7
                                        ; implicit-def: $vgpr8
.LBB75_245:                             ;   in Loop: Header=BB75_233 Depth=1
	s_and_not1_saveexec_b32 s23, s1
	s_cbranch_execz .LBB75_247
; %bb.246:                              ;   in Loop: Header=BB75_233 Depth=1
	v_max_f32_e32 v9, v7, v7
	v_max_f32_e64 v21, |v8|, |v8|
	v_cmp_gt_f32_e64 vcc_lo, v7, |v8|
	v_cmp_eq_f32_e64 s1, 0, v7
	v_cmp_class_f32_e64 s24, v8, 0x204
	v_cmp_eq_f32_e64 s0, 0x7f800000, v7
	v_max_f32_e32 v22, v21, v9
	v_min_f32_e32 v9, v21, v9
	s_delay_alu instid0(VALU_DEP_2) | instskip(SKIP_1) | instid1(VALU_DEP_2)
	v_frexp_mant_f32_e32 v23, v22
	v_frexp_exp_i32_f32_e32 v22, v22
	v_rcp_f32_e32 v21, v23
	s_delay_alu instid0(VALU_DEP_3) | instskip(SKIP_1) | instid1(VALU_DEP_2)
	v_frexp_exp_i32_f32_e32 v23, v9
	v_frexp_mant_f32_e32 v9, v9
	v_sub_nc_u32_e32 v22, v23, v22
	s_waitcnt_depctr 0xfff
	v_mul_f32_e32 v9, v9, v21
	s_delay_alu instid0(VALU_DEP_1) | instskip(NEXT) | instid1(VALU_DEP_1)
	v_ldexp_f32 v9, v9, v22
	v_mul_f32_e32 v21, v9, v9
	s_delay_alu instid0(VALU_DEP_1) | instskip(NEXT) | instid1(VALU_DEP_1)
	v_fmaak_f32 v22, s16, v21, 0xbc7a590c
	v_fmaak_f32 v22, v21, v22, 0x3d29fb3f
	s_delay_alu instid0(VALU_DEP_1) | instskip(NEXT) | instid1(VALU_DEP_1)
	v_fmaak_f32 v22, v21, v22, 0xbd97d4d7
	v_fmaak_f32 v22, v21, v22, 0x3dd931b2
	s_delay_alu instid0(VALU_DEP_1) | instskip(NEXT) | instid1(VALU_DEP_1)
	v_fmaak_f32 v22, v21, v22, 0xbe1160e6
	v_fmaak_f32 v22, v21, v22, 0x3e4cb8bf
	s_delay_alu instid0(VALU_DEP_1) | instskip(NEXT) | instid1(VALU_DEP_1)
	v_fmaak_f32 v22, v21, v22, 0xbeaaaa62
	v_mul_f32_e32 v21, v21, v22
	s_delay_alu instid0(VALU_DEP_1) | instskip(NEXT) | instid1(VALU_DEP_1)
	v_fmac_f32_e32 v9, v9, v21
	v_sub_f32_e32 v21, 0x3fc90fdb, v9
	s_delay_alu instid0(VALU_DEP_1) | instskip(SKIP_1) | instid1(VALU_DEP_2)
	v_cndmask_b32_e32 v9, v9, v21, vcc_lo
	v_cmp_gt_i32_e32 vcc_lo, 0, v8
	v_sub_f32_e32 v21, 0x40490fdb, v9
	v_cndmask_b32_e64 v22, 0, 0x40490fdb, vcc_lo
	v_cmp_gt_f32_e32 vcc_lo, 0, v8
	s_delay_alu instid0(VALU_DEP_3) | instskip(NEXT) | instid1(VALU_DEP_1)
	v_cndmask_b32_e32 v9, v9, v21, vcc_lo
	v_cndmask_b32_e64 v7, v9, v22, s1
	v_cndmask_b32_e32 v9, 0x3f490fdb, v20, vcc_lo
	s_and_b32 vcc_lo, s0, s24
	s_delay_alu instid0(VALU_DEP_1) | instskip(SKIP_1) | instid1(VALU_DEP_2)
	v_cndmask_b32_e32 v7, v7, v9, vcc_lo
	v_cmp_o_f32_e32 vcc_lo, v8, v8
	v_cndmask_b32_e64 v9, 0x7fc00000, |v7|, vcc_lo
.LBB75_247:                             ;   in Loop: Header=BB75_233 Depth=1
	s_or_b32 exec_lo, exec_lo, s23
                                        ; implicit-def: $vgpr7
	s_and_not1_saveexec_b32 s0, s22
	s_cbranch_execnz .LBB75_249
	s_branch .LBB75_250
.LBB75_248:                             ;   in Loop: Header=BB75_233 Depth=1
	s_and_not1_saveexec_b32 s0, s22
	s_cbranch_execz .LBB75_250
.LBB75_249:                             ;   in Loop: Header=BB75_233 Depth=1
	v_max_f32_e32 v8, 2.0, v7
	v_min_f32_e32 v7, 2.0, v7
	v_cmp_lt_f32_e64 vcc_lo, |v10|, 2.0
	s_delay_alu instid0(VALU_DEP_3) | instskip(NEXT) | instid1(VALU_DEP_3)
	v_frexp_mant_f32_e32 v9, v8
	v_frexp_mant_f32_e32 v21, v7
	v_frexp_exp_i32_f32_e32 v7, v7
	s_delay_alu instid0(VALU_DEP_3) | instskip(SKIP_3) | instid1(VALU_DEP_1)
	v_rcp_f32_e32 v9, v9
	s_waitcnt_depctr 0xfff
	v_mul_f32_e32 v9, v21, v9
	v_frexp_exp_i32_f32_e32 v8, v8
	v_sub_nc_u32_e32 v7, v7, v8
	s_delay_alu instid0(VALU_DEP_1) | instskip(NEXT) | instid1(VALU_DEP_1)
	v_ldexp_f32 v7, v9, v7
	v_mul_f32_e32 v8, v7, v7
	s_delay_alu instid0(VALU_DEP_1) | instskip(NEXT) | instid1(VALU_DEP_1)
	v_fmaak_f32 v9, s16, v8, 0xbc7a590c
	v_fmaak_f32 v9, v8, v9, 0x3d29fb3f
	s_delay_alu instid0(VALU_DEP_1) | instskip(NEXT) | instid1(VALU_DEP_1)
	v_fmaak_f32 v9, v8, v9, 0xbd97d4d7
	v_fmaak_f32 v9, v8, v9, 0x3dd931b2
	;; [unrolled: 3-line block ×3, first 2 shown]
	s_delay_alu instid0(VALU_DEP_1) | instskip(NEXT) | instid1(VALU_DEP_1)
	v_fmaak_f32 v9, v8, v9, 0xbeaaaa62
	v_mul_f32_e32 v8, v8, v9
	s_delay_alu instid0(VALU_DEP_1) | instskip(NEXT) | instid1(VALU_DEP_1)
	v_fmac_f32_e32 v7, v7, v8
	v_sub_f32_e32 v8, 0x3fc90fdb, v7
	s_delay_alu instid0(VALU_DEP_1) | instskip(SKIP_1) | instid1(VALU_DEP_2)
	v_cndmask_b32_e32 v7, v7, v8, vcc_lo
	v_cmp_lg_f32_e32 vcc_lo, 0, v10
	v_sub_f32_e32 v8, 0x40490fdb, v7
	s_delay_alu instid0(VALU_DEP_1) | instskip(NEXT) | instid1(VALU_DEP_1)
	v_cndmask_b32_e32 v7, v7, v8, vcc_lo
	v_and_b32_e32 v9, 0x7fffffff, v7
.LBB75_250:                             ;   in Loop: Header=BB75_233 Depth=1
	s_or_b32 exec_lo, exec_lo, s0
	s_delay_alu instid0(VALU_DEP_1) | instskip(SKIP_1) | instid1(VALU_DEP_2)
	v_mul_f32_e32 v8, 0.5, v9
	v_bfi_b32 v7, 0x7fffffff, v6, v11
	v_bfi_b32 v6, 0x7fffffff, v8, v10
.LBB75_251:                             ;   in Loop: Header=BB75_233 Depth=1
	s_and_not1_saveexec_b32 s0, s21
	s_cbranch_execz .LBB75_253
; %bb.252:                              ;   in Loop: Header=BB75_233 Depth=1
	v_dual_mov_b32 v6, s6 :: v_dual_mov_b32 v7, s7
	flat_store_b32 v[6:7], v19 dlc
	s_waitcnt_vscnt null, 0x0
	flat_load_b32 v6, v[6:7] glc dlc
	s_waitcnt vmcnt(0) lgkmcnt(0)
	v_add_f32_e32 v8, 1.0, v6
	v_dual_mov_b32 v6, s12 :: v_dual_mov_b32 v7, s13
	flat_store_b32 v[6:7], v8 dlc
	s_waitcnt_vscnt null, 0x0
	flat_load_b32 v6, v[6:7] glc dlc
	s_waitcnt vmcnt(0) lgkmcnt(0)
	v_dual_mov_b32 v7, v11 :: v_dual_mov_b32 v6, v10
.LBB75_253:                             ;   in Loop: Header=BB75_233 Depth=1
	s_or_b32 exec_lo, exec_lo, s0
.LBB75_254:                             ;   in Loop: Header=BB75_233 Depth=1
	s_and_not1_saveexec_b32 s0, s20
	s_cbranch_execz .LBB75_268
; %bb.255:                              ;   in Loop: Header=BB75_233 Depth=1
	v_and_b32_e32 v6, 0x7f800000, v11
	v_and_b32_e32 v8, 0x7f800000, v10
	v_cmp_neq_f32_e64 s1, 0x7f800000, |v11|
	s_delay_alu instid0(VALU_DEP_2) | instskip(NEXT) | instid1(VALU_DEP_1)
	v_sub_nc_u32_e32 v7, v6, v8
	v_cmp_gt_i32_e32 vcc_lo, 0x6800000, v7
                                        ; implicit-def: $vgpr7
	s_delay_alu instid0(VALU_DEP_3) | instskip(NEXT) | instid1(SALU_CYCLE_1)
	s_and_b32 s1, s1, vcc_lo
	s_and_saveexec_b32 s20, s1
	s_delay_alu instid0(SALU_CYCLE_1)
	s_xor_b32 s1, exec_lo, s20
	s_cbranch_execz .LBB75_265
; %bb.256:                              ;   in Loop: Header=BB75_233 Depth=1
	v_sub_nc_u32_e32 v7, v8, v6
	s_delay_alu instid0(VALU_DEP_1) | instskip(SKIP_1) | instid1(SALU_CYCLE_1)
	v_cmp_gt_i32_e32 vcc_lo, 0x6800000, v7
                                        ; implicit-def: $vgpr7
	s_and_saveexec_b32 s20, vcc_lo
	s_xor_b32 s20, exec_lo, s20
	s_cbranch_execz .LBB75_262
; %bb.257:                              ;   in Loop: Header=BB75_233 Depth=1
	s_mov_b32 s21, exec_lo
                                        ; implicit-def: $vgpr7
	v_cmpx_lt_u32_e32 0x59000000, v6
	s_xor_b32 s21, exec_lo, s21
	s_cbranch_execz .LBB75_259
; %bb.258:                              ;   in Loop: Header=BB75_233 Depth=1
	v_sub_nc_u32_e32 v6, 0x7f800000, v6
	s_delay_alu instid0(VALU_DEP_1) | instskip(SKIP_1) | instid1(VALU_DEP_2)
	v_mul_f32_e32 v7, v10, v6
	v_mul_f32_e32 v8, v11, v6
	;; [unrolled: 1-line block ×3, first 2 shown]
	s_delay_alu instid0(VALU_DEP_1) | instskip(NEXT) | instid1(VALU_DEP_1)
	v_fmac_f32_e32 v7, v8, v8
	v_div_scale_f32 v9, null, v7, v7, v8
	s_delay_alu instid0(VALU_DEP_1) | instskip(SKIP_2) | instid1(VALU_DEP_1)
	v_rcp_f32_e32 v21, v9
	s_waitcnt_depctr 0xfff
	v_fma_f32 v22, -v9, v21, 1.0
	v_fmac_f32_e32 v21, v22, v21
	v_div_scale_f32 v22, vcc_lo, v8, v7, v8
	s_delay_alu instid0(VALU_DEP_1) | instskip(NEXT) | instid1(VALU_DEP_1)
	v_mul_f32_e32 v23, v22, v21
	v_fma_f32 v24, -v9, v23, v22
	s_delay_alu instid0(VALU_DEP_1) | instskip(NEXT) | instid1(VALU_DEP_1)
	v_fmac_f32_e32 v23, v24, v21
	v_fma_f32 v9, -v9, v23, v22
	s_delay_alu instid0(VALU_DEP_1) | instskip(NEXT) | instid1(VALU_DEP_1)
	v_div_fmas_f32 v9, v9, v21, v23
	v_div_fixup_f32 v7, v9, v7, v8
	s_delay_alu instid0(VALU_DEP_1)
	v_mul_f32_e32 v7, v7, v6
.LBB75_259:                             ;   in Loop: Header=BB75_233 Depth=1
	s_and_not1_saveexec_b32 s21, s21
	s_cbranch_execz .LBB75_261
; %bb.260:                              ;   in Loop: Header=BB75_233 Depth=1
	v_mul_f32_e32 v6, v11, v11
	s_delay_alu instid0(VALU_DEP_1) | instskip(NEXT) | instid1(VALU_DEP_1)
	v_fmac_f32_e32 v6, v10, v10
	v_div_scale_f32 v7, null, v6, v6, v11
	s_delay_alu instid0(VALU_DEP_1) | instskip(SKIP_2) | instid1(VALU_DEP_1)
	v_rcp_f32_e32 v8, v7
	s_waitcnt_depctr 0xfff
	v_fma_f32 v9, -v7, v8, 1.0
	v_fmac_f32_e32 v8, v9, v8
	v_div_scale_f32 v9, vcc_lo, v11, v6, v11
	s_delay_alu instid0(VALU_DEP_1) | instskip(NEXT) | instid1(VALU_DEP_1)
	v_mul_f32_e32 v21, v9, v8
	v_fma_f32 v22, -v7, v21, v9
	s_delay_alu instid0(VALU_DEP_1) | instskip(NEXT) | instid1(VALU_DEP_1)
	v_fmac_f32_e32 v21, v22, v8
	v_fma_f32 v7, -v7, v21, v9
	s_delay_alu instid0(VALU_DEP_1) | instskip(NEXT) | instid1(VALU_DEP_1)
	v_div_fmas_f32 v7, v7, v8, v21
	v_div_fixup_f32 v7, v7, v6, v11
.LBB75_261:                             ;   in Loop: Header=BB75_233 Depth=1
	s_or_b32 exec_lo, exec_lo, s21
.LBB75_262:                             ;   in Loop: Header=BB75_233 Depth=1
	s_and_not1_saveexec_b32 s20, s20
	s_cbranch_execz .LBB75_264
; %bb.263:                              ;   in Loop: Header=BB75_233 Depth=1
	v_div_scale_f32 v6, null, v10, v10, v11
	v_div_scale_f32 v9, vcc_lo, v11, v10, v11
	s_delay_alu instid0(VALU_DEP_2) | instskip(SKIP_2) | instid1(VALU_DEP_1)
	v_rcp_f32_e32 v7, v6
	s_waitcnt_depctr 0xfff
	v_fma_f32 v8, -v6, v7, 1.0
	v_fmac_f32_e32 v7, v8, v7
	s_delay_alu instid0(VALU_DEP_1) | instskip(NEXT) | instid1(VALU_DEP_1)
	v_mul_f32_e32 v8, v9, v7
	v_fma_f32 v21, -v6, v8, v9
	s_delay_alu instid0(VALU_DEP_1) | instskip(NEXT) | instid1(VALU_DEP_1)
	v_fmac_f32_e32 v8, v21, v7
	v_fma_f32 v6, -v6, v8, v9
	s_delay_alu instid0(VALU_DEP_1) | instskip(NEXT) | instid1(VALU_DEP_1)
	v_div_fmas_f32 v6, v6, v7, v8
	v_div_fixup_f32 v6, v6, v10, v11
	s_delay_alu instid0(VALU_DEP_1) | instskip(NEXT) | instid1(VALU_DEP_1)
	v_div_scale_f32 v7, null, v10, v10, v6
	v_rcp_f32_e32 v8, v7
	s_waitcnt_depctr 0xfff
	v_fma_f32 v9, -v7, v8, 1.0
	s_delay_alu instid0(VALU_DEP_1) | instskip(SKIP_1) | instid1(VALU_DEP_1)
	v_fmac_f32_e32 v8, v9, v8
	v_div_scale_f32 v9, vcc_lo, v6, v10, v6
	v_mul_f32_e32 v21, v9, v8
	s_delay_alu instid0(VALU_DEP_1) | instskip(NEXT) | instid1(VALU_DEP_1)
	v_fma_f32 v22, -v7, v21, v9
	v_fmac_f32_e32 v21, v22, v8
	s_delay_alu instid0(VALU_DEP_1) | instskip(NEXT) | instid1(VALU_DEP_1)
	v_fma_f32 v7, -v7, v21, v9
	v_div_fmas_f32 v7, v7, v8, v21
	s_delay_alu instid0(VALU_DEP_1)
	v_div_fixup_f32 v7, v7, v10, v6
.LBB75_264:                             ;   in Loop: Header=BB75_233 Depth=1
	s_or_b32 exec_lo, exec_lo, s20
.LBB75_265:                             ;   in Loop: Header=BB75_233 Depth=1
	s_and_not1_saveexec_b32 s1, s1
; %bb.266:                              ;   in Loop: Header=BB75_233 Depth=1
	v_div_scale_f32 v6, null, v11, v11, 1.0
	s_delay_alu instid0(VALU_DEP_1) | instskip(SKIP_2) | instid1(VALU_DEP_1)
	v_rcp_f32_e32 v7, v6
	s_waitcnt_depctr 0xfff
	v_fma_f32 v8, -v6, v7, 1.0
	v_fmac_f32_e32 v7, v8, v7
	v_div_scale_f32 v8, vcc_lo, 1.0, v11, 1.0
	s_delay_alu instid0(VALU_DEP_1) | instskip(NEXT) | instid1(VALU_DEP_1)
	v_mul_f32_e32 v9, v8, v7
	v_fma_f32 v21, -v6, v9, v8
	s_delay_alu instid0(VALU_DEP_1) | instskip(NEXT) | instid1(VALU_DEP_1)
	v_fmac_f32_e32 v9, v21, v7
	v_fma_f32 v6, -v6, v9, v8
	s_delay_alu instid0(VALU_DEP_1) | instskip(NEXT) | instid1(VALU_DEP_1)
	v_div_fmas_f32 v6, v6, v7, v9
	v_div_fixup_f32 v7, v6, v11, 1.0
; %bb.267:                              ;   in Loop: Header=BB75_233 Depth=1
	s_or_b32 exec_lo, exec_lo, s1
	v_dual_mov_b32 v9, s5 :: v_dual_mov_b32 v8, s4
	flat_load_b32 v6, v[8:9] glc dlc
	s_waitcnt vmcnt(0) lgkmcnt(0)
	v_add_f32_e32 v6, 0x3fc90fdb, v6
	s_delay_alu instid0(VALU_DEP_1)
	v_bfi_b32 v6, 0x7fffffff, v6, v10
.LBB75_268:                             ;   in Loop: Header=BB75_233 Depth=1
	s_or_b32 exec_lo, exec_lo, s0
.LBB75_269:                             ;   in Loop: Header=BB75_233 Depth=1
	s_and_not1_saveexec_b32 s0, s19
	s_cbranch_execz .LBB75_279
; %bb.270:                              ;   in Loop: Header=BB75_233 Depth=1
	v_cmp_neq_f32_e64 s1, 0x7f800000, |v11|
                                        ; implicit-def: $vgpr6
	s_delay_alu instid0(VALU_DEP_1) | instskip(NEXT) | instid1(SALU_CYCLE_1)
	s_and_saveexec_b32 s19, s1
	s_xor_b32 s1, exec_lo, s19
	s_cbranch_execz .LBB75_276
; %bb.271:                              ;   in Loop: Header=BB75_233 Depth=1
	v_cmp_neq_f32_e64 s19, 0x7f800000, |v10|
                                        ; implicit-def: $vgpr6
	s_delay_alu instid0(VALU_DEP_1) | instskip(NEXT) | instid1(SALU_CYCLE_1)
	s_and_saveexec_b32 s20, s19
	s_xor_b32 s19, exec_lo, s20
; %bb.272:                              ;   in Loop: Header=BB75_233 Depth=1
	v_add_f32_e32 v6, 0, v10
	s_delay_alu instid0(VALU_DEP_1)
	v_add_f32_e32 v6, v6, v11
; %bb.273:                              ;   in Loop: Header=BB75_233 Depth=1
	s_or_saveexec_b32 s19, s19
	s_delay_alu instid0(VALU_DEP_1)
	v_mov_b32_e32 v7, v6
	s_xor_b32 exec_lo, exec_lo, s19
	s_cbranch_execz .LBB75_275
; %bb.274:                              ;   in Loop: Header=BB75_233 Depth=1
	v_dual_mov_b32 v7, s5 :: v_dual_mov_b32 v6, s4
	flat_load_b32 v6, v[6:7] glc dlc
	s_waitcnt vmcnt(0)
	v_bfi_b32 v7, 0x7fffffff, 0, v11
	s_waitcnt lgkmcnt(0)
	v_add_f32_e32 v6, 0x3fc90fdb, v6
	s_delay_alu instid0(VALU_DEP_1)
	v_bfi_b32 v6, 0x7fffffff, v6, v10
.LBB75_275:                             ;   in Loop: Header=BB75_233 Depth=1
	s_or_b32 exec_lo, exec_lo, s19
.LBB75_276:                             ;   in Loop: Header=BB75_233 Depth=1
	s_and_not1_saveexec_b32 s1, s1
; %bb.277:                              ;   in Loop: Header=BB75_233 Depth=1
	v_bfi_b32 v7, 0x7fffffff, 0, v11
	v_add_f32_e32 v6, v10, v10
; %bb.278:                              ;   in Loop: Header=BB75_233 Depth=1
	s_or_b32 exec_lo, exec_lo, s1
.LBB75_279:                             ;   in Loop: Header=BB75_233 Depth=1
	s_delay_alu instid0(SALU_CYCLE_1)
	s_or_b32 exec_lo, exec_lo, s0
.LBB75_280:                             ;   in Loop: Header=BB75_233 Depth=1
	s_and_not1_saveexec_b32 s0, s18
	s_cbranch_execz .LBB75_282
; %bb.281:                              ;   in Loop: Header=BB75_233 Depth=1
	v_rcp_f32_e64 v6, |v10|
	v_cmp_gt_f32_e64 vcc_lo, |v10|, 1.0
	s_waitcnt_depctr 0xfff
	v_cndmask_b32_e64 v6, |v10|, v6, vcc_lo
	s_delay_alu instid0(VALU_DEP_1) | instskip(NEXT) | instid1(VALU_DEP_1)
	v_mul_f32_e32 v7, v6, v6
	v_fmaak_f32 v8, s16, v7, 0xbc7a590c
	s_delay_alu instid0(VALU_DEP_1) | instskip(NEXT) | instid1(VALU_DEP_1)
	v_fmaak_f32 v8, v7, v8, 0x3d29fb3f
	v_fmaak_f32 v8, v7, v8, 0xbd97d4d7
	s_delay_alu instid0(VALU_DEP_1) | instskip(NEXT) | instid1(VALU_DEP_1)
	v_fmaak_f32 v8, v7, v8, 0x3dd931b2
	;; [unrolled: 3-line block ×3, first 2 shown]
	v_fmaak_f32 v8, v7, v8, 0xbeaaaa62
	s_delay_alu instid0(VALU_DEP_1) | instskip(NEXT) | instid1(VALU_DEP_1)
	v_mul_f32_e32 v7, v7, v8
	v_fmac_f32_e32 v6, v6, v7
	s_delay_alu instid0(VALU_DEP_1) | instskip(NEXT) | instid1(VALU_DEP_1)
	v_sub_f32_e32 v7, 0x3fc90fdb, v6
	v_dual_cndmask_b32 v6, v6, v7 :: v_dual_mov_b32 v7, v11
	s_delay_alu instid0(VALU_DEP_1)
	v_bfi_b32 v6, 0x7fffffff, v6, v10
.LBB75_282:                             ;   in Loop: Header=BB75_233 Depth=1
	s_or_b32 exec_lo, exec_lo, s0
.LBB75_283:                             ;   in Loop: Header=BB75_233 Depth=1
	s_and_not1_saveexec_b32 s0, s17
	s_cbranch_execz .LBB75_285
; %bb.284:                              ;   in Loop: Header=BB75_233 Depth=1
	v_sub_f32_e64 v6, 1.0, |v11|
	v_add_f32_e64 v8, |v11|, 1.0
	v_cmp_gt_f32_e64 s1, 0x39800000, |v11|
	s_delay_alu instid0(VALU_DEP_3) | instskip(SKIP_2) | instid1(VALU_DEP_1)
	v_rcp_f32_e32 v7, v6
	s_waitcnt_depctr 0xfff
	v_mul_f32_e32 v9, v8, v7
	v_dual_sub_f32 v21, 1.0, v6 :: v_dual_mul_f32 v22, v6, v9
	s_delay_alu instid0(VALU_DEP_1) | instskip(NEXT) | instid1(VALU_DEP_2)
	v_sub_f32_e64 v21, v21, |v11|
	v_fma_f32 v6, v9, v6, -v22
	s_delay_alu instid0(VALU_DEP_1) | instskip(NEXT) | instid1(VALU_DEP_1)
	v_fmac_f32_e32 v6, v9, v21
	v_add_f32_e32 v21, v22, v6
	s_delay_alu instid0(VALU_DEP_1) | instskip(NEXT) | instid1(VALU_DEP_1)
	v_sub_f32_e32 v23, v8, v21
	v_sub_f32_e32 v24, v8, v23
	v_add_f32_e32 v8, -1.0, v8
	s_delay_alu instid0(VALU_DEP_2) | instskip(NEXT) | instid1(VALU_DEP_2)
	v_dual_sub_f32 v22, v21, v22 :: v_dual_sub_f32 v21, v24, v21
	v_sub_f32_e64 v8, |v11|, v8
	s_delay_alu instid0(VALU_DEP_2) | instskip(NEXT) | instid1(VALU_DEP_1)
	v_sub_f32_e32 v6, v22, v6
	v_add_f32_e32 v6, v6, v21
	s_delay_alu instid0(VALU_DEP_1) | instskip(NEXT) | instid1(VALU_DEP_1)
	v_add_f32_e32 v6, v8, v6
	v_add_f32_e32 v6, v23, v6
	s_delay_alu instid0(VALU_DEP_1) | instskip(NEXT) | instid1(VALU_DEP_1)
	v_mul_f32_e32 v8, v7, v6
	v_add_f32_e32 v21, v9, v8
	s_delay_alu instid0(VALU_DEP_1) | instskip(SKIP_1) | instid1(VALU_DEP_1)
	v_cvt_f64_f32_e32 v[6:7], v21
	v_sub_f32_e32 v9, v21, v9
	v_sub_f32_e32 v8, v8, v9
	s_delay_alu instid0(VALU_DEP_3) | instskip(SKIP_1) | instid1(VALU_DEP_1)
	v_frexp_exp_i32_f64_e32 v6, v[6:7]
	v_frexp_mant_f32_e32 v7, v21
	v_cmp_gt_f32_e32 vcc_lo, 0x3f2aaaab, v7
	s_delay_alu instid0(VALU_DEP_3) | instskip(SKIP_1) | instid1(VALU_DEP_2)
	v_subrev_co_ci_u32_e32 v6, vcc_lo, 0, v6, vcc_lo
	v_cmp_ngt_f32_e64 vcc_lo, |v11|, 1.0
	v_sub_nc_u32_e32 v7, 0, v6
	v_cvt_f32_i32_e32 v6, v6
	s_delay_alu instid0(VALU_DEP_2) | instskip(SKIP_1) | instid1(VALU_DEP_2)
	v_ldexp_f32 v22, v21, v7
	v_ldexp_f32 v7, v8, v7
	v_add_f32_e32 v21, 1.0, v22
	s_delay_alu instid0(VALU_DEP_1) | instskip(NEXT) | instid1(VALU_DEP_1)
	v_add_f32_e32 v9, -1.0, v21
	v_dual_sub_f32 v9, v22, v9 :: v_dual_add_f32 v8, -1.0, v22
	s_delay_alu instid0(VALU_DEP_1) | instskip(NEXT) | instid1(VALU_DEP_2)
	v_add_f32_e32 v9, v7, v9
	v_add_f32_e32 v23, 1.0, v8
	s_delay_alu instid0(VALU_DEP_1) | instskip(NEXT) | instid1(VALU_DEP_1)
	v_dual_sub_f32 v22, v22, v23 :: v_dual_add_f32 v23, v21, v9
	v_add_f32_e32 v7, v7, v22
	s_delay_alu instid0(VALU_DEP_2) | instskip(NEXT) | instid1(VALU_DEP_1)
	v_rcp_f32_e32 v22, v23
	v_dual_add_f32 v24, v8, v7 :: v_dual_sub_f32 v21, v23, v21
	s_delay_alu instid0(VALU_DEP_1) | instskip(SKIP_3) | instid1(VALU_DEP_2)
	v_sub_f32_e32 v8, v24, v8
	s_waitcnt_depctr 0xfff
	v_mul_f32_e32 v25, v24, v22
	v_sub_f32_e32 v9, v9, v21
	v_mul_f32_e32 v26, v23, v25
	s_delay_alu instid0(VALU_DEP_1) | instskip(NEXT) | instid1(VALU_DEP_1)
	v_fma_f32 v21, v25, v23, -v26
	v_fmac_f32_e32 v21, v25, v9
	s_delay_alu instid0(VALU_DEP_1) | instskip(NEXT) | instid1(VALU_DEP_1)
	v_add_f32_e32 v27, v26, v21
	v_sub_f32_e32 v28, v24, v27
	s_delay_alu instid0(VALU_DEP_1) | instskip(SKIP_2) | instid1(VALU_DEP_3)
	v_sub_f32_e32 v24, v24, v28
	v_sub_f32_e32 v7, v7, v8
	;; [unrolled: 1-line block ×4, first 2 shown]
	s_delay_alu instid0(VALU_DEP_1) | instskip(NEXT) | instid1(VALU_DEP_1)
	v_dual_sub_f32 v8, v8, v21 :: v_dual_add_f32 v7, v7, v24
	v_add_f32_e32 v7, v8, v7
	s_delay_alu instid0(VALU_DEP_1) | instskip(NEXT) | instid1(VALU_DEP_1)
	v_add_f32_e32 v8, v28, v7
	v_mul_f32_e32 v21, v22, v8
	s_delay_alu instid0(VALU_DEP_1) | instskip(NEXT) | instid1(VALU_DEP_1)
	v_dual_sub_f32 v27, v28, v8 :: v_dual_mul_f32 v24, v23, v21
	v_add_f32_e32 v7, v7, v27
	s_delay_alu instid0(VALU_DEP_2) | instskip(NEXT) | instid1(VALU_DEP_1)
	v_fma_f32 v23, v21, v23, -v24
	v_fmac_f32_e32 v23, v21, v9
	s_delay_alu instid0(VALU_DEP_1) | instskip(NEXT) | instid1(VALU_DEP_1)
	v_add_f32_e32 v9, v24, v23
	v_sub_f32_e32 v26, v8, v9
	s_delay_alu instid0(VALU_DEP_1) | instskip(NEXT) | instid1(VALU_DEP_1)
	v_sub_f32_e32 v8, v8, v26
	v_sub_f32_e32 v8, v8, v9
	s_delay_alu instid0(VALU_DEP_1) | instskip(SKIP_1) | instid1(VALU_DEP_1)
	v_dual_add_f32 v7, v7, v8 :: v_dual_add_f32 v8, v25, v21
	v_sub_f32_e32 v24, v9, v24
	v_sub_f32_e32 v9, v24, v23
	s_delay_alu instid0(VALU_DEP_1) | instskip(NEXT) | instid1(VALU_DEP_4)
	v_add_f32_e32 v7, v9, v7
	v_sub_f32_e32 v9, v8, v25
	s_delay_alu instid0(VALU_DEP_2) | instskip(NEXT) | instid1(VALU_DEP_2)
	v_add_f32_e32 v7, v26, v7
	v_sub_f32_e32 v9, v21, v9
	s_delay_alu instid0(VALU_DEP_2) | instskip(NEXT) | instid1(VALU_DEP_1)
	v_mul_f32_e32 v7, v22, v7
	v_add_f32_e32 v7, v9, v7
	s_delay_alu instid0(VALU_DEP_1) | instskip(NEXT) | instid1(VALU_DEP_1)
	v_add_f32_e32 v9, v8, v7
	v_mul_f32_e32 v21, v9, v9
	v_sub_f32_e32 v8, v9, v8
	s_delay_alu instid0(VALU_DEP_2) | instskip(SKIP_1) | instid1(VALU_DEP_3)
	v_fmaak_f32 v22, s15, v21, 0x3ecc95a3
	v_mul_f32_e32 v23, v9, v21
	v_sub_f32_e32 v7, v7, v8
	s_delay_alu instid0(VALU_DEP_3) | instskip(SKIP_1) | instid1(VALU_DEP_3)
	v_fmaak_f32 v21, v21, v22, 0x3f2aaada
	v_ldexp_f32 v22, v9, 1
	v_ldexp_f32 v7, v7, 1
	s_delay_alu instid0(VALU_DEP_3) | instskip(SKIP_1) | instid1(VALU_DEP_2)
	v_mul_f32_e32 v21, v23, v21
	v_mul_f32_e32 v23, 0x3f317218, v6
	v_add_f32_e32 v9, v22, v21
	s_delay_alu instid0(VALU_DEP_1) | instskip(NEXT) | instid1(VALU_DEP_3)
	v_sub_f32_e32 v8, v9, v22
	v_fma_f32 v22, 0x3f317218, v6, -v23
	s_delay_alu instid0(VALU_DEP_2) | instskip(NEXT) | instid1(VALU_DEP_2)
	v_sub_f32_e32 v8, v21, v8
	v_fmac_f32_e32 v22, 0xb102e308, v6
	s_delay_alu instid0(VALU_DEP_2) | instskip(NEXT) | instid1(VALU_DEP_2)
	v_add_f32_e32 v6, v7, v8
	v_add_f32_e32 v7, v23, v22
	s_delay_alu instid0(VALU_DEP_1) | instskip(NEXT) | instid1(VALU_DEP_1)
	v_dual_add_f32 v8, v9, v6 :: v_dual_sub_f32 v23, v7, v23
	v_dual_add_f32 v21, v7, v8 :: v_dual_sub_f32 v22, v22, v23
	s_delay_alu instid0(VALU_DEP_1) | instskip(NEXT) | instid1(VALU_DEP_1)
	v_dual_sub_f32 v24, v21, v7 :: v_dual_sub_f32 v9, v8, v9
	v_dual_sub_f32 v25, v21, v24 :: v_dual_sub_f32 v6, v6, v9
	s_delay_alu instid0(VALU_DEP_1) | instskip(NEXT) | instid1(VALU_DEP_2)
	v_dual_sub_f32 v8, v8, v24 :: v_dual_sub_f32 v7, v7, v25
	v_add_f32_e32 v9, v22, v6
	s_delay_alu instid0(VALU_DEP_1) | instskip(NEXT) | instid1(VALU_DEP_1)
	v_dual_add_f32 v7, v8, v7 :: v_dual_sub_f32 v8, v9, v22
	v_add_f32_e32 v7, v9, v7
	s_delay_alu instid0(VALU_DEP_2) | instskip(NEXT) | instid1(VALU_DEP_2)
	v_sub_f32_e32 v9, v9, v8
	v_dual_sub_f32 v6, v6, v8 :: v_dual_add_f32 v23, v21, v7
	s_delay_alu instid0(VALU_DEP_2) | instskip(NEXT) | instid1(VALU_DEP_1)
	v_sub_f32_e32 v8, v22, v9
	v_dual_sub_f32 v9, v23, v21 :: v_dual_add_f32 v6, v6, v8
	s_delay_alu instid0(VALU_DEP_1) | instskip(NEXT) | instid1(VALU_DEP_1)
	v_sub_f32_e32 v7, v7, v9
	v_add_f32_e32 v6, v6, v7
	s_delay_alu instid0(VALU_DEP_1) | instskip(NEXT) | instid1(VALU_DEP_1)
	v_add_f32_e32 v6, v23, v6
	v_mul_f32_e32 v6, 0.5, v6
	s_delay_alu instid0(VALU_DEP_1) | instskip(NEXT) | instid1(VALU_DEP_1)
	v_cndmask_b32_e64 v6, v6, |v11|, s1
	v_cndmask_b32_e32 v6, 0x7fc00000, v6, vcc_lo
	v_cmp_neq_f32_e64 vcc_lo, |v11|, 1.0
	s_delay_alu instid0(VALU_DEP_2) | instskip(NEXT) | instid1(VALU_DEP_1)
	v_cndmask_b32_e32 v6, 0x7f800000, v6, vcc_lo
	v_bfi_b32 v7, 0x7fffffff, v6, v11
	v_mov_b32_e32 v6, v10
.LBB75_285:                             ;   in Loop: Header=BB75_233 Depth=1
	s_or_b32 exec_lo, exec_lo, s0
	v_cmp_neq_f32_e32 vcc_lo, 0, v12
	v_cmp_nle_f32_e64 s0, |v13|, 1.0
	v_dual_mov_b32 v9, s5 :: v_dual_mov_b32 v8, s4
	s_delay_alu instid0(VALU_DEP_2) | instskip(SKIP_3) | instid1(SALU_CYCLE_1)
	s_or_b32 s0, vcc_lo, s0
	flat_store_b32 v[8:9], v18 dlc
	s_waitcnt_vscnt null, 0x0
	s_and_saveexec_b32 s1, s0
	s_xor_b32 s17, exec_lo, s1
	s_cbranch_execz .LBB75_335
; %bb.286:                              ;   in Loop: Header=BB75_233 Depth=1
	s_mov_b32 s0, exec_lo
	v_cmpx_neq_f32_e32 0, v13
	s_xor_b32 s18, exec_lo, s0
	s_cbranch_execz .LBB75_332
; %bb.287:                              ;   in Loop: Header=BB75_233 Depth=1
	v_cmp_o_f32_e32 vcc_lo, v13, v13
	v_cmp_o_f32_e64 s0, v12, v12
	s_delay_alu instid0(VALU_DEP_1) | instskip(NEXT) | instid1(SALU_CYCLE_1)
	s_and_b32 s0, vcc_lo, s0
	s_and_saveexec_b32 s1, s0
	s_delay_alu instid0(SALU_CYCLE_1)
	s_xor_b32 s19, exec_lo, s1
	s_cbranch_execz .LBB75_321
; %bb.288:                              ;   in Loop: Header=BB75_233 Depth=1
	v_max_f32_e64 v9, |v13|, |v13|
	v_max_f32_e64 v8, |v12|, |v12|
	s_mov_b32 s0, exec_lo
	s_delay_alu instid0(VALU_DEP_1) | instskip(NEXT) | instid1(VALU_DEP_1)
	v_max_f32_e32 v9, v8, v9
	v_cmpx_nlt_f32_e32 0x4b000000, v9
	s_xor_b32 s20, exec_lo, s0
	s_cbranch_execz .LBB75_306
; %bb.289:                              ;   in Loop: Header=BB75_233 Depth=1
	v_cmp_ngt_f32_e64 s0, 0x399cc471, |v13|
	v_cmp_ngt_f32_e64 s1, 0x399cc471, |v12|
	s_delay_alu instid0(VALU_DEP_1) | instskip(NEXT) | instid1(SALU_CYCLE_1)
	s_or_b32 s0, s1, s0
	s_and_saveexec_b32 s1, s0
	s_delay_alu instid0(SALU_CYCLE_1)
	s_xor_b32 s21, exec_lo, s1
	s_cbranch_execz .LBB75_303
; %bb.290:                              ;   in Loop: Header=BB75_233 Depth=1
	v_cmp_neq_f32_e64 s1, |v13|, 1.0
	v_cmp_ngt_f32_e64 s0, 0x34000000, |v12|
                                        ; implicit-def: $vgpr9
	s_delay_alu instid0(VALU_DEP_1) | instskip(NEXT) | instid1(SALU_CYCLE_1)
	s_or_b32 s22, s0, s1
	s_and_saveexec_b32 s23, s22
	s_delay_alu instid0(SALU_CYCLE_1)
	s_xor_b32 s22, exec_lo, s23
	s_cbranch_execz .LBB75_292
; %bb.291:                              ;   in Loop: Header=BB75_233 Depth=1
	v_add_f32_e64 v9, |v13|, -1.0
	v_cmp_gt_f32_e64 vcc_lo, 0x20000000, |v12|
	v_mul_f32_e64 v11, |v13|, 4.0
	s_delay_alu instid0(VALU_DEP_3) | instskip(NEXT) | instid1(VALU_DEP_1)
	v_mul_f32_e32 v9, v9, v9
	v_fma_f32 v10, v12, v12, v9
	s_delay_alu instid0(VALU_DEP_1) | instskip(NEXT) | instid1(VALU_DEP_1)
	v_cndmask_b32_e32 v9, v10, v9, vcc_lo
	v_div_scale_f32 v10, null, v9, v9, v11
	v_div_scale_f32 v23, vcc_lo, v11, v9, v11
	s_delay_alu instid0(VALU_DEP_2) | instskip(SKIP_2) | instid1(VALU_DEP_1)
	v_rcp_f32_e32 v21, v10
	s_waitcnt_depctr 0xfff
	v_fma_f32 v22, -v10, v21, 1.0
	v_fmac_f32_e32 v21, v22, v21
	s_delay_alu instid0(VALU_DEP_1) | instskip(NEXT) | instid1(VALU_DEP_1)
	v_mul_f32_e32 v22, v23, v21
	v_fma_f32 v24, -v10, v22, v23
	s_delay_alu instid0(VALU_DEP_1) | instskip(NEXT) | instid1(VALU_DEP_1)
	v_fmac_f32_e32 v22, v24, v21
	v_fma_f32 v10, -v10, v22, v23
	s_delay_alu instid0(VALU_DEP_1) | instskip(NEXT) | instid1(VALU_DEP_1)
	v_div_fmas_f32 v10, v10, v21, v22
	v_div_fixup_f32 v11, v10, v9, v11
	s_delay_alu instid0(VALU_DEP_1) | instskip(NEXT) | instid1(VALU_DEP_1)
	v_add_f32_e32 v21, 1.0, v11
	v_cvt_f64_f32_e32 v[9:10], v21
	s_delay_alu instid0(VALU_DEP_1) | instskip(SKIP_1) | instid1(VALU_DEP_1)
	v_frexp_exp_i32_f64_e32 v9, v[9:10]
	v_frexp_mant_f32_e32 v10, v21
	v_cmp_gt_f32_e32 vcc_lo, 0x3f2aaaab, v10
	v_add_f32_e32 v10, -1.0, v21
	s_delay_alu instid0(VALU_DEP_1) | instskip(NEXT) | instid1(VALU_DEP_1)
	v_dual_sub_f32 v23, v10, v21 :: v_dual_sub_f32 v10, v11, v10
	v_add_f32_e32 v23, 1.0, v23
	s_delay_alu instid0(VALU_DEP_1) | instskip(SKIP_2) | instid1(VALU_DEP_2)
	v_add_f32_e32 v10, v10, v23
	v_subrev_co_ci_u32_e32 v9, vcc_lo, 0, v9, vcc_lo
	v_cmp_eq_f32_e32 vcc_lo, 0x7f800000, v11
	v_sub_nc_u32_e32 v22, 0, v9
	v_cvt_f32_i32_e32 v9, v9
	s_delay_alu instid0(VALU_DEP_2) | instskip(SKIP_1) | instid1(VALU_DEP_2)
	v_ldexp_f32 v21, v21, v22
	v_ldexp_f32 v10, v10, v22
	v_add_f32_e32 v24, 1.0, v21
	s_delay_alu instid0(VALU_DEP_1) | instskip(NEXT) | instid1(VALU_DEP_1)
	v_add_f32_e32 v23, -1.0, v24
	v_dual_sub_f32 v23, v21, v23 :: v_dual_add_f32 v22, -1.0, v21
	s_delay_alu instid0(VALU_DEP_1) | instskip(NEXT) | instid1(VALU_DEP_2)
	v_add_f32_e32 v23, v10, v23
	v_add_f32_e32 v25, 1.0, v22
	s_delay_alu instid0(VALU_DEP_1) | instskip(NEXT) | instid1(VALU_DEP_1)
	v_sub_f32_e32 v21, v21, v25
	v_dual_add_f32 v25, v24, v23 :: v_dual_add_f32 v10, v10, v21
	s_delay_alu instid0(VALU_DEP_1) | instskip(SKIP_1) | instid1(VALU_DEP_1)
	v_rcp_f32_e32 v21, v25
	v_sub_f32_e32 v24, v25, v24
	v_dual_add_f32 v26, v22, v10 :: v_dual_sub_f32 v23, v23, v24
	s_delay_alu instid0(VALU_DEP_1) | instskip(SKIP_3) | instid1(VALU_DEP_2)
	v_sub_f32_e32 v22, v26, v22
	s_waitcnt_depctr 0xfff
	v_mul_f32_e32 v27, v26, v21
	v_sub_f32_e32 v10, v10, v22
	v_mul_f32_e32 v28, v25, v27
	s_delay_alu instid0(VALU_DEP_1) | instskip(NEXT) | instid1(VALU_DEP_1)
	v_fma_f32 v24, v27, v25, -v28
	v_fmac_f32_e32 v24, v27, v23
	s_delay_alu instid0(VALU_DEP_1) | instskip(NEXT) | instid1(VALU_DEP_1)
	v_add_f32_e32 v29, v28, v24
	v_sub_f32_e32 v30, v26, v29
	v_sub_f32_e32 v22, v29, v28
	s_delay_alu instid0(VALU_DEP_2) | instskip(NEXT) | instid1(VALU_DEP_2)
	v_sub_f32_e32 v26, v26, v30
	v_sub_f32_e32 v22, v22, v24
	s_delay_alu instid0(VALU_DEP_2) | instskip(NEXT) | instid1(VALU_DEP_1)
	v_sub_f32_e32 v26, v26, v29
	v_add_f32_e32 v10, v10, v26
	s_delay_alu instid0(VALU_DEP_1) | instskip(NEXT) | instid1(VALU_DEP_1)
	v_add_f32_e32 v10, v22, v10
	v_add_f32_e32 v22, v30, v10
	s_delay_alu instid0(VALU_DEP_1) | instskip(NEXT) | instid1(VALU_DEP_1)
	v_mul_f32_e32 v24, v21, v22
	v_dual_sub_f32 v29, v30, v22 :: v_dual_mul_f32 v26, v25, v24
	s_delay_alu instid0(VALU_DEP_1) | instskip(NEXT) | instid1(VALU_DEP_2)
	v_add_f32_e32 v10, v10, v29
	v_fma_f32 v25, v24, v25, -v26
	s_delay_alu instid0(VALU_DEP_1) | instskip(NEXT) | instid1(VALU_DEP_1)
	v_fmac_f32_e32 v25, v24, v23
	v_add_f32_e32 v23, v26, v25
	s_delay_alu instid0(VALU_DEP_1) | instskip(NEXT) | instid1(VALU_DEP_1)
	v_sub_f32_e32 v28, v22, v23
	v_sub_f32_e32 v22, v22, v28
	s_delay_alu instid0(VALU_DEP_1) | instskip(NEXT) | instid1(VALU_DEP_1)
	v_sub_f32_e32 v22, v22, v23
	v_add_f32_e32 v10, v10, v22
	v_add_f32_e32 v22, v27, v24
	v_sub_f32_e32 v26, v23, v26
	s_delay_alu instid0(VALU_DEP_1) | instskip(NEXT) | instid1(VALU_DEP_1)
	v_sub_f32_e32 v23, v26, v25
	v_dual_add_f32 v10, v23, v10 :: v_dual_sub_f32 v23, v22, v27
	s_delay_alu instid0(VALU_DEP_1) | instskip(NEXT) | instid1(VALU_DEP_1)
	v_add_f32_e32 v10, v28, v10
	v_dual_sub_f32 v23, v24, v23 :: v_dual_mul_f32 v10, v21, v10
	s_delay_alu instid0(VALU_DEP_1) | instskip(NEXT) | instid1(VALU_DEP_1)
	v_add_f32_e32 v10, v23, v10
	v_add_f32_e32 v21, v22, v10
	s_delay_alu instid0(VALU_DEP_1) | instskip(NEXT) | instid1(VALU_DEP_1)
	v_mul_f32_e32 v23, v21, v21
	v_fmaak_f32 v24, s15, v23, 0x3ecc95a3
	v_mul_f32_e32 v25, v21, v23
	s_delay_alu instid0(VALU_DEP_2) | instskip(SKIP_2) | instid1(VALU_DEP_3)
	v_fmaak_f32 v23, v23, v24, 0x3f2aaada
	v_ldexp_f32 v24, v21, 1
	v_sub_f32_e32 v21, v21, v22
	v_mul_f32_e32 v23, v25, v23
	v_mul_f32_e32 v25, 0x3f317218, v9
	s_delay_alu instid0(VALU_DEP_3) | instskip(NEXT) | instid1(VALU_DEP_3)
	v_sub_f32_e32 v10, v10, v21
	v_add_f32_e32 v22, v24, v23
	s_delay_alu instid0(VALU_DEP_2) | instskip(NEXT) | instid1(VALU_DEP_2)
	v_ldexp_f32 v10, v10, 1
	v_sub_f32_e32 v21, v22, v24
	v_fma_f32 v24, 0x3f317218, v9, -v25
	s_delay_alu instid0(VALU_DEP_2) | instskip(NEXT) | instid1(VALU_DEP_2)
	v_sub_f32_e32 v21, v23, v21
	v_fmac_f32_e32 v24, 0xb102e308, v9
	s_delay_alu instid0(VALU_DEP_1) | instskip(NEXT) | instid1(VALU_DEP_1)
	v_dual_add_f32 v9, v10, v21 :: v_dual_add_f32 v10, v25, v24
	v_add_f32_e32 v21, v22, v9
	s_delay_alu instid0(VALU_DEP_2) | instskip(NEXT) | instid1(VALU_DEP_2)
	v_sub_f32_e32 v25, v10, v25
	v_dual_add_f32 v23, v10, v21 :: v_dual_sub_f32 v22, v21, v22
	s_delay_alu instid0(VALU_DEP_2) | instskip(NEXT) | instid1(VALU_DEP_2)
	v_sub_f32_e32 v24, v24, v25
	v_sub_f32_e32 v26, v23, v10
	s_delay_alu instid0(VALU_DEP_3) | instskip(NEXT) | instid1(VALU_DEP_2)
	v_sub_f32_e32 v9, v9, v22
	v_sub_f32_e32 v27, v23, v26
	s_delay_alu instid0(VALU_DEP_2) | instskip(NEXT) | instid1(VALU_DEP_2)
	v_dual_sub_f32 v21, v21, v26 :: v_dual_add_f32 v22, v24, v9
	v_sub_f32_e32 v10, v10, v27
	s_delay_alu instid0(VALU_DEP_1) | instskip(NEXT) | instid1(VALU_DEP_1)
	v_dual_add_f32 v10, v21, v10 :: v_dual_sub_f32 v21, v22, v24
	v_add_f32_e32 v10, v22, v10
	s_delay_alu instid0(VALU_DEP_2) | instskip(SKIP_1) | instid1(VALU_DEP_3)
	v_sub_f32_e32 v22, v22, v21
	v_sub_f32_e32 v9, v9, v21
	v_add_f32_e32 v25, v23, v10
	s_delay_alu instid0(VALU_DEP_1) | instskip(NEXT) | instid1(VALU_DEP_1)
	v_dual_sub_f32 v21, v25, v23 :: v_dual_sub_f32 v22, v24, v22
	v_dual_sub_f32 v10, v10, v21 :: v_dual_add_f32 v9, v9, v22
	s_delay_alu instid0(VALU_DEP_1) | instskip(NEXT) | instid1(VALU_DEP_1)
	v_add_f32_e32 v9, v9, v10
	v_add_f32_e32 v9, v25, v9
	s_delay_alu instid0(VALU_DEP_1) | instskip(SKIP_1) | instid1(VALU_DEP_2)
	v_cndmask_b32_e32 v9, v9, v11, vcc_lo
	v_cmp_ngt_f32_e32 vcc_lo, -1.0, v11
	v_cndmask_b32_e32 v9, 0x7fc00000, v9, vcc_lo
	v_cmp_neq_f32_e32 vcc_lo, -1.0, v11
	s_delay_alu instid0(VALU_DEP_2) | instskip(SKIP_1) | instid1(VALU_DEP_2)
	v_cndmask_b32_e32 v9, 0xff800000, v9, vcc_lo
	v_cmp_gt_f32_e64 vcc_lo, 0x33800000, |v11|
	v_cndmask_b32_e32 v9, v9, v11, vcc_lo
	s_delay_alu instid0(VALU_DEP_1)
	v_mul_f32_e32 v9, 0x3e800000, v9
	s_and_not1_saveexec_b32 s22, s22
	s_cbranch_execz .LBB75_294
	s_branch .LBB75_293
.LBB75_292:                             ;   in Loop: Header=BB75_233 Depth=1
	s_and_not1_saveexec_b32 s22, s22
	s_cbranch_execz .LBB75_294
.LBB75_293:                             ;   in Loop: Header=BB75_233 Depth=1
	v_cmp_gt_f32_e64 s23, 0x800000, |v12|
	s_delay_alu instid0(VALU_DEP_1) | instskip(NEXT) | instid1(VALU_DEP_1)
	v_cndmask_b32_e64 v9, 1.0, 0x4f800000, s23
	v_mul_f32_e64 v9, |v12|, v9
	s_delay_alu instid0(VALU_DEP_1) | instskip(SKIP_3) | instid1(VALU_DEP_2)
	v_log_f32_e32 v9, v9
	s_waitcnt_depctr 0xfff
	v_mul_f32_e32 v10, 0x3f317217, v9
	v_cmp_gt_f32_e64 vcc_lo, 0x7f800000, |v9|
	v_fma_f32 v11, 0x3f317217, v9, -v10
	s_delay_alu instid0(VALU_DEP_1) | instskip(NEXT) | instid1(VALU_DEP_1)
	v_fmac_f32_e32 v11, 0x3377d1cf, v9
	v_add_f32_e32 v10, v10, v11
	s_delay_alu instid0(VALU_DEP_1) | instskip(SKIP_1) | instid1(VALU_DEP_1)
	v_cndmask_b32_e32 v9, v9, v10, vcc_lo
	v_cndmask_b32_e64 v10, 0, 0x41b17218, s23
	v_sub_f32_e32 v9, v9, v10
	s_delay_alu instid0(VALU_DEP_1) | instskip(NEXT) | instid1(VALU_DEP_1)
	v_sub_f32_e32 v9, 0x3f317218, v9
	v_mul_f32_e32 v9, 0.5, v9
.LBB75_294:                             ;   in Loop: Header=BB75_233 Depth=1
	s_or_b32 exec_lo, exec_lo, s22
                                        ; implicit-def: $vgpr11
	s_and_saveexec_b32 s22, s1
	s_delay_alu instid0(SALU_CYCLE_1)
	s_xor_b32 s22, exec_lo, s22
	s_cbranch_execz .LBB75_300
; %bb.295:                              ;   in Loop: Header=BB75_233 Depth=1
	v_sub_f32_e64 v10, 1.0, |v13|
	v_add_f32_e64 v11, |v13|, 1.0
	v_add_f32_e64 v8, |v12|, |v12|
	s_delay_alu instid0(VALU_DEP_2) | instskip(SKIP_1) | instid1(SALU_CYCLE_1)
	v_mul_f32_e32 v10, v10, v11
                                        ; implicit-def: $vgpr11
	s_and_saveexec_b32 s1, s0
	s_xor_b32 s1, exec_lo, s1
	s_cbranch_execz .LBB75_297
; %bb.296:                              ;   in Loop: Header=BB75_233 Depth=1
	s_delay_alu instid0(VALU_DEP_1) | instskip(SKIP_3) | instid1(VALU_DEP_4)
	v_fma_f32 v10, -v12, v12, v10
	v_max_f32_e64 v11, |v8|, |v8|
	v_cmp_eq_f32_e64 s0, 0, v8
	v_cmp_class_f32_e64 s23, v8, 0x204
	v_cmp_gt_f32_e64 vcc_lo, |v8|, |v10|
	s_delay_alu instid0(VALU_DEP_4) | instskip(SKIP_2) | instid1(VALU_DEP_3)
	v_max_f32_e64 v21, |v10|, v11
	v_min_f32_e64 v11, |v10|, v11
	v_cmp_class_f32_e64 s24, v10, 0x204
	v_frexp_mant_f32_e32 v22, v21
	v_frexp_exp_i32_f32_e32 v21, v21
	s_delay_alu instid0(VALU_DEP_4) | instskip(SKIP_1) | instid1(VALU_DEP_4)
	v_frexp_exp_i32_f32_e32 v23, v11
	v_frexp_mant_f32_e32 v11, v11
	v_rcp_f32_e32 v22, v22
	s_delay_alu instid0(VALU_DEP_2) | instskip(SKIP_2) | instid1(VALU_DEP_1)
	v_sub_nc_u32_e32 v21, v23, v21
	s_waitcnt_depctr 0xfff
	v_mul_f32_e32 v11, v11, v22
	v_ldexp_f32 v11, v11, v21
	s_delay_alu instid0(VALU_DEP_1) | instskip(NEXT) | instid1(VALU_DEP_1)
	v_mul_f32_e32 v21, v11, v11
	v_fmaak_f32 v22, s16, v21, 0xbc7a590c
	s_delay_alu instid0(VALU_DEP_1) | instskip(NEXT) | instid1(VALU_DEP_1)
	v_fmaak_f32 v22, v21, v22, 0x3d29fb3f
	v_fmaak_f32 v22, v21, v22, 0xbd97d4d7
	s_delay_alu instid0(VALU_DEP_1) | instskip(NEXT) | instid1(VALU_DEP_1)
	v_fmaak_f32 v22, v21, v22, 0x3dd931b2
	;; [unrolled: 3-line block ×3, first 2 shown]
	v_fmaak_f32 v22, v21, v22, 0xbeaaaa62
	s_delay_alu instid0(VALU_DEP_1) | instskip(NEXT) | instid1(VALU_DEP_1)
	v_mul_f32_e32 v21, v21, v22
	v_fmac_f32_e32 v11, v11, v21
	s_delay_alu instid0(VALU_DEP_1) | instskip(NEXT) | instid1(VALU_DEP_1)
	v_sub_f32_e32 v21, 0x3fc90fdb, v11
	v_cndmask_b32_e32 v11, v11, v21, vcc_lo
	v_cmp_gt_i32_e32 vcc_lo, 0, v10
	s_delay_alu instid0(VALU_DEP_2) | instskip(SKIP_2) | instid1(VALU_DEP_3)
	v_sub_f32_e32 v21, 0x40490fdb, v11
	v_cndmask_b32_e64 v22, 0, 0x40490fdb, vcc_lo
	v_cmp_gt_f32_e32 vcc_lo, 0, v10
	v_cndmask_b32_e32 v11, v11, v21, vcc_lo
	v_cndmask_b32_e32 v21, 0x3f490fdb, v20, vcc_lo
	s_and_b32 vcc_lo, s23, s24
	s_delay_alu instid0(VALU_DEP_2) | instskip(NEXT) | instid1(VALU_DEP_1)
	v_cndmask_b32_e64 v11, v11, v22, s0
	v_cndmask_b32_e32 v11, v11, v21, vcc_lo
	v_cmp_o_f32_e32 vcc_lo, v10, v8
	s_delay_alu instid0(VALU_DEP_2) | instskip(NEXT) | instid1(VALU_DEP_1)
	v_cndmask_b32_e32 v10, 0x7fc00000, v11, vcc_lo
	v_bfi_b32 v11, 0x7fffffff, v10, v8
                                        ; implicit-def: $vgpr8
                                        ; implicit-def: $vgpr10
.LBB75_297:                             ;   in Loop: Header=BB75_233 Depth=1
	s_and_not1_saveexec_b32 s23, s1
	s_cbranch_execz .LBB75_299
; %bb.298:                              ;   in Loop: Header=BB75_233 Depth=1
	v_max_f32_e32 v11, v8, v8
	v_max_f32_e64 v21, |v10|, |v10|
	v_cmp_gt_f32_e64 vcc_lo, v8, |v10|
	v_cmp_eq_f32_e64 s1, 0, v8
	v_cmp_class_f32_e64 s24, v10, 0x204
	v_cmp_eq_f32_e64 s0, 0x7f800000, v8
	v_max_f32_e32 v22, v21, v11
	v_min_f32_e32 v11, v21, v11
	s_delay_alu instid0(VALU_DEP_2) | instskip(NEXT) | instid1(VALU_DEP_1)
	v_frexp_mant_f32_e32 v23, v22
	v_rcp_f32_e32 v21, v23
	s_delay_alu instid0(VALU_DEP_2) | instskip(SKIP_4) | instid1(VALU_DEP_1)
	v_frexp_exp_i32_f32_e32 v23, v11
	v_frexp_mant_f32_e32 v11, v11
	s_waitcnt_depctr 0xfff
	v_mul_f32_e32 v11, v11, v21
	v_frexp_exp_i32_f32_e32 v22, v22
	v_sub_nc_u32_e32 v22, v23, v22
	s_delay_alu instid0(VALU_DEP_1) | instskip(NEXT) | instid1(VALU_DEP_1)
	v_ldexp_f32 v11, v11, v22
	v_mul_f32_e32 v21, v11, v11
	s_delay_alu instid0(VALU_DEP_1) | instskip(NEXT) | instid1(VALU_DEP_1)
	v_fmaak_f32 v22, s16, v21, 0xbc7a590c
	v_fmaak_f32 v22, v21, v22, 0x3d29fb3f
	s_delay_alu instid0(VALU_DEP_1) | instskip(NEXT) | instid1(VALU_DEP_1)
	v_fmaak_f32 v22, v21, v22, 0xbd97d4d7
	v_fmaak_f32 v22, v21, v22, 0x3dd931b2
	;; [unrolled: 3-line block ×3, first 2 shown]
	s_delay_alu instid0(VALU_DEP_1) | instskip(NEXT) | instid1(VALU_DEP_1)
	v_fmaak_f32 v22, v21, v22, 0xbeaaaa62
	v_mul_f32_e32 v21, v21, v22
	s_delay_alu instid0(VALU_DEP_1) | instskip(NEXT) | instid1(VALU_DEP_1)
	v_fmac_f32_e32 v11, v11, v21
	v_sub_f32_e32 v21, 0x3fc90fdb, v11
	s_delay_alu instid0(VALU_DEP_1) | instskip(SKIP_1) | instid1(VALU_DEP_2)
	v_cndmask_b32_e32 v11, v11, v21, vcc_lo
	v_cmp_gt_i32_e32 vcc_lo, 0, v10
	v_sub_f32_e32 v21, 0x40490fdb, v11
	v_cndmask_b32_e64 v22, 0, 0x40490fdb, vcc_lo
	v_cmp_gt_f32_e32 vcc_lo, 0, v10
	s_delay_alu instid0(VALU_DEP_3) | instskip(NEXT) | instid1(VALU_DEP_1)
	v_cndmask_b32_e32 v11, v11, v21, vcc_lo
	v_cndmask_b32_e64 v8, v11, v22, s1
	v_cndmask_b32_e32 v11, 0x3f490fdb, v20, vcc_lo
	s_and_b32 vcc_lo, s0, s24
	s_delay_alu instid0(VALU_DEP_1) | instskip(SKIP_1) | instid1(VALU_DEP_2)
	v_cndmask_b32_e32 v8, v8, v11, vcc_lo
	v_cmp_o_f32_e32 vcc_lo, v10, v10
	v_cndmask_b32_e64 v11, 0x7fc00000, |v8|, vcc_lo
.LBB75_299:                             ;   in Loop: Header=BB75_233 Depth=1
	s_or_b32 exec_lo, exec_lo, s23
                                        ; implicit-def: $vgpr8
	s_and_not1_saveexec_b32 s0, s22
	s_cbranch_execnz .LBB75_301
	s_branch .LBB75_302
.LBB75_300:                             ;   in Loop: Header=BB75_233 Depth=1
	s_and_not1_saveexec_b32 s0, s22
	s_cbranch_execz .LBB75_302
.LBB75_301:                             ;   in Loop: Header=BB75_233 Depth=1
	v_max_f32_e32 v10, 2.0, v8
	v_min_f32_e32 v8, 2.0, v8
	v_cmp_lt_f32_e64 vcc_lo, |v12|, 2.0
	s_delay_alu instid0(VALU_DEP_3) | instskip(NEXT) | instid1(VALU_DEP_3)
	v_frexp_mant_f32_e32 v11, v10
	v_frexp_mant_f32_e32 v21, v8
	v_frexp_exp_i32_f32_e32 v8, v8
	s_delay_alu instid0(VALU_DEP_3) | instskip(SKIP_3) | instid1(VALU_DEP_1)
	v_rcp_f32_e32 v11, v11
	s_waitcnt_depctr 0xfff
	v_mul_f32_e32 v11, v21, v11
	v_frexp_exp_i32_f32_e32 v10, v10
	v_sub_nc_u32_e32 v8, v8, v10
	s_delay_alu instid0(VALU_DEP_1) | instskip(NEXT) | instid1(VALU_DEP_1)
	v_ldexp_f32 v8, v11, v8
	v_mul_f32_e32 v10, v8, v8
	s_delay_alu instid0(VALU_DEP_1) | instskip(NEXT) | instid1(VALU_DEP_1)
	v_fmaak_f32 v11, s16, v10, 0xbc7a590c
	v_fmaak_f32 v11, v10, v11, 0x3d29fb3f
	s_delay_alu instid0(VALU_DEP_1) | instskip(NEXT) | instid1(VALU_DEP_1)
	v_fmaak_f32 v11, v10, v11, 0xbd97d4d7
	v_fmaak_f32 v11, v10, v11, 0x3dd931b2
	;; [unrolled: 3-line block ×3, first 2 shown]
	s_delay_alu instid0(VALU_DEP_1) | instskip(NEXT) | instid1(VALU_DEP_1)
	v_fmaak_f32 v11, v10, v11, 0xbeaaaa62
	v_mul_f32_e32 v10, v10, v11
	s_delay_alu instid0(VALU_DEP_1) | instskip(NEXT) | instid1(VALU_DEP_1)
	v_fmac_f32_e32 v8, v8, v10
	v_sub_f32_e32 v10, 0x3fc90fdb, v8
	s_delay_alu instid0(VALU_DEP_1) | instskip(SKIP_1) | instid1(VALU_DEP_2)
	v_cndmask_b32_e32 v8, v8, v10, vcc_lo
	v_cmp_lg_f32_e32 vcc_lo, 0, v12
	v_sub_f32_e32 v10, 0x40490fdb, v8
	s_delay_alu instid0(VALU_DEP_1) | instskip(NEXT) | instid1(VALU_DEP_1)
	v_cndmask_b32_e32 v8, v8, v10, vcc_lo
	v_and_b32_e32 v11, 0x7fffffff, v8
.LBB75_302:                             ;   in Loop: Header=BB75_233 Depth=1
	s_or_b32 exec_lo, exec_lo, s0
	s_delay_alu instid0(VALU_DEP_1) | instskip(SKIP_1) | instid1(VALU_DEP_2)
	v_mul_f32_e32 v8, 0.5, v11
	v_bfi_b32 v9, 0x7fffffff, v9, v13
	v_bfi_b32 v8, 0x7fffffff, v8, v12
                                        ; implicit-def: $vgpr12
.LBB75_303:                             ;   in Loop: Header=BB75_233 Depth=1
	s_and_not1_saveexec_b32 s0, s21
	s_cbranch_execz .LBB75_305
; %bb.304:                              ;   in Loop: Header=BB75_233 Depth=1
	v_dual_mov_b32 v9, s7 :: v_dual_mov_b32 v8, s6
	flat_store_b32 v[8:9], v19 dlc
	s_waitcnt_vscnt null, 0x0
	flat_load_b32 v8, v[8:9] glc dlc
	s_waitcnt vmcnt(0) lgkmcnt(0)
	v_add_f32_e32 v10, 1.0, v8
	v_dual_mov_b32 v8, s12 :: v_dual_mov_b32 v9, s13
	flat_store_b32 v[8:9], v10 dlc
	s_waitcnt_vscnt null, 0x0
	flat_load_b32 v8, v[8:9] glc dlc
	s_waitcnt vmcnt(0) lgkmcnt(0)
	v_dual_mov_b32 v9, v13 :: v_dual_mov_b32 v8, v12
.LBB75_305:                             ;   in Loop: Header=BB75_233 Depth=1
	s_or_b32 exec_lo, exec_lo, s0
                                        ; implicit-def: $vgpr10_vgpr11_vgpr12_vgpr13
.LBB75_306:                             ;   in Loop: Header=BB75_233 Depth=1
	s_and_not1_saveexec_b32 s0, s20
	s_cbranch_execz .LBB75_320
; %bb.307:                              ;   in Loop: Header=BB75_233 Depth=1
	v_and_b32_e32 v8, 0x7f800000, v13
	v_and_b32_e32 v9, 0x7f800000, v12
	v_cmp_neq_f32_e64 s1, 0x7f800000, |v13|
	s_delay_alu instid0(VALU_DEP_2) | instskip(NEXT) | instid1(VALU_DEP_1)
	v_sub_nc_u32_e32 v10, v8, v9
	v_cmp_gt_i32_e32 vcc_lo, 0x6800000, v10
	s_delay_alu instid0(VALU_DEP_3) | instskip(NEXT) | instid1(SALU_CYCLE_1)
	s_and_b32 s1, s1, vcc_lo
	s_and_saveexec_b32 s20, s1
	s_delay_alu instid0(SALU_CYCLE_1)
	s_xor_b32 s1, exec_lo, s20
	s_cbranch_execz .LBB75_317
; %bb.308:                              ;   in Loop: Header=BB75_233 Depth=1
	v_sub_nc_u32_e32 v9, v9, v8
	s_mov_b32 s20, exec_lo
	s_delay_alu instid0(VALU_DEP_1)
	v_cmpx_gt_i32_e32 0x6800000, v9
	s_xor_b32 s20, exec_lo, s20
	s_cbranch_execz .LBB75_314
; %bb.309:                              ;   in Loop: Header=BB75_233 Depth=1
	s_mov_b32 s21, exec_lo
	v_cmpx_lt_u32_e32 0x59000000, v8
	s_xor_b32 s21, exec_lo, s21
	s_cbranch_execz .LBB75_311
; %bb.310:                              ;   in Loop: Header=BB75_233 Depth=1
	v_sub_nc_u32_e32 v8, 0x7f800000, v8
	s_delay_alu instid0(VALU_DEP_1) | instskip(SKIP_1) | instid1(VALU_DEP_2)
	v_mul_f32_e32 v9, v12, v8
	v_mul_f32_e32 v10, v13, v8
	;; [unrolled: 1-line block ×3, first 2 shown]
	s_delay_alu instid0(VALU_DEP_1) | instskip(NEXT) | instid1(VALU_DEP_1)
	v_fmac_f32_e32 v9, v10, v10
	v_div_scale_f32 v11, null, v9, v9, v10
	s_delay_alu instid0(VALU_DEP_1) | instskip(SKIP_2) | instid1(VALU_DEP_1)
	v_rcp_f32_e32 v21, v11
	s_waitcnt_depctr 0xfff
	v_fma_f32 v22, -v11, v21, 1.0
	v_fmac_f32_e32 v21, v22, v21
	v_div_scale_f32 v22, vcc_lo, v10, v9, v10
	s_delay_alu instid0(VALU_DEP_1) | instskip(NEXT) | instid1(VALU_DEP_1)
	v_mul_f32_e32 v23, v22, v21
	v_fma_f32 v24, -v11, v23, v22
	s_delay_alu instid0(VALU_DEP_1) | instskip(NEXT) | instid1(VALU_DEP_1)
	v_fmac_f32_e32 v23, v24, v21
	v_fma_f32 v11, -v11, v23, v22
	s_delay_alu instid0(VALU_DEP_1) | instskip(NEXT) | instid1(VALU_DEP_1)
	v_div_fmas_f32 v11, v11, v21, v23
	v_div_fixup_f32 v9, v11, v9, v10
	s_delay_alu instid0(VALU_DEP_1)
	v_mul_f32_e32 v9, v9, v8
.LBB75_311:                             ;   in Loop: Header=BB75_233 Depth=1
	s_and_not1_saveexec_b32 s21, s21
	s_cbranch_execz .LBB75_313
; %bb.312:                              ;   in Loop: Header=BB75_233 Depth=1
	v_mul_f32_e32 v8, v13, v13
	s_delay_alu instid0(VALU_DEP_1) | instskip(NEXT) | instid1(VALU_DEP_1)
	v_fmac_f32_e32 v8, v12, v12
	v_div_scale_f32 v9, null, v8, v8, v13
	s_delay_alu instid0(VALU_DEP_1) | instskip(SKIP_2) | instid1(VALU_DEP_1)
	v_rcp_f32_e32 v10, v9
	s_waitcnt_depctr 0xfff
	v_fma_f32 v11, -v9, v10, 1.0
	v_fmac_f32_e32 v10, v11, v10
	v_div_scale_f32 v11, vcc_lo, v13, v8, v13
	s_delay_alu instid0(VALU_DEP_1) | instskip(NEXT) | instid1(VALU_DEP_1)
	v_mul_f32_e32 v21, v11, v10
	v_fma_f32 v22, -v9, v21, v11
	s_delay_alu instid0(VALU_DEP_1) | instskip(NEXT) | instid1(VALU_DEP_1)
	v_fmac_f32_e32 v21, v22, v10
	v_fma_f32 v9, -v9, v21, v11
	s_delay_alu instid0(VALU_DEP_1) | instskip(NEXT) | instid1(VALU_DEP_1)
	v_div_fmas_f32 v9, v9, v10, v21
	v_div_fixup_f32 v9, v9, v8, v13
.LBB75_313:                             ;   in Loop: Header=BB75_233 Depth=1
	s_or_b32 exec_lo, exec_lo, s21
.LBB75_314:                             ;   in Loop: Header=BB75_233 Depth=1
	s_and_not1_saveexec_b32 s20, s20
	s_cbranch_execz .LBB75_316
; %bb.315:                              ;   in Loop: Header=BB75_233 Depth=1
	v_div_scale_f32 v8, null, v12, v12, v13
	v_div_scale_f32 v11, vcc_lo, v13, v12, v13
	s_delay_alu instid0(VALU_DEP_2) | instskip(SKIP_2) | instid1(VALU_DEP_1)
	v_rcp_f32_e32 v9, v8
	s_waitcnt_depctr 0xfff
	v_fma_f32 v10, -v8, v9, 1.0
	v_fmac_f32_e32 v9, v10, v9
	s_delay_alu instid0(VALU_DEP_1) | instskip(NEXT) | instid1(VALU_DEP_1)
	v_mul_f32_e32 v10, v11, v9
	v_fma_f32 v21, -v8, v10, v11
	s_delay_alu instid0(VALU_DEP_1) | instskip(NEXT) | instid1(VALU_DEP_1)
	v_fmac_f32_e32 v10, v21, v9
	v_fma_f32 v8, -v8, v10, v11
	s_delay_alu instid0(VALU_DEP_1) | instskip(NEXT) | instid1(VALU_DEP_1)
	v_div_fmas_f32 v8, v8, v9, v10
	v_div_fixup_f32 v8, v8, v12, v13
	s_delay_alu instid0(VALU_DEP_1) | instskip(NEXT) | instid1(VALU_DEP_1)
	v_div_scale_f32 v9, null, v12, v12, v8
	v_rcp_f32_e32 v10, v9
	s_waitcnt_depctr 0xfff
	v_fma_f32 v11, -v9, v10, 1.0
	s_delay_alu instid0(VALU_DEP_1) | instskip(SKIP_1) | instid1(VALU_DEP_1)
	v_fmac_f32_e32 v10, v11, v10
	v_div_scale_f32 v11, vcc_lo, v8, v12, v8
	v_mul_f32_e32 v21, v11, v10
	s_delay_alu instid0(VALU_DEP_1) | instskip(NEXT) | instid1(VALU_DEP_1)
	v_fma_f32 v22, -v9, v21, v11
	v_fmac_f32_e32 v21, v22, v10
	s_delay_alu instid0(VALU_DEP_1) | instskip(NEXT) | instid1(VALU_DEP_1)
	v_fma_f32 v9, -v9, v21, v11
	v_div_fmas_f32 v9, v9, v10, v21
	s_delay_alu instid0(VALU_DEP_1)
	v_div_fixup_f32 v9, v9, v12, v8
.LBB75_316:                             ;   in Loop: Header=BB75_233 Depth=1
	s_or_b32 exec_lo, exec_lo, s20
.LBB75_317:                             ;   in Loop: Header=BB75_233 Depth=1
	s_and_not1_saveexec_b32 s1, s1
; %bb.318:                              ;   in Loop: Header=BB75_233 Depth=1
	v_div_scale_f32 v8, null, v13, v13, 1.0
	s_delay_alu instid0(VALU_DEP_1) | instskip(SKIP_2) | instid1(VALU_DEP_1)
	v_rcp_f32_e32 v9, v8
	s_waitcnt_depctr 0xfff
	v_fma_f32 v10, -v8, v9, 1.0
	v_fmac_f32_e32 v9, v10, v9
	v_div_scale_f32 v10, vcc_lo, 1.0, v13, 1.0
	s_delay_alu instid0(VALU_DEP_1) | instskip(NEXT) | instid1(VALU_DEP_1)
	v_mul_f32_e32 v11, v10, v9
	v_fma_f32 v21, -v8, v11, v10
	s_delay_alu instid0(VALU_DEP_1) | instskip(NEXT) | instid1(VALU_DEP_1)
	v_fmac_f32_e32 v11, v21, v9
	v_fma_f32 v8, -v8, v11, v10
	s_delay_alu instid0(VALU_DEP_1) | instskip(NEXT) | instid1(VALU_DEP_1)
	v_div_fmas_f32 v8, v8, v9, v11
	v_div_fixup_f32 v9, v8, v13, 1.0
; %bb.319:                              ;   in Loop: Header=BB75_233 Depth=1
	s_or_b32 exec_lo, exec_lo, s1
	v_dual_mov_b32 v11, s5 :: v_dual_mov_b32 v10, s4
	flat_load_b32 v8, v[10:11] glc dlc
	s_waitcnt vmcnt(0) lgkmcnt(0)
	v_add_f32_e32 v8, 0x3fc90fdb, v8
	s_delay_alu instid0(VALU_DEP_1)
	v_bfi_b32 v8, 0x7fffffff, v8, v12
.LBB75_320:                             ;   in Loop: Header=BB75_233 Depth=1
	s_or_b32 exec_lo, exec_lo, s0
                                        ; implicit-def: $vgpr10_vgpr11_vgpr12_vgpr13
.LBB75_321:                             ;   in Loop: Header=BB75_233 Depth=1
	s_and_not1_saveexec_b32 s0, s19
	s_cbranch_execz .LBB75_331
; %bb.322:                              ;   in Loop: Header=BB75_233 Depth=1
	v_cmp_neq_f32_e64 s1, 0x7f800000, |v13|
	s_delay_alu instid0(VALU_DEP_1) | instskip(NEXT) | instid1(SALU_CYCLE_1)
	s_and_saveexec_b32 s19, s1
	s_xor_b32 s1, exec_lo, s19
	s_cbranch_execz .LBB75_328
; %bb.323:                              ;   in Loop: Header=BB75_233 Depth=1
	v_cmp_neq_f32_e64 s19, 0x7f800000, |v12|
	s_delay_alu instid0(VALU_DEP_1) | instskip(NEXT) | instid1(SALU_CYCLE_1)
	s_and_saveexec_b32 s20, s19
	s_xor_b32 s19, exec_lo, s20
; %bb.324:                              ;   in Loop: Header=BB75_233 Depth=1
	v_add_f32_e32 v8, 0, v12
	s_delay_alu instid0(VALU_DEP_1)
	v_add_f32_e32 v8, v8, v13
                                        ; implicit-def: $vgpr10_vgpr11_vgpr12_vgpr13
; %bb.325:                              ;   in Loop: Header=BB75_233 Depth=1
	s_or_saveexec_b32 s19, s19
	s_delay_alu instid0(VALU_DEP_1)
	v_mov_b32_e32 v9, v8
	s_xor_b32 exec_lo, exec_lo, s19
	s_cbranch_execz .LBB75_327
; %bb.326:                              ;   in Loop: Header=BB75_233 Depth=1
	v_dual_mov_b32 v9, s5 :: v_dual_mov_b32 v8, s4
	flat_load_b32 v8, v[8:9] glc dlc
	s_waitcnt vmcnt(0)
	v_bfi_b32 v9, 0x7fffffff, 0, v13
	s_waitcnt lgkmcnt(0)
	v_add_f32_e32 v8, 0x3fc90fdb, v8
	s_delay_alu instid0(VALU_DEP_1)
	v_bfi_b32 v8, 0x7fffffff, v8, v12
.LBB75_327:                             ;   in Loop: Header=BB75_233 Depth=1
	s_or_b32 exec_lo, exec_lo, s19
                                        ; implicit-def: $vgpr10_vgpr11_vgpr12_vgpr13
.LBB75_328:                             ;   in Loop: Header=BB75_233 Depth=1
	s_and_not1_saveexec_b32 s1, s1
; %bb.329:                              ;   in Loop: Header=BB75_233 Depth=1
	v_bfi_b32 v9, 0x7fffffff, 0, v13
	v_add_f32_e32 v8, v12, v12
; %bb.330:                              ;   in Loop: Header=BB75_233 Depth=1
	s_or_b32 exec_lo, exec_lo, s1
.LBB75_331:                             ;   in Loop: Header=BB75_233 Depth=1
	s_delay_alu instid0(SALU_CYCLE_1)
	s_or_b32 exec_lo, exec_lo, s0
                                        ; implicit-def: $vgpr10_vgpr11_vgpr12_vgpr13
.LBB75_332:                             ;   in Loop: Header=BB75_233 Depth=1
	s_and_not1_saveexec_b32 s0, s18
	s_cbranch_execz .LBB75_334
; %bb.333:                              ;   in Loop: Header=BB75_233 Depth=1
	v_rcp_f32_e64 v8, |v12|
	v_cmp_gt_f32_e64 vcc_lo, |v12|, 1.0
	s_waitcnt_depctr 0xfff
	v_cndmask_b32_e64 v8, |v12|, v8, vcc_lo
	s_delay_alu instid0(VALU_DEP_1) | instskip(NEXT) | instid1(VALU_DEP_1)
	v_mul_f32_e32 v9, v8, v8
	v_fmaak_f32 v10, s16, v9, 0xbc7a590c
	s_delay_alu instid0(VALU_DEP_1) | instskip(NEXT) | instid1(VALU_DEP_1)
	v_fmaak_f32 v10, v9, v10, 0x3d29fb3f
	v_fmaak_f32 v10, v9, v10, 0xbd97d4d7
	s_delay_alu instid0(VALU_DEP_1) | instskip(NEXT) | instid1(VALU_DEP_1)
	v_fmaak_f32 v10, v9, v10, 0x3dd931b2
	;; [unrolled: 3-line block ×3, first 2 shown]
	v_fmaak_f32 v10, v9, v10, 0xbeaaaa62
	s_delay_alu instid0(VALU_DEP_1) | instskip(NEXT) | instid1(VALU_DEP_1)
	v_mul_f32_e32 v9, v9, v10
	v_fmac_f32_e32 v8, v8, v9
	s_delay_alu instid0(VALU_DEP_1) | instskip(NEXT) | instid1(VALU_DEP_1)
	v_sub_f32_e32 v9, 0x3fc90fdb, v8
	v_dual_cndmask_b32 v8, v8, v9 :: v_dual_mov_b32 v9, v13
	s_delay_alu instid0(VALU_DEP_1)
	v_bfi_b32 v8, 0x7fffffff, v8, v12
.LBB75_334:                             ;   in Loop: Header=BB75_233 Depth=1
	s_or_b32 exec_lo, exec_lo, s0
                                        ; implicit-def: $vgpr10_vgpr11_vgpr12_vgpr13
.LBB75_335:                             ;   in Loop: Header=BB75_233 Depth=1
	s_and_not1_saveexec_b32 s0, s17
	s_cbranch_execz .LBB75_337
; %bb.336:                              ;   in Loop: Header=BB75_233 Depth=1
	v_sub_f32_e64 v8, 1.0, |v13|
	v_add_f32_e64 v10, |v13|, 1.0
	v_cmp_gt_f32_e64 s1, 0x39800000, |v13|
	s_delay_alu instid0(VALU_DEP_3) | instskip(SKIP_2) | instid1(VALU_DEP_1)
	v_rcp_f32_e32 v9, v8
	s_waitcnt_depctr 0xfff
	v_mul_f32_e32 v11, v10, v9
	v_dual_sub_f32 v21, 1.0, v8 :: v_dual_mul_f32 v22, v8, v11
	s_delay_alu instid0(VALU_DEP_1) | instskip(NEXT) | instid1(VALU_DEP_2)
	v_sub_f32_e64 v21, v21, |v13|
	v_fma_f32 v8, v11, v8, -v22
	s_delay_alu instid0(VALU_DEP_1) | instskip(NEXT) | instid1(VALU_DEP_1)
	v_fmac_f32_e32 v8, v11, v21
	v_add_f32_e32 v21, v22, v8
	s_delay_alu instid0(VALU_DEP_1) | instskip(NEXT) | instid1(VALU_DEP_1)
	v_sub_f32_e32 v23, v10, v21
	v_sub_f32_e32 v24, v10, v23
	v_add_f32_e32 v10, -1.0, v10
	s_delay_alu instid0(VALU_DEP_2) | instskip(NEXT) | instid1(VALU_DEP_2)
	v_dual_sub_f32 v22, v21, v22 :: v_dual_sub_f32 v21, v24, v21
	v_sub_f32_e64 v10, |v13|, v10
	s_delay_alu instid0(VALU_DEP_2) | instskip(NEXT) | instid1(VALU_DEP_1)
	v_sub_f32_e32 v8, v22, v8
	v_add_f32_e32 v8, v8, v21
	s_delay_alu instid0(VALU_DEP_1) | instskip(NEXT) | instid1(VALU_DEP_1)
	v_add_f32_e32 v8, v10, v8
	v_add_f32_e32 v8, v23, v8
	s_delay_alu instid0(VALU_DEP_1) | instskip(NEXT) | instid1(VALU_DEP_1)
	v_mul_f32_e32 v10, v9, v8
	v_add_f32_e32 v21, v11, v10
	s_delay_alu instid0(VALU_DEP_1) | instskip(SKIP_1) | instid1(VALU_DEP_1)
	v_cvt_f64_f32_e32 v[8:9], v21
	v_sub_f32_e32 v11, v21, v11
	v_sub_f32_e32 v10, v10, v11
	s_delay_alu instid0(VALU_DEP_3) | instskip(SKIP_1) | instid1(VALU_DEP_1)
	v_frexp_exp_i32_f64_e32 v8, v[8:9]
	v_frexp_mant_f32_e32 v9, v21
	v_cmp_gt_f32_e32 vcc_lo, 0x3f2aaaab, v9
	s_delay_alu instid0(VALU_DEP_3) | instskip(SKIP_1) | instid1(VALU_DEP_2)
	v_subrev_co_ci_u32_e32 v8, vcc_lo, 0, v8, vcc_lo
	v_cmp_ngt_f32_e64 vcc_lo, |v13|, 1.0
	v_sub_nc_u32_e32 v9, 0, v8
	v_cvt_f32_i32_e32 v8, v8
	s_delay_alu instid0(VALU_DEP_2) | instskip(SKIP_1) | instid1(VALU_DEP_2)
	v_ldexp_f32 v22, v21, v9
	v_ldexp_f32 v9, v10, v9
	v_add_f32_e32 v21, 1.0, v22
	s_delay_alu instid0(VALU_DEP_1) | instskip(NEXT) | instid1(VALU_DEP_1)
	v_add_f32_e32 v11, -1.0, v21
	v_dual_sub_f32 v11, v22, v11 :: v_dual_add_f32 v10, -1.0, v22
	s_delay_alu instid0(VALU_DEP_1) | instskip(NEXT) | instid1(VALU_DEP_2)
	v_add_f32_e32 v11, v9, v11
	v_add_f32_e32 v23, 1.0, v10
	s_delay_alu instid0(VALU_DEP_1) | instskip(NEXT) | instid1(VALU_DEP_3)
	v_sub_f32_e32 v22, v22, v23
	v_add_f32_e32 v23, v21, v11
	s_delay_alu instid0(VALU_DEP_1) | instskip(NEXT) | instid1(VALU_DEP_3)
	v_sub_f32_e32 v21, v23, v21
	v_add_f32_e32 v9, v9, v22
	s_delay_alu instid0(VALU_DEP_1) | instskip(NEXT) | instid1(VALU_DEP_1)
	v_add_f32_e32 v24, v10, v9
	v_dual_sub_f32 v11, v11, v21 :: v_dual_sub_f32 v10, v24, v10
	v_rcp_f32_e32 v22, v23
	s_waitcnt_depctr 0xfff
	v_mul_f32_e32 v25, v24, v22
	s_delay_alu instid0(VALU_DEP_1) | instskip(NEXT) | instid1(VALU_DEP_1)
	v_mul_f32_e32 v26, v23, v25
	v_fma_f32 v21, v25, v23, -v26
	s_delay_alu instid0(VALU_DEP_1) | instskip(NEXT) | instid1(VALU_DEP_1)
	v_fmac_f32_e32 v21, v25, v11
	v_add_f32_e32 v27, v26, v21
	s_delay_alu instid0(VALU_DEP_1) | instskip(NEXT) | instid1(VALU_DEP_1)
	v_sub_f32_e32 v28, v24, v27
	v_dual_sub_f32 v24, v24, v28 :: v_dual_sub_f32 v9, v9, v10
	s_delay_alu instid0(VALU_DEP_1) | instskip(NEXT) | instid1(VALU_DEP_1)
	v_sub_f32_e32 v24, v24, v27
	v_dual_sub_f32 v10, v27, v26 :: v_dual_add_f32 v9, v9, v24
	s_delay_alu instid0(VALU_DEP_1) | instskip(NEXT) | instid1(VALU_DEP_1)
	v_sub_f32_e32 v10, v10, v21
	v_add_f32_e32 v9, v10, v9
	s_delay_alu instid0(VALU_DEP_1) | instskip(NEXT) | instid1(VALU_DEP_1)
	v_add_f32_e32 v10, v28, v9
	v_mul_f32_e32 v21, v22, v10
	s_delay_alu instid0(VALU_DEP_1) | instskip(NEXT) | instid1(VALU_DEP_1)
	v_mul_f32_e32 v24, v23, v21
	v_fma_f32 v23, v21, v23, -v24
	s_delay_alu instid0(VALU_DEP_1) | instskip(SKIP_1) | instid1(VALU_DEP_2)
	v_fmac_f32_e32 v23, v21, v11
	v_sub_f32_e32 v27, v28, v10
	v_add_f32_e32 v11, v24, v23
	s_delay_alu instid0(VALU_DEP_1) | instskip(NEXT) | instid1(VALU_DEP_1)
	v_sub_f32_e32 v26, v10, v11
	v_sub_f32_e32 v10, v10, v26
	s_delay_alu instid0(VALU_DEP_4) | instskip(NEXT) | instid1(VALU_DEP_2)
	v_dual_sub_f32 v24, v11, v24 :: v_dual_add_f32 v9, v9, v27
	v_sub_f32_e32 v10, v10, v11
	s_delay_alu instid0(VALU_DEP_2) | instskip(NEXT) | instid1(VALU_DEP_2)
	v_sub_f32_e32 v11, v24, v23
	v_add_f32_e32 v9, v9, v10
	v_add_f32_e32 v10, v25, v21
	s_delay_alu instid0(VALU_DEP_2) | instskip(NEXT) | instid1(VALU_DEP_2)
	v_add_f32_e32 v9, v11, v9
	v_sub_f32_e32 v11, v10, v25
	s_delay_alu instid0(VALU_DEP_2) | instskip(NEXT) | instid1(VALU_DEP_2)
	v_add_f32_e32 v9, v26, v9
	v_sub_f32_e32 v11, v21, v11
	s_delay_alu instid0(VALU_DEP_2) | instskip(NEXT) | instid1(VALU_DEP_1)
	v_mul_f32_e32 v9, v22, v9
	v_add_f32_e32 v9, v11, v9
	s_delay_alu instid0(VALU_DEP_1) | instskip(NEXT) | instid1(VALU_DEP_1)
	v_add_f32_e32 v11, v10, v9
	v_mul_f32_e32 v21, v11, v11
	v_sub_f32_e32 v10, v11, v10
	s_delay_alu instid0(VALU_DEP_2) | instskip(SKIP_1) | instid1(VALU_DEP_3)
	v_fmaak_f32 v22, s15, v21, 0x3ecc95a3
	v_mul_f32_e32 v23, v11, v21
	v_sub_f32_e32 v9, v9, v10
	s_delay_alu instid0(VALU_DEP_3) | instskip(SKIP_1) | instid1(VALU_DEP_3)
	v_fmaak_f32 v21, v21, v22, 0x3f2aaada
	v_ldexp_f32 v22, v11, 1
	v_ldexp_f32 v9, v9, 1
	s_delay_alu instid0(VALU_DEP_3) | instskip(SKIP_1) | instid1(VALU_DEP_2)
	v_mul_f32_e32 v21, v23, v21
	v_mul_f32_e32 v23, 0x3f317218, v8
	v_add_f32_e32 v11, v22, v21
	s_delay_alu instid0(VALU_DEP_1) | instskip(NEXT) | instid1(VALU_DEP_3)
	v_sub_f32_e32 v10, v11, v22
	v_fma_f32 v22, 0x3f317218, v8, -v23
	s_delay_alu instid0(VALU_DEP_2) | instskip(NEXT) | instid1(VALU_DEP_2)
	v_sub_f32_e32 v10, v21, v10
	v_fmac_f32_e32 v22, 0xb102e308, v8
	s_delay_alu instid0(VALU_DEP_2) | instskip(NEXT) | instid1(VALU_DEP_2)
	v_add_f32_e32 v8, v9, v10
	v_add_f32_e32 v9, v23, v22
	s_delay_alu instid0(VALU_DEP_2) | instskip(NEXT) | instid1(VALU_DEP_1)
	v_add_f32_e32 v10, v11, v8
	v_add_f32_e32 v21, v9, v10
	s_delay_alu instid0(VALU_DEP_1) | instskip(SKIP_1) | instid1(VALU_DEP_2)
	v_dual_sub_f32 v11, v10, v11 :: v_dual_sub_f32 v24, v21, v9
	v_sub_f32_e32 v23, v9, v23
	v_dual_sub_f32 v8, v8, v11 :: v_dual_sub_f32 v25, v21, v24
	s_delay_alu instid0(VALU_DEP_2) | instskip(NEXT) | instid1(VALU_DEP_2)
	v_sub_f32_e32 v22, v22, v23
	v_dual_sub_f32 v10, v10, v24 :: v_dual_sub_f32 v9, v9, v25
	s_delay_alu instid0(VALU_DEP_2) | instskip(NEXT) | instid1(VALU_DEP_1)
	v_add_f32_e32 v11, v22, v8
	v_dual_add_f32 v9, v10, v9 :: v_dual_sub_f32 v10, v11, v22
	s_delay_alu instid0(VALU_DEP_1) | instskip(NEXT) | instid1(VALU_DEP_2)
	v_add_f32_e32 v9, v11, v9
	v_sub_f32_e32 v11, v11, v10
	s_delay_alu instid0(VALU_DEP_2) | instskip(NEXT) | instid1(VALU_DEP_1)
	v_dual_sub_f32 v8, v8, v10 :: v_dual_add_f32 v23, v21, v9
	v_dual_sub_f32 v10, v22, v11 :: v_dual_sub_f32 v11, v23, v21
	s_delay_alu instid0(VALU_DEP_1) | instskip(NEXT) | instid1(VALU_DEP_1)
	v_dual_add_f32 v8, v8, v10 :: v_dual_sub_f32 v9, v9, v11
	v_add_f32_e32 v8, v8, v9
	s_delay_alu instid0(VALU_DEP_1) | instskip(NEXT) | instid1(VALU_DEP_1)
	v_add_f32_e32 v8, v23, v8
	v_mul_f32_e32 v8, 0.5, v8
	s_delay_alu instid0(VALU_DEP_1) | instskip(NEXT) | instid1(VALU_DEP_1)
	v_cndmask_b32_e64 v8, v8, |v13|, s1
	v_cndmask_b32_e32 v8, 0x7fc00000, v8, vcc_lo
	v_cmp_neq_f32_e64 vcc_lo, |v13|, 1.0
	s_delay_alu instid0(VALU_DEP_2) | instskip(NEXT) | instid1(VALU_DEP_1)
	v_cndmask_b32_e32 v8, 0x7f800000, v8, vcc_lo
	v_bfi_b32 v9, 0x7fffffff, v8, v13
	v_mov_b32_e32 v8, v12
.LBB75_337:                             ;   in Loop: Header=BB75_233 Depth=1
	s_or_b32 exec_lo, exec_lo, s0
	s_waitcnt vmcnt(0)
	v_cmp_neq_f32_e32 vcc_lo, 0, v2
	v_cmp_nle_f32_e64 s0, |v3|, 1.0
	v_dual_mov_b32 v11, s5 :: v_dual_mov_b32 v10, s4
	s_delay_alu instid0(VALU_DEP_2) | instskip(SKIP_3) | instid1(SALU_CYCLE_1)
	s_or_b32 s0, vcc_lo, s0
	flat_store_b32 v[10:11], v18 dlc
	s_waitcnt_vscnt null, 0x0
                                        ; implicit-def: $vgpr10
	s_and_saveexec_b32 s1, s0
	s_xor_b32 s17, exec_lo, s1
	s_cbranch_execz .LBB75_387
; %bb.338:                              ;   in Loop: Header=BB75_233 Depth=1
                                        ; implicit-def: $vgpr10
	s_mov_b32 s0, exec_lo
	v_cmpx_neq_f32_e32 0, v3
	s_xor_b32 s18, exec_lo, s0
	s_cbranch_execz .LBB75_384
; %bb.339:                              ;   in Loop: Header=BB75_233 Depth=1
	v_cmp_o_f32_e32 vcc_lo, v3, v3
	v_cmp_o_f32_e64 s0, v2, v2
                                        ; implicit-def: $vgpr10
	s_delay_alu instid0(VALU_DEP_1) | instskip(NEXT) | instid1(SALU_CYCLE_1)
	s_and_b32 s0, vcc_lo, s0
	s_and_saveexec_b32 s1, s0
	s_delay_alu instid0(SALU_CYCLE_1)
	s_xor_b32 s19, exec_lo, s1
	s_cbranch_execz .LBB75_373
; %bb.340:                              ;   in Loop: Header=BB75_233 Depth=1
	v_max_f32_e64 v10, |v3|, |v3|
	v_max_f32_e64 v11, |v2|, |v2|
	s_delay_alu instid0(VALU_DEP_1) | instskip(NEXT) | instid1(VALU_DEP_1)
	v_max_f32_e32 v10, v11, v10
	v_cmp_nlt_f32_e32 vcc_lo, 0x4b000000, v10
                                        ; implicit-def: $vgpr10
	s_and_saveexec_b32 s0, vcc_lo
	s_delay_alu instid0(SALU_CYCLE_1)
	s_xor_b32 s20, exec_lo, s0
	s_cbranch_execz .LBB75_358
; %bb.341:                              ;   in Loop: Header=BB75_233 Depth=1
	v_cmp_ngt_f32_e64 s0, 0x399cc471, |v3|
	v_cmp_ngt_f32_e64 s1, 0x399cc471, |v2|
                                        ; implicit-def: $vgpr10
	s_delay_alu instid0(VALU_DEP_1) | instskip(NEXT) | instid1(SALU_CYCLE_1)
	s_or_b32 s0, s1, s0
	s_and_saveexec_b32 s1, s0
	s_delay_alu instid0(SALU_CYCLE_1)
	s_xor_b32 s21, exec_lo, s1
	s_cbranch_execz .LBB75_355
; %bb.342:                              ;   in Loop: Header=BB75_233 Depth=1
	v_cmp_neq_f32_e64 s1, |v3|, 1.0
	v_cmp_ngt_f32_e64 s0, 0x34000000, |v2|
                                        ; implicit-def: $vgpr10
	s_delay_alu instid0(VALU_DEP_1) | instskip(NEXT) | instid1(SALU_CYCLE_1)
	s_or_b32 s22, s0, s1
	s_and_saveexec_b32 s23, s22
	s_delay_alu instid0(SALU_CYCLE_1)
	s_xor_b32 s22, exec_lo, s23
	s_cbranch_execz .LBB75_344
; %bb.343:                              ;   in Loop: Header=BB75_233 Depth=1
	v_add_f32_e64 v10, |v3|, -1.0
	v_cmp_gt_f32_e64 vcc_lo, 0x20000000, |v2|
	v_mul_f32_e64 v13, |v3|, 4.0
	s_delay_alu instid0(VALU_DEP_3) | instskip(NEXT) | instid1(VALU_DEP_1)
	v_mul_f32_e32 v10, v10, v10
	v_fma_f32 v12, v2, v2, v10
	s_delay_alu instid0(VALU_DEP_1) | instskip(NEXT) | instid1(VALU_DEP_1)
	v_cndmask_b32_e32 v10, v12, v10, vcc_lo
	v_div_scale_f32 v12, null, v10, v10, v13
	s_delay_alu instid0(VALU_DEP_1) | instskip(SKIP_2) | instid1(VALU_DEP_1)
	v_rcp_f32_e32 v21, v12
	s_waitcnt_depctr 0xfff
	v_fma_f32 v22, -v12, v21, 1.0
	v_fmac_f32_e32 v21, v22, v21
	v_div_scale_f32 v23, vcc_lo, v13, v10, v13
	s_delay_alu instid0(VALU_DEP_1) | instskip(NEXT) | instid1(VALU_DEP_1)
	v_mul_f32_e32 v22, v23, v21
	v_fma_f32 v24, -v12, v22, v23
	s_delay_alu instid0(VALU_DEP_1) | instskip(NEXT) | instid1(VALU_DEP_1)
	v_fmac_f32_e32 v22, v24, v21
	v_fma_f32 v12, -v12, v22, v23
	s_delay_alu instid0(VALU_DEP_1) | instskip(NEXT) | instid1(VALU_DEP_1)
	v_div_fmas_f32 v12, v12, v21, v22
	v_div_fixup_f32 v10, v12, v10, v13
	s_delay_alu instid0(VALU_DEP_1) | instskip(NEXT) | instid1(VALU_DEP_1)
	v_add_f32_e32 v21, 1.0, v10
	v_cvt_f64_f32_e32 v[12:13], v21
	s_delay_alu instid0(VALU_DEP_1) | instskip(SKIP_1) | instid1(VALU_DEP_1)
	v_frexp_exp_i32_f64_e32 v12, v[12:13]
	v_frexp_mant_f32_e32 v13, v21
	v_cmp_gt_f32_e32 vcc_lo, 0x3f2aaaab, v13
	v_add_f32_e32 v13, -1.0, v21
	s_delay_alu instid0(VALU_DEP_1) | instskip(NEXT) | instid1(VALU_DEP_1)
	v_sub_f32_e32 v23, v13, v21
	v_add_f32_e32 v23, 1.0, v23
	v_subrev_co_ci_u32_e32 v12, vcc_lo, 0, v12, vcc_lo
	v_cmp_eq_f32_e32 vcc_lo, 0x7f800000, v10
	s_delay_alu instid0(VALU_DEP_2) | instskip(SKIP_1) | instid1(VALU_DEP_2)
	v_sub_nc_u32_e32 v22, 0, v12
	v_cvt_f32_i32_e32 v12, v12
	v_ldexp_f32 v21, v21, v22
	s_delay_alu instid0(VALU_DEP_1) | instskip(SKIP_1) | instid1(VALU_DEP_1)
	v_add_f32_e32 v24, 1.0, v21
	v_sub_f32_e32 v13, v10, v13
	v_add_f32_e32 v13, v13, v23
	s_delay_alu instid0(VALU_DEP_3) | instskip(NEXT) | instid1(VALU_DEP_2)
	v_add_f32_e32 v23, -1.0, v24
	v_ldexp_f32 v13, v13, v22
	s_delay_alu instid0(VALU_DEP_2) | instskip(NEXT) | instid1(VALU_DEP_1)
	v_dual_add_f32 v22, -1.0, v21 :: v_dual_sub_f32 v23, v21, v23
	v_add_f32_e32 v25, 1.0, v22
	s_delay_alu instid0(VALU_DEP_2) | instskip(NEXT) | instid1(VALU_DEP_2)
	v_add_f32_e32 v23, v13, v23
	v_sub_f32_e32 v21, v21, v25
	s_delay_alu instid0(VALU_DEP_2) | instskip(NEXT) | instid1(VALU_DEP_2)
	v_add_f32_e32 v25, v24, v23
	v_add_f32_e32 v13, v13, v21
	s_delay_alu instid0(VALU_DEP_2) | instskip(SKIP_1) | instid1(VALU_DEP_1)
	v_rcp_f32_e32 v21, v25
	v_sub_f32_e32 v24, v25, v24
	v_dual_add_f32 v26, v22, v13 :: v_dual_sub_f32 v23, v23, v24
	s_delay_alu instid0(VALU_DEP_1) | instskip(SKIP_2) | instid1(VALU_DEP_1)
	v_sub_f32_e32 v22, v26, v22
	s_waitcnt_depctr 0xfff
	v_mul_f32_e32 v27, v26, v21
	v_mul_f32_e32 v28, v25, v27
	s_delay_alu instid0(VALU_DEP_1) | instskip(NEXT) | instid1(VALU_DEP_1)
	v_fma_f32 v24, v27, v25, -v28
	v_fmac_f32_e32 v24, v27, v23
	s_delay_alu instid0(VALU_DEP_1) | instskip(NEXT) | instid1(VALU_DEP_1)
	v_add_f32_e32 v29, v28, v24
	v_sub_f32_e32 v30, v26, v29
	s_delay_alu instid0(VALU_DEP_1) | instskip(SKIP_2) | instid1(VALU_DEP_3)
	v_sub_f32_e32 v26, v26, v30
	v_sub_f32_e32 v13, v13, v22
	;; [unrolled: 1-line block ×4, first 2 shown]
	s_delay_alu instid0(VALU_DEP_1) | instskip(NEXT) | instid1(VALU_DEP_1)
	v_dual_sub_f32 v22, v22, v24 :: v_dual_add_f32 v13, v13, v26
	v_add_f32_e32 v13, v22, v13
	s_delay_alu instid0(VALU_DEP_1) | instskip(NEXT) | instid1(VALU_DEP_1)
	v_add_f32_e32 v22, v30, v13
	v_mul_f32_e32 v24, v21, v22
	s_delay_alu instid0(VALU_DEP_1) | instskip(NEXT) | instid1(VALU_DEP_1)
	v_dual_sub_f32 v29, v30, v22 :: v_dual_mul_f32 v26, v25, v24
	v_fma_f32 v25, v24, v25, -v26
	s_delay_alu instid0(VALU_DEP_1) | instskip(NEXT) | instid1(VALU_DEP_1)
	v_fmac_f32_e32 v25, v24, v23
	v_add_f32_e32 v23, v26, v25
	s_delay_alu instid0(VALU_DEP_1) | instskip(NEXT) | instid1(VALU_DEP_1)
	v_dual_add_f32 v13, v13, v29 :: v_dual_sub_f32 v28, v22, v23
	v_sub_f32_e32 v22, v22, v28
	s_delay_alu instid0(VALU_DEP_1) | instskip(NEXT) | instid1(VALU_DEP_1)
	v_sub_f32_e32 v22, v22, v23
	v_dual_add_f32 v13, v13, v22 :: v_dual_add_f32 v22, v27, v24
	v_sub_f32_e32 v26, v23, v26
	s_delay_alu instid0(VALU_DEP_1) | instskip(NEXT) | instid1(VALU_DEP_1)
	v_sub_f32_e32 v23, v26, v25
	v_add_f32_e32 v13, v23, v13
	s_delay_alu instid0(VALU_DEP_4) | instskip(NEXT) | instid1(VALU_DEP_2)
	v_sub_f32_e32 v23, v22, v27
	v_add_f32_e32 v13, v28, v13
	s_delay_alu instid0(VALU_DEP_2) | instskip(NEXT) | instid1(VALU_DEP_2)
	v_sub_f32_e32 v23, v24, v23
	v_mul_f32_e32 v13, v21, v13
	s_delay_alu instid0(VALU_DEP_1) | instskip(NEXT) | instid1(VALU_DEP_1)
	v_add_f32_e32 v13, v23, v13
	v_add_f32_e32 v21, v22, v13
	s_delay_alu instid0(VALU_DEP_1) | instskip(NEXT) | instid1(VALU_DEP_1)
	v_mul_f32_e32 v23, v21, v21
	v_fmaak_f32 v24, s15, v23, 0x3ecc95a3
	v_mul_f32_e32 v25, v21, v23
	s_delay_alu instid0(VALU_DEP_2) | instskip(SKIP_2) | instid1(VALU_DEP_3)
	v_fmaak_f32 v23, v23, v24, 0x3f2aaada
	v_ldexp_f32 v24, v21, 1
	v_sub_f32_e32 v21, v21, v22
	v_mul_f32_e32 v23, v25, v23
	v_mul_f32_e32 v25, 0x3f317218, v12
	s_delay_alu instid0(VALU_DEP_2) | instskip(NEXT) | instid1(VALU_DEP_1)
	v_dual_sub_f32 v13, v13, v21 :: v_dual_add_f32 v22, v24, v23
	v_ldexp_f32 v13, v13, 1
	s_delay_alu instid0(VALU_DEP_2) | instskip(NEXT) | instid1(VALU_DEP_4)
	v_sub_f32_e32 v21, v22, v24
	v_fma_f32 v24, 0x3f317218, v12, -v25
	s_delay_alu instid0(VALU_DEP_1) | instskip(NEXT) | instid1(VALU_DEP_1)
	v_dual_sub_f32 v21, v23, v21 :: v_dual_fmac_f32 v24, 0xb102e308, v12
	v_add_f32_e32 v12, v13, v21
	s_delay_alu instid0(VALU_DEP_2) | instskip(NEXT) | instid1(VALU_DEP_2)
	v_add_f32_e32 v13, v25, v24
	v_add_f32_e32 v21, v22, v12
	s_delay_alu instid0(VALU_DEP_2) | instskip(NEXT) | instid1(VALU_DEP_2)
	v_sub_f32_e32 v25, v13, v25
	v_add_f32_e32 v23, v13, v21
	v_sub_f32_e32 v22, v21, v22
	s_delay_alu instid0(VALU_DEP_3) | instskip(NEXT) | instid1(VALU_DEP_3)
	v_sub_f32_e32 v24, v24, v25
	v_sub_f32_e32 v26, v23, v13
	s_delay_alu instid0(VALU_DEP_3) | instskip(NEXT) | instid1(VALU_DEP_2)
	v_sub_f32_e32 v12, v12, v22
	v_sub_f32_e32 v27, v23, v26
	s_delay_alu instid0(VALU_DEP_2) | instskip(NEXT) | instid1(VALU_DEP_2)
	v_dual_sub_f32 v21, v21, v26 :: v_dual_add_f32 v22, v24, v12
	v_sub_f32_e32 v13, v13, v27
	s_delay_alu instid0(VALU_DEP_1) | instskip(NEXT) | instid1(VALU_DEP_3)
	v_add_f32_e32 v13, v21, v13
	v_sub_f32_e32 v21, v22, v24
	s_delay_alu instid0(VALU_DEP_2) | instskip(NEXT) | instid1(VALU_DEP_2)
	v_add_f32_e32 v13, v22, v13
	v_sub_f32_e32 v22, v22, v21
	v_sub_f32_e32 v12, v12, v21
	s_delay_alu instid0(VALU_DEP_2) | instskip(NEXT) | instid1(VALU_DEP_1)
	v_dual_add_f32 v25, v23, v13 :: v_dual_sub_f32 v22, v24, v22
	v_dual_sub_f32 v21, v25, v23 :: v_dual_add_f32 v12, v12, v22
	s_delay_alu instid0(VALU_DEP_1) | instskip(NEXT) | instid1(VALU_DEP_1)
	v_sub_f32_e32 v13, v13, v21
	v_add_f32_e32 v12, v12, v13
	s_delay_alu instid0(VALU_DEP_1) | instskip(NEXT) | instid1(VALU_DEP_1)
	v_add_f32_e32 v12, v25, v12
	v_cndmask_b32_e32 v12, v12, v10, vcc_lo
	v_cmp_ngt_f32_e32 vcc_lo, -1.0, v10
	s_delay_alu instid0(VALU_DEP_2) | instskip(SKIP_1) | instid1(VALU_DEP_2)
	v_cndmask_b32_e32 v12, 0x7fc00000, v12, vcc_lo
	v_cmp_neq_f32_e32 vcc_lo, -1.0, v10
	v_cndmask_b32_e32 v12, 0xff800000, v12, vcc_lo
	v_cmp_gt_f32_e64 vcc_lo, 0x33800000, |v10|
	s_delay_alu instid0(VALU_DEP_2) | instskip(NEXT) | instid1(VALU_DEP_1)
	v_cndmask_b32_e32 v10, v12, v10, vcc_lo
	v_mul_f32_e32 v10, 0x3e800000, v10
	s_and_not1_saveexec_b32 s22, s22
	s_cbranch_execz .LBB75_346
	s_branch .LBB75_345
.LBB75_344:                             ;   in Loop: Header=BB75_233 Depth=1
	s_and_not1_saveexec_b32 s22, s22
	s_cbranch_execz .LBB75_346
.LBB75_345:                             ;   in Loop: Header=BB75_233 Depth=1
	v_cmp_gt_f32_e64 s23, 0x800000, |v2|
	s_delay_alu instid0(VALU_DEP_1) | instskip(NEXT) | instid1(VALU_DEP_1)
	v_cndmask_b32_e64 v10, 1.0, 0x4f800000, s23
	v_mul_f32_e64 v10, |v2|, v10
	s_delay_alu instid0(VALU_DEP_1) | instskip(SKIP_3) | instid1(VALU_DEP_2)
	v_log_f32_e32 v10, v10
	s_waitcnt_depctr 0xfff
	v_mul_f32_e32 v12, 0x3f317217, v10
	v_cmp_gt_f32_e64 vcc_lo, 0x7f800000, |v10|
	v_fma_f32 v13, 0x3f317217, v10, -v12
	s_delay_alu instid0(VALU_DEP_1) | instskip(NEXT) | instid1(VALU_DEP_1)
	v_fmac_f32_e32 v13, 0x3377d1cf, v10
	v_add_f32_e32 v12, v12, v13
	s_delay_alu instid0(VALU_DEP_1) | instskip(SKIP_1) | instid1(VALU_DEP_1)
	v_cndmask_b32_e32 v10, v10, v12, vcc_lo
	v_cndmask_b32_e64 v12, 0, 0x41b17218, s23
	v_sub_f32_e32 v10, v10, v12
	s_delay_alu instid0(VALU_DEP_1) | instskip(NEXT) | instid1(VALU_DEP_1)
	v_sub_f32_e32 v10, 0x3f317218, v10
	v_mul_f32_e32 v10, 0.5, v10
.LBB75_346:                             ;   in Loop: Header=BB75_233 Depth=1
	s_or_b32 exec_lo, exec_lo, s22
                                        ; implicit-def: $vgpr13
	s_and_saveexec_b32 s22, s1
	s_delay_alu instid0(SALU_CYCLE_1)
	s_xor_b32 s22, exec_lo, s22
	s_cbranch_execz .LBB75_352
; %bb.347:                              ;   in Loop: Header=BB75_233 Depth=1
	v_sub_f32_e64 v12, 1.0, |v3|
	v_add_f32_e64 v13, |v3|, 1.0
	v_add_f32_e64 v11, |v2|, |v2|
	s_delay_alu instid0(VALU_DEP_2) | instskip(SKIP_1) | instid1(SALU_CYCLE_1)
	v_mul_f32_e32 v12, v12, v13
                                        ; implicit-def: $vgpr13
	s_and_saveexec_b32 s1, s0
	s_xor_b32 s1, exec_lo, s1
	s_cbranch_execz .LBB75_349
; %bb.348:                              ;   in Loop: Header=BB75_233 Depth=1
	s_delay_alu instid0(VALU_DEP_1) | instskip(SKIP_3) | instid1(VALU_DEP_4)
	v_fma_f32 v12, -v2, v2, v12
	v_max_f32_e64 v13, |v11|, |v11|
	v_cmp_eq_f32_e64 s0, 0, v11
	v_cmp_class_f32_e64 s23, v11, 0x204
	v_cmp_gt_f32_e64 vcc_lo, |v11|, |v12|
	s_delay_alu instid0(VALU_DEP_4) | instskip(SKIP_2) | instid1(VALU_DEP_3)
	v_max_f32_e64 v21, |v12|, v13
	v_min_f32_e64 v13, |v12|, v13
	v_cmp_class_f32_e64 s24, v12, 0x204
	v_frexp_mant_f32_e32 v22, v21
	v_frexp_exp_i32_f32_e32 v21, v21
	s_delay_alu instid0(VALU_DEP_4) | instskip(SKIP_1) | instid1(VALU_DEP_4)
	v_frexp_exp_i32_f32_e32 v23, v13
	v_frexp_mant_f32_e32 v13, v13
	v_rcp_f32_e32 v22, v22
	s_delay_alu instid0(VALU_DEP_2) | instskip(SKIP_2) | instid1(VALU_DEP_1)
	v_sub_nc_u32_e32 v21, v23, v21
	s_waitcnt_depctr 0xfff
	v_mul_f32_e32 v13, v13, v22
	v_ldexp_f32 v13, v13, v21
	s_delay_alu instid0(VALU_DEP_1) | instskip(NEXT) | instid1(VALU_DEP_1)
	v_mul_f32_e32 v21, v13, v13
	v_fmaak_f32 v22, s16, v21, 0xbc7a590c
	s_delay_alu instid0(VALU_DEP_1) | instskip(NEXT) | instid1(VALU_DEP_1)
	v_fmaak_f32 v22, v21, v22, 0x3d29fb3f
	v_fmaak_f32 v22, v21, v22, 0xbd97d4d7
	s_delay_alu instid0(VALU_DEP_1) | instskip(NEXT) | instid1(VALU_DEP_1)
	v_fmaak_f32 v22, v21, v22, 0x3dd931b2
	;; [unrolled: 3-line block ×3, first 2 shown]
	v_fmaak_f32 v22, v21, v22, 0xbeaaaa62
	s_delay_alu instid0(VALU_DEP_1) | instskip(NEXT) | instid1(VALU_DEP_1)
	v_mul_f32_e32 v21, v21, v22
	v_fmac_f32_e32 v13, v13, v21
	s_delay_alu instid0(VALU_DEP_1) | instskip(NEXT) | instid1(VALU_DEP_1)
	v_sub_f32_e32 v21, 0x3fc90fdb, v13
	v_cndmask_b32_e32 v13, v13, v21, vcc_lo
	v_cmp_gt_i32_e32 vcc_lo, 0, v12
	s_delay_alu instid0(VALU_DEP_2) | instskip(SKIP_2) | instid1(VALU_DEP_3)
	v_sub_f32_e32 v21, 0x40490fdb, v13
	v_cndmask_b32_e64 v22, 0, 0x40490fdb, vcc_lo
	v_cmp_gt_f32_e32 vcc_lo, 0, v12
	v_cndmask_b32_e32 v13, v13, v21, vcc_lo
	v_cndmask_b32_e32 v21, 0x3f490fdb, v20, vcc_lo
	s_and_b32 vcc_lo, s23, s24
	s_delay_alu instid0(VALU_DEP_2) | instskip(NEXT) | instid1(VALU_DEP_1)
	v_cndmask_b32_e64 v13, v13, v22, s0
	v_cndmask_b32_e32 v13, v13, v21, vcc_lo
	v_cmp_o_f32_e32 vcc_lo, v12, v11
	s_delay_alu instid0(VALU_DEP_2) | instskip(NEXT) | instid1(VALU_DEP_1)
	v_cndmask_b32_e32 v12, 0x7fc00000, v13, vcc_lo
	v_bfi_b32 v13, 0x7fffffff, v12, v11
                                        ; implicit-def: $vgpr11
                                        ; implicit-def: $vgpr12
.LBB75_349:                             ;   in Loop: Header=BB75_233 Depth=1
	s_and_not1_saveexec_b32 s23, s1
	s_cbranch_execz .LBB75_351
; %bb.350:                              ;   in Loop: Header=BB75_233 Depth=1
	v_max_f32_e32 v13, v11, v11
	v_max_f32_e64 v21, |v12|, |v12|
	v_cmp_gt_f32_e64 vcc_lo, v11, |v12|
	v_cmp_eq_f32_e64 s1, 0, v11
	v_cmp_class_f32_e64 s24, v12, 0x204
	v_cmp_eq_f32_e64 s0, 0x7f800000, v11
	v_max_f32_e32 v22, v21, v13
	v_min_f32_e32 v13, v21, v13
	s_delay_alu instid0(VALU_DEP_2) | instskip(SKIP_1) | instid1(VALU_DEP_2)
	v_frexp_mant_f32_e32 v23, v22
	v_frexp_exp_i32_f32_e32 v22, v22
	v_rcp_f32_e32 v21, v23
	s_delay_alu instid0(VALU_DEP_3) | instskip(SKIP_1) | instid1(VALU_DEP_2)
	v_frexp_exp_i32_f32_e32 v23, v13
	v_frexp_mant_f32_e32 v13, v13
	v_sub_nc_u32_e32 v22, v23, v22
	s_waitcnt_depctr 0xfff
	v_mul_f32_e32 v13, v13, v21
	s_delay_alu instid0(VALU_DEP_1) | instskip(NEXT) | instid1(VALU_DEP_1)
	v_ldexp_f32 v13, v13, v22
	v_mul_f32_e32 v21, v13, v13
	s_delay_alu instid0(VALU_DEP_1) | instskip(NEXT) | instid1(VALU_DEP_1)
	v_fmaak_f32 v22, s16, v21, 0xbc7a590c
	v_fmaak_f32 v22, v21, v22, 0x3d29fb3f
	s_delay_alu instid0(VALU_DEP_1) | instskip(NEXT) | instid1(VALU_DEP_1)
	v_fmaak_f32 v22, v21, v22, 0xbd97d4d7
	v_fmaak_f32 v22, v21, v22, 0x3dd931b2
	;; [unrolled: 3-line block ×3, first 2 shown]
	s_delay_alu instid0(VALU_DEP_1) | instskip(NEXT) | instid1(VALU_DEP_1)
	v_fmaak_f32 v22, v21, v22, 0xbeaaaa62
	v_mul_f32_e32 v21, v21, v22
	s_delay_alu instid0(VALU_DEP_1) | instskip(NEXT) | instid1(VALU_DEP_1)
	v_fmac_f32_e32 v13, v13, v21
	v_sub_f32_e32 v21, 0x3fc90fdb, v13
	s_delay_alu instid0(VALU_DEP_1) | instskip(SKIP_1) | instid1(VALU_DEP_2)
	v_cndmask_b32_e32 v13, v13, v21, vcc_lo
	v_cmp_gt_i32_e32 vcc_lo, 0, v12
	v_sub_f32_e32 v21, 0x40490fdb, v13
	v_cndmask_b32_e64 v22, 0, 0x40490fdb, vcc_lo
	v_cmp_gt_f32_e32 vcc_lo, 0, v12
	s_delay_alu instid0(VALU_DEP_3) | instskip(NEXT) | instid1(VALU_DEP_1)
	v_cndmask_b32_e32 v13, v13, v21, vcc_lo
	v_cndmask_b32_e64 v11, v13, v22, s1
	v_cndmask_b32_e32 v13, 0x3f490fdb, v20, vcc_lo
	s_and_b32 vcc_lo, s0, s24
	s_delay_alu instid0(VALU_DEP_1) | instskip(SKIP_1) | instid1(VALU_DEP_2)
	v_cndmask_b32_e32 v11, v11, v13, vcc_lo
	v_cmp_o_f32_e32 vcc_lo, v12, v12
	v_cndmask_b32_e64 v13, 0x7fc00000, |v11|, vcc_lo
.LBB75_351:                             ;   in Loop: Header=BB75_233 Depth=1
	s_or_b32 exec_lo, exec_lo, s23
                                        ; implicit-def: $vgpr11
	s_and_not1_saveexec_b32 s0, s22
	s_cbranch_execnz .LBB75_353
	s_branch .LBB75_354
.LBB75_352:                             ;   in Loop: Header=BB75_233 Depth=1
	s_and_not1_saveexec_b32 s0, s22
	s_cbranch_execz .LBB75_354
.LBB75_353:                             ;   in Loop: Header=BB75_233 Depth=1
	v_max_f32_e32 v12, 2.0, v11
	v_min_f32_e32 v11, 2.0, v11
	v_cmp_lt_f32_e64 vcc_lo, |v2|, 2.0
	s_delay_alu instid0(VALU_DEP_3) | instskip(NEXT) | instid1(VALU_DEP_3)
	v_frexp_mant_f32_e32 v13, v12
	v_frexp_mant_f32_e32 v21, v11
	v_frexp_exp_i32_f32_e32 v11, v11
	s_delay_alu instid0(VALU_DEP_3) | instskip(SKIP_3) | instid1(VALU_DEP_1)
	v_rcp_f32_e32 v13, v13
	s_waitcnt_depctr 0xfff
	v_mul_f32_e32 v13, v21, v13
	v_frexp_exp_i32_f32_e32 v12, v12
	v_sub_nc_u32_e32 v11, v11, v12
	s_delay_alu instid0(VALU_DEP_1) | instskip(NEXT) | instid1(VALU_DEP_1)
	v_ldexp_f32 v11, v13, v11
	v_mul_f32_e32 v12, v11, v11
	s_delay_alu instid0(VALU_DEP_1) | instskip(NEXT) | instid1(VALU_DEP_1)
	v_fmaak_f32 v13, s16, v12, 0xbc7a590c
	v_fmaak_f32 v13, v12, v13, 0x3d29fb3f
	s_delay_alu instid0(VALU_DEP_1) | instskip(NEXT) | instid1(VALU_DEP_1)
	v_fmaak_f32 v13, v12, v13, 0xbd97d4d7
	v_fmaak_f32 v13, v12, v13, 0x3dd931b2
	;; [unrolled: 3-line block ×3, first 2 shown]
	s_delay_alu instid0(VALU_DEP_1) | instskip(NEXT) | instid1(VALU_DEP_1)
	v_fmaak_f32 v13, v12, v13, 0xbeaaaa62
	v_mul_f32_e32 v12, v12, v13
	s_delay_alu instid0(VALU_DEP_1) | instskip(NEXT) | instid1(VALU_DEP_1)
	v_fmac_f32_e32 v11, v11, v12
	v_sub_f32_e32 v12, 0x3fc90fdb, v11
	s_delay_alu instid0(VALU_DEP_1) | instskip(SKIP_1) | instid1(VALU_DEP_2)
	v_cndmask_b32_e32 v11, v11, v12, vcc_lo
	v_cmp_lg_f32_e32 vcc_lo, 0, v2
	v_sub_f32_e32 v12, 0x40490fdb, v11
	s_delay_alu instid0(VALU_DEP_1) | instskip(NEXT) | instid1(VALU_DEP_1)
	v_cndmask_b32_e32 v11, v11, v12, vcc_lo
	v_and_b32_e32 v13, 0x7fffffff, v11
.LBB75_354:                             ;   in Loop: Header=BB75_233 Depth=1
	s_or_b32 exec_lo, exec_lo, s0
	s_delay_alu instid0(VALU_DEP_1) | instskip(SKIP_1) | instid1(VALU_DEP_2)
	v_mul_f32_e32 v12, 0.5, v13
	v_bfi_b32 v11, 0x7fffffff, v10, v3
	v_bfi_b32 v10, 0x7fffffff, v12, v2
.LBB75_355:                             ;   in Loop: Header=BB75_233 Depth=1
	s_and_not1_saveexec_b32 s0, s21
	s_cbranch_execz .LBB75_357
; %bb.356:                              ;   in Loop: Header=BB75_233 Depth=1
	v_dual_mov_b32 v11, s7 :: v_dual_mov_b32 v10, s6
	flat_store_b32 v[10:11], v19 dlc
	s_waitcnt_vscnt null, 0x0
	flat_load_b32 v10, v[10:11] glc dlc
	s_waitcnt vmcnt(0) lgkmcnt(0)
	v_add_f32_e32 v12, 1.0, v10
	v_dual_mov_b32 v10, s12 :: v_dual_mov_b32 v11, s13
	flat_store_b32 v[10:11], v12 dlc
	s_waitcnt_vscnt null, 0x0
	flat_load_b32 v10, v[10:11] glc dlc
	s_waitcnt vmcnt(0) lgkmcnt(0)
	v_dual_mov_b32 v11, v3 :: v_dual_mov_b32 v10, v2
.LBB75_357:                             ;   in Loop: Header=BB75_233 Depth=1
	s_or_b32 exec_lo, exec_lo, s0
.LBB75_358:                             ;   in Loop: Header=BB75_233 Depth=1
	s_and_not1_saveexec_b32 s0, s20
	s_cbranch_execz .LBB75_372
; %bb.359:                              ;   in Loop: Header=BB75_233 Depth=1
	v_and_b32_e32 v10, 0x7f800000, v3
	v_and_b32_e32 v12, 0x7f800000, v2
	v_cmp_neq_f32_e64 s1, 0x7f800000, |v3|
	s_delay_alu instid0(VALU_DEP_2) | instskip(NEXT) | instid1(VALU_DEP_1)
	v_sub_nc_u32_e32 v11, v10, v12
	v_cmp_gt_i32_e32 vcc_lo, 0x6800000, v11
                                        ; implicit-def: $vgpr11
	s_delay_alu instid0(VALU_DEP_3) | instskip(NEXT) | instid1(SALU_CYCLE_1)
	s_and_b32 s1, s1, vcc_lo
	s_and_saveexec_b32 s20, s1
	s_delay_alu instid0(SALU_CYCLE_1)
	s_xor_b32 s1, exec_lo, s20
	s_cbranch_execz .LBB75_369
; %bb.360:                              ;   in Loop: Header=BB75_233 Depth=1
	v_sub_nc_u32_e32 v11, v12, v10
	s_delay_alu instid0(VALU_DEP_1) | instskip(SKIP_1) | instid1(SALU_CYCLE_1)
	v_cmp_gt_i32_e32 vcc_lo, 0x6800000, v11
                                        ; implicit-def: $vgpr11
	s_and_saveexec_b32 s20, vcc_lo
	s_xor_b32 s20, exec_lo, s20
	s_cbranch_execz .LBB75_366
; %bb.361:                              ;   in Loop: Header=BB75_233 Depth=1
	s_mov_b32 s21, exec_lo
                                        ; implicit-def: $vgpr11
	v_cmpx_lt_u32_e32 0x59000000, v10
	s_xor_b32 s21, exec_lo, s21
	s_cbranch_execz .LBB75_363
; %bb.362:                              ;   in Loop: Header=BB75_233 Depth=1
	v_sub_nc_u32_e32 v10, 0x7f800000, v10
	s_delay_alu instid0(VALU_DEP_1) | instskip(SKIP_1) | instid1(VALU_DEP_2)
	v_mul_f32_e32 v11, v2, v10
	v_mul_f32_e32 v12, v3, v10
	v_mul_f32_e32 v11, v11, v11
	s_delay_alu instid0(VALU_DEP_1) | instskip(NEXT) | instid1(VALU_DEP_1)
	v_fmac_f32_e32 v11, v12, v12
	v_div_scale_f32 v13, null, v11, v11, v12
	s_delay_alu instid0(VALU_DEP_1) | instskip(SKIP_2) | instid1(VALU_DEP_1)
	v_rcp_f32_e32 v21, v13
	s_waitcnt_depctr 0xfff
	v_fma_f32 v22, -v13, v21, 1.0
	v_fmac_f32_e32 v21, v22, v21
	v_div_scale_f32 v22, vcc_lo, v12, v11, v12
	s_delay_alu instid0(VALU_DEP_1) | instskip(NEXT) | instid1(VALU_DEP_1)
	v_mul_f32_e32 v23, v22, v21
	v_fma_f32 v24, -v13, v23, v22
	s_delay_alu instid0(VALU_DEP_1) | instskip(NEXT) | instid1(VALU_DEP_1)
	v_fmac_f32_e32 v23, v24, v21
	v_fma_f32 v13, -v13, v23, v22
	s_delay_alu instid0(VALU_DEP_1) | instskip(NEXT) | instid1(VALU_DEP_1)
	v_div_fmas_f32 v13, v13, v21, v23
	v_div_fixup_f32 v11, v13, v11, v12
	s_delay_alu instid0(VALU_DEP_1)
	v_mul_f32_e32 v11, v11, v10
.LBB75_363:                             ;   in Loop: Header=BB75_233 Depth=1
	s_and_not1_saveexec_b32 s21, s21
	s_cbranch_execz .LBB75_365
; %bb.364:                              ;   in Loop: Header=BB75_233 Depth=1
	v_mul_f32_e32 v10, v3, v3
	s_delay_alu instid0(VALU_DEP_1) | instskip(NEXT) | instid1(VALU_DEP_1)
	v_fmac_f32_e32 v10, v2, v2
	v_div_scale_f32 v11, null, v10, v10, v3
	s_delay_alu instid0(VALU_DEP_1) | instskip(SKIP_2) | instid1(VALU_DEP_1)
	v_rcp_f32_e32 v12, v11
	s_waitcnt_depctr 0xfff
	v_fma_f32 v13, -v11, v12, 1.0
	v_fmac_f32_e32 v12, v13, v12
	v_div_scale_f32 v13, vcc_lo, v3, v10, v3
	s_delay_alu instid0(VALU_DEP_1) | instskip(NEXT) | instid1(VALU_DEP_1)
	v_mul_f32_e32 v21, v13, v12
	v_fma_f32 v22, -v11, v21, v13
	s_delay_alu instid0(VALU_DEP_1) | instskip(NEXT) | instid1(VALU_DEP_1)
	v_fmac_f32_e32 v21, v22, v12
	v_fma_f32 v11, -v11, v21, v13
	s_delay_alu instid0(VALU_DEP_1) | instskip(NEXT) | instid1(VALU_DEP_1)
	v_div_fmas_f32 v11, v11, v12, v21
	v_div_fixup_f32 v11, v11, v10, v3
.LBB75_365:                             ;   in Loop: Header=BB75_233 Depth=1
	s_or_b32 exec_lo, exec_lo, s21
.LBB75_366:                             ;   in Loop: Header=BB75_233 Depth=1
	s_and_not1_saveexec_b32 s20, s20
	s_cbranch_execz .LBB75_368
; %bb.367:                              ;   in Loop: Header=BB75_233 Depth=1
	v_div_scale_f32 v10, null, v2, v2, v3
	v_div_scale_f32 v13, vcc_lo, v3, v2, v3
	s_delay_alu instid0(VALU_DEP_2) | instskip(SKIP_2) | instid1(VALU_DEP_1)
	v_rcp_f32_e32 v11, v10
	s_waitcnt_depctr 0xfff
	v_fma_f32 v12, -v10, v11, 1.0
	v_fmac_f32_e32 v11, v12, v11
	s_delay_alu instid0(VALU_DEP_1) | instskip(NEXT) | instid1(VALU_DEP_1)
	v_mul_f32_e32 v12, v13, v11
	v_fma_f32 v21, -v10, v12, v13
	s_delay_alu instid0(VALU_DEP_1) | instskip(NEXT) | instid1(VALU_DEP_1)
	v_fmac_f32_e32 v12, v21, v11
	v_fma_f32 v10, -v10, v12, v13
	s_delay_alu instid0(VALU_DEP_1) | instskip(NEXT) | instid1(VALU_DEP_1)
	v_div_fmas_f32 v10, v10, v11, v12
	v_div_fixup_f32 v10, v10, v2, v3
	s_delay_alu instid0(VALU_DEP_1) | instskip(NEXT) | instid1(VALU_DEP_1)
	v_div_scale_f32 v11, null, v2, v2, v10
	v_rcp_f32_e32 v12, v11
	s_waitcnt_depctr 0xfff
	v_fma_f32 v13, -v11, v12, 1.0
	s_delay_alu instid0(VALU_DEP_1) | instskip(SKIP_1) | instid1(VALU_DEP_1)
	v_fmac_f32_e32 v12, v13, v12
	v_div_scale_f32 v13, vcc_lo, v10, v2, v10
	v_mul_f32_e32 v21, v13, v12
	s_delay_alu instid0(VALU_DEP_1) | instskip(NEXT) | instid1(VALU_DEP_1)
	v_fma_f32 v22, -v11, v21, v13
	v_fmac_f32_e32 v21, v22, v12
	s_delay_alu instid0(VALU_DEP_1) | instskip(NEXT) | instid1(VALU_DEP_1)
	v_fma_f32 v11, -v11, v21, v13
	v_div_fmas_f32 v11, v11, v12, v21
	s_delay_alu instid0(VALU_DEP_1)
	v_div_fixup_f32 v11, v11, v2, v10
.LBB75_368:                             ;   in Loop: Header=BB75_233 Depth=1
	s_or_b32 exec_lo, exec_lo, s20
.LBB75_369:                             ;   in Loop: Header=BB75_233 Depth=1
	s_and_not1_saveexec_b32 s1, s1
; %bb.370:                              ;   in Loop: Header=BB75_233 Depth=1
	v_div_scale_f32 v10, null, v3, v3, 1.0
	s_delay_alu instid0(VALU_DEP_1) | instskip(SKIP_2) | instid1(VALU_DEP_1)
	v_rcp_f32_e32 v11, v10
	s_waitcnt_depctr 0xfff
	v_fma_f32 v12, -v10, v11, 1.0
	v_fmac_f32_e32 v11, v12, v11
	v_div_scale_f32 v12, vcc_lo, 1.0, v3, 1.0
	s_delay_alu instid0(VALU_DEP_1) | instskip(NEXT) | instid1(VALU_DEP_1)
	v_mul_f32_e32 v13, v12, v11
	v_fma_f32 v21, -v10, v13, v12
	s_delay_alu instid0(VALU_DEP_1) | instskip(NEXT) | instid1(VALU_DEP_1)
	v_fmac_f32_e32 v13, v21, v11
	v_fma_f32 v10, -v10, v13, v12
	s_delay_alu instid0(VALU_DEP_1) | instskip(NEXT) | instid1(VALU_DEP_1)
	v_div_fmas_f32 v10, v10, v11, v13
	v_div_fixup_f32 v11, v10, v3, 1.0
; %bb.371:                              ;   in Loop: Header=BB75_233 Depth=1
	s_or_b32 exec_lo, exec_lo, s1
	v_dual_mov_b32 v13, s5 :: v_dual_mov_b32 v12, s4
	flat_load_b32 v10, v[12:13] glc dlc
	s_waitcnt vmcnt(0) lgkmcnt(0)
	v_add_f32_e32 v10, 0x3fc90fdb, v10
	s_delay_alu instid0(VALU_DEP_1)
	v_bfi_b32 v10, 0x7fffffff, v10, v2
.LBB75_372:                             ;   in Loop: Header=BB75_233 Depth=1
	s_or_b32 exec_lo, exec_lo, s0
.LBB75_373:                             ;   in Loop: Header=BB75_233 Depth=1
	s_and_not1_saveexec_b32 s0, s19
	s_cbranch_execz .LBB75_383
; %bb.374:                              ;   in Loop: Header=BB75_233 Depth=1
	v_cmp_neq_f32_e64 s1, 0x7f800000, |v3|
                                        ; implicit-def: $vgpr10
	s_delay_alu instid0(VALU_DEP_1) | instskip(NEXT) | instid1(SALU_CYCLE_1)
	s_and_saveexec_b32 s19, s1
	s_xor_b32 s1, exec_lo, s19
	s_cbranch_execz .LBB75_380
; %bb.375:                              ;   in Loop: Header=BB75_233 Depth=1
	v_cmp_neq_f32_e64 s19, 0x7f800000, |v2|
                                        ; implicit-def: $vgpr10
	s_delay_alu instid0(VALU_DEP_1) | instskip(NEXT) | instid1(SALU_CYCLE_1)
	s_and_saveexec_b32 s20, s19
	s_xor_b32 s19, exec_lo, s20
; %bb.376:                              ;   in Loop: Header=BB75_233 Depth=1
	v_add_f32_e32 v10, 0, v2
	s_delay_alu instid0(VALU_DEP_1)
	v_add_f32_e32 v10, v10, v3
; %bb.377:                              ;   in Loop: Header=BB75_233 Depth=1
	s_or_saveexec_b32 s19, s19
	s_delay_alu instid0(VALU_DEP_1)
	v_mov_b32_e32 v11, v10
	s_xor_b32 exec_lo, exec_lo, s19
	s_cbranch_execz .LBB75_379
; %bb.378:                              ;   in Loop: Header=BB75_233 Depth=1
	v_dual_mov_b32 v11, s5 :: v_dual_mov_b32 v10, s4
	flat_load_b32 v10, v[10:11] glc dlc
	s_waitcnt vmcnt(0)
	v_bfi_b32 v11, 0x7fffffff, 0, v3
	s_waitcnt lgkmcnt(0)
	v_add_f32_e32 v10, 0x3fc90fdb, v10
	s_delay_alu instid0(VALU_DEP_1)
	v_bfi_b32 v10, 0x7fffffff, v10, v2
.LBB75_379:                             ;   in Loop: Header=BB75_233 Depth=1
	s_or_b32 exec_lo, exec_lo, s19
.LBB75_380:                             ;   in Loop: Header=BB75_233 Depth=1
	s_and_not1_saveexec_b32 s1, s1
; %bb.381:                              ;   in Loop: Header=BB75_233 Depth=1
	v_bfi_b32 v11, 0x7fffffff, 0, v3
	v_add_f32_e32 v10, v2, v2
; %bb.382:                              ;   in Loop: Header=BB75_233 Depth=1
	s_or_b32 exec_lo, exec_lo, s1
.LBB75_383:                             ;   in Loop: Header=BB75_233 Depth=1
	s_delay_alu instid0(SALU_CYCLE_1)
	s_or_b32 exec_lo, exec_lo, s0
.LBB75_384:                             ;   in Loop: Header=BB75_233 Depth=1
	s_and_not1_saveexec_b32 s0, s18
	s_cbranch_execz .LBB75_386
; %bb.385:                              ;   in Loop: Header=BB75_233 Depth=1
	v_rcp_f32_e64 v10, |v2|
	v_cmp_gt_f32_e64 vcc_lo, |v2|, 1.0
	s_waitcnt_depctr 0xfff
	v_cndmask_b32_e64 v10, |v2|, v10, vcc_lo
	s_delay_alu instid0(VALU_DEP_1) | instskip(NEXT) | instid1(VALU_DEP_1)
	v_mul_f32_e32 v11, v10, v10
	v_fmaak_f32 v12, s16, v11, 0xbc7a590c
	s_delay_alu instid0(VALU_DEP_1) | instskip(NEXT) | instid1(VALU_DEP_1)
	v_fmaak_f32 v12, v11, v12, 0x3d29fb3f
	v_fmaak_f32 v12, v11, v12, 0xbd97d4d7
	s_delay_alu instid0(VALU_DEP_1) | instskip(NEXT) | instid1(VALU_DEP_1)
	v_fmaak_f32 v12, v11, v12, 0x3dd931b2
	;; [unrolled: 3-line block ×3, first 2 shown]
	v_fmaak_f32 v12, v11, v12, 0xbeaaaa62
	s_delay_alu instid0(VALU_DEP_1) | instskip(NEXT) | instid1(VALU_DEP_1)
	v_mul_f32_e32 v11, v11, v12
	v_fmac_f32_e32 v10, v10, v11
	s_delay_alu instid0(VALU_DEP_1) | instskip(NEXT) | instid1(VALU_DEP_1)
	v_sub_f32_e32 v11, 0x3fc90fdb, v10
	v_dual_cndmask_b32 v10, v10, v11 :: v_dual_mov_b32 v11, v3
	s_delay_alu instid0(VALU_DEP_1)
	v_bfi_b32 v10, 0x7fffffff, v10, v2
.LBB75_386:                             ;   in Loop: Header=BB75_233 Depth=1
	s_or_b32 exec_lo, exec_lo, s0
.LBB75_387:                             ;   in Loop: Header=BB75_233 Depth=1
	s_and_not1_saveexec_b32 s0, s17
	s_cbranch_execz .LBB75_389
; %bb.388:                              ;   in Loop: Header=BB75_233 Depth=1
	v_sub_f32_e64 v10, 1.0, |v3|
	v_add_f32_e64 v12, |v3|, 1.0
	v_cmp_gt_f32_e64 s1, 0x39800000, |v3|
	s_delay_alu instid0(VALU_DEP_3) | instskip(SKIP_2) | instid1(VALU_DEP_1)
	v_rcp_f32_e32 v11, v10
	s_waitcnt_depctr 0xfff
	v_mul_f32_e32 v13, v12, v11
	v_dual_sub_f32 v21, 1.0, v10 :: v_dual_mul_f32 v22, v10, v13
	s_delay_alu instid0(VALU_DEP_1) | instskip(NEXT) | instid1(VALU_DEP_2)
	v_sub_f32_e64 v21, v21, |v3|
	v_fma_f32 v10, v13, v10, -v22
	s_delay_alu instid0(VALU_DEP_1) | instskip(NEXT) | instid1(VALU_DEP_1)
	v_fmac_f32_e32 v10, v13, v21
	v_add_f32_e32 v21, v22, v10
	s_delay_alu instid0(VALU_DEP_1) | instskip(NEXT) | instid1(VALU_DEP_1)
	v_sub_f32_e32 v23, v12, v21
	v_sub_f32_e32 v24, v12, v23
	v_add_f32_e32 v12, -1.0, v12
	s_delay_alu instid0(VALU_DEP_2) | instskip(NEXT) | instid1(VALU_DEP_2)
	v_dual_sub_f32 v22, v21, v22 :: v_dual_sub_f32 v21, v24, v21
	v_sub_f32_e64 v12, |v3|, v12
	s_delay_alu instid0(VALU_DEP_2) | instskip(NEXT) | instid1(VALU_DEP_1)
	v_sub_f32_e32 v10, v22, v10
	v_add_f32_e32 v10, v10, v21
	s_delay_alu instid0(VALU_DEP_1) | instskip(NEXT) | instid1(VALU_DEP_1)
	v_add_f32_e32 v10, v12, v10
	v_add_f32_e32 v10, v23, v10
	s_delay_alu instid0(VALU_DEP_1) | instskip(NEXT) | instid1(VALU_DEP_1)
	v_mul_f32_e32 v12, v11, v10
	v_add_f32_e32 v21, v13, v12
	s_delay_alu instid0(VALU_DEP_1) | instskip(SKIP_1) | instid1(VALU_DEP_1)
	v_cvt_f64_f32_e32 v[10:11], v21
	v_sub_f32_e32 v13, v21, v13
	v_sub_f32_e32 v12, v12, v13
	s_delay_alu instid0(VALU_DEP_3) | instskip(SKIP_1) | instid1(VALU_DEP_1)
	v_frexp_exp_i32_f64_e32 v10, v[10:11]
	v_frexp_mant_f32_e32 v11, v21
	v_cmp_gt_f32_e32 vcc_lo, 0x3f2aaaab, v11
	s_delay_alu instid0(VALU_DEP_3) | instskip(SKIP_1) | instid1(VALU_DEP_2)
	v_subrev_co_ci_u32_e32 v10, vcc_lo, 0, v10, vcc_lo
	v_cmp_ngt_f32_e64 vcc_lo, |v3|, 1.0
	v_sub_nc_u32_e32 v11, 0, v10
	v_cvt_f32_i32_e32 v10, v10
	s_delay_alu instid0(VALU_DEP_2) | instskip(SKIP_1) | instid1(VALU_DEP_2)
	v_ldexp_f32 v22, v21, v11
	v_ldexp_f32 v11, v12, v11
	v_add_f32_e32 v21, 1.0, v22
	s_delay_alu instid0(VALU_DEP_1) | instskip(NEXT) | instid1(VALU_DEP_1)
	v_add_f32_e32 v13, -1.0, v21
	v_dual_sub_f32 v13, v22, v13 :: v_dual_add_f32 v12, -1.0, v22
	s_delay_alu instid0(VALU_DEP_1) | instskip(NEXT) | instid1(VALU_DEP_2)
	v_add_f32_e32 v13, v11, v13
	v_add_f32_e32 v23, 1.0, v12
	s_delay_alu instid0(VALU_DEP_1) | instskip(NEXT) | instid1(VALU_DEP_1)
	v_dual_sub_f32 v22, v22, v23 :: v_dual_add_f32 v23, v21, v13
	v_add_f32_e32 v11, v11, v22
	s_delay_alu instid0(VALU_DEP_2) | instskip(NEXT) | instid1(VALU_DEP_1)
	v_rcp_f32_e32 v22, v23
	v_dual_add_f32 v24, v12, v11 :: v_dual_sub_f32 v21, v23, v21
	s_delay_alu instid0(VALU_DEP_1) | instskip(SKIP_3) | instid1(VALU_DEP_2)
	v_sub_f32_e32 v12, v24, v12
	s_waitcnt_depctr 0xfff
	v_mul_f32_e32 v25, v24, v22
	v_sub_f32_e32 v13, v13, v21
	v_mul_f32_e32 v26, v23, v25
	s_delay_alu instid0(VALU_DEP_1) | instskip(NEXT) | instid1(VALU_DEP_1)
	v_fma_f32 v21, v25, v23, -v26
	v_fmac_f32_e32 v21, v25, v13
	s_delay_alu instid0(VALU_DEP_1) | instskip(NEXT) | instid1(VALU_DEP_1)
	v_add_f32_e32 v27, v26, v21
	v_sub_f32_e32 v28, v24, v27
	s_delay_alu instid0(VALU_DEP_1) | instskip(SKIP_2) | instid1(VALU_DEP_3)
	v_sub_f32_e32 v24, v24, v28
	v_sub_f32_e32 v11, v11, v12
	;; [unrolled: 1-line block ×4, first 2 shown]
	s_delay_alu instid0(VALU_DEP_1) | instskip(NEXT) | instid1(VALU_DEP_1)
	v_dual_sub_f32 v12, v12, v21 :: v_dual_add_f32 v11, v11, v24
	v_add_f32_e32 v11, v12, v11
	s_delay_alu instid0(VALU_DEP_1) | instskip(NEXT) | instid1(VALU_DEP_1)
	v_add_f32_e32 v12, v28, v11
	v_mul_f32_e32 v21, v22, v12
	s_delay_alu instid0(VALU_DEP_1) | instskip(NEXT) | instid1(VALU_DEP_1)
	v_dual_sub_f32 v27, v28, v12 :: v_dual_mul_f32 v24, v23, v21
	v_add_f32_e32 v11, v11, v27
	s_delay_alu instid0(VALU_DEP_2) | instskip(NEXT) | instid1(VALU_DEP_1)
	v_fma_f32 v23, v21, v23, -v24
	v_fmac_f32_e32 v23, v21, v13
	s_delay_alu instid0(VALU_DEP_1) | instskip(NEXT) | instid1(VALU_DEP_1)
	v_add_f32_e32 v13, v24, v23
	v_sub_f32_e32 v26, v12, v13
	s_delay_alu instid0(VALU_DEP_1) | instskip(NEXT) | instid1(VALU_DEP_1)
	v_sub_f32_e32 v12, v12, v26
	v_sub_f32_e32 v12, v12, v13
	s_delay_alu instid0(VALU_DEP_1) | instskip(SKIP_1) | instid1(VALU_DEP_1)
	v_dual_add_f32 v11, v11, v12 :: v_dual_add_f32 v12, v25, v21
	v_sub_f32_e32 v24, v13, v24
	v_sub_f32_e32 v13, v24, v23
	s_delay_alu instid0(VALU_DEP_1) | instskip(NEXT) | instid1(VALU_DEP_4)
	v_add_f32_e32 v11, v13, v11
	v_sub_f32_e32 v13, v12, v25
	s_delay_alu instid0(VALU_DEP_2) | instskip(NEXT) | instid1(VALU_DEP_2)
	v_add_f32_e32 v11, v26, v11
	v_sub_f32_e32 v13, v21, v13
	s_delay_alu instid0(VALU_DEP_2) | instskip(NEXT) | instid1(VALU_DEP_1)
	v_mul_f32_e32 v11, v22, v11
	v_add_f32_e32 v11, v13, v11
	s_delay_alu instid0(VALU_DEP_1) | instskip(NEXT) | instid1(VALU_DEP_1)
	v_add_f32_e32 v13, v12, v11
	v_mul_f32_e32 v21, v13, v13
	v_sub_f32_e32 v12, v13, v12
	s_delay_alu instid0(VALU_DEP_2) | instskip(SKIP_1) | instid1(VALU_DEP_3)
	v_fmaak_f32 v22, s15, v21, 0x3ecc95a3
	v_mul_f32_e32 v23, v13, v21
	v_sub_f32_e32 v11, v11, v12
	s_delay_alu instid0(VALU_DEP_3) | instskip(SKIP_1) | instid1(VALU_DEP_3)
	v_fmaak_f32 v21, v21, v22, 0x3f2aaada
	v_ldexp_f32 v22, v13, 1
	v_ldexp_f32 v11, v11, 1
	s_delay_alu instid0(VALU_DEP_3) | instskip(SKIP_1) | instid1(VALU_DEP_2)
	v_mul_f32_e32 v21, v23, v21
	v_mul_f32_e32 v23, 0x3f317218, v10
	v_add_f32_e32 v13, v22, v21
	s_delay_alu instid0(VALU_DEP_1) | instskip(NEXT) | instid1(VALU_DEP_3)
	v_sub_f32_e32 v12, v13, v22
	v_fma_f32 v22, 0x3f317218, v10, -v23
	s_delay_alu instid0(VALU_DEP_2) | instskip(NEXT) | instid1(VALU_DEP_2)
	v_sub_f32_e32 v12, v21, v12
	v_fmac_f32_e32 v22, 0xb102e308, v10
	s_delay_alu instid0(VALU_DEP_2) | instskip(NEXT) | instid1(VALU_DEP_2)
	v_add_f32_e32 v10, v11, v12
	v_add_f32_e32 v11, v23, v22
	s_delay_alu instid0(VALU_DEP_1) | instskip(NEXT) | instid1(VALU_DEP_1)
	v_dual_add_f32 v12, v13, v10 :: v_dual_sub_f32 v23, v11, v23
	v_dual_add_f32 v21, v11, v12 :: v_dual_sub_f32 v22, v22, v23
	s_delay_alu instid0(VALU_DEP_1) | instskip(NEXT) | instid1(VALU_DEP_1)
	v_dual_sub_f32 v24, v21, v11 :: v_dual_sub_f32 v13, v12, v13
	v_dual_sub_f32 v25, v21, v24 :: v_dual_sub_f32 v10, v10, v13
	s_delay_alu instid0(VALU_DEP_1) | instskip(NEXT) | instid1(VALU_DEP_2)
	v_dual_sub_f32 v12, v12, v24 :: v_dual_sub_f32 v11, v11, v25
	v_add_f32_e32 v13, v22, v10
	s_delay_alu instid0(VALU_DEP_1) | instskip(NEXT) | instid1(VALU_DEP_1)
	v_dual_add_f32 v11, v12, v11 :: v_dual_sub_f32 v12, v13, v22
	v_add_f32_e32 v11, v13, v11
	s_delay_alu instid0(VALU_DEP_2) | instskip(NEXT) | instid1(VALU_DEP_2)
	v_sub_f32_e32 v13, v13, v12
	v_dual_sub_f32 v10, v10, v12 :: v_dual_add_f32 v23, v21, v11
	s_delay_alu instid0(VALU_DEP_2) | instskip(NEXT) | instid1(VALU_DEP_1)
	v_sub_f32_e32 v12, v22, v13
	v_dual_sub_f32 v13, v23, v21 :: v_dual_add_f32 v10, v10, v12
	s_delay_alu instid0(VALU_DEP_1) | instskip(NEXT) | instid1(VALU_DEP_1)
	v_sub_f32_e32 v11, v11, v13
	v_add_f32_e32 v10, v10, v11
	s_delay_alu instid0(VALU_DEP_1) | instskip(NEXT) | instid1(VALU_DEP_1)
	v_add_f32_e32 v10, v23, v10
	v_mul_f32_e32 v10, 0.5, v10
	s_delay_alu instid0(VALU_DEP_1) | instskip(NEXT) | instid1(VALU_DEP_1)
	v_cndmask_b32_e64 v10, v10, |v3|, s1
	v_cndmask_b32_e32 v10, 0x7fc00000, v10, vcc_lo
	v_cmp_neq_f32_e64 vcc_lo, |v3|, 1.0
	s_delay_alu instid0(VALU_DEP_2) | instskip(NEXT) | instid1(VALU_DEP_1)
	v_cndmask_b32_e32 v10, 0x7f800000, v10, vcc_lo
	v_bfi_b32 v11, 0x7fffffff, v10, v3
	v_mov_b32_e32 v10, v2
.LBB75_389:                             ;   in Loop: Header=BB75_233 Depth=1
	s_or_b32 exec_lo, exec_lo, s0
	v_cmp_neq_f32_e32 vcc_lo, 0, v4
	v_cmp_nle_f32_e64 s0, |v5|, 1.0
	v_dual_mov_b32 v2, s4 :: v_dual_mov_b32 v3, s5
	s_delay_alu instid0(VALU_DEP_2) | instskip(SKIP_3) | instid1(SALU_CYCLE_1)
	s_or_b32 s0, vcc_lo, s0
	flat_store_b32 v[2:3], v18 dlc
	s_waitcnt_vscnt null, 0x0
	s_and_saveexec_b32 s1, s0
	s_xor_b32 s17, exec_lo, s1
	s_cbranch_execz .LBB75_439
; %bb.390:                              ;   in Loop: Header=BB75_233 Depth=1
	s_mov_b32 s0, exec_lo
	v_cmpx_neq_f32_e32 0, v5
	s_xor_b32 s18, exec_lo, s0
	s_cbranch_execz .LBB75_436
; %bb.391:                              ;   in Loop: Header=BB75_233 Depth=1
	v_cmp_o_f32_e32 vcc_lo, v5, v5
	v_cmp_o_f32_e64 s0, v4, v4
	s_delay_alu instid0(VALU_DEP_1) | instskip(NEXT) | instid1(SALU_CYCLE_1)
	s_and_b32 s0, vcc_lo, s0
	s_and_saveexec_b32 s1, s0
	s_delay_alu instid0(SALU_CYCLE_1)
	s_xor_b32 s19, exec_lo, s1
	s_cbranch_execz .LBB75_425
; %bb.392:                              ;   in Loop: Header=BB75_233 Depth=1
	v_max_f32_e64 v3, |v5|, |v5|
	v_max_f32_e64 v2, |v4|, |v4|
	s_mov_b32 s0, exec_lo
	s_delay_alu instid0(VALU_DEP_1) | instskip(NEXT) | instid1(VALU_DEP_1)
	v_max_f32_e32 v3, v2, v3
	v_cmpx_nlt_f32_e32 0x4b000000, v3
	s_xor_b32 s20, exec_lo, s0
	s_cbranch_execz .LBB75_410
; %bb.393:                              ;   in Loop: Header=BB75_233 Depth=1
	v_cmp_ngt_f32_e64 s0, 0x399cc471, |v5|
	v_cmp_ngt_f32_e64 s1, 0x399cc471, |v4|
	s_delay_alu instid0(VALU_DEP_1) | instskip(NEXT) | instid1(SALU_CYCLE_1)
	s_or_b32 s0, s1, s0
	s_and_saveexec_b32 s1, s0
	s_delay_alu instid0(SALU_CYCLE_1)
	s_xor_b32 s21, exec_lo, s1
	s_cbranch_execz .LBB75_407
; %bb.394:                              ;   in Loop: Header=BB75_233 Depth=1
	v_cmp_neq_f32_e64 s1, |v5|, 1.0
	v_cmp_ngt_f32_e64 s0, 0x34000000, |v4|
                                        ; implicit-def: $vgpr3
	s_delay_alu instid0(VALU_DEP_1) | instskip(NEXT) | instid1(SALU_CYCLE_1)
	s_or_b32 s22, s0, s1
	s_and_saveexec_b32 s23, s22
	s_delay_alu instid0(SALU_CYCLE_1)
	s_xor_b32 s22, exec_lo, s23
	s_cbranch_execz .LBB75_396
; %bb.395:                              ;   in Loop: Header=BB75_233 Depth=1
	v_add_f32_e64 v3, |v5|, -1.0
	v_cmp_gt_f32_e64 vcc_lo, 0x20000000, |v4|
	v_mul_f32_e64 v13, |v5|, 4.0
	s_delay_alu instid0(VALU_DEP_3) | instskip(NEXT) | instid1(VALU_DEP_1)
	v_mul_f32_e32 v3, v3, v3
	v_fma_f32 v12, v4, v4, v3
	s_delay_alu instid0(VALU_DEP_1) | instskip(NEXT) | instid1(VALU_DEP_1)
	v_cndmask_b32_e32 v3, v12, v3, vcc_lo
	v_div_scale_f32 v12, null, v3, v3, v13
	v_div_scale_f32 v23, vcc_lo, v13, v3, v13
	s_delay_alu instid0(VALU_DEP_2) | instskip(SKIP_2) | instid1(VALU_DEP_1)
	v_rcp_f32_e32 v21, v12
	s_waitcnt_depctr 0xfff
	v_fma_f32 v22, -v12, v21, 1.0
	v_fmac_f32_e32 v21, v22, v21
	s_delay_alu instid0(VALU_DEP_1) | instskip(NEXT) | instid1(VALU_DEP_1)
	v_mul_f32_e32 v22, v23, v21
	v_fma_f32 v24, -v12, v22, v23
	s_delay_alu instid0(VALU_DEP_1) | instskip(NEXT) | instid1(VALU_DEP_1)
	v_fmac_f32_e32 v22, v24, v21
	v_fma_f32 v12, -v12, v22, v23
	s_delay_alu instid0(VALU_DEP_1) | instskip(NEXT) | instid1(VALU_DEP_1)
	v_div_fmas_f32 v12, v12, v21, v22
	v_div_fixup_f32 v3, v12, v3, v13
	s_delay_alu instid0(VALU_DEP_1) | instskip(NEXT) | instid1(VALU_DEP_1)
	v_add_f32_e32 v21, 1.0, v3
	v_cvt_f64_f32_e32 v[12:13], v21
	s_delay_alu instid0(VALU_DEP_1) | instskip(SKIP_1) | instid1(VALU_DEP_1)
	v_frexp_exp_i32_f64_e32 v12, v[12:13]
	v_frexp_mant_f32_e32 v13, v21
	v_cmp_gt_f32_e32 vcc_lo, 0x3f2aaaab, v13
	v_add_f32_e32 v13, -1.0, v21
	s_delay_alu instid0(VALU_DEP_1) | instskip(SKIP_3) | instid1(VALU_DEP_2)
	v_sub_f32_e32 v23, v13, v21
	v_sub_f32_e32 v13, v3, v13
	v_subrev_co_ci_u32_e32 v12, vcc_lo, 0, v12, vcc_lo
	v_cmp_eq_f32_e32 vcc_lo, 0x7f800000, v3
	v_sub_nc_u32_e32 v22, 0, v12
	v_cvt_f32_i32_e32 v12, v12
	s_delay_alu instid0(VALU_DEP_2) | instskip(NEXT) | instid1(VALU_DEP_1)
	v_ldexp_f32 v21, v21, v22
	v_dual_add_f32 v23, 1.0, v23 :: v_dual_add_f32 v24, 1.0, v21
	s_delay_alu instid0(VALU_DEP_1) | instskip(NEXT) | instid1(VALU_DEP_2)
	v_add_f32_e32 v13, v13, v23
	v_add_f32_e32 v23, -1.0, v24
	s_delay_alu instid0(VALU_DEP_2) | instskip(NEXT) | instid1(VALU_DEP_2)
	v_ldexp_f32 v13, v13, v22
	v_dual_add_f32 v22, -1.0, v21 :: v_dual_sub_f32 v23, v21, v23
	s_delay_alu instid0(VALU_DEP_1) | instskip(NEXT) | instid1(VALU_DEP_2)
	v_add_f32_e32 v25, 1.0, v22
	v_add_f32_e32 v23, v13, v23
	s_delay_alu instid0(VALU_DEP_2) | instskip(NEXT) | instid1(VALU_DEP_2)
	v_sub_f32_e32 v21, v21, v25
	v_add_f32_e32 v25, v24, v23
	s_delay_alu instid0(VALU_DEP_2) | instskip(NEXT) | instid1(VALU_DEP_2)
	v_add_f32_e32 v13, v13, v21
	v_rcp_f32_e32 v21, v25
	v_sub_f32_e32 v24, v25, v24
	s_delay_alu instid0(VALU_DEP_1) | instskip(NEXT) | instid1(VALU_DEP_1)
	v_dual_add_f32 v26, v22, v13 :: v_dual_sub_f32 v23, v23, v24
	v_sub_f32_e32 v22, v26, v22
	s_waitcnt_depctr 0xfff
	v_mul_f32_e32 v27, v26, v21
	v_sub_f32_e32 v13, v13, v22
	s_delay_alu instid0(VALU_DEP_2) | instskip(NEXT) | instid1(VALU_DEP_1)
	v_mul_f32_e32 v28, v25, v27
	v_fma_f32 v24, v27, v25, -v28
	s_delay_alu instid0(VALU_DEP_1) | instskip(NEXT) | instid1(VALU_DEP_1)
	v_fmac_f32_e32 v24, v27, v23
	v_add_f32_e32 v29, v28, v24
	s_delay_alu instid0(VALU_DEP_1) | instskip(SKIP_1) | instid1(VALU_DEP_2)
	v_sub_f32_e32 v30, v26, v29
	v_sub_f32_e32 v22, v29, v28
	;; [unrolled: 1-line block ×3, first 2 shown]
	s_delay_alu instid0(VALU_DEP_2) | instskip(NEXT) | instid1(VALU_DEP_2)
	v_sub_f32_e32 v22, v22, v24
	v_sub_f32_e32 v26, v26, v29
	s_delay_alu instid0(VALU_DEP_1) | instskip(NEXT) | instid1(VALU_DEP_1)
	v_add_f32_e32 v13, v13, v26
	v_add_f32_e32 v13, v22, v13
	s_delay_alu instid0(VALU_DEP_1) | instskip(NEXT) | instid1(VALU_DEP_1)
	v_add_f32_e32 v22, v30, v13
	v_mul_f32_e32 v24, v21, v22
	s_delay_alu instid0(VALU_DEP_1) | instskip(NEXT) | instid1(VALU_DEP_1)
	v_dual_sub_f32 v29, v30, v22 :: v_dual_mul_f32 v26, v25, v24
	v_add_f32_e32 v13, v13, v29
	s_delay_alu instid0(VALU_DEP_2) | instskip(NEXT) | instid1(VALU_DEP_1)
	v_fma_f32 v25, v24, v25, -v26
	v_fmac_f32_e32 v25, v24, v23
	s_delay_alu instid0(VALU_DEP_1) | instskip(NEXT) | instid1(VALU_DEP_1)
	v_add_f32_e32 v23, v26, v25
	v_sub_f32_e32 v28, v22, v23
	v_sub_f32_e32 v26, v23, v26
	s_delay_alu instid0(VALU_DEP_2) | instskip(NEXT) | instid1(VALU_DEP_1)
	v_sub_f32_e32 v22, v22, v28
	v_sub_f32_e32 v22, v22, v23
	s_delay_alu instid0(VALU_DEP_3) | instskip(NEXT) | instid1(VALU_DEP_2)
	v_sub_f32_e32 v23, v26, v25
	v_dual_add_f32 v13, v13, v22 :: v_dual_add_f32 v22, v27, v24
	s_delay_alu instid0(VALU_DEP_1) | instskip(NEXT) | instid1(VALU_DEP_2)
	v_add_f32_e32 v13, v23, v13
	v_sub_f32_e32 v23, v22, v27
	s_delay_alu instid0(VALU_DEP_2) | instskip(NEXT) | instid1(VALU_DEP_2)
	v_add_f32_e32 v13, v28, v13
	v_sub_f32_e32 v23, v24, v23
	s_delay_alu instid0(VALU_DEP_2) | instskip(NEXT) | instid1(VALU_DEP_1)
	v_mul_f32_e32 v13, v21, v13
	v_add_f32_e32 v13, v23, v13
	s_delay_alu instid0(VALU_DEP_1) | instskip(NEXT) | instid1(VALU_DEP_1)
	v_add_f32_e32 v21, v22, v13
	v_mul_f32_e32 v23, v21, v21
	s_delay_alu instid0(VALU_DEP_1) | instskip(SKIP_1) | instid1(VALU_DEP_2)
	v_fmaak_f32 v24, s15, v23, 0x3ecc95a3
	v_mul_f32_e32 v25, v21, v23
	v_fmaak_f32 v23, v23, v24, 0x3f2aaada
	v_ldexp_f32 v24, v21, 1
	v_sub_f32_e32 v21, v21, v22
	s_delay_alu instid0(VALU_DEP_3) | instskip(SKIP_1) | instid1(VALU_DEP_2)
	v_mul_f32_e32 v23, v25, v23
	v_mul_f32_e32 v25, 0x3f317218, v12
	v_dual_sub_f32 v13, v13, v21 :: v_dual_add_f32 v22, v24, v23
	s_delay_alu instid0(VALU_DEP_1) | instskip(NEXT) | instid1(VALU_DEP_2)
	v_ldexp_f32 v13, v13, 1
	v_sub_f32_e32 v21, v22, v24
	s_delay_alu instid0(VALU_DEP_4) | instskip(NEXT) | instid1(VALU_DEP_1)
	v_fma_f32 v24, 0x3f317218, v12, -v25
	v_dual_sub_f32 v21, v23, v21 :: v_dual_fmac_f32 v24, 0xb102e308, v12
	s_delay_alu instid0(VALU_DEP_1) | instskip(NEXT) | instid1(VALU_DEP_2)
	v_add_f32_e32 v12, v13, v21
	v_add_f32_e32 v13, v25, v24
	s_delay_alu instid0(VALU_DEP_2) | instskip(NEXT) | instid1(VALU_DEP_2)
	v_add_f32_e32 v21, v22, v12
	v_sub_f32_e32 v25, v13, v25
	s_delay_alu instid0(VALU_DEP_2) | instskip(SKIP_1) | instid1(VALU_DEP_3)
	v_add_f32_e32 v23, v13, v21
	v_sub_f32_e32 v22, v21, v22
	v_sub_f32_e32 v24, v24, v25
	s_delay_alu instid0(VALU_DEP_3) | instskip(NEXT) | instid1(VALU_DEP_3)
	v_sub_f32_e32 v26, v23, v13
	v_sub_f32_e32 v12, v12, v22
	s_delay_alu instid0(VALU_DEP_2) | instskip(NEXT) | instid1(VALU_DEP_2)
	v_sub_f32_e32 v27, v23, v26
	v_dual_sub_f32 v21, v21, v26 :: v_dual_add_f32 v22, v24, v12
	s_delay_alu instid0(VALU_DEP_2) | instskip(NEXT) | instid1(VALU_DEP_1)
	v_sub_f32_e32 v13, v13, v27
	v_add_f32_e32 v13, v21, v13
	s_delay_alu instid0(VALU_DEP_3) | instskip(NEXT) | instid1(VALU_DEP_2)
	v_sub_f32_e32 v21, v22, v24
	v_add_f32_e32 v13, v22, v13
	s_delay_alu instid0(VALU_DEP_2) | instskip(SKIP_1) | instid1(VALU_DEP_2)
	v_sub_f32_e32 v22, v22, v21
	v_sub_f32_e32 v12, v12, v21
	v_dual_add_f32 v25, v23, v13 :: v_dual_sub_f32 v22, v24, v22
	s_delay_alu instid0(VALU_DEP_1) | instskip(NEXT) | instid1(VALU_DEP_1)
	v_dual_sub_f32 v21, v25, v23 :: v_dual_add_f32 v12, v12, v22
	v_sub_f32_e32 v13, v13, v21
	s_delay_alu instid0(VALU_DEP_1) | instskip(NEXT) | instid1(VALU_DEP_1)
	v_add_f32_e32 v12, v12, v13
	v_add_f32_e32 v12, v25, v12
	s_delay_alu instid0(VALU_DEP_1) | instskip(SKIP_1) | instid1(VALU_DEP_2)
	v_cndmask_b32_e32 v12, v12, v3, vcc_lo
	v_cmp_ngt_f32_e32 vcc_lo, -1.0, v3
	v_cndmask_b32_e32 v12, 0x7fc00000, v12, vcc_lo
	v_cmp_neq_f32_e32 vcc_lo, -1.0, v3
	s_delay_alu instid0(VALU_DEP_2) | instskip(SKIP_1) | instid1(VALU_DEP_2)
	v_cndmask_b32_e32 v12, 0xff800000, v12, vcc_lo
	v_cmp_gt_f32_e64 vcc_lo, 0x33800000, |v3|
	v_cndmask_b32_e32 v3, v12, v3, vcc_lo
	s_delay_alu instid0(VALU_DEP_1)
	v_mul_f32_e32 v3, 0x3e800000, v3
	s_and_not1_saveexec_b32 s22, s22
	s_cbranch_execz .LBB75_398
	s_branch .LBB75_397
.LBB75_396:                             ;   in Loop: Header=BB75_233 Depth=1
	s_and_not1_saveexec_b32 s22, s22
	s_cbranch_execz .LBB75_398
.LBB75_397:                             ;   in Loop: Header=BB75_233 Depth=1
	v_cmp_gt_f32_e64 s23, 0x800000, |v4|
	s_delay_alu instid0(VALU_DEP_1) | instskip(NEXT) | instid1(VALU_DEP_1)
	v_cndmask_b32_e64 v3, 1.0, 0x4f800000, s23
	v_mul_f32_e64 v3, |v4|, v3
	s_delay_alu instid0(VALU_DEP_1) | instskip(SKIP_3) | instid1(VALU_DEP_2)
	v_log_f32_e32 v3, v3
	s_waitcnt_depctr 0xfff
	v_mul_f32_e32 v12, 0x3f317217, v3
	v_cmp_gt_f32_e64 vcc_lo, 0x7f800000, |v3|
	v_fma_f32 v13, 0x3f317217, v3, -v12
	s_delay_alu instid0(VALU_DEP_1) | instskip(NEXT) | instid1(VALU_DEP_1)
	v_fmac_f32_e32 v13, 0x3377d1cf, v3
	v_add_f32_e32 v12, v12, v13
	s_delay_alu instid0(VALU_DEP_1) | instskip(SKIP_1) | instid1(VALU_DEP_1)
	v_cndmask_b32_e32 v3, v3, v12, vcc_lo
	v_cndmask_b32_e64 v12, 0, 0x41b17218, s23
	v_sub_f32_e32 v3, v3, v12
	s_delay_alu instid0(VALU_DEP_1) | instskip(NEXT) | instid1(VALU_DEP_1)
	v_sub_f32_e32 v3, 0x3f317218, v3
	v_mul_f32_e32 v3, 0.5, v3
.LBB75_398:                             ;   in Loop: Header=BB75_233 Depth=1
	s_or_b32 exec_lo, exec_lo, s22
                                        ; implicit-def: $vgpr13
	s_and_saveexec_b32 s22, s1
	s_delay_alu instid0(SALU_CYCLE_1)
	s_xor_b32 s22, exec_lo, s22
	s_cbranch_execz .LBB75_404
; %bb.399:                              ;   in Loop: Header=BB75_233 Depth=1
	v_sub_f32_e64 v12, 1.0, |v5|
	v_add_f32_e64 v13, |v5|, 1.0
	v_add_f32_e64 v2, |v4|, |v4|
	s_delay_alu instid0(VALU_DEP_2) | instskip(SKIP_1) | instid1(SALU_CYCLE_1)
	v_mul_f32_e32 v12, v12, v13
                                        ; implicit-def: $vgpr13
	s_and_saveexec_b32 s1, s0
	s_xor_b32 s1, exec_lo, s1
	s_cbranch_execz .LBB75_401
; %bb.400:                              ;   in Loop: Header=BB75_233 Depth=1
	s_delay_alu instid0(VALU_DEP_1) | instskip(SKIP_3) | instid1(VALU_DEP_4)
	v_fma_f32 v12, -v4, v4, v12
	v_max_f32_e64 v13, |v2|, |v2|
	v_cmp_eq_f32_e64 s0, 0, v2
	v_cmp_class_f32_e64 s23, v2, 0x204
	v_cmp_gt_f32_e64 vcc_lo, |v2|, |v12|
	s_delay_alu instid0(VALU_DEP_4) | instskip(SKIP_2) | instid1(VALU_DEP_3)
	v_max_f32_e64 v21, |v12|, v13
	v_min_f32_e64 v13, |v12|, v13
	v_cmp_class_f32_e64 s24, v12, 0x204
	v_frexp_mant_f32_e32 v22, v21
	v_frexp_exp_i32_f32_e32 v21, v21
	s_delay_alu instid0(VALU_DEP_4) | instskip(SKIP_1) | instid1(VALU_DEP_4)
	v_frexp_exp_i32_f32_e32 v23, v13
	v_frexp_mant_f32_e32 v13, v13
	v_rcp_f32_e32 v22, v22
	s_delay_alu instid0(VALU_DEP_2) | instskip(SKIP_2) | instid1(VALU_DEP_1)
	v_sub_nc_u32_e32 v21, v23, v21
	s_waitcnt_depctr 0xfff
	v_mul_f32_e32 v13, v13, v22
	v_ldexp_f32 v13, v13, v21
	s_delay_alu instid0(VALU_DEP_1) | instskip(NEXT) | instid1(VALU_DEP_1)
	v_mul_f32_e32 v21, v13, v13
	v_fmaak_f32 v22, s16, v21, 0xbc7a590c
	s_delay_alu instid0(VALU_DEP_1) | instskip(NEXT) | instid1(VALU_DEP_1)
	v_fmaak_f32 v22, v21, v22, 0x3d29fb3f
	v_fmaak_f32 v22, v21, v22, 0xbd97d4d7
	s_delay_alu instid0(VALU_DEP_1) | instskip(NEXT) | instid1(VALU_DEP_1)
	v_fmaak_f32 v22, v21, v22, 0x3dd931b2
	;; [unrolled: 3-line block ×3, first 2 shown]
	v_fmaak_f32 v22, v21, v22, 0xbeaaaa62
	s_delay_alu instid0(VALU_DEP_1) | instskip(NEXT) | instid1(VALU_DEP_1)
	v_mul_f32_e32 v21, v21, v22
	v_fmac_f32_e32 v13, v13, v21
	s_delay_alu instid0(VALU_DEP_1) | instskip(NEXT) | instid1(VALU_DEP_1)
	v_sub_f32_e32 v21, 0x3fc90fdb, v13
	v_cndmask_b32_e32 v13, v13, v21, vcc_lo
	v_cmp_gt_i32_e32 vcc_lo, 0, v12
	s_delay_alu instid0(VALU_DEP_2) | instskip(SKIP_2) | instid1(VALU_DEP_3)
	v_sub_f32_e32 v21, 0x40490fdb, v13
	v_cndmask_b32_e64 v22, 0, 0x40490fdb, vcc_lo
	v_cmp_gt_f32_e32 vcc_lo, 0, v12
	v_cndmask_b32_e32 v13, v13, v21, vcc_lo
	v_cndmask_b32_e32 v21, 0x3f490fdb, v20, vcc_lo
	s_and_b32 vcc_lo, s23, s24
	s_delay_alu instid0(VALU_DEP_2) | instskip(NEXT) | instid1(VALU_DEP_1)
	v_cndmask_b32_e64 v13, v13, v22, s0
	v_cndmask_b32_e32 v13, v13, v21, vcc_lo
	v_cmp_o_f32_e32 vcc_lo, v12, v2
	s_delay_alu instid0(VALU_DEP_2) | instskip(NEXT) | instid1(VALU_DEP_1)
	v_cndmask_b32_e32 v12, 0x7fc00000, v13, vcc_lo
	v_bfi_b32 v13, 0x7fffffff, v12, v2
                                        ; implicit-def: $vgpr2
                                        ; implicit-def: $vgpr12
.LBB75_401:                             ;   in Loop: Header=BB75_233 Depth=1
	s_and_not1_saveexec_b32 s23, s1
	s_cbranch_execz .LBB75_403
; %bb.402:                              ;   in Loop: Header=BB75_233 Depth=1
	v_max_f32_e32 v13, v2, v2
	v_max_f32_e64 v21, |v12|, |v12|
	v_cmp_gt_f32_e64 vcc_lo, v2, |v12|
	v_cmp_eq_f32_e64 s1, 0, v2
	v_cmp_class_f32_e64 s24, v12, 0x204
	v_cmp_eq_f32_e64 s0, 0x7f800000, v2
	v_max_f32_e32 v22, v21, v13
	v_min_f32_e32 v13, v21, v13
	s_delay_alu instid0(VALU_DEP_2) | instskip(SKIP_1) | instid1(VALU_DEP_2)
	v_frexp_mant_f32_e32 v23, v22
	v_frexp_exp_i32_f32_e32 v22, v22
	v_rcp_f32_e32 v21, v23
	s_delay_alu instid0(VALU_DEP_3) | instskip(SKIP_1) | instid1(VALU_DEP_2)
	v_frexp_exp_i32_f32_e32 v23, v13
	v_frexp_mant_f32_e32 v13, v13
	v_sub_nc_u32_e32 v22, v23, v22
	s_waitcnt_depctr 0xfff
	v_mul_f32_e32 v13, v13, v21
	s_delay_alu instid0(VALU_DEP_1) | instskip(NEXT) | instid1(VALU_DEP_1)
	v_ldexp_f32 v13, v13, v22
	v_mul_f32_e32 v21, v13, v13
	s_delay_alu instid0(VALU_DEP_1) | instskip(NEXT) | instid1(VALU_DEP_1)
	v_fmaak_f32 v22, s16, v21, 0xbc7a590c
	v_fmaak_f32 v22, v21, v22, 0x3d29fb3f
	s_delay_alu instid0(VALU_DEP_1) | instskip(NEXT) | instid1(VALU_DEP_1)
	v_fmaak_f32 v22, v21, v22, 0xbd97d4d7
	v_fmaak_f32 v22, v21, v22, 0x3dd931b2
	;; [unrolled: 3-line block ×3, first 2 shown]
	s_delay_alu instid0(VALU_DEP_1) | instskip(NEXT) | instid1(VALU_DEP_1)
	v_fmaak_f32 v22, v21, v22, 0xbeaaaa62
	v_mul_f32_e32 v21, v21, v22
	s_delay_alu instid0(VALU_DEP_1) | instskip(NEXT) | instid1(VALU_DEP_1)
	v_fmac_f32_e32 v13, v13, v21
	v_sub_f32_e32 v21, 0x3fc90fdb, v13
	s_delay_alu instid0(VALU_DEP_1) | instskip(SKIP_1) | instid1(VALU_DEP_2)
	v_cndmask_b32_e32 v13, v13, v21, vcc_lo
	v_cmp_gt_i32_e32 vcc_lo, 0, v12
	v_sub_f32_e32 v21, 0x40490fdb, v13
	v_cndmask_b32_e64 v22, 0, 0x40490fdb, vcc_lo
	v_cmp_gt_f32_e32 vcc_lo, 0, v12
	s_delay_alu instid0(VALU_DEP_3) | instskip(NEXT) | instid1(VALU_DEP_1)
	v_cndmask_b32_e32 v13, v13, v21, vcc_lo
	v_cndmask_b32_e64 v2, v13, v22, s1
	v_cndmask_b32_e32 v13, 0x3f490fdb, v20, vcc_lo
	s_and_b32 vcc_lo, s0, s24
	s_delay_alu instid0(VALU_DEP_1) | instskip(SKIP_1) | instid1(VALU_DEP_2)
	v_cndmask_b32_e32 v2, v2, v13, vcc_lo
	v_cmp_o_f32_e32 vcc_lo, v12, v12
	v_cndmask_b32_e64 v13, 0x7fc00000, |v2|, vcc_lo
.LBB75_403:                             ;   in Loop: Header=BB75_233 Depth=1
	s_or_b32 exec_lo, exec_lo, s23
                                        ; implicit-def: $vgpr2
	s_and_not1_saveexec_b32 s0, s22
	s_cbranch_execnz .LBB75_405
	s_branch .LBB75_406
.LBB75_404:                             ;   in Loop: Header=BB75_233 Depth=1
	s_and_not1_saveexec_b32 s0, s22
	s_cbranch_execz .LBB75_406
.LBB75_405:                             ;   in Loop: Header=BB75_233 Depth=1
	v_max_f32_e32 v12, 2.0, v2
	v_min_f32_e32 v2, 2.0, v2
	v_cmp_lt_f32_e64 vcc_lo, |v4|, 2.0
	s_delay_alu instid0(VALU_DEP_3) | instskip(NEXT) | instid1(VALU_DEP_3)
	v_frexp_mant_f32_e32 v13, v12
	v_frexp_mant_f32_e32 v21, v2
	v_frexp_exp_i32_f32_e32 v2, v2
	s_delay_alu instid0(VALU_DEP_3) | instskip(SKIP_3) | instid1(VALU_DEP_1)
	v_rcp_f32_e32 v13, v13
	s_waitcnt_depctr 0xfff
	v_mul_f32_e32 v13, v21, v13
	v_frexp_exp_i32_f32_e32 v12, v12
	v_sub_nc_u32_e32 v2, v2, v12
	s_delay_alu instid0(VALU_DEP_1) | instskip(NEXT) | instid1(VALU_DEP_1)
	v_ldexp_f32 v2, v13, v2
	v_mul_f32_e32 v12, v2, v2
	s_delay_alu instid0(VALU_DEP_1) | instskip(NEXT) | instid1(VALU_DEP_1)
	v_fmaak_f32 v13, s16, v12, 0xbc7a590c
	v_fmaak_f32 v13, v12, v13, 0x3d29fb3f
	s_delay_alu instid0(VALU_DEP_1) | instskip(NEXT) | instid1(VALU_DEP_1)
	v_fmaak_f32 v13, v12, v13, 0xbd97d4d7
	v_fmaak_f32 v13, v12, v13, 0x3dd931b2
	s_delay_alu instid0(VALU_DEP_1) | instskip(NEXT) | instid1(VALU_DEP_1)
	v_fmaak_f32 v13, v12, v13, 0xbe1160e6
	v_fmaak_f32 v13, v12, v13, 0x3e4cb8bf
	s_delay_alu instid0(VALU_DEP_1) | instskip(NEXT) | instid1(VALU_DEP_1)
	v_fmaak_f32 v13, v12, v13, 0xbeaaaa62
	v_mul_f32_e32 v12, v12, v13
	s_delay_alu instid0(VALU_DEP_1) | instskip(NEXT) | instid1(VALU_DEP_1)
	v_fmac_f32_e32 v2, v2, v12
	v_sub_f32_e32 v12, 0x3fc90fdb, v2
	s_delay_alu instid0(VALU_DEP_1) | instskip(SKIP_1) | instid1(VALU_DEP_2)
	v_cndmask_b32_e32 v2, v2, v12, vcc_lo
	v_cmp_lg_f32_e32 vcc_lo, 0, v4
	v_sub_f32_e32 v12, 0x40490fdb, v2
	s_delay_alu instid0(VALU_DEP_1) | instskip(NEXT) | instid1(VALU_DEP_1)
	v_cndmask_b32_e32 v2, v2, v12, vcc_lo
	v_and_b32_e32 v13, 0x7fffffff, v2
.LBB75_406:                             ;   in Loop: Header=BB75_233 Depth=1
	s_or_b32 exec_lo, exec_lo, s0
	s_delay_alu instid0(VALU_DEP_1) | instskip(SKIP_1) | instid1(VALU_DEP_2)
	v_mul_f32_e32 v2, 0.5, v13
	v_bfi_b32 v13, 0x7fffffff, v3, v5
	v_bfi_b32 v12, 0x7fffffff, v2, v4
                                        ; implicit-def: $vgpr4
.LBB75_407:                             ;   in Loop: Header=BB75_233 Depth=1
	s_and_not1_saveexec_b32 s0, s21
	s_cbranch_execz .LBB75_409
; %bb.408:                              ;   in Loop: Header=BB75_233 Depth=1
	v_dual_mov_b32 v2, s6 :: v_dual_mov_b32 v3, s7
	v_mov_b32_e32 v13, v5
	flat_store_b32 v[2:3], v19 dlc
	s_waitcnt_vscnt null, 0x0
	flat_load_b32 v2, v[2:3] glc dlc
	s_waitcnt vmcnt(0) lgkmcnt(0)
	v_add_f32_e32 v12, 1.0, v2
	v_dual_mov_b32 v2, s12 :: v_dual_mov_b32 v3, s13
	flat_store_b32 v[2:3], v12 dlc
	s_waitcnt_vscnt null, 0x0
	flat_load_b32 v2, v[2:3] glc dlc
	s_waitcnt vmcnt(0)
	v_mov_b32_e32 v12, v4
.LBB75_409:                             ;   in Loop: Header=BB75_233 Depth=1
	s_or_b32 exec_lo, exec_lo, s0
                                        ; implicit-def: $vgpr2_vgpr3_vgpr4_vgpr5
.LBB75_410:                             ;   in Loop: Header=BB75_233 Depth=1
	s_and_not1_saveexec_b32 s0, s20
	s_cbranch_execz .LBB75_424
; %bb.411:                              ;   in Loop: Header=BB75_233 Depth=1
	s_waitcnt lgkmcnt(0)
	v_and_b32_e32 v2, 0x7f800000, v5
	v_and_b32_e32 v3, 0x7f800000, v4
	v_cmp_neq_f32_e64 s1, 0x7f800000, |v5|
	s_delay_alu instid0(VALU_DEP_2) | instskip(NEXT) | instid1(VALU_DEP_1)
	v_sub_nc_u32_e32 v12, v2, v3
	v_cmp_gt_i32_e32 vcc_lo, 0x6800000, v12
	s_delay_alu instid0(VALU_DEP_3) | instskip(NEXT) | instid1(SALU_CYCLE_1)
	s_and_b32 s1, s1, vcc_lo
	s_and_saveexec_b32 s20, s1
	s_delay_alu instid0(SALU_CYCLE_1)
	s_xor_b32 s1, exec_lo, s20
	s_cbranch_execz .LBB75_421
; %bb.412:                              ;   in Loop: Header=BB75_233 Depth=1
	v_sub_nc_u32_e32 v3, v3, v2
	s_mov_b32 s20, exec_lo
	s_delay_alu instid0(VALU_DEP_1)
	v_cmpx_gt_i32_e32 0x6800000, v3
	s_xor_b32 s20, exec_lo, s20
	s_cbranch_execz .LBB75_418
; %bb.413:                              ;   in Loop: Header=BB75_233 Depth=1
	s_mov_b32 s21, exec_lo
	v_cmpx_lt_u32_e32 0x59000000, v2
	s_xor_b32 s21, exec_lo, s21
	s_cbranch_execz .LBB75_415
; %bb.414:                              ;   in Loop: Header=BB75_233 Depth=1
	v_sub_nc_u32_e32 v2, 0x7f800000, v2
	s_delay_alu instid0(VALU_DEP_1) | instskip(NEXT) | instid1(VALU_DEP_1)
	v_mul_f32_e32 v3, v4, v2
	v_dual_mul_f32 v12, v5, v2 :: v_dual_mul_f32 v3, v3, v3
	s_delay_alu instid0(VALU_DEP_1) | instskip(NEXT) | instid1(VALU_DEP_1)
	v_fmac_f32_e32 v3, v12, v12
	v_div_scale_f32 v13, null, v3, v3, v12
	s_delay_alu instid0(VALU_DEP_1) | instskip(SKIP_2) | instid1(VALU_DEP_1)
	v_rcp_f32_e32 v21, v13
	s_waitcnt_depctr 0xfff
	v_fma_f32 v22, -v13, v21, 1.0
	v_fmac_f32_e32 v21, v22, v21
	v_div_scale_f32 v22, vcc_lo, v12, v3, v12
	s_delay_alu instid0(VALU_DEP_1) | instskip(NEXT) | instid1(VALU_DEP_1)
	v_mul_f32_e32 v23, v22, v21
	v_fma_f32 v24, -v13, v23, v22
	s_delay_alu instid0(VALU_DEP_1) | instskip(NEXT) | instid1(VALU_DEP_1)
	v_fmac_f32_e32 v23, v24, v21
	v_fma_f32 v13, -v13, v23, v22
	s_delay_alu instid0(VALU_DEP_1) | instskip(NEXT) | instid1(VALU_DEP_1)
	v_div_fmas_f32 v13, v13, v21, v23
	v_div_fixup_f32 v3, v13, v3, v12
	s_delay_alu instid0(VALU_DEP_1)
	v_mul_f32_e32 v13, v3, v2
.LBB75_415:                             ;   in Loop: Header=BB75_233 Depth=1
	s_and_not1_saveexec_b32 s21, s21
	s_cbranch_execz .LBB75_417
; %bb.416:                              ;   in Loop: Header=BB75_233 Depth=1
	v_mul_f32_e32 v2, v5, v5
	s_delay_alu instid0(VALU_DEP_1) | instskip(NEXT) | instid1(VALU_DEP_1)
	v_fmac_f32_e32 v2, v4, v4
	v_div_scale_f32 v3, null, v2, v2, v5
	s_delay_alu instid0(VALU_DEP_1) | instskip(SKIP_2) | instid1(VALU_DEP_1)
	v_rcp_f32_e32 v12, v3
	s_waitcnt_depctr 0xfff
	v_fma_f32 v13, -v3, v12, 1.0
	v_fmac_f32_e32 v12, v13, v12
	v_div_scale_f32 v13, vcc_lo, v5, v2, v5
	s_delay_alu instid0(VALU_DEP_1) | instskip(NEXT) | instid1(VALU_DEP_1)
	v_mul_f32_e32 v21, v13, v12
	v_fma_f32 v22, -v3, v21, v13
	s_delay_alu instid0(VALU_DEP_1) | instskip(NEXT) | instid1(VALU_DEP_1)
	v_fmac_f32_e32 v21, v22, v12
	v_fma_f32 v3, -v3, v21, v13
	s_delay_alu instid0(VALU_DEP_1) | instskip(NEXT) | instid1(VALU_DEP_1)
	v_div_fmas_f32 v3, v3, v12, v21
	v_div_fixup_f32 v13, v3, v2, v5
.LBB75_417:                             ;   in Loop: Header=BB75_233 Depth=1
	s_or_b32 exec_lo, exec_lo, s21
.LBB75_418:                             ;   in Loop: Header=BB75_233 Depth=1
	s_and_not1_saveexec_b32 s20, s20
	s_cbranch_execz .LBB75_420
; %bb.419:                              ;   in Loop: Header=BB75_233 Depth=1
	v_div_scale_f32 v2, null, v4, v4, v5
	v_div_scale_f32 v13, vcc_lo, v5, v4, v5
	s_delay_alu instid0(VALU_DEP_2) | instskip(SKIP_2) | instid1(VALU_DEP_1)
	v_rcp_f32_e32 v3, v2
	s_waitcnt_depctr 0xfff
	v_fma_f32 v12, -v2, v3, 1.0
	v_fmac_f32_e32 v3, v12, v3
	s_delay_alu instid0(VALU_DEP_1) | instskip(NEXT) | instid1(VALU_DEP_1)
	v_mul_f32_e32 v12, v13, v3
	v_fma_f32 v21, -v2, v12, v13
	s_delay_alu instid0(VALU_DEP_1) | instskip(NEXT) | instid1(VALU_DEP_1)
	v_fmac_f32_e32 v12, v21, v3
	v_fma_f32 v2, -v2, v12, v13
	s_delay_alu instid0(VALU_DEP_1) | instskip(NEXT) | instid1(VALU_DEP_1)
	v_div_fmas_f32 v2, v2, v3, v12
	v_div_fixup_f32 v2, v2, v4, v5
	s_delay_alu instid0(VALU_DEP_1) | instskip(NEXT) | instid1(VALU_DEP_1)
	v_div_scale_f32 v3, null, v4, v4, v2
	v_rcp_f32_e32 v12, v3
	s_waitcnt_depctr 0xfff
	v_fma_f32 v13, -v3, v12, 1.0
	s_delay_alu instid0(VALU_DEP_1) | instskip(SKIP_1) | instid1(VALU_DEP_1)
	v_fmac_f32_e32 v12, v13, v12
	v_div_scale_f32 v13, vcc_lo, v2, v4, v2
	v_mul_f32_e32 v21, v13, v12
	s_delay_alu instid0(VALU_DEP_1) | instskip(NEXT) | instid1(VALU_DEP_1)
	v_fma_f32 v22, -v3, v21, v13
	v_fmac_f32_e32 v21, v22, v12
	s_delay_alu instid0(VALU_DEP_1) | instskip(NEXT) | instid1(VALU_DEP_1)
	v_fma_f32 v3, -v3, v21, v13
	v_div_fmas_f32 v3, v3, v12, v21
	s_delay_alu instid0(VALU_DEP_1)
	v_div_fixup_f32 v13, v3, v4, v2
.LBB75_420:                             ;   in Loop: Header=BB75_233 Depth=1
	s_or_b32 exec_lo, exec_lo, s20
.LBB75_421:                             ;   in Loop: Header=BB75_233 Depth=1
	s_and_not1_saveexec_b32 s1, s1
; %bb.422:                              ;   in Loop: Header=BB75_233 Depth=1
	v_div_scale_f32 v2, null, v5, v5, 1.0
	s_delay_alu instid0(VALU_DEP_1) | instskip(SKIP_2) | instid1(VALU_DEP_1)
	v_rcp_f32_e32 v3, v2
	s_waitcnt_depctr 0xfff
	v_fma_f32 v12, -v2, v3, 1.0
	v_fmac_f32_e32 v3, v12, v3
	v_div_scale_f32 v12, vcc_lo, 1.0, v5, 1.0
	s_delay_alu instid0(VALU_DEP_1) | instskip(NEXT) | instid1(VALU_DEP_1)
	v_mul_f32_e32 v13, v12, v3
	v_fma_f32 v21, -v2, v13, v12
	s_delay_alu instid0(VALU_DEP_1) | instskip(NEXT) | instid1(VALU_DEP_1)
	v_fmac_f32_e32 v13, v21, v3
	v_fma_f32 v2, -v2, v13, v12
	s_delay_alu instid0(VALU_DEP_1) | instskip(NEXT) | instid1(VALU_DEP_1)
	v_div_fmas_f32 v2, v2, v3, v13
	v_div_fixup_f32 v13, v2, v5, 1.0
; %bb.423:                              ;   in Loop: Header=BB75_233 Depth=1
	s_or_b32 exec_lo, exec_lo, s1
	v_dual_mov_b32 v2, s4 :: v_dual_mov_b32 v3, s5
	flat_load_b32 v2, v[2:3] glc dlc
	s_waitcnt vmcnt(0) lgkmcnt(0)
	v_add_f32_e32 v2, 0x3fc90fdb, v2
	s_delay_alu instid0(VALU_DEP_1)
	v_bfi_b32 v12, 0x7fffffff, v2, v4
.LBB75_424:                             ;   in Loop: Header=BB75_233 Depth=1
	s_or_b32 exec_lo, exec_lo, s0
                                        ; implicit-def: $vgpr2_vgpr3_vgpr4_vgpr5
.LBB75_425:                             ;   in Loop: Header=BB75_233 Depth=1
	s_and_not1_saveexec_b32 s0, s19
	s_cbranch_execz .LBB75_435
; %bb.426:                              ;   in Loop: Header=BB75_233 Depth=1
	v_cmp_neq_f32_e64 s1, 0x7f800000, |v5|
	s_delay_alu instid0(VALU_DEP_1) | instskip(NEXT) | instid1(SALU_CYCLE_1)
	s_and_saveexec_b32 s19, s1
	s_xor_b32 s1, exec_lo, s19
	s_cbranch_execz .LBB75_432
; %bb.427:                              ;   in Loop: Header=BB75_233 Depth=1
	v_cmp_neq_f32_e64 s19, 0x7f800000, |v4|
	s_delay_alu instid0(VALU_DEP_1) | instskip(NEXT) | instid1(SALU_CYCLE_1)
	s_and_saveexec_b32 s20, s19
	s_xor_b32 s19, exec_lo, s20
	s_cbranch_execz .LBB75_429
; %bb.428:                              ;   in Loop: Header=BB75_233 Depth=1
	s_waitcnt lgkmcnt(0)
	v_add_f32_e32 v2, 0, v4
	s_delay_alu instid0(VALU_DEP_1)
	v_add_f32_e32 v12, v2, v5
                                        ; implicit-def: $vgpr2_vgpr3_vgpr4_vgpr5
.LBB75_429:                             ;   in Loop: Header=BB75_233 Depth=1
	s_or_saveexec_b32 s19, s19
	s_delay_alu instid0(VALU_DEP_1)
	v_mov_b32_e32 v13, v12
	s_xor_b32 exec_lo, exec_lo, s19
	s_cbranch_execz .LBB75_431
; %bb.430:                              ;   in Loop: Header=BB75_233 Depth=1
	s_waitcnt lgkmcnt(0)
	v_dual_mov_b32 v2, s4 :: v_dual_mov_b32 v3, s5
	v_bfi_b32 v13, 0x7fffffff, 0, v5
	flat_load_b32 v2, v[2:3] glc dlc
	s_waitcnt vmcnt(0) lgkmcnt(0)
	v_add_f32_e32 v2, 0x3fc90fdb, v2
	s_delay_alu instid0(VALU_DEP_1)
	v_bfi_b32 v12, 0x7fffffff, v2, v4
.LBB75_431:                             ;   in Loop: Header=BB75_233 Depth=1
	s_or_b32 exec_lo, exec_lo, s19
                                        ; implicit-def: $vgpr2_vgpr3_vgpr4_vgpr5
.LBB75_432:                             ;   in Loop: Header=BB75_233 Depth=1
	s_and_not1_saveexec_b32 s1, s1
; %bb.433:                              ;   in Loop: Header=BB75_233 Depth=1
	v_bfi_b32 v13, 0x7fffffff, 0, v5
	v_add_f32_e32 v12, v4, v4
; %bb.434:                              ;   in Loop: Header=BB75_233 Depth=1
	s_or_b32 exec_lo, exec_lo, s1
.LBB75_435:                             ;   in Loop: Header=BB75_233 Depth=1
	s_delay_alu instid0(SALU_CYCLE_1)
	s_or_b32 exec_lo, exec_lo, s0
                                        ; implicit-def: $vgpr2_vgpr3_vgpr4_vgpr5
.LBB75_436:                             ;   in Loop: Header=BB75_233 Depth=1
	s_and_not1_saveexec_b32 s0, s18
	s_cbranch_execz .LBB75_438
; %bb.437:                              ;   in Loop: Header=BB75_233 Depth=1
	s_waitcnt lgkmcnt(0)
	v_rcp_f32_e64 v2, |v4|
	v_cmp_gt_f32_e64 vcc_lo, |v4|, 1.0
	v_mov_b32_e32 v13, v5
	s_waitcnt_depctr 0xfff
	v_cndmask_b32_e64 v2, |v4|, v2, vcc_lo
	s_delay_alu instid0(VALU_DEP_1) | instskip(NEXT) | instid1(VALU_DEP_1)
	v_mul_f32_e32 v3, v2, v2
	v_fmaak_f32 v12, s16, v3, 0xbc7a590c
	s_delay_alu instid0(VALU_DEP_1) | instskip(NEXT) | instid1(VALU_DEP_1)
	v_fmaak_f32 v12, v3, v12, 0x3d29fb3f
	v_fmaak_f32 v12, v3, v12, 0xbd97d4d7
	s_delay_alu instid0(VALU_DEP_1) | instskip(NEXT) | instid1(VALU_DEP_1)
	v_fmaak_f32 v12, v3, v12, 0x3dd931b2
	v_fmaak_f32 v12, v3, v12, 0xbe1160e6
	s_delay_alu instid0(VALU_DEP_1) | instskip(NEXT) | instid1(VALU_DEP_1)
	v_fmaak_f32 v12, v3, v12, 0x3e4cb8bf
	v_fmaak_f32 v12, v3, v12, 0xbeaaaa62
	s_delay_alu instid0(VALU_DEP_1) | instskip(NEXT) | instid1(VALU_DEP_1)
	v_mul_f32_e32 v3, v3, v12
	v_fmac_f32_e32 v2, v2, v3
	s_delay_alu instid0(VALU_DEP_1) | instskip(NEXT) | instid1(VALU_DEP_1)
	v_sub_f32_e32 v3, 0x3fc90fdb, v2
	v_cndmask_b32_e32 v2, v2, v3, vcc_lo
	s_delay_alu instid0(VALU_DEP_1)
	v_bfi_b32 v12, 0x7fffffff, v2, v4
.LBB75_438:                             ;   in Loop: Header=BB75_233 Depth=1
	s_or_b32 exec_lo, exec_lo, s0
                                        ; implicit-def: $vgpr2_vgpr3_vgpr4_vgpr5
.LBB75_439:                             ;   in Loop: Header=BB75_233 Depth=1
	s_and_not1_saveexec_b32 s0, s17
	s_cbranch_execz .LBB75_232
; %bb.440:                              ;   in Loop: Header=BB75_233 Depth=1
	s_waitcnt lgkmcnt(0)
	v_sub_f32_e64 v2, 1.0, |v5|
	v_add_f32_e64 v12, |v5|, 1.0
	v_cmp_gt_f32_e64 s1, 0x39800000, |v5|
	s_delay_alu instid0(VALU_DEP_3) | instskip(SKIP_2) | instid1(VALU_DEP_1)
	v_rcp_f32_e32 v3, v2
	s_waitcnt_depctr 0xfff
	v_mul_f32_e32 v13, v12, v3
	v_dual_sub_f32 v21, 1.0, v2 :: v_dual_mul_f32 v22, v2, v13
	s_delay_alu instid0(VALU_DEP_1) | instskip(NEXT) | instid1(VALU_DEP_2)
	v_sub_f32_e64 v21, v21, |v5|
	v_fma_f32 v2, v13, v2, -v22
	s_delay_alu instid0(VALU_DEP_1) | instskip(NEXT) | instid1(VALU_DEP_1)
	v_fmac_f32_e32 v2, v13, v21
	v_add_f32_e32 v21, v22, v2
	s_delay_alu instid0(VALU_DEP_1) | instskip(NEXT) | instid1(VALU_DEP_1)
	v_sub_f32_e32 v23, v12, v21
	v_sub_f32_e32 v24, v12, v23
	v_add_f32_e32 v12, -1.0, v12
	s_delay_alu instid0(VALU_DEP_2) | instskip(NEXT) | instid1(VALU_DEP_2)
	v_dual_sub_f32 v22, v21, v22 :: v_dual_sub_f32 v21, v24, v21
	v_sub_f32_e64 v12, |v5|, v12
	s_delay_alu instid0(VALU_DEP_2) | instskip(NEXT) | instid1(VALU_DEP_1)
	v_sub_f32_e32 v2, v22, v2
	v_add_f32_e32 v2, v2, v21
	s_delay_alu instid0(VALU_DEP_1) | instskip(NEXT) | instid1(VALU_DEP_1)
	v_add_f32_e32 v2, v12, v2
	v_add_f32_e32 v2, v23, v2
	s_delay_alu instid0(VALU_DEP_1) | instskip(NEXT) | instid1(VALU_DEP_1)
	v_mul_f32_e32 v12, v3, v2
	v_add_f32_e32 v21, v13, v12
	s_delay_alu instid0(VALU_DEP_1) | instskip(SKIP_1) | instid1(VALU_DEP_1)
	v_cvt_f64_f32_e32 v[2:3], v21
	v_sub_f32_e32 v13, v21, v13
	v_sub_f32_e32 v12, v12, v13
	s_delay_alu instid0(VALU_DEP_3) | instskip(SKIP_1) | instid1(VALU_DEP_1)
	v_frexp_exp_i32_f64_e32 v2, v[2:3]
	v_frexp_mant_f32_e32 v3, v21
	v_cmp_gt_f32_e32 vcc_lo, 0x3f2aaaab, v3
	s_delay_alu instid0(VALU_DEP_3) | instskip(SKIP_1) | instid1(VALU_DEP_2)
	v_subrev_co_ci_u32_e32 v2, vcc_lo, 0, v2, vcc_lo
	v_cmp_ngt_f32_e64 vcc_lo, |v5|, 1.0
	v_sub_nc_u32_e32 v3, 0, v2
	v_cvt_f32_i32_e32 v2, v2
	s_delay_alu instid0(VALU_DEP_2) | instskip(SKIP_1) | instid1(VALU_DEP_2)
	v_ldexp_f32 v22, v21, v3
	v_ldexp_f32 v3, v12, v3
	v_add_f32_e32 v21, 1.0, v22
	s_delay_alu instid0(VALU_DEP_1) | instskip(NEXT) | instid1(VALU_DEP_1)
	v_add_f32_e32 v13, -1.0, v21
	v_dual_sub_f32 v13, v22, v13 :: v_dual_add_f32 v12, -1.0, v22
	s_delay_alu instid0(VALU_DEP_1) | instskip(NEXT) | instid1(VALU_DEP_2)
	v_add_f32_e32 v13, v3, v13
	v_add_f32_e32 v23, 1.0, v12
	s_delay_alu instid0(VALU_DEP_1) | instskip(NEXT) | instid1(VALU_DEP_1)
	v_dual_sub_f32 v22, v22, v23 :: v_dual_add_f32 v23, v21, v13
	v_add_f32_e32 v3, v3, v22
	s_delay_alu instid0(VALU_DEP_2) | instskip(NEXT) | instid1(VALU_DEP_1)
	v_rcp_f32_e32 v22, v23
	v_dual_add_f32 v24, v12, v3 :: v_dual_sub_f32 v21, v23, v21
	s_delay_alu instid0(VALU_DEP_1) | instskip(SKIP_3) | instid1(VALU_DEP_2)
	v_sub_f32_e32 v12, v24, v12
	s_waitcnt_depctr 0xfff
	v_mul_f32_e32 v25, v24, v22
	v_sub_f32_e32 v13, v13, v21
	v_mul_f32_e32 v26, v23, v25
	s_delay_alu instid0(VALU_DEP_1) | instskip(NEXT) | instid1(VALU_DEP_1)
	v_fma_f32 v21, v25, v23, -v26
	v_fmac_f32_e32 v21, v25, v13
	s_delay_alu instid0(VALU_DEP_1) | instskip(NEXT) | instid1(VALU_DEP_1)
	v_add_f32_e32 v27, v26, v21
	v_sub_f32_e32 v28, v24, v27
	s_delay_alu instid0(VALU_DEP_1) | instskip(SKIP_2) | instid1(VALU_DEP_3)
	v_sub_f32_e32 v24, v24, v28
	v_sub_f32_e32 v3, v3, v12
	;; [unrolled: 1-line block ×4, first 2 shown]
	s_delay_alu instid0(VALU_DEP_1) | instskip(NEXT) | instid1(VALU_DEP_1)
	v_dual_sub_f32 v12, v12, v21 :: v_dual_add_f32 v3, v3, v24
	v_add_f32_e32 v3, v12, v3
	s_delay_alu instid0(VALU_DEP_1) | instskip(NEXT) | instid1(VALU_DEP_1)
	v_add_f32_e32 v12, v28, v3
	v_mul_f32_e32 v21, v22, v12
	s_delay_alu instid0(VALU_DEP_1) | instskip(NEXT) | instid1(VALU_DEP_1)
	v_dual_sub_f32 v27, v28, v12 :: v_dual_mul_f32 v24, v23, v21
	v_add_f32_e32 v3, v3, v27
	s_delay_alu instid0(VALU_DEP_2) | instskip(NEXT) | instid1(VALU_DEP_1)
	v_fma_f32 v23, v21, v23, -v24
	v_fmac_f32_e32 v23, v21, v13
	s_delay_alu instid0(VALU_DEP_1) | instskip(NEXT) | instid1(VALU_DEP_1)
	v_add_f32_e32 v13, v24, v23
	v_sub_f32_e32 v26, v12, v13
	s_delay_alu instid0(VALU_DEP_1) | instskip(NEXT) | instid1(VALU_DEP_1)
	v_sub_f32_e32 v12, v12, v26
	v_sub_f32_e32 v12, v12, v13
	s_delay_alu instid0(VALU_DEP_1) | instskip(SKIP_1) | instid1(VALU_DEP_1)
	v_dual_add_f32 v3, v3, v12 :: v_dual_add_f32 v12, v25, v21
	v_sub_f32_e32 v24, v13, v24
	v_sub_f32_e32 v13, v24, v23
	s_delay_alu instid0(VALU_DEP_1) | instskip(NEXT) | instid1(VALU_DEP_4)
	v_add_f32_e32 v3, v13, v3
	v_sub_f32_e32 v13, v12, v25
	s_delay_alu instid0(VALU_DEP_2) | instskip(NEXT) | instid1(VALU_DEP_2)
	v_add_f32_e32 v3, v26, v3
	v_sub_f32_e32 v13, v21, v13
	s_delay_alu instid0(VALU_DEP_2) | instskip(NEXT) | instid1(VALU_DEP_1)
	v_mul_f32_e32 v3, v22, v3
	v_add_f32_e32 v3, v13, v3
	s_delay_alu instid0(VALU_DEP_1) | instskip(NEXT) | instid1(VALU_DEP_1)
	v_add_f32_e32 v13, v12, v3
	v_mul_f32_e32 v21, v13, v13
	v_sub_f32_e32 v12, v13, v12
	s_delay_alu instid0(VALU_DEP_2) | instskip(SKIP_1) | instid1(VALU_DEP_3)
	v_fmaak_f32 v22, s15, v21, 0x3ecc95a3
	v_mul_f32_e32 v23, v13, v21
	v_sub_f32_e32 v3, v3, v12
	s_delay_alu instid0(VALU_DEP_3) | instskip(SKIP_1) | instid1(VALU_DEP_3)
	v_fmaak_f32 v21, v21, v22, 0x3f2aaada
	v_ldexp_f32 v22, v13, 1
	v_ldexp_f32 v3, v3, 1
	s_delay_alu instid0(VALU_DEP_3) | instskip(SKIP_1) | instid1(VALU_DEP_2)
	v_mul_f32_e32 v21, v23, v21
	v_mul_f32_e32 v23, 0x3f317218, v2
	v_add_f32_e32 v13, v22, v21
	s_delay_alu instid0(VALU_DEP_1) | instskip(NEXT) | instid1(VALU_DEP_3)
	v_sub_f32_e32 v12, v13, v22
	v_fma_f32 v22, 0x3f317218, v2, -v23
	s_delay_alu instid0(VALU_DEP_2) | instskip(NEXT) | instid1(VALU_DEP_2)
	v_sub_f32_e32 v12, v21, v12
	v_fmac_f32_e32 v22, 0xb102e308, v2
	s_delay_alu instid0(VALU_DEP_2) | instskip(NEXT) | instid1(VALU_DEP_2)
	v_add_f32_e32 v2, v3, v12
	v_add_f32_e32 v3, v23, v22
	s_delay_alu instid0(VALU_DEP_1) | instskip(NEXT) | instid1(VALU_DEP_1)
	v_dual_add_f32 v12, v13, v2 :: v_dual_sub_f32 v23, v3, v23
	v_dual_add_f32 v21, v3, v12 :: v_dual_sub_f32 v22, v22, v23
	s_delay_alu instid0(VALU_DEP_1) | instskip(NEXT) | instid1(VALU_DEP_1)
	v_dual_sub_f32 v24, v21, v3 :: v_dual_sub_f32 v13, v12, v13
	v_dual_sub_f32 v25, v21, v24 :: v_dual_sub_f32 v2, v2, v13
	s_delay_alu instid0(VALU_DEP_1) | instskip(NEXT) | instid1(VALU_DEP_2)
	v_dual_sub_f32 v12, v12, v24 :: v_dual_sub_f32 v3, v3, v25
	v_add_f32_e32 v13, v22, v2
	s_delay_alu instid0(VALU_DEP_1) | instskip(NEXT) | instid1(VALU_DEP_1)
	v_dual_add_f32 v3, v12, v3 :: v_dual_sub_f32 v12, v13, v22
	v_add_f32_e32 v3, v13, v3
	s_delay_alu instid0(VALU_DEP_2) | instskip(NEXT) | instid1(VALU_DEP_2)
	v_sub_f32_e32 v13, v13, v12
	v_dual_sub_f32 v2, v2, v12 :: v_dual_add_f32 v23, v21, v3
	s_delay_alu instid0(VALU_DEP_2) | instskip(NEXT) | instid1(VALU_DEP_1)
	v_sub_f32_e32 v12, v22, v13
	v_dual_sub_f32 v13, v23, v21 :: v_dual_add_f32 v2, v2, v12
	s_delay_alu instid0(VALU_DEP_1) | instskip(NEXT) | instid1(VALU_DEP_1)
	v_dual_mov_b32 v12, v4 :: v_dual_sub_f32 v3, v3, v13
	v_add_f32_e32 v2, v2, v3
	s_delay_alu instid0(VALU_DEP_1) | instskip(NEXT) | instid1(VALU_DEP_1)
	v_add_f32_e32 v2, v23, v2
	v_mul_f32_e32 v2, 0.5, v2
	s_delay_alu instid0(VALU_DEP_1) | instskip(NEXT) | instid1(VALU_DEP_1)
	v_cndmask_b32_e64 v2, v2, |v5|, s1
	v_cndmask_b32_e32 v2, 0x7fc00000, v2, vcc_lo
	v_cmp_neq_f32_e64 vcc_lo, |v5|, 1.0
	s_delay_alu instid0(VALU_DEP_2) | instskip(NEXT) | instid1(VALU_DEP_1)
	v_cndmask_b32_e32 v2, 0x7f800000, v2, vcc_lo
	v_bfi_b32 v13, 0x7fffffff, v2, v5
	s_branch .LBB75_232
.LBB75_441:
	s_endpgm
	.section	.rodata,"a",@progbits
	.p2align	6, 0x0
	.amdhsa_kernel _ZN2at6native12_GLOBAL__N_125multi_tensor_apply_kernelINS1_18TensorListMetadataILi1EEENS1_14UnaryOpFunctorIN3c107complexIfEELi1ELi1ELi0EEEJNS0_4AtanIS8_EEEEEvT_T0_DpT1_
		.amdhsa_group_segment_fixed_size 0
		.amdhsa_private_segment_fixed_size 16
		.amdhsa_kernarg_size 3632
		.amdhsa_user_sgpr_count 15
		.amdhsa_user_sgpr_dispatch_ptr 0
		.amdhsa_user_sgpr_queue_ptr 0
		.amdhsa_user_sgpr_kernarg_segment_ptr 1
		.amdhsa_user_sgpr_dispatch_id 0
		.amdhsa_user_sgpr_private_segment_size 0
		.amdhsa_wavefront_size32 1
		.amdhsa_uses_dynamic_stack 0
		.amdhsa_enable_private_segment 1
		.amdhsa_system_sgpr_workgroup_id_x 1
		.amdhsa_system_sgpr_workgroup_id_y 0
		.amdhsa_system_sgpr_workgroup_id_z 0
		.amdhsa_system_sgpr_workgroup_info 0
		.amdhsa_system_vgpr_workitem_id 0
		.amdhsa_next_free_vgpr 40
		.amdhsa_next_free_sgpr 37
		.amdhsa_reserve_vcc 1
		.amdhsa_float_round_mode_32 0
		.amdhsa_float_round_mode_16_64 0
		.amdhsa_float_denorm_mode_32 3
		.amdhsa_float_denorm_mode_16_64 3
		.amdhsa_dx10_clamp 1
		.amdhsa_ieee_mode 1
		.amdhsa_fp16_overflow 0
		.amdhsa_workgroup_processor_mode 1
		.amdhsa_memory_ordered 1
		.amdhsa_forward_progress 0
		.amdhsa_shared_vgpr_count 0
		.amdhsa_exception_fp_ieee_invalid_op 0
		.amdhsa_exception_fp_denorm_src 0
		.amdhsa_exception_fp_ieee_div_zero 0
		.amdhsa_exception_fp_ieee_overflow 0
		.amdhsa_exception_fp_ieee_underflow 0
		.amdhsa_exception_fp_ieee_inexact 0
		.amdhsa_exception_int_div_zero 0
	.end_amdhsa_kernel
	.section	.text._ZN2at6native12_GLOBAL__N_125multi_tensor_apply_kernelINS1_18TensorListMetadataILi1EEENS1_14UnaryOpFunctorIN3c107complexIfEELi1ELi1ELi0EEEJNS0_4AtanIS8_EEEEEvT_T0_DpT1_,"axG",@progbits,_ZN2at6native12_GLOBAL__N_125multi_tensor_apply_kernelINS1_18TensorListMetadataILi1EEENS1_14UnaryOpFunctorIN3c107complexIfEELi1ELi1ELi0EEEJNS0_4AtanIS8_EEEEEvT_T0_DpT1_,comdat
.Lfunc_end75:
	.size	_ZN2at6native12_GLOBAL__N_125multi_tensor_apply_kernelINS1_18TensorListMetadataILi1EEENS1_14UnaryOpFunctorIN3c107complexIfEELi1ELi1ELi0EEEJNS0_4AtanIS8_EEEEEvT_T0_DpT1_, .Lfunc_end75-_ZN2at6native12_GLOBAL__N_125multi_tensor_apply_kernelINS1_18TensorListMetadataILi1EEENS1_14UnaryOpFunctorIN3c107complexIfEELi1ELi1ELi0EEEJNS0_4AtanIS8_EEEEEvT_T0_DpT1_
                                        ; -- End function
	.section	.AMDGPU.csdata,"",@progbits
; Kernel info:
; codeLenInByte = 34772
; NumSgprs: 39
; NumVgprs: 40
; ScratchSize: 16
; MemoryBound: 0
; FloatMode: 240
; IeeeMode: 1
; LDSByteSize: 0 bytes/workgroup (compile time only)
; SGPRBlocks: 4
; VGPRBlocks: 4
; NumSGPRsForWavesPerEU: 39
; NumVGPRsForWavesPerEU: 40
; Occupancy: 16
; WaveLimiterHint : 0
; COMPUTE_PGM_RSRC2:SCRATCH_EN: 1
; COMPUTE_PGM_RSRC2:USER_SGPR: 15
; COMPUTE_PGM_RSRC2:TRAP_HANDLER: 0
; COMPUTE_PGM_RSRC2:TGID_X_EN: 1
; COMPUTE_PGM_RSRC2:TGID_Y_EN: 0
; COMPUTE_PGM_RSRC2:TGID_Z_EN: 0
; COMPUTE_PGM_RSRC2:TIDIG_COMP_CNT: 0
	.section	.text._ZN2at6native12_GLOBAL__N_125multi_tensor_apply_kernelINS1_18TensorListMetadataILi1EEENS1_14UnaryOpFunctorIN3c104HalfELi1ELi1ELi0EEEJNS0_4AtanIfEEEEEvT_T0_DpT1_,"axG",@progbits,_ZN2at6native12_GLOBAL__N_125multi_tensor_apply_kernelINS1_18TensorListMetadataILi1EEENS1_14UnaryOpFunctorIN3c104HalfELi1ELi1ELi0EEEJNS0_4AtanIfEEEEEvT_T0_DpT1_,comdat
	.globl	_ZN2at6native12_GLOBAL__N_125multi_tensor_apply_kernelINS1_18TensorListMetadataILi1EEENS1_14UnaryOpFunctorIN3c104HalfELi1ELi1ELi0EEEJNS0_4AtanIfEEEEEvT_T0_DpT1_ ; -- Begin function _ZN2at6native12_GLOBAL__N_125multi_tensor_apply_kernelINS1_18TensorListMetadataILi1EEENS1_14UnaryOpFunctorIN3c104HalfELi1ELi1ELi0EEEJNS0_4AtanIfEEEEEvT_T0_DpT1_
	.p2align	8
	.type	_ZN2at6native12_GLOBAL__N_125multi_tensor_apply_kernelINS1_18TensorListMetadataILi1EEENS1_14UnaryOpFunctorIN3c104HalfELi1ELi1ELi0EEEJNS0_4AtanIfEEEEEvT_T0_DpT1_,@function
_ZN2at6native12_GLOBAL__N_125multi_tensor_apply_kernelINS1_18TensorListMetadataILi1EEENS1_14UnaryOpFunctorIN3c104HalfELi1ELi1ELi0EEEJNS0_4AtanIfEEEEEvT_T0_DpT1_: ; @_ZN2at6native12_GLOBAL__N_125multi_tensor_apply_kernelINS1_18TensorListMetadataILi1EEENS1_14UnaryOpFunctorIN3c104HalfELi1ELi1ELi0EEEJNS0_4AtanIfEEEEEvT_T0_DpT1_
; %bb.0:
	v_mov_b32_e32 v1, s15
	s_add_u32 s2, s0, s15
	s_mul_hi_u32 s3, s15, 3
	s_mul_i32 s15, s15, 3
	s_addc_u32 s4, s1, 0
	global_load_u8 v1, v1, s[0:1] offset:1760
	s_add_u32 s2, s2, s15
	s_addc_u32 s3, s4, s3
	s_mov_b32 s13, 0
	s_load_b32 s2, s[2:3], 0x820
	s_waitcnt vmcnt(0)
	v_readfirstlane_b32 s5, v1
	s_delay_alu instid0(VALU_DEP_1)
	s_lshl_b32 s3, s5, 3
	s_clause 0x1
	s_load_b64 s[8:9], s[0:1], s3 offset:0x0
	s_load_b64 s[4:5], s[0:1], s3 offset:0x370
	s_waitcnt lgkmcnt(0)
	s_ashr_i32 s3, s2, 31
	s_delay_alu instid0(SALU_CYCLE_1)
	s_lshl_b64 s[10:11], s[2:3], 17
	s_lshl_b64 s[2:3], s[2:3], 16
	s_and_b32 s12, s8, 7
	s_sub_u32 s6, s4, s2
	s_subb_u32 s7, s5, s3
	s_and_b32 s2, s4, 3
	s_mov_b32 s3, s13
	s_delay_alu instid0(SALU_CYCLE_1) | instskip(NEXT) | instid1(SALU_CYCLE_1)
	s_or_b64 s[2:3], s[12:13], s[2:3]
	s_cmp_eq_u64 s[2:3], 0
	s_cbranch_scc1 .LBB76_21
; %bb.1:
	v_cmp_lt_i64_e64 s2, s[6:7], 1
	s_delay_alu instid0(VALU_DEP_1)
	s_and_b32 vcc_lo, exec_lo, s2
	s_cbranch_vccnz .LBB76_20
; %bb.2:
	s_load_b32 s2, s[0:1], 0xd3c
	v_cmp_gt_u64_e64 s3, 0x10000, s[6:7]
	v_lshlrev_b32_e32 v1, 1, v0
	s_mov_b32 s19, 0x3b2d2a58
	s_waitcnt lgkmcnt(0)
	s_and_b32 s2, s2, 0xffff
	s_delay_alu instid0(VALU_DEP_2)
	s_and_b32 s3, s3, exec_lo
	v_add_co_u32 v5, s5, v0, s2
	s_cselect_b32 s13, s7, 0
	s_cselect_b32 s12, s6, 0x10000
	s_lshl_b32 s3, s2, 1
	s_lshl_b32 s16, s2, 2
	v_lshlrev_b32_e32 v3, 1, v5
	v_add_co_ci_u32_e64 v6, null, 0, 0, s5
	s_add_u32 s5, s8, s10
	v_add_co_u32 v9, s3, s3, v0
	s_mul_i32 s4, s2, 3
	s_addc_u32 s14, s9, s11
	v_add_co_ci_u32_e64 v10, null, 0, 0, s3
	v_add_co_u32 v1, s3, s5, v1
	v_add_co_u32 v7, s4, s4, v0
	v_add_co_ci_u32_e64 v2, null, s14, 0, s3
	v_add_co_u32 v3, s3, s5, v3
	v_add_co_ci_u32_e64 v8, null, 0, 0, s4
	v_add_co_ci_u32_e64 v4, null, s14, 0, s3
	s_lshl_b32 s17, s2, 3
	s_mul_i32 s18, s2, 6
	s_mov_b64 s[14:15], 0
	s_branch .LBB76_4
.LBB76_3:                               ;   in Loop: Header=BB76_4 Depth=1
	s_or_b32 exec_lo, exec_lo, s2
	s_add_u32 s14, s14, s16
	s_addc_u32 s15, s15, 0
	v_add_co_u32 v1, vcc_lo, v1, s17
	v_cmp_lt_i64_e64 s2, s[14:15], s[6:7]
	v_cmp_gt_u64_e64 s3, 0x10000, s[14:15]
	v_add_co_ci_u32_e32 v2, vcc_lo, 0, v2, vcc_lo
	v_add_co_u32 v3, vcc_lo, v3, s17
	v_add_co_ci_u32_e32 v4, vcc_lo, 0, v4, vcc_lo
	s_delay_alu instid0(VALU_DEP_4) | instskip(NEXT) | instid1(SALU_CYCLE_1)
	s_and_b32 s2, s2, s3
	s_and_b32 vcc_lo, exec_lo, s2
	s_cbranch_vccz .LBB76_20
.LBB76_4:                               ; =>This Inner Loop Header: Depth=1
	s_waitcnt vmcnt(0)
	v_add_co_u32 v11, s2, v0, s14
	s_delay_alu instid0(VALU_DEP_1) | instskip(SKIP_1) | instid1(VALU_DEP_2)
	v_add_co_ci_u32_e64 v12, null, 0, s15, s2
	v_mov_b32_e32 v14, 0
	v_cmp_gt_u64_e64 s4, s[12:13], v[11:12]
	s_delay_alu instid0(VALU_DEP_1)
	s_and_saveexec_b32 s2, s4
	s_cbranch_execz .LBB76_6
; %bb.5:                                ;   in Loop: Header=BB76_4 Depth=1
	global_load_u16 v14, v[1:2], off
.LBB76_6:                               ;   in Loop: Header=BB76_4 Depth=1
	s_or_b32 exec_lo, exec_lo, s2
	v_add_co_u32 v11, vcc_lo, v5, s14
	v_add_co_ci_u32_e32 v12, vcc_lo, s15, v6, vcc_lo
	v_mov_b32_e32 v13, 0
	s_delay_alu instid0(VALU_DEP_2) | instskip(NEXT) | instid1(VALU_DEP_1)
	v_cmp_gt_u64_e64 s3, s[12:13], v[11:12]
	s_and_saveexec_b32 s2, s3
	s_cbranch_execz .LBB76_8
; %bb.7:                                ;   in Loop: Header=BB76_4 Depth=1
	global_load_u16 v13, v[3:4], off
.LBB76_8:                               ;   in Loop: Header=BB76_4 Depth=1
	s_or_b32 exec_lo, exec_lo, s2
	v_add_co_u32 v11, vcc_lo, v9, s14
	v_add_co_ci_u32_e32 v12, vcc_lo, s15, v10, vcc_lo
	s_delay_alu instid0(VALU_DEP_1) | instskip(SKIP_1) | instid1(VALU_DEP_2)
	v_cmp_gt_u64_e64 s2, s[12:13], v[11:12]
	v_dual_mov_b32 v11, 0 :: v_dual_mov_b32 v12, 0
	s_and_saveexec_b32 s5, s2
	s_cbranch_execz .LBB76_10
; %bb.9:                                ;   in Loop: Header=BB76_4 Depth=1
	v_add_co_u32 v15, vcc_lo, v1, s16
	v_add_co_ci_u32_e32 v16, vcc_lo, 0, v2, vcc_lo
	global_load_u16 v12, v[15:16], off
.LBB76_10:                              ;   in Loop: Header=BB76_4 Depth=1
	s_or_b32 exec_lo, exec_lo, s5
	v_add_co_u32 v15, vcc_lo, v7, s14
	v_add_co_ci_u32_e32 v16, vcc_lo, s15, v8, vcc_lo
	s_delay_alu instid0(VALU_DEP_1)
	v_cmp_gt_u64_e32 vcc_lo, s[12:13], v[15:16]
	s_and_saveexec_b32 s20, vcc_lo
	s_cbranch_execnz .LBB76_15
; %bb.11:                               ;   in Loop: Header=BB76_4 Depth=1
	s_or_b32 exec_lo, exec_lo, s20
	s_and_saveexec_b32 s5, s4
	s_cbranch_execnz .LBB76_16
.LBB76_12:                              ;   in Loop: Header=BB76_4 Depth=1
	s_or_b32 exec_lo, exec_lo, s5
	s_and_saveexec_b32 s4, s3
	s_cbranch_execnz .LBB76_17
.LBB76_13:                              ;   in Loop: Header=BB76_4 Depth=1
	s_or_b32 exec_lo, exec_lo, s4
	s_and_saveexec_b32 s3, s2
	s_cbranch_execnz .LBB76_18
.LBB76_14:                              ;   in Loop: Header=BB76_4 Depth=1
	s_or_b32 exec_lo, exec_lo, s3
	s_and_saveexec_b32 s2, vcc_lo
	s_cbranch_execz .LBB76_3
	s_branch .LBB76_19
.LBB76_15:                              ;   in Loop: Header=BB76_4 Depth=1
	v_add_co_u32 v15, s5, v1, s18
	s_delay_alu instid0(VALU_DEP_1)
	v_add_co_ci_u32_e64 v16, s5, 0, v2, s5
	global_load_u16 v11, v[15:16], off
	s_or_b32 exec_lo, exec_lo, s20
	s_and_saveexec_b32 s5, s4
	s_cbranch_execz .LBB76_12
.LBB76_16:                              ;   in Loop: Header=BB76_4 Depth=1
	s_waitcnt vmcnt(0)
	v_cvt_f32_f16_e32 v15, v14
	s_delay_alu instid0(VALU_DEP_1) | instskip(SKIP_3) | instid1(VALU_DEP_1)
	v_rcp_f32_e64 v16, |v15|
	v_cmp_gt_f32_e64 s4, |v15|, 1.0
	s_waitcnt_depctr 0xfff
	v_cndmask_b32_e64 v15, |v15|, v16, s4
	v_mul_f32_e32 v16, v15, v15
	s_delay_alu instid0(VALU_DEP_1) | instskip(NEXT) | instid1(VALU_DEP_1)
	v_fmaak_f32 v17, s19, v16, 0xbc7a590c
	v_fmaak_f32 v17, v16, v17, 0x3d29fb3f
	s_delay_alu instid0(VALU_DEP_1) | instskip(NEXT) | instid1(VALU_DEP_1)
	v_fmaak_f32 v17, v16, v17, 0xbd97d4d7
	v_fmaak_f32 v17, v16, v17, 0x3dd931b2
	;; [unrolled: 3-line block ×3, first 2 shown]
	s_delay_alu instid0(VALU_DEP_1) | instskip(NEXT) | instid1(VALU_DEP_1)
	v_fmaak_f32 v17, v16, v17, 0xbeaaaa62
	v_mul_f32_e32 v16, v16, v17
	s_delay_alu instid0(VALU_DEP_1) | instskip(NEXT) | instid1(VALU_DEP_1)
	v_fmac_f32_e32 v15, v15, v16
	v_sub_f32_e32 v16, 0x3fc90fdb, v15
	s_delay_alu instid0(VALU_DEP_1) | instskip(NEXT) | instid1(VALU_DEP_1)
	v_cndmask_b32_e64 v15, v15, v16, s4
	v_cvt_f16_f32_e32 v15, v15
	s_delay_alu instid0(VALU_DEP_1)
	v_bfi_b32 v14, 0x7fff, v15, v14
	global_store_b16 v[1:2], v14, off
	s_or_b32 exec_lo, exec_lo, s5
	s_and_saveexec_b32 s4, s3
	s_cbranch_execz .LBB76_13
.LBB76_17:                              ;   in Loop: Header=BB76_4 Depth=1
	s_waitcnt vmcnt(0)
	v_cvt_f32_f16_e32 v14, v13
	s_delay_alu instid0(VALU_DEP_1) | instskip(SKIP_3) | instid1(VALU_DEP_1)
	v_rcp_f32_e64 v15, |v14|
	v_cmp_gt_f32_e64 s3, |v14|, 1.0
	s_waitcnt_depctr 0xfff
	v_cndmask_b32_e64 v14, |v14|, v15, s3
	v_mul_f32_e32 v15, v14, v14
	s_delay_alu instid0(VALU_DEP_1) | instskip(NEXT) | instid1(VALU_DEP_1)
	v_fmaak_f32 v16, s19, v15, 0xbc7a590c
	v_fmaak_f32 v16, v15, v16, 0x3d29fb3f
	s_delay_alu instid0(VALU_DEP_1) | instskip(NEXT) | instid1(VALU_DEP_1)
	v_fmaak_f32 v16, v15, v16, 0xbd97d4d7
	v_fmaak_f32 v16, v15, v16, 0x3dd931b2
	;; [unrolled: 3-line block ×3, first 2 shown]
	s_delay_alu instid0(VALU_DEP_1) | instskip(NEXT) | instid1(VALU_DEP_1)
	v_fmaak_f32 v16, v15, v16, 0xbeaaaa62
	v_mul_f32_e32 v15, v15, v16
	s_delay_alu instid0(VALU_DEP_1) | instskip(NEXT) | instid1(VALU_DEP_1)
	v_fmac_f32_e32 v14, v14, v15
	v_sub_f32_e32 v15, 0x3fc90fdb, v14
	s_delay_alu instid0(VALU_DEP_1) | instskip(NEXT) | instid1(VALU_DEP_1)
	v_cndmask_b32_e64 v14, v14, v15, s3
	v_cvt_f16_f32_e32 v14, v14
	s_delay_alu instid0(VALU_DEP_1)
	v_bfi_b32 v13, 0x7fff, v14, v13
	global_store_b16 v[3:4], v13, off
	s_or_b32 exec_lo, exec_lo, s4
	s_and_saveexec_b32 s3, s2
	s_cbranch_execz .LBB76_14
.LBB76_18:                              ;   in Loop: Header=BB76_4 Depth=1
	s_waitcnt vmcnt(0)
	v_cvt_f32_f16_e32 v13, v12
	s_delay_alu instid0(VALU_DEP_1) | instskip(SKIP_3) | instid1(VALU_DEP_1)
	v_rcp_f32_e64 v14, |v13|
	v_cmp_gt_f32_e64 s2, |v13|, 1.0
	s_waitcnt_depctr 0xfff
	v_cndmask_b32_e64 v13, |v13|, v14, s2
	v_mul_f32_e32 v14, v13, v13
	s_delay_alu instid0(VALU_DEP_1) | instskip(NEXT) | instid1(VALU_DEP_1)
	v_fmaak_f32 v15, s19, v14, 0xbc7a590c
	v_fmaak_f32 v15, v14, v15, 0x3d29fb3f
	s_delay_alu instid0(VALU_DEP_1) | instskip(NEXT) | instid1(VALU_DEP_1)
	v_fmaak_f32 v15, v14, v15, 0xbd97d4d7
	v_fmaak_f32 v15, v14, v15, 0x3dd931b2
	;; [unrolled: 3-line block ×3, first 2 shown]
	s_delay_alu instid0(VALU_DEP_1) | instskip(NEXT) | instid1(VALU_DEP_1)
	v_fmaak_f32 v15, v14, v15, 0xbeaaaa62
	v_mul_f32_e32 v14, v14, v15
	s_delay_alu instid0(VALU_DEP_1) | instskip(NEXT) | instid1(VALU_DEP_1)
	v_fmac_f32_e32 v13, v13, v14
	v_sub_f32_e32 v14, 0x3fc90fdb, v13
	s_delay_alu instid0(VALU_DEP_1) | instskip(NEXT) | instid1(VALU_DEP_1)
	v_cndmask_b32_e64 v13, v13, v14, s2
	v_cvt_f16_f32_e32 v13, v13
	s_delay_alu instid0(VALU_DEP_1) | instskip(SKIP_1) | instid1(VALU_DEP_1)
	v_bfi_b32 v14, 0x7fff, v13, v12
	v_add_co_u32 v12, s2, v1, s16
	v_add_co_ci_u32_e64 v13, s2, 0, v2, s2
	global_store_b16 v[12:13], v14, off
	s_or_b32 exec_lo, exec_lo, s3
	s_and_saveexec_b32 s2, vcc_lo
	s_cbranch_execz .LBB76_3
.LBB76_19:                              ;   in Loop: Header=BB76_4 Depth=1
	s_waitcnt vmcnt(0)
	v_cvt_f32_f16_e32 v12, v11
	s_delay_alu instid0(VALU_DEP_1) | instskip(SKIP_3) | instid1(VALU_DEP_1)
	v_rcp_f32_e64 v13, |v12|
	v_cmp_gt_f32_e64 vcc_lo, |v12|, 1.0
	s_waitcnt_depctr 0xfff
	v_cndmask_b32_e64 v12, |v12|, v13, vcc_lo
	v_mul_f32_e32 v13, v12, v12
	s_delay_alu instid0(VALU_DEP_1) | instskip(NEXT) | instid1(VALU_DEP_1)
	v_fmaak_f32 v14, s19, v13, 0xbc7a590c
	v_fmaak_f32 v14, v13, v14, 0x3d29fb3f
	s_delay_alu instid0(VALU_DEP_1) | instskip(NEXT) | instid1(VALU_DEP_1)
	v_fmaak_f32 v14, v13, v14, 0xbd97d4d7
	v_fmaak_f32 v14, v13, v14, 0x3dd931b2
	;; [unrolled: 3-line block ×3, first 2 shown]
	s_delay_alu instid0(VALU_DEP_1) | instskip(NEXT) | instid1(VALU_DEP_1)
	v_fmaak_f32 v14, v13, v14, 0xbeaaaa62
	v_mul_f32_e32 v13, v13, v14
	s_delay_alu instid0(VALU_DEP_1) | instskip(NEXT) | instid1(VALU_DEP_1)
	v_fmac_f32_e32 v12, v12, v13
	v_sub_f32_e32 v13, 0x3fc90fdb, v12
	s_delay_alu instid0(VALU_DEP_1) | instskip(NEXT) | instid1(VALU_DEP_1)
	v_cndmask_b32_e32 v12, v12, v13, vcc_lo
	v_cvt_f16_f32_e32 v12, v12
	s_delay_alu instid0(VALU_DEP_1)
	v_bfi_b32 v13, 0x7fff, v12, v11
	v_add_co_u32 v11, vcc_lo, v1, s18
	v_add_co_ci_u32_e32 v12, vcc_lo, 0, v2, vcc_lo
	global_store_b16 v[11:12], v13, off
	s_branch .LBB76_3
.LBB76_20:
	s_cbranch_execz .LBB76_22
	s_branch .LBB76_25
.LBB76_21:
.LBB76_22:
	v_dual_mov_b32 v2, 0 :: v_dual_lshlrev_b32 v1, 2, v0
	s_mov_b32 s3, 0
	s_mov_b32 s2, exec_lo
	s_delay_alu instid0(VALU_DEP_1)
	v_cmpx_gt_i64_e64 s[6:7], v[1:2]
	s_cbranch_execz .LBB76_25
; %bb.23:
	s_load_b32 s0, s[0:1], 0xd3c
	v_lshlrev_b32_e32 v1, 3, v0
	s_waitcnt lgkmcnt(0)
	s_and_b32 s0, s0, 0xffff
	s_delay_alu instid0(SALU_CYCLE_1) | instskip(SKIP_3) | instid1(VALU_DEP_1)
	s_lshl_b32 s4, s0, 2
	s_add_u32 s1, s8, s10
	s_addc_u32 s2, s9, s11
	v_add_co_u32 v3, s1, s1, v1
	v_add_co_ci_u32_e64 v4, null, s2, 0, s1
	v_add_lshl_u32 v1, v0, s0, 2
	s_delay_alu instid0(VALU_DEP_3) | instskip(NEXT) | instid1(VALU_DEP_3)
	v_add_co_u32 v3, vcc_lo, v3, 4
	v_add_co_ci_u32_e32 v4, vcc_lo, 0, v4, vcc_lo
	s_lshl_b32 s5, s0, 3
	s_mov_b32 s8, 0x3b2d2a58
.LBB76_24:                              ; =>This Inner Loop Header: Depth=1
	global_load_b64 v[5:6], v[3:4], off offset:-4
	s_waitcnt vmcnt(0)
	v_lshrrev_b32_e32 v0, 16, v6
	v_lshrrev_b32_e32 v8, 16, v5
	v_cvt_f32_f16_e32 v7, v5
	v_cvt_f32_f16_e32 v9, v6
	s_delay_alu instid0(VALU_DEP_4) | instskip(NEXT) | instid1(VALU_DEP_4)
	v_cvt_f32_f16_e32 v10, v0
	v_cvt_f32_f16_e32 v12, v8
	s_delay_alu instid0(VALU_DEP_4) | instskip(NEXT) | instid1(VALU_DEP_3)
	v_rcp_f32_e64 v11, |v7|
	v_rcp_f32_e64 v13, |v9|
	v_cmp_gt_f32_e64 vcc_lo, |v7|, 1.0
	v_rcp_f32_e64 v14, |v10|
	v_rcp_f32_e64 v15, |v12|
	v_cmp_gt_f32_e64 s0, |v9|, 1.0
	v_cmp_gt_f32_e64 s1, |v10|, 1.0
	;; [unrolled: 1-line block ×3, first 2 shown]
	v_cndmask_b32_e64 v7, |v7|, v11, vcc_lo
	s_delay_alu instid0(TRANS32_DEP_3) | instid1(VALU_DEP_4)
	v_cndmask_b32_e64 v9, |v9|, v13, s0
	s_delay_alu instid0(TRANS32_DEP_2) | instid1(VALU_DEP_4)
	v_cndmask_b32_e64 v10, |v10|, v14, s1
	s_delay_alu instid0(TRANS32_DEP_1) | instid1(VALU_DEP_4)
	v_cndmask_b32_e64 v11, |v12|, v15, s2
	s_delay_alu instid0(VALU_DEP_3) | instskip(NEXT) | instid1(VALU_DEP_2)
	v_dual_mul_f32 v12, v7, v7 :: v_dual_mul_f32 v13, v9, v9
	v_dual_mul_f32 v14, v10, v10 :: v_dual_mul_f32 v15, v11, v11
	s_delay_alu instid0(VALU_DEP_2) | instskip(NEXT) | instid1(VALU_DEP_2)
	v_dual_fmaak_f32 v16, s8, v12, 0xbc7a590c :: v_dual_fmaak_f32 v17, s8, v13, 0xbc7a590c
	v_dual_fmaak_f32 v18, s8, v14, 0xbc7a590c :: v_dual_fmaak_f32 v19, s8, v15, 0xbc7a590c
	s_delay_alu instid0(VALU_DEP_2) | instskip(NEXT) | instid1(VALU_DEP_2)
	v_dual_fmaak_f32 v16, v12, v16, 0x3d29fb3f :: v_dual_fmaak_f32 v17, v13, v17, 0x3d29fb3f
	v_dual_fmaak_f32 v18, v14, v18, 0x3d29fb3f :: v_dual_fmaak_f32 v19, v15, v19, 0x3d29fb3f
	;; [unrolled: 3-line block ×7, first 2 shown]
	s_delay_alu instid0(VALU_DEP_2) | instskip(NEXT) | instid1(VALU_DEP_2)
	v_dual_mul_f32 v12, v12, v16 :: v_dual_mul_f32 v13, v13, v17
	v_dual_mul_f32 v14, v14, v18 :: v_dual_mul_f32 v15, v15, v19
	s_delay_alu instid0(VALU_DEP_1) | instskip(NEXT) | instid1(VALU_DEP_1)
	v_dual_fmac_f32 v7, v7, v12 :: v_dual_fmac_f32 v10, v10, v14
	v_dual_fmac_f32 v9, v9, v13 :: v_dual_sub_f32 v12, 0x3fc90fdb, v7
	s_delay_alu instid0(VALU_DEP_2) | instskip(NEXT) | instid1(VALU_DEP_2)
	v_dual_fmac_f32 v11, v11, v15 :: v_dual_sub_f32 v14, 0x3fc90fdb, v10
	v_sub_f32_e32 v13, 0x3fc90fdb, v9
	s_delay_alu instid0(VALU_DEP_3) | instskip(NEXT) | instid1(VALU_DEP_3)
	v_cndmask_b32_e32 v7, v7, v12, vcc_lo
	v_sub_f32_e32 v15, 0x3fc90fdb, v11
	v_cmp_le_i64_e32 vcc_lo, s[6:7], v[1:2]
	v_cndmask_b32_e64 v10, v10, v14, s1
	v_cndmask_b32_e64 v9, v9, v13, s0
	v_cvt_f16_f32_e32 v7, v7
	v_cndmask_b32_e64 v11, v11, v15, s2
	v_cmp_lt_u64_e64 s0, 0xffff, v[1:2]
	v_cvt_f16_f32_e32 v10, v10
	v_cvt_f16_f32_e32 v9, v9
	v_bfi_b32 v5, 0x7fff, v7, v5
	v_cvt_f16_f32_e32 v11, v11
	v_add_co_u32 v1, s1, v1, s4
	s_delay_alu instid0(VALU_DEP_4) | instskip(SKIP_1) | instid1(VALU_DEP_4)
	v_bfi_b32 v6, 0x7fff, v9, v6
	v_bfi_b32 v0, 0x7fff, v10, v0
	;; [unrolled: 1-line block ×3, first 2 shown]
	s_or_b32 s0, vcc_lo, s0
	v_add_co_ci_u32_e64 v2, s1, 0, v2, s1
	s_delay_alu instid0(VALU_DEP_3) | instskip(NEXT) | instid1(VALU_DEP_3)
	v_pack_b32_f16 v6, v6, v0
	v_pack_b32_f16 v5, v5, v7
	s_and_b32 s0, exec_lo, s0
	s_delay_alu instid0(SALU_CYCLE_1)
	s_or_b32 s3, s0, s3
	global_store_b64 v[3:4], v[5:6], off offset:-4
	v_add_co_u32 v3, vcc_lo, v3, s5
	v_add_co_ci_u32_e32 v4, vcc_lo, 0, v4, vcc_lo
	s_and_not1_b32 exec_lo, exec_lo, s3
	s_cbranch_execnz .LBB76_24
.LBB76_25:
	s_nop 0
	s_sendmsg sendmsg(MSG_DEALLOC_VGPRS)
	s_endpgm
	.section	.rodata,"a",@progbits
	.p2align	6, 0x0
	.amdhsa_kernel _ZN2at6native12_GLOBAL__N_125multi_tensor_apply_kernelINS1_18TensorListMetadataILi1EEENS1_14UnaryOpFunctorIN3c104HalfELi1ELi1ELi0EEEJNS0_4AtanIfEEEEEvT_T0_DpT1_
		.amdhsa_group_segment_fixed_size 0
		.amdhsa_private_segment_fixed_size 0
		.amdhsa_kernarg_size 3632
		.amdhsa_user_sgpr_count 15
		.amdhsa_user_sgpr_dispatch_ptr 0
		.amdhsa_user_sgpr_queue_ptr 0
		.amdhsa_user_sgpr_kernarg_segment_ptr 1
		.amdhsa_user_sgpr_dispatch_id 0
		.amdhsa_user_sgpr_private_segment_size 0
		.amdhsa_wavefront_size32 1
		.amdhsa_uses_dynamic_stack 0
		.amdhsa_enable_private_segment 0
		.amdhsa_system_sgpr_workgroup_id_x 1
		.amdhsa_system_sgpr_workgroup_id_y 0
		.amdhsa_system_sgpr_workgroup_id_z 0
		.amdhsa_system_sgpr_workgroup_info 0
		.amdhsa_system_vgpr_workitem_id 0
		.amdhsa_next_free_vgpr 20
		.amdhsa_next_free_sgpr 21
		.amdhsa_reserve_vcc 1
		.amdhsa_float_round_mode_32 0
		.amdhsa_float_round_mode_16_64 0
		.amdhsa_float_denorm_mode_32 3
		.amdhsa_float_denorm_mode_16_64 3
		.amdhsa_dx10_clamp 1
		.amdhsa_ieee_mode 1
		.amdhsa_fp16_overflow 0
		.amdhsa_workgroup_processor_mode 1
		.amdhsa_memory_ordered 1
		.amdhsa_forward_progress 0
		.amdhsa_shared_vgpr_count 0
		.amdhsa_exception_fp_ieee_invalid_op 0
		.amdhsa_exception_fp_denorm_src 0
		.amdhsa_exception_fp_ieee_div_zero 0
		.amdhsa_exception_fp_ieee_overflow 0
		.amdhsa_exception_fp_ieee_underflow 0
		.amdhsa_exception_fp_ieee_inexact 0
		.amdhsa_exception_int_div_zero 0
	.end_amdhsa_kernel
	.section	.text._ZN2at6native12_GLOBAL__N_125multi_tensor_apply_kernelINS1_18TensorListMetadataILi1EEENS1_14UnaryOpFunctorIN3c104HalfELi1ELi1ELi0EEEJNS0_4AtanIfEEEEEvT_T0_DpT1_,"axG",@progbits,_ZN2at6native12_GLOBAL__N_125multi_tensor_apply_kernelINS1_18TensorListMetadataILi1EEENS1_14UnaryOpFunctorIN3c104HalfELi1ELi1ELi0EEEJNS0_4AtanIfEEEEEvT_T0_DpT1_,comdat
.Lfunc_end76:
	.size	_ZN2at6native12_GLOBAL__N_125multi_tensor_apply_kernelINS1_18TensorListMetadataILi1EEENS1_14UnaryOpFunctorIN3c104HalfELi1ELi1ELi0EEEJNS0_4AtanIfEEEEEvT_T0_DpT1_, .Lfunc_end76-_ZN2at6native12_GLOBAL__N_125multi_tensor_apply_kernelINS1_18TensorListMetadataILi1EEENS1_14UnaryOpFunctorIN3c104HalfELi1ELi1ELi0EEEJNS0_4AtanIfEEEEEvT_T0_DpT1_
                                        ; -- End function
	.section	.AMDGPU.csdata,"",@progbits
; Kernel info:
; codeLenInByte = 2260
; NumSgprs: 23
; NumVgprs: 20
; ScratchSize: 0
; MemoryBound: 0
; FloatMode: 240
; IeeeMode: 1
; LDSByteSize: 0 bytes/workgroup (compile time only)
; SGPRBlocks: 2
; VGPRBlocks: 2
; NumSGPRsForWavesPerEU: 23
; NumVGPRsForWavesPerEU: 20
; Occupancy: 16
; WaveLimiterHint : 0
; COMPUTE_PGM_RSRC2:SCRATCH_EN: 0
; COMPUTE_PGM_RSRC2:USER_SGPR: 15
; COMPUTE_PGM_RSRC2:TRAP_HANDLER: 0
; COMPUTE_PGM_RSRC2:TGID_X_EN: 1
; COMPUTE_PGM_RSRC2:TGID_Y_EN: 0
; COMPUTE_PGM_RSRC2:TGID_Z_EN: 0
; COMPUTE_PGM_RSRC2:TIDIG_COMP_CNT: 0
	.section	.text._ZN2at6native12_GLOBAL__N_125multi_tensor_apply_kernelINS1_18TensorListMetadataILi1EEENS1_14UnaryOpFunctorIN3c108BFloat16ELi1ELi1ELi0EEEJNS0_4AtanIfEEEEEvT_T0_DpT1_,"axG",@progbits,_ZN2at6native12_GLOBAL__N_125multi_tensor_apply_kernelINS1_18TensorListMetadataILi1EEENS1_14UnaryOpFunctorIN3c108BFloat16ELi1ELi1ELi0EEEJNS0_4AtanIfEEEEEvT_T0_DpT1_,comdat
	.globl	_ZN2at6native12_GLOBAL__N_125multi_tensor_apply_kernelINS1_18TensorListMetadataILi1EEENS1_14UnaryOpFunctorIN3c108BFloat16ELi1ELi1ELi0EEEJNS0_4AtanIfEEEEEvT_T0_DpT1_ ; -- Begin function _ZN2at6native12_GLOBAL__N_125multi_tensor_apply_kernelINS1_18TensorListMetadataILi1EEENS1_14UnaryOpFunctorIN3c108BFloat16ELi1ELi1ELi0EEEJNS0_4AtanIfEEEEEvT_T0_DpT1_
	.p2align	8
	.type	_ZN2at6native12_GLOBAL__N_125multi_tensor_apply_kernelINS1_18TensorListMetadataILi1EEENS1_14UnaryOpFunctorIN3c108BFloat16ELi1ELi1ELi0EEEJNS0_4AtanIfEEEEEvT_T0_DpT1_,@function
_ZN2at6native12_GLOBAL__N_125multi_tensor_apply_kernelINS1_18TensorListMetadataILi1EEENS1_14UnaryOpFunctorIN3c108BFloat16ELi1ELi1ELi0EEEJNS0_4AtanIfEEEEEvT_T0_DpT1_: ; @_ZN2at6native12_GLOBAL__N_125multi_tensor_apply_kernelINS1_18TensorListMetadataILi1EEENS1_14UnaryOpFunctorIN3c108BFloat16ELi1ELi1ELi0EEEJNS0_4AtanIfEEEEEvT_T0_DpT1_
; %bb.0:
	v_mov_b32_e32 v1, s15
	s_add_u32 s2, s0, s15
	s_mul_hi_u32 s3, s15, 3
	s_mul_i32 s15, s15, 3
	s_addc_u32 s4, s1, 0
	global_load_u8 v1, v1, s[0:1] offset:1760
	s_add_u32 s2, s2, s15
	s_addc_u32 s3, s4, s3
	s_mov_b32 s13, 0
	s_load_b32 s2, s[2:3], 0x820
	s_waitcnt vmcnt(0)
	v_readfirstlane_b32 s5, v1
	s_delay_alu instid0(VALU_DEP_1)
	s_lshl_b32 s3, s5, 3
	s_clause 0x1
	s_load_b64 s[8:9], s[0:1], s3 offset:0x0
	s_load_b64 s[4:5], s[0:1], s3 offset:0x370
	s_waitcnt lgkmcnt(0)
	s_ashr_i32 s3, s2, 31
	s_delay_alu instid0(SALU_CYCLE_1)
	s_lshl_b64 s[10:11], s[2:3], 17
	s_lshl_b64 s[2:3], s[2:3], 16
	s_and_b32 s12, s8, 7
	s_sub_u32 s6, s4, s2
	s_subb_u32 s7, s5, s3
	s_and_b32 s2, s4, 3
	s_mov_b32 s3, s13
	s_delay_alu instid0(SALU_CYCLE_1) | instskip(NEXT) | instid1(SALU_CYCLE_1)
	s_or_b64 s[2:3], s[12:13], s[2:3]
	s_cmp_eq_u64 s[2:3], 0
	s_cbranch_scc1 .LBB77_21
; %bb.1:
	v_cmp_lt_i64_e64 s2, s[6:7], 1
	s_delay_alu instid0(VALU_DEP_1)
	s_and_b32 vcc_lo, exec_lo, s2
	s_cbranch_vccnz .LBB77_20
; %bb.2:
	s_load_b32 s2, s[0:1], 0xd3c
	v_cmp_gt_u64_e64 s3, 0x10000, s[6:7]
	v_lshlrev_b32_e32 v1, 1, v0
	s_mov_b32 s19, 0x3b2d2a58
	s_waitcnt lgkmcnt(0)
	s_and_b32 s2, s2, 0xffff
	s_delay_alu instid0(VALU_DEP_2)
	s_and_b32 s3, s3, exec_lo
	v_add_co_u32 v5, s5, v0, s2
	s_cselect_b32 s13, s7, 0
	s_cselect_b32 s12, s6, 0x10000
	s_lshl_b32 s3, s2, 1
	s_lshl_b32 s16, s2, 2
	v_lshlrev_b32_e32 v3, 1, v5
	v_add_co_ci_u32_e64 v6, null, 0, 0, s5
	s_add_u32 s5, s8, s10
	v_add_co_u32 v9, s3, s3, v0
	s_mul_i32 s4, s2, 3
	s_addc_u32 s14, s9, s11
	v_add_co_ci_u32_e64 v10, null, 0, 0, s3
	v_add_co_u32 v1, s3, s5, v1
	v_add_co_u32 v7, s4, s4, v0
	v_add_co_ci_u32_e64 v2, null, s14, 0, s3
	v_add_co_u32 v3, s3, s5, v3
	v_add_co_ci_u32_e64 v8, null, 0, 0, s4
	v_add_co_ci_u32_e64 v4, null, s14, 0, s3
	s_lshl_b32 s17, s2, 3
	s_mul_i32 s18, s2, 6
	s_mov_b64 s[14:15], 0
	s_branch .LBB77_4
.LBB77_3:                               ;   in Loop: Header=BB77_4 Depth=1
	s_or_b32 exec_lo, exec_lo, s2
	s_add_u32 s14, s14, s16
	s_addc_u32 s15, s15, 0
	v_add_co_u32 v1, vcc_lo, v1, s17
	v_cmp_lt_i64_e64 s2, s[14:15], s[6:7]
	v_cmp_gt_u64_e64 s3, 0x10000, s[14:15]
	v_add_co_ci_u32_e32 v2, vcc_lo, 0, v2, vcc_lo
	v_add_co_u32 v3, vcc_lo, v3, s17
	v_add_co_ci_u32_e32 v4, vcc_lo, 0, v4, vcc_lo
	s_delay_alu instid0(VALU_DEP_4) | instskip(NEXT) | instid1(SALU_CYCLE_1)
	s_and_b32 s2, s2, s3
	s_and_b32 vcc_lo, exec_lo, s2
	s_cbranch_vccz .LBB77_20
.LBB77_4:                               ; =>This Inner Loop Header: Depth=1
	s_waitcnt vmcnt(0)
	v_add_co_u32 v11, s2, v0, s14
	s_delay_alu instid0(VALU_DEP_1) | instskip(SKIP_1) | instid1(VALU_DEP_2)
	v_add_co_ci_u32_e64 v12, null, 0, s15, s2
	v_mov_b32_e32 v14, 0
	v_cmp_gt_u64_e64 s4, s[12:13], v[11:12]
	s_delay_alu instid0(VALU_DEP_1)
	s_and_saveexec_b32 s2, s4
	s_cbranch_execz .LBB77_6
; %bb.5:                                ;   in Loop: Header=BB77_4 Depth=1
	global_load_u16 v14, v[1:2], off
.LBB77_6:                               ;   in Loop: Header=BB77_4 Depth=1
	s_or_b32 exec_lo, exec_lo, s2
	v_add_co_u32 v11, vcc_lo, v5, s14
	v_add_co_ci_u32_e32 v12, vcc_lo, s15, v6, vcc_lo
	v_mov_b32_e32 v13, 0
	s_delay_alu instid0(VALU_DEP_2) | instskip(NEXT) | instid1(VALU_DEP_1)
	v_cmp_gt_u64_e64 s3, s[12:13], v[11:12]
	s_and_saveexec_b32 s2, s3
	s_cbranch_execz .LBB77_8
; %bb.7:                                ;   in Loop: Header=BB77_4 Depth=1
	global_load_u16 v13, v[3:4], off
.LBB77_8:                               ;   in Loop: Header=BB77_4 Depth=1
	s_or_b32 exec_lo, exec_lo, s2
	v_add_co_u32 v11, vcc_lo, v9, s14
	v_add_co_ci_u32_e32 v12, vcc_lo, s15, v10, vcc_lo
	s_delay_alu instid0(VALU_DEP_1) | instskip(SKIP_1) | instid1(VALU_DEP_2)
	v_cmp_gt_u64_e64 s2, s[12:13], v[11:12]
	v_dual_mov_b32 v11, 0 :: v_dual_mov_b32 v12, 0
	s_and_saveexec_b32 s5, s2
	s_cbranch_execz .LBB77_10
; %bb.9:                                ;   in Loop: Header=BB77_4 Depth=1
	v_add_co_u32 v15, vcc_lo, v1, s16
	v_add_co_ci_u32_e32 v16, vcc_lo, 0, v2, vcc_lo
	global_load_u16 v12, v[15:16], off
.LBB77_10:                              ;   in Loop: Header=BB77_4 Depth=1
	s_or_b32 exec_lo, exec_lo, s5
	v_add_co_u32 v15, vcc_lo, v7, s14
	v_add_co_ci_u32_e32 v16, vcc_lo, s15, v8, vcc_lo
	s_delay_alu instid0(VALU_DEP_1)
	v_cmp_gt_u64_e32 vcc_lo, s[12:13], v[15:16]
	s_and_saveexec_b32 s20, vcc_lo
	s_cbranch_execnz .LBB77_15
; %bb.11:                               ;   in Loop: Header=BB77_4 Depth=1
	s_or_b32 exec_lo, exec_lo, s20
	s_and_saveexec_b32 s5, s4
	s_cbranch_execnz .LBB77_16
.LBB77_12:                              ;   in Loop: Header=BB77_4 Depth=1
	s_or_b32 exec_lo, exec_lo, s5
	s_and_saveexec_b32 s4, s3
	s_cbranch_execnz .LBB77_17
.LBB77_13:                              ;   in Loop: Header=BB77_4 Depth=1
	s_or_b32 exec_lo, exec_lo, s4
	s_and_saveexec_b32 s3, s2
	s_cbranch_execnz .LBB77_18
.LBB77_14:                              ;   in Loop: Header=BB77_4 Depth=1
	s_or_b32 exec_lo, exec_lo, s3
	s_and_saveexec_b32 s2, vcc_lo
	s_cbranch_execz .LBB77_3
	s_branch .LBB77_19
.LBB77_15:                              ;   in Loop: Header=BB77_4 Depth=1
	v_add_co_u32 v15, s5, v1, s18
	s_delay_alu instid0(VALU_DEP_1)
	v_add_co_ci_u32_e64 v16, s5, 0, v2, s5
	global_load_u16 v11, v[15:16], off
	s_or_b32 exec_lo, exec_lo, s20
	s_and_saveexec_b32 s5, s4
	s_cbranch_execz .LBB77_12
.LBB77_16:                              ;   in Loop: Header=BB77_4 Depth=1
	s_waitcnt vmcnt(0)
	v_lshlrev_b32_e32 v14, 16, v14
	s_delay_alu instid0(VALU_DEP_1) | instskip(SKIP_3) | instid1(VALU_DEP_1)
	v_rcp_f32_e64 v15, |v14|
	v_cmp_gt_f32_e64 s4, |v14|, 1.0
	s_waitcnt_depctr 0xfff
	v_cndmask_b32_e64 v15, |v14|, v15, s4
	v_mul_f32_e32 v16, v15, v15
	s_delay_alu instid0(VALU_DEP_1) | instskip(NEXT) | instid1(VALU_DEP_1)
	v_fmaak_f32 v17, s19, v16, 0xbc7a590c
	v_fmaak_f32 v17, v16, v17, 0x3d29fb3f
	s_delay_alu instid0(VALU_DEP_1) | instskip(NEXT) | instid1(VALU_DEP_1)
	v_fmaak_f32 v17, v16, v17, 0xbd97d4d7
	v_fmaak_f32 v17, v16, v17, 0x3dd931b2
	s_delay_alu instid0(VALU_DEP_1) | instskip(NEXT) | instid1(VALU_DEP_1)
	v_fmaak_f32 v17, v16, v17, 0xbe1160e6
	v_fmaak_f32 v17, v16, v17, 0x3e4cb8bf
	s_delay_alu instid0(VALU_DEP_1) | instskip(NEXT) | instid1(VALU_DEP_1)
	v_fmaak_f32 v17, v16, v17, 0xbeaaaa62
	v_mul_f32_e32 v16, v16, v17
	s_delay_alu instid0(VALU_DEP_1) | instskip(NEXT) | instid1(VALU_DEP_1)
	v_fmac_f32_e32 v15, v15, v16
	v_sub_f32_e32 v16, 0x3fc90fdb, v15
	s_delay_alu instid0(VALU_DEP_1) | instskip(NEXT) | instid1(VALU_DEP_1)
	v_cndmask_b32_e64 v15, v15, v16, s4
	v_bfi_b32 v14, 0x7fffffff, v15, v14
	s_delay_alu instid0(VALU_DEP_1) | instskip(SKIP_1) | instid1(VALU_DEP_2)
	v_bfe_u32 v15, v14, 16, 1
	v_cmp_o_f32_e64 s4, v14, v14
	v_add3_u32 v15, v14, v15, 0x7fff
	s_delay_alu instid0(VALU_DEP_1) | instskip(NEXT) | instid1(VALU_DEP_1)
	v_lshrrev_b32_e32 v15, 16, v15
	v_cndmask_b32_e64 v14, 0x7fc0, v15, s4
	global_store_b16 v[1:2], v14, off
	s_or_b32 exec_lo, exec_lo, s5
	s_and_saveexec_b32 s4, s3
	s_cbranch_execz .LBB77_13
.LBB77_17:                              ;   in Loop: Header=BB77_4 Depth=1
	s_waitcnt vmcnt(0)
	v_lshlrev_b32_e32 v13, 16, v13
	s_delay_alu instid0(VALU_DEP_1) | instskip(SKIP_3) | instid1(VALU_DEP_1)
	v_rcp_f32_e64 v14, |v13|
	v_cmp_gt_f32_e64 s3, |v13|, 1.0
	s_waitcnt_depctr 0xfff
	v_cndmask_b32_e64 v14, |v13|, v14, s3
	v_mul_f32_e32 v15, v14, v14
	s_delay_alu instid0(VALU_DEP_1) | instskip(NEXT) | instid1(VALU_DEP_1)
	v_fmaak_f32 v16, s19, v15, 0xbc7a590c
	v_fmaak_f32 v16, v15, v16, 0x3d29fb3f
	s_delay_alu instid0(VALU_DEP_1) | instskip(NEXT) | instid1(VALU_DEP_1)
	v_fmaak_f32 v16, v15, v16, 0xbd97d4d7
	v_fmaak_f32 v16, v15, v16, 0x3dd931b2
	s_delay_alu instid0(VALU_DEP_1) | instskip(NEXT) | instid1(VALU_DEP_1)
	v_fmaak_f32 v16, v15, v16, 0xbe1160e6
	v_fmaak_f32 v16, v15, v16, 0x3e4cb8bf
	s_delay_alu instid0(VALU_DEP_1) | instskip(NEXT) | instid1(VALU_DEP_1)
	v_fmaak_f32 v16, v15, v16, 0xbeaaaa62
	v_mul_f32_e32 v15, v15, v16
	s_delay_alu instid0(VALU_DEP_1) | instskip(NEXT) | instid1(VALU_DEP_1)
	v_fmac_f32_e32 v14, v14, v15
	v_sub_f32_e32 v15, 0x3fc90fdb, v14
	s_delay_alu instid0(VALU_DEP_1) | instskip(NEXT) | instid1(VALU_DEP_1)
	v_cndmask_b32_e64 v14, v14, v15, s3
	v_bfi_b32 v13, 0x7fffffff, v14, v13
	s_delay_alu instid0(VALU_DEP_1) | instskip(SKIP_1) | instid1(VALU_DEP_2)
	v_bfe_u32 v14, v13, 16, 1
	v_cmp_o_f32_e64 s3, v13, v13
	v_add3_u32 v14, v13, v14, 0x7fff
	s_delay_alu instid0(VALU_DEP_1) | instskip(NEXT) | instid1(VALU_DEP_1)
	v_lshrrev_b32_e32 v14, 16, v14
	v_cndmask_b32_e64 v13, 0x7fc0, v14, s3
	global_store_b16 v[3:4], v13, off
	s_or_b32 exec_lo, exec_lo, s4
	s_and_saveexec_b32 s3, s2
	s_cbranch_execz .LBB77_14
.LBB77_18:                              ;   in Loop: Header=BB77_4 Depth=1
	s_waitcnt vmcnt(0)
	v_lshlrev_b32_e32 v12, 16, v12
	s_delay_alu instid0(VALU_DEP_1) | instskip(SKIP_3) | instid1(VALU_DEP_1)
	v_rcp_f32_e64 v13, |v12|
	v_cmp_gt_f32_e64 s2, |v12|, 1.0
	s_waitcnt_depctr 0xfff
	v_cndmask_b32_e64 v13, |v12|, v13, s2
	v_mul_f32_e32 v14, v13, v13
	s_delay_alu instid0(VALU_DEP_1) | instskip(NEXT) | instid1(VALU_DEP_1)
	v_fmaak_f32 v15, s19, v14, 0xbc7a590c
	v_fmaak_f32 v15, v14, v15, 0x3d29fb3f
	s_delay_alu instid0(VALU_DEP_1) | instskip(NEXT) | instid1(VALU_DEP_1)
	v_fmaak_f32 v15, v14, v15, 0xbd97d4d7
	v_fmaak_f32 v15, v14, v15, 0x3dd931b2
	;; [unrolled: 3-line block ×3, first 2 shown]
	s_delay_alu instid0(VALU_DEP_1) | instskip(NEXT) | instid1(VALU_DEP_1)
	v_fmaak_f32 v15, v14, v15, 0xbeaaaa62
	v_mul_f32_e32 v14, v14, v15
	s_delay_alu instid0(VALU_DEP_1) | instskip(NEXT) | instid1(VALU_DEP_1)
	v_fmac_f32_e32 v13, v13, v14
	v_sub_f32_e32 v14, 0x3fc90fdb, v13
	s_delay_alu instid0(VALU_DEP_1) | instskip(NEXT) | instid1(VALU_DEP_1)
	v_cndmask_b32_e64 v13, v13, v14, s2
	v_bfi_b32 v12, 0x7fffffff, v13, v12
	s_delay_alu instid0(VALU_DEP_1) | instskip(SKIP_1) | instid1(VALU_DEP_2)
	v_bfe_u32 v13, v12, 16, 1
	v_cmp_o_f32_e64 s2, v12, v12
	v_add3_u32 v13, v12, v13, 0x7fff
	s_delay_alu instid0(VALU_DEP_1) | instskip(NEXT) | instid1(VALU_DEP_1)
	v_lshrrev_b32_e32 v13, 16, v13
	v_cndmask_b32_e64 v14, 0x7fc0, v13, s2
	v_add_co_u32 v12, s2, v1, s16
	s_delay_alu instid0(VALU_DEP_1)
	v_add_co_ci_u32_e64 v13, s2, 0, v2, s2
	global_store_b16 v[12:13], v14, off
	s_or_b32 exec_lo, exec_lo, s3
	s_and_saveexec_b32 s2, vcc_lo
	s_cbranch_execz .LBB77_3
.LBB77_19:                              ;   in Loop: Header=BB77_4 Depth=1
	s_waitcnt vmcnt(0)
	v_lshlrev_b32_e32 v11, 16, v11
	s_delay_alu instid0(VALU_DEP_1) | instskip(SKIP_3) | instid1(VALU_DEP_1)
	v_rcp_f32_e64 v12, |v11|
	v_cmp_gt_f32_e64 vcc_lo, |v11|, 1.0
	s_waitcnt_depctr 0xfff
	v_cndmask_b32_e64 v12, |v11|, v12, vcc_lo
	v_mul_f32_e32 v13, v12, v12
	s_delay_alu instid0(VALU_DEP_1) | instskip(NEXT) | instid1(VALU_DEP_1)
	v_fmaak_f32 v14, s19, v13, 0xbc7a590c
	v_fmaak_f32 v14, v13, v14, 0x3d29fb3f
	s_delay_alu instid0(VALU_DEP_1) | instskip(NEXT) | instid1(VALU_DEP_1)
	v_fmaak_f32 v14, v13, v14, 0xbd97d4d7
	v_fmaak_f32 v14, v13, v14, 0x3dd931b2
	;; [unrolled: 3-line block ×3, first 2 shown]
	s_delay_alu instid0(VALU_DEP_1) | instskip(NEXT) | instid1(VALU_DEP_1)
	v_fmaak_f32 v14, v13, v14, 0xbeaaaa62
	v_mul_f32_e32 v13, v13, v14
	s_delay_alu instid0(VALU_DEP_1) | instskip(NEXT) | instid1(VALU_DEP_1)
	v_fmac_f32_e32 v12, v12, v13
	v_sub_f32_e32 v13, 0x3fc90fdb, v12
	s_delay_alu instid0(VALU_DEP_1) | instskip(NEXT) | instid1(VALU_DEP_1)
	v_cndmask_b32_e32 v12, v12, v13, vcc_lo
	v_bfi_b32 v11, 0x7fffffff, v12, v11
	s_delay_alu instid0(VALU_DEP_1) | instskip(SKIP_1) | instid1(VALU_DEP_2)
	v_bfe_u32 v12, v11, 16, 1
	v_cmp_o_f32_e32 vcc_lo, v11, v11
	v_add3_u32 v12, v11, v12, 0x7fff
	s_delay_alu instid0(VALU_DEP_1) | instskip(NEXT) | instid1(VALU_DEP_1)
	v_lshrrev_b32_e32 v12, 16, v12
	v_cndmask_b32_e32 v13, 0x7fc0, v12, vcc_lo
	v_add_co_u32 v11, vcc_lo, v1, s18
	v_add_co_ci_u32_e32 v12, vcc_lo, 0, v2, vcc_lo
	global_store_b16 v[11:12], v13, off
	s_branch .LBB77_3
.LBB77_20:
	s_cbranch_execz .LBB77_22
	s_branch .LBB77_25
.LBB77_21:
.LBB77_22:
	v_dual_mov_b32 v2, 0 :: v_dual_lshlrev_b32 v1, 2, v0
	s_mov_b32 s3, 0
	s_mov_b32 s2, exec_lo
	s_delay_alu instid0(VALU_DEP_1)
	v_cmpx_gt_i64_e64 s[6:7], v[1:2]
	s_cbranch_execz .LBB77_25
; %bb.23:
	s_load_b32 s0, s[0:1], 0xd3c
	v_lshlrev_b32_e32 v1, 3, v0
	s_waitcnt lgkmcnt(0)
	s_and_b32 s0, s0, 0xffff
	s_add_u32 s1, s8, s10
	s_addc_u32 s2, s9, s11
	v_add_co_u32 v3, s1, s1, v1
	s_delay_alu instid0(VALU_DEP_1)
	v_add_co_ci_u32_e64 v4, null, s2, 0, s1
	v_add_lshl_u32 v1, v0, s0, 2
	s_lshl_b32 s4, s0, 3
	s_lshl_b32 s5, s0, 2
	s_mov_b32 s8, 0x3b2d2a58
.LBB77_24:                              ; =>This Inner Loop Header: Depth=1
	global_load_b64 v[5:6], v[3:4], off
	s_waitcnt vmcnt(0)
	v_alignbit_b32 v7, v6, v5, 16
	v_lshlrev_b32_e32 v0, 16, v5
	s_delay_alu instid0(VALU_DEP_2) | instskip(NEXT) | instid1(VALU_DEP_2)
	v_and_b32_e32 v7, 0xffff0000, v7
	v_rcp_f32_e64 v8, |v0|
	v_cmp_gt_f32_e64 vcc_lo, |v0|, 1.0
	s_delay_alu instid0(VALU_DEP_2) | instskip(SKIP_4) | instid1(VALU_DEP_2)
	v_rcp_f32_e64 v11, |v7|
	v_cmp_gt_f32_e64 s2, |v7|, 1.0
	s_waitcnt_depctr 0xfff
	v_cndmask_b32_e64 v8, |v0|, v8, vcc_lo
	v_cndmask_b32_e64 v11, |v7|, v11, s2
	v_dual_mul_f32 v13, v8, v8 :: v_dual_and_b32 v6, 0xffff0000, v6
	s_delay_alu instid0(VALU_DEP_2) | instskip(NEXT) | instid1(VALU_DEP_2)
	v_mul_f32_e32 v15, v11, v11
	v_rcp_f32_e64 v10, |v6|
	v_cmp_gt_f32_e64 s1, |v6|, 1.0
	s_delay_alu instid0(VALU_DEP_3) | instskip(NEXT) | instid1(VALU_DEP_3)
	v_fmaak_f32 v17, s8, v13, 0xbc7a590c
	v_fmaak_f32 v19, s8, v15, 0xbc7a590c
	s_delay_alu instid0(VALU_DEP_2) | instskip(NEXT) | instid1(VALU_DEP_2)
	v_fmaak_f32 v17, v13, v17, 0x3d29fb3f
	v_fmaak_f32 v19, v15, v19, 0x3d29fb3f
	s_waitcnt_depctr 0xfff
	v_cndmask_b32_e64 v10, |v6|, v10, s1
	v_and_b32_e32 v5, 0xffff0000, v5
	v_fmaak_f32 v17, v13, v17, 0xbd97d4d7
	s_delay_alu instid0(VALU_DEP_3) | instskip(NEXT) | instid1(VALU_DEP_3)
	v_dual_fmaak_f32 v19, v15, v19, 0xbd97d4d7 :: v_dual_mul_f32 v14, v10, v10
	v_rcp_f32_e64 v9, |v5|
	v_cmp_gt_f32_e64 s0, |v5|, 1.0
	s_delay_alu instid0(VALU_DEP_3) | instskip(NEXT) | instid1(VALU_DEP_3)
	v_fmaak_f32 v17, v13, v17, 0x3dd931b2
	v_fmaak_f32 v19, v15, v19, 0x3dd931b2
	;; [unrolled: 1-line block ×3, first 2 shown]
	s_delay_alu instid0(VALU_DEP_3) | instskip(NEXT) | instid1(VALU_DEP_3)
	v_fmaak_f32 v17, v13, v17, 0xbe1160e6
	v_fmaak_f32 v19, v15, v19, 0xbe1160e6
	s_delay_alu instid0(VALU_DEP_3) | instskip(NEXT) | instid1(TRANS32_DEP_1)
	v_fmaak_f32 v18, v14, v18, 0x3d29fb3f
	v_cndmask_b32_e64 v9, |v5|, v9, s0
	s_delay_alu instid0(VALU_DEP_4) | instskip(NEXT) | instid1(VALU_DEP_4)
	v_fmaak_f32 v17, v13, v17, 0x3e4cb8bf
	v_fmaak_f32 v19, v15, v19, 0x3e4cb8bf
	s_delay_alu instid0(VALU_DEP_4) | instskip(NEXT) | instid1(VALU_DEP_4)
	v_fmaak_f32 v18, v14, v18, 0xbd97d4d7
	v_mul_f32_e32 v12, v9, v9
	s_delay_alu instid0(VALU_DEP_4) | instskip(NEXT) | instid1(VALU_DEP_4)
	v_fmaak_f32 v17, v13, v17, 0xbeaaaa62
	v_fmaak_f32 v19, v15, v19, 0xbeaaaa62
	s_delay_alu instid0(VALU_DEP_4) | instskip(NEXT) | instid1(VALU_DEP_3)
	v_fmaak_f32 v18, v14, v18, 0x3dd931b2
	v_dual_fmaak_f32 v16, s8, v12, 0xbc7a590c :: v_dual_mul_f32 v13, v13, v17
	s_delay_alu instid0(VALU_DEP_2) | instskip(NEXT) | instid1(VALU_DEP_2)
	v_dual_mul_f32 v15, v15, v19 :: v_dual_fmaak_f32 v18, v14, v18, 0xbe1160e6
	v_fmaak_f32 v16, v12, v16, 0x3d29fb3f
	s_delay_alu instid0(VALU_DEP_2) | instskip(NEXT) | instid1(VALU_DEP_3)
	v_dual_fmac_f32 v8, v8, v13 :: v_dual_fmac_f32 v11, v11, v15
	v_fmaak_f32 v18, v14, v18, 0x3e4cb8bf
	s_delay_alu instid0(VALU_DEP_3) | instskip(NEXT) | instid1(VALU_DEP_3)
	v_fmaak_f32 v16, v12, v16, 0xbd97d4d7
	v_sub_f32_e32 v13, 0x3fc90fdb, v8
	s_delay_alu instid0(VALU_DEP_4) | instskip(NEXT) | instid1(VALU_DEP_4)
	v_sub_f32_e32 v15, 0x3fc90fdb, v11
	v_fmaak_f32 v18, v14, v18, 0xbeaaaa62
	s_delay_alu instid0(VALU_DEP_4) | instskip(NEXT) | instid1(VALU_DEP_4)
	v_fmaak_f32 v16, v12, v16, 0x3dd931b2
	v_cndmask_b32_e32 v8, v8, v13, vcc_lo
	s_delay_alu instid0(VALU_DEP_4) | instskip(NEXT) | instid1(VALU_DEP_4)
	v_cndmask_b32_e64 v11, v11, v15, s2
	v_mul_f32_e32 v14, v14, v18
	s_delay_alu instid0(VALU_DEP_4) | instskip(NEXT) | instid1(VALU_DEP_4)
	v_fmaak_f32 v16, v12, v16, 0xbe1160e6
	v_bfi_b32 v0, 0x7fffffff, v8, v0
	s_delay_alu instid0(VALU_DEP_4) | instskip(NEXT) | instid1(VALU_DEP_4)
	v_bfi_b32 v7, 0x7fffffff, v11, v7
	v_fmac_f32_e32 v10, v10, v14
	s_delay_alu instid0(VALU_DEP_4) | instskip(NEXT) | instid1(VALU_DEP_3)
	v_fmaak_f32 v16, v12, v16, 0x3e4cb8bf
	v_bfe_u32 v11, v7, 16, 1
	s_delay_alu instid0(VALU_DEP_3) | instskip(NEXT) | instid1(VALU_DEP_3)
	v_sub_f32_e32 v14, 0x3fc90fdb, v10
	v_fmaak_f32 v16, v12, v16, 0xbeaaaa62
	s_delay_alu instid0(VALU_DEP_3) | instskip(NEXT) | instid1(VALU_DEP_3)
	v_add3_u32 v11, v7, v11, 0x7fff
	v_cndmask_b32_e64 v10, v10, v14, s1
	s_delay_alu instid0(VALU_DEP_3) | instskip(NEXT) | instid1(VALU_DEP_3)
	v_mul_f32_e32 v12, v12, v16
	v_lshrrev_b32_e32 v11, 16, v11
	s_delay_alu instid0(VALU_DEP_3) | instskip(NEXT) | instid1(VALU_DEP_3)
	v_bfi_b32 v6, 0x7fffffff, v10, v6
	v_fmac_f32_e32 v9, v9, v12
	s_delay_alu instid0(VALU_DEP_2) | instskip(NEXT) | instid1(VALU_DEP_2)
	v_bfe_u32 v10, v6, 16, 1
	v_sub_f32_e32 v12, 0x3fc90fdb, v9
	s_delay_alu instid0(VALU_DEP_2) | instskip(NEXT) | instid1(VALU_DEP_2)
	v_add3_u32 v10, v6, v10, 0x7fff
	v_cndmask_b32_e64 v9, v9, v12, s0
	v_cmp_lt_u64_e64 s0, 0xffff, v[1:2]
	s_delay_alu instid0(VALU_DEP_3) | instskip(NEXT) | instid1(VALU_DEP_3)
	v_and_b32_e32 v10, 0xffff0000, v10
	v_bfi_b32 v5, 0x7fffffff, v9, v5
	v_bfe_u32 v9, v0, 16, 1
	s_delay_alu instid0(VALU_DEP_2) | instskip(SKIP_1) | instid1(VALU_DEP_3)
	v_bfe_u32 v8, v5, 16, 1
	v_cmp_o_f32_e32 vcc_lo, v5, v5
	v_add3_u32 v9, v0, v9, 0x7fff
	s_delay_alu instid0(VALU_DEP_3) | instskip(NEXT) | instid1(VALU_DEP_2)
	v_add3_u32 v8, v5, v8, 0x7fff
	v_lshrrev_b32_e32 v9, 16, v9
	s_delay_alu instid0(VALU_DEP_2) | instskip(NEXT) | instid1(VALU_DEP_1)
	v_and_b32_e32 v8, 0xffff0000, v8
	v_cndmask_b32_e32 v5, 0x7fc00000, v8, vcc_lo
	v_cmp_o_f32_e32 vcc_lo, v0, v0
	s_delay_alu instid0(VALU_DEP_4) | instskip(SKIP_1) | instid1(VALU_DEP_2)
	v_cndmask_b32_e32 v0, 0x7fc0, v9, vcc_lo
	v_cmp_o_f32_e32 vcc_lo, v6, v6
	v_or_b32_e32 v0, v0, v5
	v_cndmask_b32_e32 v6, 0x7fc00000, v10, vcc_lo
	v_cmp_o_f32_e32 vcc_lo, v7, v7
	s_delay_alu instid0(VALU_DEP_3) | instskip(SKIP_3) | instid1(VALU_DEP_1)
	v_or3_b32 v5, v0, 0, 0
	v_cndmask_b32_e32 v7, 0x7fc0, v11, vcc_lo
	v_cmp_le_i64_e32 vcc_lo, s[6:7], v[1:2]
	v_add_co_u32 v1, s1, v1, s5
	v_add_co_ci_u32_e64 v2, s1, 0, v2, s1
	s_delay_alu instid0(VALU_DEP_4) | instskip(SKIP_1) | instid1(SALU_CYCLE_1)
	v_or3_b32 v6, 0, v7, v6
	s_or_b32 s0, vcc_lo, s0
	s_and_b32 s0, exec_lo, s0
	global_store_b64 v[3:4], v[5:6], off
	v_add_co_u32 v3, vcc_lo, v3, s4
	v_add_co_ci_u32_e32 v4, vcc_lo, 0, v4, vcc_lo
	s_or_b32 s3, s0, s3
	s_delay_alu instid0(SALU_CYCLE_1)
	s_and_not1_b32 exec_lo, exec_lo, s3
	s_cbranch_execnz .LBB77_24
.LBB77_25:
	s_nop 0
	s_sendmsg sendmsg(MSG_DEALLOC_VGPRS)
	s_endpgm
	.section	.rodata,"a",@progbits
	.p2align	6, 0x0
	.amdhsa_kernel _ZN2at6native12_GLOBAL__N_125multi_tensor_apply_kernelINS1_18TensorListMetadataILi1EEENS1_14UnaryOpFunctorIN3c108BFloat16ELi1ELi1ELi0EEEJNS0_4AtanIfEEEEEvT_T0_DpT1_
		.amdhsa_group_segment_fixed_size 0
		.amdhsa_private_segment_fixed_size 0
		.amdhsa_kernarg_size 3632
		.amdhsa_user_sgpr_count 15
		.amdhsa_user_sgpr_dispatch_ptr 0
		.amdhsa_user_sgpr_queue_ptr 0
		.amdhsa_user_sgpr_kernarg_segment_ptr 1
		.amdhsa_user_sgpr_dispatch_id 0
		.amdhsa_user_sgpr_private_segment_size 0
		.amdhsa_wavefront_size32 1
		.amdhsa_uses_dynamic_stack 0
		.amdhsa_enable_private_segment 0
		.amdhsa_system_sgpr_workgroup_id_x 1
		.amdhsa_system_sgpr_workgroup_id_y 0
		.amdhsa_system_sgpr_workgroup_id_z 0
		.amdhsa_system_sgpr_workgroup_info 0
		.amdhsa_system_vgpr_workitem_id 0
		.amdhsa_next_free_vgpr 20
		.amdhsa_next_free_sgpr 21
		.amdhsa_reserve_vcc 1
		.amdhsa_float_round_mode_32 0
		.amdhsa_float_round_mode_16_64 0
		.amdhsa_float_denorm_mode_32 3
		.amdhsa_float_denorm_mode_16_64 3
		.amdhsa_dx10_clamp 1
		.amdhsa_ieee_mode 1
		.amdhsa_fp16_overflow 0
		.amdhsa_workgroup_processor_mode 1
		.amdhsa_memory_ordered 1
		.amdhsa_forward_progress 0
		.amdhsa_shared_vgpr_count 0
		.amdhsa_exception_fp_ieee_invalid_op 0
		.amdhsa_exception_fp_denorm_src 0
		.amdhsa_exception_fp_ieee_div_zero 0
		.amdhsa_exception_fp_ieee_overflow 0
		.amdhsa_exception_fp_ieee_underflow 0
		.amdhsa_exception_fp_ieee_inexact 0
		.amdhsa_exception_int_div_zero 0
	.end_amdhsa_kernel
	.section	.text._ZN2at6native12_GLOBAL__N_125multi_tensor_apply_kernelINS1_18TensorListMetadataILi1EEENS1_14UnaryOpFunctorIN3c108BFloat16ELi1ELi1ELi0EEEJNS0_4AtanIfEEEEEvT_T0_DpT1_,"axG",@progbits,_ZN2at6native12_GLOBAL__N_125multi_tensor_apply_kernelINS1_18TensorListMetadataILi1EEENS1_14UnaryOpFunctorIN3c108BFloat16ELi1ELi1ELi0EEEJNS0_4AtanIfEEEEEvT_T0_DpT1_,comdat
.Lfunc_end77:
	.size	_ZN2at6native12_GLOBAL__N_125multi_tensor_apply_kernelINS1_18TensorListMetadataILi1EEENS1_14UnaryOpFunctorIN3c108BFloat16ELi1ELi1ELi0EEEJNS0_4AtanIfEEEEEvT_T0_DpT1_, .Lfunc_end77-_ZN2at6native12_GLOBAL__N_125multi_tensor_apply_kernelINS1_18TensorListMetadataILi1EEENS1_14UnaryOpFunctorIN3c108BFloat16ELi1ELi1ELi0EEEJNS0_4AtanIfEEEEEvT_T0_DpT1_
                                        ; -- End function
	.section	.AMDGPU.csdata,"",@progbits
; Kernel info:
; codeLenInByte = 2696
; NumSgprs: 23
; NumVgprs: 20
; ScratchSize: 0
; MemoryBound: 0
; FloatMode: 240
; IeeeMode: 1
; LDSByteSize: 0 bytes/workgroup (compile time only)
; SGPRBlocks: 2
; VGPRBlocks: 2
; NumSGPRsForWavesPerEU: 23
; NumVGPRsForWavesPerEU: 20
; Occupancy: 16
; WaveLimiterHint : 0
; COMPUTE_PGM_RSRC2:SCRATCH_EN: 0
; COMPUTE_PGM_RSRC2:USER_SGPR: 15
; COMPUTE_PGM_RSRC2:TRAP_HANDLER: 0
; COMPUTE_PGM_RSRC2:TGID_X_EN: 1
; COMPUTE_PGM_RSRC2:TGID_Y_EN: 0
; COMPUTE_PGM_RSRC2:TGID_Z_EN: 0
; COMPUTE_PGM_RSRC2:TIDIG_COMP_CNT: 0
	.section	.text._ZN2at6native12_GLOBAL__N_125multi_tensor_apply_kernelINS1_18TensorListMetadataILi2EEENS1_14UnaryOpFunctorIdLi2ELi1ELi1EEEJNS0_4CoshIdEEEEEvT_T0_DpT1_,"axG",@progbits,_ZN2at6native12_GLOBAL__N_125multi_tensor_apply_kernelINS1_18TensorListMetadataILi2EEENS1_14UnaryOpFunctorIdLi2ELi1ELi1EEEJNS0_4CoshIdEEEEEvT_T0_DpT1_,comdat
	.globl	_ZN2at6native12_GLOBAL__N_125multi_tensor_apply_kernelINS1_18TensorListMetadataILi2EEENS1_14UnaryOpFunctorIdLi2ELi1ELi1EEEJNS0_4CoshIdEEEEEvT_T0_DpT1_ ; -- Begin function _ZN2at6native12_GLOBAL__N_125multi_tensor_apply_kernelINS1_18TensorListMetadataILi2EEENS1_14UnaryOpFunctorIdLi2ELi1ELi1EEEJNS0_4CoshIdEEEEEvT_T0_DpT1_
	.p2align	8
	.type	_ZN2at6native12_GLOBAL__N_125multi_tensor_apply_kernelINS1_18TensorListMetadataILi2EEENS1_14UnaryOpFunctorIdLi2ELi1ELi1EEEJNS0_4CoshIdEEEEEvT_T0_DpT1_,@function
_ZN2at6native12_GLOBAL__N_125multi_tensor_apply_kernelINS1_18TensorListMetadataILi2EEENS1_14UnaryOpFunctorIdLi2ELi1ELi1EEEJNS0_4CoshIdEEEEEvT_T0_DpT1_: ; @_ZN2at6native12_GLOBAL__N_125multi_tensor_apply_kernelINS1_18TensorListMetadataILi2EEENS1_14UnaryOpFunctorIdLi2ELi1ELi1EEEJNS0_4CoshIdEEEEEvT_T0_DpT1_
; %bb.0:
	v_mov_b32_e32 v1, s15
	s_add_u32 s2, s0, s15
	s_mul_hi_u32 s3, s15, 3
	s_mul_i32 s15, s15, 3
	s_addc_u32 s4, s1, 0
	global_load_u8 v1, v1, s[0:1] offset:1536
	s_add_u32 s2, s2, s15
	s_addc_u32 s3, s4, s3
	s_mov_b32 s7, 0
	s_load_b32 s2, s[2:3], 0x740
	s_mov_b32 s11, s7
	s_mov_b32 s17, s7
	s_waitcnt vmcnt(0)
	v_readfirstlane_b32 s5, v1
	s_delay_alu instid0(VALU_DEP_1)
	s_lshl_b32 s3, s5, 3
	s_clause 0x2
	s_load_b64 s[14:15], s[0:1], s3 offset:0x0
	s_load_b64 s[12:13], s[0:1], s3 offset:0x200
	;; [unrolled: 1-line block ×3, first 2 shown]
	s_waitcnt lgkmcnt(0)
	s_ashr_i32 s3, s2, 31
	s_delay_alu instid0(SALU_CYCLE_1) | instskip(NEXT) | instid1(SALU_CYCLE_1)
	s_lshl_b64 s[8:9], s[2:3], 19
	s_add_u32 s33, s14, s8
	s_addc_u32 s54, s15, s9
	s_and_b32 s6, s33, 31
	s_add_u32 s55, s12, s8
	s_addc_u32 s56, s13, s9
	s_and_b32 s10, s4, 3
	s_and_b32 s16, s55, 31
	s_or_b64 s[6:7], s[6:7], s[10:11]
	s_lshl_b64 s[2:3], s[2:3], 16
	s_or_b64 s[6:7], s[16:17], s[6:7]
	s_sub_u32 s10, s4, s2
	s_subb_u32 s11, s5, s3
	s_cmp_eq_u64 s[6:7], 0
	s_mov_b32 s2, -1
	s_cbranch_scc0 .LBB78_5
; %bb.1:
	v_dual_mov_b32 v10, 0 :: v_dual_lshlrev_b32 v9, 2, v0
	s_mov_b32 s57, exec_lo
	s_delay_alu instid0(VALU_DEP_1)
	v_cmpx_gt_i64_e64 s[10:11], v[9:10]
	s_cbranch_execz .LBB78_4
; %bb.2:
	s_load_b32 s2, s[0:1], 0xc5c
	v_lshlrev_b32_e32 v11, 5, v0
	s_mov_b32 s16, 0xfefa39ef
	s_mov_b32 s17, 0xbfe62e42
	s_mov_b32 s18, 0x3b39803f
	s_mov_b32 s20, 0x652b82fe
	s_mov_b32 s22, 0xf278e000
	s_mov_b32 s24, 0xf97b57a0
	s_mov_b32 s26, 0xfca7ab0c
	s_mov_b32 s28, 0x6a5dcb37
	s_mov_b32 s30, 0x623fde64
	s_mov_b32 s34, 0x7c89e6b0
	s_mov_b32 s36, 0x14761f6e
	s_mov_b32 s38, 0x1852b7b0
	s_mov_b32 s40, 0x11122322
	s_mov_b32 s42, 0x555502a1
	s_mov_b32 s44, 0x55555511
	s_mov_b32 s46, 11
	s_mov_b32 s48, 0x8fb9f87e
	s_mov_b32 s58, 0
	s_waitcnt lgkmcnt(0)
	s_and_b32 s2, s2, 0xffff
	s_mov_b32 s19, 0xbc7abc9e
	v_add_lshl_u32 v9, v0, s2, 2
	s_mov_b32 s21, 0x3ff71547
	s_mov_b32 s23, 0x3d53de6a
	;; [unrolled: 1-line block ×6, first 2 shown]
	s_lshl_b32 s59, s2, 2
	s_lshl_b32 s60, s2, 5
	s_mov_b32 s35, 0x3efa0199
	s_mov_b32 s37, 0x3f2a01a0
	;; [unrolled: 1-line block ×12, first 2 shown]
.LBB78_3:                               ; =>This Inner Loop Header: Depth=1
	v_add_co_u32 v1, s2, s33, v11
	s_delay_alu instid0(VALU_DEP_1)
	v_add_co_ci_u32_e64 v2, null, s54, 0, s2
	v_cmp_le_i64_e64 s5, s[10:11], v[9:10]
	v_cmp_lt_u64_e64 s6, 0xffff, v[9:10]
	s_clause 0x1
	global_load_b128 v[5:8], v[1:2], off
	global_load_b128 v[1:4], v[1:2], off offset:16
	s_or_b32 s5, s5, s6
	s_add_u32 s33, s33, s60
	s_addc_u32 s54, s54, 0
	s_waitcnt vmcnt(1)
	v_add_f64 v[12:13], |v[5:6]|, s[16:17]
	v_add_f64 v[14:15], |v[7:8]|, s[16:17]
	s_waitcnt vmcnt(0)
	v_add_f64 v[16:17], |v[1:2]|, s[16:17]
	v_add_f64 v[18:19], |v[3:4]|, s[16:17]
	v_cmp_nge_f64_e64 vcc_lo, |v[5:6]|, s[48:49]
	v_cmp_nge_f64_e64 s2, |v[7:8]|, s[48:49]
	v_cmp_nge_f64_e64 s3, |v[1:2]|, s[48:49]
	;; [unrolled: 1-line block ×3, first 2 shown]
	v_add_f64 v[20:21], v[12:13], -|v[5:6]|
	v_add_f64 v[22:23], v[14:15], -|v[7:8]|
	;; [unrolled: 1-line block ×4, first 2 shown]
	s_delay_alu instid0(VALU_DEP_4) | instskip(NEXT) | instid1(VALU_DEP_4)
	v_add_f64 v[28:29], v[20:21], -v[12:13]
	v_add_f64 v[30:31], v[22:23], -v[14:15]
	s_delay_alu instid0(VALU_DEP_4) | instskip(NEXT) | instid1(VALU_DEP_4)
	v_add_f64 v[32:33], v[24:25], -v[16:17]
	v_add_f64 v[34:35], v[26:27], -v[18:19]
	v_add_f64 v[20:21], v[20:21], s[50:51]
	v_add_f64 v[22:23], v[22:23], s[50:51]
	v_add_f64 v[24:25], v[24:25], s[50:51]
	v_add_f64 v[26:27], v[26:27], s[50:51]
	v_add_f64 v[28:29], |v[5:6]|, v[28:29]
	v_add_f64 v[30:31], |v[7:8]|, v[30:31]
	;; [unrolled: 1-line block ×4, first 2 shown]
	s_delay_alu instid0(VALU_DEP_4) | instskip(NEXT) | instid1(VALU_DEP_4)
	v_add_f64 v[20:21], v[28:29], -v[20:21]
	v_add_f64 v[22:23], v[30:31], -v[22:23]
	s_delay_alu instid0(VALU_DEP_4) | instskip(NEXT) | instid1(VALU_DEP_4)
	v_add_f64 v[24:25], v[32:33], -v[24:25]
	v_add_f64 v[26:27], v[34:35], -v[26:27]
	s_delay_alu instid0(VALU_DEP_4) | instskip(NEXT) | instid1(VALU_DEP_4)
	v_add_f64 v[20:21], v[20:21], s[18:19]
	v_add_f64 v[22:23], v[22:23], s[18:19]
	s_delay_alu instid0(VALU_DEP_4) | instskip(NEXT) | instid1(VALU_DEP_4)
	v_add_f64 v[24:25], v[24:25], s[18:19]
	v_add_f64 v[26:27], v[26:27], s[18:19]
	s_delay_alu instid0(VALU_DEP_4) | instskip(NEXT) | instid1(VALU_DEP_4)
	v_add_f64 v[28:29], v[12:13], v[20:21]
	v_add_f64 v[30:31], v[14:15], v[22:23]
	s_delay_alu instid0(VALU_DEP_4) | instskip(NEXT) | instid1(VALU_DEP_4)
	v_add_f64 v[32:33], v[16:17], v[24:25]
	v_add_f64 v[34:35], v[18:19], v[26:27]
	s_delay_alu instid0(VALU_DEP_4) | instskip(NEXT) | instid1(VALU_DEP_4)
	v_mul_f64 v[36:37], v[28:29], s[20:21]
	v_mul_f64 v[38:39], v[30:31], s[20:21]
	s_delay_alu instid0(VALU_DEP_4) | instskip(NEXT) | instid1(VALU_DEP_4)
	v_mul_f64 v[40:41], v[32:33], s[20:21]
	v_mul_f64 v[42:43], v[34:35], s[20:21]
	v_add_f64 v[12:13], v[12:13], -v[28:29]
	v_add_f64 v[14:15], v[14:15], -v[30:31]
	;; [unrolled: 1-line block ×4, first 2 shown]
	v_rndne_f64_e32 v[36:37], v[36:37]
	v_rndne_f64_e32 v[38:39], v[38:39]
	;; [unrolled: 1-line block ×4, first 2 shown]
	v_add_f64 v[12:13], v[20:21], v[12:13]
	v_add_f64 v[14:15], v[22:23], v[14:15]
	;; [unrolled: 1-line block ×4, first 2 shown]
	v_fma_f64 v[20:21], v[36:37], s[52:53], v[28:29]
	v_fma_f64 v[22:23], v[38:39], s[52:53], v[30:31]
	;; [unrolled: 1-line block ×4, first 2 shown]
	v_mul_f64 v[28:29], v[36:37], s[22:23]
	v_mul_f64 v[30:31], v[38:39], s[22:23]
	;; [unrolled: 1-line block ×4, first 2 shown]
	v_add_f64 v[44:45], v[12:13], v[20:21]
	v_add_f64 v[46:47], v[14:15], v[22:23]
	;; [unrolled: 1-line block ×4, first 2 shown]
	s_delay_alu instid0(VALU_DEP_4) | instskip(NEXT) | instid1(VALU_DEP_4)
	v_add_f64 v[52:53], v[44:45], -v[28:29]
	v_add_f64 v[54:55], v[46:47], -v[30:31]
	s_delay_alu instid0(VALU_DEP_4) | instskip(NEXT) | instid1(VALU_DEP_4)
	v_add_f64 v[56:57], v[48:49], -v[32:33]
	v_add_f64 v[58:59], v[50:51], -v[34:35]
	;; [unrolled: 1-line block ×10, first 2 shown]
	v_add_f64 v[12:13], v[12:13], v[20:21]
	v_add_f64 v[14:15], v[14:15], v[22:23]
	v_add_f64 v[16:17], v[16:17], v[24:25]
	v_add_f64 v[18:19], v[18:19], v[26:27]
	v_add_f64 v[20:21], v[44:45], -v[28:29]
	v_add_f64 v[22:23], v[46:47], -v[30:31]
	;; [unrolled: 1-line block ×4, first 2 shown]
	s_delay_alu instid0(VALU_DEP_4) | instskip(NEXT) | instid1(VALU_DEP_4)
	v_add_f64 v[12:13], v[12:13], v[20:21]
	v_add_f64 v[14:15], v[14:15], v[22:23]
	s_delay_alu instid0(VALU_DEP_4) | instskip(NEXT) | instid1(VALU_DEP_4)
	v_add_f64 v[16:17], v[16:17], v[24:25]
	v_add_f64 v[18:19], v[18:19], v[26:27]
	v_mul_f64 v[20:21], v[36:37], s[24:25]
	v_mul_f64 v[22:23], v[38:39], s[24:25]
	;; [unrolled: 1-line block ×4, first 2 shown]
	v_add_f64 v[28:29], v[52:53], v[12:13]
	v_add_f64 v[30:31], v[54:55], v[14:15]
	;; [unrolled: 1-line block ×4, first 2 shown]
	s_delay_alu instid0(VALU_DEP_4) | instskip(NEXT) | instid1(VALU_DEP_4)
	v_add_f64 v[44:45], v[28:29], -v[20:21]
	v_add_f64 v[46:47], v[30:31], -v[22:23]
	s_delay_alu instid0(VALU_DEP_4) | instskip(NEXT) | instid1(VALU_DEP_4)
	v_add_f64 v[48:49], v[32:33], -v[24:25]
	v_add_f64 v[50:51], v[34:35], -v[26:27]
	;; [unrolled: 1-line block ×10, first 2 shown]
	v_add_f64 v[12:13], v[12:13], v[52:53]
	v_add_f64 v[14:15], v[14:15], v[54:55]
	;; [unrolled: 1-line block ×4, first 2 shown]
	v_add_f64 v[20:21], v[28:29], -v[20:21]
	v_add_f64 v[22:23], v[30:31], -v[22:23]
	;; [unrolled: 1-line block ×4, first 2 shown]
	s_delay_alu instid0(VALU_DEP_4) | instskip(NEXT) | instid1(VALU_DEP_4)
	v_add_f64 v[12:13], v[12:13], v[20:21]
	v_add_f64 v[14:15], v[14:15], v[22:23]
	s_delay_alu instid0(VALU_DEP_4) | instskip(NEXT) | instid1(VALU_DEP_4)
	v_add_f64 v[16:17], v[16:17], v[24:25]
	v_add_f64 v[18:19], v[18:19], v[26:27]
	;; [unrolled: 3-line block ×4, first 2 shown]
	s_delay_alu instid0(VALU_DEP_4) | instskip(NEXT) | instid1(VALU_DEP_4)
	v_fma_f64 v[28:29], v[20:21], s[28:29], s[26:27]
	v_fma_f64 v[30:31], v[22:23], s[28:29], s[26:27]
	s_delay_alu instid0(VALU_DEP_4) | instskip(NEXT) | instid1(VALU_DEP_4)
	v_fma_f64 v[32:33], v[24:25], s[28:29], s[26:27]
	v_fma_f64 v[34:35], v[26:27], s[28:29], s[26:27]
	v_add_f64 v[44:45], v[44:45], -v[20:21]
	v_add_f64 v[46:47], v[46:47], -v[22:23]
	;; [unrolled: 1-line block ×4, first 2 shown]
	v_mul_f64 v[52:53], v[20:21], v[20:21]
	v_mul_f64 v[54:55], v[22:23], v[22:23]
	;; [unrolled: 1-line block ×4, first 2 shown]
	v_fma_f64 v[28:29], v[20:21], v[28:29], s[30:31]
	v_fma_f64 v[30:31], v[22:23], v[30:31], s[30:31]
	;; [unrolled: 1-line block ×4, first 2 shown]
	v_add_f64 v[12:13], v[12:13], v[44:45]
	v_add_f64 v[14:15], v[14:15], v[46:47]
	;; [unrolled: 1-line block ×4, first 2 shown]
	v_fma_f64 v[44:45], v[20:21], v[20:21], -v[52:53]
	v_fma_f64 v[46:47], v[22:23], v[22:23], -v[54:55]
	;; [unrolled: 1-line block ×4, first 2 shown]
	v_fma_f64 v[28:29], v[20:21], v[28:29], s[34:35]
	v_fma_f64 v[30:31], v[22:23], v[30:31], s[34:35]
	;; [unrolled: 1-line block ×4, first 2 shown]
	v_add_f64 v[60:61], v[12:13], v[12:13]
	v_add_f64 v[62:63], v[14:15], v[14:15]
	v_add_f64 v[64:65], v[16:17], v[16:17]
	v_add_f64 v[66:67], v[18:19], v[18:19]
	v_fma_f64 v[28:29], v[20:21], v[28:29], s[36:37]
	v_fma_f64 v[30:31], v[22:23], v[30:31], s[36:37]
	;; [unrolled: 1-line block ×12, first 2 shown]
	v_add_f64 v[60:61], v[52:53], v[44:45]
	v_add_f64 v[62:63], v[54:55], v[46:47]
	;; [unrolled: 1-line block ×4, first 2 shown]
	v_fma_f64 v[28:29], v[20:21], v[28:29], s[40:41]
	v_fma_f64 v[30:31], v[22:23], v[30:31], s[40:41]
	;; [unrolled: 1-line block ×4, first 2 shown]
	v_add_f64 v[52:53], v[60:61], -v[52:53]
	v_add_f64 v[54:55], v[62:63], -v[54:55]
	;; [unrolled: 1-line block ×4, first 2 shown]
	v_fma_f64 v[28:29], v[20:21], v[28:29], s[42:43]
	v_fma_f64 v[30:31], v[22:23], v[30:31], s[42:43]
	v_fma_f64 v[32:33], v[24:25], v[32:33], s[42:43]
	v_fma_f64 v[34:35], v[26:27], v[34:35], s[42:43]
	v_add_f64 v[44:45], v[44:45], -v[52:53]
	v_add_f64 v[46:47], v[46:47], -v[54:55]
	;; [unrolled: 1-line block ×4, first 2 shown]
	v_fma_f64 v[28:29], v[20:21], v[28:29], s[44:45]
	v_fma_f64 v[30:31], v[22:23], v[30:31], s[44:45]
	;; [unrolled: 1-line block ×4, first 2 shown]
	s_delay_alu instid0(VALU_DEP_4) | instskip(NEXT) | instid1(VALU_DEP_4)
	v_fma_f64 v[28:29], v[20:21], v[28:29], s[46:47]
	v_fma_f64 v[30:31], v[22:23], v[30:31], s[46:47]
	s_delay_alu instid0(VALU_DEP_4) | instskip(NEXT) | instid1(VALU_DEP_4)
	v_fma_f64 v[32:33], v[24:25], v[32:33], s[46:47]
	v_fma_f64 v[34:35], v[26:27], v[34:35], s[46:47]
	s_delay_alu instid0(VALU_DEP_4) | instskip(NEXT) | instid1(VALU_DEP_4)
	v_mul_f64 v[68:69], v[60:61], v[28:29]
	v_mul_f64 v[70:71], v[62:63], v[30:31]
	s_delay_alu instid0(VALU_DEP_4) | instskip(NEXT) | instid1(VALU_DEP_4)
	v_mul_f64 v[72:73], v[64:65], v[32:33]
	v_mul_f64 v[74:75], v[66:67], v[34:35]
	s_delay_alu instid0(VALU_DEP_4) | instskip(NEXT) | instid1(VALU_DEP_4)
	v_fma_f64 v[52:53], v[60:61], v[28:29], -v[68:69]
	v_fma_f64 v[54:55], v[62:63], v[30:31], -v[70:71]
	s_delay_alu instid0(VALU_DEP_4) | instskip(NEXT) | instid1(VALU_DEP_4)
	v_fma_f64 v[56:57], v[64:65], v[32:33], -v[72:73]
	v_fma_f64 v[58:59], v[66:67], v[34:35], -v[74:75]
	s_delay_alu instid0(VALU_DEP_4) | instskip(NEXT) | instid1(VALU_DEP_4)
	v_fma_f64 v[28:29], v[44:45], v[28:29], v[52:53]
	v_fma_f64 v[30:31], v[46:47], v[30:31], v[54:55]
	s_delay_alu instid0(VALU_DEP_4) | instskip(NEXT) | instid1(VALU_DEP_4)
	v_fma_f64 v[32:33], v[48:49], v[32:33], v[56:57]
	v_fma_f64 v[34:35], v[50:51], v[34:35], v[58:59]
	s_delay_alu instid0(VALU_DEP_4) | instskip(NEXT) | instid1(VALU_DEP_4)
	v_add_f64 v[44:45], v[68:69], v[28:29]
	v_add_f64 v[46:47], v[70:71], v[30:31]
	s_delay_alu instid0(VALU_DEP_4) | instskip(NEXT) | instid1(VALU_DEP_4)
	v_add_f64 v[48:49], v[72:73], v[32:33]
	v_add_f64 v[50:51], v[74:75], v[34:35]
	s_delay_alu instid0(VALU_DEP_4)
	v_add_f64 v[52:53], v[20:21], v[44:45]
	v_add_f64 v[54:55], v[44:45], -v[68:69]
	v_add_f64 v[56:57], v[22:23], v[46:47]
	v_add_f64 v[58:59], v[46:47], -v[70:71]
	;; [unrolled: 2-line block ×4, first 2 shown]
	v_add_f64 v[20:21], v[52:53], -v[20:21]
	v_add_f64 v[28:29], v[28:29], -v[54:55]
	;; [unrolled: 1-line block ×8, first 2 shown]
	v_cvt_i32_f64_e32 v62, v[40:41]
	v_cvt_i32_f64_e32 v63, v[42:43]
	v_add_f64 v[20:21], v[44:45], -v[20:21]
	v_add_f64 v[12:13], v[12:13], v[28:29]
	v_add_f64 v[22:23], v[46:47], -v[22:23]
	v_add_f64 v[14:15], v[14:15], v[30:31]
	;; [unrolled: 2-line block ×4, first 2 shown]
	v_add_f64 v[12:13], v[12:13], v[20:21]
	v_add_f64 v[14:15], v[14:15], v[22:23]
	;; [unrolled: 1-line block ×3, first 2 shown]
	s_delay_alu instid0(VALU_DEP_4) | instskip(NEXT) | instid1(VALU_DEP_4)
	v_add_f64 v[18:19], v[18:19], v[26:27]
	v_add_f64 v[20:21], v[52:53], v[12:13]
	s_delay_alu instid0(VALU_DEP_4) | instskip(NEXT) | instid1(VALU_DEP_4)
	v_add_f64 v[22:23], v[56:57], v[14:15]
	v_add_f64 v[24:25], v[60:61], v[16:17]
	s_delay_alu instid0(VALU_DEP_4) | instskip(NEXT) | instid1(VALU_DEP_4)
	v_add_f64 v[26:27], v[64:65], v[18:19]
	v_add_f64 v[28:29], v[20:21], 1.0
	v_add_f64 v[44:45], v[20:21], -v[52:53]
	v_add_f64 v[30:31], v[22:23], 1.0
	v_add_f64 v[46:47], v[22:23], -v[56:57]
	;; [unrolled: 2-line block ×4, first 2 shown]
	v_cvt_i32_f64_e32 v60, v[36:37]
	v_cvt_i32_f64_e32 v61, v[38:39]
	v_add_f64 v[52:53], v[28:29], -1.0
	v_add_f64 v[12:13], v[12:13], -v[44:45]
	v_add_f64 v[54:55], v[30:31], -1.0
	v_add_f64 v[14:15], v[14:15], -v[46:47]
	;; [unrolled: 2-line block ×4, first 2 shown]
	v_add_f64 v[20:21], v[20:21], -v[52:53]
	v_add_f64 v[22:23], v[22:23], -v[54:55]
	;; [unrolled: 1-line block ×4, first 2 shown]
	s_delay_alu instid0(VALU_DEP_4) | instskip(NEXT) | instid1(VALU_DEP_4)
	v_add_f64 v[12:13], v[12:13], v[20:21]
	v_add_f64 v[14:15], v[14:15], v[22:23]
	s_delay_alu instid0(VALU_DEP_4) | instskip(NEXT) | instid1(VALU_DEP_4)
	v_add_f64 v[16:17], v[16:17], v[24:25]
	v_add_f64 v[18:19], v[18:19], v[26:27]
	;; [unrolled: 3-line block ×4, first 2 shown]
	s_delay_alu instid0(VALU_DEP_4)
	v_ldexp_f64 v[36:37], v[20:21], v60
	v_add_f64 v[20:21], v[20:21], -v[28:29]
	v_ldexp_f64 v[38:39], v[22:23], v61
	v_add_f64 v[22:23], v[22:23], -v[30:31]
	;; [unrolled: 2-line block ×4, first 2 shown]
	v_rcp_f64_e32 v[44:45], v[36:37]
	v_add_f64 v[12:13], v[12:13], -v[20:21]
	v_rcp_f64_e32 v[46:47], v[38:39]
	v_add_f64 v[14:15], v[14:15], -v[22:23]
	;; [unrolled: 2-line block ×3, first 2 shown]
	v_rcp_f64_e32 v[50:51], v[42:43]
	s_delay_alu instid0(VALU_DEP_4) | instskip(NEXT) | instid1(VALU_DEP_4)
	v_add_f64 v[18:19], v[18:19], -v[26:27]
	v_ldexp_f64 v[12:13], v[12:13], v60
	v_fma_f64 v[52:53], -v[36:37], v[44:45], 1.0
	v_ldexp_f64 v[14:15], v[14:15], v61
	s_delay_alu instid0(TRANS32_DEP_3) | instskip(SKIP_1) | instid1(TRANS32_DEP_2)
	v_fma_f64 v[54:55], -v[38:39], v[46:47], 1.0
	v_ldexp_f64 v[16:17], v[16:17], v62
	v_fma_f64 v[56:57], -v[40:41], v[48:49], 1.0
	v_ldexp_f64 v[18:19], v[18:19], v63
	s_delay_alu instid0(TRANS32_DEP_1) | instskip(SKIP_3) | instid1(VALU_DEP_4)
	v_fma_f64 v[58:59], -v[42:43], v[50:51], 1.0
	v_fma_f64 v[44:45], v[52:53], v[44:45], v[44:45]
	v_fma_f64 v[46:47], v[54:55], v[46:47], v[46:47]
	;; [unrolled: 1-line block ×4, first 2 shown]
	s_delay_alu instid0(VALU_DEP_4) | instskip(NEXT) | instid1(VALU_DEP_4)
	v_fma_f64 v[52:53], -v[36:37], v[44:45], 1.0
	v_fma_f64 v[54:55], -v[38:39], v[46:47], 1.0
	s_delay_alu instid0(VALU_DEP_4) | instskip(NEXT) | instid1(VALU_DEP_4)
	v_fma_f64 v[56:57], -v[40:41], v[48:49], 1.0
	v_fma_f64 v[58:59], -v[42:43], v[50:51], 1.0
	s_delay_alu instid0(VALU_DEP_4) | instskip(NEXT) | instid1(VALU_DEP_4)
	v_fma_f64 v[28:29], v[52:53], v[44:45], v[44:45]
	v_fma_f64 v[30:31], v[54:55], v[46:47], v[46:47]
	s_delay_alu instid0(VALU_DEP_4) | instskip(NEXT) | instid1(VALU_DEP_4)
	v_fma_f64 v[32:33], v[56:57], v[48:49], v[48:49]
	v_fma_f64 v[34:35], v[58:59], v[50:51], v[50:51]
	s_delay_alu instid0(VALU_DEP_4) | instskip(NEXT) | instid1(VALU_DEP_4)
	v_mul_f64 v[20:21], v[36:37], v[28:29]
	v_mul_f64 v[22:23], v[38:39], v[30:31]
	s_delay_alu instid0(VALU_DEP_4) | instskip(NEXT) | instid1(VALU_DEP_4)
	v_mul_f64 v[24:25], v[40:41], v[32:33]
	v_mul_f64 v[26:27], v[42:43], v[34:35]
	s_delay_alu instid0(VALU_DEP_4) | instskip(NEXT) | instid1(VALU_DEP_4)
	v_fma_f64 v[44:45], v[28:29], v[36:37], -v[20:21]
	v_fma_f64 v[46:47], v[30:31], v[38:39], -v[22:23]
	s_delay_alu instid0(VALU_DEP_4) | instskip(NEXT) | instid1(VALU_DEP_4)
	v_fma_f64 v[48:49], v[32:33], v[40:41], -v[24:25]
	v_fma_f64 v[50:51], v[34:35], v[42:43], -v[26:27]
	s_delay_alu instid0(VALU_DEP_4) | instskip(NEXT) | instid1(VALU_DEP_4)
	v_fma_f64 v[44:45], v[28:29], v[12:13], v[44:45]
	v_fma_f64 v[46:47], v[30:31], v[14:15], v[46:47]
	s_delay_alu instid0(VALU_DEP_4) | instskip(NEXT) | instid1(VALU_DEP_4)
	v_fma_f64 v[48:49], v[32:33], v[16:17], v[48:49]
	v_fma_f64 v[50:51], v[34:35], v[18:19], v[50:51]
	s_delay_alu instid0(VALU_DEP_4) | instskip(NEXT) | instid1(VALU_DEP_4)
	v_add_f64 v[52:53], v[20:21], v[44:45]
	v_add_f64 v[54:55], v[22:23], v[46:47]
	s_delay_alu instid0(VALU_DEP_4) | instskip(NEXT) | instid1(VALU_DEP_4)
	v_add_f64 v[56:57], v[24:25], v[48:49]
	v_add_f64 v[58:59], v[26:27], v[50:51]
	s_delay_alu instid0(VALU_DEP_4)
	v_add_f64 v[60:61], -v[52:53], 1.0
	v_add_f64 v[20:21], v[52:53], -v[20:21]
	v_add_f64 v[62:63], -v[54:55], 1.0
	v_add_f64 v[22:23], v[54:55], -v[22:23]
	;; [unrolled: 2-line block ×8, first 2 shown]
	v_add_f64 v[44:45], v[68:69], -v[52:53]
	v_add_f64 v[46:47], v[70:71], -v[54:55]
	;; [unrolled: 1-line block ×4, first 2 shown]
	s_delay_alu instid0(VALU_DEP_4) | instskip(NEXT) | instid1(VALU_DEP_4)
	v_add_f64 v[20:21], v[20:21], v[44:45]
	v_add_f64 v[22:23], v[22:23], v[46:47]
	s_delay_alu instid0(VALU_DEP_4) | instskip(NEXT) | instid1(VALU_DEP_4)
	v_add_f64 v[24:25], v[24:25], v[48:49]
	v_add_f64 v[26:27], v[26:27], v[50:51]
	s_delay_alu instid0(VALU_DEP_4) | instskip(NEXT) | instid1(VALU_DEP_4)
	v_add_f64 v[44:45], v[60:61], v[20:21]
	v_add_f64 v[46:47], v[62:63], v[22:23]
	s_delay_alu instid0(VALU_DEP_4) | instskip(NEXT) | instid1(VALU_DEP_4)
	v_add_f64 v[48:49], v[64:65], v[24:25]
	v_add_f64 v[50:51], v[66:67], v[26:27]
	s_delay_alu instid0(VALU_DEP_4)
	v_mul_f64 v[52:53], v[28:29], v[44:45]
	v_add_f64 v[60:61], v[60:61], -v[44:45]
	v_mul_f64 v[54:55], v[30:31], v[46:47]
	v_add_f64 v[62:63], v[62:63], -v[46:47]
	;; [unrolled: 2-line block ×4, first 2 shown]
	v_mul_f64 v[68:69], v[36:37], v[52:53]
	v_add_f64 v[20:21], v[20:21], v[60:61]
	v_mul_f64 v[70:71], v[38:39], v[54:55]
	v_add_f64 v[22:23], v[22:23], v[62:63]
	;; [unrolled: 2-line block ×4, first 2 shown]
	v_fma_f64 v[76:77], v[52:53], v[36:37], -v[68:69]
	v_fma_f64 v[78:79], v[54:55], v[38:39], -v[70:71]
	v_fma_f64 v[80:81], v[56:57], v[40:41], -v[72:73]
	v_fma_f64 v[82:83], v[58:59], v[42:43], -v[74:75]
	s_delay_alu instid0(VALU_DEP_4) | instskip(NEXT) | instid1(VALU_DEP_4)
	v_fma_f64 v[76:77], v[52:53], v[12:13], v[76:77]
	v_fma_f64 v[78:79], v[54:55], v[14:15], v[78:79]
	s_delay_alu instid0(VALU_DEP_4) | instskip(NEXT) | instid1(VALU_DEP_4)
	v_fma_f64 v[80:81], v[56:57], v[16:17], v[80:81]
	v_fma_f64 v[82:83], v[58:59], v[18:19], v[82:83]
	s_delay_alu instid0(VALU_DEP_4) | instskip(NEXT) | instid1(VALU_DEP_4)
	v_add_f64 v[84:85], v[68:69], v[76:77]
	v_add_f64 v[86:87], v[70:71], v[78:79]
	s_delay_alu instid0(VALU_DEP_4) | instskip(NEXT) | instid1(VALU_DEP_4)
	v_add_f64 v[88:89], v[72:73], v[80:81]
	v_add_f64 v[90:91], v[74:75], v[82:83]
	s_delay_alu instid0(VALU_DEP_4)
	v_add_f64 v[60:61], v[44:45], -v[84:85]
	v_add_f64 v[68:69], v[84:85], -v[68:69]
	;; [unrolled: 1-line block ×20, first 2 shown]
	s_delay_alu instid0(VALU_DEP_4)
	v_add_f64 v[20:21], v[20:21], v[44:45]
	v_add_f64 v[44:45], v[28:29], v[52:53]
	;; [unrolled: 1-line block ×9, first 2 shown]
	v_add_f64 v[68:69], v[44:45], -v[28:29]
	v_add_f64 v[22:23], v[70:71], v[22:23]
	v_add_f64 v[70:71], v[46:47], -v[30:31]
	v_add_f64 v[24:25], v[72:73], v[24:25]
	;; [unrolled: 2-line block ×7, first 2 shown]
	v_add_f64 v[58:59], v[58:59], -v[74:75]
	v_mul_f64 v[20:21], v[28:29], v[20:21]
	v_mul_f64 v[22:23], v[30:31], v[22:23]
	;; [unrolled: 1-line block ×4, first 2 shown]
	s_delay_alu instid0(VALU_DEP_4) | instskip(NEXT) | instid1(VALU_DEP_4)
	v_add_f64 v[20:21], v[52:53], v[20:21]
	v_add_f64 v[22:23], v[54:55], v[22:23]
	s_delay_alu instid0(VALU_DEP_4) | instskip(NEXT) | instid1(VALU_DEP_4)
	v_add_f64 v[24:25], v[56:57], v[24:25]
	v_add_f64 v[26:27], v[58:59], v[26:27]
	;; [unrolled: 3-line block ×4, first 2 shown]
	s_delay_alu instid0(VALU_DEP_4)
	v_ldexp_f64 v[52:53], v[28:29], -2
	v_add_f64 v[28:29], v[28:29], -v[44:45]
	v_ldexp_f64 v[44:45], v[30:31], -2
	v_add_f64 v[30:31], v[30:31], -v[46:47]
	;; [unrolled: 2-line block ×4, first 2 shown]
	v_add_f64 v[50:51], v[36:37], v[52:53]
	v_add_f64 v[20:21], v[20:21], -v[28:29]
	v_add_f64 v[28:29], v[38:39], v[44:45]
	v_add_f64 v[22:23], v[22:23], -v[30:31]
	;; [unrolled: 2-line block ×4, first 2 shown]
	v_add_f64 v[34:35], v[50:51], -v[36:37]
	v_ldexp_f64 v[20:21], v[20:21], -2
	v_add_f64 v[36:37], v[28:29], -v[38:39]
	v_ldexp_f64 v[22:23], v[22:23], -2
	;; [unrolled: 2-line block ×4, first 2 shown]
	v_add_f64 v[34:35], v[52:53], -v[34:35]
	v_add_f64 v[12:13], v[12:13], v[20:21]
	v_add_f64 v[20:21], v[44:45], -v[36:37]
	v_add_f64 v[14:15], v[14:15], v[22:23]
	v_add_f64 v[22:23], v[46:47], -v[38:39]
	v_add_f64 v[16:17], v[16:17], v[24:25]
	v_add_f64 v[24:25], v[48:49], -v[40:41]
	v_add_f64 v[18:19], v[18:19], v[26:27]
	v_add_f64 v[12:13], v[12:13], v[34:35]
	v_add_f64 v[14:15], v[14:15], v[20:21]
	;; [unrolled: 1-line block ×3, first 2 shown]
	s_delay_alu instid0(VALU_DEP_4) | instskip(NEXT) | instid1(VALU_DEP_4)
	v_add_f64 v[18:19], v[18:19], v[24:25]
	v_add_f64 v[12:13], v[50:51], v[12:13]
	s_delay_alu instid0(VALU_DEP_4) | instskip(NEXT) | instid1(VALU_DEP_4)
	v_add_f64 v[5:6], v[28:29], v[14:15]
	v_add_f64 v[7:8], v[30:31], v[16:17]
	v_add_co_u32 v16, s7, s55, v11
	v_add_f64 v[14:15], v[32:33], v[18:19]
	v_add_co_ci_u32_e64 v17, null, s56, 0, s7
	v_add_co_u32 v9, s7, v9, s59
	s_add_u32 s55, s55, s60
	v_add_co_ci_u32_e64 v10, s7, 0, v10, s7
	s_addc_u32 s56, s56, 0
	v_cndmask_b32_e32 v2, 0x7ff00000, v13, vcc_lo
	v_cndmask_b32_e32 v1, 0, v12, vcc_lo
	v_cndmask_b32_e64 v4, 0x7ff00000, v6, s2
	v_cndmask_b32_e64 v3, 0, v5, s2
	;; [unrolled: 1-line block ×4, first 2 shown]
	s_and_b32 s2, exec_lo, s5
	v_cndmask_b32_e64 v8, 0x7ff00000, v15, s4
	v_cndmask_b32_e64 v7, 0, v14, s4
	s_or_b32 s58, s2, s58
	s_clause 0x1
	global_store_b128 v[16:17], v[1:4], off
	global_store_b128 v[16:17], v[5:8], off offset:16
	s_and_not1_b32 exec_lo, exec_lo, s58
	s_cbranch_execnz .LBB78_3
.LBB78_4:
	s_or_b32 exec_lo, exec_lo, s57
	s_mov_b32 s2, 0
.LBB78_5:
	s_delay_alu instid0(SALU_CYCLE_1)
	s_and_not1_b32 vcc_lo, exec_lo, s2
	s_cbranch_vccnz .LBB78_25
; %bb.6:
	v_cmp_lt_i64_e64 s2, s[10:11], 1
	s_delay_alu instid0(VALU_DEP_1)
	s_and_b32 vcc_lo, exec_lo, s2
	s_cbranch_vccnz .LBB78_25
; %bb.7:
	s_load_b32 s0, s[0:1], 0xc5c
	v_dual_mov_b32 v2, 0 :: v_dual_lshlrev_b32 v1, 3, v0
	v_cmp_gt_u64_e64 s1, 0x10000, s[10:11]
	s_mov_b32 s6, 0xfefa39ef
	s_mov_b32 s16, 0x652b82fe
	s_delay_alu instid0(VALU_DEP_2) | instskip(NEXT) | instid1(VALU_DEP_1)
	v_add_co_u32 v9, s2, s14, v1
	v_add_co_ci_u32_e64 v10, null, s15, 0, s2
	v_add_co_u32 v11, s2, s12, v1
	s_delay_alu instid0(VALU_DEP_1)
	v_add_co_ci_u32_e64 v12, null, s13, 0, s2
	s_mov_b32 s18, 0xf278e000
	s_mov_b32 s20, 0xf97b57a0
	;; [unrolled: 1-line block ×6, first 2 shown]
	s_waitcnt lgkmcnt(0)
	s_and_b32 s0, s0, 0xffff
	s_and_b32 s1, s1, exec_lo
	v_mad_u64_u32 v[3:4], null, s0, 24, v[1:2]
	s_cselect_b32 s5, s11, 0
	s_cselect_b32 s4, s10, 0x10000
	s_lshl_b32 s3, s0, 4
	s_lshl_b32 s1, s0, 1
	v_add_co_u32 v1, s3, s3, v1
	s_delay_alu instid0(VALU_DEP_2) | instskip(NEXT) | instid1(VALU_DEP_3)
	v_add_co_u32 v13, vcc_lo, s14, v3
	v_add_co_ci_u32_e32 v14, vcc_lo, s15, v4, vcc_lo
	v_add_co_u32 v15, vcc_lo, s12, v3
	v_add_co_ci_u32_e64 v2, null, 0, 0, s3
	s_mul_i32 s2, s0, 3
	s_lshl_b32 s33, s0, 2
	s_lshl_b32 s50, s0, 5
	v_add_co_u32 v21, s0, v0, s0
	v_add_co_ci_u32_e32 v16, vcc_lo, s13, v4, vcc_lo
	v_add_co_u32 v19, vcc_lo, s14, v1
	v_add_co_ci_u32_e32 v20, vcc_lo, s15, v2, vcc_lo
	v_add_co_u32 v22, vcc_lo, s12, v1
	v_lshlrev_b32_e32 v1, 3, v21
	v_add_co_ci_u32_e64 v24, null, 0, 0, s0
	v_add_co_u32 v25, s0, s1, v0
	s_delay_alu instid0(VALU_DEP_1) | instskip(NEXT) | instid1(VALU_DEP_4)
	v_add_co_ci_u32_e64 v26, null, 0, 0, s0
	v_add_co_u32 v27, s0, s14, v1
	v_add_co_u32 v17, s2, s2, v0
	v_add_co_ci_u32_e64 v28, null, s15, 0, s0
	v_add_co_u32 v29, s0, s12, v1
	v_add_co_ci_u32_e64 v18, null, 0, 0, s2
	v_add_co_ci_u32_e32 v23, vcc_lo, s13, v2, vcc_lo
	v_add_co_ci_u32_e64 v30, null, s13, 0, s0
	s_mov_b32 s14, 0x3b39803f
	s_mov_b32 s30, 0x14761f6e
	;; [unrolled: 1-line block ×24, first 2 shown]
	s_mov_b64 s[12:13], 0
	s_mov_b32 s47, 0x3fe62e42
	s_mov_b32 s48, 0xfefa3000
	s_branch .LBB78_9
.LBB78_8:                               ;   in Loop: Header=BB78_9 Depth=1
	s_or_b32 exec_lo, exec_lo, s0
	v_add_co_u32 v9, vcc_lo, v9, s50
	v_add_co_ci_u32_e32 v10, vcc_lo, 0, v10, vcc_lo
	v_add_co_u32 v11, vcc_lo, v11, s50
	v_add_co_ci_u32_e32 v12, vcc_lo, 0, v12, vcc_lo
	;; [unrolled: 2-line block ×5, first 2 shown]
	s_add_u32 s12, s12, s33
	v_add_co_u32 v22, vcc_lo, v22, s50
	s_addc_u32 s13, s13, 0
	v_add_co_ci_u32_e32 v23, vcc_lo, 0, v23, vcc_lo
	v_cmp_ge_i64_e64 s0, s[12:13], s[10:11]
	v_cmp_lt_u64_e64 s1, 0xffff, s[12:13]
	v_add_co_u32 v27, vcc_lo, v27, s50
	v_add_co_ci_u32_e32 v28, vcc_lo, 0, v28, vcc_lo
	v_add_co_u32 v29, vcc_lo, v29, s50
	v_add_co_ci_u32_e32 v30, vcc_lo, 0, v30, vcc_lo
	s_or_b32 s0, s0, s1
	s_delay_alu instid0(SALU_CYCLE_1)
	s_and_b32 vcc_lo, exec_lo, s0
	s_cbranch_vccnz .LBB78_25
.LBB78_9:                               ; =>This Inner Loop Header: Depth=1
	s_waitcnt vmcnt(0)
	v_add_co_u32 v1, s0, v0, s12
	s_delay_alu instid0(VALU_DEP_1) | instskip(SKIP_2) | instid1(VALU_DEP_3)
	v_add_co_ci_u32_e64 v2, null, 0, s13, s0
	v_mov_b32_e32 v5, 0
	v_mov_b32_e32 v6, 0
	v_cmp_gt_u64_e64 s2, s[4:5], v[1:2]
	s_delay_alu instid0(VALU_DEP_2) | instskip(NEXT) | instid1(VALU_DEP_2)
	v_dual_mov_b32 v8, v6 :: v_dual_mov_b32 v7, v5
	s_and_saveexec_b32 s0, s2
	s_cbranch_execz .LBB78_11
; %bb.10:                               ;   in Loop: Header=BB78_9 Depth=1
	v_add_co_u32 v1, vcc_lo, v9, s8
	v_add_co_ci_u32_e32 v2, vcc_lo, s9, v10, vcc_lo
	global_load_b64 v[7:8], v[1:2], off
.LBB78_11:                              ;   in Loop: Header=BB78_9 Depth=1
	s_or_b32 exec_lo, exec_lo, s0
	v_add_co_u32 v1, vcc_lo, v21, s12
	v_add_co_ci_u32_e32 v2, vcc_lo, s13, v24, vcc_lo
	s_delay_alu instid0(VALU_DEP_1) | instskip(NEXT) | instid1(VALU_DEP_1)
	v_cmp_gt_u64_e64 s1, s[4:5], v[1:2]
	s_and_saveexec_b32 s0, s1
	s_cbranch_execz .LBB78_13
; %bb.12:                               ;   in Loop: Header=BB78_9 Depth=1
	v_add_co_u32 v1, vcc_lo, v27, s8
	v_add_co_ci_u32_e32 v2, vcc_lo, s9, v28, vcc_lo
	global_load_b64 v[5:6], v[1:2], off
.LBB78_13:                              ;   in Loop: Header=BB78_9 Depth=1
	s_or_b32 exec_lo, exec_lo, s0
	v_add_co_u32 v3, vcc_lo, v25, s12
	v_add_co_ci_u32_e32 v4, vcc_lo, s13, v26, vcc_lo
	v_mov_b32_e32 v1, 0
	v_mov_b32_e32 v2, 0
	s_delay_alu instid0(VALU_DEP_3) | instskip(NEXT) | instid1(VALU_DEP_2)
	v_cmp_gt_u64_e64 s0, s[4:5], v[3:4]
	v_dual_mov_b32 v4, v2 :: v_dual_mov_b32 v3, v1
	s_delay_alu instid0(VALU_DEP_2)
	s_and_saveexec_b32 s3, s0
	s_cbranch_execz .LBB78_15
; %bb.14:                               ;   in Loop: Header=BB78_9 Depth=1
	v_add_co_u32 v3, vcc_lo, v19, s8
	v_add_co_ci_u32_e32 v4, vcc_lo, s9, v20, vcc_lo
	global_load_b64 v[3:4], v[3:4], off
.LBB78_15:                              ;   in Loop: Header=BB78_9 Depth=1
	s_or_b32 exec_lo, exec_lo, s3
	v_add_co_u32 v31, vcc_lo, v17, s12
	v_add_co_ci_u32_e32 v32, vcc_lo, s13, v18, vcc_lo
	s_delay_alu instid0(VALU_DEP_1)
	v_cmp_gt_u64_e32 vcc_lo, s[4:5], v[31:32]
	s_and_saveexec_b32 s46, vcc_lo
	s_cbranch_execnz .LBB78_20
; %bb.16:                               ;   in Loop: Header=BB78_9 Depth=1
	s_or_b32 exec_lo, exec_lo, s46
	s_and_saveexec_b32 s3, s2
	s_cbranch_execnz .LBB78_21
.LBB78_17:                              ;   in Loop: Header=BB78_9 Depth=1
	s_or_b32 exec_lo, exec_lo, s3
	s_and_saveexec_b32 s2, s1
	s_cbranch_execnz .LBB78_22
.LBB78_18:                              ;   in Loop: Header=BB78_9 Depth=1
	s_or_b32 exec_lo, exec_lo, s2
	s_and_saveexec_b32 s1, s0
	s_cbranch_execnz .LBB78_23
.LBB78_19:                              ;   in Loop: Header=BB78_9 Depth=1
	s_or_b32 exec_lo, exec_lo, s1
	s_and_saveexec_b32 s0, vcc_lo
	s_cbranch_execz .LBB78_8
	s_branch .LBB78_24
.LBB78_20:                              ;   in Loop: Header=BB78_9 Depth=1
	v_add_co_u32 v1, s3, v13, s8
	s_delay_alu instid0(VALU_DEP_1)
	v_add_co_ci_u32_e64 v2, s3, s9, v14, s3
	global_load_b64 v[1:2], v[1:2], off
	s_or_b32 exec_lo, exec_lo, s46
	s_and_saveexec_b32 s3, s2
	s_cbranch_execz .LBB78_17
.LBB78_21:                              ;   in Loop: Header=BB78_9 Depth=1
	s_waitcnt vmcnt(0)
	v_add_f64 v[31:32], |v[7:8]|, s[6:7]
	s_mov_b32 s46, s6
	s_mov_b32 s49, s7
	v_cmp_nge_f64_e64 s2, |v[7:8]|, s[44:45]
	s_delay_alu instid0(VALU_DEP_2) | instskip(NEXT) | instid1(VALU_DEP_1)
	v_add_f64 v[33:34], v[31:32], -|v[7:8]|
	v_add_f64 v[35:36], v[33:34], -v[31:32]
	v_add_f64 v[33:34], v[33:34], s[46:47]
	s_delay_alu instid0(VALU_DEP_2) | instskip(NEXT) | instid1(VALU_DEP_1)
	v_add_f64 v[35:36], |v[7:8]|, v[35:36]
	v_add_f64 v[33:34], v[35:36], -v[33:34]
	s_delay_alu instid0(VALU_DEP_1) | instskip(NEXT) | instid1(VALU_DEP_1)
	v_add_f64 v[33:34], v[33:34], s[14:15]
	v_add_f64 v[35:36], v[31:32], v[33:34]
	s_delay_alu instid0(VALU_DEP_1) | instskip(SKIP_1) | instid1(VALU_DEP_2)
	v_mul_f64 v[37:38], v[35:36], s[16:17]
	v_add_f64 v[31:32], v[31:32], -v[35:36]
	v_rndne_f64_e32 v[37:38], v[37:38]
	s_delay_alu instid0(VALU_DEP_2) | instskip(NEXT) | instid1(VALU_DEP_2)
	v_add_f64 v[31:32], v[33:34], v[31:32]
	v_fma_f64 v[33:34], v[37:38], s[48:49], v[35:36]
	v_mul_f64 v[35:36], v[37:38], s[18:19]
	s_delay_alu instid0(VALU_DEP_2) | instskip(NEXT) | instid1(VALU_DEP_1)
	v_add_f64 v[39:40], v[31:32], v[33:34]
	v_add_f64 v[41:42], v[39:40], v[35:36]
	v_add_f64 v[33:34], v[33:34], -v[39:40]
	s_delay_alu instid0(VALU_DEP_2) | instskip(NEXT) | instid1(VALU_DEP_2)
	v_add_f64 v[39:40], v[39:40], -v[41:42]
	v_add_f64 v[31:32], v[31:32], v[33:34]
	s_delay_alu instid0(VALU_DEP_2) | instskip(NEXT) | instid1(VALU_DEP_1)
	v_add_f64 v[33:34], v[39:40], v[35:36]
	v_add_f64 v[31:32], v[31:32], v[33:34]
	v_mul_f64 v[33:34], v[37:38], s[20:21]
	s_delay_alu instid0(VALU_DEP_2) | instskip(NEXT) | instid1(VALU_DEP_1)
	v_add_f64 v[35:36], v[41:42], v[31:32]
	v_add_f64 v[39:40], v[35:36], v[33:34]
	v_add_f64 v[41:42], v[41:42], -v[35:36]
	s_delay_alu instid0(VALU_DEP_2) | instskip(NEXT) | instid1(VALU_DEP_2)
	v_add_f64 v[35:36], v[35:36], -v[39:40]
	v_add_f64 v[31:32], v[31:32], v[41:42]
	s_delay_alu instid0(VALU_DEP_2) | instskip(NEXT) | instid1(VALU_DEP_1)
	v_add_f64 v[33:34], v[35:36], v[33:34]
	v_add_f64 v[31:32], v[31:32], v[33:34]
	s_delay_alu instid0(VALU_DEP_1) | instskip(NEXT) | instid1(VALU_DEP_1)
	v_add_f64 v[33:34], v[39:40], v[31:32]
	v_fma_f64 v[35:36], v[33:34], s[24:25], s[22:23]
	v_add_f64 v[39:40], v[39:40], -v[33:34]
	v_mul_f64 v[41:42], v[33:34], v[33:34]
	s_delay_alu instid0(VALU_DEP_3) | instskip(NEXT) | instid1(VALU_DEP_3)
	v_fma_f64 v[35:36], v[33:34], v[35:36], s[26:27]
	v_add_f64 v[31:32], v[31:32], v[39:40]
	s_delay_alu instid0(VALU_DEP_3) | instskip(NEXT) | instid1(VALU_DEP_3)
	v_fma_f64 v[39:40], v[33:34], v[33:34], -v[41:42]
	v_fma_f64 v[35:36], v[33:34], v[35:36], s[28:29]
	s_delay_alu instid0(VALU_DEP_3) | instskip(NEXT) | instid1(VALU_DEP_2)
	v_add_f64 v[43:44], v[31:32], v[31:32]
	v_fma_f64 v[35:36], v[33:34], v[35:36], s[30:31]
	s_delay_alu instid0(VALU_DEP_2) | instskip(NEXT) | instid1(VALU_DEP_2)
	v_fma_f64 v[39:40], v[33:34], v[43:44], v[39:40]
	v_fma_f64 v[35:36], v[33:34], v[35:36], s[34:35]
	s_delay_alu instid0(VALU_DEP_2) | instskip(NEXT) | instid1(VALU_DEP_2)
	v_add_f64 v[43:44], v[41:42], v[39:40]
	v_fma_f64 v[35:36], v[33:34], v[35:36], s[36:37]
	s_delay_alu instid0(VALU_DEP_2) | instskip(NEXT) | instid1(VALU_DEP_2)
	v_add_f64 v[41:42], v[43:44], -v[41:42]
	v_fma_f64 v[35:36], v[33:34], v[35:36], s[38:39]
	s_delay_alu instid0(VALU_DEP_2) | instskip(NEXT) | instid1(VALU_DEP_2)
	v_add_f64 v[39:40], v[39:40], -v[41:42]
	v_fma_f64 v[35:36], v[33:34], v[35:36], s[40:41]
	s_delay_alu instid0(VALU_DEP_1) | instskip(NEXT) | instid1(VALU_DEP_1)
	v_fma_f64 v[35:36], v[33:34], v[35:36], s[42:43]
	v_mul_f64 v[45:46], v[43:44], v[35:36]
	s_delay_alu instid0(VALU_DEP_1) | instskip(NEXT) | instid1(VALU_DEP_1)
	v_fma_f64 v[41:42], v[43:44], v[35:36], -v[45:46]
	v_fma_f64 v[35:36], v[39:40], v[35:36], v[41:42]
	s_delay_alu instid0(VALU_DEP_1) | instskip(NEXT) | instid1(VALU_DEP_1)
	v_add_f64 v[39:40], v[45:46], v[35:36]
	v_add_f64 v[41:42], v[39:40], -v[45:46]
	v_add_f64 v[43:44], v[33:34], v[39:40]
	s_delay_alu instid0(VALU_DEP_2) | instskip(NEXT) | instid1(VALU_DEP_2)
	v_add_f64 v[35:36], v[35:36], -v[41:42]
	v_add_f64 v[33:34], v[43:44], -v[33:34]
	s_delay_alu instid0(VALU_DEP_2) | instskip(NEXT) | instid1(VALU_DEP_2)
	v_add_f64 v[31:32], v[31:32], v[35:36]
	v_add_f64 v[33:34], v[39:40], -v[33:34]
	s_delay_alu instid0(VALU_DEP_1) | instskip(NEXT) | instid1(VALU_DEP_1)
	v_add_f64 v[31:32], v[31:32], v[33:34]
	v_add_f64 v[33:34], v[43:44], v[31:32]
	s_delay_alu instid0(VALU_DEP_1) | instskip(SKIP_2) | instid1(VALU_DEP_3)
	v_add_f64 v[35:36], v[33:34], 1.0
	v_add_f64 v[39:40], v[33:34], -v[43:44]
	v_cvt_i32_f64_e32 v43, v[37:38]
	v_add_f64 v[41:42], v[35:36], -1.0
	s_delay_alu instid0(VALU_DEP_3) | instskip(NEXT) | instid1(VALU_DEP_2)
	v_add_f64 v[31:32], v[31:32], -v[39:40]
	v_add_f64 v[33:34], v[33:34], -v[41:42]
	s_delay_alu instid0(VALU_DEP_1) | instskip(NEXT) | instid1(VALU_DEP_1)
	v_add_f64 v[31:32], v[31:32], v[33:34]
	v_add_f64 v[33:34], v[35:36], v[31:32]
	s_delay_alu instid0(VALU_DEP_1) | instskip(SKIP_1) | instid1(VALU_DEP_2)
	v_ldexp_f64 v[37:38], v[33:34], v43
	v_add_f64 v[33:34], v[33:34], -v[35:36]
	v_rcp_f64_e32 v[39:40], v[37:38]
	s_delay_alu instid0(VALU_DEP_1) | instskip(NEXT) | instid1(VALU_DEP_1)
	v_add_f64 v[31:32], v[31:32], -v[33:34]
	v_ldexp_f64 v[31:32], v[31:32], v43
	s_waitcnt_depctr 0xfff
	v_fma_f64 v[41:42], -v[37:38], v[39:40], 1.0
	s_delay_alu instid0(VALU_DEP_1) | instskip(NEXT) | instid1(VALU_DEP_1)
	v_fma_f64 v[39:40], v[41:42], v[39:40], v[39:40]
	v_fma_f64 v[41:42], -v[37:38], v[39:40], 1.0
	s_delay_alu instid0(VALU_DEP_1) | instskip(NEXT) | instid1(VALU_DEP_1)
	v_fma_f64 v[35:36], v[41:42], v[39:40], v[39:40]
	v_mul_f64 v[33:34], v[37:38], v[35:36]
	s_delay_alu instid0(VALU_DEP_1) | instskip(NEXT) | instid1(VALU_DEP_1)
	v_fma_f64 v[39:40], v[35:36], v[37:38], -v[33:34]
	v_fma_f64 v[39:40], v[35:36], v[31:32], v[39:40]
	s_delay_alu instid0(VALU_DEP_1) | instskip(NEXT) | instid1(VALU_DEP_1)
	v_add_f64 v[41:42], v[33:34], v[39:40]
	v_add_f64 v[43:44], -v[41:42], 1.0
	v_add_f64 v[33:34], v[41:42], -v[33:34]
	s_delay_alu instid0(VALU_DEP_2) | instskip(NEXT) | instid1(VALU_DEP_2)
	v_add_f64 v[45:46], -v[43:44], 1.0
	v_add_f64 v[33:34], v[33:34], -v[39:40]
	s_delay_alu instid0(VALU_DEP_2) | instskip(NEXT) | instid1(VALU_DEP_1)
	v_add_f64 v[39:40], v[45:46], -v[41:42]
	v_add_f64 v[33:34], v[33:34], v[39:40]
	s_delay_alu instid0(VALU_DEP_1) | instskip(NEXT) | instid1(VALU_DEP_1)
	v_add_f64 v[39:40], v[43:44], v[33:34]
	v_mul_f64 v[41:42], v[35:36], v[39:40]
	v_add_f64 v[43:44], v[43:44], -v[39:40]
	s_delay_alu instid0(VALU_DEP_2) | instskip(NEXT) | instid1(VALU_DEP_2)
	v_mul_f64 v[45:46], v[37:38], v[41:42]
	v_add_f64 v[33:34], v[33:34], v[43:44]
	s_delay_alu instid0(VALU_DEP_2) | instskip(NEXT) | instid1(VALU_DEP_1)
	v_fma_f64 v[47:48], v[41:42], v[37:38], -v[45:46]
	v_fma_f64 v[47:48], v[41:42], v[31:32], v[47:48]
	s_delay_alu instid0(VALU_DEP_1) | instskip(NEXT) | instid1(VALU_DEP_1)
	v_add_f64 v[49:50], v[45:46], v[47:48]
	v_add_f64 v[51:52], v[39:40], -v[49:50]
	v_add_f64 v[43:44], v[49:50], -v[45:46]
	s_delay_alu instid0(VALU_DEP_2) | instskip(NEXT) | instid1(VALU_DEP_2)
	v_add_f64 v[39:40], v[39:40], -v[51:52]
	v_add_f64 v[43:44], v[43:44], -v[47:48]
	s_delay_alu instid0(VALU_DEP_2) | instskip(NEXT) | instid1(VALU_DEP_1)
	v_add_f64 v[39:40], v[39:40], -v[49:50]
	v_add_f64 v[33:34], v[33:34], v[39:40]
	v_add_f64 v[39:40], v[35:36], v[41:42]
	s_delay_alu instid0(VALU_DEP_2) | instskip(NEXT) | instid1(VALU_DEP_2)
	v_add_f64 v[33:34], v[43:44], v[33:34]
	v_add_f64 v[43:44], v[39:40], -v[35:36]
	s_delay_alu instid0(VALU_DEP_2) | instskip(NEXT) | instid1(VALU_DEP_2)
	v_add_f64 v[33:34], v[51:52], v[33:34]
	v_add_f64 v[41:42], v[41:42], -v[43:44]
	s_delay_alu instid0(VALU_DEP_2) | instskip(NEXT) | instid1(VALU_DEP_1)
	v_mul_f64 v[33:34], v[35:36], v[33:34]
	v_add_f64 v[33:34], v[41:42], v[33:34]
	s_delay_alu instid0(VALU_DEP_1) | instskip(NEXT) | instid1(VALU_DEP_1)
	v_add_f64 v[35:36], v[39:40], v[33:34]
	v_add_f64 v[39:40], v[35:36], -v[39:40]
	v_ldexp_f64 v[35:36], v[35:36], -2
	s_delay_alu instid0(VALU_DEP_2) | instskip(NEXT) | instid1(VALU_DEP_2)
	v_add_f64 v[33:34], v[33:34], -v[39:40]
	v_add_f64 v[39:40], v[37:38], v[35:36]
	s_delay_alu instid0(VALU_DEP_2) | instskip(NEXT) | instid1(VALU_DEP_2)
	v_ldexp_f64 v[33:34], v[33:34], -2
	v_add_f64 v[37:38], v[39:40], -v[37:38]
	s_delay_alu instid0(VALU_DEP_2) | instskip(NEXT) | instid1(VALU_DEP_2)
	v_add_f64 v[31:32], v[31:32], v[33:34]
	v_add_f64 v[33:34], v[35:36], -v[37:38]
	s_delay_alu instid0(VALU_DEP_1) | instskip(NEXT) | instid1(VALU_DEP_1)
	v_add_f64 v[31:32], v[31:32], v[33:34]
	v_add_f64 v[31:32], v[39:40], v[31:32]
	s_delay_alu instid0(VALU_DEP_1) | instskip(NEXT) | instid1(VALU_DEP_2)
	v_cndmask_b32_e64 v8, 0x7ff00000, v32, s2
	v_cndmask_b32_e64 v7, 0, v31, s2
	v_add_co_u32 v31, s2, v11, s8
	s_delay_alu instid0(VALU_DEP_1)
	v_add_co_ci_u32_e64 v32, s2, s9, v12, s2
	global_store_b64 v[31:32], v[7:8], off
	s_or_b32 exec_lo, exec_lo, s3
	s_and_saveexec_b32 s2, s1
	s_cbranch_execz .LBB78_18
.LBB78_22:                              ;   in Loop: Header=BB78_9 Depth=1
	s_waitcnt vmcnt(0)
	v_add_f64 v[7:8], |v[5:6]|, s[6:7]
	s_mov_b32 s46, s6
	s_mov_b32 s49, s7
	v_cmp_nge_f64_e64 s1, |v[5:6]|, s[44:45]
	s_delay_alu instid0(VALU_DEP_2) | instskip(NEXT) | instid1(VALU_DEP_1)
	v_add_f64 v[31:32], v[7:8], -|v[5:6]|
	v_add_f64 v[33:34], v[31:32], -v[7:8]
	v_add_f64 v[31:32], v[31:32], s[46:47]
	s_delay_alu instid0(VALU_DEP_2) | instskip(NEXT) | instid1(VALU_DEP_1)
	v_add_f64 v[33:34], |v[5:6]|, v[33:34]
	v_add_f64 v[31:32], v[33:34], -v[31:32]
	s_delay_alu instid0(VALU_DEP_1) | instskip(NEXT) | instid1(VALU_DEP_1)
	v_add_f64 v[31:32], v[31:32], s[14:15]
	v_add_f64 v[33:34], v[7:8], v[31:32]
	s_delay_alu instid0(VALU_DEP_1) | instskip(SKIP_1) | instid1(VALU_DEP_2)
	v_mul_f64 v[35:36], v[33:34], s[16:17]
	v_add_f64 v[7:8], v[7:8], -v[33:34]
	v_rndne_f64_e32 v[35:36], v[35:36]
	s_delay_alu instid0(VALU_DEP_2) | instskip(NEXT) | instid1(VALU_DEP_2)
	v_add_f64 v[7:8], v[31:32], v[7:8]
	v_fma_f64 v[31:32], v[35:36], s[48:49], v[33:34]
	v_mul_f64 v[33:34], v[35:36], s[18:19]
	s_delay_alu instid0(VALU_DEP_2) | instskip(NEXT) | instid1(VALU_DEP_1)
	v_add_f64 v[37:38], v[7:8], v[31:32]
	v_add_f64 v[39:40], v[37:38], v[33:34]
	v_add_f64 v[31:32], v[31:32], -v[37:38]
	s_delay_alu instid0(VALU_DEP_2) | instskip(NEXT) | instid1(VALU_DEP_2)
	v_add_f64 v[37:38], v[37:38], -v[39:40]
	v_add_f64 v[7:8], v[7:8], v[31:32]
	s_delay_alu instid0(VALU_DEP_2) | instskip(NEXT) | instid1(VALU_DEP_1)
	v_add_f64 v[31:32], v[37:38], v[33:34]
	v_add_f64 v[7:8], v[7:8], v[31:32]
	v_mul_f64 v[31:32], v[35:36], s[20:21]
	s_delay_alu instid0(VALU_DEP_2) | instskip(NEXT) | instid1(VALU_DEP_1)
	v_add_f64 v[33:34], v[39:40], v[7:8]
	v_add_f64 v[37:38], v[33:34], v[31:32]
	v_add_f64 v[39:40], v[39:40], -v[33:34]
	s_delay_alu instid0(VALU_DEP_2) | instskip(NEXT) | instid1(VALU_DEP_2)
	v_add_f64 v[33:34], v[33:34], -v[37:38]
	v_add_f64 v[7:8], v[7:8], v[39:40]
	s_delay_alu instid0(VALU_DEP_2) | instskip(NEXT) | instid1(VALU_DEP_1)
	v_add_f64 v[31:32], v[33:34], v[31:32]
	v_add_f64 v[7:8], v[7:8], v[31:32]
	s_delay_alu instid0(VALU_DEP_1) | instskip(NEXT) | instid1(VALU_DEP_1)
	v_add_f64 v[31:32], v[37:38], v[7:8]
	v_fma_f64 v[33:34], v[31:32], s[24:25], s[22:23]
	v_add_f64 v[37:38], v[37:38], -v[31:32]
	v_mul_f64 v[39:40], v[31:32], v[31:32]
	s_delay_alu instid0(VALU_DEP_3) | instskip(NEXT) | instid1(VALU_DEP_3)
	v_fma_f64 v[33:34], v[31:32], v[33:34], s[26:27]
	v_add_f64 v[7:8], v[7:8], v[37:38]
	s_delay_alu instid0(VALU_DEP_3) | instskip(NEXT) | instid1(VALU_DEP_3)
	v_fma_f64 v[37:38], v[31:32], v[31:32], -v[39:40]
	v_fma_f64 v[33:34], v[31:32], v[33:34], s[28:29]
	s_delay_alu instid0(VALU_DEP_3) | instskip(NEXT) | instid1(VALU_DEP_2)
	v_add_f64 v[41:42], v[7:8], v[7:8]
	v_fma_f64 v[33:34], v[31:32], v[33:34], s[30:31]
	s_delay_alu instid0(VALU_DEP_2) | instskip(NEXT) | instid1(VALU_DEP_2)
	v_fma_f64 v[37:38], v[31:32], v[41:42], v[37:38]
	v_fma_f64 v[33:34], v[31:32], v[33:34], s[34:35]
	s_delay_alu instid0(VALU_DEP_2) | instskip(NEXT) | instid1(VALU_DEP_2)
	v_add_f64 v[41:42], v[39:40], v[37:38]
	v_fma_f64 v[33:34], v[31:32], v[33:34], s[36:37]
	s_delay_alu instid0(VALU_DEP_2) | instskip(NEXT) | instid1(VALU_DEP_2)
	v_add_f64 v[39:40], v[41:42], -v[39:40]
	v_fma_f64 v[33:34], v[31:32], v[33:34], s[38:39]
	s_delay_alu instid0(VALU_DEP_2) | instskip(NEXT) | instid1(VALU_DEP_2)
	v_add_f64 v[37:38], v[37:38], -v[39:40]
	v_fma_f64 v[33:34], v[31:32], v[33:34], s[40:41]
	s_delay_alu instid0(VALU_DEP_1) | instskip(NEXT) | instid1(VALU_DEP_1)
	v_fma_f64 v[33:34], v[31:32], v[33:34], s[42:43]
	v_mul_f64 v[43:44], v[41:42], v[33:34]
	s_delay_alu instid0(VALU_DEP_1) | instskip(NEXT) | instid1(VALU_DEP_1)
	v_fma_f64 v[39:40], v[41:42], v[33:34], -v[43:44]
	v_fma_f64 v[33:34], v[37:38], v[33:34], v[39:40]
	s_delay_alu instid0(VALU_DEP_1) | instskip(NEXT) | instid1(VALU_DEP_1)
	v_add_f64 v[37:38], v[43:44], v[33:34]
	v_add_f64 v[39:40], v[31:32], v[37:38]
	v_add_f64 v[41:42], v[37:38], -v[43:44]
	s_delay_alu instid0(VALU_DEP_2) | instskip(NEXT) | instid1(VALU_DEP_2)
	v_add_f64 v[31:32], v[39:40], -v[31:32]
	v_add_f64 v[33:34], v[33:34], -v[41:42]
	v_cvt_i32_f64_e32 v41, v[35:36]
	s_delay_alu instid0(VALU_DEP_3) | instskip(NEXT) | instid1(VALU_DEP_3)
	v_add_f64 v[31:32], v[37:38], -v[31:32]
	v_add_f64 v[7:8], v[7:8], v[33:34]
	s_delay_alu instid0(VALU_DEP_1) | instskip(NEXT) | instid1(VALU_DEP_1)
	v_add_f64 v[7:8], v[7:8], v[31:32]
	v_add_f64 v[31:32], v[39:40], v[7:8]
	s_delay_alu instid0(VALU_DEP_1) | instskip(SKIP_1) | instid1(VALU_DEP_2)
	v_add_f64 v[33:34], v[31:32], 1.0
	v_add_f64 v[37:38], v[31:32], -v[39:40]
	v_add_f64 v[39:40], v[33:34], -1.0
	s_delay_alu instid0(VALU_DEP_2) | instskip(NEXT) | instid1(VALU_DEP_2)
	v_add_f64 v[7:8], v[7:8], -v[37:38]
	v_add_f64 v[31:32], v[31:32], -v[39:40]
	s_delay_alu instid0(VALU_DEP_1) | instskip(NEXT) | instid1(VALU_DEP_1)
	v_add_f64 v[7:8], v[7:8], v[31:32]
	v_add_f64 v[31:32], v[33:34], v[7:8]
	s_delay_alu instid0(VALU_DEP_1) | instskip(SKIP_1) | instid1(VALU_DEP_2)
	v_ldexp_f64 v[35:36], v[31:32], v41
	v_add_f64 v[31:32], v[31:32], -v[33:34]
	v_rcp_f64_e32 v[37:38], v[35:36]
	s_delay_alu instid0(VALU_DEP_1) | instskip(NEXT) | instid1(VALU_DEP_1)
	v_add_f64 v[7:8], v[7:8], -v[31:32]
	v_ldexp_f64 v[7:8], v[7:8], v41
	s_waitcnt_depctr 0xfff
	v_fma_f64 v[39:40], -v[35:36], v[37:38], 1.0
	s_delay_alu instid0(VALU_DEP_1) | instskip(NEXT) | instid1(VALU_DEP_1)
	v_fma_f64 v[37:38], v[39:40], v[37:38], v[37:38]
	v_fma_f64 v[39:40], -v[35:36], v[37:38], 1.0
	s_delay_alu instid0(VALU_DEP_1) | instskip(NEXT) | instid1(VALU_DEP_1)
	v_fma_f64 v[33:34], v[39:40], v[37:38], v[37:38]
	v_mul_f64 v[31:32], v[35:36], v[33:34]
	s_delay_alu instid0(VALU_DEP_1) | instskip(NEXT) | instid1(VALU_DEP_1)
	v_fma_f64 v[37:38], v[33:34], v[35:36], -v[31:32]
	v_fma_f64 v[37:38], v[33:34], v[7:8], v[37:38]
	s_delay_alu instid0(VALU_DEP_1) | instskip(NEXT) | instid1(VALU_DEP_1)
	v_add_f64 v[39:40], v[31:32], v[37:38]
	v_add_f64 v[41:42], -v[39:40], 1.0
	v_add_f64 v[31:32], v[39:40], -v[31:32]
	s_delay_alu instid0(VALU_DEP_2) | instskip(NEXT) | instid1(VALU_DEP_2)
	v_add_f64 v[43:44], -v[41:42], 1.0
	v_add_f64 v[31:32], v[31:32], -v[37:38]
	s_delay_alu instid0(VALU_DEP_2) | instskip(NEXT) | instid1(VALU_DEP_1)
	v_add_f64 v[37:38], v[43:44], -v[39:40]
	v_add_f64 v[31:32], v[31:32], v[37:38]
	s_delay_alu instid0(VALU_DEP_1) | instskip(NEXT) | instid1(VALU_DEP_1)
	v_add_f64 v[37:38], v[41:42], v[31:32]
	v_mul_f64 v[39:40], v[33:34], v[37:38]
	v_add_f64 v[41:42], v[41:42], -v[37:38]
	s_delay_alu instid0(VALU_DEP_2) | instskip(NEXT) | instid1(VALU_DEP_2)
	v_mul_f64 v[43:44], v[35:36], v[39:40]
	v_add_f64 v[31:32], v[31:32], v[41:42]
	s_delay_alu instid0(VALU_DEP_2) | instskip(NEXT) | instid1(VALU_DEP_1)
	v_fma_f64 v[45:46], v[39:40], v[35:36], -v[43:44]
	v_fma_f64 v[45:46], v[39:40], v[7:8], v[45:46]
	s_delay_alu instid0(VALU_DEP_1) | instskip(NEXT) | instid1(VALU_DEP_1)
	v_add_f64 v[47:48], v[43:44], v[45:46]
	v_add_f64 v[49:50], v[37:38], -v[47:48]
	v_add_f64 v[41:42], v[47:48], -v[43:44]
	s_delay_alu instid0(VALU_DEP_2) | instskip(NEXT) | instid1(VALU_DEP_2)
	v_add_f64 v[37:38], v[37:38], -v[49:50]
	v_add_f64 v[41:42], v[41:42], -v[45:46]
	s_delay_alu instid0(VALU_DEP_2) | instskip(NEXT) | instid1(VALU_DEP_1)
	v_add_f64 v[37:38], v[37:38], -v[47:48]
	v_add_f64 v[31:32], v[31:32], v[37:38]
	v_add_f64 v[37:38], v[33:34], v[39:40]
	s_delay_alu instid0(VALU_DEP_2) | instskip(NEXT) | instid1(VALU_DEP_2)
	v_add_f64 v[31:32], v[41:42], v[31:32]
	v_add_f64 v[41:42], v[37:38], -v[33:34]
	s_delay_alu instid0(VALU_DEP_2) | instskip(NEXT) | instid1(VALU_DEP_2)
	v_add_f64 v[31:32], v[49:50], v[31:32]
	v_add_f64 v[39:40], v[39:40], -v[41:42]
	s_delay_alu instid0(VALU_DEP_2) | instskip(NEXT) | instid1(VALU_DEP_1)
	v_mul_f64 v[31:32], v[33:34], v[31:32]
	v_add_f64 v[31:32], v[39:40], v[31:32]
	s_delay_alu instid0(VALU_DEP_1) | instskip(NEXT) | instid1(VALU_DEP_1)
	v_add_f64 v[33:34], v[37:38], v[31:32]
	v_ldexp_f64 v[39:40], v[33:34], -2
	v_add_f64 v[33:34], v[33:34], -v[37:38]
	s_delay_alu instid0(VALU_DEP_2) | instskip(NEXT) | instid1(VALU_DEP_2)
	v_add_f64 v[37:38], v[35:36], v[39:40]
	v_add_f64 v[31:32], v[31:32], -v[33:34]
	s_delay_alu instid0(VALU_DEP_2) | instskip(NEXT) | instid1(VALU_DEP_2)
	v_add_f64 v[33:34], v[37:38], -v[35:36]
	v_ldexp_f64 v[31:32], v[31:32], -2
	s_delay_alu instid0(VALU_DEP_2) | instskip(NEXT) | instid1(VALU_DEP_2)
	v_add_f64 v[33:34], v[39:40], -v[33:34]
	v_add_f64 v[7:8], v[7:8], v[31:32]
	s_delay_alu instid0(VALU_DEP_1) | instskip(NEXT) | instid1(VALU_DEP_1)
	v_add_f64 v[7:8], v[7:8], v[33:34]
	v_add_f64 v[7:8], v[37:38], v[7:8]
	s_delay_alu instid0(VALU_DEP_1) | instskip(NEXT) | instid1(VALU_DEP_2)
	v_cndmask_b32_e64 v6, 0x7ff00000, v8, s1
	v_cndmask_b32_e64 v5, 0, v7, s1
	v_add_co_u32 v7, s1, v29, s8
	s_delay_alu instid0(VALU_DEP_1)
	v_add_co_ci_u32_e64 v8, s1, s9, v30, s1
	global_store_b64 v[7:8], v[5:6], off
	s_or_b32 exec_lo, exec_lo, s2
	s_and_saveexec_b32 s1, s0
	s_cbranch_execz .LBB78_19
.LBB78_23:                              ;   in Loop: Header=BB78_9 Depth=1
	s_waitcnt vmcnt(0)
	v_add_f64 v[5:6], |v[3:4]|, s[6:7]
	s_mov_b32 s46, s6
	s_mov_b32 s49, s7
	v_cmp_nge_f64_e64 s0, |v[3:4]|, s[44:45]
	s_delay_alu instid0(VALU_DEP_2) | instskip(NEXT) | instid1(VALU_DEP_1)
	v_add_f64 v[7:8], v[5:6], -|v[3:4]|
	v_add_f64 v[31:32], v[7:8], -v[5:6]
	v_add_f64 v[7:8], v[7:8], s[46:47]
	s_delay_alu instid0(VALU_DEP_2) | instskip(NEXT) | instid1(VALU_DEP_1)
	v_add_f64 v[31:32], |v[3:4]|, v[31:32]
	v_add_f64 v[7:8], v[31:32], -v[7:8]
	s_delay_alu instid0(VALU_DEP_1) | instskip(NEXT) | instid1(VALU_DEP_1)
	v_add_f64 v[7:8], v[7:8], s[14:15]
	v_add_f64 v[31:32], v[5:6], v[7:8]
	s_delay_alu instid0(VALU_DEP_1) | instskip(SKIP_1) | instid1(VALU_DEP_2)
	v_mul_f64 v[33:34], v[31:32], s[16:17]
	v_add_f64 v[5:6], v[5:6], -v[31:32]
	v_rndne_f64_e32 v[33:34], v[33:34]
	s_delay_alu instid0(VALU_DEP_2) | instskip(NEXT) | instid1(VALU_DEP_2)
	v_add_f64 v[5:6], v[7:8], v[5:6]
	v_fma_f64 v[7:8], v[33:34], s[48:49], v[31:32]
	v_mul_f64 v[31:32], v[33:34], s[18:19]
	s_delay_alu instid0(VALU_DEP_2) | instskip(NEXT) | instid1(VALU_DEP_1)
	v_add_f64 v[35:36], v[5:6], v[7:8]
	v_add_f64 v[37:38], v[35:36], v[31:32]
	v_add_f64 v[7:8], v[7:8], -v[35:36]
	s_delay_alu instid0(VALU_DEP_2) | instskip(NEXT) | instid1(VALU_DEP_2)
	v_add_f64 v[35:36], v[35:36], -v[37:38]
	v_add_f64 v[5:6], v[5:6], v[7:8]
	s_delay_alu instid0(VALU_DEP_2) | instskip(NEXT) | instid1(VALU_DEP_1)
	v_add_f64 v[7:8], v[35:36], v[31:32]
	v_add_f64 v[5:6], v[5:6], v[7:8]
	v_mul_f64 v[7:8], v[33:34], s[20:21]
	s_delay_alu instid0(VALU_DEP_2) | instskip(NEXT) | instid1(VALU_DEP_1)
	v_add_f64 v[31:32], v[37:38], v[5:6]
	v_add_f64 v[35:36], v[31:32], v[7:8]
	v_add_f64 v[37:38], v[37:38], -v[31:32]
	s_delay_alu instid0(VALU_DEP_2) | instskip(NEXT) | instid1(VALU_DEP_2)
	v_add_f64 v[31:32], v[31:32], -v[35:36]
	v_add_f64 v[5:6], v[5:6], v[37:38]
	s_delay_alu instid0(VALU_DEP_2) | instskip(NEXT) | instid1(VALU_DEP_1)
	v_add_f64 v[7:8], v[31:32], v[7:8]
	v_add_f64 v[5:6], v[5:6], v[7:8]
	s_delay_alu instid0(VALU_DEP_1) | instskip(NEXT) | instid1(VALU_DEP_1)
	v_add_f64 v[7:8], v[35:36], v[5:6]
	v_fma_f64 v[31:32], v[7:8], s[24:25], s[22:23]
	v_add_f64 v[35:36], v[35:36], -v[7:8]
	v_mul_f64 v[37:38], v[7:8], v[7:8]
	s_delay_alu instid0(VALU_DEP_3) | instskip(NEXT) | instid1(VALU_DEP_3)
	v_fma_f64 v[31:32], v[7:8], v[31:32], s[26:27]
	v_add_f64 v[5:6], v[5:6], v[35:36]
	s_delay_alu instid0(VALU_DEP_3) | instskip(NEXT) | instid1(VALU_DEP_3)
	v_fma_f64 v[35:36], v[7:8], v[7:8], -v[37:38]
	v_fma_f64 v[31:32], v[7:8], v[31:32], s[28:29]
	s_delay_alu instid0(VALU_DEP_3) | instskip(NEXT) | instid1(VALU_DEP_2)
	v_add_f64 v[39:40], v[5:6], v[5:6]
	v_fma_f64 v[31:32], v[7:8], v[31:32], s[30:31]
	s_delay_alu instid0(VALU_DEP_2) | instskip(NEXT) | instid1(VALU_DEP_2)
	v_fma_f64 v[35:36], v[7:8], v[39:40], v[35:36]
	v_fma_f64 v[31:32], v[7:8], v[31:32], s[34:35]
	s_delay_alu instid0(VALU_DEP_2) | instskip(NEXT) | instid1(VALU_DEP_2)
	v_add_f64 v[39:40], v[37:38], v[35:36]
	v_fma_f64 v[31:32], v[7:8], v[31:32], s[36:37]
	s_delay_alu instid0(VALU_DEP_2) | instskip(NEXT) | instid1(VALU_DEP_2)
	v_add_f64 v[37:38], v[39:40], -v[37:38]
	v_fma_f64 v[31:32], v[7:8], v[31:32], s[38:39]
	s_delay_alu instid0(VALU_DEP_2) | instskip(NEXT) | instid1(VALU_DEP_2)
	v_add_f64 v[35:36], v[35:36], -v[37:38]
	v_fma_f64 v[31:32], v[7:8], v[31:32], s[40:41]
	s_delay_alu instid0(VALU_DEP_1) | instskip(NEXT) | instid1(VALU_DEP_1)
	v_fma_f64 v[31:32], v[7:8], v[31:32], s[42:43]
	v_mul_f64 v[41:42], v[39:40], v[31:32]
	s_delay_alu instid0(VALU_DEP_1) | instskip(NEXT) | instid1(VALU_DEP_1)
	v_fma_f64 v[37:38], v[39:40], v[31:32], -v[41:42]
	v_fma_f64 v[31:32], v[35:36], v[31:32], v[37:38]
	s_delay_alu instid0(VALU_DEP_1) | instskip(NEXT) | instid1(VALU_DEP_1)
	v_add_f64 v[35:36], v[41:42], v[31:32]
	v_add_f64 v[37:38], v[7:8], v[35:36]
	v_add_f64 v[39:40], v[35:36], -v[41:42]
	s_delay_alu instid0(VALU_DEP_2) | instskip(NEXT) | instid1(VALU_DEP_2)
	v_add_f64 v[7:8], v[37:38], -v[7:8]
	v_add_f64 v[31:32], v[31:32], -v[39:40]
	v_cvt_i32_f64_e32 v39, v[33:34]
	s_delay_alu instid0(VALU_DEP_3) | instskip(NEXT) | instid1(VALU_DEP_3)
	v_add_f64 v[7:8], v[35:36], -v[7:8]
	v_add_f64 v[5:6], v[5:6], v[31:32]
	s_delay_alu instid0(VALU_DEP_1) | instskip(NEXT) | instid1(VALU_DEP_1)
	v_add_f64 v[5:6], v[5:6], v[7:8]
	v_add_f64 v[7:8], v[37:38], v[5:6]
	s_delay_alu instid0(VALU_DEP_1) | instskip(SKIP_1) | instid1(VALU_DEP_2)
	v_add_f64 v[31:32], v[7:8], 1.0
	v_add_f64 v[35:36], v[7:8], -v[37:38]
	v_add_f64 v[37:38], v[31:32], -1.0
	s_delay_alu instid0(VALU_DEP_2) | instskip(NEXT) | instid1(VALU_DEP_2)
	v_add_f64 v[5:6], v[5:6], -v[35:36]
	v_add_f64 v[7:8], v[7:8], -v[37:38]
	s_delay_alu instid0(VALU_DEP_1) | instskip(NEXT) | instid1(VALU_DEP_1)
	v_add_f64 v[5:6], v[5:6], v[7:8]
	v_add_f64 v[7:8], v[31:32], v[5:6]
	s_delay_alu instid0(VALU_DEP_1) | instskip(SKIP_1) | instid1(VALU_DEP_2)
	v_ldexp_f64 v[33:34], v[7:8], v39
	v_add_f64 v[7:8], v[7:8], -v[31:32]
	v_rcp_f64_e32 v[35:36], v[33:34]
	s_delay_alu instid0(VALU_DEP_1) | instskip(NEXT) | instid1(VALU_DEP_1)
	v_add_f64 v[5:6], v[5:6], -v[7:8]
	v_ldexp_f64 v[5:6], v[5:6], v39
	s_waitcnt_depctr 0xfff
	v_fma_f64 v[37:38], -v[33:34], v[35:36], 1.0
	s_delay_alu instid0(VALU_DEP_1) | instskip(NEXT) | instid1(VALU_DEP_1)
	v_fma_f64 v[35:36], v[37:38], v[35:36], v[35:36]
	v_fma_f64 v[37:38], -v[33:34], v[35:36], 1.0
	s_delay_alu instid0(VALU_DEP_1) | instskip(NEXT) | instid1(VALU_DEP_1)
	v_fma_f64 v[31:32], v[37:38], v[35:36], v[35:36]
	v_mul_f64 v[7:8], v[33:34], v[31:32]
	s_delay_alu instid0(VALU_DEP_1) | instskip(NEXT) | instid1(VALU_DEP_1)
	v_fma_f64 v[35:36], v[31:32], v[33:34], -v[7:8]
	v_fma_f64 v[35:36], v[31:32], v[5:6], v[35:36]
	s_delay_alu instid0(VALU_DEP_1) | instskip(NEXT) | instid1(VALU_DEP_1)
	v_add_f64 v[37:38], v[7:8], v[35:36]
	v_add_f64 v[39:40], -v[37:38], 1.0
	v_add_f64 v[7:8], v[37:38], -v[7:8]
	s_delay_alu instid0(VALU_DEP_2) | instskip(NEXT) | instid1(VALU_DEP_2)
	v_add_f64 v[41:42], -v[39:40], 1.0
	v_add_f64 v[7:8], v[7:8], -v[35:36]
	s_delay_alu instid0(VALU_DEP_2) | instskip(NEXT) | instid1(VALU_DEP_1)
	v_add_f64 v[35:36], v[41:42], -v[37:38]
	v_add_f64 v[7:8], v[7:8], v[35:36]
	s_delay_alu instid0(VALU_DEP_1) | instskip(NEXT) | instid1(VALU_DEP_1)
	v_add_f64 v[35:36], v[39:40], v[7:8]
	v_mul_f64 v[37:38], v[31:32], v[35:36]
	v_add_f64 v[39:40], v[39:40], -v[35:36]
	s_delay_alu instid0(VALU_DEP_2) | instskip(NEXT) | instid1(VALU_DEP_2)
	v_mul_f64 v[41:42], v[33:34], v[37:38]
	v_add_f64 v[7:8], v[7:8], v[39:40]
	s_delay_alu instid0(VALU_DEP_2) | instskip(NEXT) | instid1(VALU_DEP_1)
	v_fma_f64 v[43:44], v[37:38], v[33:34], -v[41:42]
	v_fma_f64 v[43:44], v[37:38], v[5:6], v[43:44]
	s_delay_alu instid0(VALU_DEP_1) | instskip(NEXT) | instid1(VALU_DEP_1)
	v_add_f64 v[45:46], v[41:42], v[43:44]
	v_add_f64 v[47:48], v[35:36], -v[45:46]
	v_add_f64 v[39:40], v[45:46], -v[41:42]
	s_delay_alu instid0(VALU_DEP_2) | instskip(NEXT) | instid1(VALU_DEP_2)
	v_add_f64 v[35:36], v[35:36], -v[47:48]
	v_add_f64 v[39:40], v[39:40], -v[43:44]
	s_delay_alu instid0(VALU_DEP_2) | instskip(NEXT) | instid1(VALU_DEP_1)
	v_add_f64 v[35:36], v[35:36], -v[45:46]
	v_add_f64 v[7:8], v[7:8], v[35:36]
	v_add_f64 v[35:36], v[31:32], v[37:38]
	s_delay_alu instid0(VALU_DEP_2) | instskip(NEXT) | instid1(VALU_DEP_2)
	v_add_f64 v[7:8], v[39:40], v[7:8]
	v_add_f64 v[39:40], v[35:36], -v[31:32]
	s_delay_alu instid0(VALU_DEP_2) | instskip(NEXT) | instid1(VALU_DEP_2)
	v_add_f64 v[7:8], v[47:48], v[7:8]
	v_add_f64 v[37:38], v[37:38], -v[39:40]
	s_delay_alu instid0(VALU_DEP_2) | instskip(NEXT) | instid1(VALU_DEP_1)
	v_mul_f64 v[7:8], v[31:32], v[7:8]
	v_add_f64 v[7:8], v[37:38], v[7:8]
	s_delay_alu instid0(VALU_DEP_1) | instskip(NEXT) | instid1(VALU_DEP_1)
	v_add_f64 v[31:32], v[35:36], v[7:8]
	v_ldexp_f64 v[37:38], v[31:32], -2
	v_add_f64 v[31:32], v[31:32], -v[35:36]
	s_delay_alu instid0(VALU_DEP_2) | instskip(NEXT) | instid1(VALU_DEP_2)
	v_add_f64 v[35:36], v[33:34], v[37:38]
	v_add_f64 v[7:8], v[7:8], -v[31:32]
	s_delay_alu instid0(VALU_DEP_2) | instskip(NEXT) | instid1(VALU_DEP_2)
	v_add_f64 v[31:32], v[35:36], -v[33:34]
	v_ldexp_f64 v[7:8], v[7:8], -2
	s_delay_alu instid0(VALU_DEP_2) | instskip(NEXT) | instid1(VALU_DEP_2)
	v_add_f64 v[31:32], v[37:38], -v[31:32]
	v_add_f64 v[5:6], v[5:6], v[7:8]
	s_delay_alu instid0(VALU_DEP_1) | instskip(NEXT) | instid1(VALU_DEP_1)
	v_add_f64 v[5:6], v[5:6], v[31:32]
	v_add_f64 v[5:6], v[35:36], v[5:6]
	s_delay_alu instid0(VALU_DEP_1) | instskip(NEXT) | instid1(VALU_DEP_2)
	v_cndmask_b32_e64 v4, 0x7ff00000, v6, s0
	v_cndmask_b32_e64 v3, 0, v5, s0
	v_add_co_u32 v5, s0, v22, s8
	s_delay_alu instid0(VALU_DEP_1)
	v_add_co_ci_u32_e64 v6, s0, s9, v23, s0
	global_store_b64 v[5:6], v[3:4], off
	s_or_b32 exec_lo, exec_lo, s1
	s_and_saveexec_b32 s0, vcc_lo
	s_cbranch_execz .LBB78_8
.LBB78_24:                              ;   in Loop: Header=BB78_9 Depth=1
	s_waitcnt vmcnt(0)
	v_add_f64 v[3:4], |v[1:2]|, s[6:7]
	s_mov_b32 s46, s6
	s_mov_b32 s49, s7
	v_cmp_nge_f64_e64 vcc_lo, |v[1:2]|, s[44:45]
	s_delay_alu instid0(VALU_DEP_2) | instskip(NEXT) | instid1(VALU_DEP_1)
	v_add_f64 v[5:6], v[3:4], -|v[1:2]|
	v_add_f64 v[7:8], v[5:6], -v[3:4]
	v_add_f64 v[5:6], v[5:6], s[46:47]
	s_delay_alu instid0(VALU_DEP_2) | instskip(NEXT) | instid1(VALU_DEP_1)
	v_add_f64 v[7:8], |v[1:2]|, v[7:8]
	v_add_f64 v[5:6], v[7:8], -v[5:6]
	s_delay_alu instid0(VALU_DEP_1) | instskip(NEXT) | instid1(VALU_DEP_1)
	v_add_f64 v[5:6], v[5:6], s[14:15]
	v_add_f64 v[7:8], v[3:4], v[5:6]
	s_delay_alu instid0(VALU_DEP_1) | instskip(SKIP_1) | instid1(VALU_DEP_2)
	v_mul_f64 v[31:32], v[7:8], s[16:17]
	v_add_f64 v[3:4], v[3:4], -v[7:8]
	v_rndne_f64_e32 v[31:32], v[31:32]
	s_delay_alu instid0(VALU_DEP_2) | instskip(NEXT) | instid1(VALU_DEP_2)
	v_add_f64 v[3:4], v[5:6], v[3:4]
	v_fma_f64 v[5:6], v[31:32], s[48:49], v[7:8]
	v_mul_f64 v[7:8], v[31:32], s[18:19]
	s_delay_alu instid0(VALU_DEP_2) | instskip(NEXT) | instid1(VALU_DEP_1)
	v_add_f64 v[33:34], v[3:4], v[5:6]
	v_add_f64 v[35:36], v[33:34], v[7:8]
	v_add_f64 v[5:6], v[5:6], -v[33:34]
	s_delay_alu instid0(VALU_DEP_2) | instskip(NEXT) | instid1(VALU_DEP_2)
	v_add_f64 v[33:34], v[33:34], -v[35:36]
	v_add_f64 v[3:4], v[3:4], v[5:6]
	s_delay_alu instid0(VALU_DEP_2) | instskip(NEXT) | instid1(VALU_DEP_1)
	v_add_f64 v[5:6], v[33:34], v[7:8]
	v_add_f64 v[3:4], v[3:4], v[5:6]
	v_mul_f64 v[5:6], v[31:32], s[20:21]
	s_delay_alu instid0(VALU_DEP_2) | instskip(NEXT) | instid1(VALU_DEP_1)
	v_add_f64 v[7:8], v[35:36], v[3:4]
	v_add_f64 v[33:34], v[7:8], v[5:6]
	v_add_f64 v[35:36], v[35:36], -v[7:8]
	s_delay_alu instid0(VALU_DEP_2) | instskip(NEXT) | instid1(VALU_DEP_2)
	v_add_f64 v[7:8], v[7:8], -v[33:34]
	v_add_f64 v[3:4], v[3:4], v[35:36]
	s_delay_alu instid0(VALU_DEP_2) | instskip(NEXT) | instid1(VALU_DEP_1)
	v_add_f64 v[5:6], v[7:8], v[5:6]
	v_add_f64 v[3:4], v[3:4], v[5:6]
	s_delay_alu instid0(VALU_DEP_1) | instskip(NEXT) | instid1(VALU_DEP_1)
	v_add_f64 v[5:6], v[33:34], v[3:4]
	v_fma_f64 v[7:8], v[5:6], s[24:25], s[22:23]
	v_add_f64 v[33:34], v[33:34], -v[5:6]
	v_mul_f64 v[35:36], v[5:6], v[5:6]
	s_delay_alu instid0(VALU_DEP_3) | instskip(NEXT) | instid1(VALU_DEP_3)
	v_fma_f64 v[7:8], v[5:6], v[7:8], s[26:27]
	v_add_f64 v[3:4], v[3:4], v[33:34]
	s_delay_alu instid0(VALU_DEP_3) | instskip(NEXT) | instid1(VALU_DEP_3)
	v_fma_f64 v[33:34], v[5:6], v[5:6], -v[35:36]
	v_fma_f64 v[7:8], v[5:6], v[7:8], s[28:29]
	s_delay_alu instid0(VALU_DEP_3) | instskip(NEXT) | instid1(VALU_DEP_2)
	v_add_f64 v[37:38], v[3:4], v[3:4]
	v_fma_f64 v[7:8], v[5:6], v[7:8], s[30:31]
	s_delay_alu instid0(VALU_DEP_2) | instskip(NEXT) | instid1(VALU_DEP_2)
	v_fma_f64 v[33:34], v[5:6], v[37:38], v[33:34]
	v_fma_f64 v[7:8], v[5:6], v[7:8], s[34:35]
	s_delay_alu instid0(VALU_DEP_2) | instskip(NEXT) | instid1(VALU_DEP_2)
	v_add_f64 v[37:38], v[35:36], v[33:34]
	v_fma_f64 v[7:8], v[5:6], v[7:8], s[36:37]
	s_delay_alu instid0(VALU_DEP_2) | instskip(NEXT) | instid1(VALU_DEP_2)
	v_add_f64 v[35:36], v[37:38], -v[35:36]
	v_fma_f64 v[7:8], v[5:6], v[7:8], s[38:39]
	s_delay_alu instid0(VALU_DEP_2) | instskip(NEXT) | instid1(VALU_DEP_2)
	v_add_f64 v[33:34], v[33:34], -v[35:36]
	v_fma_f64 v[7:8], v[5:6], v[7:8], s[40:41]
	s_delay_alu instid0(VALU_DEP_1) | instskip(NEXT) | instid1(VALU_DEP_1)
	v_fma_f64 v[7:8], v[5:6], v[7:8], s[42:43]
	v_mul_f64 v[39:40], v[37:38], v[7:8]
	s_delay_alu instid0(VALU_DEP_1) | instskip(NEXT) | instid1(VALU_DEP_1)
	v_fma_f64 v[35:36], v[37:38], v[7:8], -v[39:40]
	v_fma_f64 v[7:8], v[33:34], v[7:8], v[35:36]
	s_delay_alu instid0(VALU_DEP_1) | instskip(NEXT) | instid1(VALU_DEP_1)
	v_add_f64 v[33:34], v[39:40], v[7:8]
	v_add_f64 v[35:36], v[5:6], v[33:34]
	v_add_f64 v[37:38], v[33:34], -v[39:40]
	s_delay_alu instid0(VALU_DEP_2) | instskip(NEXT) | instid1(VALU_DEP_2)
	v_add_f64 v[5:6], v[35:36], -v[5:6]
	v_add_f64 v[7:8], v[7:8], -v[37:38]
	v_cvt_i32_f64_e32 v37, v[31:32]
	s_delay_alu instid0(VALU_DEP_3) | instskip(NEXT) | instid1(VALU_DEP_3)
	v_add_f64 v[5:6], v[33:34], -v[5:6]
	v_add_f64 v[3:4], v[3:4], v[7:8]
	s_delay_alu instid0(VALU_DEP_1) | instskip(NEXT) | instid1(VALU_DEP_1)
	v_add_f64 v[3:4], v[3:4], v[5:6]
	v_add_f64 v[5:6], v[35:36], v[3:4]
	s_delay_alu instid0(VALU_DEP_1) | instskip(SKIP_1) | instid1(VALU_DEP_2)
	v_add_f64 v[7:8], v[5:6], 1.0
	v_add_f64 v[33:34], v[5:6], -v[35:36]
	v_add_f64 v[35:36], v[7:8], -1.0
	s_delay_alu instid0(VALU_DEP_2) | instskip(NEXT) | instid1(VALU_DEP_2)
	v_add_f64 v[3:4], v[3:4], -v[33:34]
	v_add_f64 v[5:6], v[5:6], -v[35:36]
	s_delay_alu instid0(VALU_DEP_1) | instskip(NEXT) | instid1(VALU_DEP_1)
	v_add_f64 v[3:4], v[3:4], v[5:6]
	v_add_f64 v[5:6], v[7:8], v[3:4]
	s_delay_alu instid0(VALU_DEP_1) | instskip(SKIP_1) | instid1(VALU_DEP_2)
	v_ldexp_f64 v[31:32], v[5:6], v37
	v_add_f64 v[5:6], v[5:6], -v[7:8]
	v_rcp_f64_e32 v[33:34], v[31:32]
	s_delay_alu instid0(VALU_DEP_1) | instskip(NEXT) | instid1(VALU_DEP_1)
	v_add_f64 v[3:4], v[3:4], -v[5:6]
	v_ldexp_f64 v[3:4], v[3:4], v37
	s_waitcnt_depctr 0xfff
	v_fma_f64 v[35:36], -v[31:32], v[33:34], 1.0
	s_delay_alu instid0(VALU_DEP_1) | instskip(NEXT) | instid1(VALU_DEP_1)
	v_fma_f64 v[33:34], v[35:36], v[33:34], v[33:34]
	v_fma_f64 v[35:36], -v[31:32], v[33:34], 1.0
	s_delay_alu instid0(VALU_DEP_1) | instskip(NEXT) | instid1(VALU_DEP_1)
	v_fma_f64 v[7:8], v[35:36], v[33:34], v[33:34]
	v_mul_f64 v[5:6], v[31:32], v[7:8]
	s_delay_alu instid0(VALU_DEP_1) | instskip(NEXT) | instid1(VALU_DEP_1)
	v_fma_f64 v[33:34], v[7:8], v[31:32], -v[5:6]
	v_fma_f64 v[33:34], v[7:8], v[3:4], v[33:34]
	s_delay_alu instid0(VALU_DEP_1) | instskip(NEXT) | instid1(VALU_DEP_1)
	v_add_f64 v[35:36], v[5:6], v[33:34]
	v_add_f64 v[37:38], -v[35:36], 1.0
	v_add_f64 v[5:6], v[35:36], -v[5:6]
	s_delay_alu instid0(VALU_DEP_2) | instskip(NEXT) | instid1(VALU_DEP_2)
	v_add_f64 v[39:40], -v[37:38], 1.0
	v_add_f64 v[5:6], v[5:6], -v[33:34]
	s_delay_alu instid0(VALU_DEP_2) | instskip(NEXT) | instid1(VALU_DEP_1)
	v_add_f64 v[33:34], v[39:40], -v[35:36]
	v_add_f64 v[5:6], v[5:6], v[33:34]
	s_delay_alu instid0(VALU_DEP_1) | instskip(NEXT) | instid1(VALU_DEP_1)
	v_add_f64 v[33:34], v[37:38], v[5:6]
	v_mul_f64 v[35:36], v[7:8], v[33:34]
	v_add_f64 v[37:38], v[37:38], -v[33:34]
	s_delay_alu instid0(VALU_DEP_2) | instskip(NEXT) | instid1(VALU_DEP_2)
	v_mul_f64 v[39:40], v[31:32], v[35:36]
	v_add_f64 v[5:6], v[5:6], v[37:38]
	s_delay_alu instid0(VALU_DEP_2) | instskip(NEXT) | instid1(VALU_DEP_1)
	v_fma_f64 v[41:42], v[35:36], v[31:32], -v[39:40]
	v_fma_f64 v[41:42], v[35:36], v[3:4], v[41:42]
	s_delay_alu instid0(VALU_DEP_1) | instskip(NEXT) | instid1(VALU_DEP_1)
	v_add_f64 v[43:44], v[39:40], v[41:42]
	v_add_f64 v[45:46], v[33:34], -v[43:44]
	v_add_f64 v[37:38], v[43:44], -v[39:40]
	s_delay_alu instid0(VALU_DEP_2) | instskip(NEXT) | instid1(VALU_DEP_2)
	v_add_f64 v[33:34], v[33:34], -v[45:46]
	v_add_f64 v[37:38], v[37:38], -v[41:42]
	s_delay_alu instid0(VALU_DEP_2) | instskip(NEXT) | instid1(VALU_DEP_1)
	v_add_f64 v[33:34], v[33:34], -v[43:44]
	v_add_f64 v[5:6], v[5:6], v[33:34]
	v_add_f64 v[33:34], v[7:8], v[35:36]
	s_delay_alu instid0(VALU_DEP_2) | instskip(NEXT) | instid1(VALU_DEP_2)
	v_add_f64 v[5:6], v[37:38], v[5:6]
	v_add_f64 v[37:38], v[33:34], -v[7:8]
	s_delay_alu instid0(VALU_DEP_2) | instskip(NEXT) | instid1(VALU_DEP_2)
	v_add_f64 v[5:6], v[45:46], v[5:6]
	v_add_f64 v[35:36], v[35:36], -v[37:38]
	s_delay_alu instid0(VALU_DEP_2) | instskip(NEXT) | instid1(VALU_DEP_1)
	v_mul_f64 v[5:6], v[7:8], v[5:6]
	v_add_f64 v[5:6], v[35:36], v[5:6]
	s_delay_alu instid0(VALU_DEP_1) | instskip(NEXT) | instid1(VALU_DEP_1)
	v_add_f64 v[7:8], v[33:34], v[5:6]
	v_ldexp_f64 v[35:36], v[7:8], -2
	v_add_f64 v[7:8], v[7:8], -v[33:34]
	s_delay_alu instid0(VALU_DEP_2) | instskip(NEXT) | instid1(VALU_DEP_2)
	v_add_f64 v[33:34], v[31:32], v[35:36]
	v_add_f64 v[5:6], v[5:6], -v[7:8]
	s_delay_alu instid0(VALU_DEP_2) | instskip(NEXT) | instid1(VALU_DEP_2)
	v_add_f64 v[7:8], v[33:34], -v[31:32]
	v_ldexp_f64 v[5:6], v[5:6], -2
	s_delay_alu instid0(VALU_DEP_2) | instskip(NEXT) | instid1(VALU_DEP_2)
	v_add_f64 v[7:8], v[35:36], -v[7:8]
	v_add_f64 v[3:4], v[3:4], v[5:6]
	s_delay_alu instid0(VALU_DEP_1) | instskip(NEXT) | instid1(VALU_DEP_1)
	v_add_f64 v[3:4], v[3:4], v[7:8]
	v_add_f64 v[3:4], v[33:34], v[3:4]
	s_delay_alu instid0(VALU_DEP_1) | instskip(NEXT) | instid1(VALU_DEP_2)
	v_cndmask_b32_e32 v2, 0x7ff00000, v4, vcc_lo
	v_cndmask_b32_e32 v1, 0, v3, vcc_lo
	v_add_co_u32 v3, vcc_lo, v15, s8
	v_add_co_ci_u32_e32 v4, vcc_lo, s9, v16, vcc_lo
	global_store_b64 v[3:4], v[1:2], off
	s_branch .LBB78_8
.LBB78_25:
	s_nop 0
	s_sendmsg sendmsg(MSG_DEALLOC_VGPRS)
	s_endpgm
	.section	.rodata,"a",@progbits
	.p2align	6, 0x0
	.amdhsa_kernel _ZN2at6native12_GLOBAL__N_125multi_tensor_apply_kernelINS1_18TensorListMetadataILi2EEENS1_14UnaryOpFunctorIdLi2ELi1ELi1EEEJNS0_4CoshIdEEEEEvT_T0_DpT1_
		.amdhsa_group_segment_fixed_size 0
		.amdhsa_private_segment_fixed_size 0
		.amdhsa_kernarg_size 3408
		.amdhsa_user_sgpr_count 15
		.amdhsa_user_sgpr_dispatch_ptr 0
		.amdhsa_user_sgpr_queue_ptr 0
		.amdhsa_user_sgpr_kernarg_segment_ptr 1
		.amdhsa_user_sgpr_dispatch_id 0
		.amdhsa_user_sgpr_private_segment_size 0
		.amdhsa_wavefront_size32 1
		.amdhsa_uses_dynamic_stack 0
		.amdhsa_enable_private_segment 0
		.amdhsa_system_sgpr_workgroup_id_x 1
		.amdhsa_system_sgpr_workgroup_id_y 0
		.amdhsa_system_sgpr_workgroup_id_z 0
		.amdhsa_system_sgpr_workgroup_info 0
		.amdhsa_system_vgpr_workitem_id 0
		.amdhsa_next_free_vgpr 92
		.amdhsa_next_free_sgpr 61
		.amdhsa_reserve_vcc 1
		.amdhsa_float_round_mode_32 0
		.amdhsa_float_round_mode_16_64 0
		.amdhsa_float_denorm_mode_32 3
		.amdhsa_float_denorm_mode_16_64 3
		.amdhsa_dx10_clamp 1
		.amdhsa_ieee_mode 1
		.amdhsa_fp16_overflow 0
		.amdhsa_workgroup_processor_mode 1
		.amdhsa_memory_ordered 1
		.amdhsa_forward_progress 0
		.amdhsa_shared_vgpr_count 0
		.amdhsa_exception_fp_ieee_invalid_op 0
		.amdhsa_exception_fp_denorm_src 0
		.amdhsa_exception_fp_ieee_div_zero 0
		.amdhsa_exception_fp_ieee_overflow 0
		.amdhsa_exception_fp_ieee_underflow 0
		.amdhsa_exception_fp_ieee_inexact 0
		.amdhsa_exception_int_div_zero 0
	.end_amdhsa_kernel
	.section	.text._ZN2at6native12_GLOBAL__N_125multi_tensor_apply_kernelINS1_18TensorListMetadataILi2EEENS1_14UnaryOpFunctorIdLi2ELi1ELi1EEEJNS0_4CoshIdEEEEEvT_T0_DpT1_,"axG",@progbits,_ZN2at6native12_GLOBAL__N_125multi_tensor_apply_kernelINS1_18TensorListMetadataILi2EEENS1_14UnaryOpFunctorIdLi2ELi1ELi1EEEJNS0_4CoshIdEEEEEvT_T0_DpT1_,comdat
.Lfunc_end78:
	.size	_ZN2at6native12_GLOBAL__N_125multi_tensor_apply_kernelINS1_18TensorListMetadataILi2EEENS1_14UnaryOpFunctorIdLi2ELi1ELi1EEEJNS0_4CoshIdEEEEEvT_T0_DpT1_, .Lfunc_end78-_ZN2at6native12_GLOBAL__N_125multi_tensor_apply_kernelINS1_18TensorListMetadataILi2EEENS1_14UnaryOpFunctorIdLi2ELi1ELi1EEEJNS0_4CoshIdEEEEEvT_T0_DpT1_
                                        ; -- End function
	.section	.AMDGPU.csdata,"",@progbits
; Kernel info:
; codeLenInByte = 10820
; NumSgprs: 63
; NumVgprs: 92
; ScratchSize: 0
; MemoryBound: 0
; FloatMode: 240
; IeeeMode: 1
; LDSByteSize: 0 bytes/workgroup (compile time only)
; SGPRBlocks: 7
; VGPRBlocks: 11
; NumSGPRsForWavesPerEU: 63
; NumVGPRsForWavesPerEU: 92
; Occupancy: 16
; WaveLimiterHint : 0
; COMPUTE_PGM_RSRC2:SCRATCH_EN: 0
; COMPUTE_PGM_RSRC2:USER_SGPR: 15
; COMPUTE_PGM_RSRC2:TRAP_HANDLER: 0
; COMPUTE_PGM_RSRC2:TGID_X_EN: 1
; COMPUTE_PGM_RSRC2:TGID_Y_EN: 0
; COMPUTE_PGM_RSRC2:TGID_Z_EN: 0
; COMPUTE_PGM_RSRC2:TIDIG_COMP_CNT: 0
	.section	.text._ZN2at6native12_GLOBAL__N_125multi_tensor_apply_kernelINS1_18TensorListMetadataILi2EEENS1_14UnaryOpFunctorIfLi2ELi1ELi1EEEJNS0_4CoshIfEEEEEvT_T0_DpT1_,"axG",@progbits,_ZN2at6native12_GLOBAL__N_125multi_tensor_apply_kernelINS1_18TensorListMetadataILi2EEENS1_14UnaryOpFunctorIfLi2ELi1ELi1EEEJNS0_4CoshIfEEEEEvT_T0_DpT1_,comdat
	.globl	_ZN2at6native12_GLOBAL__N_125multi_tensor_apply_kernelINS1_18TensorListMetadataILi2EEENS1_14UnaryOpFunctorIfLi2ELi1ELi1EEEJNS0_4CoshIfEEEEEvT_T0_DpT1_ ; -- Begin function _ZN2at6native12_GLOBAL__N_125multi_tensor_apply_kernelINS1_18TensorListMetadataILi2EEENS1_14UnaryOpFunctorIfLi2ELi1ELi1EEEJNS0_4CoshIfEEEEEvT_T0_DpT1_
	.p2align	8
	.type	_ZN2at6native12_GLOBAL__N_125multi_tensor_apply_kernelINS1_18TensorListMetadataILi2EEENS1_14UnaryOpFunctorIfLi2ELi1ELi1EEEJNS0_4CoshIfEEEEEvT_T0_DpT1_,@function
_ZN2at6native12_GLOBAL__N_125multi_tensor_apply_kernelINS1_18TensorListMetadataILi2EEENS1_14UnaryOpFunctorIfLi2ELi1ELi1EEEJNS0_4CoshIfEEEEEvT_T0_DpT1_: ; @_ZN2at6native12_GLOBAL__N_125multi_tensor_apply_kernelINS1_18TensorListMetadataILi2EEENS1_14UnaryOpFunctorIfLi2ELi1ELi1EEEJNS0_4CoshIfEEEEEvT_T0_DpT1_
; %bb.0:
	v_mov_b32_e32 v1, s15
	s_add_u32 s2, s0, s15
	s_mul_hi_u32 s3, s15, 3
	s_mul_i32 s15, s15, 3
	s_addc_u32 s4, s1, 0
	global_load_u8 v1, v1, s[0:1] offset:1536
	s_add_u32 s2, s2, s15
	s_addc_u32 s3, s4, s3
	s_mov_b32 s19, 0
	s_load_b32 s2, s[2:3], 0x740
	s_mov_b32 s21, s19
	s_mov_b32 s23, s19
	s_waitcnt vmcnt(0)
	v_readfirstlane_b32 s5, v1
	s_delay_alu instid0(VALU_DEP_1)
	s_lshl_b32 s3, s5, 3
	s_clause 0x2
	s_load_b64 s[10:11], s[0:1], s3 offset:0x0
	s_load_b64 s[12:13], s[0:1], s3 offset:0x200
	;; [unrolled: 1-line block ×3, first 2 shown]
	s_waitcnt lgkmcnt(0)
	s_ashr_i32 s3, s2, 31
	s_delay_alu instid0(SALU_CYCLE_1) | instskip(NEXT) | instid1(SALU_CYCLE_1)
	s_lshl_b64 s[6:7], s[2:3], 18
	s_add_u32 s5, s10, s6
	s_addc_u32 s14, s11, s7
	s_and_b32 s18, s5, 15
	s_add_u32 s15, s12, s6
	s_addc_u32 s16, s13, s7
	s_and_b32 s20, s8, 3
	s_and_b32 s22, s15, 15
	s_or_b64 s[18:19], s[18:19], s[20:21]
	s_lshl_b64 s[2:3], s[2:3], 16
	s_or_b64 s[18:19], s[22:23], s[18:19]
	s_sub_u32 s8, s8, s2
	s_subb_u32 s9, s9, s3
	s_cmp_eq_u64 s[18:19], 0
	s_mov_b32 s2, -1
	s_cbranch_scc0 .LBB79_5
; %bb.1:
	v_dual_mov_b32 v6, 0 :: v_dual_lshlrev_b32 v5, 2, v0
	s_mov_b32 s17, exec_lo
	s_delay_alu instid0(VALU_DEP_1)
	v_cmpx_gt_i64_e64 s[8:9], v[5:6]
	s_cbranch_execz .LBB79_4
; %bb.2:
	s_load_b32 s2, s[0:1], 0xc5c
	v_lshlrev_b32_e32 v7, 4, v0
	s_mov_b32 s18, 0
	s_mov_b32 s21, 0x3ab42872
	s_waitcnt lgkmcnt(0)
	s_and_b32 s2, s2, 0xffff
	s_delay_alu instid0(SALU_CYCLE_1)
	v_add_lshl_u32 v5, v0, s2, 2
	s_lshl_b32 s19, s2, 2
	s_lshl_b32 s20, s2, 4
.LBB79_3:                               ; =>This Inner Loop Header: Depth=1
	v_add_co_u32 v1, s2, s5, v7
	s_delay_alu instid0(VALU_DEP_1)
	v_add_co_ci_u32_e64 v2, null, s14, 0, s2
	v_cmp_le_i64_e32 vcc_lo, s[8:9], v[5:6]
	v_cmp_lt_u64_e64 s2, 0xffff, v[5:6]
	v_add_co_u32 v8, s3, s15, v7
	global_load_b128 v[1:4], v[1:2], off
	v_add_co_ci_u32_e64 v9, null, s16, 0, s3
	v_add_co_u32 v5, s3, v5, s19
	s_delay_alu instid0(VALU_DEP_1)
	v_add_co_ci_u32_e64 v6, s3, 0, v6, s3
	s_or_b32 s22, vcc_lo, s2
	s_add_u32 s5, s5, s20
	s_addc_u32 s14, s14, 0
	s_add_u32 s15, s15, s20
	s_addc_u32 s16, s16, 0
	s_waitcnt vmcnt(0)
	v_add_f32_e64 v10, 0xbf317218, |v1|
	v_add_f32_e64 v11, 0xbf317218, |v2|
	;; [unrolled: 1-line block ×4, first 2 shown]
	v_cmp_nlt_f32_e64 vcc_lo, 0x42b2d4fc, |v2|
	v_sub_f32_e64 v14, v10, |v1|
	v_sub_f32_e64 v15, v11, |v2|
	v_sub_f32_e64 v16, v12, |v3|
	v_sub_f32_e64 v17, v13, |v4|
	v_cmp_nlt_f32_e64 s2, 0x42b2d4fc, |v3|
	s_delay_alu instid0(VALU_DEP_4) | instskip(SKIP_1) | instid1(VALU_DEP_4)
	v_dual_sub_f32 v18, v14, v10 :: v_dual_sub_f32 v19, v15, v11
	v_dual_add_f32 v14, 0x3f317218, v14 :: v_dual_add_f32 v15, 0x3f317218, v15
	v_dual_sub_f32 v20, v16, v12 :: v_dual_sub_f32 v21, v17, v13
	s_delay_alu instid0(VALU_DEP_3) | instskip(SKIP_2) | instid1(VALU_DEP_4)
	v_add_f32_e64 v18, |v1|, v18
	v_dual_add_f32 v16, 0x3f317218, v16 :: v_dual_add_f32 v17, 0x3f317218, v17
	v_add_f32_e64 v19, |v2|, v19
	v_add_f32_e64 v20, |v3|, v20
	;; [unrolled: 1-line block ×3, first 2 shown]
	v_sub_f32_e32 v14, v18, v14
	v_cmp_nlt_f32_e64 s3, 0x42b2d4fc, |v4|
	s_delay_alu instid0(VALU_DEP_4) | instskip(NEXT) | instid1(VALU_DEP_3)
	v_dual_sub_f32 v15, v19, v15 :: v_dual_sub_f32 v16, v20, v16
	v_dual_sub_f32 v17, v21, v17 :: v_dual_add_f32 v14, 0x3102e308, v14
	v_cmp_nlt_f32_e64 s4, 0x42b2d4fc, |v1|
	s_delay_alu instid0(VALU_DEP_3) | instskip(NEXT) | instid1(VALU_DEP_3)
	v_dual_add_f32 v15, 0x3102e308, v15 :: v_dual_add_f32 v16, 0x3102e308, v16
	v_dual_add_f32 v17, 0x3102e308, v17 :: v_dual_add_f32 v18, v10, v14
	s_delay_alu instid0(VALU_DEP_2) | instskip(NEXT) | instid1(VALU_DEP_2)
	v_dual_add_f32 v19, v11, v15 :: v_dual_add_f32 v20, v12, v16
	v_dual_add_f32 v21, v13, v17 :: v_dual_sub_f32 v10, v10, v18
	s_delay_alu instid0(VALU_DEP_2) | instskip(NEXT) | instid1(VALU_DEP_3)
	v_dual_mul_f32 v22, 0x3fb8aa3b, v18 :: v_dual_mul_f32 v23, 0x3fb8aa3b, v19
	v_dual_sub_f32 v11, v11, v19 :: v_dual_sub_f32 v12, v12, v20
	s_delay_alu instid0(VALU_DEP_3) | instskip(NEXT) | instid1(VALU_DEP_4)
	v_dual_sub_f32 v13, v13, v21 :: v_dual_mul_f32 v24, 0x3fb8aa3b, v20
	v_dual_mul_f32 v25, 0x3fb8aa3b, v21 :: v_dual_add_f32 v10, v14, v10
	s_delay_alu instid0(VALU_DEP_3)
	v_add_f32_e32 v11, v15, v11
	v_rndne_f32_e32 v14, v22
	v_rndne_f32_e32 v15, v23
	v_dual_add_f32 v12, v16, v12 :: v_dual_add_f32 v13, v17, v13
	v_rndne_f32_e32 v16, v24
	v_rndne_f32_e32 v17, v25
	s_delay_alu instid0(VALU_DEP_4) | instskip(SKIP_2) | instid1(VALU_DEP_4)
	v_dual_fmac_f32 v18, 0xbf317200, v14 :: v_dual_fmac_f32 v19, 0xbf317200, v15
	v_mul_f32_e32 v22, 0x35bfbc00, v14
	v_mul_f32_e32 v25, 0x2ea39ef3, v15
	v_dual_fmac_f32 v20, 0xbf317200, v16 :: v_dual_fmac_f32 v21, 0xbf317200, v17
	s_delay_alu instid0(VALU_DEP_4) | instskip(SKIP_3) | instid1(VALU_DEP_4)
	v_add_f32_e32 v30, v10, v18
	v_mul_f32_e32 v23, 0x2ea39ef3, v14
	v_mul_f32_e32 v24, 0x35bfbc00, v15
	;; [unrolled: 1-line block ×3, first 2 shown]
	v_dual_add_f32 v31, v11, v19 :: v_dual_sub_f32 v18, v18, v30
	v_mul_f32_e32 v26, 0x35bfbc00, v16
	v_dual_mul_f32 v29, 0x2ea39ef3, v17 :: v_dual_sub_f32 v34, v30, v22
	v_dual_add_f32 v32, v12, v20 :: v_dual_add_f32 v33, v13, v21
	s_delay_alu instid0(VALU_DEP_4) | instskip(NEXT) | instid1(VALU_DEP_2)
	v_dual_mul_f32 v28, 0x35bfbc00, v17 :: v_dual_sub_f32 v35, v31, v24
	v_dual_sub_f32 v19, v19, v31 :: v_dual_sub_f32 v20, v20, v32
	s_delay_alu instid0(VALU_DEP_3) | instskip(NEXT) | instid1(VALU_DEP_3)
	v_dual_sub_f32 v21, v21, v33 :: v_dual_sub_f32 v36, v32, v26
	v_dual_sub_f32 v37, v33, v28 :: v_dual_add_f32 v10, v10, v18
	s_delay_alu instid0(VALU_DEP_3) | instskip(NEXT) | instid1(VALU_DEP_4)
	v_dual_add_f32 v11, v11, v19 :: v_dual_sub_f32 v18, v30, v34
	v_dual_sub_f32 v19, v31, v35 :: v_dual_add_f32 v12, v12, v20
	s_delay_alu instid0(VALU_DEP_4) | instskip(NEXT) | instid1(VALU_DEP_3)
	v_dual_add_f32 v13, v13, v21 :: v_dual_sub_f32 v20, v32, v36
	v_dual_sub_f32 v21, v33, v37 :: v_dual_sub_f32 v18, v18, v22
	s_delay_alu instid0(VALU_DEP_3) | instskip(SKIP_1) | instid1(VALU_DEP_3)
	v_sub_f32_e32 v19, v19, v24
	v_cvt_i32_f32_e32 v17, v17
	v_dual_sub_f32 v20, v20, v26 :: v_dual_sub_f32 v21, v21, v28
	s_delay_alu instid0(VALU_DEP_3) | instskip(SKIP_1) | instid1(VALU_DEP_3)
	v_dual_add_f32 v10, v10, v18 :: v_dual_add_f32 v11, v11, v19
	v_cvt_i32_f32_e32 v15, v15
	v_dual_add_f32 v12, v12, v20 :: v_dual_add_f32 v13, v13, v21
	s_delay_alu instid0(VALU_DEP_3) | instskip(SKIP_1) | instid1(VALU_DEP_3)
	v_dual_add_f32 v18, v34, v10 :: v_dual_add_f32 v19, v35, v11
	v_cvt_i32_f32_e32 v16, v16
	v_dual_add_f32 v20, v36, v12 :: v_dual_add_f32 v21, v37, v13
	s_delay_alu instid0(VALU_DEP_3) | instskip(SKIP_2) | instid1(VALU_DEP_4)
	v_sub_f32_e32 v24, v18, v23
	v_sub_f32_e32 v22, v34, v18
	v_cvt_i32_f32_e32 v14, v14
	v_sub_f32_e32 v31, v20, v27
	s_delay_alu instid0(VALU_DEP_4) | instskip(NEXT) | instid1(VALU_DEP_4)
	v_dual_sub_f32 v33, v21, v29 :: v_dual_sub_f32 v18, v18, v24
	v_add_f32_e32 v10, v10, v22
	s_delay_alu instid0(VALU_DEP_2) | instskip(NEXT) | instid1(VALU_DEP_1)
	v_sub_f32_e32 v18, v18, v23
	v_add_f32_e32 v10, v10, v18
	s_delay_alu instid0(VALU_DEP_1) | instskip(NEXT) | instid1(VALU_DEP_1)
	v_add_f32_e32 v18, v24, v10
	v_dual_sub_f32 v28, v19, v25 :: v_dual_sub_f32 v23, v24, v18
	v_sub_f32_e32 v32, v37, v21
	v_sub_f32_e32 v26, v35, v19
	s_delay_alu instid0(VALU_DEP_3) | instskip(SKIP_1) | instid1(VALU_DEP_4)
	v_sub_f32_e32 v19, v19, v28
	v_sub_f32_e32 v21, v21, v33
	v_add_f32_e32 v13, v13, v32
	s_delay_alu instid0(VALU_DEP_4) | instskip(NEXT) | instid1(VALU_DEP_3)
	v_dual_sub_f32 v30, v36, v20 :: v_dual_add_f32 v11, v11, v26
	v_dual_sub_f32 v21, v21, v29 :: v_dual_sub_f32 v20, v20, v31
	s_delay_alu instid0(VALU_DEP_2) | instskip(NEXT) | instid1(VALU_DEP_2)
	v_dual_sub_f32 v19, v19, v25 :: v_dual_add_f32 v12, v12, v30
	v_add_f32_e32 v13, v13, v21
	s_delay_alu instid0(VALU_DEP_2) | instskip(NEXT) | instid1(VALU_DEP_2)
	v_add_f32_e32 v11, v11, v19
	v_dual_add_f32 v21, v33, v13 :: v_dual_sub_f32 v20, v20, v27
	s_delay_alu instid0(VALU_DEP_2) | instskip(NEXT) | instid1(VALU_DEP_1)
	v_add_f32_e32 v19, v28, v11
	v_dual_add_f32 v12, v12, v20 :: v_dual_fmaak_f32 v25, s21, v19, 0x3c091de6
	s_delay_alu instid0(VALU_DEP_1) | instskip(NEXT) | instid1(VALU_DEP_2)
	v_add_f32_e32 v20, v31, v12
	v_dual_sub_f32 v26, v28, v19 :: v_dual_fmaak_f32 v25, v19, v25, 0x3d2aadcc
	v_dual_mul_f32 v27, v19, v19 :: v_dual_fmaak_f32 v22, s21, v18, 0x3c091de6
	s_delay_alu instid0(VALU_DEP_3) | instskip(NEXT) | instid1(VALU_DEP_3)
	v_sub_f32_e32 v29, v31, v20
	v_dual_fmaak_f32 v28, s21, v20, 0x3c091de6 :: v_dual_add_f32 v11, v11, v26
	v_fmaak_f32 v31, s21, v21, 0x3c091de6
	v_sub_f32_e32 v32, v33, v21
	v_dual_mul_f32 v24, v18, v18 :: v_dual_mul_f32 v33, v21, v21
	s_delay_alu instid0(VALU_DEP_3) | instskip(SKIP_1) | instid1(VALU_DEP_4)
	v_dual_mul_f32 v30, v20, v20 :: v_dual_fmaak_f32 v31, v21, v31, 0x3d2aadcc
	v_dual_add_f32 v35, v11, v11 :: v_dual_fmaak_f32 v22, v18, v22, 0x3d2aadcc
	v_add_f32_e32 v13, v13, v32
	v_fmaak_f32 v28, v20, v28, 0x3d2aadcc
	s_delay_alu instid0(VALU_DEP_4) | instskip(SKIP_1) | instid1(VALU_DEP_4)
	v_dual_add_f32 v12, v12, v29 :: v_dual_fmaak_f32 v31, v21, v31, 0x3e2aaa47
	v_fma_f32 v32, v21, v21, -v33
	v_dual_add_f32 v37, v13, v13 :: v_dual_add_f32 v10, v10, v23
	v_fmaak_f32 v25, v19, v25, 0x3e2aaa47
	v_fma_f32 v26, v19, v19, -v27
	v_fma_f32 v29, v20, v20, -v30
	v_dual_add_f32 v36, v12, v12 :: v_dual_fmaak_f32 v31, v21, v31, 0x3efffffc
	v_fmaak_f32 v22, v18, v22, 0x3e2aaa47
	v_fmac_f32_e32 v32, v21, v37
	v_fma_f32 v23, v18, v18, -v24
	v_dual_add_f32 v34, v10, v10 :: v_dual_fmaak_f32 v25, v19, v25, 0x3efffffc
	v_fmaak_f32 v28, v20, v28, 0x3e2aaa47
	v_dual_fmac_f32 v29, v20, v36 :: v_dual_fmaak_f32 v22, v18, v22, 0x3efffffc
	v_dual_add_f32 v37, v33, v32 :: v_dual_fmac_f32 v26, v19, v35
	s_delay_alu instid0(VALU_DEP_4) | instskip(NEXT) | instid1(VALU_DEP_2)
	v_fmac_f32_e32 v23, v18, v34
	v_dual_sub_f32 v33, v37, v33 :: v_dual_fmaak_f32 v28, v20, v28, 0x3efffffc
	s_delay_alu instid0(VALU_DEP_3) | instskip(NEXT) | instid1(VALU_DEP_3)
	v_dual_add_f32 v35, v27, v26 :: v_dual_add_f32 v36, v30, v29
	v_dual_add_f32 v34, v24, v23 :: v_dual_mul_f32 v41, v31, v37
	s_delay_alu instid0(VALU_DEP_2) | instskip(SKIP_1) | instid1(VALU_DEP_2)
	v_sub_f32_e32 v27, v35, v27
	v_mul_f32_e32 v39, v25, v35
	v_sub_f32_e32 v26, v26, v27
	s_delay_alu instid0(VALU_DEP_2) | instskip(NEXT) | instid1(VALU_DEP_1)
	v_fma_f32 v27, v35, v25, -v39
	v_dual_sub_f32 v30, v36, v30 :: v_dual_fmac_f32 v27, v26, v25
	s_delay_alu instid0(VALU_DEP_1) | instskip(SKIP_2) | instid1(VALU_DEP_3)
	v_dual_sub_f32 v24, v34, v24 :: v_dual_sub_f32 v29, v29, v30
	v_mul_f32_e32 v38, v22, v34
	v_mul_f32_e32 v40, v28, v36
	v_sub_f32_e32 v23, v23, v24
	s_delay_alu instid0(VALU_DEP_3) | instskip(NEXT) | instid1(VALU_DEP_1)
	v_fma_f32 v24, v34, v22, -v38
	v_fmac_f32_e32 v24, v23, v22
	v_add_f32_e32 v23, v39, v27
	v_fma_f32 v30, v36, v28, -v40
	s_delay_alu instid0(VALU_DEP_3) | instskip(SKIP_2) | instid1(VALU_DEP_3)
	v_add_f32_e32 v22, v38, v24
	v_sub_f32_e32 v32, v32, v33
	v_fma_f32 v33, v37, v31, -v41
	v_dual_fmac_f32 v30, v29, v28 :: v_dual_add_f32 v29, v18, v22
	s_delay_alu instid0(VALU_DEP_2) | instskip(SKIP_1) | instid1(VALU_DEP_2)
	v_fmac_f32_e32 v33, v32, v31
	v_sub_f32_e32 v31, v23, v39
	v_dual_add_f32 v25, v40, v30 :: v_dual_add_f32 v26, v41, v33
	s_delay_alu instid0(VALU_DEP_2) | instskip(NEXT) | instid1(VALU_DEP_2)
	v_sub_f32_e32 v27, v27, v31
	v_dual_add_f32 v32, v19, v23 :: v_dual_add_f32 v35, v20, v25
	s_delay_alu instid0(VALU_DEP_3) | instskip(NEXT) | instid1(VALU_DEP_2)
	v_add_f32_e32 v37, v21, v26
	v_dual_sub_f32 v28, v22, v38 :: v_dual_sub_f32 v19, v32, v19
	v_sub_f32_e32 v34, v25, v40
	v_dual_sub_f32 v36, v26, v41 :: v_dual_add_f32 v11, v11, v27
	s_delay_alu instid0(VALU_DEP_3) | instskip(NEXT) | instid1(VALU_DEP_3)
	v_dual_sub_f32 v24, v24, v28 :: v_dual_sub_f32 v21, v37, v21
	v_dual_sub_f32 v19, v23, v19 :: v_dual_sub_f32 v28, v30, v34
	s_delay_alu instid0(VALU_DEP_2) | instskip(NEXT) | instid1(VALU_DEP_2)
	v_dual_sub_f32 v18, v29, v18 :: v_dual_sub_f32 v21, v26, v21
	v_dual_add_f32 v11, v11, v19 :: v_dual_sub_f32 v30, v33, v36
	s_delay_alu instid0(VALU_DEP_1) | instskip(NEXT) | instid1(VALU_DEP_2)
	v_dual_add_f32 v19, v32, v11 :: v_dual_sub_f32 v20, v35, v20
	v_add_f32_e32 v13, v13, v30
	s_delay_alu instid0(VALU_DEP_4) | instskip(NEXT) | instid1(VALU_DEP_2)
	v_sub_f32_e32 v18, v22, v18
	v_dual_add_f32 v12, v12, v28 :: v_dual_add_f32 v13, v13, v21
	v_add_f32_e32 v10, v10, v24
	s_delay_alu instid0(VALU_DEP_2) | instskip(NEXT) | instid1(VALU_DEP_1)
	v_dual_sub_f32 v24, v19, v32 :: v_dual_add_f32 v21, v37, v13
	v_dual_add_f32 v10, v10, v18 :: v_dual_sub_f32 v11, v11, v24
	s_delay_alu instid0(VALU_DEP_2) | instskip(NEXT) | instid1(VALU_DEP_2)
	v_sub_f32_e32 v28, v21, v37
	v_add_f32_e32 v18, v29, v10
	v_dual_sub_f32 v20, v25, v20 :: v_dual_add_f32 v25, 1.0, v19
	s_delay_alu instid0(VALU_DEP_3) | instskip(NEXT) | instid1(VALU_DEP_2)
	v_sub_f32_e32 v13, v13, v28
	v_dual_add_f32 v23, 1.0, v18 :: v_dual_add_f32 v12, v12, v20
	v_sub_f32_e32 v22, v18, v29
	v_add_f32_e32 v29, 1.0, v21
	s_delay_alu instid0(VALU_DEP_1) | instskip(NEXT) | instid1(VALU_DEP_1)
	v_add_f32_e32 v28, -1.0, v29
	v_dual_add_f32 v24, -1.0, v25 :: v_dual_sub_f32 v21, v21, v28
	v_add_f32_e32 v20, v35, v12
	s_delay_alu instid0(VALU_DEP_2) | instskip(NEXT) | instid1(VALU_DEP_2)
	v_sub_f32_e32 v19, v19, v24
	v_dual_add_f32 v13, v13, v21 :: v_dual_sub_f32 v26, v20, v35
	s_delay_alu instid0(VALU_DEP_2) | instskip(SKIP_1) | instid1(VALU_DEP_3)
	v_add_f32_e32 v11, v11, v19
	v_dual_add_f32 v27, 1.0, v20 :: v_dual_sub_f32 v10, v10, v22
	v_dual_add_f32 v21, v29, v13 :: v_dual_sub_f32 v12, v12, v26
	s_delay_alu instid0(VALU_DEP_3) | instskip(SKIP_1) | instid1(VALU_DEP_1)
	v_add_f32_e32 v19, v25, v11
	v_add_f32_e32 v22, -1.0, v23
	v_sub_f32_e32 v18, v18, v22
	s_delay_alu instid0(VALU_DEP_1) | instskip(NEXT) | instid1(VALU_DEP_1)
	v_add_f32_e32 v10, v10, v18
	v_add_f32_e32 v18, v23, v10
	s_delay_alu instid0(VALU_DEP_1)
	v_dual_sub_f32 v22, v18, v23 :: v_dual_sub_f32 v23, v19, v25
	v_sub_f32_e32 v25, v21, v29
	v_ldexp_f32 v21, v21, v17
	v_add_f32_e32 v26, -1.0, v27
	v_ldexp_f32 v19, v19, v15
	v_sub_f32_e32 v11, v11, v23
	v_sub_f32_e32 v13, v13, v25
	v_rcp_f32_e32 v25, v21
	v_sub_f32_e32 v20, v20, v26
	v_rcp_f32_e32 v23, v19
	v_ldexp_f32 v11, v11, v15
	v_ldexp_f32 v13, v13, v17
	s_waitcnt_depctr 0xfff
	v_mul_f32_e32 v17, v21, v25
	v_mul_f32_e32 v15, v19, v23
	s_delay_alu instid0(VALU_DEP_2) | instskip(NEXT) | instid1(VALU_DEP_1)
	v_fma_f32 v29, v25, v21, -v17
	v_dual_add_f32 v12, v12, v20 :: v_dual_fmac_f32 v29, v25, v13
	s_delay_alu instid0(VALU_DEP_1) | instskip(NEXT) | instid1(VALU_DEP_1)
	v_dual_add_f32 v20, v27, v12 :: v_dual_add_f32 v33, v17, v29
	v_sub_f32_e32 v24, v20, v27
	v_fma_f32 v27, v23, v19, -v15
	v_ldexp_f32 v18, v18, v14
	s_delay_alu instid0(VALU_DEP_4) | instskip(SKIP_1) | instid1(VALU_DEP_4)
	v_sub_f32_e32 v17, v33, v17
	v_sub_f32_e32 v37, 1.0, v33
	v_dual_fmac_f32 v27, v23, v11 :: v_dual_sub_f32 v10, v10, v22
	s_delay_alu instid0(VALU_DEP_4) | instskip(NEXT) | instid1(VALU_DEP_3)
	v_rcp_f32_e32 v22, v18
	v_sub_f32_e32 v17, v17, v29
	s_delay_alu instid0(VALU_DEP_2) | instskip(NEXT) | instid1(VALU_DEP_3)
	v_dual_add_f32 v31, v15, v27 :: v_dual_sub_f32 v12, v12, v24
	v_ldexp_f32 v10, v10, v14
	s_delay_alu instid0(VALU_DEP_2)
	v_sub_f32_e32 v15, v31, v15
	v_sub_f32_e32 v35, 1.0, v31
	v_ldexp_f32 v20, v20, v16
	v_ldexp_f32 v12, v12, v16
	s_delay_alu instid0(TRANS32_DEP_1) | instid1(VALU_DEP_4)
	v_dual_mul_f32 v14, v18, v22 :: v_dual_sub_f32 v15, v15, v27
	s_delay_alu instid0(VALU_DEP_3) | instskip(NEXT) | instid1(VALU_DEP_1)
	v_rcp_f32_e32 v24, v20
	v_fma_f32 v26, v22, v18, -v14
	s_waitcnt_depctr 0xfff
	v_mul_f32_e32 v16, v20, v24
	s_delay_alu instid0(VALU_DEP_1) | instskip(NEXT) | instid1(VALU_DEP_1)
	v_fma_f32 v28, v24, v20, -v16
	v_fmac_f32_e32 v28, v24, v12
	s_delay_alu instid0(VALU_DEP_1) | instskip(NEXT) | instid1(VALU_DEP_1)
	v_add_f32_e32 v32, v16, v28
	v_sub_f32_e32 v36, 1.0, v32
	s_delay_alu instid0(VALU_DEP_1) | instskip(NEXT) | instid1(VALU_DEP_1)
	v_dual_fmac_f32 v26, v22, v10 :: v_dual_sub_f32 v27, 1.0, v36
	v_dual_add_f32 v30, v14, v26 :: v_dual_sub_f32 v27, v27, v32
	s_delay_alu instid0(VALU_DEP_1) | instskip(SKIP_1) | instid1(VALU_DEP_2)
	v_sub_f32_e32 v14, v30, v14
	v_sub_f32_e32 v34, 1.0, v30
	v_sub_f32_e32 v14, v14, v26
	v_sub_f32_e32 v26, 1.0, v35
	s_delay_alu instid0(VALU_DEP_3) | instskip(NEXT) | instid1(VALU_DEP_2)
	v_sub_f32_e32 v38, 1.0, v34
	v_sub_f32_e32 v26, v26, v31
	s_delay_alu instid0(VALU_DEP_2) | instskip(NEXT) | instid1(VALU_DEP_2)
	v_sub_f32_e32 v29, v38, v30
	v_dual_add_f32 v15, v15, v26 :: v_dual_sub_f32 v16, v32, v16
	s_delay_alu instid0(VALU_DEP_2) | instskip(NEXT) | instid1(VALU_DEP_2)
	v_add_f32_e32 v14, v14, v29
	v_sub_f32_e32 v16, v16, v28
	v_sub_f32_e32 v28, 1.0, v37
	s_delay_alu instid0(VALU_DEP_1) | instskip(NEXT) | instid1(VALU_DEP_1)
	v_sub_f32_e32 v28, v28, v33
	v_add_f32_e32 v17, v17, v28
	s_delay_alu instid0(VALU_DEP_1) | instskip(NEXT) | instid1(VALU_DEP_1)
	v_add_f32_e32 v29, v37, v17
	v_dual_sub_f32 v37, v37, v29 :: v_dual_add_f32 v26, v34, v14
	s_delay_alu instid0(VALU_DEP_1) | instskip(SKIP_1) | instid1(VALU_DEP_1)
	v_dual_add_f32 v17, v17, v37 :: v_dual_mul_f32 v30, v22, v26
	v_sub_f32_e32 v31, v34, v26
	v_add_f32_e32 v14, v14, v31
	s_delay_alu instid0(VALU_DEP_3) | instskip(SKIP_1) | instid1(VALU_DEP_2)
	v_dual_add_f32 v31, v22, v30 :: v_dual_add_f32 v16, v16, v27
	v_add_f32_e32 v27, v35, v15
	v_dual_sub_f32 v43, v31, v22 :: v_dual_add_f32 v28, v36, v16
	s_delay_alu instid0(VALU_DEP_2) | instskip(NEXT) | instid1(VALU_DEP_2)
	v_sub_f32_e32 v33, v35, v27
	v_dual_sub_f32 v35, v36, v28 :: v_dual_mul_f32 v36, v25, v29
	s_delay_alu instid0(VALU_DEP_2) | instskip(NEXT) | instid1(VALU_DEP_2)
	v_add_f32_e32 v15, v15, v33
	v_dual_add_f32 v37, v25, v36 :: v_dual_mul_f32 v32, v23, v27
	v_mul_f32_e32 v41, v21, v36
	s_delay_alu instid0(VALU_DEP_2) | instskip(NEXT) | instid1(VALU_DEP_3)
	v_sub_f32_e32 v49, v37, v25
	v_mul_f32_e32 v39, v19, v32
	v_add_f32_e32 v33, v23, v32
	v_mul_f32_e32 v34, v24, v28
	s_delay_alu instid0(VALU_DEP_3) | instskip(NEXT) | instid1(VALU_DEP_3)
	v_fma_f32 v44, v32, v19, -v39
	v_sub_f32_e32 v45, v33, v23
	s_delay_alu instid0(VALU_DEP_2) | instskip(SKIP_1) | instid1(VALU_DEP_2)
	v_fmac_f32_e32 v44, v32, v11
	v_mul_f32_e32 v38, v18, v30
	v_dual_sub_f32 v32, v32, v45 :: v_dual_add_f32 v45, v39, v44
	s_delay_alu instid0(VALU_DEP_2) | instskip(NEXT) | instid1(VALU_DEP_1)
	v_fma_f32 v42, v30, v18, -v38
	v_dual_sub_f32 v51, v27, v45 :: v_dual_fmac_f32 v42, v30, v10
	v_sub_f32_e32 v39, v45, v39
	v_sub_f32_e32 v30, v30, v43
	v_add_f32_e32 v16, v16, v35
	v_add_f32_e32 v35, v24, v34
	;; [unrolled: 1-line block ×3, first 2 shown]
	v_sub_f32_e32 v27, v27, v51
	s_delay_alu instid0(VALU_DEP_3) | instskip(SKIP_1) | instid1(VALU_DEP_3)
	v_sub_f32_e32 v47, v35, v24
	v_fma_f32 v48, v36, v21, -v41
	v_dual_sub_f32 v50, v26, v43 :: v_dual_sub_f32 v27, v27, v45
	s_delay_alu instid0(VALU_DEP_1) | instskip(SKIP_1) | instid1(VALU_DEP_2)
	v_dual_fmac_f32 v48, v36, v13 :: v_dual_add_f32 v15, v15, v27
	v_mul_f32_e32 v40, v20, v34
	v_dual_sub_f32 v36, v36, v49 :: v_dual_add_f32 v49, v41, v48
	s_delay_alu instid0(VALU_DEP_2) | instskip(NEXT) | instid1(VALU_DEP_2)
	v_fma_f32 v46, v34, v20, -v40
	v_dual_sub_f32 v53, v29, v49 :: v_dual_sub_f32 v38, v43, v38
	s_delay_alu instid0(VALU_DEP_2) | instskip(SKIP_1) | instid1(VALU_DEP_3)
	v_dual_sub_f32 v41, v49, v41 :: v_dual_fmac_f32 v46, v34, v12
	v_dual_sub_f32 v34, v34, v47 :: v_dual_sub_f32 v39, v39, v44
	v_sub_f32_e32 v29, v29, v53
	s_delay_alu instid0(VALU_DEP_3) | instskip(NEXT) | instid1(VALU_DEP_4)
	v_sub_f32_e32 v41, v41, v48
	v_add_f32_e32 v47, v40, v46
	s_delay_alu instid0(VALU_DEP_4) | instskip(NEXT) | instid1(VALU_DEP_2)
	v_dual_sub_f32 v26, v26, v50 :: v_dual_add_f32 v15, v39, v15
	v_dual_sub_f32 v29, v29, v49 :: v_dual_sub_f32 v40, v47, v40
	v_sub_f32_e32 v52, v28, v47
	s_delay_alu instid0(VALU_DEP_3) | instskip(NEXT) | instid1(VALU_DEP_3)
	v_add_f32_e32 v15, v51, v15
	v_dual_add_f32 v17, v17, v29 :: v_dual_sub_f32 v38, v38, v42
	s_delay_alu instid0(VALU_DEP_2) | instskip(NEXT) | instid1(VALU_DEP_2)
	v_dual_sub_f32 v28, v28, v52 :: v_dual_mul_f32 v15, v23, v15
	v_dual_add_f32 v17, v41, v17 :: v_dual_sub_f32 v40, v40, v46
	s_delay_alu instid0(VALU_DEP_2) | instskip(NEXT) | instid1(VALU_DEP_2)
	v_add_f32_e32 v15, v32, v15
	v_dual_add_f32 v17, v53, v17 :: v_dual_sub_f32 v26, v26, v43
	s_delay_alu instid0(VALU_DEP_2) | instskip(NEXT) | instid1(VALU_DEP_2)
	v_add_f32_e32 v23, v33, v15
	v_dual_mul_f32 v17, v25, v17 :: v_dual_add_f32 v14, v14, v26
	s_delay_alu instid0(VALU_DEP_2) | instskip(NEXT) | instid1(VALU_DEP_2)
	v_sub_f32_e32 v27, v23, v33
	v_dual_add_f32 v17, v36, v17 :: v_dual_add_f32 v14, v38, v14
	v_sub_f32_e32 v28, v28, v47
	v_ldexp_f32 v23, v23, -2
	s_delay_alu instid0(VALU_DEP_4) | instskip(NEXT) | instid1(VALU_DEP_4)
	v_sub_f32_e32 v15, v15, v27
	v_dual_add_f32 v25, v37, v17 :: v_dual_add_f32 v14, v50, v14
	s_delay_alu instid0(VALU_DEP_3) | instskip(NEXT) | instid1(VALU_DEP_3)
	v_dual_add_f32 v16, v16, v28 :: v_dual_add_f32 v27, v19, v23
	v_ldexp_f32 v15, v15, -2
	s_delay_alu instid0(VALU_DEP_3) | instskip(NEXT) | instid1(VALU_DEP_3)
	v_dual_sub_f32 v29, v25, v37 :: v_dual_mul_f32 v14, v22, v14
	v_add_f32_e32 v16, v40, v16
	v_ldexp_f32 v25, v25, -2
	s_delay_alu instid0(VALU_DEP_4) | instskip(NEXT) | instid1(VALU_DEP_4)
	v_add_f32_e32 v11, v11, v15
	v_dual_sub_f32 v17, v17, v29 :: v_dual_add_f32 v14, v30, v14
	s_delay_alu instid0(VALU_DEP_3) | instskip(SKIP_1) | instid1(VALU_DEP_3)
	v_dual_add_f32 v16, v52, v16 :: v_dual_add_f32 v29, v21, v25
	v_sub_f32_e32 v19, v27, v19
	v_ldexp_f32 v17, v17, -2
	s_delay_alu instid0(VALU_DEP_4) | instskip(NEXT) | instid1(VALU_DEP_4)
	v_add_f32_e32 v22, v31, v14
	v_dual_mul_f32 v16, v24, v16 :: v_dual_sub_f32 v21, v29, v21
	s_delay_alu instid0(VALU_DEP_1) | instskip(NEXT) | instid1(VALU_DEP_1)
	v_dual_add_f32 v13, v13, v17 :: v_dual_add_f32 v16, v34, v16
	v_add_f32_e32 v24, v35, v16
	s_delay_alu instid0(VALU_DEP_1) | instskip(SKIP_1) | instid1(VALU_DEP_2)
	v_sub_f32_e32 v28, v24, v35
	v_ldexp_f32 v24, v24, -2
	v_sub_f32_e32 v16, v16, v28
	s_delay_alu instid0(VALU_DEP_2) | instskip(NEXT) | instid1(VALU_DEP_1)
	v_add_f32_e32 v28, v20, v24
	v_sub_f32_e32 v20, v28, v20
	v_sub_f32_e32 v26, v22, v31
	v_ldexp_f32 v22, v22, -2
	s_delay_alu instid0(VALU_DEP_2) | instskip(NEXT) | instid1(VALU_DEP_1)
	v_dual_sub_f32 v15, v24, v20 :: v_dual_sub_f32 v14, v14, v26
	v_ldexp_f32 v14, v14, -2
	s_delay_alu instid0(VALU_DEP_1) | instskip(SKIP_1) | instid1(VALU_DEP_1)
	v_add_f32_e32 v10, v10, v14
	v_sub_f32_e32 v14, v23, v19
	v_add_f32_e32 v11, v11, v14
	s_delay_alu instid0(VALU_DEP_1) | instskip(SKIP_1) | instid1(VALU_DEP_2)
	v_add_f32_e32 v11, v27, v11
	v_ldexp_f32 v16, v16, -2
	v_cndmask_b32_e32 v2, 0x7f800000, v11, vcc_lo
	s_delay_alu instid0(VALU_DEP_2) | instskip(SKIP_2) | instid1(VALU_DEP_2)
	v_add_f32_e32 v12, v12, v16
	v_sub_f32_e32 v16, v25, v21
	v_add_f32_e32 v26, v18, v22
	v_dual_add_f32 v12, v12, v15 :: v_dual_add_f32 v13, v13, v16
	s_delay_alu instid0(VALU_DEP_1) | instskip(NEXT) | instid1(VALU_DEP_1)
	v_dual_sub_f32 v18, v26, v18 :: v_dual_add_f32 v13, v29, v13
	v_sub_f32_e32 v18, v22, v18
	s_delay_alu instid0(VALU_DEP_3) | instskip(NEXT) | instid1(VALU_DEP_3)
	v_add_f32_e32 v12, v28, v12
	v_cndmask_b32_e64 v4, 0x7f800000, v13, s3
	s_delay_alu instid0(VALU_DEP_3) | instskip(NEXT) | instid1(VALU_DEP_3)
	v_add_f32_e32 v10, v10, v18
	v_cndmask_b32_e64 v3, 0x7f800000, v12, s2
	s_and_b32 s2, exec_lo, s22
	s_delay_alu instid0(SALU_CYCLE_1) | instskip(NEXT) | instid1(VALU_DEP_2)
	s_or_b32 s18, s2, s18
	v_add_f32_e32 v10, v26, v10
	s_delay_alu instid0(VALU_DEP_1)
	v_cndmask_b32_e64 v1, 0x7f800000, v10, s4
	global_store_b128 v[8:9], v[1:4], off
	s_and_not1_b32 exec_lo, exec_lo, s18
	s_cbranch_execnz .LBB79_3
.LBB79_4:
	s_or_b32 exec_lo, exec_lo, s17
	s_mov_b32 s2, 0
.LBB79_5:
	s_delay_alu instid0(SALU_CYCLE_1)
	s_and_not1_b32 vcc_lo, exec_lo, s2
	s_cbranch_vccnz .LBB79_25
; %bb.6:
	v_cmp_lt_i64_e64 s2, s[8:9], 1
	s_delay_alu instid0(VALU_DEP_1)
	s_and_b32 vcc_lo, exec_lo, s2
	s_cbranch_vccnz .LBB79_25
; %bb.7:
	s_load_b32 s0, s[0:1], 0xc5c
	v_dual_mov_b32 v10, 0 :: v_dual_lshlrev_b32 v9, 2, v0
	v_cmp_gt_u64_e64 s1, 0x10000, s[8:9]
	s_delay_alu instid0(VALU_DEP_2) | instskip(NEXT) | instid1(VALU_DEP_1)
	v_add_co_u32 v1, s2, s10, v9
	v_add_co_ci_u32_e64 v2, null, s11, 0, s2
	v_add_co_u32 v3, s2, s12, v9
	s_delay_alu instid0(VALU_DEP_1)
	v_add_co_ci_u32_e64 v4, null, s13, 0, s2
	s_waitcnt lgkmcnt(0)
	s_and_b32 s0, s0, 0xffff
	s_and_b32 s1, s1, exec_lo
	v_mad_u64_u32 v[7:8], null, s0, 12, v[9:10]
	s_cselect_b32 s5, s9, 0
	s_cselect_b32 s4, s8, 0x10000
	s_mul_i32 s2, s0, 3
	s_lshl_b32 s3, s0, 3
	s_lshl_b32 s1, s0, 1
	v_add_co_u32 v14, s3, s3, v9
	v_add_co_u32 v9, s2, s2, v0
	s_delay_alu instid0(VALU_DEP_1) | instskip(SKIP_3) | instid1(VALU_DEP_3)
	v_add_co_ci_u32_e64 v10, null, 0, 0, s2
	v_add_co_u32 v13, s2, v0, s0
	v_add_co_u32 v5, vcc_lo, s10, v7
	v_add_co_ci_u32_e32 v6, vcc_lo, s11, v8, vcc_lo
	v_lshlrev_b32_e32 v21, 2, v13
	v_add_co_u32 v7, vcc_lo, s12, v7
	v_add_co_ci_u32_e64 v15, null, 0, 0, s3
	v_add_co_ci_u32_e32 v8, vcc_lo, s13, v8, vcc_lo
	v_add_co_u32 v17, s1, s1, v0
	v_add_co_u32 v11, vcc_lo, s10, v14
	v_add_co_ci_u32_e64 v18, null, 0, 0, s1
	v_add_co_u32 v19, s1, s10, v21
	v_add_co_ci_u32_e32 v12, vcc_lo, s11, v15, vcc_lo
	v_add_co_u32 v14, vcc_lo, s12, v14
	v_add_co_ci_u32_e64 v20, null, s11, 0, s1
	v_add_co_u32 v21, s1, s12, v21
	v_add_co_ci_u32_e32 v15, vcc_lo, s13, v15, vcc_lo
	v_add_co_ci_u32_e64 v16, null, 0, 0, s2
	v_add_co_ci_u32_e64 v22, null, s13, 0, s1
	s_lshl_b32 s14, s0, 2
	s_lshl_b32 s12, s0, 4
	s_mov_b64 s[10:11], 0
	s_mov_b32 s13, 0x3ab42872
	s_branch .LBB79_9
.LBB79_8:                               ;   in Loop: Header=BB79_9 Depth=1
	s_or_b32 exec_lo, exec_lo, s0
	v_add_co_u32 v1, vcc_lo, v1, s12
	v_add_co_ci_u32_e32 v2, vcc_lo, 0, v2, vcc_lo
	v_add_co_u32 v3, vcc_lo, v3, s12
	v_add_co_ci_u32_e32 v4, vcc_lo, 0, v4, vcc_lo
	;; [unrolled: 2-line block ×5, first 2 shown]
	s_add_u32 s10, s10, s14
	v_add_co_u32 v14, vcc_lo, v14, s12
	s_addc_u32 s11, s11, 0
	v_add_co_ci_u32_e32 v15, vcc_lo, 0, v15, vcc_lo
	v_cmp_ge_i64_e64 s0, s[10:11], s[8:9]
	v_cmp_lt_u64_e64 s1, 0xffff, s[10:11]
	v_add_co_u32 v19, vcc_lo, v19, s12
	v_add_co_ci_u32_e32 v20, vcc_lo, 0, v20, vcc_lo
	v_add_co_u32 v21, vcc_lo, v21, s12
	v_add_co_ci_u32_e32 v22, vcc_lo, 0, v22, vcc_lo
	s_or_b32 s0, s0, s1
	s_delay_alu instid0(SALU_CYCLE_1)
	s_and_b32 vcc_lo, exec_lo, s0
	s_cbranch_vccnz .LBB79_25
.LBB79_9:                               ; =>This Inner Loop Header: Depth=1
	s_waitcnt vmcnt(0)
	v_add_co_u32 v23, s0, v0, s10
	s_delay_alu instid0(VALU_DEP_1) | instskip(SKIP_1) | instid1(VALU_DEP_2)
	v_add_co_ci_u32_e64 v24, null, 0, s11, s0
	v_mov_b32_e32 v26, 0
	v_cmp_gt_u64_e64 s2, s[4:5], v[23:24]
	s_delay_alu instid0(VALU_DEP_1)
	s_and_saveexec_b32 s0, s2
	s_cbranch_execz .LBB79_11
; %bb.10:                               ;   in Loop: Header=BB79_9 Depth=1
	v_add_co_u32 v23, vcc_lo, v1, s6
	v_add_co_ci_u32_e32 v24, vcc_lo, s7, v2, vcc_lo
	global_load_b32 v26, v[23:24], off
.LBB79_11:                              ;   in Loop: Header=BB79_9 Depth=1
	s_or_b32 exec_lo, exec_lo, s0
	v_add_co_u32 v23, vcc_lo, v13, s10
	v_add_co_ci_u32_e32 v24, vcc_lo, s11, v16, vcc_lo
	v_mov_b32_e32 v25, 0
	s_delay_alu instid0(VALU_DEP_2) | instskip(NEXT) | instid1(VALU_DEP_1)
	v_cmp_gt_u64_e64 s1, s[4:5], v[23:24]
	s_and_saveexec_b32 s0, s1
	s_cbranch_execz .LBB79_13
; %bb.12:                               ;   in Loop: Header=BB79_9 Depth=1
	v_add_co_u32 v23, vcc_lo, v19, s6
	v_add_co_ci_u32_e32 v24, vcc_lo, s7, v20, vcc_lo
	global_load_b32 v25, v[23:24], off
.LBB79_13:                              ;   in Loop: Header=BB79_9 Depth=1
	s_or_b32 exec_lo, exec_lo, s0
	v_add_co_u32 v23, vcc_lo, v17, s10
	v_add_co_ci_u32_e32 v24, vcc_lo, s11, v18, vcc_lo
	s_delay_alu instid0(VALU_DEP_1) | instskip(SKIP_1) | instid1(VALU_DEP_2)
	v_cmp_gt_u64_e64 s0, s[4:5], v[23:24]
	v_dual_mov_b32 v23, 0 :: v_dual_mov_b32 v24, 0
	s_and_saveexec_b32 s3, s0
	s_cbranch_execz .LBB79_15
; %bb.14:                               ;   in Loop: Header=BB79_9 Depth=1
	v_add_co_u32 v27, vcc_lo, v11, s6
	v_add_co_ci_u32_e32 v28, vcc_lo, s7, v12, vcc_lo
	global_load_b32 v24, v[27:28], off
.LBB79_15:                              ;   in Loop: Header=BB79_9 Depth=1
	s_or_b32 exec_lo, exec_lo, s3
	v_add_co_u32 v27, vcc_lo, v9, s10
	v_add_co_ci_u32_e32 v28, vcc_lo, s11, v10, vcc_lo
	s_delay_alu instid0(VALU_DEP_1)
	v_cmp_gt_u64_e32 vcc_lo, s[4:5], v[27:28]
	s_and_saveexec_b32 s15, vcc_lo
	s_cbranch_execnz .LBB79_20
; %bb.16:                               ;   in Loop: Header=BB79_9 Depth=1
	s_or_b32 exec_lo, exec_lo, s15
	s_and_saveexec_b32 s3, s2
	s_cbranch_execnz .LBB79_21
.LBB79_17:                              ;   in Loop: Header=BB79_9 Depth=1
	s_or_b32 exec_lo, exec_lo, s3
	s_and_saveexec_b32 s2, s1
	s_cbranch_execnz .LBB79_22
.LBB79_18:                              ;   in Loop: Header=BB79_9 Depth=1
	s_or_b32 exec_lo, exec_lo, s2
	s_and_saveexec_b32 s1, s0
	s_cbranch_execnz .LBB79_23
.LBB79_19:                              ;   in Loop: Header=BB79_9 Depth=1
	s_or_b32 exec_lo, exec_lo, s1
	s_and_saveexec_b32 s0, vcc_lo
	s_cbranch_execz .LBB79_8
	s_branch .LBB79_24
.LBB79_20:                              ;   in Loop: Header=BB79_9 Depth=1
	v_add_co_u32 v27, s3, v5, s6
	s_delay_alu instid0(VALU_DEP_1)
	v_add_co_ci_u32_e64 v28, s3, s7, v6, s3
	global_load_b32 v23, v[27:28], off
	s_or_b32 exec_lo, exec_lo, s15
	s_and_saveexec_b32 s3, s2
	s_cbranch_execz .LBB79_17
.LBB79_21:                              ;   in Loop: Header=BB79_9 Depth=1
	s_waitcnt vmcnt(0)
	v_add_f32_e64 v27, 0xbf317218, |v26|
	v_cmp_nlt_f32_e64 s2, 0x42b2d4fc, |v26|
	s_delay_alu instid0(VALU_DEP_2) | instskip(NEXT) | instid1(VALU_DEP_1)
	v_sub_f32_e64 v28, v27, |v26|
	v_dual_sub_f32 v29, v28, v27 :: v_dual_add_f32 v28, 0x3f317218, v28
	s_delay_alu instid0(VALU_DEP_1) | instskip(NEXT) | instid1(VALU_DEP_1)
	v_add_f32_e64 v29, |v26|, v29
	v_sub_f32_e32 v28, v29, v28
	s_delay_alu instid0(VALU_DEP_1) | instskip(NEXT) | instid1(VALU_DEP_1)
	v_add_f32_e32 v28, 0x3102e308, v28
	v_add_f32_e32 v29, v27, v28
	s_delay_alu instid0(VALU_DEP_1) | instskip(NEXT) | instid1(VALU_DEP_1)
	v_sub_f32_e32 v27, v27, v29
	v_dual_mul_f32 v30, 0x3fb8aa3b, v29 :: v_dual_add_f32 v27, v28, v27
	s_delay_alu instid0(VALU_DEP_1) | instskip(NEXT) | instid1(VALU_DEP_1)
	v_rndne_f32_e32 v30, v30
	v_mul_f32_e32 v28, 0x35bfbc00, v30
	v_fmac_f32_e32 v29, 0xbf317200, v30
	s_delay_alu instid0(VALU_DEP_1) | instskip(NEXT) | instid1(VALU_DEP_1)
	v_add_f32_e32 v31, v27, v29
	v_dual_sub_f32 v32, v31, v28 :: v_dual_sub_f32 v29, v29, v31
	s_delay_alu instid0(VALU_DEP_1) | instskip(NEXT) | instid1(VALU_DEP_1)
	v_sub_f32_e32 v31, v31, v32
	v_sub_f32_e32 v28, v31, v28
	s_delay_alu instid0(VALU_DEP_3) | instskip(NEXT) | instid1(VALU_DEP_1)
	v_add_f32_e32 v27, v27, v29
	v_dual_add_f32 v27, v27, v28 :: v_dual_mul_f32 v28, 0x2ea39ef3, v30
	s_delay_alu instid0(VALU_DEP_1) | instskip(NEXT) | instid1(VALU_DEP_1)
	v_add_f32_e32 v29, v32, v27
	v_dual_sub_f32 v31, v29, v28 :: v_dual_sub_f32 v32, v32, v29
	s_delay_alu instid0(VALU_DEP_1) | instskip(NEXT) | instid1(VALU_DEP_2)
	v_sub_f32_e32 v29, v29, v31
	v_add_f32_e32 v27, v27, v32
	s_delay_alu instid0(VALU_DEP_2) | instskip(NEXT) | instid1(VALU_DEP_1)
	v_sub_f32_e32 v28, v29, v28
	v_add_f32_e32 v27, v27, v28
	s_delay_alu instid0(VALU_DEP_1) | instskip(NEXT) | instid1(VALU_DEP_1)
	v_add_f32_e32 v28, v31, v27
	v_sub_f32_e32 v29, v31, v28
	v_mul_f32_e32 v31, v28, v28
	s_delay_alu instid0(VALU_DEP_2) | instskip(SKIP_1) | instid1(VALU_DEP_3)
	v_add_f32_e32 v27, v27, v29
	v_fmaak_f32 v29, s13, v28, 0x3c091de6
	v_fma_f32 v32, v28, v28, -v31
	s_delay_alu instid0(VALU_DEP_3) | instskip(NEXT) | instid1(VALU_DEP_3)
	v_add_f32_e32 v33, v27, v27
	v_fmaak_f32 v29, v28, v29, 0x3d2aadcc
	s_delay_alu instid0(VALU_DEP_2) | instskip(NEXT) | instid1(VALU_DEP_2)
	v_fmac_f32_e32 v32, v28, v33
	v_fmaak_f32 v29, v28, v29, 0x3e2aaa47
	s_delay_alu instid0(VALU_DEP_2) | instskip(NEXT) | instid1(VALU_DEP_2)
	v_add_f32_e32 v33, v31, v32
	v_fmaak_f32 v29, v28, v29, 0x3efffffc
	s_delay_alu instid0(VALU_DEP_2) | instskip(NEXT) | instid1(VALU_DEP_1)
	v_sub_f32_e32 v31, v33, v31
	v_dual_mul_f32 v34, v29, v33 :: v_dual_sub_f32 v31, v32, v31
	s_delay_alu instid0(VALU_DEP_1) | instskip(NEXT) | instid1(VALU_DEP_1)
	v_fma_f32 v32, v33, v29, -v34
	v_fmac_f32_e32 v32, v31, v29
	s_delay_alu instid0(VALU_DEP_1) | instskip(NEXT) | instid1(VALU_DEP_1)
	v_add_f32_e32 v29, v34, v32
	v_sub_f32_e32 v31, v29, v34
	v_add_f32_e32 v33, v28, v29
	s_delay_alu instid0(VALU_DEP_1) | instskip(NEXT) | instid1(VALU_DEP_1)
	v_dual_sub_f32 v31, v32, v31 :: v_dual_sub_f32 v28, v33, v28
	v_dual_sub_f32 v28, v29, v28 :: v_dual_add_f32 v27, v27, v31
	s_delay_alu instid0(VALU_DEP_1) | instskip(NEXT) | instid1(VALU_DEP_1)
	v_add_f32_e32 v27, v27, v28
	v_add_f32_e32 v28, v33, v27
	s_delay_alu instid0(VALU_DEP_1) | instskip(SKIP_1) | instid1(VALU_DEP_1)
	v_add_f32_e32 v29, 1.0, v28
	v_sub_f32_e32 v31, v28, v33
	v_dual_add_f32 v32, -1.0, v29 :: v_dual_sub_f32 v27, v27, v31
	s_delay_alu instid0(VALU_DEP_1) | instskip(NEXT) | instid1(VALU_DEP_1)
	v_sub_f32_e32 v28, v28, v32
	v_add_f32_e32 v27, v27, v28
	v_cvt_i32_f32_e32 v28, v30
	s_delay_alu instid0(VALU_DEP_2) | instskip(NEXT) | instid1(VALU_DEP_1)
	v_add_f32_e32 v30, v29, v27
	v_ldexp_f32 v31, v30, v28
	s_delay_alu instid0(VALU_DEP_1) | instskip(SKIP_1) | instid1(VALU_DEP_1)
	v_rcp_f32_e32 v32, v31
	v_sub_f32_e32 v29, v30, v29
	v_sub_f32_e32 v27, v27, v29
	s_waitcnt_depctr 0xfff
	v_mul_f32_e32 v29, v31, v32
	v_ldexp_f32 v27, v27, v28
	s_delay_alu instid0(VALU_DEP_2) | instskip(NEXT) | instid1(VALU_DEP_1)
	v_fma_f32 v28, v32, v31, -v29
	v_fmac_f32_e32 v28, v32, v27
	s_delay_alu instid0(VALU_DEP_1) | instskip(NEXT) | instid1(VALU_DEP_1)
	v_add_f32_e32 v30, v29, v28
	v_sub_f32_e32 v33, 1.0, v30
	v_sub_f32_e32 v29, v30, v29
	s_delay_alu instid0(VALU_DEP_2) | instskip(NEXT) | instid1(VALU_DEP_1)
	v_sub_f32_e32 v34, 1.0, v33
	v_dual_sub_f32 v28, v29, v28 :: v_dual_sub_f32 v29, v34, v30
	s_delay_alu instid0(VALU_DEP_1) | instskip(NEXT) | instid1(VALU_DEP_1)
	v_add_f32_e32 v28, v28, v29
	v_add_f32_e32 v29, v33, v28
	s_delay_alu instid0(VALU_DEP_1) | instskip(NEXT) | instid1(VALU_DEP_1)
	v_mul_f32_e32 v30, v32, v29
	v_dual_sub_f32 v33, v33, v29 :: v_dual_mul_f32 v34, v31, v30
	s_delay_alu instid0(VALU_DEP_1) | instskip(NEXT) | instid1(VALU_DEP_2)
	v_add_f32_e32 v28, v28, v33
	v_fma_f32 v35, v30, v31, -v34
	s_delay_alu instid0(VALU_DEP_1) | instskip(NEXT) | instid1(VALU_DEP_1)
	v_fmac_f32_e32 v35, v30, v27
	v_add_f32_e32 v36, v34, v35
	s_delay_alu instid0(VALU_DEP_1) | instskip(SKIP_1) | instid1(VALU_DEP_2)
	v_sub_f32_e32 v37, v29, v36
	v_sub_f32_e32 v33, v36, v34
	;; [unrolled: 1-line block ×3, first 2 shown]
	s_delay_alu instid0(VALU_DEP_2) | instskip(NEXT) | instid1(VALU_DEP_2)
	v_sub_f32_e32 v33, v33, v35
	v_sub_f32_e32 v29, v29, v36
	s_delay_alu instid0(VALU_DEP_1) | instskip(NEXT) | instid1(VALU_DEP_1)
	v_add_f32_e32 v28, v28, v29
	v_dual_add_f32 v29, v32, v30 :: v_dual_add_f32 v28, v33, v28
	s_delay_alu instid0(VALU_DEP_1) | instskip(NEXT) | instid1(VALU_DEP_2)
	v_sub_f32_e32 v33, v29, v32
	v_add_f32_e32 v28, v37, v28
	s_delay_alu instid0(VALU_DEP_2) | instskip(NEXT) | instid1(VALU_DEP_2)
	v_sub_f32_e32 v30, v30, v33
	v_mul_f32_e32 v28, v32, v28
	s_delay_alu instid0(VALU_DEP_1) | instskip(NEXT) | instid1(VALU_DEP_1)
	v_add_f32_e32 v28, v30, v28
	v_add_f32_e32 v30, v29, v28
	s_delay_alu instid0(VALU_DEP_1) | instskip(SKIP_1) | instid1(VALU_DEP_1)
	v_sub_f32_e32 v29, v30, v29
	v_ldexp_f32 v30, v30, -2
	v_dual_sub_f32 v28, v28, v29 :: v_dual_add_f32 v29, v31, v30
	s_delay_alu instid0(VALU_DEP_1) | instskip(NEXT) | instid1(VALU_DEP_2)
	v_ldexp_f32 v28, v28, -2
	v_sub_f32_e32 v31, v29, v31
	s_delay_alu instid0(VALU_DEP_1) | instskip(NEXT) | instid1(VALU_DEP_1)
	v_dual_add_f32 v27, v27, v28 :: v_dual_sub_f32 v28, v30, v31
	v_add_f32_e32 v27, v27, v28
	s_delay_alu instid0(VALU_DEP_1) | instskip(NEXT) | instid1(VALU_DEP_1)
	v_add_f32_e32 v27, v29, v27
	v_cndmask_b32_e64 v28, 0x7f800000, v27, s2
	v_add_co_u32 v26, s2, v3, s6
	s_delay_alu instid0(VALU_DEP_1)
	v_add_co_ci_u32_e64 v27, s2, s7, v4, s2
	global_store_b32 v[26:27], v28, off
	s_or_b32 exec_lo, exec_lo, s3
	s_and_saveexec_b32 s2, s1
	s_cbranch_execz .LBB79_18
.LBB79_22:                              ;   in Loop: Header=BB79_9 Depth=1
	s_waitcnt vmcnt(0)
	v_add_f32_e64 v26, 0xbf317218, |v25|
	v_cmp_nlt_f32_e64 s1, 0x42b2d4fc, |v25|
	s_delay_alu instid0(VALU_DEP_2) | instskip(NEXT) | instid1(VALU_DEP_1)
	v_sub_f32_e64 v27, v26, |v25|
	v_dual_sub_f32 v28, v27, v26 :: v_dual_add_f32 v27, 0x3f317218, v27
	s_delay_alu instid0(VALU_DEP_1) | instskip(NEXT) | instid1(VALU_DEP_1)
	v_add_f32_e64 v28, |v25|, v28
	v_sub_f32_e32 v27, v28, v27
	s_delay_alu instid0(VALU_DEP_1) | instskip(NEXT) | instid1(VALU_DEP_1)
	v_add_f32_e32 v27, 0x3102e308, v27
	v_add_f32_e32 v28, v26, v27
	s_delay_alu instid0(VALU_DEP_1) | instskip(NEXT) | instid1(VALU_DEP_1)
	v_sub_f32_e32 v26, v26, v28
	v_dual_mul_f32 v29, 0x3fb8aa3b, v28 :: v_dual_add_f32 v26, v27, v26
	s_delay_alu instid0(VALU_DEP_1) | instskip(NEXT) | instid1(VALU_DEP_1)
	v_rndne_f32_e32 v29, v29
	v_mul_f32_e32 v27, 0x35bfbc00, v29
	v_fmac_f32_e32 v28, 0xbf317200, v29
	s_delay_alu instid0(VALU_DEP_1) | instskip(NEXT) | instid1(VALU_DEP_1)
	v_add_f32_e32 v30, v26, v28
	v_dual_sub_f32 v31, v30, v27 :: v_dual_sub_f32 v28, v28, v30
	s_delay_alu instid0(VALU_DEP_1) | instskip(NEXT) | instid1(VALU_DEP_1)
	v_sub_f32_e32 v30, v30, v31
	v_sub_f32_e32 v27, v30, v27
	s_delay_alu instid0(VALU_DEP_3) | instskip(NEXT) | instid1(VALU_DEP_1)
	v_add_f32_e32 v26, v26, v28
	v_dual_add_f32 v26, v26, v27 :: v_dual_mul_f32 v27, 0x2ea39ef3, v29
	s_delay_alu instid0(VALU_DEP_1) | instskip(NEXT) | instid1(VALU_DEP_1)
	v_add_f32_e32 v28, v31, v26
	v_dual_sub_f32 v30, v28, v27 :: v_dual_sub_f32 v31, v31, v28
	s_delay_alu instid0(VALU_DEP_1) | instskip(NEXT) | instid1(VALU_DEP_2)
	v_sub_f32_e32 v28, v28, v30
	v_add_f32_e32 v26, v26, v31
	s_delay_alu instid0(VALU_DEP_2) | instskip(NEXT) | instid1(VALU_DEP_1)
	v_sub_f32_e32 v27, v28, v27
	v_add_f32_e32 v26, v26, v27
	s_delay_alu instid0(VALU_DEP_1) | instskip(NEXT) | instid1(VALU_DEP_1)
	v_add_f32_e32 v27, v30, v26
	v_sub_f32_e32 v28, v30, v27
	v_mul_f32_e32 v30, v27, v27
	s_delay_alu instid0(VALU_DEP_2) | instskip(SKIP_1) | instid1(VALU_DEP_3)
	v_add_f32_e32 v26, v26, v28
	v_fmaak_f32 v28, s13, v27, 0x3c091de6
	v_fma_f32 v31, v27, v27, -v30
	s_delay_alu instid0(VALU_DEP_3) | instskip(NEXT) | instid1(VALU_DEP_3)
	v_add_f32_e32 v32, v26, v26
	v_fmaak_f32 v28, v27, v28, 0x3d2aadcc
	s_delay_alu instid0(VALU_DEP_2) | instskip(NEXT) | instid1(VALU_DEP_2)
	v_fmac_f32_e32 v31, v27, v32
	v_fmaak_f32 v28, v27, v28, 0x3e2aaa47
	s_delay_alu instid0(VALU_DEP_2) | instskip(NEXT) | instid1(VALU_DEP_2)
	v_add_f32_e32 v32, v30, v31
	v_fmaak_f32 v28, v27, v28, 0x3efffffc
	s_delay_alu instid0(VALU_DEP_2) | instskip(NEXT) | instid1(VALU_DEP_1)
	v_sub_f32_e32 v30, v32, v30
	v_dual_mul_f32 v33, v28, v32 :: v_dual_sub_f32 v30, v31, v30
	s_delay_alu instid0(VALU_DEP_1) | instskip(NEXT) | instid1(VALU_DEP_1)
	v_fma_f32 v31, v32, v28, -v33
	v_fmac_f32_e32 v31, v30, v28
	s_delay_alu instid0(VALU_DEP_1) | instskip(NEXT) | instid1(VALU_DEP_1)
	v_add_f32_e32 v28, v33, v31
	v_sub_f32_e32 v32, v28, v33
	v_add_f32_e32 v30, v27, v28
	s_delay_alu instid0(VALU_DEP_2) | instskip(NEXT) | instid1(VALU_DEP_2)
	v_sub_f32_e32 v31, v31, v32
	v_sub_f32_e32 v27, v30, v27
	s_delay_alu instid0(VALU_DEP_1) | instskip(NEXT) | instid1(VALU_DEP_3)
	v_sub_f32_e32 v27, v28, v27
	v_add_f32_e32 v26, v26, v31
	s_delay_alu instid0(VALU_DEP_1) | instskip(NEXT) | instid1(VALU_DEP_1)
	v_add_f32_e32 v26, v26, v27
	v_add_f32_e32 v27, v30, v26
	s_delay_alu instid0(VALU_DEP_1) | instskip(NEXT) | instid1(VALU_DEP_1)
	v_add_f32_e32 v28, 1.0, v27
	v_dual_sub_f32 v30, v27, v30 :: v_dual_add_f32 v31, -1.0, v28
	s_delay_alu instid0(VALU_DEP_1) | instskip(NEXT) | instid1(VALU_DEP_1)
	v_dual_sub_f32 v26, v26, v30 :: v_dual_sub_f32 v27, v27, v31
	v_add_f32_e32 v26, v26, v27
	v_cvt_i32_f32_e32 v27, v29
	s_delay_alu instid0(VALU_DEP_2) | instskip(NEXT) | instid1(VALU_DEP_1)
	v_add_f32_e32 v29, v28, v26
	v_ldexp_f32 v30, v29, v27
	s_delay_alu instid0(VALU_DEP_1) | instskip(SKIP_1) | instid1(VALU_DEP_1)
	v_rcp_f32_e32 v31, v30
	v_sub_f32_e32 v28, v29, v28
	v_sub_f32_e32 v26, v26, v28
	s_waitcnt_depctr 0xfff
	v_mul_f32_e32 v28, v30, v31
	v_ldexp_f32 v26, v26, v27
	s_delay_alu instid0(VALU_DEP_2) | instskip(NEXT) | instid1(VALU_DEP_1)
	v_fma_f32 v27, v31, v30, -v28
	v_fmac_f32_e32 v27, v31, v26
	s_delay_alu instid0(VALU_DEP_1) | instskip(NEXT) | instid1(VALU_DEP_1)
	v_add_f32_e32 v29, v28, v27
	v_sub_f32_e32 v32, 1.0, v29
	v_sub_f32_e32 v28, v29, v28
	s_delay_alu instid0(VALU_DEP_2) | instskip(NEXT) | instid1(VALU_DEP_1)
	v_sub_f32_e32 v33, 1.0, v32
	v_dual_sub_f32 v27, v28, v27 :: v_dual_sub_f32 v28, v33, v29
	s_delay_alu instid0(VALU_DEP_1) | instskip(NEXT) | instid1(VALU_DEP_1)
	v_add_f32_e32 v27, v27, v28
	v_add_f32_e32 v28, v32, v27
	s_delay_alu instid0(VALU_DEP_1) | instskip(NEXT) | instid1(VALU_DEP_1)
	v_mul_f32_e32 v29, v31, v28
	v_dual_sub_f32 v32, v32, v28 :: v_dual_mul_f32 v33, v30, v29
	s_delay_alu instid0(VALU_DEP_1) | instskip(NEXT) | instid1(VALU_DEP_2)
	v_add_f32_e32 v27, v27, v32
	v_fma_f32 v34, v29, v30, -v33
	s_delay_alu instid0(VALU_DEP_1) | instskip(NEXT) | instid1(VALU_DEP_1)
	v_fmac_f32_e32 v34, v29, v26
	v_add_f32_e32 v35, v33, v34
	s_delay_alu instid0(VALU_DEP_1) | instskip(SKIP_1) | instid1(VALU_DEP_2)
	v_sub_f32_e32 v36, v28, v35
	v_sub_f32_e32 v32, v35, v33
	;; [unrolled: 1-line block ×3, first 2 shown]
	s_delay_alu instid0(VALU_DEP_2) | instskip(NEXT) | instid1(VALU_DEP_2)
	v_sub_f32_e32 v32, v32, v34
	v_sub_f32_e32 v28, v28, v35
	s_delay_alu instid0(VALU_DEP_1) | instskip(NEXT) | instid1(VALU_DEP_1)
	v_add_f32_e32 v27, v27, v28
	v_dual_add_f32 v28, v31, v29 :: v_dual_add_f32 v27, v32, v27
	s_delay_alu instid0(VALU_DEP_1) | instskip(NEXT) | instid1(VALU_DEP_2)
	v_sub_f32_e32 v32, v28, v31
	v_add_f32_e32 v27, v36, v27
	s_delay_alu instid0(VALU_DEP_2) | instskip(NEXT) | instid1(VALU_DEP_2)
	v_sub_f32_e32 v29, v29, v32
	v_mul_f32_e32 v27, v31, v27
	s_delay_alu instid0(VALU_DEP_1) | instskip(NEXT) | instid1(VALU_DEP_1)
	v_add_f32_e32 v27, v29, v27
	v_add_f32_e32 v29, v28, v27
	s_delay_alu instid0(VALU_DEP_1) | instskip(NEXT) | instid1(VALU_DEP_1)
	v_ldexp_f32 v31, v29, -2
	v_dual_sub_f32 v28, v29, v28 :: v_dual_add_f32 v29, v30, v31
	s_delay_alu instid0(VALU_DEP_1) | instskip(NEXT) | instid1(VALU_DEP_1)
	v_dual_sub_f32 v27, v27, v28 :: v_dual_sub_f32 v28, v29, v30
	v_ldexp_f32 v27, v27, -2
	s_delay_alu instid0(VALU_DEP_2) | instskip(NEXT) | instid1(VALU_DEP_2)
	v_sub_f32_e32 v28, v31, v28
	v_add_f32_e32 v26, v26, v27
	s_delay_alu instid0(VALU_DEP_1) | instskip(NEXT) | instid1(VALU_DEP_1)
	v_add_f32_e32 v26, v26, v28
	v_add_f32_e32 v26, v29, v26
	s_delay_alu instid0(VALU_DEP_1) | instskip(SKIP_1) | instid1(VALU_DEP_1)
	v_cndmask_b32_e64 v27, 0x7f800000, v26, s1
	v_add_co_u32 v25, s1, v21, s6
	v_add_co_ci_u32_e64 v26, s1, s7, v22, s1
	global_store_b32 v[25:26], v27, off
	s_or_b32 exec_lo, exec_lo, s2
	s_and_saveexec_b32 s1, s0
	s_cbranch_execz .LBB79_19
.LBB79_23:                              ;   in Loop: Header=BB79_9 Depth=1
	s_waitcnt vmcnt(0)
	v_add_f32_e64 v25, 0xbf317218, |v24|
	v_cmp_nlt_f32_e64 s0, 0x42b2d4fc, |v24|
	s_delay_alu instid0(VALU_DEP_2) | instskip(NEXT) | instid1(VALU_DEP_1)
	v_sub_f32_e64 v26, v25, |v24|
	v_dual_sub_f32 v27, v26, v25 :: v_dual_add_f32 v26, 0x3f317218, v26
	s_delay_alu instid0(VALU_DEP_1) | instskip(NEXT) | instid1(VALU_DEP_1)
	v_add_f32_e64 v27, |v24|, v27
	v_sub_f32_e32 v26, v27, v26
	s_delay_alu instid0(VALU_DEP_1) | instskip(NEXT) | instid1(VALU_DEP_1)
	v_add_f32_e32 v26, 0x3102e308, v26
	v_add_f32_e32 v27, v25, v26
	s_delay_alu instid0(VALU_DEP_1) | instskip(NEXT) | instid1(VALU_DEP_1)
	v_sub_f32_e32 v25, v25, v27
	v_dual_mul_f32 v28, 0x3fb8aa3b, v27 :: v_dual_add_f32 v25, v26, v25
	s_delay_alu instid0(VALU_DEP_1) | instskip(NEXT) | instid1(VALU_DEP_1)
	v_rndne_f32_e32 v28, v28
	v_mul_f32_e32 v26, 0x35bfbc00, v28
	v_fmac_f32_e32 v27, 0xbf317200, v28
	s_delay_alu instid0(VALU_DEP_1) | instskip(NEXT) | instid1(VALU_DEP_1)
	v_add_f32_e32 v29, v25, v27
	v_dual_sub_f32 v30, v29, v26 :: v_dual_sub_f32 v27, v27, v29
	s_delay_alu instid0(VALU_DEP_1) | instskip(NEXT) | instid1(VALU_DEP_1)
	v_sub_f32_e32 v29, v29, v30
	v_sub_f32_e32 v26, v29, v26
	s_delay_alu instid0(VALU_DEP_3) | instskip(NEXT) | instid1(VALU_DEP_1)
	v_add_f32_e32 v25, v25, v27
	v_dual_add_f32 v25, v25, v26 :: v_dual_mul_f32 v26, 0x2ea39ef3, v28
	s_delay_alu instid0(VALU_DEP_1) | instskip(NEXT) | instid1(VALU_DEP_1)
	v_add_f32_e32 v27, v30, v25
	v_dual_sub_f32 v29, v27, v26 :: v_dual_sub_f32 v30, v30, v27
	s_delay_alu instid0(VALU_DEP_1) | instskip(NEXT) | instid1(VALU_DEP_2)
	v_sub_f32_e32 v27, v27, v29
	v_add_f32_e32 v25, v25, v30
	s_delay_alu instid0(VALU_DEP_2) | instskip(NEXT) | instid1(VALU_DEP_1)
	v_sub_f32_e32 v26, v27, v26
	v_add_f32_e32 v25, v25, v26
	s_delay_alu instid0(VALU_DEP_1) | instskip(NEXT) | instid1(VALU_DEP_1)
	v_add_f32_e32 v26, v29, v25
	v_sub_f32_e32 v27, v29, v26
	v_mul_f32_e32 v29, v26, v26
	s_delay_alu instid0(VALU_DEP_2) | instskip(SKIP_1) | instid1(VALU_DEP_3)
	v_add_f32_e32 v25, v25, v27
	v_fmaak_f32 v27, s13, v26, 0x3c091de6
	v_fma_f32 v30, v26, v26, -v29
	s_delay_alu instid0(VALU_DEP_3) | instskip(NEXT) | instid1(VALU_DEP_3)
	v_add_f32_e32 v31, v25, v25
	v_fmaak_f32 v27, v26, v27, 0x3d2aadcc
	s_delay_alu instid0(VALU_DEP_2) | instskip(NEXT) | instid1(VALU_DEP_2)
	v_fmac_f32_e32 v30, v26, v31
	v_fmaak_f32 v27, v26, v27, 0x3e2aaa47
	s_delay_alu instid0(VALU_DEP_2) | instskip(NEXT) | instid1(VALU_DEP_2)
	v_add_f32_e32 v31, v29, v30
	v_fmaak_f32 v27, v26, v27, 0x3efffffc
	s_delay_alu instid0(VALU_DEP_2) | instskip(NEXT) | instid1(VALU_DEP_1)
	v_sub_f32_e32 v29, v31, v29
	v_dual_mul_f32 v32, v27, v31 :: v_dual_sub_f32 v29, v30, v29
	s_delay_alu instid0(VALU_DEP_1) | instskip(NEXT) | instid1(VALU_DEP_1)
	v_fma_f32 v30, v31, v27, -v32
	v_fmac_f32_e32 v30, v29, v27
	s_delay_alu instid0(VALU_DEP_1) | instskip(NEXT) | instid1(VALU_DEP_1)
	v_add_f32_e32 v27, v32, v30
	v_sub_f32_e32 v31, v27, v32
	v_add_f32_e32 v29, v26, v27
	s_delay_alu instid0(VALU_DEP_2) | instskip(NEXT) | instid1(VALU_DEP_2)
	v_sub_f32_e32 v30, v30, v31
	v_sub_f32_e32 v26, v29, v26
	s_delay_alu instid0(VALU_DEP_1) | instskip(NEXT) | instid1(VALU_DEP_3)
	v_sub_f32_e32 v26, v27, v26
	v_add_f32_e32 v25, v25, v30
	s_delay_alu instid0(VALU_DEP_1) | instskip(NEXT) | instid1(VALU_DEP_1)
	v_add_f32_e32 v25, v25, v26
	v_add_f32_e32 v26, v29, v25
	s_delay_alu instid0(VALU_DEP_1) | instskip(NEXT) | instid1(VALU_DEP_1)
	v_add_f32_e32 v27, 1.0, v26
	v_dual_sub_f32 v29, v26, v29 :: v_dual_add_f32 v30, -1.0, v27
	s_delay_alu instid0(VALU_DEP_1) | instskip(NEXT) | instid1(VALU_DEP_1)
	v_dual_sub_f32 v25, v25, v29 :: v_dual_sub_f32 v26, v26, v30
	v_add_f32_e32 v25, v25, v26
	v_cvt_i32_f32_e32 v26, v28
	s_delay_alu instid0(VALU_DEP_2) | instskip(NEXT) | instid1(VALU_DEP_1)
	v_add_f32_e32 v28, v27, v25
	v_ldexp_f32 v29, v28, v26
	s_delay_alu instid0(VALU_DEP_1) | instskip(SKIP_1) | instid1(VALU_DEP_1)
	v_rcp_f32_e32 v30, v29
	v_sub_f32_e32 v27, v28, v27
	v_sub_f32_e32 v25, v25, v27
	s_waitcnt_depctr 0xfff
	v_mul_f32_e32 v27, v29, v30
	v_ldexp_f32 v25, v25, v26
	s_delay_alu instid0(VALU_DEP_2) | instskip(NEXT) | instid1(VALU_DEP_1)
	v_fma_f32 v26, v30, v29, -v27
	v_fmac_f32_e32 v26, v30, v25
	s_delay_alu instid0(VALU_DEP_1) | instskip(NEXT) | instid1(VALU_DEP_1)
	v_add_f32_e32 v28, v27, v26
	v_sub_f32_e32 v31, 1.0, v28
	v_sub_f32_e32 v27, v28, v27
	s_delay_alu instid0(VALU_DEP_2) | instskip(NEXT) | instid1(VALU_DEP_1)
	v_sub_f32_e32 v32, 1.0, v31
	v_dual_sub_f32 v26, v27, v26 :: v_dual_sub_f32 v27, v32, v28
	s_delay_alu instid0(VALU_DEP_1) | instskip(NEXT) | instid1(VALU_DEP_1)
	v_add_f32_e32 v26, v26, v27
	v_add_f32_e32 v27, v31, v26
	s_delay_alu instid0(VALU_DEP_1) | instskip(NEXT) | instid1(VALU_DEP_1)
	v_mul_f32_e32 v28, v30, v27
	v_dual_sub_f32 v31, v31, v27 :: v_dual_mul_f32 v32, v29, v28
	s_delay_alu instid0(VALU_DEP_1) | instskip(NEXT) | instid1(VALU_DEP_2)
	v_add_f32_e32 v26, v26, v31
	v_fma_f32 v33, v28, v29, -v32
	s_delay_alu instid0(VALU_DEP_1) | instskip(NEXT) | instid1(VALU_DEP_1)
	v_fmac_f32_e32 v33, v28, v25
	v_add_f32_e32 v34, v32, v33
	s_delay_alu instid0(VALU_DEP_1) | instskip(SKIP_1) | instid1(VALU_DEP_2)
	v_sub_f32_e32 v35, v27, v34
	v_sub_f32_e32 v31, v34, v32
	;; [unrolled: 1-line block ×3, first 2 shown]
	s_delay_alu instid0(VALU_DEP_2) | instskip(NEXT) | instid1(VALU_DEP_2)
	v_sub_f32_e32 v31, v31, v33
	v_sub_f32_e32 v27, v27, v34
	s_delay_alu instid0(VALU_DEP_1) | instskip(NEXT) | instid1(VALU_DEP_1)
	v_add_f32_e32 v26, v26, v27
	v_dual_add_f32 v27, v30, v28 :: v_dual_add_f32 v26, v31, v26
	s_delay_alu instid0(VALU_DEP_1) | instskip(NEXT) | instid1(VALU_DEP_2)
	v_sub_f32_e32 v31, v27, v30
	v_add_f32_e32 v26, v35, v26
	s_delay_alu instid0(VALU_DEP_2) | instskip(NEXT) | instid1(VALU_DEP_2)
	v_sub_f32_e32 v28, v28, v31
	v_mul_f32_e32 v26, v30, v26
	s_delay_alu instid0(VALU_DEP_1) | instskip(NEXT) | instid1(VALU_DEP_1)
	v_add_f32_e32 v26, v28, v26
	v_add_f32_e32 v28, v27, v26
	s_delay_alu instid0(VALU_DEP_1) | instskip(NEXT) | instid1(VALU_DEP_1)
	v_ldexp_f32 v30, v28, -2
	v_dual_sub_f32 v27, v28, v27 :: v_dual_add_f32 v28, v29, v30
	s_delay_alu instid0(VALU_DEP_1) | instskip(NEXT) | instid1(VALU_DEP_1)
	v_dual_sub_f32 v26, v26, v27 :: v_dual_sub_f32 v27, v28, v29
	v_ldexp_f32 v26, v26, -2
	s_delay_alu instid0(VALU_DEP_2) | instskip(NEXT) | instid1(VALU_DEP_2)
	v_sub_f32_e32 v27, v30, v27
	v_add_f32_e32 v25, v25, v26
	s_delay_alu instid0(VALU_DEP_1) | instskip(NEXT) | instid1(VALU_DEP_1)
	v_add_f32_e32 v25, v25, v27
	v_add_f32_e32 v25, v28, v25
	s_delay_alu instid0(VALU_DEP_1) | instskip(SKIP_1) | instid1(VALU_DEP_1)
	v_cndmask_b32_e64 v26, 0x7f800000, v25, s0
	v_add_co_u32 v24, s0, v14, s6
	v_add_co_ci_u32_e64 v25, s0, s7, v15, s0
	global_store_b32 v[24:25], v26, off
	s_or_b32 exec_lo, exec_lo, s1
	s_and_saveexec_b32 s0, vcc_lo
	s_cbranch_execz .LBB79_8
.LBB79_24:                              ;   in Loop: Header=BB79_9 Depth=1
	s_waitcnt vmcnt(0)
	v_add_f32_e64 v24, 0xbf317218, |v23|
	v_cmp_nlt_f32_e64 vcc_lo, 0x42b2d4fc, |v23|
	s_delay_alu instid0(VALU_DEP_2) | instskip(NEXT) | instid1(VALU_DEP_1)
	v_sub_f32_e64 v25, v24, |v23|
	v_dual_sub_f32 v26, v25, v24 :: v_dual_add_f32 v25, 0x3f317218, v25
	s_delay_alu instid0(VALU_DEP_1) | instskip(NEXT) | instid1(VALU_DEP_1)
	v_add_f32_e64 v26, |v23|, v26
	v_sub_f32_e32 v25, v26, v25
	s_delay_alu instid0(VALU_DEP_1) | instskip(NEXT) | instid1(VALU_DEP_1)
	v_add_f32_e32 v25, 0x3102e308, v25
	v_add_f32_e32 v26, v24, v25
	s_delay_alu instid0(VALU_DEP_1) | instskip(NEXT) | instid1(VALU_DEP_1)
	v_sub_f32_e32 v24, v24, v26
	v_dual_mul_f32 v27, 0x3fb8aa3b, v26 :: v_dual_add_f32 v24, v25, v24
	s_delay_alu instid0(VALU_DEP_1) | instskip(NEXT) | instid1(VALU_DEP_1)
	v_rndne_f32_e32 v27, v27
	v_mul_f32_e32 v25, 0x35bfbc00, v27
	v_fmac_f32_e32 v26, 0xbf317200, v27
	s_delay_alu instid0(VALU_DEP_1) | instskip(NEXT) | instid1(VALU_DEP_1)
	v_add_f32_e32 v28, v24, v26
	v_dual_sub_f32 v29, v28, v25 :: v_dual_sub_f32 v26, v26, v28
	s_delay_alu instid0(VALU_DEP_1) | instskip(NEXT) | instid1(VALU_DEP_1)
	v_sub_f32_e32 v28, v28, v29
	v_sub_f32_e32 v25, v28, v25
	s_delay_alu instid0(VALU_DEP_3) | instskip(NEXT) | instid1(VALU_DEP_1)
	v_add_f32_e32 v24, v24, v26
	v_dual_add_f32 v24, v24, v25 :: v_dual_mul_f32 v25, 0x2ea39ef3, v27
	s_delay_alu instid0(VALU_DEP_1) | instskip(NEXT) | instid1(VALU_DEP_1)
	v_add_f32_e32 v26, v29, v24
	v_dual_sub_f32 v28, v26, v25 :: v_dual_sub_f32 v29, v29, v26
	s_delay_alu instid0(VALU_DEP_1) | instskip(NEXT) | instid1(VALU_DEP_2)
	v_sub_f32_e32 v26, v26, v28
	v_add_f32_e32 v24, v24, v29
	s_delay_alu instid0(VALU_DEP_2) | instskip(NEXT) | instid1(VALU_DEP_1)
	v_sub_f32_e32 v25, v26, v25
	v_add_f32_e32 v24, v24, v25
	s_delay_alu instid0(VALU_DEP_1) | instskip(NEXT) | instid1(VALU_DEP_1)
	v_add_f32_e32 v25, v28, v24
	v_sub_f32_e32 v26, v28, v25
	v_mul_f32_e32 v28, v25, v25
	s_delay_alu instid0(VALU_DEP_2) | instskip(SKIP_1) | instid1(VALU_DEP_3)
	v_add_f32_e32 v24, v24, v26
	v_fmaak_f32 v26, s13, v25, 0x3c091de6
	v_fma_f32 v29, v25, v25, -v28
	s_delay_alu instid0(VALU_DEP_3) | instskip(NEXT) | instid1(VALU_DEP_3)
	v_add_f32_e32 v30, v24, v24
	v_fmaak_f32 v26, v25, v26, 0x3d2aadcc
	s_delay_alu instid0(VALU_DEP_2) | instskip(NEXT) | instid1(VALU_DEP_2)
	v_fmac_f32_e32 v29, v25, v30
	v_fmaak_f32 v26, v25, v26, 0x3e2aaa47
	s_delay_alu instid0(VALU_DEP_2) | instskip(NEXT) | instid1(VALU_DEP_2)
	v_add_f32_e32 v30, v28, v29
	v_fmaak_f32 v26, v25, v26, 0x3efffffc
	s_delay_alu instid0(VALU_DEP_2) | instskip(NEXT) | instid1(VALU_DEP_1)
	v_sub_f32_e32 v28, v30, v28
	v_dual_mul_f32 v31, v26, v30 :: v_dual_sub_f32 v28, v29, v28
	s_delay_alu instid0(VALU_DEP_1) | instskip(NEXT) | instid1(VALU_DEP_1)
	v_fma_f32 v29, v30, v26, -v31
	v_fmac_f32_e32 v29, v28, v26
	s_delay_alu instid0(VALU_DEP_1) | instskip(NEXT) | instid1(VALU_DEP_1)
	v_add_f32_e32 v26, v31, v29
	v_sub_f32_e32 v30, v26, v31
	v_add_f32_e32 v28, v25, v26
	s_delay_alu instid0(VALU_DEP_2) | instskip(NEXT) | instid1(VALU_DEP_2)
	v_sub_f32_e32 v29, v29, v30
	v_sub_f32_e32 v25, v28, v25
	s_delay_alu instid0(VALU_DEP_1) | instskip(NEXT) | instid1(VALU_DEP_3)
	v_sub_f32_e32 v25, v26, v25
	v_add_f32_e32 v24, v24, v29
	s_delay_alu instid0(VALU_DEP_1) | instskip(NEXT) | instid1(VALU_DEP_1)
	v_add_f32_e32 v24, v24, v25
	v_add_f32_e32 v25, v28, v24
	s_delay_alu instid0(VALU_DEP_1) | instskip(NEXT) | instid1(VALU_DEP_1)
	v_add_f32_e32 v26, 1.0, v25
	v_dual_sub_f32 v28, v25, v28 :: v_dual_add_f32 v29, -1.0, v26
	s_delay_alu instid0(VALU_DEP_1) | instskip(NEXT) | instid1(VALU_DEP_1)
	v_dual_sub_f32 v24, v24, v28 :: v_dual_sub_f32 v25, v25, v29
	v_add_f32_e32 v24, v24, v25
	v_cvt_i32_f32_e32 v25, v27
	s_delay_alu instid0(VALU_DEP_2) | instskip(NEXT) | instid1(VALU_DEP_1)
	v_add_f32_e32 v27, v26, v24
	v_ldexp_f32 v28, v27, v25
	s_delay_alu instid0(VALU_DEP_1) | instskip(SKIP_1) | instid1(VALU_DEP_1)
	v_rcp_f32_e32 v29, v28
	v_sub_f32_e32 v26, v27, v26
	v_sub_f32_e32 v24, v24, v26
	s_waitcnt_depctr 0xfff
	v_mul_f32_e32 v26, v28, v29
	v_ldexp_f32 v24, v24, v25
	s_delay_alu instid0(VALU_DEP_2) | instskip(NEXT) | instid1(VALU_DEP_1)
	v_fma_f32 v25, v29, v28, -v26
	v_fmac_f32_e32 v25, v29, v24
	s_delay_alu instid0(VALU_DEP_1) | instskip(NEXT) | instid1(VALU_DEP_1)
	v_add_f32_e32 v27, v26, v25
	v_sub_f32_e32 v30, 1.0, v27
	v_sub_f32_e32 v26, v27, v26
	s_delay_alu instid0(VALU_DEP_2) | instskip(NEXT) | instid1(VALU_DEP_1)
	v_sub_f32_e32 v31, 1.0, v30
	v_dual_sub_f32 v25, v26, v25 :: v_dual_sub_f32 v26, v31, v27
	s_delay_alu instid0(VALU_DEP_1) | instskip(NEXT) | instid1(VALU_DEP_1)
	v_add_f32_e32 v25, v25, v26
	v_add_f32_e32 v26, v30, v25
	s_delay_alu instid0(VALU_DEP_1) | instskip(NEXT) | instid1(VALU_DEP_1)
	v_mul_f32_e32 v27, v29, v26
	v_dual_sub_f32 v30, v30, v26 :: v_dual_mul_f32 v31, v28, v27
	s_delay_alu instid0(VALU_DEP_1) | instskip(NEXT) | instid1(VALU_DEP_2)
	v_add_f32_e32 v25, v25, v30
	v_fma_f32 v32, v27, v28, -v31
	s_delay_alu instid0(VALU_DEP_1) | instskip(NEXT) | instid1(VALU_DEP_1)
	v_fmac_f32_e32 v32, v27, v24
	v_add_f32_e32 v33, v31, v32
	s_delay_alu instid0(VALU_DEP_1) | instskip(SKIP_1) | instid1(VALU_DEP_2)
	v_sub_f32_e32 v34, v26, v33
	v_sub_f32_e32 v30, v33, v31
	;; [unrolled: 1-line block ×3, first 2 shown]
	s_delay_alu instid0(VALU_DEP_2) | instskip(NEXT) | instid1(VALU_DEP_2)
	v_sub_f32_e32 v30, v30, v32
	v_sub_f32_e32 v26, v26, v33
	s_delay_alu instid0(VALU_DEP_1) | instskip(NEXT) | instid1(VALU_DEP_1)
	v_add_f32_e32 v25, v25, v26
	v_dual_add_f32 v26, v29, v27 :: v_dual_add_f32 v25, v30, v25
	s_delay_alu instid0(VALU_DEP_1) | instskip(NEXT) | instid1(VALU_DEP_2)
	v_sub_f32_e32 v30, v26, v29
	v_add_f32_e32 v25, v34, v25
	s_delay_alu instid0(VALU_DEP_2) | instskip(NEXT) | instid1(VALU_DEP_2)
	v_sub_f32_e32 v27, v27, v30
	v_mul_f32_e32 v25, v29, v25
	s_delay_alu instid0(VALU_DEP_1) | instskip(NEXT) | instid1(VALU_DEP_1)
	v_add_f32_e32 v25, v27, v25
	v_add_f32_e32 v27, v26, v25
	s_delay_alu instid0(VALU_DEP_1) | instskip(NEXT) | instid1(VALU_DEP_1)
	v_ldexp_f32 v29, v27, -2
	v_dual_sub_f32 v26, v27, v26 :: v_dual_add_f32 v27, v28, v29
	s_delay_alu instid0(VALU_DEP_1) | instskip(NEXT) | instid1(VALU_DEP_1)
	v_dual_sub_f32 v25, v25, v26 :: v_dual_sub_f32 v26, v27, v28
	v_ldexp_f32 v25, v25, -2
	s_delay_alu instid0(VALU_DEP_2) | instskip(NEXT) | instid1(VALU_DEP_2)
	v_sub_f32_e32 v26, v29, v26
	v_add_f32_e32 v24, v24, v25
	s_delay_alu instid0(VALU_DEP_1) | instskip(NEXT) | instid1(VALU_DEP_1)
	v_add_f32_e32 v24, v24, v26
	v_add_f32_e32 v24, v27, v24
	s_delay_alu instid0(VALU_DEP_1)
	v_cndmask_b32_e32 v25, 0x7f800000, v24, vcc_lo
	v_add_co_u32 v23, vcc_lo, v7, s6
	v_add_co_ci_u32_e32 v24, vcc_lo, s7, v8, vcc_lo
	global_store_b32 v[23:24], v25, off
	s_branch .LBB79_8
.LBB79_25:
	s_nop 0
	s_sendmsg sendmsg(MSG_DEALLOC_VGPRS)
	s_endpgm
	.section	.rodata,"a",@progbits
	.p2align	6, 0x0
	.amdhsa_kernel _ZN2at6native12_GLOBAL__N_125multi_tensor_apply_kernelINS1_18TensorListMetadataILi2EEENS1_14UnaryOpFunctorIfLi2ELi1ELi1EEEJNS0_4CoshIfEEEEEvT_T0_DpT1_
		.amdhsa_group_segment_fixed_size 0
		.amdhsa_private_segment_fixed_size 0
		.amdhsa_kernarg_size 3408
		.amdhsa_user_sgpr_count 15
		.amdhsa_user_sgpr_dispatch_ptr 0
		.amdhsa_user_sgpr_queue_ptr 0
		.amdhsa_user_sgpr_kernarg_segment_ptr 1
		.amdhsa_user_sgpr_dispatch_id 0
		.amdhsa_user_sgpr_private_segment_size 0
		.amdhsa_wavefront_size32 1
		.amdhsa_uses_dynamic_stack 0
		.amdhsa_enable_private_segment 0
		.amdhsa_system_sgpr_workgroup_id_x 1
		.amdhsa_system_sgpr_workgroup_id_y 0
		.amdhsa_system_sgpr_workgroup_id_z 0
		.amdhsa_system_sgpr_workgroup_info 0
		.amdhsa_system_vgpr_workitem_id 0
		.amdhsa_next_free_vgpr 54
		.amdhsa_next_free_sgpr 24
		.amdhsa_reserve_vcc 1
		.amdhsa_float_round_mode_32 0
		.amdhsa_float_round_mode_16_64 0
		.amdhsa_float_denorm_mode_32 3
		.amdhsa_float_denorm_mode_16_64 3
		.amdhsa_dx10_clamp 1
		.amdhsa_ieee_mode 1
		.amdhsa_fp16_overflow 0
		.amdhsa_workgroup_processor_mode 1
		.amdhsa_memory_ordered 1
		.amdhsa_forward_progress 0
		.amdhsa_shared_vgpr_count 0
		.amdhsa_exception_fp_ieee_invalid_op 0
		.amdhsa_exception_fp_denorm_src 0
		.amdhsa_exception_fp_ieee_div_zero 0
		.amdhsa_exception_fp_ieee_overflow 0
		.amdhsa_exception_fp_ieee_underflow 0
		.amdhsa_exception_fp_ieee_inexact 0
		.amdhsa_exception_int_div_zero 0
	.end_amdhsa_kernel
	.section	.text._ZN2at6native12_GLOBAL__N_125multi_tensor_apply_kernelINS1_18TensorListMetadataILi2EEENS1_14UnaryOpFunctorIfLi2ELi1ELi1EEEJNS0_4CoshIfEEEEEvT_T0_DpT1_,"axG",@progbits,_ZN2at6native12_GLOBAL__N_125multi_tensor_apply_kernelINS1_18TensorListMetadataILi2EEENS1_14UnaryOpFunctorIfLi2ELi1ELi1EEEJNS0_4CoshIfEEEEEvT_T0_DpT1_,comdat
.Lfunc_end79:
	.size	_ZN2at6native12_GLOBAL__N_125multi_tensor_apply_kernelINS1_18TensorListMetadataILi2EEENS1_14UnaryOpFunctorIfLi2ELi1ELi1EEEJNS0_4CoshIfEEEEEvT_T0_DpT1_, .Lfunc_end79-_ZN2at6native12_GLOBAL__N_125multi_tensor_apply_kernelINS1_18TensorListMetadataILi2EEENS1_14UnaryOpFunctorIfLi2ELi1ELi1EEEJNS0_4CoshIfEEEEEvT_T0_DpT1_
                                        ; -- End function
	.section	.AMDGPU.csdata,"",@progbits
; Kernel info:
; codeLenInByte = 6876
; NumSgprs: 26
; NumVgprs: 54
; ScratchSize: 0
; MemoryBound: 0
; FloatMode: 240
; IeeeMode: 1
; LDSByteSize: 0 bytes/workgroup (compile time only)
; SGPRBlocks: 3
; VGPRBlocks: 6
; NumSGPRsForWavesPerEU: 26
; NumVGPRsForWavesPerEU: 54
; Occupancy: 16
; WaveLimiterHint : 0
; COMPUTE_PGM_RSRC2:SCRATCH_EN: 0
; COMPUTE_PGM_RSRC2:USER_SGPR: 15
; COMPUTE_PGM_RSRC2:TRAP_HANDLER: 0
; COMPUTE_PGM_RSRC2:TGID_X_EN: 1
; COMPUTE_PGM_RSRC2:TGID_Y_EN: 0
; COMPUTE_PGM_RSRC2:TGID_Z_EN: 0
; COMPUTE_PGM_RSRC2:TIDIG_COMP_CNT: 0
	.text
	.p2align	2                               ; -- Begin function _ZN6thrust23THRUST_200600_302600_NS6detail7complex5ccoshERKNS0_7complexIdEE
	.type	_ZN6thrust23THRUST_200600_302600_NS6detail7complex5ccoshERKNS0_7complexIdEE,@function
_ZN6thrust23THRUST_200600_302600_NS6detail7complex5ccoshERKNS0_7complexIdEE: ; @_ZN6thrust23THRUST_200600_302600_NS6detail7complex5ccoshERKNS0_7complexIdEE
; %bb.0:
	s_waitcnt vmcnt(0) expcnt(0) lgkmcnt(0)
	v_and_b32_e32 v8, 0x7fffffff, v1
	v_and_b32_e32 v9, 0x7fffffff, v3
                                        ; implicit-def: $vgpr6_vgpr7
	s_delay_alu instid0(VALU_DEP_2) | instskip(NEXT) | instid1(VALU_DEP_2)
	v_cmp_gt_u32_e64 s0, 0x7ff00000, v8
	v_max_u32_e32 v4, v8, v9
	s_delay_alu instid0(VALU_DEP_1) | instskip(SKIP_1) | instid1(SALU_CYCLE_1)
	v_cmp_lt_u32_e32 vcc_lo, 0x7fefffff, v4
                                        ; implicit-def: $vgpr4_vgpr5
	s_and_saveexec_b32 s1, vcc_lo
	s_xor_b32 s4, exec_lo, s1
	s_cbranch_execz .LBB80_36
; %bb.1:
	v_or_b32_e32 v4, v8, v0
	v_cmp_lt_u32_e64 s1, 0x7fefffff, v9
	v_cmp_gt_u32_e32 vcc_lo, 0x7ff00000, v9
                                        ; implicit-def: $vgpr6_vgpr7
	s_delay_alu instid0(VALU_DEP_3) | instskip(NEXT) | instid1(VALU_DEP_3)
	v_cmp_ne_u32_e64 s2, 0, v4
	s_xor_b32 s3, s1, -1
                                        ; implicit-def: $vgpr4_vgpr5
	s_delay_alu instid0(VALU_DEP_1) | instid1(SALU_CYCLE_1)
	s_or_b32 s2, s2, s3
	s_delay_alu instid0(SALU_CYCLE_1) | instskip(NEXT) | instid1(SALU_CYCLE_1)
	s_and_saveexec_b32 s3, s2
	s_xor_b32 s5, exec_lo, s3
	s_cbranch_execz .LBB80_33
; %bb.2:
	v_or_b32_e32 v4, v9, v2
	v_cmp_gt_u32_e64 s7, 0x7ff00000, v8
	v_cmp_lt_u32_e64 s2, 0x7fefffff, v8
                                        ; implicit-def: $vgpr6_vgpr7
	s_delay_alu instid0(VALU_DEP_3) | instskip(NEXT) | instid1(VALU_DEP_1)
	v_cmp_ne_u32_e64 s3, 0, v4
                                        ; implicit-def: $vgpr4_vgpr5
	s_or_b32 s3, s7, s3
	s_delay_alu instid0(SALU_CYCLE_1) | instskip(NEXT) | instid1(SALU_CYCLE_1)
	s_and_saveexec_b32 s6, s3
	s_xor_b32 s3, exec_lo, s6
	s_cbranch_execz .LBB80_26
; %bb.3:
	s_and_b32 s0, s0, s1
                                        ; implicit-def: $vgpr6_vgpr7
                                        ; implicit-def: $vgpr4_vgpr5
	s_delay_alu instid0(SALU_CYCLE_1) | instskip(NEXT) | instid1(SALU_CYCLE_1)
	s_xor_b32 s0, s0, -1
	s_and_saveexec_b32 s1, s0
	s_delay_alu instid0(SALU_CYCLE_1)
	s_xor_b32 s6, exec_lo, s1
	s_cbranch_execz .LBB80_23
; %bb.4:
	s_mov_b32 s1, 0
	s_and_saveexec_b32 s8, s2
; %bb.5:
	v_and_or_b32 v4, 0xfffff, v1, v0
	s_and_not1_b32 s2, s7, exec_lo
	s_mov_b32 s1, exec_lo
	s_delay_alu instid0(VALU_DEP_1) | instskip(NEXT) | instid1(VALU_DEP_1)
	v_cmp_ne_u32_e64 s0, 0, v4
	s_and_b32 s0, s0, exec_lo
	s_delay_alu instid0(SALU_CYCLE_1)
	s_or_b32 s7, s2, s0
; %bb.6:
	s_or_b32 exec_lo, exec_lo, s8
                                        ; implicit-def: $vgpr6_vgpr7
                                        ; implicit-def: $vgpr4_vgpr5
	s_and_saveexec_b32 s0, s7
	s_delay_alu instid0(SALU_CYCLE_1)
	s_xor_b32 s0, exec_lo, s0
	s_cbranch_execz .LBB80_8
; %bb.7:
	v_mul_f64 v[4:5], v[0:1], v[0:1]
	v_add_f64 v[6:7], v[2:3], -v[2:3]
	v_add_f64 v[8:9], v[0:1], v[0:1]
	s_and_not1_b32 s1, s1, exec_lo
	s_delay_alu instid0(VALU_DEP_2) | instskip(NEXT) | instid1(VALU_DEP_2)
	v_mul_f64 v[4:5], v[4:5], v[6:7]
	v_mul_f64 v[6:7], v[8:9], v[6:7]
	s_or_b32 exec_lo, exec_lo, s0
	s_and_saveexec_b32 s2, s1
	s_cbranch_execz .LBB80_22
	s_branch .LBB80_9
.LBB80_8:
	s_or_b32 exec_lo, exec_lo, s0
	s_and_saveexec_b32 s2, s1
	s_cbranch_execz .LBB80_22
.LBB80_9:
	v_mul_f64 v[4:5], v[0:1], v[0:1]
                                        ; implicit-def: $vgpr6_vgpr7
	s_and_saveexec_b32 s0, vcc_lo
	s_delay_alu instid0(SALU_CYCLE_1)
	s_xor_b32 s7, exec_lo, s0
	s_cbranch_execz .LBB80_19
; %bb.10:
	v_cmp_ngt_f64_e64 s1, 0x41d00000, |v[2:3]|
                                        ; implicit-def: $vgpr14
                                        ; implicit-def: $vgpr6_vgpr7
                                        ; implicit-def: $vgpr8_vgpr9
	s_delay_alu instid0(VALU_DEP_1) | instskip(NEXT) | instid1(SALU_CYCLE_1)
	s_and_saveexec_b32 s0, s1
	s_xor_b32 s8, exec_lo, s0
	s_cbranch_execz .LBB80_12
; %bb.11:
	v_ldexp_f64 v[6:7], |v[2:3]|, 0xffffff80
	v_cmp_le_f64_e64 vcc_lo, 0x7b000000, |v[2:3]|
	v_trig_preop_f64 v[8:9], |v[2:3]|, 0
	v_and_b32_e32 v10, 0x7fffffff, v3
	v_trig_preop_f64 v[20:21], |v[2:3]|, 2
	v_mov_b32_e32 v28, 0
	s_mov_b32 s10, 0x54442d18
	s_mov_b32 s11, 0x3ff921fb
	;; [unrolled: 1-line block ×4, first 2 shown]
	v_cndmask_b32_e32 v7, v10, v7, vcc_lo
	v_cndmask_b32_e32 v6, v2, v6, vcc_lo
	v_trig_preop_f64 v[10:11], |v[2:3]|, 1
	s_delay_alu instid0(VALU_DEP_2) | instskip(NEXT) | instid1(VALU_DEP_2)
	v_mul_f64 v[12:13], v[8:9], v[6:7]
	v_mul_f64 v[14:15], v[10:11], v[6:7]
	s_delay_alu instid0(VALU_DEP_2) | instskip(NEXT) | instid1(VALU_DEP_2)
	v_fma_f64 v[8:9], v[8:9], v[6:7], -v[12:13]
	v_fma_f64 v[10:11], v[10:11], v[6:7], -v[14:15]
	s_delay_alu instid0(VALU_DEP_2) | instskip(NEXT) | instid1(VALU_DEP_1)
	v_add_f64 v[16:17], v[14:15], v[8:9]
	v_add_f64 v[18:19], v[16:17], -v[14:15]
	v_add_f64 v[24:25], v[12:13], v[16:17]
	s_delay_alu instid0(VALU_DEP_2) | instskip(SKIP_1) | instid1(VALU_DEP_3)
	v_add_f64 v[22:23], v[16:17], -v[18:19]
	v_add_f64 v[8:9], v[8:9], -v[18:19]
	v_ldexp_f64 v[18:19], v[24:25], -2
	v_add_f64 v[12:13], v[24:25], -v[12:13]
	s_delay_alu instid0(VALU_DEP_4) | instskip(NEXT) | instid1(VALU_DEP_3)
	v_add_f64 v[14:15], v[14:15], -v[22:23]
	v_cmp_neq_f64_e64 vcc_lo, 0x7ff00000, |v[18:19]|
	s_delay_alu instid0(VALU_DEP_3) | instskip(NEXT) | instid1(VALU_DEP_3)
	v_add_f64 v[12:13], v[16:17], -v[12:13]
	v_add_f64 v[8:9], v[8:9], v[14:15]
	v_fract_f64_e32 v[14:15], v[18:19]
	s_delay_alu instid0(VALU_DEP_1) | instskip(SKIP_1) | instid1(VALU_DEP_2)
	v_dual_cndmask_b32 v15, 0, v15 :: v_dual_cndmask_b32 v14, 0, v14
	v_mul_f64 v[26:27], v[20:21], v[6:7]
	v_ldexp_f64 v[14:15], v[14:15], 2
	s_delay_alu instid0(VALU_DEP_2) | instskip(SKIP_1) | instid1(VALU_DEP_2)
	v_add_f64 v[22:23], v[26:27], v[10:11]
	v_fma_f64 v[6:7], v[20:21], v[6:7], -v[26:27]
	v_add_f64 v[16:17], v[22:23], v[8:9]
	s_delay_alu instid0(VALU_DEP_1) | instskip(NEXT) | instid1(VALU_DEP_1)
	v_add_f64 v[18:19], v[12:13], v[16:17]
	v_add_f64 v[24:25], v[18:19], v[14:15]
	v_add_f64 v[12:13], v[18:19], -v[12:13]
	s_delay_alu instid0(VALU_DEP_2) | instskip(SKIP_1) | instid1(VALU_DEP_3)
	v_cmp_gt_f64_e32 vcc_lo, 0, v[24:25]
	v_add_f64 v[24:25], v[22:23], -v[26:27]
	v_add_f64 v[12:13], v[16:17], -v[12:13]
	v_cndmask_b32_e64 v29, 0, 0x40100000, vcc_lo
	s_delay_alu instid0(VALU_DEP_3) | instskip(SKIP_1) | instid1(VALU_DEP_3)
	v_add_f64 v[33:34], v[22:23], -v[24:25]
	v_add_f64 v[10:11], v[10:11], -v[24:25]
	v_add_f64 v[14:15], v[14:15], v[28:29]
	v_add_f64 v[29:30], v[16:17], -v[22:23]
	s_delay_alu instid0(VALU_DEP_4) | instskip(NEXT) | instid1(VALU_DEP_3)
	v_add_f64 v[24:25], v[26:27], -v[33:34]
	v_add_f64 v[31:32], v[18:19], v[14:15]
	s_delay_alu instid0(VALU_DEP_3) | instskip(SKIP_1) | instid1(VALU_DEP_4)
	v_add_f64 v[35:36], v[16:17], -v[29:30]
	v_add_f64 v[8:9], v[8:9], -v[29:30]
	v_add_f64 v[10:11], v[10:11], v[24:25]
	s_delay_alu instid0(VALU_DEP_4) | instskip(NEXT) | instid1(VALU_DEP_4)
	v_cvt_i32_f64_e32 v31, v[31:32]
	v_add_f64 v[22:23], v[22:23], -v[35:36]
	s_delay_alu instid0(VALU_DEP_2) | instskip(NEXT) | instid1(VALU_DEP_2)
	v_cvt_f64_i32_e32 v[29:30], v31
	v_add_f64 v[8:9], v[8:9], v[22:23]
	s_delay_alu instid0(VALU_DEP_2) | instskip(NEXT) | instid1(VALU_DEP_2)
	v_add_f64 v[14:15], v[14:15], -v[29:30]
	v_add_f64 v[8:9], v[10:11], v[8:9]
	s_delay_alu instid0(VALU_DEP_2) | instskip(NEXT) | instid1(VALU_DEP_2)
	v_add_f64 v[10:11], v[18:19], v[14:15]
	v_add_f64 v[6:7], v[6:7], v[8:9]
	s_delay_alu instid0(VALU_DEP_2) | instskip(SKIP_1) | instid1(VALU_DEP_3)
	v_add_f64 v[8:9], v[10:11], -v[14:15]
	v_cmp_le_f64_e32 vcc_lo, 0.5, v[10:11]
	v_add_f64 v[6:7], v[12:13], v[6:7]
	s_delay_alu instid0(VALU_DEP_3) | instskip(SKIP_2) | instid1(VALU_DEP_3)
	v_add_f64 v[8:9], v[18:19], -v[8:9]
	v_cndmask_b32_e64 v29, 0, 0x3ff00000, vcc_lo
	v_add_co_ci_u32_e64 v14, s0, 0, v31, vcc_lo
	v_add_f64 v[6:7], v[6:7], v[8:9]
	s_delay_alu instid0(VALU_DEP_3) | instskip(NEXT) | instid1(VALU_DEP_1)
	v_add_f64 v[8:9], v[10:11], -v[28:29]
	v_add_f64 v[10:11], v[8:9], v[6:7]
	s_delay_alu instid0(VALU_DEP_1) | instskip(SKIP_1) | instid1(VALU_DEP_2)
	v_mul_f64 v[12:13], v[10:11], s[10:11]
	v_add_f64 v[8:9], v[10:11], -v[8:9]
	v_fma_f64 v[15:16], v[10:11], s[10:11], -v[12:13]
	s_delay_alu instid0(VALU_DEP_2) | instskip(NEXT) | instid1(VALU_DEP_2)
	v_add_f64 v[6:7], v[6:7], -v[8:9]
	v_fma_f64 v[8:9], v[10:11], s[12:13], v[15:16]
	s_delay_alu instid0(VALU_DEP_1) | instskip(NEXT) | instid1(VALU_DEP_1)
	v_fma_f64 v[8:9], v[6:7], s[10:11], v[8:9]
	v_add_f64 v[6:7], v[12:13], v[8:9]
	s_delay_alu instid0(VALU_DEP_1) | instskip(NEXT) | instid1(VALU_DEP_1)
	v_add_f64 v[10:11], v[6:7], -v[12:13]
	v_add_f64 v[8:9], v[8:9], -v[10:11]
	s_and_not1_saveexec_b32 s0, s8
	s_cbranch_execz .LBB80_14
	s_branch .LBB80_13
.LBB80_12:
	s_and_not1_saveexec_b32 s0, s8
	s_cbranch_execz .LBB80_14
.LBB80_13:
	s_mov_b32 s8, 0x6dc9c883
	s_mov_b32 s9, 0x3fe45f30
	;; [unrolled: 1-line block ×3, first 2 shown]
	v_mul_f64 v[6:7], |v[2:3]|, s[8:9]
	s_mov_b32 s8, 0x54442d18
	s_mov_b32 s9, 0xbff921fb
	;; [unrolled: 1-line block ×3, first 2 shown]
	s_delay_alu instid0(VALU_DEP_1) | instskip(NEXT) | instid1(VALU_DEP_1)
	v_rndne_f64_e32 v[10:11], v[6:7]
	v_fma_f64 v[6:7], v[10:11], s[8:9], |v[2:3]|
	v_mul_f64 v[8:9], v[10:11], s[10:11]
	s_mov_b32 s8, 0x252049c0
	s_mov_b32 s9, 0xb97b839a
	s_delay_alu instid0(VALU_DEP_2) | instskip(NEXT) | instid1(VALU_DEP_2)
	v_fma_f64 v[14:15], v[10:11], s[10:11], v[6:7]
	v_add_f64 v[12:13], v[6:7], v[8:9]
	s_mov_b32 s11, 0x3c91a626
	s_delay_alu instid0(VALU_DEP_1) | instskip(NEXT) | instid1(VALU_DEP_3)
	v_add_f64 v[6:7], v[6:7], -v[12:13]
	v_add_f64 v[12:13], v[12:13], -v[14:15]
	s_delay_alu instid0(VALU_DEP_2) | instskip(SKIP_1) | instid1(VALU_DEP_2)
	v_add_f64 v[6:7], v[6:7], v[8:9]
	v_fma_f64 v[8:9], v[10:11], s[10:11], v[8:9]
	v_add_f64 v[6:7], v[12:13], v[6:7]
	s_delay_alu instid0(VALU_DEP_1) | instskip(NEXT) | instid1(VALU_DEP_1)
	v_add_f64 v[6:7], v[6:7], -v[8:9]
	v_fma_f64 v[8:9], v[10:11], s[8:9], v[6:7]
	s_delay_alu instid0(VALU_DEP_1) | instskip(NEXT) | instid1(VALU_DEP_1)
	v_add_f64 v[6:7], v[14:15], v[8:9]
	v_add_f64 v[12:13], v[6:7], -v[14:15]
	v_cvt_i32_f64_e32 v14, v[10:11]
	s_delay_alu instid0(VALU_DEP_2)
	v_add_f64 v[8:9], v[8:9], -v[12:13]
.LBB80_14:
	s_or_b32 exec_lo, exec_lo, s0
                                        ; implicit-def: $vgpr15
                                        ; implicit-def: $vgpr10_vgpr11
                                        ; implicit-def: $vgpr12_vgpr13
	s_and_saveexec_b32 s0, s1
	s_delay_alu instid0(SALU_CYCLE_1)
	s_xor_b32 s1, exec_lo, s0
	s_cbranch_execz .LBB80_16
; %bb.15:
	v_ldexp_f64 v[10:11], |v[2:3]|, 0xffffff80
	v_cmp_le_f64_e64 vcc_lo, 0x7b000000, |v[2:3]|
	v_trig_preop_f64 v[12:13], |v[2:3]|, 0
	v_and_b32_e32 v15, 0x7fffffff, v3
	v_trig_preop_f64 v[25:26], |v[2:3]|, 2
	v_mov_b32_e32 v33, 0
	s_mov_b32 s8, 0x54442d18
	s_mov_b32 s9, 0x3ff921fb
	;; [unrolled: 1-line block ×4, first 2 shown]
	v_dual_cndmask_b32 v10, v2, v10 :: v_dual_cndmask_b32 v11, v15, v11
	v_trig_preop_f64 v[15:16], |v[2:3]|, 1
	s_delay_alu instid0(VALU_DEP_2) | instskip(NEXT) | instid1(VALU_DEP_2)
	v_mul_f64 v[17:18], v[12:13], v[10:11]
	v_mul_f64 v[19:20], v[15:16], v[10:11]
	s_delay_alu instid0(VALU_DEP_2) | instskip(NEXT) | instid1(VALU_DEP_2)
	v_fma_f64 v[12:13], v[12:13], v[10:11], -v[17:18]
	v_fma_f64 v[15:16], v[15:16], v[10:11], -v[19:20]
	s_delay_alu instid0(VALU_DEP_2) | instskip(NEXT) | instid1(VALU_DEP_1)
	v_add_f64 v[21:22], v[19:20], v[12:13]
	v_add_f64 v[23:24], v[21:22], -v[19:20]
	v_add_f64 v[29:30], v[17:18], v[21:22]
	s_delay_alu instid0(VALU_DEP_2) | instskip(SKIP_1) | instid1(VALU_DEP_3)
	v_add_f64 v[27:28], v[21:22], -v[23:24]
	v_add_f64 v[12:13], v[12:13], -v[23:24]
	v_ldexp_f64 v[23:24], v[29:30], -2
	v_add_f64 v[17:18], v[29:30], -v[17:18]
	s_delay_alu instid0(VALU_DEP_4) | instskip(NEXT) | instid1(VALU_DEP_3)
	v_add_f64 v[19:20], v[19:20], -v[27:28]
	v_cmp_neq_f64_e64 vcc_lo, 0x7ff00000, |v[23:24]|
	s_delay_alu instid0(VALU_DEP_3) | instskip(NEXT) | instid1(VALU_DEP_3)
	v_add_f64 v[17:18], v[21:22], -v[17:18]
	v_add_f64 v[12:13], v[12:13], v[19:20]
	v_fract_f64_e32 v[19:20], v[23:24]
	s_delay_alu instid0(VALU_DEP_1) | instskip(SKIP_1) | instid1(VALU_DEP_3)
	v_cndmask_b32_e32 v20, 0, v20, vcc_lo
	v_mul_f64 v[31:32], v[25:26], v[10:11]
	v_cndmask_b32_e32 v19, 0, v19, vcc_lo
	s_delay_alu instid0(VALU_DEP_1) | instskip(NEXT) | instid1(VALU_DEP_3)
	v_ldexp_f64 v[19:20], v[19:20], 2
	v_add_f64 v[27:28], v[31:32], v[15:16]
	v_fma_f64 v[10:11], v[25:26], v[10:11], -v[31:32]
	s_delay_alu instid0(VALU_DEP_2) | instskip(NEXT) | instid1(VALU_DEP_1)
	v_add_f64 v[21:22], v[27:28], v[12:13]
	v_add_f64 v[23:24], v[17:18], v[21:22]
	s_delay_alu instid0(VALU_DEP_1) | instskip(SKIP_1) | instid1(VALU_DEP_2)
	v_add_f64 v[29:30], v[23:24], v[19:20]
	v_add_f64 v[17:18], v[23:24], -v[17:18]
	v_cmp_gt_f64_e32 vcc_lo, 0, v[29:30]
	v_add_f64 v[29:30], v[27:28], -v[31:32]
	v_cndmask_b32_e64 v34, 0, 0x40100000, vcc_lo
	s_delay_alu instid0(VALU_DEP_2) | instskip(SKIP_1) | instid1(VALU_DEP_3)
	v_add_f64 v[38:39], v[27:28], -v[29:30]
	v_add_f64 v[15:16], v[15:16], -v[29:30]
	v_add_f64 v[19:20], v[19:20], v[33:34]
	v_add_f64 v[34:35], v[21:22], -v[27:28]
	s_delay_alu instid0(VALU_DEP_4) | instskip(NEXT) | instid1(VALU_DEP_3)
	v_add_f64 v[29:30], v[31:32], -v[38:39]
	v_add_f64 v[36:37], v[23:24], v[19:20]
	s_delay_alu instid0(VALU_DEP_3) | instskip(SKIP_1) | instid1(VALU_DEP_4)
	v_add_f64 v[48:49], v[21:22], -v[34:35]
	v_add_f64 v[12:13], v[12:13], -v[34:35]
	v_add_f64 v[15:16], v[15:16], v[29:30]
	s_delay_alu instid0(VALU_DEP_4) | instskip(NEXT) | instid1(VALU_DEP_4)
	v_cvt_i32_f64_e32 v36, v[36:37]
	v_add_f64 v[27:28], v[27:28], -v[48:49]
	s_delay_alu instid0(VALU_DEP_2) | instskip(NEXT) | instid1(VALU_DEP_2)
	v_cvt_f64_i32_e32 v[34:35], v36
	v_add_f64 v[12:13], v[12:13], v[27:28]
	s_delay_alu instid0(VALU_DEP_2) | instskip(NEXT) | instid1(VALU_DEP_2)
	v_add_f64 v[19:20], v[19:20], -v[34:35]
	v_add_f64 v[12:13], v[15:16], v[12:13]
	v_add_f64 v[15:16], v[21:22], -v[17:18]
	s_delay_alu instid0(VALU_DEP_3) | instskip(NEXT) | instid1(VALU_DEP_3)
	v_add_f64 v[25:26], v[23:24], v[19:20]
	v_add_f64 v[10:11], v[10:11], v[12:13]
	s_delay_alu instid0(VALU_DEP_2) | instskip(SKIP_1) | instid1(VALU_DEP_3)
	v_add_f64 v[12:13], v[25:26], -v[19:20]
	v_cmp_le_f64_e32 vcc_lo, 0.5, v[25:26]
	v_add_f64 v[10:11], v[15:16], v[10:11]
	s_delay_alu instid0(VALU_DEP_3) | instskip(SKIP_2) | instid1(VALU_DEP_3)
	v_add_f64 v[12:13], v[23:24], -v[12:13]
	v_cndmask_b32_e64 v34, 0, 0x3ff00000, vcc_lo
	v_add_co_ci_u32_e64 v15, s0, 0, v36, vcc_lo
	v_add_f64 v[10:11], v[10:11], v[12:13]
	s_delay_alu instid0(VALU_DEP_3) | instskip(NEXT) | instid1(VALU_DEP_1)
	v_add_f64 v[12:13], v[25:26], -v[33:34]
	v_add_f64 v[16:17], v[12:13], v[10:11]
	s_delay_alu instid0(VALU_DEP_1) | instskip(SKIP_1) | instid1(VALU_DEP_2)
	v_mul_f64 v[18:19], v[16:17], s[8:9]
	v_add_f64 v[12:13], v[16:17], -v[12:13]
	v_fma_f64 v[20:21], v[16:17], s[8:9], -v[18:19]
	s_delay_alu instid0(VALU_DEP_2) | instskip(NEXT) | instid1(VALU_DEP_2)
	v_add_f64 v[10:11], v[10:11], -v[12:13]
	v_fma_f64 v[12:13], v[16:17], s[10:11], v[20:21]
	s_delay_alu instid0(VALU_DEP_1) | instskip(NEXT) | instid1(VALU_DEP_1)
	v_fma_f64 v[12:13], v[10:11], s[8:9], v[12:13]
	v_add_f64 v[10:11], v[18:19], v[12:13]
	s_delay_alu instid0(VALU_DEP_1) | instskip(NEXT) | instid1(VALU_DEP_1)
	v_add_f64 v[16:17], v[10:11], -v[18:19]
	v_add_f64 v[12:13], v[12:13], -v[16:17]
	s_and_not1_saveexec_b32 s0, s1
	s_cbranch_execnz .LBB80_17
	s_branch .LBB80_18
.LBB80_16:
	s_and_not1_saveexec_b32 s0, s1
	s_cbranch_execz .LBB80_18
.LBB80_17:
	s_mov_b32 s8, 0x6dc9c883
	s_mov_b32 s9, 0x3fe45f30
	;; [unrolled: 1-line block ×3, first 2 shown]
	v_mul_f64 v[10:11], |v[2:3]|, s[8:9]
	s_mov_b32 s8, 0x54442d18
	s_mov_b32 s9, 0xbff921fb
	;; [unrolled: 1-line block ×3, first 2 shown]
	s_delay_alu instid0(VALU_DEP_1) | instskip(NEXT) | instid1(VALU_DEP_1)
	v_rndne_f64_e32 v[15:16], v[10:11]
	v_fma_f64 v[10:11], v[15:16], s[8:9], |v[2:3]|
	v_mul_f64 v[12:13], v[15:16], s[10:11]
	s_mov_b32 s8, 0x252049c0
	s_mov_b32 s9, 0xb97b839a
	s_delay_alu instid0(VALU_DEP_2) | instskip(NEXT) | instid1(VALU_DEP_2)
	v_fma_f64 v[19:20], v[15:16], s[10:11], v[10:11]
	v_add_f64 v[17:18], v[10:11], v[12:13]
	s_mov_b32 s11, 0x3c91a626
	s_delay_alu instid0(VALU_DEP_1) | instskip(NEXT) | instid1(VALU_DEP_3)
	v_add_f64 v[10:11], v[10:11], -v[17:18]
	v_add_f64 v[17:18], v[17:18], -v[19:20]
	s_delay_alu instid0(VALU_DEP_2) | instskip(SKIP_1) | instid1(VALU_DEP_2)
	v_add_f64 v[10:11], v[10:11], v[12:13]
	v_fma_f64 v[12:13], v[15:16], s[10:11], v[12:13]
	v_add_f64 v[10:11], v[17:18], v[10:11]
	s_delay_alu instid0(VALU_DEP_1) | instskip(NEXT) | instid1(VALU_DEP_1)
	v_add_f64 v[10:11], v[10:11], -v[12:13]
	v_fma_f64 v[12:13], v[15:16], s[8:9], v[10:11]
	v_cvt_i32_f64_e32 v15, v[15:16]
	s_delay_alu instid0(VALU_DEP_2) | instskip(NEXT) | instid1(VALU_DEP_1)
	v_add_f64 v[10:11], v[19:20], v[12:13]
	v_add_f64 v[17:18], v[10:11], -v[19:20]
	s_delay_alu instid0(VALU_DEP_1)
	v_add_f64 v[12:13], v[12:13], -v[17:18]
.LBB80_18:
	s_or_b32 exec_lo, exec_lo, s0
	s_delay_alu instid0(VALU_DEP_3)
	v_mul_f64 v[16:17], v[6:7], v[6:7]
	v_mul_f64 v[18:19], v[10:11], v[10:11]
	s_mov_b32 s0, 0xb42fdfa7
	s_mov_b32 s8, 0xf9a43bb8
	;; [unrolled: 1-line block ×6, first 2 shown]
	s_delay_alu instid0(VALU_DEP_3) | instskip(NEXT) | instid1(VALU_DEP_4)
	v_mul_f64 v[36:37], v[8:9], 0.5
	v_mul_f64 v[50:51], v[12:13], 0.5
	s_delay_alu instid0(VALU_DEP_4) | instskip(NEXT) | instid1(VALU_DEP_4)
	v_fma_f64 v[20:21], v[16:17], s[8:9], s[0:1]
	v_fma_f64 v[22:23], v[18:19], s[8:9], s[0:1]
	v_mul_f64 v[26:27], v[16:17], 0.5
	s_mov_b32 s0, 0x9037ab78
	s_mov_b32 s8, 0x46cc5e42
	;; [unrolled: 1-line block ×4, first 2 shown]
	v_mul_f64 v[28:29], v[18:19], 0.5
	v_fma_f64 v[24:25], v[16:17], s[8:9], s[0:1]
	v_fma_f64 v[30:31], v[18:19], s[8:9], s[0:1]
	s_mov_b32 s8, 0x19e83e5c
	s_mov_b32 s9, 0xbf2a01a0
	;; [unrolled: 1-line block ×4, first 2 shown]
	v_mul_f64 v[38:39], v[6:7], -v[16:17]
	v_mul_f64 v[52:53], v[10:11], -v[18:19]
	v_fma_f64 v[20:21], v[16:17], v[20:21], s[10:11]
	v_fma_f64 v[22:23], v[18:19], v[22:23], s[10:11]
	v_add_f64 v[32:33], -v[26:27], 1.0
	v_add_f64 v[34:35], -v[28:29], 1.0
	v_fma_f64 v[24:25], v[16:17], v[24:25], s[0:1]
	v_fma_f64 v[30:31], v[18:19], v[30:31], s[0:1]
	s_mov_b32 s0, 0x19f4ec90
	s_mov_b32 s1, 0x3efa01a0
	v_fma_f64 v[20:21], v[16:17], v[20:21], s[8:9]
	v_fma_f64 v[22:23], v[18:19], v[22:23], s[8:9]
	s_mov_b32 s8, 0x11110bb3
	s_mov_b32 s9, 0x3f811111
	v_add_f64 v[48:49], -v[32:33], 1.0
	v_add_f64 v[54:55], -v[34:35], 1.0
	v_fma_f64 v[24:25], v[16:17], v[24:25], s[0:1]
	v_fma_f64 v[30:31], v[18:19], v[30:31], s[0:1]
	s_mov_b32 s0, 0x16c16967
	s_mov_b32 s1, 0xbf56c16c
	v_fma_f64 v[20:21], v[16:17], v[20:21], s[8:9]
	v_fma_f64 v[22:23], v[18:19], v[22:23], s[8:9]
	v_add_f64 v[26:27], v[48:49], -v[26:27]
	v_add_f64 v[28:29], v[54:55], -v[28:29]
	v_fma_f64 v[24:25], v[16:17], v[24:25], s[0:1]
	v_fma_f64 v[30:31], v[18:19], v[30:31], s[0:1]
	s_mov_b32 s0, 0x55555555
	s_mov_b32 s1, 0x3fa55555
	v_fma_f64 v[20:21], v[38:39], v[20:21], v[36:37]
	v_fma_f64 v[22:23], v[52:53], v[22:23], v[50:51]
	v_mul_f64 v[36:37], v[16:17], v[16:17]
	v_fma_f64 v[26:27], v[6:7], -v[8:9], v[26:27]
	v_fma_f64 v[28:29], v[10:11], -v[12:13], v[28:29]
	v_fma_f64 v[24:25], v[16:17], v[24:25], s[0:1]
	v_fma_f64 v[8:9], v[16:17], v[20:21], -v[8:9]
	v_mul_f64 v[16:17], v[18:19], v[18:19]
	v_fma_f64 v[20:21], v[18:19], v[30:31], s[0:1]
	v_fma_f64 v[12:13], v[18:19], v[22:23], -v[12:13]
	s_mov_b32 s1, 0xbfc55555
	v_fma_f64 v[18:19], v[36:37], v[24:25], v[26:27]
	v_fma_f64 v[8:9], v[38:39], s[0:1], v[8:9]
	s_delay_alu instid0(VALU_DEP_4) | instskip(NEXT) | instid1(VALU_DEP_4)
	v_fma_f64 v[16:17], v[16:17], v[20:21], v[28:29]
	v_fma_f64 v[12:13], v[52:53], s[0:1], v[12:13]
	v_cmp_class_f64_e64 s0, v[2:3], 0x1f8
	v_lshlrev_b32_e32 v2, 30, v15
	v_add_f64 v[18:19], v[32:33], v[18:19]
	s_delay_alu instid0(VALU_DEP_2) | instskip(NEXT) | instid1(VALU_DEP_1)
	v_xor_b32_e32 v2, v2, v3
	v_and_b32_e32 v2, 0x80000000, v2
	v_add_f64 v[6:7], v[6:7], -v[8:9]
	v_add_f64 v[8:9], v[34:35], v[16:17]
	v_add_f64 v[10:11], v[10:11], -v[12:13]
	v_lshlrev_b32_e32 v13, 30, v14
	s_delay_alu instid0(VALU_DEP_4) | instskip(SKIP_1) | instid1(VALU_DEP_3)
	v_xor_b32_e32 v3, 0x80000000, v7
	v_and_b32_e32 v12, 1, v14
	v_and_b32_e32 v7, 0x80000000, v13
	s_delay_alu instid0(VALU_DEP_2) | instskip(SKIP_2) | instid1(VALU_DEP_2)
	v_cmp_eq_u32_e32 vcc_lo, 0, v12
	v_and_b32_e32 v12, 1, v15
	v_cndmask_b32_e32 v3, v3, v19, vcc_lo
	v_cmp_eq_u32_e64 s1, 0, v12
	v_cndmask_b32_e32 v6, v6, v18, vcc_lo
	s_delay_alu instid0(VALU_DEP_3) | instskip(NEXT) | instid1(VALU_DEP_3)
	v_xor_b32_e32 v3, v3, v7
	v_cndmask_b32_e64 v9, v9, v11, s1
	v_cndmask_b32_e64 v8, v8, v10, s1
	s_delay_alu instid0(VALU_DEP_3) | instskip(NEXT) | instid1(VALU_DEP_3)
	v_cndmask_b32_e64 v3, 0x7ff80000, v3, s0
	v_xor_b32_e32 v7, v9, v2
	v_cndmask_b32_e64 v2, 0, v6, s0
	s_delay_alu instid0(VALU_DEP_4) | instskip(NEXT) | instid1(VALU_DEP_3)
	v_cndmask_b32_e64 v6, 0, v8, s0
	v_cndmask_b32_e64 v7, 0x7ff80000, v7, s0
	s_delay_alu instid0(VALU_DEP_3) | instskip(NEXT) | instid1(VALU_DEP_2)
	v_mul_f64 v[4:5], v[4:5], v[2:3]
                                        ; implicit-def: $vgpr2_vgpr3
	v_mul_f64 v[6:7], v[6:7], v[0:1]
                                        ; implicit-def: $vgpr0_vgpr1
.LBB80_19:
	s_and_not1_saveexec_b32 s0, s7
; %bb.20:
	v_add_f64 v[2:3], v[2:3], -v[2:3]
	s_delay_alu instid0(VALU_DEP_1)
	v_mul_f64 v[6:7], v[2:3], v[0:1]
; %bb.21:
	s_or_b32 exec_lo, exec_lo, s0
.LBB80_22:
	s_delay_alu instid0(SALU_CYCLE_1)
	s_or_b32 exec_lo, exec_lo, s2
                                        ; implicit-def: $vgpr2_vgpr3
                                        ; implicit-def: $vgpr0_vgpr1
.LBB80_23:
	s_and_not1_saveexec_b32 s0, s6
; %bb.24:
	v_add_f64 v[4:5], v[2:3], -v[2:3]
	s_delay_alu instid0(VALU_DEP_1)
	v_mul_f64 v[6:7], v[4:5], v[0:1]
; %bb.25:
	s_or_b32 exec_lo, exec_lo, s0
                                        ; implicit-def: $vgpr0_vgpr1
                                        ; implicit-def: $vgpr2_vgpr3
.LBB80_26:
	s_and_not1_saveexec_b32 s0, s3
	s_cbranch_execz .LBB80_32
; %bb.27:
	v_mul_f64 v[4:5], v[0:1], v[0:1]
	v_and_or_b32 v6, 0xfffff, v1, v0
	s_delay_alu instid0(VALU_DEP_1) | instskip(SKIP_1) | instid1(SALU_CYCLE_1)
	v_cmp_ne_u32_e32 vcc_lo, 0, v6
                                        ; implicit-def: $vgpr6_vgpr7
	s_and_saveexec_b32 s1, vcc_lo
	s_xor_b32 s1, exec_lo, s1
; %bb.28:
	v_add_f64 v[0:1], v[0:1], v[0:1]
	v_mov_b32_e32 v6, 0
	s_delay_alu instid0(VALU_DEP_2) | instskip(NEXT) | instid1(VALU_DEP_1)
	v_mul_f64 v[0:1], v[0:1], v[2:3]
                                        ; implicit-def: $vgpr2_vgpr3
	v_bfi_b32 v7, 0x7fffffff, 0, v1
                                        ; implicit-def: $vgpr0_vgpr1
; %bb.29:
	s_and_not1_saveexec_b32 s1, s1
; %bb.30:
	v_bfi_b32 v1, 0x7fffffff, 0, v1
	v_mov_b32_e32 v0, 0
	s_delay_alu instid0(VALU_DEP_1)
	v_mul_f64 v[6:7], v[0:1], v[2:3]
; %bb.31:
	s_or_b32 exec_lo, exec_lo, s1
.LBB80_32:
	s_delay_alu instid0(SALU_CYCLE_1)
	s_or_b32 exec_lo, exec_lo, s0
                                        ; implicit-def: $vgpr2_vgpr3
                                        ; implicit-def: $vgpr0_vgpr1
.LBB80_33:
	s_and_not1_saveexec_b32 s0, s5
; %bb.34:
	v_add_f64 v[4:5], v[2:3], -v[2:3]
	v_mov_b32_e32 v6, 0
	s_delay_alu instid0(VALU_DEP_2) | instskip(NEXT) | instid1(VALU_DEP_1)
	v_mul_f64 v[0:1], v[4:5], v[0:1]
	v_bfi_b32 v7, 0x7fffffff, 0, v1
; %bb.35:
	s_or_b32 exec_lo, exec_lo, s0
                                        ; implicit-def: $vgpr0_vgpr1
                                        ; implicit-def: $vgpr2_vgpr3
                                        ; implicit-def: $vgpr9
                                        ; implicit-def: $vgpr8
.LBB80_36:
	s_and_not1_saveexec_b32 s4, s4
	s_cbranch_execz .LBB80_86
; %bb.37:
	v_or_b32_e32 v4, v9, v2
                                        ; implicit-def: $vgpr6_vgpr7
	s_delay_alu instid0(VALU_DEP_1) | instskip(SKIP_1) | instid1(SALU_CYCLE_1)
	v_cmp_ne_u32_e32 vcc_lo, 0, v4
                                        ; implicit-def: $vgpr4_vgpr5
	s_and_saveexec_b32 s0, vcc_lo
	s_xor_b32 s5, exec_lo, s0
	s_cbranch_execz .LBB80_83
; %bb.38:
                                        ; implicit-def: $vgpr6_vgpr7
                                        ; implicit-def: $vgpr4_vgpr5
	s_mov_b32 s0, exec_lo
	v_cmpx_lt_u32_e32 0x4035ffff, v8
	s_xor_b32 s6, exec_lo, s0
	s_cbranch_execz .LBB80_72
; %bb.39:
                                        ; implicit-def: $vgpr6_vgpr7
                                        ; implicit-def: $vgpr4_vgpr5
	s_mov_b32 s0, exec_lo
	v_cmpx_lt_u32_e32 0x40862e41, v8
	;; [unrolled: 7-line block ×3, first 2 shown]
	s_xor_b32 s2, exec_lo, s0
	s_cbranch_execz .LBB80_50
; %bb.41:
	v_cmp_ngt_f64_e64 s1, 0x41d00000, |v[2:3]|
                                        ; implicit-def: $vgpr12
                                        ; implicit-def: $vgpr4_vgpr5
                                        ; implicit-def: $vgpr6_vgpr7
	s_delay_alu instid0(VALU_DEP_1) | instskip(NEXT) | instid1(SALU_CYCLE_1)
	s_and_saveexec_b32 s0, s1
	s_xor_b32 s3, exec_lo, s0
	s_cbranch_execz .LBB80_43
; %bb.42:
	v_ldexp_f64 v[4:5], |v[2:3]|, 0xffffff80
	v_cmp_le_f64_e64 vcc_lo, 0x7b000000, |v[2:3]|
	v_trig_preop_f64 v[6:7], |v[2:3]|, 0
	v_and_b32_e32 v8, 0x7fffffff, v3
	v_trig_preop_f64 v[18:19], |v[2:3]|, 2
	v_mov_b32_e32 v26, 0
	s_mov_b32 s8, 0x54442d18
	s_mov_b32 s9, 0x3ff921fb
	;; [unrolled: 1-line block ×4, first 2 shown]
	v_dual_cndmask_b32 v5, v8, v5 :: v_dual_cndmask_b32 v4, v2, v4
	v_trig_preop_f64 v[8:9], |v[2:3]|, 1
	s_delay_alu instid0(VALU_DEP_2) | instskip(SKIP_1) | instid1(VALU_DEP_3)
	v_mul_f64 v[10:11], v[6:7], v[4:5]
	v_mul_f64 v[24:25], v[18:19], v[4:5]
	;; [unrolled: 1-line block ×3, first 2 shown]
	s_delay_alu instid0(VALU_DEP_3) | instskip(NEXT) | instid1(VALU_DEP_2)
	v_fma_f64 v[6:7], v[6:7], v[4:5], -v[10:11]
	v_fma_f64 v[8:9], v[8:9], v[4:5], -v[12:13]
	s_delay_alu instid0(VALU_DEP_4) | instskip(NEXT) | instid1(VALU_DEP_3)
	v_fma_f64 v[4:5], v[18:19], v[4:5], -v[24:25]
	v_add_f64 v[14:15], v[12:13], v[6:7]
	s_delay_alu instid0(VALU_DEP_1) | instskip(SKIP_1) | instid1(VALU_DEP_2)
	v_add_f64 v[16:17], v[14:15], -v[12:13]
	v_add_f64 v[22:23], v[10:11], v[14:15]
	v_add_f64 v[20:21], v[14:15], -v[16:17]
	v_add_f64 v[6:7], v[6:7], -v[16:17]
	s_delay_alu instid0(VALU_DEP_3) | instskip(SKIP_1) | instid1(VALU_DEP_4)
	v_ldexp_f64 v[16:17], v[22:23], -2
	v_add_f64 v[10:11], v[22:23], -v[10:11]
	v_add_f64 v[12:13], v[12:13], -v[20:21]
	v_add_f64 v[20:21], v[24:25], v[8:9]
	s_delay_alu instid0(VALU_DEP_4) | instskip(NEXT) | instid1(VALU_DEP_4)
	v_cmp_neq_f64_e64 vcc_lo, 0x7ff00000, |v[16:17]|
	v_add_f64 v[10:11], v[14:15], -v[10:11]
	s_delay_alu instid0(VALU_DEP_4) | instskip(SKIP_1) | instid1(VALU_DEP_2)
	v_add_f64 v[6:7], v[6:7], v[12:13]
	v_fract_f64_e32 v[12:13], v[16:17]
	v_add_f64 v[14:15], v[20:21], v[6:7]
	s_delay_alu instid0(VALU_DEP_2) | instskip(NEXT) | instid1(VALU_DEP_1)
	v_dual_cndmask_b32 v13, 0, v13 :: v_dual_cndmask_b32 v12, 0, v12
	v_ldexp_f64 v[12:13], v[12:13], 2
	s_delay_alu instid0(VALU_DEP_3) | instskip(NEXT) | instid1(VALU_DEP_1)
	v_add_f64 v[16:17], v[10:11], v[14:15]
	v_add_f64 v[22:23], v[16:17], v[12:13]
	v_add_f64 v[10:11], v[16:17], -v[10:11]
	s_delay_alu instid0(VALU_DEP_2) | instskip(SKIP_1) | instid1(VALU_DEP_3)
	v_cmp_gt_f64_e32 vcc_lo, 0, v[22:23]
	v_add_f64 v[22:23], v[20:21], -v[24:25]
	v_add_f64 v[10:11], v[14:15], -v[10:11]
	v_cndmask_b32_e64 v27, 0, 0x40100000, vcc_lo
	s_delay_alu instid0(VALU_DEP_3) | instskip(SKIP_1) | instid1(VALU_DEP_3)
	v_add_f64 v[31:32], v[20:21], -v[22:23]
	v_add_f64 v[8:9], v[8:9], -v[22:23]
	v_add_f64 v[12:13], v[12:13], v[26:27]
	v_add_f64 v[27:28], v[14:15], -v[20:21]
	s_delay_alu instid0(VALU_DEP_4) | instskip(NEXT) | instid1(VALU_DEP_3)
	v_add_f64 v[22:23], v[24:25], -v[31:32]
	v_add_f64 v[29:30], v[16:17], v[12:13]
	s_delay_alu instid0(VALU_DEP_3) | instskip(SKIP_1) | instid1(VALU_DEP_4)
	v_add_f64 v[33:34], v[14:15], -v[27:28]
	v_add_f64 v[6:7], v[6:7], -v[27:28]
	v_add_f64 v[8:9], v[8:9], v[22:23]
	s_delay_alu instid0(VALU_DEP_4) | instskip(NEXT) | instid1(VALU_DEP_4)
	v_cvt_i32_f64_e32 v29, v[29:30]
	v_add_f64 v[20:21], v[20:21], -v[33:34]
	s_delay_alu instid0(VALU_DEP_2) | instskip(NEXT) | instid1(VALU_DEP_2)
	v_cvt_f64_i32_e32 v[27:28], v29
	v_add_f64 v[6:7], v[6:7], v[20:21]
	s_delay_alu instid0(VALU_DEP_2) | instskip(NEXT) | instid1(VALU_DEP_2)
	v_add_f64 v[12:13], v[12:13], -v[27:28]
	v_add_f64 v[6:7], v[8:9], v[6:7]
	s_delay_alu instid0(VALU_DEP_2) | instskip(NEXT) | instid1(VALU_DEP_2)
	v_add_f64 v[8:9], v[16:17], v[12:13]
	v_add_f64 v[4:5], v[4:5], v[6:7]
	s_delay_alu instid0(VALU_DEP_2) | instskip(SKIP_1) | instid1(VALU_DEP_3)
	v_add_f64 v[6:7], v[8:9], -v[12:13]
	v_cmp_le_f64_e32 vcc_lo, 0.5, v[8:9]
	v_add_f64 v[4:5], v[10:11], v[4:5]
	s_delay_alu instid0(VALU_DEP_3) | instskip(SKIP_2) | instid1(VALU_DEP_3)
	v_add_f64 v[6:7], v[16:17], -v[6:7]
	v_cndmask_b32_e64 v27, 0, 0x3ff00000, vcc_lo
	v_add_co_ci_u32_e64 v12, s0, 0, v29, vcc_lo
	v_add_f64 v[4:5], v[4:5], v[6:7]
	s_delay_alu instid0(VALU_DEP_3) | instskip(NEXT) | instid1(VALU_DEP_1)
	v_add_f64 v[6:7], v[8:9], -v[26:27]
	v_add_f64 v[8:9], v[6:7], v[4:5]
	s_delay_alu instid0(VALU_DEP_1) | instskip(SKIP_1) | instid1(VALU_DEP_2)
	v_mul_f64 v[10:11], v[8:9], s[8:9]
	v_add_f64 v[6:7], v[8:9], -v[6:7]
	v_fma_f64 v[13:14], v[8:9], s[8:9], -v[10:11]
	s_delay_alu instid0(VALU_DEP_2) | instskip(NEXT) | instid1(VALU_DEP_2)
	v_add_f64 v[4:5], v[4:5], -v[6:7]
	v_fma_f64 v[6:7], v[8:9], s[10:11], v[13:14]
	s_delay_alu instid0(VALU_DEP_1) | instskip(NEXT) | instid1(VALU_DEP_1)
	v_fma_f64 v[6:7], v[4:5], s[8:9], v[6:7]
	v_add_f64 v[4:5], v[10:11], v[6:7]
	s_delay_alu instid0(VALU_DEP_1) | instskip(NEXT) | instid1(VALU_DEP_1)
	v_add_f64 v[8:9], v[4:5], -v[10:11]
	v_add_f64 v[6:7], v[6:7], -v[8:9]
	s_and_not1_saveexec_b32 s0, s3
	s_cbranch_execz .LBB80_45
	s_branch .LBB80_44
.LBB80_43:
	s_and_not1_saveexec_b32 s0, s3
	s_cbranch_execz .LBB80_45
.LBB80_44:
	s_mov_b32 s8, 0x6dc9c883
	s_mov_b32 s9, 0x3fe45f30
	;; [unrolled: 1-line block ×3, first 2 shown]
	v_mul_f64 v[4:5], |v[2:3]|, s[8:9]
	s_mov_b32 s8, 0x54442d18
	s_mov_b32 s9, 0xbff921fb
	;; [unrolled: 1-line block ×3, first 2 shown]
	s_delay_alu instid0(VALU_DEP_1) | instskip(NEXT) | instid1(VALU_DEP_1)
	v_rndne_f64_e32 v[8:9], v[4:5]
	v_fma_f64 v[4:5], v[8:9], s[8:9], |v[2:3]|
	v_mul_f64 v[6:7], v[8:9], s[10:11]
	s_mov_b32 s8, 0x252049c0
	s_mov_b32 s9, 0xb97b839a
	s_delay_alu instid0(VALU_DEP_2) | instskip(NEXT) | instid1(VALU_DEP_2)
	v_fma_f64 v[12:13], v[8:9], s[10:11], v[4:5]
	v_add_f64 v[10:11], v[4:5], v[6:7]
	s_mov_b32 s11, 0x3c91a626
	s_delay_alu instid0(VALU_DEP_1) | instskip(NEXT) | instid1(VALU_DEP_3)
	v_add_f64 v[4:5], v[4:5], -v[10:11]
	v_add_f64 v[10:11], v[10:11], -v[12:13]
	s_delay_alu instid0(VALU_DEP_2) | instskip(SKIP_1) | instid1(VALU_DEP_2)
	v_add_f64 v[4:5], v[4:5], v[6:7]
	v_fma_f64 v[6:7], v[8:9], s[10:11], v[6:7]
	v_add_f64 v[4:5], v[10:11], v[4:5]
	s_delay_alu instid0(VALU_DEP_1) | instskip(NEXT) | instid1(VALU_DEP_1)
	v_add_f64 v[4:5], v[4:5], -v[6:7]
	v_fma_f64 v[6:7], v[8:9], s[8:9], v[4:5]
	s_delay_alu instid0(VALU_DEP_1) | instskip(NEXT) | instid1(VALU_DEP_1)
	v_add_f64 v[4:5], v[12:13], v[6:7]
	v_add_f64 v[10:11], v[4:5], -v[12:13]
	v_cvt_i32_f64_e32 v12, v[8:9]
	s_delay_alu instid0(VALU_DEP_2)
	v_add_f64 v[6:7], v[6:7], -v[10:11]
.LBB80_45:
	s_or_b32 exec_lo, exec_lo, s0
                                        ; implicit-def: $vgpr13
                                        ; implicit-def: $vgpr8_vgpr9
                                        ; implicit-def: $vgpr10_vgpr11
	s_and_saveexec_b32 s0, s1
	s_delay_alu instid0(SALU_CYCLE_1)
	s_xor_b32 s1, exec_lo, s0
	s_cbranch_execz .LBB80_47
; %bb.46:
	v_ldexp_f64 v[8:9], |v[2:3]|, 0xffffff80
	v_cmp_le_f64_e64 vcc_lo, 0x7b000000, |v[2:3]|
	v_trig_preop_f64 v[10:11], |v[2:3]|, 0
	v_and_b32_e32 v13, 0x7fffffff, v3
	v_trig_preop_f64 v[23:24], |v[2:3]|, 2
	v_mov_b32_e32 v31, 0
	s_mov_b32 s8, 0x54442d18
	s_mov_b32 s9, 0x3ff921fb
	;; [unrolled: 1-line block ×4, first 2 shown]
	v_dual_cndmask_b32 v8, v2, v8 :: v_dual_cndmask_b32 v9, v13, v9
	v_trig_preop_f64 v[13:14], |v[2:3]|, 1
	s_delay_alu instid0(VALU_DEP_2) | instskip(NEXT) | instid1(VALU_DEP_2)
	v_mul_f64 v[15:16], v[10:11], v[8:9]
	v_mul_f64 v[17:18], v[13:14], v[8:9]
	s_delay_alu instid0(VALU_DEP_2) | instskip(NEXT) | instid1(VALU_DEP_2)
	v_fma_f64 v[10:11], v[10:11], v[8:9], -v[15:16]
	v_fma_f64 v[13:14], v[13:14], v[8:9], -v[17:18]
	s_delay_alu instid0(VALU_DEP_2) | instskip(NEXT) | instid1(VALU_DEP_1)
	v_add_f64 v[19:20], v[17:18], v[10:11]
	v_add_f64 v[21:22], v[19:20], -v[17:18]
	v_add_f64 v[27:28], v[15:16], v[19:20]
	s_delay_alu instid0(VALU_DEP_2) | instskip(SKIP_1) | instid1(VALU_DEP_3)
	v_add_f64 v[25:26], v[19:20], -v[21:22]
	v_add_f64 v[10:11], v[10:11], -v[21:22]
	v_ldexp_f64 v[21:22], v[27:28], -2
	v_add_f64 v[15:16], v[27:28], -v[15:16]
	s_delay_alu instid0(VALU_DEP_4) | instskip(NEXT) | instid1(VALU_DEP_3)
	v_add_f64 v[17:18], v[17:18], -v[25:26]
	v_cmp_neq_f64_e64 vcc_lo, 0x7ff00000, |v[21:22]|
	s_delay_alu instid0(VALU_DEP_3) | instskip(NEXT) | instid1(VALU_DEP_3)
	v_add_f64 v[15:16], v[19:20], -v[15:16]
	v_add_f64 v[10:11], v[10:11], v[17:18]
	v_fract_f64_e32 v[17:18], v[21:22]
	s_delay_alu instid0(VALU_DEP_1) | instskip(SKIP_1) | instid1(VALU_DEP_3)
	v_cndmask_b32_e32 v18, 0, v18, vcc_lo
	v_mul_f64 v[29:30], v[23:24], v[8:9]
	v_cndmask_b32_e32 v17, 0, v17, vcc_lo
	s_delay_alu instid0(VALU_DEP_1) | instskip(NEXT) | instid1(VALU_DEP_3)
	v_ldexp_f64 v[17:18], v[17:18], 2
	v_add_f64 v[25:26], v[29:30], v[13:14]
	v_fma_f64 v[8:9], v[23:24], v[8:9], -v[29:30]
	s_delay_alu instid0(VALU_DEP_2) | instskip(NEXT) | instid1(VALU_DEP_1)
	v_add_f64 v[19:20], v[25:26], v[10:11]
	v_add_f64 v[21:22], v[15:16], v[19:20]
	s_delay_alu instid0(VALU_DEP_1) | instskip(SKIP_1) | instid1(VALU_DEP_2)
	v_add_f64 v[27:28], v[21:22], v[17:18]
	v_add_f64 v[15:16], v[21:22], -v[15:16]
	v_cmp_gt_f64_e32 vcc_lo, 0, v[27:28]
	v_add_f64 v[27:28], v[25:26], -v[29:30]
	v_cndmask_b32_e64 v32, 0, 0x40100000, vcc_lo
	s_delay_alu instid0(VALU_DEP_2) | instskip(SKIP_1) | instid1(VALU_DEP_3)
	v_add_f64 v[36:37], v[25:26], -v[27:28]
	v_add_f64 v[13:14], v[13:14], -v[27:28]
	v_add_f64 v[17:18], v[17:18], v[31:32]
	v_add_f64 v[32:33], v[19:20], -v[25:26]
	s_delay_alu instid0(VALU_DEP_4) | instskip(NEXT) | instid1(VALU_DEP_3)
	v_add_f64 v[27:28], v[29:30], -v[36:37]
	v_add_f64 v[34:35], v[21:22], v[17:18]
	s_delay_alu instid0(VALU_DEP_3) | instskip(SKIP_1) | instid1(VALU_DEP_4)
	v_add_f64 v[38:39], v[19:20], -v[32:33]
	v_add_f64 v[10:11], v[10:11], -v[32:33]
	v_add_f64 v[13:14], v[13:14], v[27:28]
	s_delay_alu instid0(VALU_DEP_4) | instskip(NEXT) | instid1(VALU_DEP_4)
	v_cvt_i32_f64_e32 v34, v[34:35]
	v_add_f64 v[25:26], v[25:26], -v[38:39]
	s_delay_alu instid0(VALU_DEP_2) | instskip(NEXT) | instid1(VALU_DEP_2)
	v_cvt_f64_i32_e32 v[32:33], v34
	v_add_f64 v[10:11], v[10:11], v[25:26]
	s_delay_alu instid0(VALU_DEP_2) | instskip(NEXT) | instid1(VALU_DEP_2)
	v_add_f64 v[17:18], v[17:18], -v[32:33]
	v_add_f64 v[10:11], v[13:14], v[10:11]
	v_add_f64 v[13:14], v[19:20], -v[15:16]
	s_delay_alu instid0(VALU_DEP_3) | instskip(NEXT) | instid1(VALU_DEP_3)
	v_add_f64 v[23:24], v[21:22], v[17:18]
	v_add_f64 v[8:9], v[8:9], v[10:11]
	s_delay_alu instid0(VALU_DEP_2) | instskip(SKIP_1) | instid1(VALU_DEP_3)
	v_add_f64 v[10:11], v[23:24], -v[17:18]
	v_cmp_le_f64_e32 vcc_lo, 0.5, v[23:24]
	v_add_f64 v[8:9], v[13:14], v[8:9]
	s_delay_alu instid0(VALU_DEP_3) | instskip(SKIP_2) | instid1(VALU_DEP_3)
	v_add_f64 v[10:11], v[21:22], -v[10:11]
	v_cndmask_b32_e64 v32, 0, 0x3ff00000, vcc_lo
	v_add_co_ci_u32_e64 v13, s0, 0, v34, vcc_lo
	v_add_f64 v[8:9], v[8:9], v[10:11]
	s_delay_alu instid0(VALU_DEP_3) | instskip(NEXT) | instid1(VALU_DEP_1)
	v_add_f64 v[10:11], v[23:24], -v[31:32]
	v_add_f64 v[14:15], v[10:11], v[8:9]
	s_delay_alu instid0(VALU_DEP_1) | instskip(SKIP_1) | instid1(VALU_DEP_2)
	v_mul_f64 v[16:17], v[14:15], s[8:9]
	v_add_f64 v[10:11], v[14:15], -v[10:11]
	v_fma_f64 v[18:19], v[14:15], s[8:9], -v[16:17]
	s_delay_alu instid0(VALU_DEP_2) | instskip(NEXT) | instid1(VALU_DEP_2)
	v_add_f64 v[8:9], v[8:9], -v[10:11]
	v_fma_f64 v[10:11], v[14:15], s[10:11], v[18:19]
	s_delay_alu instid0(VALU_DEP_1) | instskip(NEXT) | instid1(VALU_DEP_1)
	v_fma_f64 v[10:11], v[8:9], s[8:9], v[10:11]
	v_add_f64 v[8:9], v[16:17], v[10:11]
	s_delay_alu instid0(VALU_DEP_1) | instskip(NEXT) | instid1(VALU_DEP_1)
	v_add_f64 v[14:15], v[8:9], -v[16:17]
	v_add_f64 v[10:11], v[10:11], -v[14:15]
	s_and_not1_saveexec_b32 s0, s1
	s_cbranch_execnz .LBB80_48
	s_branch .LBB80_49
.LBB80_47:
	s_and_not1_saveexec_b32 s0, s1
	s_cbranch_execz .LBB80_49
.LBB80_48:
	s_mov_b32 s8, 0x6dc9c883
	s_mov_b32 s9, 0x3fe45f30
	;; [unrolled: 1-line block ×3, first 2 shown]
	v_mul_f64 v[8:9], |v[2:3]|, s[8:9]
	s_mov_b32 s8, 0x54442d18
	s_mov_b32 s9, 0xbff921fb
	;; [unrolled: 1-line block ×3, first 2 shown]
	s_delay_alu instid0(VALU_DEP_1) | instskip(NEXT) | instid1(VALU_DEP_1)
	v_rndne_f64_e32 v[13:14], v[8:9]
	v_fma_f64 v[8:9], v[13:14], s[8:9], |v[2:3]|
	v_mul_f64 v[10:11], v[13:14], s[10:11]
	s_mov_b32 s8, 0x252049c0
	s_mov_b32 s9, 0xb97b839a
	s_delay_alu instid0(VALU_DEP_2) | instskip(NEXT) | instid1(VALU_DEP_2)
	v_fma_f64 v[17:18], v[13:14], s[10:11], v[8:9]
	v_add_f64 v[15:16], v[8:9], v[10:11]
	s_mov_b32 s11, 0x3c91a626
	s_delay_alu instid0(VALU_DEP_1) | instskip(NEXT) | instid1(VALU_DEP_3)
	v_add_f64 v[8:9], v[8:9], -v[15:16]
	v_add_f64 v[15:16], v[15:16], -v[17:18]
	s_delay_alu instid0(VALU_DEP_2) | instskip(SKIP_1) | instid1(VALU_DEP_2)
	v_add_f64 v[8:9], v[8:9], v[10:11]
	v_fma_f64 v[10:11], v[13:14], s[10:11], v[10:11]
	v_add_f64 v[8:9], v[15:16], v[8:9]
	s_delay_alu instid0(VALU_DEP_1) | instskip(NEXT) | instid1(VALU_DEP_1)
	v_add_f64 v[8:9], v[8:9], -v[10:11]
	v_fma_f64 v[10:11], v[13:14], s[8:9], v[8:9]
	v_cvt_i32_f64_e32 v13, v[13:14]
	s_delay_alu instid0(VALU_DEP_2) | instskip(NEXT) | instid1(VALU_DEP_1)
	v_add_f64 v[8:9], v[17:18], v[10:11]
	v_add_f64 v[15:16], v[8:9], -v[17:18]
	s_delay_alu instid0(VALU_DEP_1)
	v_add_f64 v[10:11], v[10:11], -v[15:16]
.LBB80_49:
	s_or_b32 exec_lo, exec_lo, s0
	v_mul_f64 v[14:15], v[4:5], v[4:5]
	v_mul_f64 v[16:17], v[8:9], v[8:9]
	s_mov_b32 s0, 0xb42fdfa7
	s_mov_b32 s8, 0xf9a43bb8
	;; [unrolled: 1-line block ×6, first 2 shown]
	s_delay_alu instid0(VALU_DEP_3) | instskip(NEXT) | instid1(VALU_DEP_4)
	v_mul_f64 v[34:35], v[6:7], 0.5
	v_mul_f64 v[48:49], v[10:11], 0.5
	v_ldexp_f64 v[0:1], v[0:1], 0x3ff
	v_fma_f64 v[18:19], v[14:15], s[8:9], s[0:1]
	v_fma_f64 v[20:21], v[16:17], s[8:9], s[0:1]
	v_mul_f64 v[24:25], v[14:15], 0.5
	s_mov_b32 s0, 0x9037ab78
	s_mov_b32 s8, 0x46cc5e42
	;; [unrolled: 1-line block ×4, first 2 shown]
	v_mul_f64 v[26:27], v[16:17], 0.5
	v_fma_f64 v[22:23], v[14:15], s[8:9], s[0:1]
	v_fma_f64 v[28:29], v[16:17], s[8:9], s[0:1]
	s_mov_b32 s8, 0x19e83e5c
	s_mov_b32 s9, 0xbf2a01a0
	s_mov_b32 s0, 0xa17f65f6
	s_mov_b32 s1, 0xbe927e4f
	v_mul_f64 v[36:37], v[4:5], -v[14:15]
	v_mul_f64 v[50:51], v[8:9], -v[16:17]
	v_fma_f64 v[18:19], v[14:15], v[18:19], s[10:11]
	v_fma_f64 v[20:21], v[16:17], v[20:21], s[10:11]
	v_add_f64 v[30:31], -v[24:25], 1.0
	v_add_f64 v[32:33], -v[26:27], 1.0
	v_fma_f64 v[22:23], v[14:15], v[22:23], s[0:1]
	v_fma_f64 v[28:29], v[16:17], v[28:29], s[0:1]
	s_mov_b32 s0, 0x19f4ec90
	s_mov_b32 s1, 0x3efa01a0
	v_fma_f64 v[18:19], v[14:15], v[18:19], s[8:9]
	v_fma_f64 v[20:21], v[16:17], v[20:21], s[8:9]
	s_mov_b32 s8, 0x11110bb3
	s_mov_b32 s9, 0x3f811111
	v_add_f64 v[38:39], -v[30:31], 1.0
	v_add_f64 v[52:53], -v[32:33], 1.0
	v_fma_f64 v[22:23], v[14:15], v[22:23], s[0:1]
	v_fma_f64 v[28:29], v[16:17], v[28:29], s[0:1]
	s_mov_b32 s0, 0x16c16967
	s_mov_b32 s1, 0xbf56c16c
	v_fma_f64 v[18:19], v[14:15], v[18:19], s[8:9]
	v_fma_f64 v[20:21], v[16:17], v[20:21], s[8:9]
	v_add_f64 v[24:25], v[38:39], -v[24:25]
	v_add_f64 v[26:27], v[52:53], -v[26:27]
	v_fma_f64 v[22:23], v[14:15], v[22:23], s[0:1]
	v_fma_f64 v[28:29], v[16:17], v[28:29], s[0:1]
	s_mov_b32 s0, 0x55555555
	s_mov_b32 s1, 0x3fa55555
	v_fma_f64 v[18:19], v[36:37], v[18:19], v[34:35]
	v_fma_f64 v[20:21], v[50:51], v[20:21], v[48:49]
	v_mul_f64 v[34:35], v[14:15], v[14:15]
	v_fma_f64 v[24:25], v[4:5], -v[6:7], v[24:25]
	v_fma_f64 v[26:27], v[8:9], -v[10:11], v[26:27]
	v_fma_f64 v[22:23], v[14:15], v[22:23], s[0:1]
	v_fma_f64 v[6:7], v[14:15], v[18:19], -v[6:7]
	v_mul_f64 v[14:15], v[16:17], v[16:17]
	v_fma_f64 v[18:19], v[16:17], v[28:29], s[0:1]
	v_fma_f64 v[10:11], v[16:17], v[20:21], -v[10:11]
	s_mov_b32 s1, 0xbfc55555
	v_fma_f64 v[16:17], v[34:35], v[22:23], v[24:25]
	v_fma_f64 v[6:7], v[36:37], s[0:1], v[6:7]
	s_delay_alu instid0(VALU_DEP_4) | instskip(NEXT) | instid1(VALU_DEP_4)
	v_fma_f64 v[14:15], v[14:15], v[18:19], v[26:27]
	v_fma_f64 v[10:11], v[50:51], s[0:1], v[10:11]
	v_cmp_class_f64_e64 s0, v[2:3], 0x1f8
	v_lshlrev_b32_e32 v2, 30, v13
	v_and_b32_e32 v13, 1, v13
	v_add_f64 v[16:17], v[30:31], v[16:17]
	s_delay_alu instid0(VALU_DEP_3) | instskip(NEXT) | instid1(VALU_DEP_3)
	v_xor_b32_e32 v2, v2, v3
	v_cmp_eq_u32_e64 s1, 0, v13
	s_delay_alu instid0(VALU_DEP_2) | instskip(SKIP_3) | instid1(VALU_DEP_3)
	v_and_b32_e32 v2, 0x80000000, v2
	v_add_f64 v[4:5], v[4:5], -v[6:7]
	v_add_f64 v[6:7], v[32:33], v[14:15]
	v_add_f64 v[8:9], v[8:9], -v[10:11]
	v_xor_b32_e32 v3, 0x80000000, v5
	v_and_b32_e32 v10, 1, v12
	v_lshlrev_b32_e32 v12, 30, v12
	s_delay_alu instid0(VALU_DEP_4) | instskip(SKIP_1) | instid1(VALU_DEP_4)
	v_cndmask_b32_e64 v7, v7, v9, s1
	v_cndmask_b32_e64 v6, v6, v8, s1
	v_cmp_eq_u32_e32 vcc_lo, 0, v10
	v_mul_f64 v[10:11], v[0:1], v[0:1]
	v_and_b32_e32 v5, 0x80000000, v12
	s_delay_alu instid0(VALU_DEP_4) | instskip(SKIP_1) | instid1(VALU_DEP_1)
	v_cndmask_b32_e64 v6, 0, v6, s0
	v_dual_cndmask_b32 v3, v3, v17 :: v_dual_cndmask_b32 v4, v4, v16
	v_xor_b32_e32 v3, v3, v5
	v_xor_b32_e32 v5, v7, v2
	s_delay_alu instid0(VALU_DEP_3) | instskip(NEXT) | instid1(VALU_DEP_3)
	v_cndmask_b32_e64 v2, 0, v4, s0
	v_cndmask_b32_e64 v3, 0x7ff80000, v3, s0
	s_delay_alu instid0(VALU_DEP_3) | instskip(NEXT) | instid1(VALU_DEP_1)
	v_cndmask_b32_e64 v7, 0x7ff80000, v5, s0
	v_mul_f64 v[6:7], v[0:1], v[6:7]
                                        ; implicit-def: $vgpr0_vgpr1
	s_delay_alu instid0(VALU_DEP_3)
	v_mul_f64 v[4:5], v[10:11], v[2:3]
                                        ; implicit-def: $vgpr2_vgpr3
.LBB80_50:
	s_and_not1_saveexec_b32 s8, s2
	s_cbranch_execz .LBB80_60
; %bb.51:
	v_cmp_ngt_f64_e64 s1, 0x41d00000, |v[2:3]|
                                        ; implicit-def: $vgpr12
                                        ; implicit-def: $vgpr4_vgpr5
                                        ; implicit-def: $vgpr6_vgpr7
	s_delay_alu instid0(VALU_DEP_1) | instskip(NEXT) | instid1(SALU_CYCLE_1)
	s_and_saveexec_b32 s0, s1
	s_xor_b32 s2, exec_lo, s0
	s_cbranch_execz .LBB80_53
; %bb.52:
	v_ldexp_f64 v[4:5], |v[2:3]|, 0xffffff80
	v_cmp_le_f64_e64 vcc_lo, 0x7b000000, |v[2:3]|
	v_trig_preop_f64 v[6:7], |v[2:3]|, 0
	v_and_b32_e32 v8, 0x7fffffff, v3
	v_trig_preop_f64 v[18:19], |v[2:3]|, 2
	v_mov_b32_e32 v26, 0
	s_mov_b32 s10, 0x54442d18
	s_mov_b32 s11, 0x3ff921fb
	;; [unrolled: 1-line block ×4, first 2 shown]
	v_dual_cndmask_b32 v5, v8, v5 :: v_dual_cndmask_b32 v4, v2, v4
	v_trig_preop_f64 v[8:9], |v[2:3]|, 1
	s_delay_alu instid0(VALU_DEP_2) | instskip(SKIP_1) | instid1(VALU_DEP_3)
	v_mul_f64 v[10:11], v[6:7], v[4:5]
	v_mul_f64 v[24:25], v[18:19], v[4:5]
	v_mul_f64 v[12:13], v[8:9], v[4:5]
	s_delay_alu instid0(VALU_DEP_3) | instskip(NEXT) | instid1(VALU_DEP_2)
	v_fma_f64 v[6:7], v[6:7], v[4:5], -v[10:11]
	v_fma_f64 v[8:9], v[8:9], v[4:5], -v[12:13]
	s_delay_alu instid0(VALU_DEP_4) | instskip(NEXT) | instid1(VALU_DEP_3)
	v_fma_f64 v[4:5], v[18:19], v[4:5], -v[24:25]
	v_add_f64 v[14:15], v[12:13], v[6:7]
	s_delay_alu instid0(VALU_DEP_1) | instskip(SKIP_1) | instid1(VALU_DEP_2)
	v_add_f64 v[16:17], v[14:15], -v[12:13]
	v_add_f64 v[22:23], v[10:11], v[14:15]
	v_add_f64 v[20:21], v[14:15], -v[16:17]
	v_add_f64 v[6:7], v[6:7], -v[16:17]
	s_delay_alu instid0(VALU_DEP_3) | instskip(SKIP_1) | instid1(VALU_DEP_4)
	v_ldexp_f64 v[16:17], v[22:23], -2
	v_add_f64 v[10:11], v[22:23], -v[10:11]
	v_add_f64 v[12:13], v[12:13], -v[20:21]
	v_add_f64 v[20:21], v[24:25], v[8:9]
	s_delay_alu instid0(VALU_DEP_4) | instskip(NEXT) | instid1(VALU_DEP_4)
	v_cmp_neq_f64_e64 vcc_lo, 0x7ff00000, |v[16:17]|
	v_add_f64 v[10:11], v[14:15], -v[10:11]
	s_delay_alu instid0(VALU_DEP_4) | instskip(SKIP_1) | instid1(VALU_DEP_2)
	v_add_f64 v[6:7], v[6:7], v[12:13]
	v_fract_f64_e32 v[12:13], v[16:17]
	v_add_f64 v[14:15], v[20:21], v[6:7]
	s_delay_alu instid0(VALU_DEP_2) | instskip(NEXT) | instid1(VALU_DEP_1)
	v_dual_cndmask_b32 v13, 0, v13 :: v_dual_cndmask_b32 v12, 0, v12
	v_ldexp_f64 v[12:13], v[12:13], 2
	s_delay_alu instid0(VALU_DEP_3) | instskip(NEXT) | instid1(VALU_DEP_1)
	v_add_f64 v[16:17], v[10:11], v[14:15]
	v_add_f64 v[22:23], v[16:17], v[12:13]
	v_add_f64 v[10:11], v[16:17], -v[10:11]
	s_delay_alu instid0(VALU_DEP_2) | instskip(SKIP_1) | instid1(VALU_DEP_3)
	v_cmp_gt_f64_e32 vcc_lo, 0, v[22:23]
	v_add_f64 v[22:23], v[20:21], -v[24:25]
	v_add_f64 v[10:11], v[14:15], -v[10:11]
	v_cndmask_b32_e64 v27, 0, 0x40100000, vcc_lo
	s_delay_alu instid0(VALU_DEP_3) | instskip(SKIP_1) | instid1(VALU_DEP_3)
	v_add_f64 v[31:32], v[20:21], -v[22:23]
	v_add_f64 v[8:9], v[8:9], -v[22:23]
	v_add_f64 v[12:13], v[12:13], v[26:27]
	v_add_f64 v[27:28], v[14:15], -v[20:21]
	s_delay_alu instid0(VALU_DEP_4) | instskip(NEXT) | instid1(VALU_DEP_3)
	v_add_f64 v[22:23], v[24:25], -v[31:32]
	v_add_f64 v[29:30], v[16:17], v[12:13]
	s_delay_alu instid0(VALU_DEP_3) | instskip(SKIP_1) | instid1(VALU_DEP_4)
	v_add_f64 v[33:34], v[14:15], -v[27:28]
	v_add_f64 v[6:7], v[6:7], -v[27:28]
	v_add_f64 v[8:9], v[8:9], v[22:23]
	s_delay_alu instid0(VALU_DEP_4) | instskip(NEXT) | instid1(VALU_DEP_4)
	v_cvt_i32_f64_e32 v29, v[29:30]
	v_add_f64 v[20:21], v[20:21], -v[33:34]
	s_delay_alu instid0(VALU_DEP_2) | instskip(NEXT) | instid1(VALU_DEP_2)
	v_cvt_f64_i32_e32 v[27:28], v29
	v_add_f64 v[6:7], v[6:7], v[20:21]
	s_delay_alu instid0(VALU_DEP_2) | instskip(NEXT) | instid1(VALU_DEP_2)
	v_add_f64 v[12:13], v[12:13], -v[27:28]
	v_add_f64 v[6:7], v[8:9], v[6:7]
	s_delay_alu instid0(VALU_DEP_2) | instskip(NEXT) | instid1(VALU_DEP_2)
	v_add_f64 v[8:9], v[16:17], v[12:13]
	v_add_f64 v[4:5], v[4:5], v[6:7]
	s_delay_alu instid0(VALU_DEP_2) | instskip(SKIP_1) | instid1(VALU_DEP_3)
	v_add_f64 v[6:7], v[8:9], -v[12:13]
	v_cmp_le_f64_e32 vcc_lo, 0.5, v[8:9]
	v_add_f64 v[4:5], v[10:11], v[4:5]
	s_delay_alu instid0(VALU_DEP_3) | instskip(SKIP_2) | instid1(VALU_DEP_3)
	v_add_f64 v[6:7], v[16:17], -v[6:7]
	v_cndmask_b32_e64 v27, 0, 0x3ff00000, vcc_lo
	v_add_co_ci_u32_e64 v12, s0, 0, v29, vcc_lo
	v_add_f64 v[4:5], v[4:5], v[6:7]
	s_delay_alu instid0(VALU_DEP_3) | instskip(NEXT) | instid1(VALU_DEP_1)
	v_add_f64 v[6:7], v[8:9], -v[26:27]
	v_add_f64 v[8:9], v[6:7], v[4:5]
	s_delay_alu instid0(VALU_DEP_1) | instskip(SKIP_1) | instid1(VALU_DEP_2)
	v_mul_f64 v[10:11], v[8:9], s[10:11]
	v_add_f64 v[6:7], v[8:9], -v[6:7]
	v_fma_f64 v[13:14], v[8:9], s[10:11], -v[10:11]
	s_delay_alu instid0(VALU_DEP_2) | instskip(NEXT) | instid1(VALU_DEP_2)
	v_add_f64 v[4:5], v[4:5], -v[6:7]
	v_fma_f64 v[6:7], v[8:9], s[12:13], v[13:14]
	s_delay_alu instid0(VALU_DEP_1) | instskip(NEXT) | instid1(VALU_DEP_1)
	v_fma_f64 v[6:7], v[4:5], s[10:11], v[6:7]
	v_add_f64 v[4:5], v[10:11], v[6:7]
	s_delay_alu instid0(VALU_DEP_1) | instskip(NEXT) | instid1(VALU_DEP_1)
	v_add_f64 v[8:9], v[4:5], -v[10:11]
	v_add_f64 v[6:7], v[6:7], -v[8:9]
	s_and_not1_saveexec_b32 s0, s2
	s_cbranch_execz .LBB80_55
	s_branch .LBB80_54
.LBB80_53:
	s_and_not1_saveexec_b32 s0, s2
	s_cbranch_execz .LBB80_55
.LBB80_54:
	s_mov_b32 s2, 0x6dc9c883
	s_mov_b32 s3, 0x3fe45f30
	;; [unrolled: 1-line block ×3, first 2 shown]
	v_mul_f64 v[4:5], |v[2:3]|, s[2:3]
	s_mov_b32 s2, 0x54442d18
	s_mov_b32 s3, 0xbff921fb
	;; [unrolled: 1-line block ×3, first 2 shown]
	s_delay_alu instid0(VALU_DEP_1) | instskip(NEXT) | instid1(VALU_DEP_1)
	v_rndne_f64_e32 v[8:9], v[4:5]
	v_fma_f64 v[4:5], v[8:9], s[2:3], |v[2:3]|
	v_mul_f64 v[6:7], v[8:9], s[10:11]
	s_mov_b32 s2, 0x252049c0
	s_mov_b32 s3, 0xb97b839a
	s_delay_alu instid0(VALU_DEP_2) | instskip(NEXT) | instid1(VALU_DEP_2)
	v_fma_f64 v[12:13], v[8:9], s[10:11], v[4:5]
	v_add_f64 v[10:11], v[4:5], v[6:7]
	s_mov_b32 s11, 0x3c91a626
	s_delay_alu instid0(VALU_DEP_1) | instskip(NEXT) | instid1(VALU_DEP_3)
	v_add_f64 v[4:5], v[4:5], -v[10:11]
	v_add_f64 v[10:11], v[10:11], -v[12:13]
	s_delay_alu instid0(VALU_DEP_2) | instskip(SKIP_1) | instid1(VALU_DEP_2)
	v_add_f64 v[4:5], v[4:5], v[6:7]
	v_fma_f64 v[6:7], v[8:9], s[10:11], v[6:7]
	v_add_f64 v[4:5], v[10:11], v[4:5]
	s_delay_alu instid0(VALU_DEP_1) | instskip(NEXT) | instid1(VALU_DEP_1)
	v_add_f64 v[4:5], v[4:5], -v[6:7]
	v_fma_f64 v[6:7], v[8:9], s[2:3], v[4:5]
	s_delay_alu instid0(VALU_DEP_1) | instskip(NEXT) | instid1(VALU_DEP_1)
	v_add_f64 v[4:5], v[12:13], v[6:7]
	v_add_f64 v[10:11], v[4:5], -v[12:13]
	v_cvt_i32_f64_e32 v12, v[8:9]
	s_delay_alu instid0(VALU_DEP_2)
	v_add_f64 v[6:7], v[6:7], -v[10:11]
.LBB80_55:
	s_or_b32 exec_lo, exec_lo, s0
                                        ; implicit-def: $vgpr13
                                        ; implicit-def: $vgpr8_vgpr9
                                        ; implicit-def: $vgpr10_vgpr11
	s_and_saveexec_b32 s0, s1
	s_delay_alu instid0(SALU_CYCLE_1)
	s_xor_b32 s1, exec_lo, s0
	s_cbranch_execz .LBB80_57
; %bb.56:
	v_ldexp_f64 v[8:9], |v[2:3]|, 0xffffff80
	v_cmp_le_f64_e64 vcc_lo, 0x7b000000, |v[2:3]|
	v_trig_preop_f64 v[10:11], |v[2:3]|, 0
	v_and_b32_e32 v13, 0x7fffffff, v3
	v_trig_preop_f64 v[23:24], |v[2:3]|, 2
	v_mov_b32_e32 v31, 0
	s_mov_b32 s2, 0x54442d18
	s_mov_b32 s3, 0x3ff921fb
	;; [unrolled: 1-line block ×4, first 2 shown]
	v_dual_cndmask_b32 v8, v2, v8 :: v_dual_cndmask_b32 v9, v13, v9
	v_trig_preop_f64 v[13:14], |v[2:3]|, 1
	s_delay_alu instid0(VALU_DEP_2) | instskip(NEXT) | instid1(VALU_DEP_2)
	v_mul_f64 v[15:16], v[10:11], v[8:9]
	v_mul_f64 v[17:18], v[13:14], v[8:9]
	s_delay_alu instid0(VALU_DEP_2) | instskip(NEXT) | instid1(VALU_DEP_2)
	v_fma_f64 v[10:11], v[10:11], v[8:9], -v[15:16]
	v_fma_f64 v[13:14], v[13:14], v[8:9], -v[17:18]
	s_delay_alu instid0(VALU_DEP_2) | instskip(NEXT) | instid1(VALU_DEP_1)
	v_add_f64 v[19:20], v[17:18], v[10:11]
	v_add_f64 v[21:22], v[19:20], -v[17:18]
	v_add_f64 v[27:28], v[15:16], v[19:20]
	s_delay_alu instid0(VALU_DEP_2) | instskip(SKIP_1) | instid1(VALU_DEP_3)
	v_add_f64 v[25:26], v[19:20], -v[21:22]
	v_add_f64 v[10:11], v[10:11], -v[21:22]
	v_ldexp_f64 v[21:22], v[27:28], -2
	v_add_f64 v[15:16], v[27:28], -v[15:16]
	s_delay_alu instid0(VALU_DEP_4) | instskip(NEXT) | instid1(VALU_DEP_3)
	v_add_f64 v[17:18], v[17:18], -v[25:26]
	v_cmp_neq_f64_e64 vcc_lo, 0x7ff00000, |v[21:22]|
	s_delay_alu instid0(VALU_DEP_3) | instskip(NEXT) | instid1(VALU_DEP_3)
	v_add_f64 v[15:16], v[19:20], -v[15:16]
	v_add_f64 v[10:11], v[10:11], v[17:18]
	v_fract_f64_e32 v[17:18], v[21:22]
	s_delay_alu instid0(VALU_DEP_1) | instskip(SKIP_1) | instid1(VALU_DEP_3)
	v_cndmask_b32_e32 v18, 0, v18, vcc_lo
	v_mul_f64 v[29:30], v[23:24], v[8:9]
	v_cndmask_b32_e32 v17, 0, v17, vcc_lo
	s_delay_alu instid0(VALU_DEP_1) | instskip(NEXT) | instid1(VALU_DEP_3)
	v_ldexp_f64 v[17:18], v[17:18], 2
	v_add_f64 v[25:26], v[29:30], v[13:14]
	v_fma_f64 v[8:9], v[23:24], v[8:9], -v[29:30]
	s_delay_alu instid0(VALU_DEP_2) | instskip(NEXT) | instid1(VALU_DEP_1)
	v_add_f64 v[19:20], v[25:26], v[10:11]
	v_add_f64 v[21:22], v[15:16], v[19:20]
	s_delay_alu instid0(VALU_DEP_1) | instskip(SKIP_1) | instid1(VALU_DEP_2)
	v_add_f64 v[27:28], v[21:22], v[17:18]
	v_add_f64 v[15:16], v[21:22], -v[15:16]
	v_cmp_gt_f64_e32 vcc_lo, 0, v[27:28]
	v_add_f64 v[27:28], v[25:26], -v[29:30]
	v_cndmask_b32_e64 v32, 0, 0x40100000, vcc_lo
	s_delay_alu instid0(VALU_DEP_2) | instskip(SKIP_1) | instid1(VALU_DEP_3)
	v_add_f64 v[36:37], v[25:26], -v[27:28]
	v_add_f64 v[13:14], v[13:14], -v[27:28]
	v_add_f64 v[17:18], v[17:18], v[31:32]
	v_add_f64 v[32:33], v[19:20], -v[25:26]
	s_delay_alu instid0(VALU_DEP_4) | instskip(NEXT) | instid1(VALU_DEP_3)
	v_add_f64 v[27:28], v[29:30], -v[36:37]
	v_add_f64 v[34:35], v[21:22], v[17:18]
	s_delay_alu instid0(VALU_DEP_3) | instskip(SKIP_1) | instid1(VALU_DEP_4)
	v_add_f64 v[38:39], v[19:20], -v[32:33]
	v_add_f64 v[10:11], v[10:11], -v[32:33]
	v_add_f64 v[13:14], v[13:14], v[27:28]
	s_delay_alu instid0(VALU_DEP_4) | instskip(NEXT) | instid1(VALU_DEP_4)
	v_cvt_i32_f64_e32 v34, v[34:35]
	v_add_f64 v[25:26], v[25:26], -v[38:39]
	s_delay_alu instid0(VALU_DEP_2) | instskip(NEXT) | instid1(VALU_DEP_2)
	v_cvt_f64_i32_e32 v[32:33], v34
	v_add_f64 v[10:11], v[10:11], v[25:26]
	s_delay_alu instid0(VALU_DEP_2) | instskip(NEXT) | instid1(VALU_DEP_2)
	v_add_f64 v[17:18], v[17:18], -v[32:33]
	v_add_f64 v[10:11], v[13:14], v[10:11]
	v_add_f64 v[13:14], v[19:20], -v[15:16]
	s_delay_alu instid0(VALU_DEP_3) | instskip(NEXT) | instid1(VALU_DEP_3)
	v_add_f64 v[23:24], v[21:22], v[17:18]
	v_add_f64 v[8:9], v[8:9], v[10:11]
	s_delay_alu instid0(VALU_DEP_2) | instskip(SKIP_1) | instid1(VALU_DEP_3)
	v_add_f64 v[10:11], v[23:24], -v[17:18]
	v_cmp_le_f64_e32 vcc_lo, 0.5, v[23:24]
	v_add_f64 v[8:9], v[13:14], v[8:9]
	s_delay_alu instid0(VALU_DEP_3) | instskip(SKIP_2) | instid1(VALU_DEP_3)
	v_add_f64 v[10:11], v[21:22], -v[10:11]
	v_cndmask_b32_e64 v32, 0, 0x3ff00000, vcc_lo
	v_add_co_ci_u32_e64 v13, s0, 0, v34, vcc_lo
	v_add_f64 v[8:9], v[8:9], v[10:11]
	s_delay_alu instid0(VALU_DEP_3) | instskip(NEXT) | instid1(VALU_DEP_1)
	v_add_f64 v[10:11], v[23:24], -v[31:32]
	v_add_f64 v[14:15], v[10:11], v[8:9]
	s_delay_alu instid0(VALU_DEP_1) | instskip(SKIP_1) | instid1(VALU_DEP_2)
	v_mul_f64 v[16:17], v[14:15], s[2:3]
	v_add_f64 v[10:11], v[14:15], -v[10:11]
	v_fma_f64 v[18:19], v[14:15], s[2:3], -v[16:17]
	s_delay_alu instid0(VALU_DEP_2) | instskip(NEXT) | instid1(VALU_DEP_2)
	v_add_f64 v[8:9], v[8:9], -v[10:11]
	v_fma_f64 v[10:11], v[14:15], s[10:11], v[18:19]
	s_delay_alu instid0(VALU_DEP_1) | instskip(NEXT) | instid1(VALU_DEP_1)
	v_fma_f64 v[10:11], v[8:9], s[2:3], v[10:11]
	v_add_f64 v[8:9], v[16:17], v[10:11]
	s_delay_alu instid0(VALU_DEP_1) | instskip(NEXT) | instid1(VALU_DEP_1)
	v_add_f64 v[14:15], v[8:9], -v[16:17]
	v_add_f64 v[10:11], v[10:11], -v[14:15]
	s_and_not1_saveexec_b32 s0, s1
	s_cbranch_execnz .LBB80_58
	s_branch .LBB80_59
.LBB80_57:
	s_and_not1_saveexec_b32 s0, s1
	s_cbranch_execz .LBB80_59
.LBB80_58:
	s_mov_b32 s2, 0x6dc9c883
	s_mov_b32 s3, 0x3fe45f30
	;; [unrolled: 1-line block ×3, first 2 shown]
	v_mul_f64 v[8:9], |v[2:3]|, s[2:3]
	s_mov_b32 s2, 0x54442d18
	s_mov_b32 s3, 0xbff921fb
	;; [unrolled: 1-line block ×3, first 2 shown]
	s_delay_alu instid0(VALU_DEP_1) | instskip(NEXT) | instid1(VALU_DEP_1)
	v_rndne_f64_e32 v[13:14], v[8:9]
	v_fma_f64 v[8:9], v[13:14], s[2:3], |v[2:3]|
	v_mul_f64 v[10:11], v[13:14], s[10:11]
	s_mov_b32 s2, 0x252049c0
	s_mov_b32 s3, 0xb97b839a
	s_delay_alu instid0(VALU_DEP_2) | instskip(NEXT) | instid1(VALU_DEP_2)
	v_fma_f64 v[17:18], v[13:14], s[10:11], v[8:9]
	v_add_f64 v[15:16], v[8:9], v[10:11]
	s_mov_b32 s11, 0x3c91a626
	s_delay_alu instid0(VALU_DEP_1) | instskip(NEXT) | instid1(VALU_DEP_3)
	v_add_f64 v[8:9], v[8:9], -v[15:16]
	v_add_f64 v[15:16], v[15:16], -v[17:18]
	s_delay_alu instid0(VALU_DEP_2) | instskip(SKIP_1) | instid1(VALU_DEP_2)
	v_add_f64 v[8:9], v[8:9], v[10:11]
	v_fma_f64 v[10:11], v[13:14], s[10:11], v[10:11]
	v_add_f64 v[8:9], v[15:16], v[8:9]
	s_delay_alu instid0(VALU_DEP_1) | instskip(NEXT) | instid1(VALU_DEP_1)
	v_add_f64 v[8:9], v[8:9], -v[10:11]
	v_fma_f64 v[10:11], v[13:14], s[2:3], v[8:9]
	v_cvt_i32_f64_e32 v13, v[13:14]
	s_delay_alu instid0(VALU_DEP_2) | instskip(NEXT) | instid1(VALU_DEP_1)
	v_add_f64 v[8:9], v[17:18], v[10:11]
	v_add_f64 v[15:16], v[8:9], -v[17:18]
	s_delay_alu instid0(VALU_DEP_1)
	v_add_f64 v[10:11], v[10:11], -v[15:16]
.LBB80_59:
	s_or_b32 exec_lo, exec_lo, s0
	s_mov_b32 s0, 0x19ba0da4
	s_mov_b32 s1, 0xc0937be3
	s_mov_b32 s2, 0x6a5dcb37
	v_add_f64 v[14:15], |v[0:1]|, s[0:1]
	s_mov_b32 s0, 0x652b82fe
	s_mov_b32 s1, 0x3ff71547
	;; [unrolled: 1-line block ×3, first 2 shown]
	s_delay_alu instid0(VALU_DEP_3)
	v_mul_f64 v[22:23], v[4:5], v[4:5]
	v_mul_f64 v[24:25], v[8:9], v[8:9]
	s_mov_b32 s10, 0x1852b7b0
	s_mov_b32 s11, 0x3f56c16c
	;; [unrolled: 1-line block ×8, first 2 shown]
	s_delay_alu instid0(VALU_DEP_4)
	v_mul_f64 v[48:49], v[6:7], 0.5
	v_mul_f64 v[64:65], v[10:11], 0.5
	v_mul_f64 v[16:17], v[14:15], s[0:1]
	s_mov_b32 s0, 0xfefa39ef
	s_mov_b32 s1, 0xbfe62e42
	v_mul_f64 v[32:33], v[22:23], 0.5
	v_mul_f64 v[34:35], v[24:25], 0.5
	v_mul_f64 v[52:53], v[4:5], -v[22:23]
	v_mul_f64 v[66:67], v[8:9], -v[24:25]
	v_rndne_f64_e32 v[16:17], v[16:17]
	v_add_f64 v[38:39], -v[32:33], 1.0
	v_add_f64 v[50:51], -v[34:35], 1.0
	s_delay_alu instid0(VALU_DEP_3) | instskip(SKIP_3) | instid1(VALU_DEP_4)
	v_fma_f64 v[18:19], v[16:17], s[0:1], v[14:15]
	s_mov_b32 s0, 0x3b39803f
	s_mov_b32 s1, 0xbc7abc9e
	v_cvt_i32_f64_e32 v0, v[16:17]
	v_add_f64 v[54:55], -v[38:39], 1.0
	s_delay_alu instid0(VALU_DEP_4) | instskip(NEXT) | instid1(VALU_DEP_4)
	v_add_f64 v[68:69], -v[50:51], 1.0
	v_fma_f64 v[18:19], v[16:17], s[0:1], v[18:19]
	s_mov_b32 s0, 0xfca7ab0c
	s_mov_b32 s1, 0x3e928af3
	s_delay_alu instid0(VALU_DEP_3) | instskip(NEXT) | instid1(VALU_DEP_3)
	v_add_f64 v[32:33], v[54:55], -v[32:33]
	v_add_f64 v[34:35], v[68:69], -v[34:35]
	s_delay_alu instid0(VALU_DEP_3) | instskip(SKIP_4) | instid1(VALU_DEP_3)
	v_fma_f64 v[20:21], v[18:19], s[2:3], s[0:1]
	s_mov_b32 s0, 0x623fde64
	s_mov_b32 s1, 0x3ec71dee
	;; [unrolled: 1-line block ×4, first 2 shown]
	v_fma_f64 v[32:33], v[4:5], -v[6:7], v[32:33]
	s_delay_alu instid0(VALU_DEP_3) | instskip(NEXT) | instid1(VALU_DEP_3)
	v_fma_f64 v[34:35], v[8:9], -v[10:11], v[34:35]
	v_fma_f64 v[20:21], v[18:19], v[20:21], s[0:1]
	s_mov_b32 s0, 0x7c89e6b0
	s_mov_b32 s1, 0x3efa0199
	s_delay_alu instid0(VALU_DEP_1) | instid1(SALU_CYCLE_1)
	v_fma_f64 v[20:21], v[18:19], v[20:21], s[0:1]
	s_mov_b32 s0, 0x14761f6e
	s_mov_b32 s1, 0x3f2a01a0
	s_delay_alu instid0(VALU_DEP_1) | instid1(SALU_CYCLE_1)
	v_fma_f64 v[20:21], v[18:19], v[20:21], s[0:1]
	s_mov_b32 s0, 0xb42fdfa7
	s_mov_b32 s1, 0xbe5ae600
	s_delay_alu instid0(SALU_CYCLE_1)
	v_fma_f64 v[26:27], v[22:23], s[2:3], s[0:1]
	v_fma_f64 v[28:29], v[24:25], s[2:3], s[0:1]
	s_mov_b32 s0, 0x11110bb3
	s_mov_b32 s1, 0x3f811111
	;; [unrolled: 1-line block ×4, first 2 shown]
	s_delay_alu instid0(VALU_DEP_3) | instskip(SKIP_2) | instid1(SALU_CYCLE_1)
	v_fma_f64 v[20:21], v[18:19], v[20:21], s[10:11]
	s_mov_b32 s10, 0x9037ab78
	s_mov_b32 s11, 0x3e21eeb6
	v_fma_f64 v[30:31], v[22:23], s[12:13], s[10:11]
	s_delay_alu instid0(VALU_DEP_4)
	v_fma_f64 v[26:27], v[22:23], v[26:27], s[14:15]
	v_fma_f64 v[36:37], v[24:25], s[12:13], s[10:11]
	;; [unrolled: 1-line block ×3, first 2 shown]
	s_mov_b32 s10, 0x19e83e5c
	s_mov_b32 s11, 0xbf2a01a0
	;; [unrolled: 1-line block ×4, first 2 shown]
	v_fma_f64 v[20:21], v[18:19], v[20:21], s[2:3]
	s_mov_b32 s2, 0xa17f65f6
	s_mov_b32 s3, 0xbe927e4f
	s_delay_alu instid0(SALU_CYCLE_1)
	v_fma_f64 v[30:31], v[22:23], v[30:31], s[2:3]
	v_fma_f64 v[26:27], v[22:23], v[26:27], s[10:11]
	v_fma_f64 v[36:37], v[24:25], v[36:37], s[2:3]
	v_fma_f64 v[28:29], v[24:25], v[28:29], s[10:11]
	s_mov_b32 s2, 0x55555511
	s_mov_b32 s3, 0x3fc55555
	v_fma_f64 v[20:21], v[18:19], v[20:21], s[12:13]
	s_mov_b32 s12, 0x19f4ec90
	s_mov_b32 s13, 0x3efa01a0
	s_delay_alu instid0(SALU_CYCLE_1)
	v_fma_f64 v[30:31], v[22:23], v[30:31], s[12:13]
	v_fma_f64 v[26:27], v[22:23], v[26:27], s[0:1]
	;; [unrolled: 1-line block ×4, first 2 shown]
	s_mov_b32 s0, 11
	s_mov_b32 s1, 0x3fe00000
	v_fma_f64 v[20:21], v[18:19], v[20:21], s[2:3]
	s_mov_b32 s2, 0x16c16967
	s_mov_b32 s3, 0xbf56c16c
	s_delay_alu instid0(SALU_CYCLE_1)
	v_fma_f64 v[30:31], v[22:23], v[30:31], s[2:3]
	v_fma_f64 v[26:27], v[52:53], v[26:27], v[48:49]
	;; [unrolled: 1-line block ×4, first 2 shown]
	v_mul_f64 v[48:49], v[22:23], v[22:23]
	v_cmp_ngt_f64_e64 s2, 0xc090cc00, v[14:15]
	v_fma_f64 v[20:21], v[18:19], v[20:21], s[0:1]
	v_cmp_nlt_f64_e64 s1, 0x40900000, v[14:15]
	v_cmp_class_f64_e64 s0, v[2:3], 0x1f8
	v_fma_f64 v[30:31], v[22:23], v[30:31], s[16:17]
	v_fma_f64 v[6:7], v[22:23], v[26:27], -v[6:7]
	v_mul_f64 v[22:23], v[24:25], v[24:25]
	v_fma_f64 v[26:27], v[24:25], v[36:37], s[16:17]
	v_fma_f64 v[10:11], v[24:25], v[28:29], -v[10:11]
	s_mov_b32 s17, 0xbfc55555
	v_fma_f64 v[20:21], v[18:19], v[20:21], 1.0
	v_fma_f64 v[24:25], v[48:49], v[30:31], v[32:33]
	v_fma_f64 v[6:7], v[52:53], s[16:17], v[6:7]
	s_delay_alu instid0(VALU_DEP_4) | instskip(NEXT) | instid1(VALU_DEP_4)
	v_fma_f64 v[10:11], v[66:67], s[16:17], v[10:11]
	v_fma_f64 v[16:17], v[18:19], v[20:21], 1.0
	v_fma_f64 v[18:19], v[22:23], v[26:27], v[34:35]
	v_add_f64 v[20:21], v[38:39], v[24:25]
	v_add_f64 v[4:5], v[4:5], -v[6:7]
	v_add_f64 v[8:9], v[8:9], -v[10:11]
	v_ldexp_f64 v[6:7], v[16:17], v0
	v_add_f64 v[16:17], v[50:51], v[18:19]
	v_and_b32_e32 v0, 1, v12
	s_delay_alu instid0(VALU_DEP_1) | instskip(SKIP_2) | instid1(VALU_DEP_1)
	v_cmp_eq_u32_e32 vcc_lo, 0, v0
	v_cndmask_b32_e32 v0, v4, v20, vcc_lo
	v_lshlrev_b32_e32 v4, 30, v13
	v_xor_b32_e32 v3, v4, v3
	s_delay_alu instid0(VALU_DEP_1) | instskip(SKIP_3) | instid1(SALU_CYCLE_1)
	v_and_b32_e32 v3, 0x80000000, v3
	v_cndmask_b32_e64 v2, 0x7ff00000, v7, s1
	v_and_b32_e32 v7, 1, v13
	s_and_b32 s1, s2, s1
	v_cndmask_b32_e64 v6, 0, v6, s1
	s_delay_alu instid0(VALU_DEP_3) | instskip(NEXT) | instid1(VALU_DEP_3)
	v_cndmask_b32_e64 v10, 0, v2, s2
	v_cmp_eq_u32_e64 s3, 0, v7
	v_cndmask_b32_e64 v2, 0, v0, s0
	s_delay_alu instid0(VALU_DEP_2) | instskip(SKIP_2) | instid1(VALU_DEP_2)
	v_cndmask_b32_e64 v7, v17, v9, s3
	v_cndmask_b32_e64 v4, v16, v8, s3
	s_mov_b32 s3, 0xfffff
	v_xor_b32_e32 v0, v7, v3
	s_delay_alu instid0(VALU_DEP_2) | instskip(SKIP_1) | instid1(VALU_DEP_3)
	v_cndmask_b32_e64 v3, 0, v4, s0
	v_and_or_b32 v7, v10, s3, 0x7fe00000
	v_cndmask_b32_e64 v4, 0x7ff80000, v0, s0
	v_lshrrev_b32_e32 v0, 20, v10
	v_mov_b32_e32 v10, 0
	s_delay_alu instid0(VALU_DEP_3) | instskip(NEXT) | instid1(VALU_DEP_3)
	v_mul_f64 v[8:9], v[6:7], v[3:4]
	v_add_nc_u32_e32 v0, 0xffffff08, v0
	v_xor_b32_e32 v4, 0x80000000, v5
	v_lshlrev_b32_e32 v5, 30, v12
	s_delay_alu instid0(VALU_DEP_3) | instskip(NEXT) | instid1(VALU_DEP_3)
	v_lshrrev_b16 v3, 15, v0
	v_cndmask_b32_e32 v4, v4, v21, vcc_lo
	s_delay_alu instid0(VALU_DEP_3) | instskip(NEXT) | instid1(VALU_DEP_3)
	v_and_b32_e32 v5, 0x80000000, v5
	v_add_nc_u16 v3, v0, v3
	s_delay_alu instid0(VALU_DEP_2) | instskip(NEXT) | instid1(VALU_DEP_2)
	v_xor_b32_e32 v4, v4, v5
	v_ashrrev_i16 v3, 1, v3
	s_delay_alu instid0(VALU_DEP_1) | instskip(NEXT) | instid1(VALU_DEP_3)
	v_bfe_i32 v12, v3, 0, 16
	v_cndmask_b32_e64 v3, 0x7ff80000, v4, s0
	s_brev_b32 s0, -2
	s_delay_alu instid0(VALU_DEP_2) | instskip(NEXT) | instid1(VALU_DEP_2)
	v_lshl_add_u32 v11, v12, 20, 0x3ff00000
	v_mul_f64 v[2:3], v[6:7], v[2:3]
	v_mov_b32_e32 v6, v10
	v_sub_nc_u32_e32 v0, v0, v12
	s_delay_alu instid0(VALU_DEP_1) | instskip(SKIP_3) | instid1(VALU_DEP_3)
	v_lshl_add_u32 v7, v0, 20, 0x3ff00000
	v_mul_f64 v[4:5], v[8:9], v[10:11]
	v_mul_f64 v[2:3], v[2:3], v[10:11]
	v_bfi_b32 v11, s0, 0x3ff00000, v1
	v_mul_f64 v[8:9], v[4:5], v[6:7]
	s_delay_alu instid0(VALU_DEP_3) | instskip(NEXT) | instid1(VALU_DEP_2)
	v_mul_f64 v[4:5], v[2:3], v[6:7]
	v_mul_f64 v[6:7], v[10:11], v[8:9]
.LBB80_60:
	s_or_b32 exec_lo, exec_lo, s8
                                        ; implicit-def: $vgpr0_vgpr1
                                        ; implicit-def: $vgpr2_vgpr3
.LBB80_61:
	s_and_not1_saveexec_b32 s2, s7
	s_cbranch_execz .LBB80_71
; %bb.62:
	v_cmp_ngt_f64_e64 s1, 0x41d00000, |v[2:3]|
                                        ; implicit-def: $vgpr12
                                        ; implicit-def: $vgpr4_vgpr5
                                        ; implicit-def: $vgpr6_vgpr7
	s_delay_alu instid0(VALU_DEP_1) | instskip(NEXT) | instid1(SALU_CYCLE_1)
	s_and_saveexec_b32 s0, s1
	s_xor_b32 s3, exec_lo, s0
	s_cbranch_execz .LBB80_64
; %bb.63:
	v_ldexp_f64 v[4:5], |v[2:3]|, 0xffffff80
	v_cmp_le_f64_e64 vcc_lo, 0x7b000000, |v[2:3]|
	v_trig_preop_f64 v[6:7], |v[2:3]|, 0
	v_and_b32_e32 v8, 0x7fffffff, v3
	v_trig_preop_f64 v[18:19], |v[2:3]|, 2
	v_mov_b32_e32 v26, 0
	s_mov_b32 s8, 0x54442d18
	s_mov_b32 s9, 0x3ff921fb
	;; [unrolled: 1-line block ×4, first 2 shown]
	v_dual_cndmask_b32 v5, v8, v5 :: v_dual_cndmask_b32 v4, v2, v4
	v_trig_preop_f64 v[8:9], |v[2:3]|, 1
	s_delay_alu instid0(VALU_DEP_2) | instskip(SKIP_1) | instid1(VALU_DEP_3)
	v_mul_f64 v[10:11], v[6:7], v[4:5]
	v_mul_f64 v[24:25], v[18:19], v[4:5]
	;; [unrolled: 1-line block ×3, first 2 shown]
	s_delay_alu instid0(VALU_DEP_3) | instskip(NEXT) | instid1(VALU_DEP_2)
	v_fma_f64 v[6:7], v[6:7], v[4:5], -v[10:11]
	v_fma_f64 v[8:9], v[8:9], v[4:5], -v[12:13]
	s_delay_alu instid0(VALU_DEP_4) | instskip(NEXT) | instid1(VALU_DEP_3)
	v_fma_f64 v[4:5], v[18:19], v[4:5], -v[24:25]
	v_add_f64 v[14:15], v[12:13], v[6:7]
	s_delay_alu instid0(VALU_DEP_1) | instskip(SKIP_1) | instid1(VALU_DEP_2)
	v_add_f64 v[16:17], v[14:15], -v[12:13]
	v_add_f64 v[22:23], v[10:11], v[14:15]
	v_add_f64 v[20:21], v[14:15], -v[16:17]
	v_add_f64 v[6:7], v[6:7], -v[16:17]
	s_delay_alu instid0(VALU_DEP_3) | instskip(SKIP_1) | instid1(VALU_DEP_4)
	v_ldexp_f64 v[16:17], v[22:23], -2
	v_add_f64 v[10:11], v[22:23], -v[10:11]
	v_add_f64 v[12:13], v[12:13], -v[20:21]
	v_add_f64 v[20:21], v[24:25], v[8:9]
	s_delay_alu instid0(VALU_DEP_4) | instskip(NEXT) | instid1(VALU_DEP_4)
	v_cmp_neq_f64_e64 vcc_lo, 0x7ff00000, |v[16:17]|
	v_add_f64 v[10:11], v[14:15], -v[10:11]
	s_delay_alu instid0(VALU_DEP_4) | instskip(SKIP_1) | instid1(VALU_DEP_2)
	v_add_f64 v[6:7], v[6:7], v[12:13]
	v_fract_f64_e32 v[12:13], v[16:17]
	v_add_f64 v[14:15], v[20:21], v[6:7]
	s_delay_alu instid0(VALU_DEP_2) | instskip(NEXT) | instid1(VALU_DEP_1)
	v_dual_cndmask_b32 v13, 0, v13 :: v_dual_cndmask_b32 v12, 0, v12
	v_ldexp_f64 v[12:13], v[12:13], 2
	s_delay_alu instid0(VALU_DEP_3) | instskip(NEXT) | instid1(VALU_DEP_1)
	v_add_f64 v[16:17], v[10:11], v[14:15]
	v_add_f64 v[22:23], v[16:17], v[12:13]
	v_add_f64 v[10:11], v[16:17], -v[10:11]
	s_delay_alu instid0(VALU_DEP_2) | instskip(SKIP_1) | instid1(VALU_DEP_3)
	v_cmp_gt_f64_e32 vcc_lo, 0, v[22:23]
	v_add_f64 v[22:23], v[20:21], -v[24:25]
	v_add_f64 v[10:11], v[14:15], -v[10:11]
	v_cndmask_b32_e64 v27, 0, 0x40100000, vcc_lo
	s_delay_alu instid0(VALU_DEP_3) | instskip(SKIP_1) | instid1(VALU_DEP_3)
	v_add_f64 v[31:32], v[20:21], -v[22:23]
	v_add_f64 v[8:9], v[8:9], -v[22:23]
	v_add_f64 v[12:13], v[12:13], v[26:27]
	v_add_f64 v[27:28], v[14:15], -v[20:21]
	s_delay_alu instid0(VALU_DEP_4) | instskip(NEXT) | instid1(VALU_DEP_3)
	v_add_f64 v[22:23], v[24:25], -v[31:32]
	v_add_f64 v[29:30], v[16:17], v[12:13]
	s_delay_alu instid0(VALU_DEP_3) | instskip(SKIP_1) | instid1(VALU_DEP_4)
	v_add_f64 v[33:34], v[14:15], -v[27:28]
	v_add_f64 v[6:7], v[6:7], -v[27:28]
	v_add_f64 v[8:9], v[8:9], v[22:23]
	s_delay_alu instid0(VALU_DEP_4) | instskip(NEXT) | instid1(VALU_DEP_4)
	v_cvt_i32_f64_e32 v29, v[29:30]
	v_add_f64 v[20:21], v[20:21], -v[33:34]
	s_delay_alu instid0(VALU_DEP_2) | instskip(NEXT) | instid1(VALU_DEP_2)
	v_cvt_f64_i32_e32 v[27:28], v29
	v_add_f64 v[6:7], v[6:7], v[20:21]
	s_delay_alu instid0(VALU_DEP_2) | instskip(NEXT) | instid1(VALU_DEP_2)
	v_add_f64 v[12:13], v[12:13], -v[27:28]
	v_add_f64 v[6:7], v[8:9], v[6:7]
	s_delay_alu instid0(VALU_DEP_2) | instskip(NEXT) | instid1(VALU_DEP_2)
	v_add_f64 v[8:9], v[16:17], v[12:13]
	v_add_f64 v[4:5], v[4:5], v[6:7]
	s_delay_alu instid0(VALU_DEP_2) | instskip(SKIP_1) | instid1(VALU_DEP_3)
	v_add_f64 v[6:7], v[8:9], -v[12:13]
	v_cmp_le_f64_e32 vcc_lo, 0.5, v[8:9]
	v_add_f64 v[4:5], v[10:11], v[4:5]
	s_delay_alu instid0(VALU_DEP_3) | instskip(SKIP_2) | instid1(VALU_DEP_3)
	v_add_f64 v[6:7], v[16:17], -v[6:7]
	v_cndmask_b32_e64 v27, 0, 0x3ff00000, vcc_lo
	v_add_co_ci_u32_e64 v12, s0, 0, v29, vcc_lo
	v_add_f64 v[4:5], v[4:5], v[6:7]
	s_delay_alu instid0(VALU_DEP_3) | instskip(NEXT) | instid1(VALU_DEP_1)
	v_add_f64 v[6:7], v[8:9], -v[26:27]
	v_add_f64 v[8:9], v[6:7], v[4:5]
	s_delay_alu instid0(VALU_DEP_1) | instskip(SKIP_1) | instid1(VALU_DEP_2)
	v_mul_f64 v[10:11], v[8:9], s[8:9]
	v_add_f64 v[6:7], v[8:9], -v[6:7]
	v_fma_f64 v[13:14], v[8:9], s[8:9], -v[10:11]
	s_delay_alu instid0(VALU_DEP_2) | instskip(NEXT) | instid1(VALU_DEP_2)
	v_add_f64 v[4:5], v[4:5], -v[6:7]
	v_fma_f64 v[6:7], v[8:9], s[10:11], v[13:14]
	s_delay_alu instid0(VALU_DEP_1) | instskip(NEXT) | instid1(VALU_DEP_1)
	v_fma_f64 v[6:7], v[4:5], s[8:9], v[6:7]
	v_add_f64 v[4:5], v[10:11], v[6:7]
	s_delay_alu instid0(VALU_DEP_1) | instskip(NEXT) | instid1(VALU_DEP_1)
	v_add_f64 v[8:9], v[4:5], -v[10:11]
	v_add_f64 v[6:7], v[6:7], -v[8:9]
	s_and_not1_saveexec_b32 s0, s3
	s_cbranch_execz .LBB80_66
	s_branch .LBB80_65
.LBB80_64:
	s_and_not1_saveexec_b32 s0, s3
	s_cbranch_execz .LBB80_66
.LBB80_65:
	s_mov_b32 s8, 0x6dc9c883
	s_mov_b32 s9, 0x3fe45f30
	;; [unrolled: 1-line block ×3, first 2 shown]
	v_mul_f64 v[4:5], |v[2:3]|, s[8:9]
	s_mov_b32 s8, 0x54442d18
	s_mov_b32 s9, 0xbff921fb
	;; [unrolled: 1-line block ×3, first 2 shown]
	s_delay_alu instid0(VALU_DEP_1) | instskip(NEXT) | instid1(VALU_DEP_1)
	v_rndne_f64_e32 v[8:9], v[4:5]
	v_fma_f64 v[4:5], v[8:9], s[8:9], |v[2:3]|
	v_mul_f64 v[6:7], v[8:9], s[10:11]
	s_mov_b32 s8, 0x252049c0
	s_mov_b32 s9, 0xb97b839a
	s_delay_alu instid0(VALU_DEP_2) | instskip(NEXT) | instid1(VALU_DEP_2)
	v_fma_f64 v[12:13], v[8:9], s[10:11], v[4:5]
	v_add_f64 v[10:11], v[4:5], v[6:7]
	s_mov_b32 s11, 0x3c91a626
	s_delay_alu instid0(VALU_DEP_1) | instskip(NEXT) | instid1(VALU_DEP_3)
	v_add_f64 v[4:5], v[4:5], -v[10:11]
	v_add_f64 v[10:11], v[10:11], -v[12:13]
	s_delay_alu instid0(VALU_DEP_2) | instskip(SKIP_1) | instid1(VALU_DEP_2)
	v_add_f64 v[4:5], v[4:5], v[6:7]
	v_fma_f64 v[6:7], v[8:9], s[10:11], v[6:7]
	v_add_f64 v[4:5], v[10:11], v[4:5]
	s_delay_alu instid0(VALU_DEP_1) | instskip(NEXT) | instid1(VALU_DEP_1)
	v_add_f64 v[4:5], v[4:5], -v[6:7]
	v_fma_f64 v[6:7], v[8:9], s[8:9], v[4:5]
	s_delay_alu instid0(VALU_DEP_1) | instskip(NEXT) | instid1(VALU_DEP_1)
	v_add_f64 v[4:5], v[12:13], v[6:7]
	v_add_f64 v[10:11], v[4:5], -v[12:13]
	v_cvt_i32_f64_e32 v12, v[8:9]
	s_delay_alu instid0(VALU_DEP_2)
	v_add_f64 v[6:7], v[6:7], -v[10:11]
.LBB80_66:
	s_or_b32 exec_lo, exec_lo, s0
                                        ; implicit-def: $vgpr13
                                        ; implicit-def: $vgpr8_vgpr9
                                        ; implicit-def: $vgpr10_vgpr11
	s_and_saveexec_b32 s0, s1
	s_delay_alu instid0(SALU_CYCLE_1)
	s_xor_b32 s1, exec_lo, s0
	s_cbranch_execz .LBB80_68
; %bb.67:
	v_ldexp_f64 v[8:9], |v[2:3]|, 0xffffff80
	v_cmp_le_f64_e64 vcc_lo, 0x7b000000, |v[2:3]|
	v_trig_preop_f64 v[10:11], |v[2:3]|, 0
	v_and_b32_e32 v13, 0x7fffffff, v3
	v_trig_preop_f64 v[23:24], |v[2:3]|, 2
	v_mov_b32_e32 v31, 0
	s_mov_b32 s8, 0x54442d18
	s_mov_b32 s9, 0x3ff921fb
	;; [unrolled: 1-line block ×4, first 2 shown]
	v_dual_cndmask_b32 v8, v2, v8 :: v_dual_cndmask_b32 v9, v13, v9
	v_trig_preop_f64 v[13:14], |v[2:3]|, 1
	s_delay_alu instid0(VALU_DEP_2) | instskip(NEXT) | instid1(VALU_DEP_2)
	v_mul_f64 v[15:16], v[10:11], v[8:9]
	v_mul_f64 v[17:18], v[13:14], v[8:9]
	s_delay_alu instid0(VALU_DEP_2) | instskip(NEXT) | instid1(VALU_DEP_2)
	v_fma_f64 v[10:11], v[10:11], v[8:9], -v[15:16]
	v_fma_f64 v[13:14], v[13:14], v[8:9], -v[17:18]
	s_delay_alu instid0(VALU_DEP_2) | instskip(NEXT) | instid1(VALU_DEP_1)
	v_add_f64 v[19:20], v[17:18], v[10:11]
	v_add_f64 v[21:22], v[19:20], -v[17:18]
	v_add_f64 v[27:28], v[15:16], v[19:20]
	s_delay_alu instid0(VALU_DEP_2) | instskip(SKIP_1) | instid1(VALU_DEP_3)
	v_add_f64 v[25:26], v[19:20], -v[21:22]
	v_add_f64 v[10:11], v[10:11], -v[21:22]
	v_ldexp_f64 v[21:22], v[27:28], -2
	v_add_f64 v[15:16], v[27:28], -v[15:16]
	s_delay_alu instid0(VALU_DEP_4) | instskip(NEXT) | instid1(VALU_DEP_3)
	v_add_f64 v[17:18], v[17:18], -v[25:26]
	v_cmp_neq_f64_e64 vcc_lo, 0x7ff00000, |v[21:22]|
	s_delay_alu instid0(VALU_DEP_3) | instskip(NEXT) | instid1(VALU_DEP_3)
	v_add_f64 v[15:16], v[19:20], -v[15:16]
	v_add_f64 v[10:11], v[10:11], v[17:18]
	v_fract_f64_e32 v[17:18], v[21:22]
	s_delay_alu instid0(VALU_DEP_1) | instskip(SKIP_1) | instid1(VALU_DEP_3)
	v_cndmask_b32_e32 v18, 0, v18, vcc_lo
	v_mul_f64 v[29:30], v[23:24], v[8:9]
	v_cndmask_b32_e32 v17, 0, v17, vcc_lo
	s_delay_alu instid0(VALU_DEP_1) | instskip(NEXT) | instid1(VALU_DEP_3)
	v_ldexp_f64 v[17:18], v[17:18], 2
	v_add_f64 v[25:26], v[29:30], v[13:14]
	v_fma_f64 v[8:9], v[23:24], v[8:9], -v[29:30]
	s_delay_alu instid0(VALU_DEP_2) | instskip(NEXT) | instid1(VALU_DEP_1)
	v_add_f64 v[19:20], v[25:26], v[10:11]
	v_add_f64 v[21:22], v[15:16], v[19:20]
	s_delay_alu instid0(VALU_DEP_1) | instskip(SKIP_1) | instid1(VALU_DEP_2)
	v_add_f64 v[27:28], v[21:22], v[17:18]
	v_add_f64 v[15:16], v[21:22], -v[15:16]
	v_cmp_gt_f64_e32 vcc_lo, 0, v[27:28]
	v_add_f64 v[27:28], v[25:26], -v[29:30]
	v_cndmask_b32_e64 v32, 0, 0x40100000, vcc_lo
	s_delay_alu instid0(VALU_DEP_2) | instskip(SKIP_1) | instid1(VALU_DEP_3)
	v_add_f64 v[36:37], v[25:26], -v[27:28]
	v_add_f64 v[13:14], v[13:14], -v[27:28]
	v_add_f64 v[17:18], v[17:18], v[31:32]
	v_add_f64 v[32:33], v[19:20], -v[25:26]
	s_delay_alu instid0(VALU_DEP_4) | instskip(NEXT) | instid1(VALU_DEP_3)
	v_add_f64 v[27:28], v[29:30], -v[36:37]
	v_add_f64 v[34:35], v[21:22], v[17:18]
	s_delay_alu instid0(VALU_DEP_3) | instskip(SKIP_1) | instid1(VALU_DEP_4)
	v_add_f64 v[38:39], v[19:20], -v[32:33]
	v_add_f64 v[10:11], v[10:11], -v[32:33]
	v_add_f64 v[13:14], v[13:14], v[27:28]
	s_delay_alu instid0(VALU_DEP_4) | instskip(NEXT) | instid1(VALU_DEP_4)
	v_cvt_i32_f64_e32 v34, v[34:35]
	v_add_f64 v[25:26], v[25:26], -v[38:39]
	s_delay_alu instid0(VALU_DEP_2) | instskip(NEXT) | instid1(VALU_DEP_2)
	v_cvt_f64_i32_e32 v[32:33], v34
	v_add_f64 v[10:11], v[10:11], v[25:26]
	s_delay_alu instid0(VALU_DEP_2) | instskip(NEXT) | instid1(VALU_DEP_2)
	v_add_f64 v[17:18], v[17:18], -v[32:33]
	v_add_f64 v[10:11], v[13:14], v[10:11]
	v_add_f64 v[13:14], v[19:20], -v[15:16]
	s_delay_alu instid0(VALU_DEP_3) | instskip(NEXT) | instid1(VALU_DEP_3)
	v_add_f64 v[23:24], v[21:22], v[17:18]
	v_add_f64 v[8:9], v[8:9], v[10:11]
	s_delay_alu instid0(VALU_DEP_2) | instskip(SKIP_1) | instid1(VALU_DEP_3)
	v_add_f64 v[10:11], v[23:24], -v[17:18]
	v_cmp_le_f64_e32 vcc_lo, 0.5, v[23:24]
	v_add_f64 v[8:9], v[13:14], v[8:9]
	s_delay_alu instid0(VALU_DEP_3) | instskip(SKIP_2) | instid1(VALU_DEP_3)
	v_add_f64 v[10:11], v[21:22], -v[10:11]
	v_cndmask_b32_e64 v32, 0, 0x3ff00000, vcc_lo
	v_add_co_ci_u32_e64 v13, s0, 0, v34, vcc_lo
	v_add_f64 v[8:9], v[8:9], v[10:11]
	s_delay_alu instid0(VALU_DEP_3) | instskip(NEXT) | instid1(VALU_DEP_1)
	v_add_f64 v[10:11], v[23:24], -v[31:32]
	v_add_f64 v[14:15], v[10:11], v[8:9]
	s_delay_alu instid0(VALU_DEP_1) | instskip(SKIP_1) | instid1(VALU_DEP_2)
	v_mul_f64 v[16:17], v[14:15], s[8:9]
	v_add_f64 v[10:11], v[14:15], -v[10:11]
	v_fma_f64 v[18:19], v[14:15], s[8:9], -v[16:17]
	s_delay_alu instid0(VALU_DEP_2) | instskip(NEXT) | instid1(VALU_DEP_2)
	v_add_f64 v[8:9], v[8:9], -v[10:11]
	v_fma_f64 v[10:11], v[14:15], s[10:11], v[18:19]
	s_delay_alu instid0(VALU_DEP_1) | instskip(NEXT) | instid1(VALU_DEP_1)
	v_fma_f64 v[10:11], v[8:9], s[8:9], v[10:11]
	v_add_f64 v[8:9], v[16:17], v[10:11]
	s_delay_alu instid0(VALU_DEP_1) | instskip(NEXT) | instid1(VALU_DEP_1)
	v_add_f64 v[14:15], v[8:9], -v[16:17]
	v_add_f64 v[10:11], v[10:11], -v[14:15]
	s_and_not1_saveexec_b32 s0, s1
	s_cbranch_execnz .LBB80_69
	s_branch .LBB80_70
.LBB80_68:
	s_and_not1_saveexec_b32 s0, s1
	s_cbranch_execz .LBB80_70
.LBB80_69:
	s_mov_b32 s8, 0x6dc9c883
	s_mov_b32 s9, 0x3fe45f30
	;; [unrolled: 1-line block ×3, first 2 shown]
	v_mul_f64 v[8:9], |v[2:3]|, s[8:9]
	s_mov_b32 s8, 0x54442d18
	s_mov_b32 s9, 0xbff921fb
	;; [unrolled: 1-line block ×3, first 2 shown]
	s_delay_alu instid0(VALU_DEP_1) | instskip(NEXT) | instid1(VALU_DEP_1)
	v_rndne_f64_e32 v[13:14], v[8:9]
	v_fma_f64 v[8:9], v[13:14], s[8:9], |v[2:3]|
	v_mul_f64 v[10:11], v[13:14], s[10:11]
	s_mov_b32 s8, 0x252049c0
	s_mov_b32 s9, 0xb97b839a
	s_delay_alu instid0(VALU_DEP_2) | instskip(NEXT) | instid1(VALU_DEP_2)
	v_fma_f64 v[17:18], v[13:14], s[10:11], v[8:9]
	v_add_f64 v[15:16], v[8:9], v[10:11]
	s_mov_b32 s11, 0x3c91a626
	s_delay_alu instid0(VALU_DEP_1) | instskip(NEXT) | instid1(VALU_DEP_3)
	v_add_f64 v[8:9], v[8:9], -v[15:16]
	v_add_f64 v[15:16], v[15:16], -v[17:18]
	s_delay_alu instid0(VALU_DEP_2) | instskip(SKIP_1) | instid1(VALU_DEP_2)
	v_add_f64 v[8:9], v[8:9], v[10:11]
	v_fma_f64 v[10:11], v[13:14], s[10:11], v[10:11]
	v_add_f64 v[8:9], v[15:16], v[8:9]
	s_delay_alu instid0(VALU_DEP_1) | instskip(NEXT) | instid1(VALU_DEP_1)
	v_add_f64 v[8:9], v[8:9], -v[10:11]
	v_fma_f64 v[10:11], v[13:14], s[8:9], v[8:9]
	v_cvt_i32_f64_e32 v13, v[13:14]
	s_delay_alu instid0(VALU_DEP_2) | instskip(NEXT) | instid1(VALU_DEP_1)
	v_add_f64 v[8:9], v[17:18], v[10:11]
	v_add_f64 v[15:16], v[8:9], -v[17:18]
	s_delay_alu instid0(VALU_DEP_1)
	v_add_f64 v[10:11], v[10:11], -v[15:16]
.LBB80_70:
	s_or_b32 exec_lo, exec_lo, s0
	s_mov_b32 s0, 0x652b82fe
	s_mov_b32 s1, 0x3ff71547
	;; [unrolled: 1-line block ×3, first 2 shown]
	v_mul_f64 v[14:15], |v[0:1]|, s[0:1]
	s_mov_b32 s0, 0xfefa39ef
	s_mov_b32 s1, 0xbfe62e42
	;; [unrolled: 1-line block ×3, first 2 shown]
	s_delay_alu instid0(VALU_DEP_3)
	v_mul_f64 v[20:21], v[4:5], v[4:5]
	v_mul_f64 v[22:23], v[8:9], v[8:9]
	s_mov_b32 s10, 0x1852b7b0
	s_mov_b32 s11, 0x3f56c16c
	s_mov_b32 s12, 0x9037ab78
	s_mov_b32 s14, 0x46cc5e42
	s_mov_b32 s13, 0x3e21eeb6
	s_mov_b32 s15, 0xbda907db
	s_mov_b32 s16, 0xa17f65f6
	s_mov_b32 s17, 0xbe927e4f
	s_delay_alu instid0(VALU_DEP_4)
	v_mul_f64 v[38:39], v[6:7], 0.5
	v_mul_f64 v[54:55], v[10:11], 0.5
	v_rndne_f64_e32 v[14:15], v[14:15]
	v_mul_f64 v[26:27], v[20:21], 0.5
	v_fma_f64 v[30:31], v[20:21], s[14:15], s[12:13]
	v_mul_f64 v[32:33], v[22:23], 0.5
	v_fma_f64 v[34:35], v[22:23], s[14:15], s[12:13]
	s_mov_b32 s12, 0x55555511
	s_mov_b32 s14, 0x19f4ec90
	;; [unrolled: 1-line block ×4, first 2 shown]
	v_mul_f64 v[48:49], v[4:5], -v[20:21]
	v_fma_f64 v[16:17], v[14:15], s[0:1], |v[0:1]|
	s_mov_b32 s0, 0x3b39803f
	s_mov_b32 s1, 0xbc7abc9e
	v_add_f64 v[36:37], -v[26:27], 1.0
	v_fma_f64 v[30:31], v[20:21], v[30:31], s[16:17]
	v_add_f64 v[50:51], -v[32:33], 1.0
	v_fma_f64 v[34:35], v[22:23], v[34:35], s[16:17]
	v_fma_f64 v[16:17], v[14:15], s[0:1], v[16:17]
	s_mov_b32 s0, 0xfca7ab0c
	s_mov_b32 s1, 0x3e928af3
	v_add_f64 v[52:53], -v[36:37], 1.0
	v_fma_f64 v[30:31], v[20:21], v[30:31], s[14:15]
	v_add_f64 v[64:65], -v[50:51], 1.0
	v_fma_f64 v[34:35], v[22:23], v[34:35], s[14:15]
	v_fma_f64 v[18:19], v[16:17], s[8:9], s[0:1]
	s_mov_b32 s0, 0x623fde64
	s_mov_b32 s1, 0x3ec71dee
	;; [unrolled: 1-line block ×4, first 2 shown]
	v_add_f64 v[26:27], v[52:53], -v[26:27]
	v_mul_f64 v[52:53], v[8:9], -v[22:23]
	v_add_f64 v[32:33], v[64:65], -v[32:33]
	s_delay_alu instid0(VALU_DEP_4) | instskip(SKIP_2) | instid1(VALU_DEP_4)
	v_fma_f64 v[18:19], v[16:17], v[18:19], s[0:1]
	s_mov_b32 s0, 0x7c89e6b0
	s_mov_b32 s1, 0x3efa0199
	v_fma_f64 v[26:27], v[4:5], -v[6:7], v[26:27]
	s_delay_alu instid0(VALU_DEP_2)
	v_fma_f64 v[18:19], v[16:17], v[18:19], s[0:1]
	s_mov_b32 s0, 0x14761f6e
	s_mov_b32 s1, 0x3f2a01a0
	s_delay_alu instid0(VALU_DEP_1) | instid1(SALU_CYCLE_1)
	v_fma_f64 v[18:19], v[16:17], v[18:19], s[0:1]
	s_mov_b32 s0, 0xb42fdfa7
	s_mov_b32 s1, 0xbe5ae600
	s_delay_alu instid0(SALU_CYCLE_1)
	v_fma_f64 v[24:25], v[20:21], s[8:9], s[0:1]
	v_fma_f64 v[28:29], v[22:23], s[8:9], s[0:1]
	s_mov_b32 s0, 0x796cde01
	s_mov_b32 s1, 0x3ec71de3
	;; [unrolled: 1-line block ×4, first 2 shown]
	s_delay_alu instid0(VALU_DEP_3) | instskip(SKIP_2) | instid1(VALU_DEP_3)
	v_fma_f64 v[18:19], v[16:17], v[18:19], s[10:11]
	s_mov_b32 s11, 0x3f811111
	s_mov_b32 s10, 0x11122322
	v_fma_f64 v[24:25], v[20:21], v[24:25], s[0:1]
	s_delay_alu instid0(VALU_DEP_3) | instskip(SKIP_2) | instid1(VALU_DEP_3)
	v_fma_f64 v[28:29], v[22:23], v[28:29], s[0:1]
	s_mov_b32 s0, 0x19e83e5c
	s_mov_b32 s1, 0xbf2a01a0
	v_fma_f64 v[18:19], v[16:17], v[18:19], s[10:11]
	s_mov_b32 s10, 0x11110bb3
	s_delay_alu instid0(VALU_DEP_3) | instskip(NEXT) | instid1(VALU_DEP_3)
	v_fma_f64 v[24:25], v[20:21], v[24:25], s[0:1]
	v_fma_f64 v[28:29], v[22:23], v[28:29], s[0:1]
	s_mov_b32 s0, 11
	s_mov_b32 s1, 0x3fe00000
	s_delay_alu instid0(VALU_DEP_3) | instskip(SKIP_1) | instid1(VALU_DEP_3)
	v_fma_f64 v[18:19], v[16:17], v[18:19], s[8:9]
	s_mov_b32 s8, 0x55555555
	v_fma_f64 v[24:25], v[20:21], v[24:25], s[10:11]
	s_delay_alu instid0(VALU_DEP_3) | instskip(NEXT) | instid1(VALU_DEP_3)
	v_fma_f64 v[28:29], v[22:23], v[28:29], s[10:11]
	v_fma_f64 v[18:19], v[16:17], v[18:19], s[12:13]
	s_mov_b32 s12, 0x16c16967
	s_mov_b32 s13, 0xbf56c16c
	s_delay_alu instid0(SALU_CYCLE_1) | instskip(NEXT) | instid1(VALU_DEP_4)
	v_fma_f64 v[30:31], v[20:21], v[30:31], s[12:13]
	v_fma_f64 v[24:25], v[48:49], v[24:25], v[38:39]
	;; [unrolled: 1-line block ×4, first 2 shown]
	v_mul_f64 v[38:39], v[20:21], v[20:21]
	v_fma_f64 v[18:19], v[16:17], v[18:19], s[0:1]
	s_mov_b32 s1, 0xbfc55555
	s_mov_b32 s0, s8
	v_fma_f64 v[30:31], v[20:21], v[30:31], s[8:9]
	v_fma_f64 v[6:7], v[20:21], v[24:25], -v[6:7]
	v_mul_f64 v[20:21], v[22:23], v[22:23]
	v_fma_f64 v[24:25], v[8:9], -v[10:11], v[32:33]
	v_fma_f64 v[32:33], v[22:23], v[34:35], s[8:9]
	v_fma_f64 v[10:11], v[22:23], v[28:29], -v[10:11]
	v_fma_f64 v[18:19], v[16:17], v[18:19], 1.0
	v_fma_f64 v[22:23], v[38:39], v[30:31], v[26:27]
	v_fma_f64 v[6:7], v[48:49], s[0:1], v[6:7]
	v_cvt_i32_f64_e32 v26, v[14:15]
	v_fma_f64 v[10:11], v[52:53], s[0:1], v[10:11]
	v_cmp_class_f64_e64 s0, v[2:3], 0x1f8
	v_cmp_nlt_f64_e64 s1, 0x40900000, |v[0:1]|
	v_lshlrev_b32_e32 v0, 30, v12
	s_delay_alu instid0(VALU_DEP_1)
	v_and_b32_e32 v0, 0x80000000, v0
	v_fma_f64 v[14:15], v[16:17], v[18:19], 1.0
	v_fma_f64 v[16:17], v[20:21], v[32:33], v[24:25]
	v_add_f64 v[18:19], v[36:37], v[22:23]
	v_add_f64 v[4:5], v[4:5], -v[6:7]
	v_add_f64 v[8:9], v[8:9], -v[10:11]
	v_and_b32_e32 v10, 1, v13
	v_ldexp_f64 v[6:7], v[14:15], v26
	v_add_f64 v[14:15], v[50:51], v[16:17]
	v_and_b32_e32 v20, 1, v12
	v_xor_b32_e32 v2, 0x80000000, v5
	v_lshlrev_b32_e32 v5, 30, v13
	s_delay_alu instid0(VALU_DEP_3) | instskip(NEXT) | instid1(VALU_DEP_2)
	v_cmp_eq_u32_e32 vcc_lo, 0, v20
	v_xor_b32_e32 v3, v5, v3
	v_cndmask_b32_e32 v4, v4, v18, vcc_lo
	v_cndmask_b32_e32 v2, v2, v19, vcc_lo
	v_cmp_eq_u32_e32 vcc_lo, 0, v10
	s_delay_alu instid0(VALU_DEP_4) | instskip(NEXT) | instid1(VALU_DEP_3)
	v_and_b32_e32 v5, 0x80000000, v3
	v_xor_b32_e32 v0, v2, v0
	v_cndmask_b32_e64 v2, 0, v4, s0
	s_delay_alu instid0(VALU_DEP_2) | instskip(SKIP_2) | instid1(VALU_DEP_1)
	v_cndmask_b32_e64 v3, 0x7ff80000, v0, s0
	v_mul_f64 v[6:7], v[6:7], 0.5
	v_dual_cndmask_b32 v8, v14, v8 :: v_dual_cndmask_b32 v9, v15, v9
	v_cndmask_b32_e64 v0, 0, v8, s0
	s_delay_alu instid0(VALU_DEP_2) | instskip(NEXT) | instid1(VALU_DEP_4)
	v_xor_b32_e32 v9, v9, v5
	v_cndmask_b32_e64 v7, 0x7ff00000, v7, s1
	v_cndmask_b32_e64 v6, 0, v6, s1
	s_delay_alu instid0(VALU_DEP_1) | instskip(SKIP_2) | instid1(VALU_DEP_1)
	v_mul_f64 v[4:5], v[6:7], v[2:3]
	v_bfi_b32 v7, 0x7fffffff, v7, v1
	v_cndmask_b32_e64 v1, 0x7ff80000, v9, s0
	v_mul_f64 v[6:7], v[6:7], v[0:1]
.LBB80_71:
	s_or_b32 exec_lo, exec_lo, s2
                                        ; implicit-def: $vgpr0_vgpr1
                                        ; implicit-def: $vgpr2_vgpr3
.LBB80_72:
	s_and_not1_saveexec_b32 s6, s6
	s_cbranch_execz .LBB80_82
; %bb.73:
	v_cmp_ngt_f64_e64 s1, 0x41d00000, |v[2:3]|
	v_trig_preop_f64 v[16:17], |v[2:3]|, 0
	v_trig_preop_f64 v[14:15], |v[2:3]|, 1
	v_ldexp_f64 v[18:19], |v[2:3]|, 0xffffff80
	v_trig_preop_f64 v[12:13], |v[2:3]|, 2
	v_and_b32_e32 v22, 0x7fffffff, v3
                                        ; implicit-def: $vgpr20
                                        ; implicit-def: $vgpr4_vgpr5
                                        ; implicit-def: $vgpr6_vgpr7
	s_and_saveexec_b32 s0, s1
	s_delay_alu instid0(SALU_CYCLE_1)
	s_xor_b32 s2, exec_lo, s0
	s_cbranch_execz .LBB80_75
; %bb.74:
	v_cmp_le_f64_e64 vcc_lo, 0x7b000000, |v[2:3]|
	v_mov_b32_e32 v33, 0
	s_mov_b32 s8, 0x54442d18
	s_mov_b32 s9, 0x3ff921fb
	;; [unrolled: 1-line block ×4, first 2 shown]
	v_cndmask_b32_e32 v5, v22, v19, vcc_lo
	v_cndmask_b32_e32 v4, v2, v18, vcc_lo
	s_delay_alu instid0(VALU_DEP_1) | instskip(SKIP_1) | instid1(VALU_DEP_2)
	v_mul_f64 v[6:7], v[16:17], v[4:5]
	v_mul_f64 v[8:9], v[14:15], v[4:5]
	v_fma_f64 v[10:11], v[16:17], v[4:5], -v[6:7]
	s_delay_alu instid0(VALU_DEP_2) | instskip(NEXT) | instid1(VALU_DEP_2)
	v_fma_f64 v[31:32], v[14:15], v[4:5], -v[8:9]
	v_add_f64 v[20:21], v[8:9], v[10:11]
	s_delay_alu instid0(VALU_DEP_1) | instskip(SKIP_1) | instid1(VALU_DEP_2)
	v_add_f64 v[23:24], v[20:21], -v[8:9]
	v_add_f64 v[27:28], v[6:7], v[20:21]
	v_add_f64 v[25:26], v[20:21], -v[23:24]
	v_add_f64 v[10:11], v[10:11], -v[23:24]
	s_delay_alu instid0(VALU_DEP_3) | instskip(SKIP_1) | instid1(VALU_DEP_4)
	v_ldexp_f64 v[23:24], v[27:28], -2
	v_add_f64 v[6:7], v[27:28], -v[6:7]
	v_add_f64 v[8:9], v[8:9], -v[25:26]
	s_delay_alu instid0(VALU_DEP_3) | instskip(NEXT) | instid1(VALU_DEP_3)
	v_cmp_neq_f64_e64 vcc_lo, 0x7ff00000, |v[23:24]|
	v_add_f64 v[6:7], v[20:21], -v[6:7]
	s_delay_alu instid0(VALU_DEP_3) | instskip(SKIP_1) | instid1(VALU_DEP_1)
	v_add_f64 v[8:9], v[10:11], v[8:9]
	v_fract_f64_e32 v[10:11], v[23:24]
	v_dual_cndmask_b32 v11, 0, v11 :: v_dual_cndmask_b32 v10, 0, v10
	v_mul_f64 v[29:30], v[12:13], v[4:5]
	s_delay_alu instid0(VALU_DEP_2) | instskip(NEXT) | instid1(VALU_DEP_2)
	v_ldexp_f64 v[10:11], v[10:11], 2
	v_add_f64 v[25:26], v[29:30], v[31:32]
	v_fma_f64 v[4:5], v[12:13], v[4:5], -v[29:30]
	s_delay_alu instid0(VALU_DEP_2) | instskip(NEXT) | instid1(VALU_DEP_1)
	v_add_f64 v[20:21], v[25:26], v[8:9]
	v_add_f64 v[23:24], v[6:7], v[20:21]
	s_delay_alu instid0(VALU_DEP_1) | instskip(SKIP_1) | instid1(VALU_DEP_2)
	v_add_f64 v[27:28], v[23:24], v[10:11]
	v_add_f64 v[6:7], v[23:24], -v[6:7]
	v_cmp_gt_f64_e32 vcc_lo, 0, v[27:28]
	v_add_f64 v[27:28], v[25:26], -v[29:30]
	s_delay_alu instid0(VALU_DEP_3) | instskip(SKIP_1) | instid1(VALU_DEP_3)
	v_add_f64 v[6:7], v[20:21], -v[6:7]
	v_cndmask_b32_e64 v34, 0, 0x40100000, vcc_lo
	v_add_f64 v[38:39], v[25:26], -v[27:28]
	v_add_f64 v[27:28], v[31:32], -v[27:28]
	s_delay_alu instid0(VALU_DEP_3) | instskip(SKIP_1) | instid1(VALU_DEP_4)
	v_add_f64 v[10:11], v[10:11], v[33:34]
	v_add_f64 v[34:35], v[20:21], -v[25:26]
	v_add_f64 v[31:32], v[29:30], -v[38:39]
	s_delay_alu instid0(VALU_DEP_3) | instskip(NEXT) | instid1(VALU_DEP_3)
	v_add_f64 v[36:37], v[23:24], v[10:11]
	v_add_f64 v[48:49], v[20:21], -v[34:35]
	v_add_f64 v[8:9], v[8:9], -v[34:35]
	s_delay_alu instid0(VALU_DEP_4) | instskip(NEXT) | instid1(VALU_DEP_4)
	v_add_f64 v[27:28], v[27:28], v[31:32]
	v_cvt_i32_f64_e32 v36, v[36:37]
	s_delay_alu instid0(VALU_DEP_4) | instskip(NEXT) | instid1(VALU_DEP_2)
	v_add_f64 v[25:26], v[25:26], -v[48:49]
	v_cvt_f64_i32_e32 v[34:35], v36
	s_delay_alu instid0(VALU_DEP_2) | instskip(NEXT) | instid1(VALU_DEP_2)
	v_add_f64 v[8:9], v[8:9], v[25:26]
	v_add_f64 v[10:11], v[10:11], -v[34:35]
	s_delay_alu instid0(VALU_DEP_2) | instskip(NEXT) | instid1(VALU_DEP_2)
	v_add_f64 v[8:9], v[27:28], v[8:9]
	v_add_f64 v[25:26], v[23:24], v[10:11]
	s_delay_alu instid0(VALU_DEP_2) | instskip(NEXT) | instid1(VALU_DEP_2)
	v_add_f64 v[4:5], v[4:5], v[8:9]
	v_add_f64 v[8:9], v[25:26], -v[10:11]
	v_cmp_le_f64_e32 vcc_lo, 0.5, v[25:26]
	s_delay_alu instid0(VALU_DEP_3) | instskip(NEXT) | instid1(VALU_DEP_3)
	v_add_f64 v[4:5], v[6:7], v[4:5]
	v_add_f64 v[6:7], v[23:24], -v[8:9]
	v_cndmask_b32_e64 v34, 0, 0x3ff00000, vcc_lo
	v_add_co_ci_u32_e64 v20, s0, 0, v36, vcc_lo
	s_delay_alu instid0(VALU_DEP_3) | instskip(NEXT) | instid1(VALU_DEP_3)
	v_add_f64 v[4:5], v[4:5], v[6:7]
	v_add_f64 v[6:7], v[25:26], -v[33:34]
	s_delay_alu instid0(VALU_DEP_1) | instskip(NEXT) | instid1(VALU_DEP_1)
	v_add_f64 v[8:9], v[6:7], v[4:5]
	v_mul_f64 v[10:11], v[8:9], s[8:9]
	v_add_f64 v[6:7], v[8:9], -v[6:7]
	s_delay_alu instid0(VALU_DEP_2) | instskip(NEXT) | instid1(VALU_DEP_2)
	v_fma_f64 v[23:24], v[8:9], s[8:9], -v[10:11]
	v_add_f64 v[4:5], v[4:5], -v[6:7]
	s_delay_alu instid0(VALU_DEP_2) | instskip(NEXT) | instid1(VALU_DEP_1)
	v_fma_f64 v[6:7], v[8:9], s[10:11], v[23:24]
	v_fma_f64 v[6:7], v[4:5], s[8:9], v[6:7]
	s_delay_alu instid0(VALU_DEP_1) | instskip(NEXT) | instid1(VALU_DEP_1)
	v_add_f64 v[4:5], v[10:11], v[6:7]
	v_add_f64 v[8:9], v[4:5], -v[10:11]
	s_delay_alu instid0(VALU_DEP_1)
	v_add_f64 v[6:7], v[6:7], -v[8:9]
	s_and_not1_saveexec_b32 s0, s2
	s_cbranch_execz .LBB80_77
	s_branch .LBB80_76
.LBB80_75:
	s_and_not1_saveexec_b32 s0, s2
	s_cbranch_execz .LBB80_77
.LBB80_76:
	s_mov_b32 s2, 0x6dc9c883
	s_mov_b32 s3, 0x3fe45f30
	;; [unrolled: 1-line block ×3, first 2 shown]
	v_mul_f64 v[4:5], |v[2:3]|, s[2:3]
	s_mov_b32 s2, 0x54442d18
	s_mov_b32 s3, 0xbff921fb
	;; [unrolled: 1-line block ×3, first 2 shown]
	s_delay_alu instid0(VALU_DEP_1) | instskip(NEXT) | instid1(VALU_DEP_1)
	v_rndne_f64_e32 v[8:9], v[4:5]
	v_fma_f64 v[4:5], v[8:9], s[2:3], |v[2:3]|
	v_mul_f64 v[6:7], v[8:9], s[8:9]
	s_mov_b32 s2, 0x252049c0
	s_mov_b32 s3, 0xb97b839a
	s_delay_alu instid0(VALU_DEP_2) | instskip(NEXT) | instid1(VALU_DEP_2)
	v_fma_f64 v[20:21], v[8:9], s[8:9], v[4:5]
	v_add_f64 v[10:11], v[4:5], v[6:7]
	s_mov_b32 s9, 0x3c91a626
	s_delay_alu instid0(VALU_DEP_1) | instskip(NEXT) | instid1(VALU_DEP_3)
	v_add_f64 v[4:5], v[4:5], -v[10:11]
	v_add_f64 v[10:11], v[10:11], -v[20:21]
	s_delay_alu instid0(VALU_DEP_2) | instskip(SKIP_1) | instid1(VALU_DEP_2)
	v_add_f64 v[4:5], v[4:5], v[6:7]
	v_fma_f64 v[6:7], v[8:9], s[8:9], v[6:7]
	v_add_f64 v[4:5], v[10:11], v[4:5]
	s_delay_alu instid0(VALU_DEP_1) | instskip(NEXT) | instid1(VALU_DEP_1)
	v_add_f64 v[4:5], v[4:5], -v[6:7]
	v_fma_f64 v[6:7], v[8:9], s[2:3], v[4:5]
	s_delay_alu instid0(VALU_DEP_1) | instskip(NEXT) | instid1(VALU_DEP_1)
	v_add_f64 v[4:5], v[20:21], v[6:7]
	v_add_f64 v[10:11], v[4:5], -v[20:21]
	v_cvt_i32_f64_e32 v20, v[8:9]
	s_delay_alu instid0(VALU_DEP_2)
	v_add_f64 v[6:7], v[6:7], -v[10:11]
.LBB80_77:
	s_or_b32 exec_lo, exec_lo, s0
                                        ; implicit-def: $vgpr21
                                        ; implicit-def: $vgpr8_vgpr9
                                        ; implicit-def: $vgpr10_vgpr11
	s_and_saveexec_b32 s0, s1
	s_delay_alu instid0(SALU_CYCLE_1)
	s_xor_b32 s1, exec_lo, s0
	s_cbranch_execz .LBB80_79
; %bb.78:
	v_cmp_le_f64_e64 vcc_lo, 0x7b000000, |v[2:3]|
	v_mov_b32_e32 v31, 0
	s_mov_b32 s2, 0x54442d18
	s_mov_b32 s3, 0x3ff921fb
	;; [unrolled: 1-line block ×4, first 2 shown]
	v_cndmask_b32_e32 v9, v22, v19, vcc_lo
	v_cndmask_b32_e32 v8, v2, v18, vcc_lo
	s_delay_alu instid0(VALU_DEP_1) | instskip(SKIP_1) | instid1(VALU_DEP_2)
	v_mul_f64 v[10:11], v[16:17], v[8:9]
	v_mul_f64 v[18:19], v[14:15], v[8:9]
	v_fma_f64 v[16:17], v[16:17], v[8:9], -v[10:11]
	s_delay_alu instid0(VALU_DEP_2) | instskip(NEXT) | instid1(VALU_DEP_2)
	v_fma_f64 v[14:15], v[14:15], v[8:9], -v[18:19]
	v_add_f64 v[21:22], v[18:19], v[16:17]
	s_delay_alu instid0(VALU_DEP_1) | instskip(SKIP_1) | instid1(VALU_DEP_2)
	v_add_f64 v[23:24], v[21:22], -v[18:19]
	v_add_f64 v[27:28], v[10:11], v[21:22]
	v_add_f64 v[25:26], v[21:22], -v[23:24]
	v_add_f64 v[16:17], v[16:17], -v[23:24]
	s_delay_alu instid0(VALU_DEP_3) | instskip(SKIP_1) | instid1(VALU_DEP_4)
	v_ldexp_f64 v[23:24], v[27:28], -2
	v_add_f64 v[10:11], v[27:28], -v[10:11]
	v_add_f64 v[18:19], v[18:19], -v[25:26]
	s_delay_alu instid0(VALU_DEP_3) | instskip(NEXT) | instid1(VALU_DEP_3)
	v_cmp_neq_f64_e64 vcc_lo, 0x7ff00000, |v[23:24]|
	v_add_f64 v[10:11], v[21:22], -v[10:11]
	s_delay_alu instid0(VALU_DEP_3) | instskip(SKIP_1) | instid1(VALU_DEP_1)
	v_add_f64 v[16:17], v[16:17], v[18:19]
	v_fract_f64_e32 v[18:19], v[23:24]
	v_dual_cndmask_b32 v19, 0, v19 :: v_dual_cndmask_b32 v18, 0, v18
	v_mul_f64 v[29:30], v[12:13], v[8:9]
	s_delay_alu instid0(VALU_DEP_2) | instskip(NEXT) | instid1(VALU_DEP_2)
	v_ldexp_f64 v[18:19], v[18:19], 2
	v_add_f64 v[25:26], v[29:30], v[14:15]
	v_fma_f64 v[8:9], v[12:13], v[8:9], -v[29:30]
	s_delay_alu instid0(VALU_DEP_2) | instskip(NEXT) | instid1(VALU_DEP_1)
	v_add_f64 v[21:22], v[25:26], v[16:17]
	v_add_f64 v[23:24], v[10:11], v[21:22]
	s_delay_alu instid0(VALU_DEP_1) | instskip(SKIP_1) | instid1(VALU_DEP_2)
	v_add_f64 v[27:28], v[23:24], v[18:19]
	v_add_f64 v[10:11], v[23:24], -v[10:11]
	v_cmp_gt_f64_e32 vcc_lo, 0, v[27:28]
	v_add_f64 v[27:28], v[25:26], -v[29:30]
	s_delay_alu instid0(VALU_DEP_3) | instskip(SKIP_1) | instid1(VALU_DEP_3)
	v_add_f64 v[10:11], v[21:22], -v[10:11]
	v_cndmask_b32_e64 v32, 0, 0x40100000, vcc_lo
	v_add_f64 v[36:37], v[25:26], -v[27:28]
	v_add_f64 v[14:15], v[14:15], -v[27:28]
	s_delay_alu instid0(VALU_DEP_3) | instskip(SKIP_1) | instid1(VALU_DEP_4)
	v_add_f64 v[18:19], v[18:19], v[31:32]
	v_add_f64 v[32:33], v[21:22], -v[25:26]
	v_add_f64 v[27:28], v[29:30], -v[36:37]
	s_delay_alu instid0(VALU_DEP_3) | instskip(NEXT) | instid1(VALU_DEP_3)
	v_add_f64 v[34:35], v[23:24], v[18:19]
	v_add_f64 v[38:39], v[21:22], -v[32:33]
	v_add_f64 v[16:17], v[16:17], -v[32:33]
	s_delay_alu instid0(VALU_DEP_4) | instskip(NEXT) | instid1(VALU_DEP_4)
	v_add_f64 v[14:15], v[14:15], v[27:28]
	v_cvt_i32_f64_e32 v34, v[34:35]
	s_delay_alu instid0(VALU_DEP_4) | instskip(NEXT) | instid1(VALU_DEP_2)
	v_add_f64 v[25:26], v[25:26], -v[38:39]
	v_cvt_f64_i32_e32 v[32:33], v34
	s_delay_alu instid0(VALU_DEP_2) | instskip(NEXT) | instid1(VALU_DEP_2)
	v_add_f64 v[16:17], v[16:17], v[25:26]
	v_add_f64 v[18:19], v[18:19], -v[32:33]
	s_delay_alu instid0(VALU_DEP_2) | instskip(NEXT) | instid1(VALU_DEP_2)
	v_add_f64 v[12:13], v[14:15], v[16:17]
	v_add_f64 v[14:15], v[23:24], v[18:19]
	s_delay_alu instid0(VALU_DEP_2) | instskip(NEXT) | instid1(VALU_DEP_2)
	v_add_f64 v[8:9], v[8:9], v[12:13]
	v_add_f64 v[12:13], v[14:15], -v[18:19]
	v_cmp_le_f64_e32 vcc_lo, 0.5, v[14:15]
	s_delay_alu instid0(VALU_DEP_3) | instskip(NEXT) | instid1(VALU_DEP_3)
	v_add_f64 v[8:9], v[10:11], v[8:9]
	v_add_f64 v[10:11], v[23:24], -v[12:13]
	v_cndmask_b32_e64 v32, 0, 0x3ff00000, vcc_lo
	v_add_co_ci_u32_e64 v21, s0, 0, v34, vcc_lo
	s_delay_alu instid0(VALU_DEP_3) | instskip(NEXT) | instid1(VALU_DEP_3)
	v_add_f64 v[8:9], v[8:9], v[10:11]
	v_add_f64 v[10:11], v[14:15], -v[31:32]
	s_delay_alu instid0(VALU_DEP_1) | instskip(NEXT) | instid1(VALU_DEP_1)
	v_add_f64 v[12:13], v[10:11], v[8:9]
	v_mul_f64 v[14:15], v[12:13], s[2:3]
	v_add_f64 v[10:11], v[12:13], -v[10:11]
	s_delay_alu instid0(VALU_DEP_2) | instskip(NEXT) | instid1(VALU_DEP_2)
	v_fma_f64 v[16:17], v[12:13], s[2:3], -v[14:15]
	v_add_f64 v[8:9], v[8:9], -v[10:11]
	s_delay_alu instid0(VALU_DEP_2) | instskip(NEXT) | instid1(VALU_DEP_1)
	v_fma_f64 v[10:11], v[12:13], s[8:9], v[16:17]
	v_fma_f64 v[10:11], v[8:9], s[2:3], v[10:11]
	s_delay_alu instid0(VALU_DEP_1) | instskip(NEXT) | instid1(VALU_DEP_1)
	v_add_f64 v[8:9], v[14:15], v[10:11]
	v_add_f64 v[12:13], v[8:9], -v[14:15]
	s_delay_alu instid0(VALU_DEP_1)
	v_add_f64 v[10:11], v[10:11], -v[12:13]
	s_and_not1_saveexec_b32 s0, s1
	s_cbranch_execnz .LBB80_80
	s_branch .LBB80_81
.LBB80_79:
	s_and_not1_saveexec_b32 s0, s1
	s_cbranch_execz .LBB80_81
.LBB80_80:
	s_mov_b32 s2, 0x6dc9c883
	s_mov_b32 s3, 0x3fe45f30
	;; [unrolled: 1-line block ×3, first 2 shown]
	v_mul_f64 v[8:9], |v[2:3]|, s[2:3]
	s_mov_b32 s2, 0x54442d18
	s_mov_b32 s3, 0xbff921fb
	;; [unrolled: 1-line block ×3, first 2 shown]
	s_delay_alu instid0(VALU_DEP_1) | instskip(NEXT) | instid1(VALU_DEP_1)
	v_rndne_f64_e32 v[12:13], v[8:9]
	v_fma_f64 v[8:9], v[12:13], s[2:3], |v[2:3]|
	v_mul_f64 v[10:11], v[12:13], s[8:9]
	s_mov_b32 s2, 0x252049c0
	s_mov_b32 s3, 0xb97b839a
	v_cvt_i32_f64_e32 v21, v[12:13]
	s_delay_alu instid0(VALU_DEP_3) | instskip(NEXT) | instid1(VALU_DEP_3)
	v_fma_f64 v[16:17], v[12:13], s[8:9], v[8:9]
	v_add_f64 v[14:15], v[8:9], v[10:11]
	s_mov_b32 s9, 0x3c91a626
	s_delay_alu instid0(VALU_DEP_1) | instskip(NEXT) | instid1(VALU_DEP_3)
	v_add_f64 v[8:9], v[8:9], -v[14:15]
	v_add_f64 v[14:15], v[14:15], -v[16:17]
	s_delay_alu instid0(VALU_DEP_2) | instskip(SKIP_1) | instid1(VALU_DEP_2)
	v_add_f64 v[8:9], v[8:9], v[10:11]
	v_fma_f64 v[10:11], v[12:13], s[8:9], v[10:11]
	v_add_f64 v[8:9], v[14:15], v[8:9]
	s_delay_alu instid0(VALU_DEP_1) | instskip(NEXT) | instid1(VALU_DEP_1)
	v_add_f64 v[8:9], v[8:9], -v[10:11]
	v_fma_f64 v[10:11], v[12:13], s[2:3], v[8:9]
	s_delay_alu instid0(VALU_DEP_1) | instskip(NEXT) | instid1(VALU_DEP_1)
	v_add_f64 v[8:9], v[16:17], v[10:11]
	v_add_f64 v[14:15], v[8:9], -v[16:17]
	s_delay_alu instid0(VALU_DEP_1)
	v_add_f64 v[10:11], v[10:11], -v[14:15]
.LBB80_81:
	s_or_b32 exec_lo, exec_lo, s0
	s_mov_b32 s1, 0xbfe62e42
	s_mov_b32 s0, 0xfefa39ef
	;; [unrolled: 1-line block ×3, first 2 shown]
	v_add_f64 v[12:13], |v[0:1]|, s[0:1]
	s_mov_b32 s2, s0
	s_mov_b32 s0, 0xfefa3000
	;; [unrolled: 1-line block ×8, first 2 shown]
	s_delay_alu instid0(VALU_DEP_2) | instskip(NEXT) | instid1(VALU_DEP_3)
	v_mul_f64 v[52:53], v[6:7], 0.5
	v_mul_f64 v[70:71], v[10:11], 0.5
	v_cmp_gt_f64_e64 vcc_lo, 0x3e400000, |v[0:1]|
	s_delay_alu instid0(VALU_DEP_4) | instskip(NEXT) | instid1(VALU_DEP_1)
	v_add_f64 v[14:15], v[12:13], -|v[0:1]|
	v_add_f64 v[16:17], v[14:15], -v[12:13]
	v_add_f64 v[14:15], v[14:15], s[2:3]
	s_mov_b32 s2, 0x3b39803f
	s_mov_b32 s3, 0xbc7abc9e
	s_delay_alu instid0(VALU_DEP_2) | instskip(NEXT) | instid1(VALU_DEP_1)
	v_add_f64 v[16:17], |v[0:1]|, v[16:17]
	v_add_f64 v[14:15], v[16:17], -v[14:15]
	s_delay_alu instid0(VALU_DEP_1) | instskip(SKIP_2) | instid1(VALU_DEP_1)
	v_add_f64 v[14:15], v[14:15], s[2:3]
	s_mov_b32 s2, 0x652b82fe
	s_mov_b32 s3, 0x3ff71547
	v_add_f64 v[16:17], v[12:13], v[14:15]
	s_delay_alu instid0(VALU_DEP_1) | instskip(SKIP_3) | instid1(VALU_DEP_2)
	v_mul_f64 v[18:19], v[16:17], s[2:3]
	v_add_f64 v[12:13], v[12:13], -v[16:17]
	s_mov_b32 s2, 0x6a5dcb37
	s_mov_b32 s3, 0x3e5ade15
	v_rndne_f64_e32 v[18:19], v[18:19]
	s_delay_alu instid0(VALU_DEP_2) | instskip(NEXT) | instid1(VALU_DEP_2)
	v_add_f64 v[12:13], v[14:15], v[12:13]
	v_fma_f64 v[14:15], v[18:19], s[0:1], v[16:17]
	s_mov_b32 s0, 0xf278e000
	s_mov_b32 s1, 0xbd53de6a
	s_delay_alu instid0(SALU_CYCLE_1) | instskip(SKIP_2) | instid1(VALU_DEP_2)
	v_mul_f64 v[16:17], v[18:19], s[0:1]
	s_mov_b32 s0, 0xf97b57a0
	s_mov_b32 s1, 0xbac9cc01
	v_add_f64 v[22:23], v[12:13], v[14:15]
	s_delay_alu instid0(VALU_DEP_1) | instskip(SKIP_1) | instid1(VALU_DEP_2)
	v_add_f64 v[24:25], v[22:23], v[16:17]
	v_add_f64 v[14:15], v[14:15], -v[22:23]
	v_add_f64 v[22:23], v[22:23], -v[24:25]
	s_delay_alu instid0(VALU_DEP_2) | instskip(NEXT) | instid1(VALU_DEP_2)
	v_add_f64 v[12:13], v[12:13], v[14:15]
	v_add_f64 v[14:15], v[22:23], v[16:17]
	s_delay_alu instid0(VALU_DEP_1) | instskip(SKIP_3) | instid1(VALU_DEP_2)
	v_add_f64 v[12:13], v[12:13], v[14:15]
	v_mul_f64 v[14:15], v[18:19], s[0:1]
	s_mov_b32 s0, 0xfca7ab0c
	s_mov_b32 s1, 0x3e928af3
	v_add_f64 v[16:17], v[24:25], v[12:13]
	s_delay_alu instid0(VALU_DEP_1) | instskip(SKIP_1) | instid1(VALU_DEP_2)
	v_add_f64 v[22:23], v[16:17], v[14:15]
	v_add_f64 v[24:25], v[24:25], -v[16:17]
	v_add_f64 v[16:17], v[16:17], -v[22:23]
	s_delay_alu instid0(VALU_DEP_2) | instskip(NEXT) | instid1(VALU_DEP_2)
	v_add_f64 v[12:13], v[12:13], v[24:25]
	v_add_f64 v[14:15], v[16:17], v[14:15]
	s_delay_alu instid0(VALU_DEP_1) | instskip(NEXT) | instid1(VALU_DEP_1)
	v_add_f64 v[12:13], v[12:13], v[14:15]
	v_add_f64 v[14:15], v[22:23], v[12:13]
	s_delay_alu instid0(VALU_DEP_1)
	v_fma_f64 v[16:17], v[14:15], s[2:3], s[0:1]
	s_mov_b32 s0, 0x623fde64
	s_mov_b32 s1, 0x3ec71dee
	v_add_f64 v[22:23], v[22:23], -v[14:15]
	s_mov_b32 s3, 0x3f811111
	s_mov_b32 s2, 0x11122322
	v_mul_f64 v[24:25], v[14:15], v[14:15]
	s_delay_alu instid0(VALU_DEP_3) | instskip(SKIP_2) | instid1(VALU_DEP_3)
	v_fma_f64 v[16:17], v[14:15], v[16:17], s[0:1]
	s_mov_b32 s0, 0x7c89e6b0
	s_mov_b32 s1, 0x3efa0199
	v_add_f64 v[12:13], v[12:13], v[22:23]
	s_delay_alu instid0(VALU_DEP_3) | instskip(NEXT) | instid1(VALU_DEP_3)
	v_fma_f64 v[22:23], v[14:15], v[14:15], -v[24:25]
	v_fma_f64 v[16:17], v[14:15], v[16:17], s[0:1]
	s_mov_b32 s0, 0x14761f6e
	s_mov_b32 s1, 0x3f2a01a0
	s_delay_alu instid0(VALU_DEP_3) | instskip(NEXT) | instid1(VALU_DEP_2)
	v_add_f64 v[26:27], v[12:13], v[12:13]
	v_fma_f64 v[16:17], v[14:15], v[16:17], s[0:1]
	s_mov_b32 s0, 0x1852b7b0
	s_mov_b32 s1, 0x3f56c16c
	s_delay_alu instid0(VALU_DEP_2) | instskip(NEXT) | instid1(VALU_DEP_2)
	v_fma_f64 v[22:23], v[14:15], v[26:27], v[22:23]
	v_fma_f64 v[16:17], v[14:15], v[16:17], s[0:1]
	s_mov_b32 s1, 0x3fa55555
	s_mov_b32 s0, 0x555502a1
	s_delay_alu instid0(VALU_DEP_2) | instskip(NEXT) | instid1(VALU_DEP_2)
	v_add_f64 v[26:27], v[24:25], v[22:23]
	v_fma_f64 v[16:17], v[14:15], v[16:17], s[2:3]
	s_mov_b32 s2, 0x11110bb3
	s_delay_alu instid0(VALU_DEP_2) | instskip(NEXT) | instid1(VALU_DEP_2)
	v_add_f64 v[24:25], v[26:27], -v[24:25]
	v_fma_f64 v[16:17], v[14:15], v[16:17], s[0:1]
	s_mov_b32 s0, 0x55555555
	s_delay_alu instid0(VALU_DEP_2) | instskip(NEXT) | instid1(VALU_DEP_2)
	v_add_f64 v[22:23], v[22:23], -v[24:25]
	v_fma_f64 v[16:17], v[14:15], v[16:17], s[8:9]
	s_mov_b32 s8, 11
	s_mov_b32 s9, 0x3fe00000
	s_delay_alu instid0(VALU_DEP_1) | instid1(SALU_CYCLE_1)
	v_fma_f64 v[16:17], v[14:15], v[16:17], s[8:9]
	s_mov_b32 s8, 0xb42fdfa7
	s_mov_b32 s9, 0xbe5ae600
	s_delay_alu instid0(VALU_DEP_1) | instskip(NEXT) | instid1(VALU_DEP_1)
	v_mul_f64 v[28:29], v[26:27], v[16:17]
	v_fma_f64 v[24:25], v[26:27], v[16:17], -v[28:29]
	s_delay_alu instid0(VALU_DEP_1) | instskip(NEXT) | instid1(VALU_DEP_1)
	v_fma_f64 v[16:17], v[22:23], v[16:17], v[24:25]
	v_add_f64 v[22:23], v[28:29], v[16:17]
	s_delay_alu instid0(VALU_DEP_1) | instskip(SKIP_1) | instid1(VALU_DEP_2)
	v_add_f64 v[24:25], v[14:15], v[22:23]
	v_add_f64 v[26:27], v[22:23], -v[28:29]
	v_add_f64 v[14:15], v[24:25], -v[14:15]
	s_delay_alu instid0(VALU_DEP_2) | instskip(SKIP_1) | instid1(VALU_DEP_3)
	v_add_f64 v[16:17], v[16:17], -v[26:27]
	v_cvt_i32_f64_e32 v26, v[18:19]
	v_add_f64 v[14:15], v[22:23], -v[14:15]
	s_delay_alu instid0(VALU_DEP_3) | instskip(NEXT) | instid1(VALU_DEP_1)
	v_add_f64 v[12:13], v[12:13], v[16:17]
	v_add_f64 v[12:13], v[12:13], v[14:15]
	s_delay_alu instid0(VALU_DEP_1) | instskip(NEXT) | instid1(VALU_DEP_1)
	v_add_f64 v[14:15], v[24:25], v[12:13]
	v_add_f64 v[16:17], v[14:15], 1.0
	v_add_f64 v[22:23], v[14:15], -v[24:25]
	s_delay_alu instid0(VALU_DEP_2) | instskip(NEXT) | instid1(VALU_DEP_2)
	v_add_f64 v[24:25], v[16:17], -1.0
	v_add_f64 v[12:13], v[12:13], -v[22:23]
	s_delay_alu instid0(VALU_DEP_2) | instskip(NEXT) | instid1(VALU_DEP_1)
	v_add_f64 v[14:15], v[14:15], -v[24:25]
	v_add_f64 v[12:13], v[12:13], v[14:15]
	s_delay_alu instid0(VALU_DEP_1) | instskip(NEXT) | instid1(VALU_DEP_1)
	v_add_f64 v[14:15], v[16:17], v[12:13]
	v_ldexp_f64 v[18:19], v[14:15], v26
	v_add_f64 v[14:15], v[14:15], -v[16:17]
	s_delay_alu instid0(VALU_DEP_2) | instskip(NEXT) | instid1(VALU_DEP_1)
	v_rcp_f64_e32 v[22:23], v[18:19]
	v_add_f64 v[12:13], v[12:13], -v[14:15]
	s_delay_alu instid0(VALU_DEP_1) | instskip(SKIP_2) | instid1(VALU_DEP_1)
	v_ldexp_f64 v[12:13], v[12:13], v26
	s_waitcnt_depctr 0xfff
	v_fma_f64 v[24:25], -v[18:19], v[22:23], 1.0
	v_fma_f64 v[22:23], v[24:25], v[22:23], v[22:23]
	s_delay_alu instid0(VALU_DEP_1) | instskip(NEXT) | instid1(VALU_DEP_1)
	v_fma_f64 v[24:25], -v[18:19], v[22:23], 1.0
	v_fma_f64 v[16:17], v[24:25], v[22:23], v[22:23]
	s_delay_alu instid0(VALU_DEP_1) | instskip(NEXT) | instid1(VALU_DEP_1)
	v_mul_f64 v[14:15], v[18:19], v[16:17]
	v_fma_f64 v[22:23], v[16:17], v[18:19], -v[14:15]
	s_delay_alu instid0(VALU_DEP_1) | instskip(NEXT) | instid1(VALU_DEP_1)
	v_fma_f64 v[22:23], v[16:17], v[12:13], v[22:23]
	v_add_f64 v[24:25], v[14:15], v[22:23]
	s_delay_alu instid0(VALU_DEP_1) | instskip(SKIP_1) | instid1(VALU_DEP_2)
	v_add_f64 v[26:27], -v[24:25], 1.0
	v_add_f64 v[14:15], v[24:25], -v[14:15]
	v_add_f64 v[28:29], -v[26:27], 1.0
	s_delay_alu instid0(VALU_DEP_2) | instskip(NEXT) | instid1(VALU_DEP_2)
	v_add_f64 v[14:15], v[14:15], -v[22:23]
	v_add_f64 v[22:23], v[28:29], -v[24:25]
	s_delay_alu instid0(VALU_DEP_1) | instskip(NEXT) | instid1(VALU_DEP_1)
	v_add_f64 v[14:15], v[14:15], v[22:23]
	v_add_f64 v[22:23], v[26:27], v[14:15]
	s_delay_alu instid0(VALU_DEP_1) | instskip(SKIP_1) | instid1(VALU_DEP_2)
	v_mul_f64 v[24:25], v[16:17], v[22:23]
	v_add_f64 v[26:27], v[26:27], -v[22:23]
	v_mul_f64 v[28:29], v[18:19], v[24:25]
	s_delay_alu instid0(VALU_DEP_2) | instskip(NEXT) | instid1(VALU_DEP_2)
	v_add_f64 v[14:15], v[14:15], v[26:27]
	v_fma_f64 v[30:31], v[24:25], v[18:19], -v[28:29]
	s_delay_alu instid0(VALU_DEP_1) | instskip(NEXT) | instid1(VALU_DEP_1)
	v_fma_f64 v[30:31], v[24:25], v[12:13], v[30:31]
	v_add_f64 v[32:33], v[28:29], v[30:31]
	s_delay_alu instid0(VALU_DEP_1) | instskip(SKIP_1) | instid1(VALU_DEP_2)
	v_add_f64 v[34:35], v[22:23], -v[32:33]
	v_add_f64 v[26:27], v[32:33], -v[28:29]
	;; [unrolled: 1-line block ×3, first 2 shown]
	s_delay_alu instid0(VALU_DEP_2) | instskip(NEXT) | instid1(VALU_DEP_2)
	v_add_f64 v[26:27], v[26:27], -v[30:31]
	v_add_f64 v[22:23], v[22:23], -v[32:33]
	s_delay_alu instid0(VALU_DEP_1) | instskip(SKIP_1) | instid1(VALU_DEP_2)
	v_add_f64 v[14:15], v[14:15], v[22:23]
	v_add_f64 v[22:23], v[16:17], v[24:25]
	v_add_f64 v[14:15], v[26:27], v[14:15]
	s_delay_alu instid0(VALU_DEP_2) | instskip(NEXT) | instid1(VALU_DEP_2)
	v_add_f64 v[26:27], v[22:23], -v[16:17]
	v_add_f64 v[14:15], v[34:35], v[14:15]
	s_delay_alu instid0(VALU_DEP_2) | instskip(NEXT) | instid1(VALU_DEP_2)
	v_add_f64 v[24:25], v[24:25], -v[26:27]
	v_mul_f64 v[14:15], v[16:17], v[14:15]
	v_mul_f64 v[16:17], v[4:5], v[4:5]
	s_delay_alu instid0(VALU_DEP_2) | instskip(SKIP_1) | instid1(VALU_DEP_3)
	v_add_f64 v[14:15], v[24:25], v[14:15]
	v_mul_f64 v[24:25], v[8:9], v[8:9]
	v_fma_f64 v[28:29], v[16:17], s[10:11], s[8:9]
	v_mul_f64 v[34:35], v[16:17], 0.5
	v_mul_f64 v[66:67], v[4:5], -v[16:17]
	v_add_f64 v[26:27], v[22:23], v[14:15]
	v_fma_f64 v[30:31], v[24:25], s[10:11], s[8:9]
	s_mov_b32 s8, 0x9037ab78
	s_mov_b32 s10, 0x46cc5e42
	;; [unrolled: 1-line block ×4, first 2 shown]
	v_fma_f64 v[28:29], v[16:17], v[28:29], s[12:13]
	v_fma_f64 v[36:37], v[16:17], s[10:11], s[8:9]
	v_mul_f64 v[38:39], v[24:25], 0.5
	v_fma_f64 v[48:49], v[24:25], s[10:11], s[8:9]
	s_mov_b32 s8, 0xa17f65f6
	s_mov_b32 s10, 0x19e83e5c
	s_mov_b32 s9, 0xbe927e4f
	s_mov_b32 s11, 0xbf2a01a0
	v_add_f64 v[50:51], -v[34:35], 1.0
	v_mul_f64 v[80:81], v[8:9], -v[24:25]
	v_ldexp_f64 v[32:33], v[26:27], -2
	v_fma_f64 v[30:31], v[24:25], v[30:31], s[12:13]
	v_add_f64 v[22:23], v[26:27], -v[22:23]
	s_mov_b32 s12, 0x19f4ec90
	s_mov_b32 s13, 0x3efa01a0
	v_fma_f64 v[28:29], v[16:17], v[28:29], s[10:11]
	v_fma_f64 v[36:37], v[16:17], v[36:37], s[8:9]
	v_add_f64 v[54:55], -v[38:39], 1.0
	v_fma_f64 v[48:49], v[24:25], v[48:49], s[8:9]
	v_add_f64 v[68:69], -v[50:51], 1.0
	v_add_f64 v[26:27], v[18:19], -v[32:33]
	v_fma_f64 v[30:31], v[24:25], v[30:31], s[10:11]
	v_add_f64 v[14:15], v[14:15], -v[22:23]
	v_add_f64 v[22:23], v[18:19], v[32:33]
	v_fma_f64 v[28:29], v[16:17], v[28:29], s[2:3]
	v_fma_f64 v[36:37], v[16:17], v[36:37], s[12:13]
	v_add_f64 v[82:83], -v[54:55], 1.0
	v_fma_f64 v[48:49], v[24:25], v[48:49], s[12:13]
	v_add_f64 v[34:35], v[68:69], -v[34:35]
	v_add_f64 v[64:65], v[18:19], -v[26:27]
	v_fma_f64 v[30:31], v[24:25], v[30:31], s[2:3]
	v_ldexp_f64 v[14:15], v[14:15], -2
	v_add_f64 v[18:19], v[22:23], -v[18:19]
	s_mov_b32 s2, 0x16c16967
	s_mov_b32 s3, 0xbf56c16c
	v_fma_f64 v[28:29], v[66:67], v[28:29], v[52:53]
	v_fma_f64 v[36:37], v[16:17], v[36:37], s[2:3]
	v_add_f64 v[38:39], v[82:83], -v[38:39]
	v_fma_f64 v[48:49], v[24:25], v[48:49], s[2:3]
	v_mul_f64 v[52:53], v[16:17], v[16:17]
	v_fma_f64 v[34:35], v[4:5], -v[6:7], v[34:35]
	v_add_f64 v[64:65], v[64:65], -v[32:33]
	v_fma_f64 v[30:31], v[80:81], v[30:31], v[70:71]
	v_add_f64 v[18:19], v[32:33], -v[18:19]
	v_add_f64 v[32:33], v[12:13], v[14:15]
	v_fma_f64 v[6:7], v[16:17], v[28:29], -v[6:7]
	v_fma_f64 v[36:37], v[16:17], v[36:37], s[0:1]
	v_mul_f64 v[16:17], v[24:25], v[24:25]
	v_fma_f64 v[28:29], v[8:9], -v[10:11], v[38:39]
	v_fma_f64 v[38:39], v[24:25], v[48:49], s[0:1]
	s_mov_b32 s1, 0xbfc55555
	v_add_f64 v[12:13], v[12:13], v[64:65]
	v_fma_f64 v[10:11], v[24:25], v[30:31], -v[10:11]
	v_add_f64 v[18:19], v[32:33], v[18:19]
	v_fma_f64 v[6:7], v[66:67], s[0:1], v[6:7]
	v_fma_f64 v[16:17], v[16:17], v[38:39], v[28:29]
	v_add_f64 v[12:13], v[12:13], -v[14:15]
	v_fma_f64 v[14:15], v[52:53], v[36:37], v[34:35]
	v_fma_f64 v[10:11], v[80:81], s[0:1], v[10:11]
	s_mov_b32 s0, 0x8fb9f87e
	s_mov_b32 s1, 0x408633ce
	v_add_f64 v[18:19], v[22:23], v[18:19]
	v_cmp_ge_f64_e64 s3, |v[0:1]|, s[0:1]
	v_add_f64 v[4:5], v[4:5], -v[6:7]
	v_cmp_class_f64_e64 s1, v[2:3], 0x1f8
	v_lshlrev_b32_e32 v2, 30, v21
	v_add_f64 v[6:7], v[54:55], v[16:17]
	s_delay_alu instid0(VALU_DEP_2)
	v_xor_b32_e32 v2, v2, v3
	v_add_f64 v[12:13], v[26:27], v[12:13]
	v_add_f64 v[14:15], v[50:51], v[14:15]
	v_add_f64 v[8:9], v[8:9], -v[10:11]
	v_cndmask_b32_e64 v10, v19, 0x7ff00000, s3
	v_xor_b32_e32 v5, 0x80000000, v5
	v_cndmask_b32_e64 v12, v12, 0, s3
	s_delay_alu instid0(VALU_DEP_1) | instskip(SKIP_1) | instid1(VALU_DEP_1)
	v_dual_cndmask_b32 v0, v12, v0 :: v_dual_and_b32 v3, 0x7fffffff, v1
	v_and_b32_e32 v11, 1, v20
	v_cmp_eq_u32_e64 s0, 0, v11
	v_lshlrev_b32_e32 v11, 30, v20
	s_delay_alu instid0(VALU_DEP_2) | instskip(SKIP_1) | instid1(VALU_DEP_3)
	v_cndmask_b32_e64 v4, v4, v14, s0
	v_and_b32_e32 v14, 1, v21
	v_and_b32_e32 v11, 0x80000000, v11
	v_cndmask_b32_e64 v5, v5, v15, s0
	s_delay_alu instid0(VALU_DEP_3) | instskip(SKIP_1) | instid1(VALU_DEP_3)
	v_cmp_eq_u32_e64 s2, 0, v14
	v_and_b32_e32 v14, 0x80000000, v2
	v_xor_b32_e32 v5, v5, v11
	v_cndmask_b32_e64 v2, 0, v4, s1
	s_delay_alu instid0(VALU_DEP_4) | instskip(SKIP_3) | instid1(VALU_DEP_4)
	v_cndmask_b32_e64 v6, v6, v8, s2
	v_cndmask_b32_e64 v8, v13, 0x7ff00000, s3
	;; [unrolled: 1-line block ×5, first 2 shown]
	s_delay_alu instid0(VALU_DEP_4) | instskip(NEXT) | instid1(VALU_DEP_4)
	v_cndmask_b32_e32 v4, v8, v3, vcc_lo
	v_xor_b32_e32 v7, v7, v14
	v_cndmask_b32_e64 v3, 0x7ff80000, v5, s1
	s_delay_alu instid0(VALU_DEP_3) | instskip(NEXT) | instid1(VALU_DEP_3)
	v_bfi_b32 v1, 0x7fffffff, v4, v1
	v_cndmask_b32_e64 v7, 0x7ff80000, v7, s1
	s_delay_alu instid0(VALU_DEP_3) | instskip(NEXT) | instid1(VALU_DEP_2)
	v_mul_f64 v[4:5], v[9:10], v[2:3]
	v_mul_f64 v[6:7], v[0:1], v[6:7]
.LBB80_82:
	s_or_b32 exec_lo, exec_lo, s6
                                        ; implicit-def: $vgpr0_vgpr1
                                        ; implicit-def: $vgpr2_vgpr3
.LBB80_83:
	s_and_not1_saveexec_b32 s0, s5
	s_cbranch_execz .LBB80_85
; %bb.84:
	s_mov_b32 s3, 0xbfe62e42
	s_mov_b32 s2, 0xfefa39ef
	s_mov_b32 s7, 0x3fe62e42
	s_delay_alu instid0(VALU_DEP_4) | instskip(SKIP_2) | instid1(VALU_DEP_1)
	v_add_f64 v[4:5], |v[0:1]|, s[2:3]
	s_mov_b32 s6, s2
	s_mov_b32 s2, 0xfefa3000
	v_add_f64 v[6:7], v[4:5], -|v[0:1]|
	s_delay_alu instid0(VALU_DEP_1) | instskip(SKIP_3) | instid1(VALU_DEP_2)
	v_add_f64 v[8:9], v[6:7], -v[4:5]
	v_add_f64 v[6:7], v[6:7], s[6:7]
	s_mov_b32 s6, 0x3b39803f
	s_mov_b32 s7, 0xbc7abc9e
	v_add_f64 v[8:9], |v[0:1]|, v[8:9]
	s_delay_alu instid0(VALU_DEP_1) | instskip(NEXT) | instid1(VALU_DEP_1)
	v_add_f64 v[6:7], v[8:9], -v[6:7]
	v_add_f64 v[6:7], v[6:7], s[6:7]
	s_mov_b32 s6, 0x652b82fe
	s_mov_b32 s7, 0x3ff71547
	s_delay_alu instid0(VALU_DEP_1) | instskip(NEXT) | instid1(VALU_DEP_1)
	v_add_f64 v[8:9], v[4:5], v[6:7]
	v_mul_f64 v[10:11], v[8:9], s[6:7]
	v_add_f64 v[4:5], v[4:5], -v[8:9]
	s_mov_b32 s6, 0x6a5dcb37
	s_mov_b32 s7, 0x3e5ade15
	s_delay_alu instid0(VALU_DEP_2) | instskip(NEXT) | instid1(VALU_DEP_2)
	v_rndne_f64_e32 v[10:11], v[10:11]
	v_add_f64 v[4:5], v[6:7], v[4:5]
	s_delay_alu instid0(VALU_DEP_2) | instskip(SKIP_2) | instid1(SALU_CYCLE_1)
	v_fma_f64 v[6:7], v[10:11], s[2:3], v[8:9]
	s_mov_b32 s2, 0xf278e000
	s_mov_b32 s3, 0xbd53de6a
	v_mul_f64 v[8:9], v[10:11], s[2:3]
	s_mov_b32 s2, 0xf97b57a0
	s_mov_b32 s3, 0xbac9cc01
	s_delay_alu instid0(VALU_DEP_2) | instskip(NEXT) | instid1(VALU_DEP_1)
	v_add_f64 v[12:13], v[4:5], v[6:7]
	v_add_f64 v[14:15], v[12:13], v[8:9]
	v_add_f64 v[6:7], v[6:7], -v[12:13]
	s_delay_alu instid0(VALU_DEP_2) | instskip(NEXT) | instid1(VALU_DEP_2)
	v_add_f64 v[12:13], v[12:13], -v[14:15]
	v_add_f64 v[4:5], v[4:5], v[6:7]
	s_delay_alu instid0(VALU_DEP_2) | instskip(NEXT) | instid1(VALU_DEP_1)
	v_add_f64 v[6:7], v[12:13], v[8:9]
	v_add_f64 v[4:5], v[4:5], v[6:7]
	v_mul_f64 v[6:7], v[10:11], s[2:3]
	s_mov_b32 s2, 0xfca7ab0c
	s_mov_b32 s3, 0x3e928af3
	s_delay_alu instid0(VALU_DEP_2) | instskip(NEXT) | instid1(VALU_DEP_1)
	v_add_f64 v[8:9], v[14:15], v[4:5]
	v_add_f64 v[12:13], v[8:9], v[6:7]
	v_add_f64 v[14:15], v[14:15], -v[8:9]
	s_delay_alu instid0(VALU_DEP_2) | instskip(NEXT) | instid1(VALU_DEP_2)
	v_add_f64 v[8:9], v[8:9], -v[12:13]
	v_add_f64 v[4:5], v[4:5], v[14:15]
	s_delay_alu instid0(VALU_DEP_2) | instskip(NEXT) | instid1(VALU_DEP_1)
	v_add_f64 v[6:7], v[8:9], v[6:7]
	v_add_f64 v[4:5], v[4:5], v[6:7]
	s_delay_alu instid0(VALU_DEP_1) | instskip(NEXT) | instid1(VALU_DEP_1)
	v_add_f64 v[6:7], v[12:13], v[4:5]
	v_fma_f64 v[8:9], v[6:7], s[6:7], s[2:3]
	s_mov_b32 s2, 0x623fde64
	s_mov_b32 s3, 0x3ec71dee
	v_add_f64 v[12:13], v[12:13], -v[6:7]
	v_mul_f64 v[14:15], v[6:7], v[6:7]
	s_delay_alu instid0(VALU_DEP_3) | instskip(SKIP_2) | instid1(VALU_DEP_3)
	v_fma_f64 v[8:9], v[6:7], v[8:9], s[2:3]
	s_mov_b32 s2, 0x7c89e6b0
	s_mov_b32 s3, 0x3efa0199
	v_add_f64 v[4:5], v[4:5], v[12:13]
	s_delay_alu instid0(VALU_DEP_3) | instskip(NEXT) | instid1(VALU_DEP_3)
	v_fma_f64 v[12:13], v[6:7], v[6:7], -v[14:15]
	v_fma_f64 v[8:9], v[6:7], v[8:9], s[2:3]
	s_mov_b32 s2, 0x14761f6e
	s_mov_b32 s3, 0x3f2a01a0
	s_delay_alu instid0(VALU_DEP_3) | instskip(NEXT) | instid1(VALU_DEP_2)
	v_add_f64 v[16:17], v[4:5], v[4:5]
	v_fma_f64 v[8:9], v[6:7], v[8:9], s[2:3]
	s_mov_b32 s2, 0x1852b7b0
	s_mov_b32 s3, 0x3f56c16c
	s_delay_alu instid0(VALU_DEP_2) | instskip(NEXT) | instid1(VALU_DEP_2)
	v_fma_f64 v[12:13], v[6:7], v[16:17], v[12:13]
	v_fma_f64 v[8:9], v[6:7], v[8:9], s[2:3]
	s_mov_b32 s2, 0x11122322
	s_mov_b32 s3, 0x3f811111
	s_delay_alu instid0(VALU_DEP_2) | instskip(NEXT) | instid1(VALU_DEP_2)
	v_add_f64 v[16:17], v[14:15], v[12:13]
	v_fma_f64 v[8:9], v[6:7], v[8:9], s[2:3]
	s_mov_b32 s2, 0x555502a1
	s_mov_b32 s3, 0x3fa55555
	s_delay_alu instid0(VALU_DEP_2) | instskip(NEXT) | instid1(VALU_DEP_2)
	v_add_f64 v[14:15], v[16:17], -v[14:15]
	v_fma_f64 v[8:9], v[6:7], v[8:9], s[2:3]
	s_mov_b32 s2, 0x55555511
	s_mov_b32 s3, 0x3fc55555
	s_delay_alu instid0(VALU_DEP_2) | instskip(NEXT) | instid1(VALU_DEP_2)
	v_add_f64 v[12:13], v[12:13], -v[14:15]
	v_fma_f64 v[8:9], v[6:7], v[8:9], s[2:3]
	s_mov_b32 s2, 11
	s_mov_b32 s3, 0x3fe00000
	s_delay_alu instid0(VALU_DEP_1) | instid1(SALU_CYCLE_1)
	v_fma_f64 v[8:9], v[6:7], v[8:9], s[2:3]
	s_mov_b32 s2, 0x8fb9f87e
	s_mov_b32 s3, 0x408633ce
	s_delay_alu instid0(SALU_CYCLE_1) | instskip(NEXT) | instid1(VALU_DEP_2)
	v_cmp_nge_f64_e64 vcc_lo, |v[0:1]|, s[2:3]
	v_mul_f64 v[18:19], v[16:17], v[8:9]
	s_delay_alu instid0(VALU_DEP_1) | instskip(NEXT) | instid1(VALU_DEP_1)
	v_fma_f64 v[14:15], v[16:17], v[8:9], -v[18:19]
	v_fma_f64 v[8:9], v[12:13], v[8:9], v[14:15]
	s_delay_alu instid0(VALU_DEP_1) | instskip(NEXT) | instid1(VALU_DEP_1)
	v_add_f64 v[12:13], v[18:19], v[8:9]
	v_add_f64 v[14:15], v[6:7], v[12:13]
	v_add_f64 v[16:17], v[12:13], -v[18:19]
	s_delay_alu instid0(VALU_DEP_2) | instskip(NEXT) | instid1(VALU_DEP_2)
	v_add_f64 v[6:7], v[14:15], -v[6:7]
	v_add_f64 v[8:9], v[8:9], -v[16:17]
	v_cvt_i32_f64_e32 v16, v[10:11]
	s_delay_alu instid0(VALU_DEP_3) | instskip(NEXT) | instid1(VALU_DEP_3)
	v_add_f64 v[6:7], v[12:13], -v[6:7]
	v_add_f64 v[4:5], v[4:5], v[8:9]
	s_delay_alu instid0(VALU_DEP_1) | instskip(NEXT) | instid1(VALU_DEP_1)
	v_add_f64 v[4:5], v[4:5], v[6:7]
	v_add_f64 v[6:7], v[14:15], v[4:5]
	s_delay_alu instid0(VALU_DEP_1) | instskip(SKIP_1) | instid1(VALU_DEP_2)
	v_add_f64 v[8:9], v[6:7], 1.0
	v_add_f64 v[12:13], v[6:7], -v[14:15]
	v_add_f64 v[14:15], v[8:9], -1.0
	s_delay_alu instid0(VALU_DEP_2) | instskip(NEXT) | instid1(VALU_DEP_2)
	v_add_f64 v[4:5], v[4:5], -v[12:13]
	v_add_f64 v[6:7], v[6:7], -v[14:15]
	s_delay_alu instid0(VALU_DEP_1) | instskip(NEXT) | instid1(VALU_DEP_1)
	v_add_f64 v[4:5], v[4:5], v[6:7]
	v_add_f64 v[6:7], v[8:9], v[4:5]
	s_delay_alu instid0(VALU_DEP_1) | instskip(SKIP_1) | instid1(VALU_DEP_2)
	v_ldexp_f64 v[10:11], v[6:7], v16
	v_add_f64 v[6:7], v[6:7], -v[8:9]
	v_rcp_f64_e32 v[12:13], v[10:11]
	s_delay_alu instid0(VALU_DEP_1) | instskip(NEXT) | instid1(VALU_DEP_1)
	v_add_f64 v[4:5], v[4:5], -v[6:7]
	v_ldexp_f64 v[4:5], v[4:5], v16
	s_waitcnt_depctr 0xfff
	v_fma_f64 v[14:15], -v[10:11], v[12:13], 1.0
	s_delay_alu instid0(VALU_DEP_1) | instskip(NEXT) | instid1(VALU_DEP_1)
	v_fma_f64 v[12:13], v[14:15], v[12:13], v[12:13]
	v_fma_f64 v[14:15], -v[10:11], v[12:13], 1.0
	s_delay_alu instid0(VALU_DEP_1) | instskip(NEXT) | instid1(VALU_DEP_1)
	v_fma_f64 v[8:9], v[14:15], v[12:13], v[12:13]
	v_mul_f64 v[6:7], v[10:11], v[8:9]
	s_delay_alu instid0(VALU_DEP_1) | instskip(NEXT) | instid1(VALU_DEP_1)
	v_fma_f64 v[12:13], v[8:9], v[10:11], -v[6:7]
	v_fma_f64 v[12:13], v[8:9], v[4:5], v[12:13]
	s_delay_alu instid0(VALU_DEP_1) | instskip(NEXT) | instid1(VALU_DEP_1)
	v_add_f64 v[14:15], v[6:7], v[12:13]
	v_add_f64 v[16:17], -v[14:15], 1.0
	v_add_f64 v[6:7], v[14:15], -v[6:7]
	s_delay_alu instid0(VALU_DEP_2) | instskip(NEXT) | instid1(VALU_DEP_2)
	v_add_f64 v[18:19], -v[16:17], 1.0
	v_add_f64 v[6:7], v[6:7], -v[12:13]
	s_delay_alu instid0(VALU_DEP_2) | instskip(NEXT) | instid1(VALU_DEP_1)
	v_add_f64 v[12:13], v[18:19], -v[14:15]
	v_add_f64 v[6:7], v[6:7], v[12:13]
	s_delay_alu instid0(VALU_DEP_1) | instskip(NEXT) | instid1(VALU_DEP_1)
	v_add_f64 v[12:13], v[16:17], v[6:7]
	v_mul_f64 v[14:15], v[8:9], v[12:13]
	v_add_f64 v[16:17], v[16:17], -v[12:13]
	s_delay_alu instid0(VALU_DEP_2) | instskip(NEXT) | instid1(VALU_DEP_2)
	v_mul_f64 v[18:19], v[10:11], v[14:15]
	v_add_f64 v[6:7], v[6:7], v[16:17]
	s_delay_alu instid0(VALU_DEP_2) | instskip(NEXT) | instid1(VALU_DEP_1)
	v_fma_f64 v[20:21], v[14:15], v[10:11], -v[18:19]
	v_fma_f64 v[20:21], v[14:15], v[4:5], v[20:21]
	s_delay_alu instid0(VALU_DEP_1) | instskip(NEXT) | instid1(VALU_DEP_1)
	v_add_f64 v[22:23], v[18:19], v[20:21]
	v_add_f64 v[24:25], v[12:13], -v[22:23]
	v_add_f64 v[16:17], v[22:23], -v[18:19]
	s_delay_alu instid0(VALU_DEP_2) | instskip(NEXT) | instid1(VALU_DEP_2)
	v_add_f64 v[12:13], v[12:13], -v[24:25]
	v_add_f64 v[16:17], v[16:17], -v[20:21]
	s_delay_alu instid0(VALU_DEP_2) | instskip(NEXT) | instid1(VALU_DEP_1)
	v_add_f64 v[12:13], v[12:13], -v[22:23]
	v_add_f64 v[6:7], v[6:7], v[12:13]
	v_add_f64 v[12:13], v[8:9], v[14:15]
	s_delay_alu instid0(VALU_DEP_2) | instskip(NEXT) | instid1(VALU_DEP_2)
	v_add_f64 v[6:7], v[16:17], v[6:7]
	v_add_f64 v[16:17], v[12:13], -v[8:9]
	s_delay_alu instid0(VALU_DEP_2) | instskip(NEXT) | instid1(VALU_DEP_2)
	v_add_f64 v[6:7], v[24:25], v[6:7]
	v_add_f64 v[14:15], v[14:15], -v[16:17]
	s_delay_alu instid0(VALU_DEP_2) | instskip(NEXT) | instid1(VALU_DEP_1)
	v_mul_f64 v[6:7], v[8:9], v[6:7]
	v_add_f64 v[6:7], v[14:15], v[6:7]
	s_delay_alu instid0(VALU_DEP_1) | instskip(NEXT) | instid1(VALU_DEP_1)
	v_add_f64 v[8:9], v[12:13], v[6:7]
	v_ldexp_f64 v[14:15], v[8:9], -2
	v_add_f64 v[8:9], v[8:9], -v[12:13]
	s_delay_alu instid0(VALU_DEP_2) | instskip(NEXT) | instid1(VALU_DEP_2)
	v_add_f64 v[12:13], v[10:11], v[14:15]
	v_add_f64 v[6:7], v[6:7], -v[8:9]
	s_delay_alu instid0(VALU_DEP_2) | instskip(NEXT) | instid1(VALU_DEP_2)
	v_add_f64 v[8:9], v[12:13], -v[10:11]
	v_ldexp_f64 v[6:7], v[6:7], -2
	s_delay_alu instid0(VALU_DEP_2) | instskip(NEXT) | instid1(VALU_DEP_2)
	v_add_f64 v[8:9], v[14:15], -v[8:9]
	v_add_f64 v[4:5], v[4:5], v[6:7]
	v_mul_f64 v[6:7], v[0:1], v[2:3]
	s_delay_alu instid0(VALU_DEP_2) | instskip(NEXT) | instid1(VALU_DEP_1)
	v_add_f64 v[4:5], v[4:5], v[8:9]
	v_add_f64 v[4:5], v[12:13], v[4:5]
	s_delay_alu instid0(VALU_DEP_1) | instskip(NEXT) | instid1(VALU_DEP_2)
	v_cndmask_b32_e32 v5, 0x7ff00000, v5, vcc_lo
	v_cndmask_b32_e32 v4, 0, v4, vcc_lo
.LBB80_85:
	s_or_b32 exec_lo, exec_lo, s0
.LBB80_86:
	s_delay_alu instid0(SALU_CYCLE_1) | instskip(NEXT) | instid1(VALU_DEP_1)
	s_or_b32 exec_lo, exec_lo, s4
	v_dual_mov_b32 v0, v4 :: v_dual_mov_b32 v1, v5
	s_delay_alu instid0(VALU_DEP_2)
	v_dual_mov_b32 v2, v6 :: v_dual_mov_b32 v3, v7
	s_setpc_b64 s[30:31]
.Lfunc_end80:
	.size	_ZN6thrust23THRUST_200600_302600_NS6detail7complex5ccoshERKNS0_7complexIdEE, .Lfunc_end80-_ZN6thrust23THRUST_200600_302600_NS6detail7complex5ccoshERKNS0_7complexIdEE
                                        ; -- End function
	.section	.AMDGPU.csdata,"",@progbits
; Function info:
; codeLenInByte = 18344
; NumSgprs: 34
; NumVgprs: 84
; ScratchSize: 0
; MemoryBound: 0
	.section	.text._ZN2at6native12_GLOBAL__N_125multi_tensor_apply_kernelINS1_18TensorListMetadataILi2EEENS1_14UnaryOpFunctorIN3c107complexIdEELi2ELi1ELi1EEEJNS0_4CoshIS8_EEEEEvT_T0_DpT1_,"axG",@progbits,_ZN2at6native12_GLOBAL__N_125multi_tensor_apply_kernelINS1_18TensorListMetadataILi2EEENS1_14UnaryOpFunctorIN3c107complexIdEELi2ELi1ELi1EEEJNS0_4CoshIS8_EEEEEvT_T0_DpT1_,comdat
	.globl	_ZN2at6native12_GLOBAL__N_125multi_tensor_apply_kernelINS1_18TensorListMetadataILi2EEENS1_14UnaryOpFunctorIN3c107complexIdEELi2ELi1ELi1EEEJNS0_4CoshIS8_EEEEEvT_T0_DpT1_ ; -- Begin function _ZN2at6native12_GLOBAL__N_125multi_tensor_apply_kernelINS1_18TensorListMetadataILi2EEENS1_14UnaryOpFunctorIN3c107complexIdEELi2ELi1ELi1EEEJNS0_4CoshIS8_EEEEEvT_T0_DpT1_
	.p2align	8
	.type	_ZN2at6native12_GLOBAL__N_125multi_tensor_apply_kernelINS1_18TensorListMetadataILi2EEENS1_14UnaryOpFunctorIN3c107complexIdEELi2ELi1ELi1EEEJNS0_4CoshIS8_EEEEEvT_T0_DpT1_,@function
_ZN2at6native12_GLOBAL__N_125multi_tensor_apply_kernelINS1_18TensorListMetadataILi2EEENS1_14UnaryOpFunctorIN3c107complexIdEELi2ELi1ELi1EEEJNS0_4CoshIS8_EEEEEvT_T0_DpT1_: ; @_ZN2at6native12_GLOBAL__N_125multi_tensor_apply_kernelINS1_18TensorListMetadataILi2EEENS1_14UnaryOpFunctorIN3c107complexIdEELi2ELi1ELi1EEEJNS0_4CoshIS8_EEEEEvT_T0_DpT1_
; %bb.0:
	v_mov_b32_e32 v60, v0
	v_mov_b32_e32 v0, s15
	s_mov_b64 s[18:19], s[0:1]
	s_mov_b32 s5, 0
	s_mov_b32 s32, 0
	;; [unrolled: 1-line block ×3, first 2 shown]
	global_load_u8 v0, v0, s[0:1] offset:1536
	s_add_u32 s0, s18, s15
	s_mul_hi_u32 s1, s15, 3
	s_mul_i32 s15, s15, 3
	s_addc_u32 s2, s19, 0
	s_add_u32 s0, s0, s15
	s_addc_u32 s1, s2, s1
	s_mov_b32 s9, s5
	s_load_b32 s0, s[0:1], 0x740
	s_waitcnt vmcnt(0)
	v_readfirstlane_b32 s3, v0
	s_delay_alu instid0(VALU_DEP_1)
	s_lshl_b32 s1, s3, 3
	s_clause 0x2
	s_load_b64 s[20:21], s[18:19], s1 offset:0x0
	s_load_b64 s[34:35], s[18:19], s1 offset:0x200
	s_load_b64 s[2:3], s[18:19], s1 offset:0x400
	s_waitcnt lgkmcnt(0)
	s_ashr_i32 s1, s0, 31
	s_delay_alu instid0(SALU_CYCLE_1) | instskip(NEXT) | instid1(SALU_CYCLE_1)
	s_lshl_b64 s[22:23], s[0:1], 20
	s_add_u32 s26, s20, s22
	s_addc_u32 s27, s21, s23
	s_add_u32 s28, s34, s22
	s_addc_u32 s29, s35, s23
	s_and_b32 s6, s26, 63
	s_and_b32 s8, s2, 3
	;; [unrolled: 1-line block ×3, first 2 shown]
	s_or_b64 s[6:7], s[6:7], s[8:9]
	s_lshl_b64 s[0:1], s[0:1], 16
	s_or_b64 s[4:5], s[4:5], s[6:7]
	s_sub_u32 s24, s2, s0
	s_subb_u32 s25, s3, s1
	s_cmp_eq_u64 s[4:5], 0
	s_mov_b32 s0, -1
	s_cbranch_scc0 .LBB81_5
; %bb.1:
	v_dual_mov_b32 v62, 0 :: v_dual_lshlrev_b32 v61, 2, v60
	s_mov_b32 s33, exec_lo
	s_delay_alu instid0(VALU_DEP_1)
	v_cmpx_gt_i64_e64 s[24:25], v[61:62]
	s_cbranch_execz .LBB81_4
; %bb.2:
	s_load_b32 s0, s[18:19], 0xc5c
	v_lshlrev_b32_e32 v63, 6, v60
	s_mov_b32 s36, 0
	s_waitcnt lgkmcnt(0)
	s_and_b32 s0, s0, 0xffff
	s_delay_alu instid0(SALU_CYCLE_1)
	v_add_lshl_u32 v61, v60, s0, 2
	s_lshl_b32 s37, s0, 2
	s_lshl_b32 s38, s0, 6
.LBB81_3:                               ; =>This Inner Loop Header: Depth=1
	v_add_co_u32 v4, s0, s26, v63
	s_delay_alu instid0(VALU_DEP_1)
	v_add_co_ci_u32_e64 v5, null, s27, 0, s0
	s_getpc_b64 s[40:41]
	s_add_u32 s40, s40, _ZN6thrust23THRUST_200600_302600_NS6detail7complex5ccoshERKNS0_7complexIdEE@rel32@lo+4
	s_addc_u32 s41, s41, _ZN6thrust23THRUST_200600_302600_NS6detail7complex5ccoshERKNS0_7complexIdEE@rel32@hi+12
	s_clause 0x3
	global_load_b128 v[0:3], v[4:5], off
	global_load_b128 v[40:43], v[4:5], off offset:16
	global_load_b128 v[44:47], v[4:5], off offset:48
	;; [unrolled: 1-line block ×3, first 2 shown]
	s_swappc_b64 s[30:31], s[40:41]
	v_dual_mov_b32 v72, v0 :: v_dual_mov_b32 v73, v1
	v_dual_mov_b32 v74, v2 :: v_dual_mov_b32 v75, v3
	;; [unrolled: 1-line block ×4, first 2 shown]
	s_swappc_b64 s[30:31], s[40:41]
	s_delay_alu instid0(VALU_DEP_2) | instskip(NEXT) | instid1(VALU_DEP_2)
	v_dual_mov_b32 v40, v0 :: v_dual_mov_b32 v41, v1
	v_dual_mov_b32 v42, v2 :: v_dual_mov_b32 v43, v3
	;; [unrolled: 1-line block ×4, first 2 shown]
	s_swappc_b64 s[30:31], s[40:41]
	s_delay_alu instid0(VALU_DEP_2) | instskip(NEXT) | instid1(VALU_DEP_2)
	v_dual_mov_b32 v56, v0 :: v_dual_mov_b32 v57, v1
	v_dual_mov_b32 v58, v2 :: v_dual_mov_b32 v59, v3
	v_dual_mov_b32 v0, v44 :: v_dual_mov_b32 v1, v45
	v_dual_mov_b32 v2, v46 :: v_dual_mov_b32 v3, v47
	s_swappc_b64 s[30:31], s[40:41]
	v_add_co_u32 v4, s0, s28, v63
	s_delay_alu instid0(VALU_DEP_1) | instskip(SKIP_3) | instid1(VALU_DEP_1)
	v_add_co_ci_u32_e64 v5, null, s29, 0, s0
	v_cmp_le_i64_e32 vcc_lo, s[24:25], v[61:62]
	v_cmp_lt_u64_e64 s0, 0xffff, v[61:62]
	v_add_co_u32 v61, s1, v61, s37
	v_add_co_ci_u32_e64 v62, s1, 0, v62, s1
	s_clause 0x1
	global_store_b128 v[4:5], v[72:75], off
	global_store_b128 v[4:5], v[40:43], off offset:16
	s_or_b32 s0, vcc_lo, s0
	s_add_u32 s26, s26, s38
	s_addc_u32 s27, s27, 0
	s_add_u32 s28, s28, s38
	s_addc_u32 s29, s29, 0
	s_and_b32 s0, exec_lo, s0
	s_clause 0x1
	global_store_b128 v[4:5], v[56:59], off offset:32
	global_store_b128 v[4:5], v[0:3], off offset:48
	s_or_b32 s36, s0, s36
	s_delay_alu instid0(SALU_CYCLE_1)
	s_and_not1_b32 exec_lo, exec_lo, s36
	s_cbranch_execnz .LBB81_3
.LBB81_4:
	s_or_b32 exec_lo, exec_lo, s33
	s_mov_b32 s0, 0
.LBB81_5:
	s_delay_alu instid0(SALU_CYCLE_1)
	s_and_not1_b32 vcc_lo, exec_lo, s0
	s_cbranch_vccnz .LBB81_25
; %bb.6:
	v_cmp_lt_i64_e64 s0, s[24:25], 1
	s_delay_alu instid0(VALU_DEP_1)
	s_and_b32 vcc_lo, exec_lo, s0
	s_cbranch_vccnz .LBB81_25
; %bb.7:
	s_load_b32 s0, s[18:19], 0xc5c
	v_mov_b32_e32 v61, 0
	v_lshl_or_b32 v0, v60, 4, 8
	v_cmp_gt_u64_e64 s1, 0x10000, s[24:25]
	s_mov_b32 s27, 0
	s_delay_alu instid0(VALU_DEP_3) | instskip(NEXT) | instid1(VALU_DEP_3)
	v_mov_b32_e32 v1, v61
	v_add_co_u32 v62, s2, s20, v0
	s_delay_alu instid0(VALU_DEP_1) | instskip(SKIP_1) | instid1(VALU_DEP_1)
	v_add_co_ci_u32_e64 v63, null, s21, 0, s2
	v_add_co_u32 v72, s2, s34, v0
	v_add_co_ci_u32_e64 v73, null, s35, 0, s2
	s_waitcnt lgkmcnt(0)
	s_and_b32 s33, s0, 0xffff
	s_and_b32 s0, s1, exec_lo
	v_add_lshl_u32 v4, v60, s33, 4
	v_mad_u64_u32 v[2:3], null, s33, 48, v[0:1]
	s_cselect_b32 s29, s25, 0
	s_cselect_b32 s28, s24, 0x10000
	s_delay_alu instid0(VALU_DEP_2) | instskip(NEXT) | instid1(VALU_DEP_1)
	v_add_co_u32 v74, s0, s34, v4
	v_add_co_ci_u32_e64 v75, null, s35, 0, s0
	v_add_co_u32 v78, s0, s20, v4
	s_delay_alu instid0(VALU_DEP_1)
	v_add_co_ci_u32_e64 v79, null, s21, 0, s0
	s_lshl_b32 s0, s33, 5
	v_add_co_u32 v76, vcc_lo, s20, v2
	v_add_co_u32 v0, s0, v0, s0
	v_add_co_ci_u32_e32 v77, vcc_lo, s21, v3, vcc_lo
	v_add_co_ci_u32_e64 v1, null, 0, 0, s0
	v_add_co_u32 v84, vcc_lo, s34, v2
	v_add_co_ci_u32_e32 v85, vcc_lo, s35, v3, vcc_lo
	v_add_co_u32 v86, vcc_lo, s20, v0
	s_delay_alu instid0(VALU_DEP_4)
	v_add_co_ci_u32_e32 v87, vcc_lo, s21, v1, vcc_lo
	v_add_co_u32 v88, vcc_lo, s34, v0
	v_add_co_ci_u32_e32 v89, vcc_lo, s35, v1, vcc_lo
	s_lshl_b32 s26, s33, 2
	s_lshl_b32 s36, s33, 1
	s_mul_i32 s37, s33, 3
	s_lshl_b32 s21, s33, 6
	s_mov_b64 s[34:35], s[26:27]
	s_branch .LBB81_9
.LBB81_8:                               ;   in Loop: Header=BB81_9 Depth=1
	s_or_b32 exec_lo, exec_lo, s19
	v_add_co_u32 v60, vcc_lo, v60, s26
	v_add_co_ci_u32_e32 v61, vcc_lo, 0, v61, vcc_lo
	v_add_co_u32 v62, vcc_lo, v62, s21
	v_add_co_ci_u32_e32 v63, vcc_lo, 0, v63, vcc_lo
	;; [unrolled: 2-line block ×7, first 2 shown]
	v_cmp_ge_i64_e64 s0, s[34:35], s[24:25]
	v_cmp_lt_u64_e64 s1, 0xffff, s[34:35]
	v_add_co_u32 v86, vcc_lo, v86, s21
	v_add_co_ci_u32_e32 v87, vcc_lo, 0, v87, vcc_lo
	v_add_co_u32 v88, vcc_lo, v88, s21
	v_add_co_ci_u32_e32 v89, vcc_lo, 0, v89, vcc_lo
	s_or_b32 s0, s0, s1
	s_add_u32 s34, s34, s26
	s_addc_u32 s35, s35, 0
	s_and_b32 vcc_lo, exec_lo, s0
	s_cbranch_vccnz .LBB81_25
.LBB81_9:                               ; =>This Inner Loop Header: Depth=1
	s_waitcnt vmcnt(0)
	v_mov_b32_e32 v46, 0
	v_mov_b32_e32 v47, 0
	v_cmp_gt_u64_e32 vcc_lo, s[28:29], v[60:61]
	s_delay_alu instid0(VALU_DEP_3) | instskip(NEXT) | instid1(VALU_DEP_3)
	v_mov_b32_e32 v2, v46
	v_dual_mov_b32 v0, v46 :: v_dual_mov_b32 v1, v47
	v_mov_b32_e32 v3, v47
	s_and_saveexec_b32 s1, vcc_lo
	s_cbranch_execz .LBB81_11
; %bb.10:                               ;   in Loop: Header=BB81_9 Depth=1
	v_add_co_u32 v0, s0, v62, s22
	s_delay_alu instid0(VALU_DEP_1)
	v_add_co_ci_u32_e64 v1, s0, s23, v63, s0
	global_load_b128 v[0:3], v[0:1], off offset:-8
.LBB81_11:                              ;   in Loop: Header=BB81_9 Depth=1
	s_or_b32 exec_lo, exec_lo, s1
	v_add_co_u32 v4, s0, s33, v60
	s_delay_alu instid0(VALU_DEP_1) | instskip(SKIP_1) | instid1(VALU_DEP_2)
	v_add_co_ci_u32_e64 v5, s0, 0, v61, s0
	v_dual_mov_b32 v44, v46 :: v_dual_mov_b32 v45, v47
	v_cmp_gt_u64_e64 s20, s[28:29], v[4:5]
	s_delay_alu instid0(VALU_DEP_1)
	s_and_saveexec_b32 s1, s20
	s_cbranch_execz .LBB81_13
; %bb.12:                               ;   in Loop: Header=BB81_9 Depth=1
	v_add_co_u32 v4, s0, v78, s22
	s_delay_alu instid0(VALU_DEP_1)
	v_add_co_ci_u32_e64 v5, s0, s23, v79, s0
	global_load_b128 v[44:47], v[4:5], off
.LBB81_13:                              ;   in Loop: Header=BB81_9 Depth=1
	s_or_b32 exec_lo, exec_lo, s1
	v_add_co_u32 v4, s0, s36, v60
	s_delay_alu instid0(VALU_DEP_1) | instskip(SKIP_2) | instid1(VALU_DEP_3)
	v_add_co_ci_u32_e64 v5, s0, 0, v61, s0
	v_mov_b32_e32 v42, 0
	v_mov_b32_e32 v43, 0
	v_cmp_gt_u64_e64 s19, s[28:29], v[4:5]
	s_delay_alu instid0(VALU_DEP_2) | instskip(SKIP_1) | instid1(VALU_DEP_3)
	v_dual_mov_b32 v59, v43 :: v_dual_mov_b32 v58, v42
	v_dual_mov_b32 v57, v43 :: v_dual_mov_b32 v56, v42
	s_and_saveexec_b32 s1, s19
	s_cbranch_execz .LBB81_15
; %bb.14:                               ;   in Loop: Header=BB81_9 Depth=1
	v_add_co_u32 v4, s0, v86, s22
	s_delay_alu instid0(VALU_DEP_1)
	v_add_co_ci_u32_e64 v5, s0, s23, v87, s0
	global_load_b128 v[56:59], v[4:5], off offset:-8
.LBB81_15:                              ;   in Loop: Header=BB81_9 Depth=1
	s_or_b32 exec_lo, exec_lo, s1
	v_add_co_u32 v4, s0, s37, v60
	s_delay_alu instid0(VALU_DEP_1) | instskip(SKIP_1) | instid1(VALU_DEP_2)
	v_add_co_ci_u32_e64 v5, s0, 0, v61, s0
	v_dual_mov_b32 v40, v42 :: v_dual_mov_b32 v41, v43
	v_cmp_gt_u64_e64 s18, s[28:29], v[4:5]
	s_delay_alu instid0(VALU_DEP_1)
	s_and_saveexec_b32 s1, s18
	s_cbranch_execnz .LBB81_20
; %bb.16:                               ;   in Loop: Header=BB81_9 Depth=1
	s_or_b32 exec_lo, exec_lo, s1
	s_and_saveexec_b32 s27, vcc_lo
	s_cbranch_execnz .LBB81_21
.LBB81_17:                              ;   in Loop: Header=BB81_9 Depth=1
	s_or_b32 exec_lo, exec_lo, s27
	s_and_saveexec_b32 s27, s20
	s_cbranch_execnz .LBB81_22
.LBB81_18:                              ;   in Loop: Header=BB81_9 Depth=1
	s_or_b32 exec_lo, exec_lo, s27
	s_and_saveexec_b32 s20, s19
	s_cbranch_execnz .LBB81_23
.LBB81_19:                              ;   in Loop: Header=BB81_9 Depth=1
	s_or_b32 exec_lo, exec_lo, s20
	s_and_saveexec_b32 s19, s18
	s_cbranch_execz .LBB81_8
	s_branch .LBB81_24
.LBB81_20:                              ;   in Loop: Header=BB81_9 Depth=1
	v_add_co_u32 v4, s0, v76, s22
	s_delay_alu instid0(VALU_DEP_1)
	v_add_co_ci_u32_e64 v5, s0, s23, v77, s0
	global_load_b128 v[40:43], v[4:5], off offset:-8
	s_or_b32 exec_lo, exec_lo, s1
	s_and_saveexec_b32 s27, vcc_lo
	s_cbranch_execz .LBB81_17
.LBB81_21:                              ;   in Loop: Header=BB81_9 Depth=1
	s_getpc_b64 s[0:1]
	s_add_u32 s0, s0, _ZN6thrust23THRUST_200600_302600_NS6detail7complex5ccoshERKNS0_7complexIdEE@rel32@lo+4
	s_addc_u32 s1, s1, _ZN6thrust23THRUST_200600_302600_NS6detail7complex5ccoshERKNS0_7complexIdEE@rel32@hi+12
	s_delay_alu instid0(SALU_CYCLE_1)
	s_swappc_b64 s[30:31], s[0:1]
	v_add_co_u32 v4, vcc_lo, v72, s22
	v_add_co_ci_u32_e32 v5, vcc_lo, s23, v73, vcc_lo
	global_store_b128 v[4:5], v[0:3], off offset:-8
	s_or_b32 exec_lo, exec_lo, s27
	s_and_saveexec_b32 s27, s20
	s_cbranch_execz .LBB81_18
.LBB81_22:                              ;   in Loop: Header=BB81_9 Depth=1
	s_waitcnt vmcnt(0)
	v_dual_mov_b32 v0, v44 :: v_dual_mov_b32 v1, v45
	v_dual_mov_b32 v2, v46 :: v_dual_mov_b32 v3, v47
	s_getpc_b64 s[0:1]
	s_add_u32 s0, s0, _ZN6thrust23THRUST_200600_302600_NS6detail7complex5ccoshERKNS0_7complexIdEE@rel32@lo+4
	s_addc_u32 s1, s1, _ZN6thrust23THRUST_200600_302600_NS6detail7complex5ccoshERKNS0_7complexIdEE@rel32@hi+12
	s_delay_alu instid0(SALU_CYCLE_1)
	s_swappc_b64 s[30:31], s[0:1]
	v_add_co_u32 v4, vcc_lo, v74, s22
	v_add_co_ci_u32_e32 v5, vcc_lo, s23, v75, vcc_lo
	global_store_b128 v[4:5], v[0:3], off
	s_or_b32 exec_lo, exec_lo, s27
	s_and_saveexec_b32 s20, s19
	s_cbranch_execz .LBB81_19
.LBB81_23:                              ;   in Loop: Header=BB81_9 Depth=1
	s_waitcnt vmcnt(0)
	v_dual_mov_b32 v0, v56 :: v_dual_mov_b32 v1, v57
	v_dual_mov_b32 v2, v58 :: v_dual_mov_b32 v3, v59
	s_getpc_b64 s[0:1]
	s_add_u32 s0, s0, _ZN6thrust23THRUST_200600_302600_NS6detail7complex5ccoshERKNS0_7complexIdEE@rel32@lo+4
	s_addc_u32 s1, s1, _ZN6thrust23THRUST_200600_302600_NS6detail7complex5ccoshERKNS0_7complexIdEE@rel32@hi+12
	s_delay_alu instid0(SALU_CYCLE_1)
	s_swappc_b64 s[30:31], s[0:1]
	v_add_co_u32 v4, vcc_lo, v88, s22
	v_add_co_ci_u32_e32 v5, vcc_lo, s23, v89, vcc_lo
	global_store_b128 v[4:5], v[0:3], off offset:-8
	s_or_b32 exec_lo, exec_lo, s20
	s_and_saveexec_b32 s19, s18
	s_cbranch_execz .LBB81_8
.LBB81_24:                              ;   in Loop: Header=BB81_9 Depth=1
	s_waitcnt vmcnt(0)
	v_dual_mov_b32 v0, v40 :: v_dual_mov_b32 v1, v41
	v_dual_mov_b32 v2, v42 :: v_dual_mov_b32 v3, v43
	s_getpc_b64 s[0:1]
	s_add_u32 s0, s0, _ZN6thrust23THRUST_200600_302600_NS6detail7complex5ccoshERKNS0_7complexIdEE@rel32@lo+4
	s_addc_u32 s1, s1, _ZN6thrust23THRUST_200600_302600_NS6detail7complex5ccoshERKNS0_7complexIdEE@rel32@hi+12
	s_delay_alu instid0(SALU_CYCLE_1)
	s_swappc_b64 s[30:31], s[0:1]
	v_add_co_u32 v4, vcc_lo, v84, s22
	v_add_co_ci_u32_e32 v5, vcc_lo, s23, v85, vcc_lo
	global_store_b128 v[4:5], v[0:3], off offset:-8
	s_branch .LBB81_8
.LBB81_25:
	s_endpgm
	.section	.rodata,"a",@progbits
	.p2align	6, 0x0
	.amdhsa_kernel _ZN2at6native12_GLOBAL__N_125multi_tensor_apply_kernelINS1_18TensorListMetadataILi2EEENS1_14UnaryOpFunctorIN3c107complexIdEELi2ELi1ELi1EEEJNS0_4CoshIS8_EEEEEvT_T0_DpT1_
		.amdhsa_group_segment_fixed_size 0
		.amdhsa_private_segment_fixed_size 0
		.amdhsa_kernarg_size 3408
		.amdhsa_user_sgpr_count 15
		.amdhsa_user_sgpr_dispatch_ptr 0
		.amdhsa_user_sgpr_queue_ptr 0
		.amdhsa_user_sgpr_kernarg_segment_ptr 1
		.amdhsa_user_sgpr_dispatch_id 0
		.amdhsa_user_sgpr_private_segment_size 0
		.amdhsa_wavefront_size32 1
		.amdhsa_uses_dynamic_stack 0
		.amdhsa_enable_private_segment 0
		.amdhsa_system_sgpr_workgroup_id_x 1
		.amdhsa_system_sgpr_workgroup_id_y 0
		.amdhsa_system_sgpr_workgroup_id_z 0
		.amdhsa_system_sgpr_workgroup_info 0
		.amdhsa_system_vgpr_workitem_id 0
		.amdhsa_next_free_vgpr 90
		.amdhsa_next_free_sgpr 42
		.amdhsa_reserve_vcc 1
		.amdhsa_float_round_mode_32 0
		.amdhsa_float_round_mode_16_64 0
		.amdhsa_float_denorm_mode_32 3
		.amdhsa_float_denorm_mode_16_64 3
		.amdhsa_dx10_clamp 1
		.amdhsa_ieee_mode 1
		.amdhsa_fp16_overflow 0
		.amdhsa_workgroup_processor_mode 1
		.amdhsa_memory_ordered 1
		.amdhsa_forward_progress 0
		.amdhsa_shared_vgpr_count 0
		.amdhsa_exception_fp_ieee_invalid_op 0
		.amdhsa_exception_fp_denorm_src 0
		.amdhsa_exception_fp_ieee_div_zero 0
		.amdhsa_exception_fp_ieee_overflow 0
		.amdhsa_exception_fp_ieee_underflow 0
		.amdhsa_exception_fp_ieee_inexact 0
		.amdhsa_exception_int_div_zero 0
	.end_amdhsa_kernel
	.section	.text._ZN2at6native12_GLOBAL__N_125multi_tensor_apply_kernelINS1_18TensorListMetadataILi2EEENS1_14UnaryOpFunctorIN3c107complexIdEELi2ELi1ELi1EEEJNS0_4CoshIS8_EEEEEvT_T0_DpT1_,"axG",@progbits,_ZN2at6native12_GLOBAL__N_125multi_tensor_apply_kernelINS1_18TensorListMetadataILi2EEENS1_14UnaryOpFunctorIN3c107complexIdEELi2ELi1ELi1EEEJNS0_4CoshIS8_EEEEEvT_T0_DpT1_,comdat
.Lfunc_end81:
	.size	_ZN2at6native12_GLOBAL__N_125multi_tensor_apply_kernelINS1_18TensorListMetadataILi2EEENS1_14UnaryOpFunctorIN3c107complexIdEELi2ELi1ELi1EEEJNS0_4CoshIS8_EEEEEvT_T0_DpT1_, .Lfunc_end81-_ZN2at6native12_GLOBAL__N_125multi_tensor_apply_kernelINS1_18TensorListMetadataILi2EEENS1_14UnaryOpFunctorIN3c107complexIdEELi2ELi1ELi1EEEJNS0_4CoshIS8_EEEEEvT_T0_DpT1_
                                        ; -- End function
	.section	.AMDGPU.csdata,"",@progbits
; Kernel info:
; codeLenInByte = 1732
; NumSgprs: 44
; NumVgprs: 90
; ScratchSize: 0
; MemoryBound: 1
; FloatMode: 240
; IeeeMode: 1
; LDSByteSize: 0 bytes/workgroup (compile time only)
; SGPRBlocks: 5
; VGPRBlocks: 11
; NumSGPRsForWavesPerEU: 44
; NumVGPRsForWavesPerEU: 90
; Occupancy: 16
; WaveLimiterHint : 0
; COMPUTE_PGM_RSRC2:SCRATCH_EN: 0
; COMPUTE_PGM_RSRC2:USER_SGPR: 15
; COMPUTE_PGM_RSRC2:TRAP_HANDLER: 0
; COMPUTE_PGM_RSRC2:TGID_X_EN: 1
; COMPUTE_PGM_RSRC2:TGID_Y_EN: 0
; COMPUTE_PGM_RSRC2:TGID_Z_EN: 0
; COMPUTE_PGM_RSRC2:TIDIG_COMP_CNT: 0
	.text
	.p2align	2                               ; -- Begin function _ZN6thrust23THRUST_200600_302600_NS6detail7complex6ccoshfERKNS0_7complexIfEE
	.type	_ZN6thrust23THRUST_200600_302600_NS6detail7complex6ccoshfERKNS0_7complexIfEE,@function
_ZN6thrust23THRUST_200600_302600_NS6detail7complex6ccoshfERKNS0_7complexIfEE: ; @_ZN6thrust23THRUST_200600_302600_NS6detail7complex6ccoshfERKNS0_7complexIfEE
; %bb.0:
	s_waitcnt vmcnt(0) expcnt(0) lgkmcnt(0)
	v_and_b32_e32 v5, 0x7fffffff, v0
	v_and_b32_e32 v4, 0x7fffffff, v1
                                        ; implicit-def: $vgpr3
	s_delay_alu instid0(VALU_DEP_2) | instskip(NEXT) | instid1(VALU_DEP_2)
	v_cmp_gt_u32_e64 s0, 0x7f800000, v5
	v_max_u32_e32 v2, v5, v4
	s_delay_alu instid0(VALU_DEP_1) | instskip(SKIP_1) | instid1(SALU_CYCLE_1)
	v_cmp_lt_u32_e32 vcc_lo, 0x7f7fffff, v2
                                        ; implicit-def: $vgpr2
	s_and_saveexec_b32 s1, vcc_lo
	s_xor_b32 s5, exec_lo, s1
	s_cbranch_execz .LBB82_10
; %bb.1:
	v_cmp_ne_u32_e64 s1, 0, v5
	v_cmp_gt_u32_e32 vcc_lo, 0x7f800000, v4
	v_cmp_lt_u32_e64 s2, 0x7f7fffff, v4
                                        ; implicit-def: $vgpr3
                                        ; implicit-def: $vgpr2
	s_delay_alu instid0(VALU_DEP_3) | instskip(NEXT) | instid1(SALU_CYCLE_1)
	s_or_b32 s1, s1, vcc_lo
	s_and_saveexec_b32 s3, s1
	s_delay_alu instid0(SALU_CYCLE_1)
	s_xor_b32 s6, exec_lo, s3
	s_cbranch_execz .LBB82_81
; %bb.2:
	v_cmp_ne_u32_e64 s3, 0, v4
	v_cmp_gt_u32_e64 s4, 0x7f800000, v5
	v_cmp_lt_u32_e64 s1, 0x7f7fffff, v5
                                        ; implicit-def: $vgpr3
                                        ; implicit-def: $vgpr2
	s_delay_alu instid0(VALU_DEP_2) | instskip(NEXT) | instid1(SALU_CYCLE_1)
	s_or_b32 s3, s4, s3
	s_and_saveexec_b32 s4, s3
	s_delay_alu instid0(SALU_CYCLE_1)
	s_xor_b32 s3, exec_lo, s4
	s_cbranch_execz .LBB82_74
; %bb.3:
	s_and_b32 s0, s0, s2
                                        ; implicit-def: $vgpr3
                                        ; implicit-def: $vgpr2
	s_delay_alu instid0(SALU_CYCLE_1) | instskip(NEXT) | instid1(SALU_CYCLE_1)
	s_xor_b32 s0, s0, -1
	s_and_saveexec_b32 s2, s0
	s_delay_alu instid0(SALU_CYCLE_1)
	s_xor_b32 s4, exec_lo, s2
	s_cbranch_execz .LBB82_71
; %bb.4:
	v_and_b32_e32 v2, 0x7fffff, v0
	s_xor_b32 s1, s1, -1
                                        ; implicit-def: $vgpr3
	s_delay_alu instid0(VALU_DEP_1) | instskip(SKIP_1) | instid1(VALU_DEP_2)
	v_cmp_ne_u32_e64 s0, 0, v2
	v_mul_f32_e32 v2, v0, v0
	s_or_b32 s0, s1, s0
	s_delay_alu instid0(SALU_CYCLE_1) | instskip(NEXT) | instid1(SALU_CYCLE_1)
	s_and_saveexec_b32 s1, s0
	s_xor_b32 s0, exec_lo, s1
; %bb.5:
	v_dual_sub_f32 v1, v1, v1 :: v_dual_add_f32 v0, v0, v0
                                        ; implicit-def: $vgpr4
	s_delay_alu instid0(VALU_DEP_1) | instskip(NEXT) | instid1(VALU_DEP_2)
	v_mul_f32_e32 v2, v2, v1
	v_mul_f32_e32 v3, v0, v1
                                        ; implicit-def: $vgpr1
                                        ; implicit-def: $vgpr0
; %bb.6:
	s_and_not1_saveexec_b32 s7, s0
	s_cbranch_execz .LBB82_70
; %bb.7:
                                        ; implicit-def: $vgpr3
	s_and_saveexec_b32 s0, vcc_lo
	s_delay_alu instid0(SALU_CYCLE_1)
	s_xor_b32 s8, exec_lo, s0
	s_cbranch_execz .LBB82_67
; %bb.8:
	v_cmp_ngt_f32_e64 s9, 0x48000000, |v1|
                                        ; implicit-def: $vgpr5
                                        ; implicit-def: $vgpr3
	s_delay_alu instid0(VALU_DEP_1) | instskip(NEXT) | instid1(SALU_CYCLE_1)
	s_and_saveexec_b32 s0, s9
	s_xor_b32 s10, exec_lo, s0
	s_cbranch_execz .LBB82_60
; %bb.9:
	s_mov_b32 s0, 0x7fffff
	v_mov_b32_e32 v7, 0
	v_and_or_b32 v3, v4, s0, 0x800000
	v_lshrrev_b32_e32 v12, 23, v4
	s_delay_alu instid0(VALU_DEP_2) | instskip(NEXT) | instid1(VALU_DEP_2)
	v_mad_u64_u32 v[5:6], null, 0xfe5163ab, v3, 0
	v_add_nc_u32_e32 v13, 0xffffff88, v12
	s_delay_alu instid0(VALU_DEP_1) | instskip(NEXT) | instid1(VALU_DEP_3)
	v_cmp_lt_u32_e32 vcc_lo, 63, v13
	v_mad_u64_u32 v[8:9], null, 0x3c439041, v3, v[6:7]
	v_cndmask_b32_e64 v14, 0, 0xffffffc0, vcc_lo
	s_delay_alu instid0(VALU_DEP_2) | instskip(NEXT) | instid1(VALU_DEP_2)
	v_mov_b32_e32 v6, v9
	v_add_nc_u32_e32 v14, v14, v13
	s_delay_alu instid0(VALU_DEP_2) | instskip(NEXT) | instid1(VALU_DEP_2)
	v_mad_u64_u32 v[9:10], null, 0xdb629599, v3, v[6:7]
	v_cmp_lt_u32_e64 s0, 31, v14
	s_delay_alu instid0(VALU_DEP_1) | instskip(NEXT) | instid1(VALU_DEP_3)
	v_cndmask_b32_e64 v15, 0, 0xffffffe0, s0
	v_dual_mov_b32 v6, v10 :: v_dual_cndmask_b32 v5, v9, v5
	s_delay_alu instid0(VALU_DEP_2) | instskip(NEXT) | instid1(VALU_DEP_2)
	v_add_nc_u32_e32 v15, v15, v14
	v_mad_u64_u32 v[10:11], null, 0xf534ddc0, v3, v[6:7]
	s_delay_alu instid0(VALU_DEP_2) | instskip(NEXT) | instid1(VALU_DEP_2)
	v_cmp_lt_u32_e64 s1, 31, v15
	v_mov_b32_e32 v6, v11
	s_delay_alu instid0(VALU_DEP_3) | instskip(NEXT) | instid1(VALU_DEP_2)
	v_cndmask_b32_e32 v8, v10, v8, vcc_lo
	v_mad_u64_u32 v[11:12], null, 0xfc2757d1, v3, v[6:7]
	s_delay_alu instid0(VALU_DEP_2) | instskip(NEXT) | instid1(VALU_DEP_2)
	v_cndmask_b32_e64 v5, v8, v5, s0
	v_mov_b32_e32 v6, v12
	s_delay_alu instid0(VALU_DEP_1) | instskip(NEXT) | instid1(VALU_DEP_1)
	v_mad_u64_u32 v[12:13], null, 0x4e441529, v3, v[6:7]
	v_mov_b32_e32 v6, v13
	s_delay_alu instid0(VALU_DEP_1) | instskip(SKIP_1) | instid1(VALU_DEP_1)
	v_mad_u64_u32 v[13:14], null, 0xa2f9836e, v3, v[6:7]
	v_cndmask_b32_e64 v3, 0, 0xffffffe0, s1
	v_dual_cndmask_b32 v6, v12, v10 :: v_dual_add_nc_u32 v3, v3, v15
	s_delay_alu instid0(VALU_DEP_3) | instskip(SKIP_1) | instid1(VALU_DEP_3)
	v_dual_cndmask_b32 v7, v13, v11 :: v_dual_cndmask_b32 v12, v14, v12
	v_cndmask_b32_e32 v11, v11, v9, vcc_lo
	v_cmp_eq_u32_e64 s2, 0, v3
	s_delay_alu instid0(VALU_DEP_3) | instskip(NEXT) | instid1(VALU_DEP_4)
	v_cndmask_b32_e64 v10, v7, v6, s0
	v_cndmask_b32_e64 v7, v12, v7, s0
	s_delay_alu instid0(VALU_DEP_4) | instskip(SKIP_2) | instid1(VALU_DEP_4)
	v_cndmask_b32_e64 v6, v6, v11, s0
	v_sub_nc_u32_e32 v12, 32, v3
	v_cndmask_b32_e64 v11, v11, v8, s0
	v_cndmask_b32_e64 v7, v7, v10, s1
	s_delay_alu instid0(VALU_DEP_4) | instskip(NEXT) | instid1(VALU_DEP_3)
	v_cndmask_b32_e64 v10, v10, v6, s1
	v_cndmask_b32_e64 v6, v6, v11, s1
	;; [unrolled: 1-line block ×3, first 2 shown]
	s_delay_alu instid0(VALU_DEP_3) | instskip(NEXT) | instid1(VALU_DEP_3)
	v_alignbit_b32 v13, v7, v10, v12
	v_alignbit_b32 v14, v10, v6, v12
	s_delay_alu instid0(VALU_DEP_3) | instskip(NEXT) | instid1(VALU_DEP_3)
	v_alignbit_b32 v12, v6, v5, v12
	v_cndmask_b32_e64 v3, v13, v7, s2
	s_delay_alu instid0(VALU_DEP_3) | instskip(NEXT) | instid1(VALU_DEP_3)
	v_cndmask_b32_e64 v7, v14, v10, s2
	v_cndmask_b32_e64 v6, v12, v6, s2
	s_delay_alu instid0(VALU_DEP_3) | instskip(NEXT) | instid1(VALU_DEP_3)
	v_bfe_u32 v9, v3, 29, 1
	v_alignbit_b32 v8, v3, v7, 30
	s_delay_alu instid0(VALU_DEP_3) | instskip(SKIP_1) | instid1(VALU_DEP_4)
	v_alignbit_b32 v7, v7, v6, 30
	v_alignbit_b32 v5, v6, v5, 30
	v_sub_nc_u32_e32 v10, 0, v9
	s_delay_alu instid0(VALU_DEP_1) | instskip(SKIP_3) | instid1(VALU_DEP_4)
	v_xor_b32_e32 v11, v8, v10
	v_cmp_ne_u32_e32 vcc_lo, v8, v10
	v_xor_b32_e32 v6, v7, v10
	v_xor_b32_e32 v5, v5, v10
	v_clz_i32_u32_e32 v13, v11
	s_delay_alu instid0(VALU_DEP_1) | instskip(NEXT) | instid1(VALU_DEP_1)
	v_add_nc_u32_e32 v12, 1, v13
	v_cndmask_b32_e32 v8, 33, v12, vcc_lo
	s_delay_alu instid0(VALU_DEP_1) | instskip(NEXT) | instid1(VALU_DEP_1)
	v_sub_nc_u32_e32 v7, 32, v8
	v_alignbit_b32 v10, v11, v6, v7
	v_alignbit_b32 v5, v6, v5, v7
	v_lshrrev_b32_e32 v6, 29, v3
	s_delay_alu instid0(VALU_DEP_2) | instskip(NEXT) | instid1(VALU_DEP_2)
	v_alignbit_b32 v7, v10, v5, 9
	v_lshlrev_b32_e32 v6, 31, v6
	v_alignbit_b32 v10, v8, v10, 9
	s_delay_alu instid0(VALU_DEP_3) | instskip(NEXT) | instid1(VALU_DEP_2)
	v_clz_i32_u32_e32 v11, v7
	v_or_b32_e32 v10, v10, v6
	v_or_b32_e32 v6, 0x33800000, v6
	s_delay_alu instid0(VALU_DEP_3) | instskip(NEXT) | instid1(VALU_DEP_3)
	v_min_u32_e32 v11, 32, v11
	v_xor_b32_e32 v10, 1.0, v10
	s_delay_alu instid0(VALU_DEP_2) | instskip(SKIP_1) | instid1(VALU_DEP_3)
	v_sub_nc_u32_e32 v12, 31, v11
	v_add_lshl_u32 v8, v11, v8, 23
	v_mul_f32_e32 v11, 0x3fc90fda, v10
	s_delay_alu instid0(VALU_DEP_3) | instskip(NEXT) | instid1(VALU_DEP_3)
	v_alignbit_b32 v5, v7, v5, v12
	v_sub_nc_u32_e32 v6, v6, v8
	s_delay_alu instid0(VALU_DEP_3) | instskip(NEXT) | instid1(VALU_DEP_3)
	v_fma_f32 v7, 0x3fc90fda, v10, -v11
	v_lshrrev_b32_e32 v5, 9, v5
	s_delay_alu instid0(VALU_DEP_2) | instskip(NEXT) | instid1(VALU_DEP_2)
	v_fmamk_f32 v7, v10, 0x33a22168, v7
	v_or_b32_e32 v5, v6, v5
	s_delay_alu instid0(VALU_DEP_1) | instskip(SKIP_1) | instid1(VALU_DEP_2)
	v_fmac_f32_e32 v7, 0x3fc90fda, v5
	v_lshrrev_b32_e32 v5, 30, v3
	v_add_f32_e32 v3, v11, v7
	s_delay_alu instid0(VALU_DEP_2)
	v_add_nc_u32_e32 v5, v9, v5
	s_and_not1_saveexec_b32 s0, s10
	s_branch .LBB82_61
.LBB82_10:
	s_and_not1_saveexec_b32 s3, s5
	s_cbranch_execz .LBB82_84
.LBB82_11:
                                        ; implicit-def: $vgpr3
                                        ; implicit-def: $vgpr2
	s_mov_b32 s0, exec_lo
	v_cmpx_ne_u32_e32 0, v4
	s_xor_b32 s4, exec_lo, s0
	s_cbranch_execz .LBB82_57
; %bb.12:
                                        ; implicit-def: $vgpr3
                                        ; implicit-def: $vgpr2
	s_mov_b32 s0, exec_lo
	v_cmpx_lt_u32_e32 0x410fffff, v5
	s_xor_b32 s5, exec_lo, s0
	s_cbranch_execz .LBB82_46
; %bb.13:
                                        ; implicit-def: $vgpr3
                                        ; implicit-def: $vgpr2
	s_mov_b32 s0, exec_lo
	v_cmpx_lt_u32_e32 0x42b17217, v5
	;; [unrolled: 7-line block ×3, first 2 shown]
	s_xor_b32 s7, exec_lo, s0
	s_cbranch_execz .LBB82_24
; %bb.15:
	v_cmp_ngt_f32_e64 s8, 0x48000000, |v1|
                                        ; implicit-def: $vgpr3
                                        ; implicit-def: $vgpr2
	s_delay_alu instid0(VALU_DEP_1) | instskip(NEXT) | instid1(SALU_CYCLE_1)
	s_and_saveexec_b32 s0, s8
	s_xor_b32 s9, exec_lo, s0
	s_cbranch_execz .LBB82_17
; %bb.16:
	s_mov_b32 s0, 0x7fffff
	s_delay_alu instid0(SALU_CYCLE_1) | instskip(NEXT) | instid1(VALU_DEP_1)
	v_and_or_b32 v14, v4, s0, 0x800000
	v_mad_u64_u32 v[2:3], null, 0xfe5163ab, v14, 0
	s_delay_alu instid0(VALU_DEP_1) | instskip(SKIP_1) | instid1(VALU_DEP_2)
	v_dual_mov_b32 v6, 0 :: v_dual_mov_b32 v5, v3
	v_lshrrev_b32_e32 v3, 23, v4
	v_mad_u64_u32 v[7:8], null, 0x3c439041, v14, v[5:6]
	s_delay_alu instid0(VALU_DEP_2) | instskip(NEXT) | instid1(VALU_DEP_1)
	v_add_nc_u32_e32 v3, 0xffffff88, v3
	v_cmp_lt_u32_e32 vcc_lo, 63, v3
	s_delay_alu instid0(VALU_DEP_3) | instskip(SKIP_1) | instid1(VALU_DEP_2)
	v_mov_b32_e32 v5, v8
	v_cndmask_b32_e64 v12, 0, 0xffffffc0, vcc_lo
	v_mad_u64_u32 v[8:9], null, 0xdb629599, v14, v[5:6]
	s_delay_alu instid0(VALU_DEP_2) | instskip(NEXT) | instid1(VALU_DEP_2)
	v_add_nc_u32_e32 v3, v12, v3
	v_mov_b32_e32 v5, v9
	s_delay_alu instid0(VALU_DEP_2) | instskip(NEXT) | instid1(VALU_DEP_4)
	v_cmp_lt_u32_e64 s0, 31, v3
	v_cndmask_b32_e32 v2, v8, v2, vcc_lo
	s_delay_alu instid0(VALU_DEP_3) | instskip(NEXT) | instid1(VALU_DEP_3)
	v_mad_u64_u32 v[9:10], null, 0xf534ddc0, v14, v[5:6]
	v_cndmask_b32_e64 v13, 0, 0xffffffe0, s0
	s_delay_alu instid0(VALU_DEP_1) | instskip(NEXT) | instid1(VALU_DEP_3)
	v_add_nc_u32_e32 v3, v13, v3
	v_mov_b32_e32 v5, v10
	s_delay_alu instid0(VALU_DEP_2) | instskip(NEXT) | instid1(VALU_DEP_2)
	v_cmp_lt_u32_e64 s1, 31, v3
	v_mad_u64_u32 v[10:11], null, 0xfc2757d1, v14, v[5:6]
	s_delay_alu instid0(VALU_DEP_1) | instskip(NEXT) | instid1(VALU_DEP_1)
	v_mov_b32_e32 v5, v11
	v_mad_u64_u32 v[11:12], null, 0x4e441529, v14, v[5:6]
	s_delay_alu instid0(VALU_DEP_1) | instskip(NEXT) | instid1(VALU_DEP_1)
	v_mov_b32_e32 v5, v12
	v_mad_u64_u32 v[12:13], null, 0xa2f9836e, v14, v[5:6]
	v_cndmask_b32_e64 v5, 0, 0xffffffe0, s1
	s_delay_alu instid0(VALU_DEP_1) | instskip(NEXT) | instid1(VALU_DEP_3)
	v_dual_cndmask_b32 v6, v11, v9 :: v_dual_add_nc_u32 v3, v5, v3
	v_dual_cndmask_b32 v12, v12, v10 :: v_dual_cndmask_b32 v11, v13, v11
	v_dual_cndmask_b32 v10, v10, v8 :: v_dual_cndmask_b32 v5, v9, v7
	s_delay_alu instid0(VALU_DEP_3) | instskip(NEXT) | instid1(VALU_DEP_3)
	v_cmp_eq_u32_e64 s2, 0, v3
	v_cndmask_b32_e64 v7, v12, v6, s0
	s_delay_alu instid0(VALU_DEP_4) | instskip(NEXT) | instid1(VALU_DEP_4)
	v_cndmask_b32_e64 v9, v11, v12, s0
	v_cndmask_b32_e64 v6, v6, v10, s0
	v_sub_nc_u32_e32 v11, 32, v3
	v_cndmask_b32_e64 v10, v10, v5, s0
	v_cndmask_b32_e64 v2, v5, v2, s0
	;; [unrolled: 1-line block ×4, first 2 shown]
	s_delay_alu instid0(VALU_DEP_4) | instskip(NEXT) | instid1(VALU_DEP_4)
	v_cndmask_b32_e64 v6, v6, v10, s1
	v_cndmask_b32_e64 v2, v10, v2, s1
	s_delay_alu instid0(VALU_DEP_3) | instskip(NEXT) | instid1(VALU_DEP_3)
	v_alignbit_b32 v12, v9, v7, v11
	v_alignbit_b32 v13, v7, v6, v11
	s_delay_alu instid0(VALU_DEP_3) | instskip(NEXT) | instid1(VALU_DEP_3)
	v_alignbit_b32 v11, v6, v2, v11
	v_cndmask_b32_e64 v3, v12, v9, s2
	s_delay_alu instid0(VALU_DEP_3) | instskip(NEXT) | instid1(VALU_DEP_3)
	v_cndmask_b32_e64 v7, v13, v7, s2
	v_cndmask_b32_e64 v6, v11, v6, s2
	s_delay_alu instid0(VALU_DEP_3) | instskip(NEXT) | instid1(VALU_DEP_3)
	v_bfe_u32 v8, v3, 29, 1
	v_alignbit_b32 v5, v3, v7, 30
	s_delay_alu instid0(VALU_DEP_3) | instskip(SKIP_1) | instid1(VALU_DEP_4)
	v_alignbit_b32 v7, v7, v6, 30
	v_alignbit_b32 v2, v6, v2, 30
	v_sub_nc_u32_e32 v9, 0, v8
	s_delay_alu instid0(VALU_DEP_1) | instskip(SKIP_3) | instid1(VALU_DEP_4)
	v_xor_b32_e32 v10, v5, v9
	v_cmp_ne_u32_e32 vcc_lo, v5, v9
	v_xor_b32_e32 v6, v7, v9
	v_xor_b32_e32 v2, v2, v9
	v_clz_i32_u32_e32 v12, v10
	s_delay_alu instid0(VALU_DEP_1) | instskip(NEXT) | instid1(VALU_DEP_1)
	v_add_nc_u32_e32 v11, 1, v12
	v_cndmask_b32_e32 v5, 33, v11, vcc_lo
	s_delay_alu instid0(VALU_DEP_1) | instskip(NEXT) | instid1(VALU_DEP_1)
	v_sub_nc_u32_e32 v7, 32, v5
	v_alignbit_b32 v9, v10, v6, v7
	v_alignbit_b32 v2, v6, v2, v7
	v_lshrrev_b32_e32 v6, 29, v3
	v_lshrrev_b32_e32 v3, 30, v3
	s_delay_alu instid0(VALU_DEP_3) | instskip(NEXT) | instid1(VALU_DEP_3)
	v_alignbit_b32 v7, v9, v2, 9
	v_lshlrev_b32_e32 v6, 31, v6
	v_alignbit_b32 v9, v5, v9, 9
	s_delay_alu instid0(VALU_DEP_4) | instskip(NEXT) | instid1(VALU_DEP_4)
	v_add_nc_u32_e32 v3, v8, v3
	v_clz_i32_u32_e32 v10, v7
	s_delay_alu instid0(VALU_DEP_3) | instskip(SKIP_1) | instid1(VALU_DEP_3)
	v_or_b32_e32 v9, v9, v6
	v_or_b32_e32 v6, 0x33800000, v6
	v_min_u32_e32 v10, 32, v10
	s_delay_alu instid0(VALU_DEP_3) | instskip(NEXT) | instid1(VALU_DEP_2)
	v_xor_b32_e32 v9, 1.0, v9
	v_sub_nc_u32_e32 v11, 31, v10
	v_add_lshl_u32 v5, v10, v5, 23
	s_delay_alu instid0(VALU_DEP_3) | instskip(NEXT) | instid1(VALU_DEP_3)
	v_mul_f32_e32 v10, 0x3fc90fda, v9
	v_alignbit_b32 v2, v7, v2, v11
	s_delay_alu instid0(VALU_DEP_3) | instskip(NEXT) | instid1(VALU_DEP_3)
	v_sub_nc_u32_e32 v5, v6, v5
	v_fma_f32 v6, 0x3fc90fda, v9, -v10
	s_delay_alu instid0(VALU_DEP_3) | instskip(NEXT) | instid1(VALU_DEP_2)
	v_lshrrev_b32_e32 v2, 9, v2
	v_fmamk_f32 v6, v9, 0x33a22168, v6
	s_delay_alu instid0(VALU_DEP_2) | instskip(NEXT) | instid1(VALU_DEP_1)
	v_or_b32_e32 v2, v5, v2
	v_fmac_f32_e32 v6, 0x3fc90fda, v2
	s_delay_alu instid0(VALU_DEP_1)
	v_add_f32_e32 v2, v10, v6
	s_and_not1_saveexec_b32 s0, s9
	s_branch .LBB82_18
.LBB82_17:
	s_and_not1_saveexec_b32 s0, s9
.LBB82_18:
	v_mul_f32_e64 v2, 0x3f22f983, |v1|
	s_delay_alu instid0(VALU_DEP_1) | instskip(NEXT) | instid1(VALU_DEP_1)
	v_rndne_f32_e32 v3, v2
	v_fma_f32 v2, 0xbfc90fda, v3, |v1|
	s_delay_alu instid0(VALU_DEP_1) | instskip(NEXT) | instid1(VALU_DEP_1)
	v_fmamk_f32 v2, v3, 0xb3a22168, v2
	v_fmamk_f32 v2, v3, 0xa7c234c4, v2
	v_cvt_i32_f32_e32 v3, v3
; %bb.19:
	s_or_b32 exec_lo, exec_lo, s0
                                        ; implicit-def: $vgpr6
                                        ; implicit-def: $vgpr5
	s_and_saveexec_b32 s0, s8
	s_delay_alu instid0(SALU_CYCLE_1)
	s_xor_b32 s8, exec_lo, s0
	s_cbranch_execz .LBB82_21
; %bb.20:
	s_mov_b32 s0, 0x7fffff
	v_mov_b32_e32 v7, 0
	v_and_or_b32 v15, v4, s0, 0x800000
	v_lshrrev_b32_e32 v12, 23, v4
	s_delay_alu instid0(VALU_DEP_2) | instskip(NEXT) | instid1(VALU_DEP_2)
	v_mad_u64_u32 v[5:6], null, 0xfe5163ab, v15, 0
	v_add_nc_u32_e32 v13, 0xffffff88, v12
	s_delay_alu instid0(VALU_DEP_1) | instskip(NEXT) | instid1(VALU_DEP_3)
	v_cmp_lt_u32_e32 vcc_lo, 63, v13
	v_mad_u64_u32 v[8:9], null, 0x3c439041, v15, v[6:7]
	v_cndmask_b32_e64 v14, 0, 0xffffffc0, vcc_lo
	s_delay_alu instid0(VALU_DEP_2) | instskip(NEXT) | instid1(VALU_DEP_2)
	v_mov_b32_e32 v6, v9
	v_add_nc_u32_e32 v14, v14, v13
	s_delay_alu instid0(VALU_DEP_2) | instskip(NEXT) | instid1(VALU_DEP_2)
	v_mad_u64_u32 v[9:10], null, 0xdb629599, v15, v[6:7]
	v_cmp_lt_u32_e64 s0, 31, v14
	s_delay_alu instid0(VALU_DEP_1) | instskip(NEXT) | instid1(VALU_DEP_3)
	v_cndmask_b32_e64 v16, 0, 0xffffffe0, s0
	v_dual_mov_b32 v6, v10 :: v_dual_cndmask_b32 v5, v9, v5
	s_delay_alu instid0(VALU_DEP_2) | instskip(NEXT) | instid1(VALU_DEP_2)
	v_add_nc_u32_e32 v16, v16, v14
	v_mad_u64_u32 v[10:11], null, 0xf534ddc0, v15, v[6:7]
	s_delay_alu instid0(VALU_DEP_2) | instskip(NEXT) | instid1(VALU_DEP_2)
	v_cmp_lt_u32_e64 s1, 31, v16
	v_mov_b32_e32 v6, v11
	s_delay_alu instid0(VALU_DEP_3) | instskip(NEXT) | instid1(VALU_DEP_2)
	v_cndmask_b32_e32 v8, v10, v8, vcc_lo
	v_mad_u64_u32 v[11:12], null, 0xfc2757d1, v15, v[6:7]
	s_delay_alu instid0(VALU_DEP_2) | instskip(NEXT) | instid1(VALU_DEP_2)
	v_cndmask_b32_e64 v5, v8, v5, s0
	v_mov_b32_e32 v6, v12
	s_delay_alu instid0(VALU_DEP_1) | instskip(NEXT) | instid1(VALU_DEP_1)
	v_mad_u64_u32 v[12:13], null, 0x4e441529, v15, v[6:7]
	v_mov_b32_e32 v6, v13
	s_delay_alu instid0(VALU_DEP_1) | instskip(SKIP_1) | instid1(VALU_DEP_1)
	v_mad_u64_u32 v[13:14], null, 0xa2f9836e, v15, v[6:7]
	v_cndmask_b32_e64 v6, 0, 0xffffffe0, s1
	v_dual_cndmask_b32 v7, v12, v10 :: v_dual_add_nc_u32 v6, v6, v16
	s_delay_alu instid0(VALU_DEP_3) | instskip(NEXT) | instid1(VALU_DEP_4)
	v_cndmask_b32_e32 v13, v13, v11, vcc_lo
	v_dual_cndmask_b32 v11, v11, v9 :: v_dual_cndmask_b32 v12, v14, v12
	s_delay_alu instid0(VALU_DEP_3) | instskip(NEXT) | instid1(VALU_DEP_3)
	v_cmp_eq_u32_e64 s2, 0, v6
	v_cndmask_b32_e64 v10, v13, v7, s0
	s_delay_alu instid0(VALU_DEP_3) | instskip(NEXT) | instid1(VALU_DEP_4)
	v_cndmask_b32_e64 v7, v7, v11, s0
	v_cndmask_b32_e64 v12, v12, v13, s0
	v_sub_nc_u32_e32 v13, 32, v6
	v_cndmask_b32_e64 v11, v11, v8, s0
	s_delay_alu instid0(VALU_DEP_3) | instskip(SKIP_1) | instid1(VALU_DEP_3)
	v_cndmask_b32_e64 v12, v12, v10, s1
	v_cndmask_b32_e64 v10, v10, v7, s1
	;; [unrolled: 1-line block ×4, first 2 shown]
	s_delay_alu instid0(VALU_DEP_3) | instskip(NEXT) | instid1(VALU_DEP_3)
	v_alignbit_b32 v14, v12, v10, v13
	v_alignbit_b32 v15, v10, v7, v13
	s_delay_alu instid0(VALU_DEP_3) | instskip(NEXT) | instid1(VALU_DEP_3)
	v_alignbit_b32 v13, v7, v5, v13
	v_cndmask_b32_e64 v6, v14, v12, s2
	s_delay_alu instid0(VALU_DEP_3) | instskip(NEXT) | instid1(VALU_DEP_3)
	v_cndmask_b32_e64 v9, v15, v10, s2
	v_cndmask_b32_e64 v7, v13, v7, s2
	s_delay_alu instid0(VALU_DEP_3) | instskip(NEXT) | instid1(VALU_DEP_3)
	v_bfe_u32 v10, v6, 29, 1
	v_alignbit_b32 v8, v6, v9, 30
	s_delay_alu instid0(VALU_DEP_3) | instskip(SKIP_1) | instid1(VALU_DEP_4)
	v_alignbit_b32 v9, v9, v7, 30
	v_alignbit_b32 v5, v7, v5, 30
	v_sub_nc_u32_e32 v12, 0, v10
	s_delay_alu instid0(VALU_DEP_1) | instskip(SKIP_3) | instid1(VALU_DEP_4)
	v_xor_b32_e32 v11, v8, v12
	v_cmp_ne_u32_e32 vcc_lo, v8, v12
	v_xor_b32_e32 v7, v9, v12
	v_xor_b32_e32 v5, v5, v12
	v_clz_i32_u32_e32 v14, v11
	s_delay_alu instid0(VALU_DEP_1) | instskip(NEXT) | instid1(VALU_DEP_1)
	v_add_nc_u32_e32 v13, 1, v14
	v_cndmask_b32_e32 v8, 33, v13, vcc_lo
	s_delay_alu instid0(VALU_DEP_1) | instskip(NEXT) | instid1(VALU_DEP_1)
	v_sub_nc_u32_e32 v9, 32, v8
	v_alignbit_b32 v11, v11, v7, v9
	v_alignbit_b32 v5, v7, v5, v9
	v_lshrrev_b32_e32 v7, 29, v6
	v_lshrrev_b32_e32 v6, 30, v6
	s_delay_alu instid0(VALU_DEP_3) | instskip(NEXT) | instid1(VALU_DEP_3)
	v_alignbit_b32 v9, v11, v5, 9
	v_lshlrev_b32_e32 v7, 31, v7
	v_alignbit_b32 v11, v8, v11, 9
	s_delay_alu instid0(VALU_DEP_4) | instskip(NEXT) | instid1(VALU_DEP_4)
	v_add_nc_u32_e32 v6, v10, v6
	v_clz_i32_u32_e32 v12, v9
	s_delay_alu instid0(VALU_DEP_3) | instskip(SKIP_1) | instid1(VALU_DEP_3)
	v_or_b32_e32 v11, v11, v7
	v_or_b32_e32 v7, 0x33800000, v7
	v_min_u32_e32 v12, 32, v12
	s_delay_alu instid0(VALU_DEP_3) | instskip(NEXT) | instid1(VALU_DEP_2)
	v_xor_b32_e32 v11, 1.0, v11
	v_sub_nc_u32_e32 v13, 31, v12
	v_add_lshl_u32 v8, v12, v8, 23
	s_delay_alu instid0(VALU_DEP_3) | instskip(NEXT) | instid1(VALU_DEP_3)
	v_mul_f32_e32 v12, 0x3fc90fda, v11
	v_alignbit_b32 v5, v9, v5, v13
	s_delay_alu instid0(VALU_DEP_3) | instskip(NEXT) | instid1(VALU_DEP_3)
	v_sub_nc_u32_e32 v7, v7, v8
	v_fma_f32 v8, 0x3fc90fda, v11, -v12
	s_delay_alu instid0(VALU_DEP_3) | instskip(NEXT) | instid1(VALU_DEP_2)
	v_lshrrev_b32_e32 v5, 9, v5
	v_fmamk_f32 v8, v11, 0x33a22168, v8
	s_delay_alu instid0(VALU_DEP_2) | instskip(NEXT) | instid1(VALU_DEP_1)
	v_or_b32_e32 v5, v7, v5
	v_fmac_f32_e32 v8, 0x3fc90fda, v5
	s_delay_alu instid0(VALU_DEP_1)
	v_add_f32_e32 v5, v12, v8
	s_and_not1_saveexec_b32 s0, s8
	s_cbranch_execnz .LBB82_22
	s_branch .LBB82_23
.LBB82_21:
	s_and_not1_saveexec_b32 s0, s8
.LBB82_22:
	v_mul_f32_e64 v5, 0x3f22f983, |v1|
	s_delay_alu instid0(VALU_DEP_1) | instskip(NEXT) | instid1(VALU_DEP_1)
	v_rndne_f32_e32 v6, v5
	v_fma_f32 v5, 0xbfc90fda, v6, |v1|
	s_delay_alu instid0(VALU_DEP_1) | instskip(NEXT) | instid1(VALU_DEP_1)
	v_fmamk_f32 v5, v6, 0xb3a22168, v5
	v_fmamk_f32 v5, v6, 0xa7c234c4, v5
	v_cvt_i32_f32_e32 v6, v6
.LBB82_23:
	s_or_b32 exec_lo, exec_lo, s0
	s_delay_alu instid0(VALU_DEP_1) | instskip(SKIP_2) | instid1(VALU_DEP_1)
	v_dual_mul_f32 v7, v2, v2 :: v_dual_mul_f32 v8, v5, v5
	s_mov_b32 s0, 0xb94c1982
	s_mov_b32 s1, 0x37d75334
	v_dual_fmaak_f32 v9, s0, v7, 0x3c0881c4 :: v_dual_and_b32 v14, 1, v6
	s_delay_alu instid0(VALU_DEP_2) | instskip(SKIP_2) | instid1(VALU_DEP_3)
	v_fmaak_f32 v12, s0, v8, 0x3c0881c4
	v_dual_fmaak_f32 v10, s1, v7, 0xbab64f3b :: v_dual_fmaak_f32 v13, s1, v8, 0xbab64f3b
	v_and_b32_e32 v11, 1, v3
	v_dual_fmaak_f32 v9, v7, v9, 0xbe2aaa9d :: v_dual_fmaak_f32 v12, v8, v12, 0xbe2aaa9d
	s_delay_alu instid0(VALU_DEP_3) | instskip(NEXT) | instid1(VALU_DEP_4)
	v_dual_fmaak_f32 v10, v7, v10, 0x3d2aabf7 :: v_dual_lshlrev_b32 v3, 30, v3
	v_fmaak_f32 v13, v8, v13, 0x3d2aabf7
	s_delay_alu instid0(VALU_DEP_3) | instskip(NEXT) | instid1(VALU_DEP_3)
	v_dual_mul_f32 v9, v7, v9 :: v_dual_mul_f32 v12, v8, v12
	v_fmaak_f32 v10, v7, v10, 0xbf000004
	v_cmp_eq_u32_e32 vcc_lo, 0, v11
	s_delay_alu instid0(VALU_DEP_4) | instskip(NEXT) | instid1(VALU_DEP_4)
	v_dual_fmaak_f32 v13, v8, v13, 0xbf000004 :: v_dual_lshlrev_b32 v6, 30, v6
	v_dual_fmac_f32 v2, v2, v9 :: v_dual_fmac_f32 v5, v5, v12
	s_delay_alu instid0(VALU_DEP_4) | instskip(NEXT) | instid1(VALU_DEP_3)
	v_fma_f32 v7, v7, v10, 1.0
	v_fma_f32 v8, v8, v13, 1.0
	v_and_b32_e32 v3, 0x80000000, v3
	v_and_or_b32 v4, 0x80000000, v6, v4
	v_mul_f32_e32 v0, 0x7f000000, v0
	v_cndmask_b32_e64 v2, -v2, v7, vcc_lo
	v_cmp_eq_u32_e32 vcc_lo, 0, v14
	s_delay_alu instid0(VALU_DEP_2) | instskip(SKIP_2) | instid1(VALU_DEP_2)
	v_xor_b32_e32 v2, v3, v2
	v_cndmask_b32_e32 v5, v8, v5, vcc_lo
	v_cmp_class_f32_e64 vcc_lo, v1, 0x1f8
	v_xor3_b32 v3, v4, v5, v1
	s_delay_alu instid0(VALU_DEP_4) | instskip(NEXT) | instid1(VALU_DEP_1)
	v_dual_mul_f32 v1, v0, v0 :: v_dual_cndmask_b32 v2, 0x7fc00000, v2
                                        ; implicit-def: $vgpr4
	v_dual_cndmask_b32 v3, 0x7fc00000, v3 :: v_dual_mul_f32 v2, v1, v2
                                        ; implicit-def: $vgpr1
	s_delay_alu instid0(VALU_DEP_1)
	v_mul_f32_e32 v3, v0, v3
                                        ; implicit-def: $vgpr0
.LBB82_24:
	s_and_not1_saveexec_b32 s7, s7
	s_cbranch_execz .LBB82_34
; %bb.25:
	v_cmp_ngt_f32_e64 s8, 0x48000000, |v1|
                                        ; implicit-def: $vgpr3
                                        ; implicit-def: $vgpr2
	s_delay_alu instid0(VALU_DEP_1) | instskip(NEXT) | instid1(SALU_CYCLE_1)
	s_and_saveexec_b32 s0, s8
	s_xor_b32 s9, exec_lo, s0
	s_cbranch_execz .LBB82_27
; %bb.26:
	s_mov_b32 s0, 0x7fffff
	s_delay_alu instid0(SALU_CYCLE_1) | instskip(NEXT) | instid1(VALU_DEP_1)
	v_and_or_b32 v14, v4, s0, 0x800000
	v_mad_u64_u32 v[2:3], null, 0xfe5163ab, v14, 0
	s_delay_alu instid0(VALU_DEP_1) | instskip(SKIP_1) | instid1(VALU_DEP_2)
	v_dual_mov_b32 v6, 0 :: v_dual_mov_b32 v5, v3
	v_lshrrev_b32_e32 v3, 23, v4
	v_mad_u64_u32 v[7:8], null, 0x3c439041, v14, v[5:6]
	s_delay_alu instid0(VALU_DEP_2) | instskip(NEXT) | instid1(VALU_DEP_1)
	v_add_nc_u32_e32 v3, 0xffffff88, v3
	v_cmp_lt_u32_e32 vcc_lo, 63, v3
	s_delay_alu instid0(VALU_DEP_3) | instskip(SKIP_1) | instid1(VALU_DEP_2)
	v_mov_b32_e32 v5, v8
	v_cndmask_b32_e64 v12, 0, 0xffffffc0, vcc_lo
	v_mad_u64_u32 v[8:9], null, 0xdb629599, v14, v[5:6]
	s_delay_alu instid0(VALU_DEP_2) | instskip(NEXT) | instid1(VALU_DEP_2)
	v_add_nc_u32_e32 v3, v12, v3
	v_mov_b32_e32 v5, v9
	s_delay_alu instid0(VALU_DEP_2) | instskip(NEXT) | instid1(VALU_DEP_4)
	v_cmp_lt_u32_e64 s0, 31, v3
	v_cndmask_b32_e32 v2, v8, v2, vcc_lo
	s_delay_alu instid0(VALU_DEP_3) | instskip(NEXT) | instid1(VALU_DEP_3)
	v_mad_u64_u32 v[9:10], null, 0xf534ddc0, v14, v[5:6]
	v_cndmask_b32_e64 v13, 0, 0xffffffe0, s0
	s_delay_alu instid0(VALU_DEP_1) | instskip(NEXT) | instid1(VALU_DEP_3)
	v_add_nc_u32_e32 v3, v13, v3
	v_mov_b32_e32 v5, v10
	s_delay_alu instid0(VALU_DEP_2) | instskip(NEXT) | instid1(VALU_DEP_2)
	v_cmp_lt_u32_e64 s1, 31, v3
	v_mad_u64_u32 v[10:11], null, 0xfc2757d1, v14, v[5:6]
	s_delay_alu instid0(VALU_DEP_1) | instskip(NEXT) | instid1(VALU_DEP_1)
	v_mov_b32_e32 v5, v11
	v_mad_u64_u32 v[11:12], null, 0x4e441529, v14, v[5:6]
	s_delay_alu instid0(VALU_DEP_1) | instskip(NEXT) | instid1(VALU_DEP_1)
	v_mov_b32_e32 v5, v12
	v_mad_u64_u32 v[12:13], null, 0xa2f9836e, v14, v[5:6]
	v_cndmask_b32_e64 v5, 0, 0xffffffe0, s1
	s_delay_alu instid0(VALU_DEP_1) | instskip(NEXT) | instid1(VALU_DEP_3)
	v_dual_cndmask_b32 v6, v11, v9 :: v_dual_add_nc_u32 v3, v5, v3
	v_dual_cndmask_b32 v12, v12, v10 :: v_dual_cndmask_b32 v11, v13, v11
	v_dual_cndmask_b32 v10, v10, v8 :: v_dual_cndmask_b32 v5, v9, v7
	s_delay_alu instid0(VALU_DEP_3) | instskip(NEXT) | instid1(VALU_DEP_3)
	v_cmp_eq_u32_e64 s2, 0, v3
	v_cndmask_b32_e64 v7, v12, v6, s0
	s_delay_alu instid0(VALU_DEP_4) | instskip(NEXT) | instid1(VALU_DEP_4)
	v_cndmask_b32_e64 v9, v11, v12, s0
	v_cndmask_b32_e64 v6, v6, v10, s0
	v_sub_nc_u32_e32 v11, 32, v3
	v_cndmask_b32_e64 v10, v10, v5, s0
	v_cndmask_b32_e64 v2, v5, v2, s0
	;; [unrolled: 1-line block ×4, first 2 shown]
	s_delay_alu instid0(VALU_DEP_4) | instskip(NEXT) | instid1(VALU_DEP_4)
	v_cndmask_b32_e64 v6, v6, v10, s1
	v_cndmask_b32_e64 v2, v10, v2, s1
	s_delay_alu instid0(VALU_DEP_3) | instskip(NEXT) | instid1(VALU_DEP_3)
	v_alignbit_b32 v12, v9, v7, v11
	v_alignbit_b32 v13, v7, v6, v11
	s_delay_alu instid0(VALU_DEP_3) | instskip(NEXT) | instid1(VALU_DEP_3)
	v_alignbit_b32 v11, v6, v2, v11
	v_cndmask_b32_e64 v3, v12, v9, s2
	s_delay_alu instid0(VALU_DEP_3) | instskip(NEXT) | instid1(VALU_DEP_3)
	v_cndmask_b32_e64 v7, v13, v7, s2
	v_cndmask_b32_e64 v6, v11, v6, s2
	s_delay_alu instid0(VALU_DEP_3) | instskip(NEXT) | instid1(VALU_DEP_3)
	v_bfe_u32 v8, v3, 29, 1
	v_alignbit_b32 v5, v3, v7, 30
	s_delay_alu instid0(VALU_DEP_3) | instskip(SKIP_1) | instid1(VALU_DEP_4)
	v_alignbit_b32 v7, v7, v6, 30
	v_alignbit_b32 v2, v6, v2, 30
	v_sub_nc_u32_e32 v9, 0, v8
	s_delay_alu instid0(VALU_DEP_1) | instskip(SKIP_3) | instid1(VALU_DEP_4)
	v_xor_b32_e32 v10, v5, v9
	v_cmp_ne_u32_e32 vcc_lo, v5, v9
	v_xor_b32_e32 v6, v7, v9
	v_xor_b32_e32 v2, v2, v9
	v_clz_i32_u32_e32 v12, v10
	s_delay_alu instid0(VALU_DEP_1) | instskip(NEXT) | instid1(VALU_DEP_1)
	v_add_nc_u32_e32 v11, 1, v12
	v_cndmask_b32_e32 v5, 33, v11, vcc_lo
	s_delay_alu instid0(VALU_DEP_1) | instskip(NEXT) | instid1(VALU_DEP_1)
	v_sub_nc_u32_e32 v7, 32, v5
	v_alignbit_b32 v9, v10, v6, v7
	v_alignbit_b32 v2, v6, v2, v7
	v_lshrrev_b32_e32 v6, 29, v3
	v_lshrrev_b32_e32 v3, 30, v3
	s_delay_alu instid0(VALU_DEP_3) | instskip(NEXT) | instid1(VALU_DEP_3)
	v_alignbit_b32 v7, v9, v2, 9
	v_lshlrev_b32_e32 v6, 31, v6
	v_alignbit_b32 v9, v5, v9, 9
	s_delay_alu instid0(VALU_DEP_4) | instskip(NEXT) | instid1(VALU_DEP_4)
	v_add_nc_u32_e32 v3, v8, v3
	v_clz_i32_u32_e32 v10, v7
	s_delay_alu instid0(VALU_DEP_3) | instskip(SKIP_1) | instid1(VALU_DEP_3)
	v_or_b32_e32 v9, v9, v6
	v_or_b32_e32 v6, 0x33800000, v6
	v_min_u32_e32 v10, 32, v10
	s_delay_alu instid0(VALU_DEP_3) | instskip(NEXT) | instid1(VALU_DEP_2)
	v_xor_b32_e32 v9, 1.0, v9
	v_sub_nc_u32_e32 v11, 31, v10
	v_add_lshl_u32 v5, v10, v5, 23
	s_delay_alu instid0(VALU_DEP_3) | instskip(NEXT) | instid1(VALU_DEP_3)
	v_mul_f32_e32 v10, 0x3fc90fda, v9
	v_alignbit_b32 v2, v7, v2, v11
	s_delay_alu instid0(VALU_DEP_3) | instskip(NEXT) | instid1(VALU_DEP_3)
	v_sub_nc_u32_e32 v5, v6, v5
	v_fma_f32 v6, 0x3fc90fda, v9, -v10
	s_delay_alu instid0(VALU_DEP_3) | instskip(NEXT) | instid1(VALU_DEP_2)
	v_lshrrev_b32_e32 v2, 9, v2
	v_fmamk_f32 v6, v9, 0x33a22168, v6
	s_delay_alu instid0(VALU_DEP_2) | instskip(NEXT) | instid1(VALU_DEP_1)
	v_or_b32_e32 v2, v5, v2
	v_fmac_f32_e32 v6, 0x3fc90fda, v2
	s_delay_alu instid0(VALU_DEP_1)
	v_add_f32_e32 v2, v10, v6
	s_and_not1_saveexec_b32 s0, s9
	s_branch .LBB82_28
.LBB82_27:
	s_and_not1_saveexec_b32 s0, s9
.LBB82_28:
	v_mul_f32_e64 v2, 0x3f22f983, |v1|
	s_delay_alu instid0(VALU_DEP_1) | instskip(NEXT) | instid1(VALU_DEP_1)
	v_rndne_f32_e32 v3, v2
	v_fma_f32 v2, 0xbfc90fda, v3, |v1|
	s_delay_alu instid0(VALU_DEP_1) | instskip(NEXT) | instid1(VALU_DEP_1)
	v_fmamk_f32 v2, v3, 0xb3a22168, v2
	v_fmamk_f32 v2, v3, 0xa7c234c4, v2
	v_cvt_i32_f32_e32 v3, v3
; %bb.29:
	s_or_b32 exec_lo, exec_lo, s0
                                        ; implicit-def: $vgpr6
                                        ; implicit-def: $vgpr5
	s_and_saveexec_b32 s0, s8
	s_delay_alu instid0(SALU_CYCLE_1)
	s_xor_b32 s8, exec_lo, s0
	s_cbranch_execz .LBB82_31
; %bb.30:
	s_mov_b32 s0, 0x7fffff
	v_mov_b32_e32 v7, 0
	v_and_or_b32 v15, v4, s0, 0x800000
	v_lshrrev_b32_e32 v12, 23, v4
	s_delay_alu instid0(VALU_DEP_2) | instskip(NEXT) | instid1(VALU_DEP_2)
	v_mad_u64_u32 v[5:6], null, 0xfe5163ab, v15, 0
	v_add_nc_u32_e32 v13, 0xffffff88, v12
	s_delay_alu instid0(VALU_DEP_1) | instskip(NEXT) | instid1(VALU_DEP_3)
	v_cmp_lt_u32_e32 vcc_lo, 63, v13
	v_mad_u64_u32 v[8:9], null, 0x3c439041, v15, v[6:7]
	v_cndmask_b32_e64 v14, 0, 0xffffffc0, vcc_lo
	s_delay_alu instid0(VALU_DEP_2) | instskip(NEXT) | instid1(VALU_DEP_2)
	v_mov_b32_e32 v6, v9
	v_add_nc_u32_e32 v14, v14, v13
	s_delay_alu instid0(VALU_DEP_2) | instskip(NEXT) | instid1(VALU_DEP_2)
	v_mad_u64_u32 v[9:10], null, 0xdb629599, v15, v[6:7]
	v_cmp_lt_u32_e64 s0, 31, v14
	s_delay_alu instid0(VALU_DEP_1) | instskip(NEXT) | instid1(VALU_DEP_3)
	v_cndmask_b32_e64 v16, 0, 0xffffffe0, s0
	v_dual_mov_b32 v6, v10 :: v_dual_cndmask_b32 v5, v9, v5
	s_delay_alu instid0(VALU_DEP_2) | instskip(NEXT) | instid1(VALU_DEP_2)
	v_add_nc_u32_e32 v16, v16, v14
	v_mad_u64_u32 v[10:11], null, 0xf534ddc0, v15, v[6:7]
	s_delay_alu instid0(VALU_DEP_2) | instskip(NEXT) | instid1(VALU_DEP_2)
	v_cmp_lt_u32_e64 s1, 31, v16
	v_mov_b32_e32 v6, v11
	s_delay_alu instid0(VALU_DEP_3) | instskip(NEXT) | instid1(VALU_DEP_2)
	v_cndmask_b32_e32 v8, v10, v8, vcc_lo
	v_mad_u64_u32 v[11:12], null, 0xfc2757d1, v15, v[6:7]
	s_delay_alu instid0(VALU_DEP_2) | instskip(NEXT) | instid1(VALU_DEP_2)
	v_cndmask_b32_e64 v5, v8, v5, s0
	v_mov_b32_e32 v6, v12
	s_delay_alu instid0(VALU_DEP_1) | instskip(NEXT) | instid1(VALU_DEP_1)
	v_mad_u64_u32 v[12:13], null, 0x4e441529, v15, v[6:7]
	v_mov_b32_e32 v6, v13
	s_delay_alu instid0(VALU_DEP_1) | instskip(SKIP_1) | instid1(VALU_DEP_1)
	v_mad_u64_u32 v[13:14], null, 0xa2f9836e, v15, v[6:7]
	v_cndmask_b32_e64 v6, 0, 0xffffffe0, s1
	v_dual_cndmask_b32 v7, v12, v10 :: v_dual_add_nc_u32 v6, v6, v16
	s_delay_alu instid0(VALU_DEP_3) | instskip(NEXT) | instid1(VALU_DEP_4)
	v_cndmask_b32_e32 v13, v13, v11, vcc_lo
	v_dual_cndmask_b32 v11, v11, v9 :: v_dual_cndmask_b32 v12, v14, v12
	s_delay_alu instid0(VALU_DEP_3) | instskip(NEXT) | instid1(VALU_DEP_3)
	v_cmp_eq_u32_e64 s2, 0, v6
	v_cndmask_b32_e64 v10, v13, v7, s0
	s_delay_alu instid0(VALU_DEP_3) | instskip(NEXT) | instid1(VALU_DEP_4)
	v_cndmask_b32_e64 v7, v7, v11, s0
	v_cndmask_b32_e64 v12, v12, v13, s0
	v_sub_nc_u32_e32 v13, 32, v6
	v_cndmask_b32_e64 v11, v11, v8, s0
	s_delay_alu instid0(VALU_DEP_3) | instskip(SKIP_1) | instid1(VALU_DEP_3)
	v_cndmask_b32_e64 v12, v12, v10, s1
	v_cndmask_b32_e64 v10, v10, v7, s1
	;; [unrolled: 1-line block ×4, first 2 shown]
	s_delay_alu instid0(VALU_DEP_3) | instskip(NEXT) | instid1(VALU_DEP_3)
	v_alignbit_b32 v14, v12, v10, v13
	v_alignbit_b32 v15, v10, v7, v13
	s_delay_alu instid0(VALU_DEP_3) | instskip(NEXT) | instid1(VALU_DEP_3)
	v_alignbit_b32 v13, v7, v5, v13
	v_cndmask_b32_e64 v6, v14, v12, s2
	s_delay_alu instid0(VALU_DEP_3) | instskip(NEXT) | instid1(VALU_DEP_3)
	v_cndmask_b32_e64 v9, v15, v10, s2
	v_cndmask_b32_e64 v7, v13, v7, s2
	s_delay_alu instid0(VALU_DEP_3) | instskip(NEXT) | instid1(VALU_DEP_3)
	v_bfe_u32 v10, v6, 29, 1
	v_alignbit_b32 v8, v6, v9, 30
	s_delay_alu instid0(VALU_DEP_3) | instskip(SKIP_1) | instid1(VALU_DEP_4)
	v_alignbit_b32 v9, v9, v7, 30
	v_alignbit_b32 v5, v7, v5, 30
	v_sub_nc_u32_e32 v12, 0, v10
	s_delay_alu instid0(VALU_DEP_1) | instskip(SKIP_3) | instid1(VALU_DEP_4)
	v_xor_b32_e32 v11, v8, v12
	v_cmp_ne_u32_e32 vcc_lo, v8, v12
	v_xor_b32_e32 v7, v9, v12
	v_xor_b32_e32 v5, v5, v12
	v_clz_i32_u32_e32 v14, v11
	s_delay_alu instid0(VALU_DEP_1) | instskip(NEXT) | instid1(VALU_DEP_1)
	v_add_nc_u32_e32 v13, 1, v14
	v_cndmask_b32_e32 v8, 33, v13, vcc_lo
	s_delay_alu instid0(VALU_DEP_1) | instskip(NEXT) | instid1(VALU_DEP_1)
	v_sub_nc_u32_e32 v9, 32, v8
	v_alignbit_b32 v11, v11, v7, v9
	v_alignbit_b32 v5, v7, v5, v9
	v_lshrrev_b32_e32 v7, 29, v6
	v_lshrrev_b32_e32 v6, 30, v6
	s_delay_alu instid0(VALU_DEP_3) | instskip(NEXT) | instid1(VALU_DEP_3)
	v_alignbit_b32 v9, v11, v5, 9
	v_lshlrev_b32_e32 v7, 31, v7
	v_alignbit_b32 v11, v8, v11, 9
	s_delay_alu instid0(VALU_DEP_4) | instskip(NEXT) | instid1(VALU_DEP_4)
	v_add_nc_u32_e32 v6, v10, v6
	v_clz_i32_u32_e32 v12, v9
	s_delay_alu instid0(VALU_DEP_3) | instskip(SKIP_1) | instid1(VALU_DEP_3)
	v_or_b32_e32 v11, v11, v7
	v_or_b32_e32 v7, 0x33800000, v7
	v_min_u32_e32 v12, 32, v12
	s_delay_alu instid0(VALU_DEP_3) | instskip(NEXT) | instid1(VALU_DEP_2)
	v_xor_b32_e32 v11, 1.0, v11
	v_sub_nc_u32_e32 v13, 31, v12
	v_add_lshl_u32 v8, v12, v8, 23
	s_delay_alu instid0(VALU_DEP_3) | instskip(NEXT) | instid1(VALU_DEP_3)
	v_mul_f32_e32 v12, 0x3fc90fda, v11
	v_alignbit_b32 v5, v9, v5, v13
	s_delay_alu instid0(VALU_DEP_3) | instskip(NEXT) | instid1(VALU_DEP_3)
	v_sub_nc_u32_e32 v7, v7, v8
	v_fma_f32 v8, 0x3fc90fda, v11, -v12
	s_delay_alu instid0(VALU_DEP_3) | instskip(NEXT) | instid1(VALU_DEP_2)
	v_lshrrev_b32_e32 v5, 9, v5
	v_fmamk_f32 v8, v11, 0x33a22168, v8
	s_delay_alu instid0(VALU_DEP_2) | instskip(NEXT) | instid1(VALU_DEP_1)
	v_or_b32_e32 v5, v7, v5
	v_fmac_f32_e32 v8, 0x3fc90fda, v5
	s_delay_alu instid0(VALU_DEP_1)
	v_add_f32_e32 v5, v12, v8
	s_and_not1_saveexec_b32 s0, s8
	s_cbranch_execnz .LBB82_32
	s_branch .LBB82_33
.LBB82_31:
	s_and_not1_saveexec_b32 s0, s8
.LBB82_32:
	v_mul_f32_e64 v5, 0x3f22f983, |v1|
	s_delay_alu instid0(VALU_DEP_1) | instskip(NEXT) | instid1(VALU_DEP_1)
	v_rndne_f32_e32 v6, v5
	v_fma_f32 v5, 0xbfc90fda, v6, |v1|
	s_delay_alu instid0(VALU_DEP_1) | instskip(NEXT) | instid1(VALU_DEP_1)
	v_fmamk_f32 v5, v6, 0xb3a22168, v5
	v_fmamk_f32 v5, v6, 0xa7c234c4, v5
	v_cvt_i32_f32_e32 v6, v6
.LBB82_33:
	s_or_b32 exec_lo, exec_lo, s0
	v_add_f32_e64 v7, 0xc322e3bc, |v0|
	s_mov_b32 s1, 0xb94c1982
	s_mov_b32 s0, 0x37d75334
	v_bfi_b32 v0, 0x7fffffff, 1.0, v0
	s_delay_alu instid0(VALU_DEP_2) | instskip(SKIP_2) | instid1(VALU_DEP_3)
	v_dual_mul_f32 v11, v2, v2 :: v_dual_mul_f32 v8, 0x3fb8aa3b, v7
	v_cmp_ngt_f32_e32 vcc_lo, 0xc2ce8ed0, v7
	v_dual_mul_f32 v12, v5, v5 :: v_dual_and_b32 v13, 1, v6
	v_fmaak_f32 v14, s0, v11, 0xbab64f3b
	s_delay_alu instid0(VALU_DEP_4) | instskip(SKIP_1) | instid1(VALU_DEP_4)
	v_fma_f32 v9, 0x3fb8aa3b, v7, -v8
	v_rndne_f32_e32 v10, v8
	v_dual_fmaak_f32 v15, s1, v12, 0x3c0881c4 :: v_dual_lshlrev_b32 v6, 30, v6
	v_fmaak_f32 v16, s0, v12, 0xbab64f3b
	s_delay_alu instid0(VALU_DEP_3) | instskip(SKIP_1) | instid1(VALU_DEP_4)
	v_dual_fmamk_f32 v9, v7, 0x32a5705f, v9 :: v_dual_sub_f32 v8, v8, v10
	v_cvt_i32_f32_e32 v10, v10
	v_and_or_b32 v4, 0x80000000, v6, v4
	s_mov_b32 s0, 0x7fffff
	s_delay_alu instid0(VALU_DEP_3) | instskip(SKIP_1) | instid1(VALU_DEP_2)
	v_dual_add_f32 v8, v8, v9 :: v_dual_lshlrev_b32 v9, 30, v3
	v_and_b32_e32 v3, 1, v3
	v_exp_f32_e32 v8, v8
	s_waitcnt_depctr 0xfff
	v_ldexp_f32 v8, v8, v10
	s_delay_alu instid0(VALU_DEP_1) | instskip(SKIP_1) | instid1(VALU_DEP_2)
	v_dual_cndmask_b32 v8, 0, v8 :: v_dual_and_b32 v9, 0x80000000, v9
	v_cmp_nlt_f32_e32 vcc_lo, 0x42b17218, v7
	v_cndmask_b32_e32 v7, 0x7f800000, v8, vcc_lo
	v_fmaak_f32 v8, v12, v15, 0xbe2aaa9d
	v_cmp_eq_u32_e32 vcc_lo, 0, v3
	s_delay_alu instid0(VALU_DEP_2) | instskip(NEXT) | instid1(VALU_DEP_1)
	v_mul_f32_e32 v8, v12, v8
	v_dual_fmaak_f32 v10, s1, v11, 0x3c0881c4 :: v_dual_fmac_f32 v5, v5, v8
	v_fmaak_f32 v6, v11, v14, 0x3d2aabf7
	s_delay_alu instid0(VALU_DEP_2) | instskip(SKIP_1) | instid1(VALU_DEP_3)
	v_fmaak_f32 v10, v11, v10, 0xbe2aaa9d
	v_fmaak_f32 v14, v12, v16, 0x3d2aabf7
	;; [unrolled: 1-line block ×3, first 2 shown]
	s_delay_alu instid0(VALU_DEP_3) | instskip(SKIP_1) | instid1(VALU_DEP_4)
	v_mul_f32_e32 v10, v11, v10
	v_lshrrev_b32_e32 v15, 23, v7
	v_fmaak_f32 v14, v12, v14, 0xbf000004
	s_delay_alu instid0(VALU_DEP_4) | instskip(NEXT) | instid1(VALU_DEP_4)
	v_fma_f32 v6, v11, v6, 1.0
	v_fmac_f32_e32 v2, v2, v10
	s_delay_alu instid0(VALU_DEP_4) | instskip(NEXT) | instid1(VALU_DEP_4)
	v_subrev_nc_u32_e32 v10, 20, v15
	v_fma_f32 v8, v12, v14, 1.0
	s_delay_alu instid0(VALU_DEP_3) | instskip(NEXT) | instid1(VALU_DEP_3)
	v_cndmask_b32_e64 v2, -v2, v6, vcc_lo
	v_lshrrev_b16 v3, 15, v10
	v_cmp_eq_u32_e32 vcc_lo, 0, v13
	s_delay_alu instid0(VALU_DEP_3) | instskip(NEXT) | instid1(VALU_DEP_3)
	v_xor_b32_e32 v2, v9, v2
	v_add_nc_u16 v3, v10, v3
	v_cndmask_b32_e32 v5, v8, v5, vcc_lo
	v_cmp_class_f32_e64 vcc_lo, v1, 0x1f8
	s_delay_alu instid0(VALU_DEP_2) | instskip(NEXT) | instid1(VALU_DEP_4)
	v_xor3_b32 v4, v4, v5, v1
	v_ashrrev_i16 v1, 1, v3
	v_cndmask_b32_e32 v2, 0x7fc00000, v2, vcc_lo
	s_delay_alu instid0(VALU_DEP_3) | instskip(SKIP_1) | instid1(VALU_DEP_4)
	v_cndmask_b32_e32 v3, 0x7fc00000, v4, vcc_lo
	v_and_or_b32 v4, v7, s0, 0x7f000000
	v_bfe_i32 v1, v1, 0, 16
	s_delay_alu instid0(VALU_DEP_2) | instskip(NEXT) | instid1(VALU_DEP_2)
	v_mul_f32_e32 v3, v3, v4
	v_sub_nc_u32_e32 v5, v10, v1
	v_lshl_add_u32 v1, v1, 23, 1.0
	v_mul_f32_e32 v2, v2, v4
	s_delay_alu instid0(VALU_DEP_3) | instskip(NEXT) | instid1(VALU_DEP_3)
	v_lshl_add_u32 v4, v5, 23, 1.0
	v_mul_f32_e32 v3, v3, v1
	s_delay_alu instid0(VALU_DEP_3) | instskip(NEXT) | instid1(VALU_DEP_2)
	v_mul_f32_e32 v1, v2, v1
	v_mul_f32_e32 v3, v3, v4
	s_delay_alu instid0(VALU_DEP_1)
	v_dual_mul_f32 v2, v1, v4 :: v_dual_mul_f32 v3, v0, v3
.LBB82_34:
	s_or_b32 exec_lo, exec_lo, s7
                                        ; implicit-def: $vgpr0
                                        ; implicit-def: $vgpr1
                                        ; implicit-def: $vgpr4
.LBB82_35:
	s_and_not1_saveexec_b32 s6, s6
	s_cbranch_execz .LBB82_45
; %bb.36:
	v_cmp_ngt_f32_e64 s7, 0x48000000, |v1|
                                        ; implicit-def: $vgpr3
                                        ; implicit-def: $vgpr2
	s_delay_alu instid0(VALU_DEP_1) | instskip(NEXT) | instid1(SALU_CYCLE_1)
	s_and_saveexec_b32 s0, s7
	s_xor_b32 s8, exec_lo, s0
	s_cbranch_execz .LBB82_38
; %bb.37:
	s_mov_b32 s0, 0x7fffff
	s_delay_alu instid0(SALU_CYCLE_1) | instskip(NEXT) | instid1(VALU_DEP_1)
	v_and_or_b32 v14, v4, s0, 0x800000
	v_mad_u64_u32 v[2:3], null, 0xfe5163ab, v14, 0
	s_delay_alu instid0(VALU_DEP_1) | instskip(SKIP_1) | instid1(VALU_DEP_2)
	v_dual_mov_b32 v6, 0 :: v_dual_mov_b32 v5, v3
	v_lshrrev_b32_e32 v3, 23, v4
	v_mad_u64_u32 v[7:8], null, 0x3c439041, v14, v[5:6]
	s_delay_alu instid0(VALU_DEP_2) | instskip(NEXT) | instid1(VALU_DEP_1)
	v_add_nc_u32_e32 v3, 0xffffff88, v3
	v_cmp_lt_u32_e32 vcc_lo, 63, v3
	s_delay_alu instid0(VALU_DEP_3) | instskip(SKIP_1) | instid1(VALU_DEP_2)
	v_mov_b32_e32 v5, v8
	v_cndmask_b32_e64 v12, 0, 0xffffffc0, vcc_lo
	v_mad_u64_u32 v[8:9], null, 0xdb629599, v14, v[5:6]
	s_delay_alu instid0(VALU_DEP_2) | instskip(NEXT) | instid1(VALU_DEP_2)
	v_add_nc_u32_e32 v3, v12, v3
	v_mov_b32_e32 v5, v9
	s_delay_alu instid0(VALU_DEP_2) | instskip(NEXT) | instid1(VALU_DEP_4)
	v_cmp_lt_u32_e64 s0, 31, v3
	v_cndmask_b32_e32 v2, v8, v2, vcc_lo
	s_delay_alu instid0(VALU_DEP_3) | instskip(NEXT) | instid1(VALU_DEP_3)
	v_mad_u64_u32 v[9:10], null, 0xf534ddc0, v14, v[5:6]
	v_cndmask_b32_e64 v13, 0, 0xffffffe0, s0
	s_delay_alu instid0(VALU_DEP_1) | instskip(NEXT) | instid1(VALU_DEP_3)
	v_add_nc_u32_e32 v3, v13, v3
	v_mov_b32_e32 v5, v10
	s_delay_alu instid0(VALU_DEP_2) | instskip(NEXT) | instid1(VALU_DEP_2)
	v_cmp_lt_u32_e64 s1, 31, v3
	v_mad_u64_u32 v[10:11], null, 0xfc2757d1, v14, v[5:6]
	s_delay_alu instid0(VALU_DEP_1) | instskip(NEXT) | instid1(VALU_DEP_1)
	v_mov_b32_e32 v5, v11
	v_mad_u64_u32 v[11:12], null, 0x4e441529, v14, v[5:6]
	s_delay_alu instid0(VALU_DEP_1) | instskip(NEXT) | instid1(VALU_DEP_1)
	v_mov_b32_e32 v5, v12
	v_mad_u64_u32 v[12:13], null, 0xa2f9836e, v14, v[5:6]
	v_cndmask_b32_e64 v5, 0, 0xffffffe0, s1
	s_delay_alu instid0(VALU_DEP_1) | instskip(NEXT) | instid1(VALU_DEP_3)
	v_dual_cndmask_b32 v6, v11, v9 :: v_dual_add_nc_u32 v3, v5, v3
	v_dual_cndmask_b32 v12, v12, v10 :: v_dual_cndmask_b32 v11, v13, v11
	v_dual_cndmask_b32 v10, v10, v8 :: v_dual_cndmask_b32 v5, v9, v7
	s_delay_alu instid0(VALU_DEP_3) | instskip(NEXT) | instid1(VALU_DEP_3)
	v_cmp_eq_u32_e64 s2, 0, v3
	v_cndmask_b32_e64 v7, v12, v6, s0
	s_delay_alu instid0(VALU_DEP_4) | instskip(NEXT) | instid1(VALU_DEP_4)
	v_cndmask_b32_e64 v9, v11, v12, s0
	v_cndmask_b32_e64 v6, v6, v10, s0
	v_sub_nc_u32_e32 v11, 32, v3
	v_cndmask_b32_e64 v10, v10, v5, s0
	v_cndmask_b32_e64 v2, v5, v2, s0
	;; [unrolled: 1-line block ×4, first 2 shown]
	s_delay_alu instid0(VALU_DEP_4) | instskip(NEXT) | instid1(VALU_DEP_4)
	v_cndmask_b32_e64 v6, v6, v10, s1
	v_cndmask_b32_e64 v2, v10, v2, s1
	s_delay_alu instid0(VALU_DEP_3) | instskip(NEXT) | instid1(VALU_DEP_3)
	v_alignbit_b32 v12, v9, v7, v11
	v_alignbit_b32 v13, v7, v6, v11
	s_delay_alu instid0(VALU_DEP_3) | instskip(NEXT) | instid1(VALU_DEP_3)
	v_alignbit_b32 v11, v6, v2, v11
	v_cndmask_b32_e64 v3, v12, v9, s2
	s_delay_alu instid0(VALU_DEP_3) | instskip(NEXT) | instid1(VALU_DEP_3)
	v_cndmask_b32_e64 v7, v13, v7, s2
	v_cndmask_b32_e64 v6, v11, v6, s2
	s_delay_alu instid0(VALU_DEP_3) | instskip(NEXT) | instid1(VALU_DEP_3)
	v_bfe_u32 v8, v3, 29, 1
	v_alignbit_b32 v5, v3, v7, 30
	s_delay_alu instid0(VALU_DEP_3) | instskip(SKIP_1) | instid1(VALU_DEP_4)
	v_alignbit_b32 v7, v7, v6, 30
	v_alignbit_b32 v2, v6, v2, 30
	v_sub_nc_u32_e32 v9, 0, v8
	s_delay_alu instid0(VALU_DEP_1) | instskip(SKIP_3) | instid1(VALU_DEP_4)
	v_xor_b32_e32 v10, v5, v9
	v_cmp_ne_u32_e32 vcc_lo, v5, v9
	v_xor_b32_e32 v6, v7, v9
	v_xor_b32_e32 v2, v2, v9
	v_clz_i32_u32_e32 v12, v10
	s_delay_alu instid0(VALU_DEP_1) | instskip(NEXT) | instid1(VALU_DEP_1)
	v_add_nc_u32_e32 v11, 1, v12
	v_cndmask_b32_e32 v5, 33, v11, vcc_lo
	s_delay_alu instid0(VALU_DEP_1) | instskip(NEXT) | instid1(VALU_DEP_1)
	v_sub_nc_u32_e32 v7, 32, v5
	v_alignbit_b32 v9, v10, v6, v7
	v_alignbit_b32 v2, v6, v2, v7
	v_lshrrev_b32_e32 v6, 29, v3
	v_lshrrev_b32_e32 v3, 30, v3
	s_delay_alu instid0(VALU_DEP_3) | instskip(NEXT) | instid1(VALU_DEP_3)
	v_alignbit_b32 v7, v9, v2, 9
	v_lshlrev_b32_e32 v6, 31, v6
	v_alignbit_b32 v9, v5, v9, 9
	s_delay_alu instid0(VALU_DEP_4) | instskip(NEXT) | instid1(VALU_DEP_4)
	v_add_nc_u32_e32 v3, v8, v3
	v_clz_i32_u32_e32 v10, v7
	s_delay_alu instid0(VALU_DEP_3) | instskip(SKIP_1) | instid1(VALU_DEP_3)
	v_or_b32_e32 v9, v9, v6
	v_or_b32_e32 v6, 0x33800000, v6
	v_min_u32_e32 v10, 32, v10
	s_delay_alu instid0(VALU_DEP_3) | instskip(NEXT) | instid1(VALU_DEP_2)
	v_xor_b32_e32 v9, 1.0, v9
	v_sub_nc_u32_e32 v11, 31, v10
	v_add_lshl_u32 v5, v10, v5, 23
	s_delay_alu instid0(VALU_DEP_3) | instskip(NEXT) | instid1(VALU_DEP_3)
	v_mul_f32_e32 v10, 0x3fc90fda, v9
	v_alignbit_b32 v2, v7, v2, v11
	s_delay_alu instid0(VALU_DEP_3) | instskip(NEXT) | instid1(VALU_DEP_3)
	v_sub_nc_u32_e32 v5, v6, v5
	v_fma_f32 v6, 0x3fc90fda, v9, -v10
	s_delay_alu instid0(VALU_DEP_3) | instskip(NEXT) | instid1(VALU_DEP_2)
	v_lshrrev_b32_e32 v2, 9, v2
	v_fmamk_f32 v6, v9, 0x33a22168, v6
	s_delay_alu instid0(VALU_DEP_2) | instskip(NEXT) | instid1(VALU_DEP_1)
	v_or_b32_e32 v2, v5, v2
	v_fmac_f32_e32 v6, 0x3fc90fda, v2
	s_delay_alu instid0(VALU_DEP_1)
	v_add_f32_e32 v2, v10, v6
	s_and_not1_saveexec_b32 s0, s8
	s_branch .LBB82_39
.LBB82_38:
	s_and_not1_saveexec_b32 s0, s8
.LBB82_39:
	v_mul_f32_e64 v2, 0x3f22f983, |v1|
	s_delay_alu instid0(VALU_DEP_1) | instskip(NEXT) | instid1(VALU_DEP_1)
	v_rndne_f32_e32 v3, v2
	v_fma_f32 v2, 0xbfc90fda, v3, |v1|
	s_delay_alu instid0(VALU_DEP_1) | instskip(NEXT) | instid1(VALU_DEP_1)
	v_fmamk_f32 v2, v3, 0xb3a22168, v2
	v_fmamk_f32 v2, v3, 0xa7c234c4, v2
	v_cvt_i32_f32_e32 v3, v3
; %bb.40:
	s_or_b32 exec_lo, exec_lo, s0
                                        ; implicit-def: $vgpr6
                                        ; implicit-def: $vgpr5
	s_and_saveexec_b32 s0, s7
	s_delay_alu instid0(SALU_CYCLE_1)
	s_xor_b32 s7, exec_lo, s0
	s_cbranch_execz .LBB82_42
; %bb.41:
	s_mov_b32 s0, 0x7fffff
	v_mov_b32_e32 v7, 0
	v_and_or_b32 v15, v4, s0, 0x800000
	v_lshrrev_b32_e32 v12, 23, v4
	s_delay_alu instid0(VALU_DEP_2) | instskip(NEXT) | instid1(VALU_DEP_2)
	v_mad_u64_u32 v[5:6], null, 0xfe5163ab, v15, 0
	v_add_nc_u32_e32 v13, 0xffffff88, v12
	s_delay_alu instid0(VALU_DEP_1) | instskip(NEXT) | instid1(VALU_DEP_3)
	v_cmp_lt_u32_e32 vcc_lo, 63, v13
	v_mad_u64_u32 v[8:9], null, 0x3c439041, v15, v[6:7]
	v_cndmask_b32_e64 v14, 0, 0xffffffc0, vcc_lo
	s_delay_alu instid0(VALU_DEP_2) | instskip(NEXT) | instid1(VALU_DEP_2)
	v_mov_b32_e32 v6, v9
	v_add_nc_u32_e32 v14, v14, v13
	s_delay_alu instid0(VALU_DEP_2) | instskip(NEXT) | instid1(VALU_DEP_2)
	v_mad_u64_u32 v[9:10], null, 0xdb629599, v15, v[6:7]
	v_cmp_lt_u32_e64 s0, 31, v14
	s_delay_alu instid0(VALU_DEP_1) | instskip(NEXT) | instid1(VALU_DEP_3)
	v_cndmask_b32_e64 v16, 0, 0xffffffe0, s0
	v_dual_mov_b32 v6, v10 :: v_dual_cndmask_b32 v5, v9, v5
	s_delay_alu instid0(VALU_DEP_2) | instskip(NEXT) | instid1(VALU_DEP_2)
	v_add_nc_u32_e32 v16, v16, v14
	v_mad_u64_u32 v[10:11], null, 0xf534ddc0, v15, v[6:7]
	s_delay_alu instid0(VALU_DEP_2) | instskip(NEXT) | instid1(VALU_DEP_2)
	v_cmp_lt_u32_e64 s1, 31, v16
	v_mov_b32_e32 v6, v11
	s_delay_alu instid0(VALU_DEP_3) | instskip(NEXT) | instid1(VALU_DEP_2)
	v_cndmask_b32_e32 v8, v10, v8, vcc_lo
	v_mad_u64_u32 v[11:12], null, 0xfc2757d1, v15, v[6:7]
	s_delay_alu instid0(VALU_DEP_2) | instskip(NEXT) | instid1(VALU_DEP_2)
	v_cndmask_b32_e64 v5, v8, v5, s0
	v_mov_b32_e32 v6, v12
	s_delay_alu instid0(VALU_DEP_1) | instskip(NEXT) | instid1(VALU_DEP_1)
	v_mad_u64_u32 v[12:13], null, 0x4e441529, v15, v[6:7]
	v_mov_b32_e32 v6, v13
	s_delay_alu instid0(VALU_DEP_1) | instskip(SKIP_1) | instid1(VALU_DEP_1)
	v_mad_u64_u32 v[13:14], null, 0xa2f9836e, v15, v[6:7]
	v_cndmask_b32_e64 v6, 0, 0xffffffe0, s1
	v_dual_cndmask_b32 v7, v12, v10 :: v_dual_add_nc_u32 v6, v6, v16
	s_delay_alu instid0(VALU_DEP_3) | instskip(NEXT) | instid1(VALU_DEP_4)
	v_cndmask_b32_e32 v13, v13, v11, vcc_lo
	v_dual_cndmask_b32 v11, v11, v9 :: v_dual_cndmask_b32 v12, v14, v12
	s_delay_alu instid0(VALU_DEP_3) | instskip(NEXT) | instid1(VALU_DEP_3)
	v_cmp_eq_u32_e64 s2, 0, v6
	v_cndmask_b32_e64 v10, v13, v7, s0
	s_delay_alu instid0(VALU_DEP_3) | instskip(NEXT) | instid1(VALU_DEP_4)
	v_cndmask_b32_e64 v7, v7, v11, s0
	v_cndmask_b32_e64 v12, v12, v13, s0
	v_sub_nc_u32_e32 v13, 32, v6
	v_cndmask_b32_e64 v11, v11, v8, s0
	s_delay_alu instid0(VALU_DEP_3) | instskip(SKIP_1) | instid1(VALU_DEP_3)
	v_cndmask_b32_e64 v12, v12, v10, s1
	v_cndmask_b32_e64 v10, v10, v7, s1
	v_cndmask_b32_e64 v7, v7, v11, s1
	v_cndmask_b32_e64 v5, v11, v5, s1
	s_delay_alu instid0(VALU_DEP_3) | instskip(NEXT) | instid1(VALU_DEP_3)
	v_alignbit_b32 v14, v12, v10, v13
	v_alignbit_b32 v15, v10, v7, v13
	s_delay_alu instid0(VALU_DEP_3) | instskip(NEXT) | instid1(VALU_DEP_3)
	v_alignbit_b32 v13, v7, v5, v13
	v_cndmask_b32_e64 v6, v14, v12, s2
	s_delay_alu instid0(VALU_DEP_3) | instskip(NEXT) | instid1(VALU_DEP_3)
	v_cndmask_b32_e64 v9, v15, v10, s2
	v_cndmask_b32_e64 v7, v13, v7, s2
	s_delay_alu instid0(VALU_DEP_3) | instskip(NEXT) | instid1(VALU_DEP_3)
	v_bfe_u32 v10, v6, 29, 1
	v_alignbit_b32 v8, v6, v9, 30
	s_delay_alu instid0(VALU_DEP_3) | instskip(SKIP_1) | instid1(VALU_DEP_4)
	v_alignbit_b32 v9, v9, v7, 30
	v_alignbit_b32 v5, v7, v5, 30
	v_sub_nc_u32_e32 v12, 0, v10
	s_delay_alu instid0(VALU_DEP_1) | instskip(SKIP_3) | instid1(VALU_DEP_4)
	v_xor_b32_e32 v11, v8, v12
	v_cmp_ne_u32_e32 vcc_lo, v8, v12
	v_xor_b32_e32 v7, v9, v12
	v_xor_b32_e32 v5, v5, v12
	v_clz_i32_u32_e32 v14, v11
	s_delay_alu instid0(VALU_DEP_1) | instskip(NEXT) | instid1(VALU_DEP_1)
	v_add_nc_u32_e32 v13, 1, v14
	v_cndmask_b32_e32 v8, 33, v13, vcc_lo
	s_delay_alu instid0(VALU_DEP_1) | instskip(NEXT) | instid1(VALU_DEP_1)
	v_sub_nc_u32_e32 v9, 32, v8
	v_alignbit_b32 v11, v11, v7, v9
	v_alignbit_b32 v5, v7, v5, v9
	v_lshrrev_b32_e32 v7, 29, v6
	v_lshrrev_b32_e32 v6, 30, v6
	s_delay_alu instid0(VALU_DEP_3) | instskip(NEXT) | instid1(VALU_DEP_3)
	v_alignbit_b32 v9, v11, v5, 9
	v_lshlrev_b32_e32 v7, 31, v7
	v_alignbit_b32 v11, v8, v11, 9
	s_delay_alu instid0(VALU_DEP_4) | instskip(NEXT) | instid1(VALU_DEP_4)
	v_add_nc_u32_e32 v6, v10, v6
	v_clz_i32_u32_e32 v12, v9
	s_delay_alu instid0(VALU_DEP_3) | instskip(SKIP_1) | instid1(VALU_DEP_3)
	v_or_b32_e32 v11, v11, v7
	v_or_b32_e32 v7, 0x33800000, v7
	v_min_u32_e32 v12, 32, v12
	s_delay_alu instid0(VALU_DEP_3) | instskip(NEXT) | instid1(VALU_DEP_2)
	v_xor_b32_e32 v11, 1.0, v11
	v_sub_nc_u32_e32 v13, 31, v12
	v_add_lshl_u32 v8, v12, v8, 23
	s_delay_alu instid0(VALU_DEP_3) | instskip(NEXT) | instid1(VALU_DEP_3)
	v_mul_f32_e32 v12, 0x3fc90fda, v11
	v_alignbit_b32 v5, v9, v5, v13
	s_delay_alu instid0(VALU_DEP_3) | instskip(NEXT) | instid1(VALU_DEP_3)
	v_sub_nc_u32_e32 v7, v7, v8
	v_fma_f32 v8, 0x3fc90fda, v11, -v12
	s_delay_alu instid0(VALU_DEP_3) | instskip(NEXT) | instid1(VALU_DEP_2)
	v_lshrrev_b32_e32 v5, 9, v5
	v_fmamk_f32 v8, v11, 0x33a22168, v8
	s_delay_alu instid0(VALU_DEP_2) | instskip(NEXT) | instid1(VALU_DEP_1)
	v_or_b32_e32 v5, v7, v5
	v_fmac_f32_e32 v8, 0x3fc90fda, v5
	s_delay_alu instid0(VALU_DEP_1)
	v_add_f32_e32 v5, v12, v8
	s_and_not1_saveexec_b32 s0, s7
	s_cbranch_execnz .LBB82_43
	s_branch .LBB82_44
.LBB82_42:
	s_and_not1_saveexec_b32 s0, s7
.LBB82_43:
	v_mul_f32_e64 v5, 0x3f22f983, |v1|
	s_delay_alu instid0(VALU_DEP_1) | instskip(NEXT) | instid1(VALU_DEP_1)
	v_rndne_f32_e32 v6, v5
	v_fma_f32 v5, 0xbfc90fda, v6, |v1|
	s_delay_alu instid0(VALU_DEP_1) | instskip(NEXT) | instid1(VALU_DEP_1)
	v_fmamk_f32 v5, v6, 0xb3a22168, v5
	v_fmamk_f32 v5, v6, 0xa7c234c4, v5
	v_cvt_i32_f32_e32 v6, v6
.LBB82_44:
	s_or_b32 exec_lo, exec_lo, s0
	v_mul_f32_e64 v7, 0x3fb8aa3b, |v0|
	v_dual_mul_f32 v8, v2, v2 :: v_dual_and_b32 v11, 1, v3
	s_mov_b32 s0, 0xb94c1982
	s_mov_b32 s1, 0x37d75334
	s_delay_alu instid0(VALU_DEP_2) | instskip(SKIP_3) | instid1(VALU_DEP_4)
	v_rndne_f32_e32 v9, v7
	v_fma_f32 v10, 0x3fb8aa3b, |v0|, -v7
	v_dual_fmaak_f32 v14, s0, v8, 0x3c0881c4 :: v_dual_and_b32 v13, 1, v6
	v_dual_mul_f32 v12, v5, v5 :: v_dual_lshlrev_b32 v3, 30, v3
	v_dual_sub_f32 v7, v7, v9 :: v_dual_lshlrev_b32 v6, 30, v6
	s_delay_alu instid0(VALU_DEP_4)
	v_fma_f32 v10, 0x32a5705f, |v0|, v10
	v_cvt_i32_f32_e32 v9, v9
	v_fmaak_f32 v14, v8, v14, 0xbe2aaa9d
	v_fmaak_f32 v15, s0, v12, 0x3c0881c4
	v_cmp_ngt_f32_e64 vcc_lo, 0xc2ce8ed0, |v0|
	v_dual_add_f32 v7, v7, v10 :: v_dual_fmaak_f32 v10, s1, v8, 0xbab64f3b
	s_delay_alu instid0(VALU_DEP_4) | instskip(NEXT) | instid1(VALU_DEP_4)
	v_mul_f32_e32 v14, v8, v14
	v_fmaak_f32 v15, v12, v15, 0xbe2aaa9d
	v_and_or_b32 v4, 0x80000000, v6, v4
	s_delay_alu instid0(VALU_DEP_4) | instskip(NEXT) | instid1(VALU_DEP_3)
	v_exp_f32_e32 v7, v7
	v_fmac_f32_e32 v2, v2, v14
	s_delay_alu instid0(VALU_DEP_3) | instskip(NEXT) | instid1(VALU_DEP_1)
	v_dual_fmaak_f32 v16, s1, v12, 0xbab64f3b :: v_dual_mul_f32 v15, v12, v15
	v_fmac_f32_e32 v5, v5, v15
	s_waitcnt_depctr 0xfff
	v_ldexp_f32 v7, v7, v9
	s_delay_alu instid0(VALU_DEP_1) | instskip(NEXT) | instid1(VALU_DEP_1)
	v_dual_fmaak_f32 v10, v8, v10, 0x3d2aabf7 :: v_dual_cndmask_b32 v7, 0, v7
	v_fmaak_f32 v10, v8, v10, 0xbf000004
	v_cmp_eq_u32_e32 vcc_lo, 0, v11
	s_delay_alu instid0(VALU_DEP_2) | instskip(NEXT) | instid1(VALU_DEP_1)
	v_fma_f32 v8, v8, v10, 1.0
	v_cndmask_b32_e64 v2, -v2, v8, vcc_lo
	v_cmp_eq_u32_e32 vcc_lo, 0, v13
	v_fmaak_f32 v16, v12, v16, 0x3d2aabf7
	s_delay_alu instid0(VALU_DEP_1) | instskip(NEXT) | instid1(VALU_DEP_1)
	v_fmaak_f32 v16, v12, v16, 0xbf000004
	v_fma_f32 v9, v12, v16, 1.0
	s_delay_alu instid0(VALU_DEP_1) | instskip(SKIP_4) | instid1(VALU_DEP_2)
	v_cndmask_b32_e32 v5, v9, v5, vcc_lo
	v_cmp_nlt_f32_e64 vcc_lo, 0x42b17218, |v0|
	v_cndmask_b32_e32 v6, 0x7f800000, v7, vcc_lo
	v_and_b32_e32 v3, 0x80000000, v3
	v_cmp_class_f32_e64 vcc_lo, v1, 0x1f8
	v_xor_b32_e32 v2, v3, v2
	v_xor3_b32 v3, v4, v5, v1
	v_mul_f32_e32 v4, 0.5, v6
	s_delay_alu instid0(VALU_DEP_3) | instskip(NEXT) | instid1(VALU_DEP_3)
	v_cndmask_b32_e32 v1, 0x7fc00000, v2, vcc_lo
	v_cndmask_b32_e32 v3, 0x7fc00000, v3, vcc_lo
	s_delay_alu instid0(VALU_DEP_3) | instskip(NEXT) | instid1(VALU_DEP_3)
	v_bfi_b32 v0, 0x7fffffff, v4, v0
	v_mul_f32_e32 v2, v4, v1
	s_delay_alu instid0(VALU_DEP_2)
	v_mul_f32_e32 v3, v0, v3
.LBB82_45:
	s_or_b32 exec_lo, exec_lo, s6
                                        ; implicit-def: $vgpr0
                                        ; implicit-def: $vgpr1
                                        ; implicit-def: $vgpr4
.LBB82_46:
	s_and_not1_saveexec_b32 s5, s5
	s_cbranch_execz .LBB82_56
; %bb.47:
	v_cmp_ngt_f32_e64 s6, 0x48000000, |v1|
	v_lshrrev_b32_e32 v7, 23, v4
                                        ; implicit-def: $vgpr3
                                        ; implicit-def: $vgpr2
	s_delay_alu instid0(VALU_DEP_2) | instskip(NEXT) | instid1(SALU_CYCLE_1)
	s_and_saveexec_b32 s0, s6
	s_xor_b32 s7, exec_lo, s0
	s_cbranch_execz .LBB82_49
; %bb.48:
	s_mov_b32 s0, 0x7fffff
	s_delay_alu instid0(SALU_CYCLE_1) | instskip(NEXT) | instid1(VALU_DEP_1)
	v_and_or_b32 v15, v4, s0, 0x800000
	v_mad_u64_u32 v[2:3], null, 0xfe5163ab, v15, 0
	s_delay_alu instid0(VALU_DEP_1) | instskip(SKIP_1) | instid1(VALU_DEP_2)
	v_dual_mov_b32 v6, 0 :: v_dual_mov_b32 v5, v3
	v_add_nc_u32_e32 v3, 0xffffff88, v7
	v_mad_u64_u32 v[8:9], null, 0x3c439041, v15, v[5:6]
	s_delay_alu instid0(VALU_DEP_2) | instskip(SKIP_1) | instid1(VALU_DEP_3)
	v_cmp_lt_u32_e32 vcc_lo, 63, v3
	v_cndmask_b32_e64 v13, 0, 0xffffffc0, vcc_lo
	v_mov_b32_e32 v5, v9
	s_delay_alu instid0(VALU_DEP_2) | instskip(NEXT) | instid1(VALU_DEP_2)
	v_add_nc_u32_e32 v3, v13, v3
	v_mad_u64_u32 v[9:10], null, 0xdb629599, v15, v[5:6]
	s_delay_alu instid0(VALU_DEP_2) | instskip(NEXT) | instid1(VALU_DEP_2)
	v_cmp_lt_u32_e64 s0, 31, v3
	v_dual_mov_b32 v5, v10 :: v_dual_cndmask_b32 v2, v9, v2
	s_delay_alu instid0(VALU_DEP_2) | instskip(NEXT) | instid1(VALU_DEP_2)
	v_cndmask_b32_e64 v14, 0, 0xffffffe0, s0
	v_mad_u64_u32 v[10:11], null, 0xf534ddc0, v15, v[5:6]
	s_delay_alu instid0(VALU_DEP_2) | instskip(NEXT) | instid1(VALU_DEP_1)
	v_add_nc_u32_e32 v3, v14, v3
	v_cmp_lt_u32_e64 s1, 31, v3
	s_delay_alu instid0(VALU_DEP_3) | instskip(NEXT) | instid1(VALU_DEP_1)
	v_mov_b32_e32 v5, v11
	v_mad_u64_u32 v[11:12], null, 0xfc2757d1, v15, v[5:6]
	s_delay_alu instid0(VALU_DEP_1) | instskip(NEXT) | instid1(VALU_DEP_1)
	v_mov_b32_e32 v5, v12
	v_mad_u64_u32 v[12:13], null, 0x4e441529, v15, v[5:6]
	s_delay_alu instid0(VALU_DEP_1) | instskip(NEXT) | instid1(VALU_DEP_1)
	v_mov_b32_e32 v5, v13
	v_mad_u64_u32 v[13:14], null, 0xa2f9836e, v15, v[5:6]
	v_cndmask_b32_e64 v5, 0, 0xffffffe0, s1
	s_delay_alu instid0(VALU_DEP_1) | instskip(NEXT) | instid1(VALU_DEP_3)
	v_dual_cndmask_b32 v6, v12, v10 :: v_dual_add_nc_u32 v3, v5, v3
	v_dual_cndmask_b32 v13, v13, v11 :: v_dual_cndmask_b32 v12, v14, v12
	v_cndmask_b32_e32 v11, v11, v9, vcc_lo
	v_cndmask_b32_e32 v5, v10, v8, vcc_lo
	s_delay_alu instid0(VALU_DEP_4) | instskip(NEXT) | instid1(VALU_DEP_4)
	v_cmp_eq_u32_e64 s2, 0, v3
	v_cndmask_b32_e64 v8, v13, v6, s0
	v_cndmask_b32_e64 v10, v12, v13, s0
	;; [unrolled: 1-line block ×3, first 2 shown]
	v_sub_nc_u32_e32 v12, 32, v3
	v_cndmask_b32_e64 v11, v11, v5, s0
	v_cndmask_b32_e64 v2, v5, v2, s0
	;; [unrolled: 1-line block ×4, first 2 shown]
	s_delay_alu instid0(VALU_DEP_4) | instskip(NEXT) | instid1(VALU_DEP_4)
	v_cndmask_b32_e64 v6, v6, v11, s1
	v_cndmask_b32_e64 v2, v11, v2, s1
	s_delay_alu instid0(VALU_DEP_3) | instskip(NEXT) | instid1(VALU_DEP_3)
	v_alignbit_b32 v13, v10, v8, v12
	v_alignbit_b32 v14, v8, v6, v12
	s_delay_alu instid0(VALU_DEP_3) | instskip(NEXT) | instid1(VALU_DEP_3)
	v_alignbit_b32 v12, v6, v2, v12
	v_cndmask_b32_e64 v3, v13, v10, s2
	s_delay_alu instid0(VALU_DEP_3) | instskip(NEXT) | instid1(VALU_DEP_3)
	v_cndmask_b32_e64 v8, v14, v8, s2
	v_cndmask_b32_e64 v6, v12, v6, s2
	s_delay_alu instid0(VALU_DEP_3) | instskip(NEXT) | instid1(VALU_DEP_3)
	v_bfe_u32 v9, v3, 29, 1
	v_alignbit_b32 v5, v3, v8, 30
	s_delay_alu instid0(VALU_DEP_3) | instskip(SKIP_1) | instid1(VALU_DEP_4)
	v_alignbit_b32 v8, v8, v6, 30
	v_alignbit_b32 v2, v6, v2, 30
	v_sub_nc_u32_e32 v10, 0, v9
	s_delay_alu instid0(VALU_DEP_1) | instskip(SKIP_3) | instid1(VALU_DEP_4)
	v_xor_b32_e32 v11, v5, v10
	v_cmp_ne_u32_e32 vcc_lo, v5, v10
	v_xor_b32_e32 v6, v8, v10
	v_xor_b32_e32 v2, v2, v10
	v_clz_i32_u32_e32 v13, v11
	s_delay_alu instid0(VALU_DEP_1) | instskip(NEXT) | instid1(VALU_DEP_1)
	v_add_nc_u32_e32 v12, 1, v13
	v_cndmask_b32_e32 v5, 33, v12, vcc_lo
	s_delay_alu instid0(VALU_DEP_1) | instskip(NEXT) | instid1(VALU_DEP_1)
	v_sub_nc_u32_e32 v8, 32, v5
	v_alignbit_b32 v10, v11, v6, v8
	v_alignbit_b32 v2, v6, v2, v8
	v_lshrrev_b32_e32 v6, 29, v3
	v_lshrrev_b32_e32 v3, 30, v3
	s_delay_alu instid0(VALU_DEP_3) | instskip(NEXT) | instid1(VALU_DEP_3)
	v_alignbit_b32 v8, v10, v2, 9
	v_lshlrev_b32_e32 v6, 31, v6
	v_alignbit_b32 v10, v5, v10, 9
	s_delay_alu instid0(VALU_DEP_4) | instskip(NEXT) | instid1(VALU_DEP_4)
	v_add_nc_u32_e32 v3, v9, v3
	v_clz_i32_u32_e32 v11, v8
	s_delay_alu instid0(VALU_DEP_3) | instskip(SKIP_1) | instid1(VALU_DEP_3)
	v_or_b32_e32 v10, v10, v6
	v_or_b32_e32 v6, 0x33800000, v6
	v_min_u32_e32 v11, 32, v11
	s_delay_alu instid0(VALU_DEP_3) | instskip(NEXT) | instid1(VALU_DEP_2)
	v_xor_b32_e32 v10, 1.0, v10
	v_sub_nc_u32_e32 v12, 31, v11
	v_add_lshl_u32 v5, v11, v5, 23
	s_delay_alu instid0(VALU_DEP_3) | instskip(NEXT) | instid1(VALU_DEP_3)
	v_mul_f32_e32 v11, 0x3fc90fda, v10
	v_alignbit_b32 v2, v8, v2, v12
	s_delay_alu instid0(VALU_DEP_3) | instskip(NEXT) | instid1(VALU_DEP_3)
	v_sub_nc_u32_e32 v5, v6, v5
	v_fma_f32 v6, 0x3fc90fda, v10, -v11
	s_delay_alu instid0(VALU_DEP_3) | instskip(NEXT) | instid1(VALU_DEP_2)
	v_lshrrev_b32_e32 v2, 9, v2
	v_fmamk_f32 v6, v10, 0x33a22168, v6
	s_delay_alu instid0(VALU_DEP_2) | instskip(NEXT) | instid1(VALU_DEP_1)
	v_or_b32_e32 v2, v5, v2
	v_fmac_f32_e32 v6, 0x3fc90fda, v2
	s_delay_alu instid0(VALU_DEP_1)
	v_add_f32_e32 v2, v11, v6
	s_or_saveexec_b32 s0, s7
	v_mul_f32_e64 v8, 0x3f22f983, |v1|
	s_xor_b32 exec_lo, exec_lo, s0
	s_branch .LBB82_50
.LBB82_49:
	s_or_saveexec_b32 s0, s7
	v_mul_f32_e64 v8, 0x3f22f983, |v1|
	s_xor_b32 exec_lo, exec_lo, s0
.LBB82_50:
	s_delay_alu instid0(VALU_DEP_1) | instskip(NEXT) | instid1(VALU_DEP_1)
	v_rndne_f32_e32 v3, v8
	v_fma_f32 v2, 0xbfc90fda, v3, |v1|
	s_delay_alu instid0(VALU_DEP_1) | instskip(NEXT) | instid1(VALU_DEP_1)
	v_fmamk_f32 v2, v3, 0xb3a22168, v2
	v_fmamk_f32 v2, v3, 0xa7c234c4, v2
	v_cvt_i32_f32_e32 v3, v3
; %bb.51:
	s_or_b32 exec_lo, exec_lo, s0
                                        ; implicit-def: $vgpr6
                                        ; implicit-def: $vgpr5
	s_and_saveexec_b32 s0, s6
	s_delay_alu instid0(SALU_CYCLE_1)
	s_xor_b32 s6, exec_lo, s0
	s_cbranch_execz .LBB82_53
; %bb.52:
	s_mov_b32 s0, 0x7fffff
	s_delay_alu instid0(SALU_CYCLE_1) | instskip(NEXT) | instid1(VALU_DEP_1)
	v_and_or_b32 v16, v4, s0, 0x800000
	v_mad_u64_u32 v[5:6], null, 0xfe5163ab, v16, 0
	s_delay_alu instid0(VALU_DEP_1) | instskip(NEXT) | instid1(VALU_DEP_1)
	v_dual_mov_b32 v9, 0 :: v_dual_mov_b32 v8, v6
	v_mad_u64_u32 v[10:11], null, 0x3c439041, v16, v[8:9]
	s_delay_alu instid0(VALU_DEP_1) | instskip(NEXT) | instid1(VALU_DEP_1)
	v_mov_b32_e32 v8, v11
	v_mad_u64_u32 v[11:12], null, 0xdb629599, v16, v[8:9]
	s_delay_alu instid0(VALU_DEP_1) | instskip(NEXT) | instid1(VALU_DEP_1)
	v_mov_b32_e32 v8, v12
	v_mad_u64_u32 v[12:13], null, 0xf534ddc0, v16, v[8:9]
	s_delay_alu instid0(VALU_DEP_1) | instskip(NEXT) | instid1(VALU_DEP_1)
	v_dual_mov_b32 v8, v13 :: v_dual_add_nc_u32 v13, 0xffffff88, v7
	v_mad_u64_u32 v[6:7], null, 0xfc2757d1, v16, v[8:9]
	s_delay_alu instid0(VALU_DEP_2) | instskip(SKIP_1) | instid1(VALU_DEP_3)
	v_cmp_lt_u32_e32 vcc_lo, 63, v13
	v_cndmask_b32_e64 v14, 0, 0xffffffc0, vcc_lo
	v_mov_b32_e32 v8, v7
	v_cndmask_b32_e32 v5, v11, v5, vcc_lo
	s_delay_alu instid0(VALU_DEP_3) | instskip(NEXT) | instid1(VALU_DEP_3)
	v_add_nc_u32_e32 v7, v14, v13
	v_mad_u64_u32 v[13:14], null, 0x4e441529, v16, v[8:9]
	s_delay_alu instid0(VALU_DEP_2) | instskip(NEXT) | instid1(VALU_DEP_2)
	v_cmp_lt_u32_e64 s0, 31, v7
	v_mov_b32_e32 v8, v14
	s_delay_alu instid0(VALU_DEP_2) | instskip(NEXT) | instid1(VALU_DEP_1)
	v_cndmask_b32_e64 v15, 0, 0xffffffe0, s0
	v_add_nc_u32_e32 v7, v15, v7
	s_delay_alu instid0(VALU_DEP_3) | instskip(SKIP_1) | instid1(VALU_DEP_3)
	v_mad_u64_u32 v[14:15], null, 0xa2f9836e, v16, v[8:9]
	v_cndmask_b32_e32 v9, v13, v12, vcc_lo
	v_cmp_lt_u32_e64 s1, 31, v7
	s_delay_alu instid0(VALU_DEP_3) | instskip(NEXT) | instid1(VALU_DEP_2)
	v_cndmask_b32_e32 v13, v15, v13, vcc_lo
	v_cndmask_b32_e64 v8, 0, 0xffffffe0, s1
	v_cndmask_b32_e32 v14, v14, v6, vcc_lo
	v_cndmask_b32_e32 v6, v6, v11, vcc_lo
	s_delay_alu instid0(VALU_DEP_3) | instskip(SKIP_1) | instid1(VALU_DEP_4)
	v_add_nc_u32_e32 v7, v8, v7
	v_cndmask_b32_e32 v8, v12, v10, vcc_lo
	v_cndmask_b32_e64 v10, v14, v9, s0
	v_cndmask_b32_e64 v12, v13, v14, s0
	;; [unrolled: 1-line block ×3, first 2 shown]
	v_sub_nc_u32_e32 v13, 32, v7
	v_cndmask_b32_e64 v6, v6, v8, s0
	v_cmp_eq_u32_e64 s2, 0, v7
	v_cndmask_b32_e64 v12, v12, v10, s1
	v_cndmask_b32_e64 v10, v10, v9, s1
	;; [unrolled: 1-line block ×4, first 2 shown]
	s_delay_alu instid0(VALU_DEP_3) | instskip(NEXT) | instid1(VALU_DEP_3)
	v_alignbit_b32 v14, v12, v10, v13
	v_cndmask_b32_e64 v5, v6, v5, s1
	s_delay_alu instid0(VALU_DEP_3) | instskip(NEXT) | instid1(VALU_DEP_3)
	v_alignbit_b32 v15, v10, v9, v13
	v_cndmask_b32_e64 v7, v14, v12, s2
	;; [unrolled: 3-line block ×3, first 2 shown]
	s_delay_alu instid0(VALU_DEP_3) | instskip(NEXT) | instid1(VALU_DEP_3)
	v_bfe_u32 v11, v7, 29, 1
	v_cndmask_b32_e64 v9, v13, v9, s2
	s_delay_alu instid0(VALU_DEP_3) | instskip(NEXT) | instid1(VALU_DEP_3)
	v_alignbit_b32 v8, v7, v10, 30
	v_sub_nc_u32_e32 v12, 0, v11
	s_delay_alu instid0(VALU_DEP_3) | instskip(SKIP_1) | instid1(VALU_DEP_3)
	v_alignbit_b32 v10, v10, v9, 30
	v_alignbit_b32 v5, v9, v5, 30
	v_xor_b32_e32 v6, v8, v12
	v_cmp_ne_u32_e32 vcc_lo, v8, v12
	s_delay_alu instid0(VALU_DEP_4) | instskip(NEXT) | instid1(VALU_DEP_4)
	v_xor_b32_e32 v9, v10, v12
	v_xor_b32_e32 v5, v5, v12
	s_delay_alu instid0(VALU_DEP_4) | instskip(NEXT) | instid1(VALU_DEP_1)
	v_clz_i32_u32_e32 v14, v6
	v_add_nc_u32_e32 v13, 1, v14
	s_delay_alu instid0(VALU_DEP_1) | instskip(NEXT) | instid1(VALU_DEP_1)
	v_cndmask_b32_e32 v8, 33, v13, vcc_lo
	v_sub_nc_u32_e32 v10, 32, v8
	s_delay_alu instid0(VALU_DEP_1) | instskip(SKIP_3) | instid1(VALU_DEP_3)
	v_alignbit_b32 v6, v6, v9, v10
	v_alignbit_b32 v5, v9, v5, v10
	v_lshrrev_b32_e32 v9, 29, v7
	v_lshrrev_b32_e32 v7, 30, v7
	v_alignbit_b32 v10, v6, v5, 9
	s_delay_alu instid0(VALU_DEP_3) | instskip(SKIP_1) | instid1(VALU_DEP_3)
	v_lshlrev_b32_e32 v9, 31, v9
	v_alignbit_b32 v6, v8, v6, 9
	v_clz_i32_u32_e32 v12, v10
	s_delay_alu instid0(VALU_DEP_2) | instskip(SKIP_1) | instid1(VALU_DEP_3)
	v_or_b32_e32 v6, v6, v9
	v_or_b32_e32 v9, 0x33800000, v9
	v_min_u32_e32 v12, 32, v12
	s_delay_alu instid0(VALU_DEP_3) | instskip(NEXT) | instid1(VALU_DEP_2)
	v_xor_b32_e32 v6, 1.0, v6
	v_sub_nc_u32_e32 v13, 31, v12
	v_add_lshl_u32 v8, v12, v8, 23
	s_delay_alu instid0(VALU_DEP_3) | instskip(NEXT) | instid1(VALU_DEP_3)
	v_mul_f32_e32 v12, 0x3fc90fda, v6
	v_alignbit_b32 v5, v10, v5, v13
	s_delay_alu instid0(VALU_DEP_3) | instskip(NEXT) | instid1(VALU_DEP_3)
	v_sub_nc_u32_e32 v8, v9, v8
	v_fma_f32 v9, 0x3fc90fda, v6, -v12
	s_delay_alu instid0(VALU_DEP_3) | instskip(NEXT) | instid1(VALU_DEP_2)
	v_lshrrev_b32_e32 v5, 9, v5
	v_fmamk_f32 v6, v6, 0x33a22168, v9
	s_delay_alu instid0(VALU_DEP_2) | instskip(NEXT) | instid1(VALU_DEP_1)
	v_or_b32_e32 v5, v8, v5
                                        ; implicit-def: $vgpr8
	v_fmac_f32_e32 v6, 0x3fc90fda, v5
	s_delay_alu instid0(VALU_DEP_1)
	v_dual_add_f32 v5, v12, v6 :: v_dual_add_nc_u32 v6, v11, v7
	s_and_not1_saveexec_b32 s0, s6
	s_cbranch_execnz .LBB82_54
	s_branch .LBB82_55
.LBB82_53:
	s_and_not1_saveexec_b32 s0, s6
.LBB82_54:
	v_rndne_f32_e32 v6, v8
	s_delay_alu instid0(VALU_DEP_1) | instskip(NEXT) | instid1(VALU_DEP_1)
	v_fma_f32 v5, 0xbfc90fda, v6, |v1|
	v_fmamk_f32 v5, v6, 0xb3a22168, v5
	s_delay_alu instid0(VALU_DEP_1)
	v_fmamk_f32 v5, v6, 0xa7c234c4, v5
	v_cvt_i32_f32_e32 v6, v6
.LBB82_55:
	s_or_b32 exec_lo, exec_lo, s0
	v_add_f32_e64 v7, 0xbf317218, |v0|
	s_mov_b32 s0, 0x3ab42872
	s_mov_b32 s1, 0x37d75334
	s_delay_alu instid0(VALU_DEP_1) | instskip(NEXT) | instid1(VALU_DEP_1)
	v_sub_f32_e64 v8, v7, |v0|
	v_dual_sub_f32 v9, v8, v7 :: v_dual_add_f32 v8, 0x3f317218, v8
	s_delay_alu instid0(VALU_DEP_1) | instskip(NEXT) | instid1(VALU_DEP_1)
	v_add_f32_e64 v9, |v0|, v9
	v_sub_f32_e32 v8, v9, v8
	s_delay_alu instid0(VALU_DEP_1) | instskip(NEXT) | instid1(VALU_DEP_1)
	v_add_f32_e32 v8, 0x3102e308, v8
	v_add_f32_e32 v9, v7, v8
	s_delay_alu instid0(VALU_DEP_1) | instskip(NEXT) | instid1(VALU_DEP_1)
	v_sub_f32_e32 v7, v7, v9
	v_dual_mul_f32 v10, 0x3fb8aa3b, v9 :: v_dual_add_f32 v7, v8, v7
	s_delay_alu instid0(VALU_DEP_1) | instskip(NEXT) | instid1(VALU_DEP_1)
	v_rndne_f32_e32 v10, v10
	v_fmamk_f32 v8, v10, 0xbf317200, v9
	v_mul_f32_e32 v9, 0x35bfbc00, v10
	s_delay_alu instid0(VALU_DEP_2) | instskip(NEXT) | instid1(VALU_DEP_1)
	v_add_f32_e32 v11, v7, v8
	v_sub_f32_e32 v12, v11, v9
	s_delay_alu instid0(VALU_DEP_1) | instskip(NEXT) | instid1(VALU_DEP_1)
	v_dual_sub_f32 v8, v8, v11 :: v_dual_sub_f32 v11, v11, v12
	v_add_f32_e32 v7, v7, v8
	s_delay_alu instid0(VALU_DEP_2) | instskip(NEXT) | instid1(VALU_DEP_1)
	v_sub_f32_e32 v8, v11, v9
	v_dual_add_f32 v7, v7, v8 :: v_dual_mul_f32 v8, 0x2ea39ef3, v10
	s_delay_alu instid0(VALU_DEP_1) | instskip(NEXT) | instid1(VALU_DEP_1)
	v_add_f32_e32 v9, v12, v7
	v_dual_sub_f32 v11, v9, v8 :: v_dual_sub_f32 v12, v12, v9
	s_delay_alu instid0(VALU_DEP_1) | instskip(NEXT) | instid1(VALU_DEP_2)
	v_sub_f32_e32 v9, v9, v11
	v_add_f32_e32 v7, v7, v12
	s_delay_alu instid0(VALU_DEP_2) | instskip(NEXT) | instid1(VALU_DEP_1)
	v_sub_f32_e32 v8, v9, v8
	v_add_f32_e32 v7, v7, v8
	s_delay_alu instid0(VALU_DEP_1) | instskip(NEXT) | instid1(VALU_DEP_1)
	v_add_f32_e32 v8, v11, v7
	v_sub_f32_e32 v9, v11, v8
	v_mul_f32_e32 v11, v8, v8
	s_delay_alu instid0(VALU_DEP_2) | instskip(SKIP_1) | instid1(VALU_DEP_3)
	v_add_f32_e32 v7, v7, v9
	v_fmaak_f32 v9, s0, v8, 0x3c091de6
	v_fma_f32 v12, v8, v8, -v11
	s_mov_b32 s0, 0xb94c1982
	s_delay_alu instid0(VALU_DEP_3) | instskip(NEXT) | instid1(VALU_DEP_3)
	v_add_f32_e32 v13, v7, v7
	v_fmaak_f32 v9, v8, v9, 0x3d2aadcc
	s_delay_alu instid0(VALU_DEP_2) | instskip(NEXT) | instid1(VALU_DEP_2)
	v_fmac_f32_e32 v12, v8, v13
	v_fmaak_f32 v9, v8, v9, 0x3e2aaa47
	s_delay_alu instid0(VALU_DEP_2) | instskip(NEXT) | instid1(VALU_DEP_2)
	v_add_f32_e32 v13, v11, v12
	v_fmaak_f32 v9, v8, v9, 0x3efffffc
	s_delay_alu instid0(VALU_DEP_2) | instskip(NEXT) | instid1(VALU_DEP_1)
	v_sub_f32_e32 v11, v13, v11
	v_dual_mul_f32 v14, v9, v13 :: v_dual_sub_f32 v11, v12, v11
	s_delay_alu instid0(VALU_DEP_1) | instskip(NEXT) | instid1(VALU_DEP_1)
	v_fma_f32 v12, v13, v9, -v14
	v_fmac_f32_e32 v12, v11, v9
	s_delay_alu instid0(VALU_DEP_1) | instskip(NEXT) | instid1(VALU_DEP_1)
	v_add_f32_e32 v9, v14, v12
	v_add_f32_e32 v11, v8, v9
	s_delay_alu instid0(VALU_DEP_1) | instskip(NEXT) | instid1(VALU_DEP_1)
	v_dual_sub_f32 v13, v9, v14 :: v_dual_sub_f32 v8, v11, v8
	v_sub_f32_e32 v12, v12, v13
	s_delay_alu instid0(VALU_DEP_2) | instskip(NEXT) | instid1(VALU_DEP_2)
	v_sub_f32_e32 v8, v9, v8
	v_add_f32_e32 v7, v7, v12
	s_delay_alu instid0(VALU_DEP_1) | instskip(NEXT) | instid1(VALU_DEP_1)
	v_add_f32_e32 v7, v7, v8
	v_add_f32_e32 v8, v11, v7
	s_delay_alu instid0(VALU_DEP_1) | instskip(NEXT) | instid1(VALU_DEP_1)
	v_add_f32_e32 v9, 1.0, v8
	v_dual_sub_f32 v11, v8, v11 :: v_dual_add_f32 v12, -1.0, v9
	s_delay_alu instid0(VALU_DEP_1) | instskip(NEXT) | instid1(VALU_DEP_1)
	v_dual_sub_f32 v7, v7, v11 :: v_dual_sub_f32 v8, v8, v12
	v_add_f32_e32 v7, v7, v8
	v_cvt_i32_f32_e32 v8, v10
	s_delay_alu instid0(VALU_DEP_2) | instskip(NEXT) | instid1(VALU_DEP_1)
	v_add_f32_e32 v10, v9, v7
	v_ldexp_f32 v11, v10, v8
	v_sub_f32_e32 v9, v10, v9
	s_delay_alu instid0(VALU_DEP_2) | instskip(NEXT) | instid1(VALU_DEP_1)
	v_rcp_f32_e32 v12, v11
	v_sub_f32_e32 v7, v7, v9
	s_delay_alu instid0(VALU_DEP_1) | instskip(SKIP_2) | instid1(VALU_DEP_1)
	v_ldexp_f32 v7, v7, v8
	s_waitcnt_depctr 0xfff
	v_mul_f32_e32 v9, v11, v12
	v_fma_f32 v8, v12, v11, -v9
	s_delay_alu instid0(VALU_DEP_1) | instskip(NEXT) | instid1(VALU_DEP_1)
	v_fmac_f32_e32 v8, v12, v7
	v_add_f32_e32 v10, v9, v8
	s_delay_alu instid0(VALU_DEP_1) | instskip(SKIP_1) | instid1(VALU_DEP_2)
	v_sub_f32_e32 v13, 1.0, v10
	v_sub_f32_e32 v9, v10, v9
	v_sub_f32_e32 v14, 1.0, v13
	s_delay_alu instid0(VALU_DEP_1) | instskip(NEXT) | instid1(VALU_DEP_1)
	v_dual_sub_f32 v8, v9, v8 :: v_dual_sub_f32 v9, v14, v10
	v_add_f32_e32 v8, v8, v9
	s_delay_alu instid0(VALU_DEP_1) | instskip(NEXT) | instid1(VALU_DEP_1)
	v_add_f32_e32 v9, v13, v8
	v_mul_f32_e32 v10, v12, v9
	s_delay_alu instid0(VALU_DEP_1) | instskip(NEXT) | instid1(VALU_DEP_1)
	v_dual_sub_f32 v13, v13, v9 :: v_dual_mul_f32 v14, v11, v10
	v_add_f32_e32 v8, v8, v13
	s_delay_alu instid0(VALU_DEP_2) | instskip(NEXT) | instid1(VALU_DEP_1)
	v_fma_f32 v15, v10, v11, -v14
	v_fmac_f32_e32 v15, v10, v7
	s_delay_alu instid0(VALU_DEP_1) | instskip(NEXT) | instid1(VALU_DEP_1)
	v_add_f32_e32 v16, v14, v15
	v_sub_f32_e32 v13, v16, v14
	v_and_b32_e32 v14, 1, v6
	v_dual_sub_f32 v17, v9, v16 :: v_dual_lshlrev_b32 v6, 30, v6
	s_delay_alu instid0(VALU_DEP_3) | instskip(NEXT) | instid1(VALU_DEP_2)
	v_sub_f32_e32 v13, v13, v15
	v_and_or_b32 v4, 0x80000000, v6, v4
	s_delay_alu instid0(VALU_DEP_3) | instskip(NEXT) | instid1(VALU_DEP_1)
	v_sub_f32_e32 v9, v9, v17
	v_sub_f32_e32 v9, v9, v16
	s_delay_alu instid0(VALU_DEP_1) | instskip(NEXT) | instid1(VALU_DEP_1)
	v_add_f32_e32 v8, v8, v9
	v_dual_add_f32 v9, v12, v10 :: v_dual_add_f32 v8, v13, v8
	s_delay_alu instid0(VALU_DEP_1) | instskip(NEXT) | instid1(VALU_DEP_2)
	v_sub_f32_e32 v13, v9, v12
	v_add_f32_e32 v8, v17, v8
	s_delay_alu instid0(VALU_DEP_2) | instskip(NEXT) | instid1(VALU_DEP_2)
	v_sub_f32_e32 v10, v10, v13
	v_mul_f32_e32 v8, v12, v8
	v_mul_f32_e32 v12, v2, v2
	s_delay_alu instid0(VALU_DEP_2) | instskip(NEXT) | instid1(VALU_DEP_2)
	v_add_f32_e32 v8, v10, v8
	v_fmaak_f32 v16, s0, v12, 0x3c0881c4
	v_mul_f32_e32 v10, v5, v5
	s_delay_alu instid0(VALU_DEP_1) | instskip(SKIP_1) | instid1(VALU_DEP_2)
	v_dual_add_f32 v15, v9, v8 :: v_dual_fmaak_f32 v20, s1, v10, 0xbab64f3b
	v_dual_fmaak_f32 v18, s0, v10, 0x3c0881c4 :: v_dual_and_b32 v13, 1, v3
	v_dual_sub_f32 v6, v15, v9 :: v_dual_fmaak_f32 v9, v12, v16, 0xbe2aaa9d
	s_delay_alu instid0(VALU_DEP_3) | instskip(NEXT) | instid1(VALU_DEP_3)
	v_fmaak_f32 v20, v10, v20, 0x3d2aabf7
	v_cmp_eq_u32_e32 vcc_lo, 0, v13
	v_cmp_lt_f32_e64 s0, 0x42b2d4fc, |v0|
	s_delay_alu instid0(VALU_DEP_4) | instskip(SKIP_1) | instid1(VALU_DEP_2)
	v_sub_f32_e32 v6, v8, v6
	v_dual_mul_f32 v9, v12, v9 :: v_dual_fmaak_f32 v8, v10, v18, 0xbe2aaa9d
	v_ldexp_f32 v6, v6, -2
	s_delay_alu instid0(VALU_DEP_2) | instskip(SKIP_2) | instid1(VALU_DEP_2)
	v_fmac_f32_e32 v2, v2, v9
	v_ldexp_f32 v19, v15, -2
	v_fmaak_f32 v17, s1, v12, 0xbab64f3b
	v_dual_mul_f32 v8, v10, v8 :: v_dual_sub_f32 v15, v11, v19
	s_delay_alu instid0(VALU_DEP_2) | instskip(SKIP_1) | instid1(VALU_DEP_3)
	v_dual_fmaak_f32 v16, v12, v17, 0x3d2aabf7 :: v_dual_add_f32 v17, v11, v19
	v_lshlrev_b32_e32 v3, 30, v3
	v_dual_fmac_f32 v5, v5, v8 :: v_dual_sub_f32 v18, v11, v15
	s_delay_alu instid0(VALU_DEP_3) | instskip(NEXT) | instid1(VALU_DEP_3)
	v_dual_fmaak_f32 v16, v12, v16, 0xbf000004 :: v_dual_sub_f32 v11, v17, v11
	v_and_b32_e32 v3, 0x80000000, v3
	s_delay_alu instid0(VALU_DEP_3) | instskip(NEXT) | instid1(VALU_DEP_3)
	v_sub_f32_e32 v18, v18, v19
	v_sub_f32_e32 v11, v19, v11
	v_add_f32_e32 v19, v7, v6
	s_delay_alu instid0(VALU_DEP_3) | instskip(NEXT) | instid1(VALU_DEP_2)
	v_dual_add_f32 v7, v7, v18 :: v_dual_fmaak_f32 v18, v10, v20, 0xbf000004
	v_add_f32_e32 v9, v19, v11
	v_fma_f32 v11, v12, v16, 1.0
	s_delay_alu instid0(VALU_DEP_3) | instskip(NEXT) | instid1(VALU_DEP_4)
	v_sub_f32_e32 v6, v7, v6
	v_fma_f32 v7, v10, v18, 1.0
	s_delay_alu instid0(VALU_DEP_4) | instskip(NEXT) | instid1(VALU_DEP_4)
	v_add_f32_e32 v8, v17, v9
	v_cndmask_b32_e64 v2, -v2, v11, vcc_lo
	s_delay_alu instid0(VALU_DEP_4) | instskip(SKIP_1) | instid1(VALU_DEP_3)
	v_add_f32_e32 v6, v15, v6
	v_cmp_eq_u32_e32 vcc_lo, 0, v14
	v_xor_b32_e32 v2, v3, v2
	s_delay_alu instid0(VALU_DEP_3) | instskip(SKIP_4) | instid1(VALU_DEP_4)
	v_cndmask_b32_e64 v6, v6, 0x7f800000, s0
	v_cndmask_b32_e32 v5, v7, v5, vcc_lo
	v_cndmask_b32_e64 v7, v8, 0x7f800000, s0
	v_cmp_gt_f32_e64 s0, 0x39800000, |v0|
	v_cmp_class_f32_e64 vcc_lo, v1, 0x1f8
	v_xor3_b32 v3, v4, v5, v1
	s_delay_alu instid0(VALU_DEP_3) | instskip(SKIP_1) | instid1(VALU_DEP_3)
	v_cndmask_b32_e64 v4, v6, |v0|, s0
	v_cndmask_b32_e32 v1, 0x7fc00000, v2, vcc_lo
	v_cndmask_b32_e32 v3, 0x7fc00000, v3, vcc_lo
	s_delay_alu instid0(VALU_DEP_3) | instskip(NEXT) | instid1(VALU_DEP_1)
	v_bfi_b32 v0, 0x7fffffff, v4, v0
	v_dual_mul_f32 v2, v7, v1 :: v_dual_mul_f32 v3, v0, v3
.LBB82_56:
	s_or_b32 exec_lo, exec_lo, s5
                                        ; implicit-def: $vgpr0
                                        ; implicit-def: $vgpr1
.LBB82_57:
	s_and_not1_saveexec_b32 s0, s4
	s_cbranch_execz .LBB82_59
; %bb.58:
	v_add_f32_e64 v2, 0xbf317218, |v0|
	s_mov_b32 s1, 0x3ab42872
	v_cmp_nlt_f32_e64 vcc_lo, 0x42b2d4fc, |v0|
	s_delay_alu instid0(VALU_DEP_2) | instskip(NEXT) | instid1(VALU_DEP_1)
	v_sub_f32_e64 v3, v2, |v0|
	v_dual_sub_f32 v4, v3, v2 :: v_dual_add_f32 v3, 0x3f317218, v3
	s_delay_alu instid0(VALU_DEP_1) | instskip(NEXT) | instid1(VALU_DEP_1)
	v_add_f32_e64 v4, |v0|, v4
	v_sub_f32_e32 v3, v4, v3
	s_delay_alu instid0(VALU_DEP_1) | instskip(NEXT) | instid1(VALU_DEP_1)
	v_add_f32_e32 v3, 0x3102e308, v3
	v_add_f32_e32 v4, v2, v3
	s_delay_alu instid0(VALU_DEP_1) | instskip(NEXT) | instid1(VALU_DEP_1)
	v_sub_f32_e32 v2, v2, v4
	v_dual_mul_f32 v5, 0x3fb8aa3b, v4 :: v_dual_add_f32 v2, v3, v2
	s_delay_alu instid0(VALU_DEP_1) | instskip(NEXT) | instid1(VALU_DEP_1)
	v_rndne_f32_e32 v5, v5
	v_fmamk_f32 v3, v5, 0xbf317200, v4
	v_mul_f32_e32 v4, 0x35bfbc00, v5
	s_delay_alu instid0(VALU_DEP_2) | instskip(NEXT) | instid1(VALU_DEP_1)
	v_add_f32_e32 v6, v2, v3
	v_sub_f32_e32 v7, v6, v4
	s_delay_alu instid0(VALU_DEP_1) | instskip(NEXT) | instid1(VALU_DEP_1)
	v_dual_sub_f32 v3, v3, v6 :: v_dual_sub_f32 v6, v6, v7
	v_add_f32_e32 v2, v2, v3
	s_delay_alu instid0(VALU_DEP_2) | instskip(NEXT) | instid1(VALU_DEP_1)
	v_sub_f32_e32 v3, v6, v4
	v_dual_add_f32 v2, v2, v3 :: v_dual_mul_f32 v3, 0x2ea39ef3, v5
	s_delay_alu instid0(VALU_DEP_1) | instskip(NEXT) | instid1(VALU_DEP_1)
	v_add_f32_e32 v4, v7, v2
	v_dual_sub_f32 v6, v4, v3 :: v_dual_sub_f32 v7, v7, v4
	s_delay_alu instid0(VALU_DEP_1) | instskip(NEXT) | instid1(VALU_DEP_2)
	v_sub_f32_e32 v4, v4, v6
	v_add_f32_e32 v2, v2, v7
	s_delay_alu instid0(VALU_DEP_2) | instskip(NEXT) | instid1(VALU_DEP_1)
	v_sub_f32_e32 v3, v4, v3
	v_add_f32_e32 v2, v2, v3
	s_delay_alu instid0(VALU_DEP_1) | instskip(NEXT) | instid1(VALU_DEP_1)
	v_add_f32_e32 v3, v6, v2
	v_sub_f32_e32 v4, v6, v3
	v_mul_f32_e32 v6, v3, v3
	s_delay_alu instid0(VALU_DEP_2) | instskip(SKIP_1) | instid1(VALU_DEP_3)
	v_add_f32_e32 v2, v2, v4
	v_fmaak_f32 v4, s1, v3, 0x3c091de6
	v_fma_f32 v7, v3, v3, -v6
	s_delay_alu instid0(VALU_DEP_3) | instskip(NEXT) | instid1(VALU_DEP_3)
	v_add_f32_e32 v8, v2, v2
	v_fmaak_f32 v4, v3, v4, 0x3d2aadcc
	s_delay_alu instid0(VALU_DEP_2) | instskip(NEXT) | instid1(VALU_DEP_2)
	v_fmac_f32_e32 v7, v3, v8
	v_fmaak_f32 v4, v3, v4, 0x3e2aaa47
	s_delay_alu instid0(VALU_DEP_2) | instskip(NEXT) | instid1(VALU_DEP_2)
	v_add_f32_e32 v8, v6, v7
	v_fmaak_f32 v4, v3, v4, 0x3efffffc
	s_delay_alu instid0(VALU_DEP_2) | instskip(NEXT) | instid1(VALU_DEP_1)
	v_sub_f32_e32 v6, v8, v6
	v_dual_mul_f32 v9, v4, v8 :: v_dual_sub_f32 v6, v7, v6
	s_delay_alu instid0(VALU_DEP_1) | instskip(NEXT) | instid1(VALU_DEP_1)
	v_fma_f32 v7, v8, v4, -v9
	v_fmac_f32_e32 v7, v6, v4
	s_delay_alu instid0(VALU_DEP_1) | instskip(NEXT) | instid1(VALU_DEP_1)
	v_add_f32_e32 v4, v9, v7
	v_add_f32_e32 v6, v3, v4
	s_delay_alu instid0(VALU_DEP_1) | instskip(NEXT) | instid1(VALU_DEP_1)
	v_dual_sub_f32 v8, v4, v9 :: v_dual_sub_f32 v3, v6, v3
	v_sub_f32_e32 v7, v7, v8
	s_delay_alu instid0(VALU_DEP_2) | instskip(NEXT) | instid1(VALU_DEP_2)
	v_sub_f32_e32 v3, v4, v3
	v_add_f32_e32 v2, v2, v7
	s_delay_alu instid0(VALU_DEP_1) | instskip(NEXT) | instid1(VALU_DEP_1)
	v_add_f32_e32 v2, v2, v3
	v_add_f32_e32 v3, v6, v2
	s_delay_alu instid0(VALU_DEP_1) | instskip(NEXT) | instid1(VALU_DEP_1)
	v_add_f32_e32 v4, 1.0, v3
	v_dual_sub_f32 v6, v3, v6 :: v_dual_add_f32 v7, -1.0, v4
	s_delay_alu instid0(VALU_DEP_1) | instskip(NEXT) | instid1(VALU_DEP_1)
	v_dual_sub_f32 v2, v2, v6 :: v_dual_sub_f32 v3, v3, v7
	v_add_f32_e32 v2, v2, v3
	v_cvt_i32_f32_e32 v3, v5
	s_delay_alu instid0(VALU_DEP_2) | instskip(NEXT) | instid1(VALU_DEP_1)
	v_add_f32_e32 v5, v4, v2
	v_ldexp_f32 v6, v5, v3
	v_sub_f32_e32 v4, v5, v4
	s_delay_alu instid0(VALU_DEP_2) | instskip(NEXT) | instid1(VALU_DEP_1)
	v_rcp_f32_e32 v7, v6
	v_sub_f32_e32 v2, v2, v4
	s_delay_alu instid0(VALU_DEP_1) | instskip(SKIP_2) | instid1(VALU_DEP_1)
	v_ldexp_f32 v2, v2, v3
	s_waitcnt_depctr 0xfff
	v_mul_f32_e32 v4, v6, v7
	v_fma_f32 v3, v7, v6, -v4
	s_delay_alu instid0(VALU_DEP_1) | instskip(NEXT) | instid1(VALU_DEP_1)
	v_fmac_f32_e32 v3, v7, v2
	v_add_f32_e32 v5, v4, v3
	s_delay_alu instid0(VALU_DEP_1) | instskip(SKIP_1) | instid1(VALU_DEP_2)
	v_sub_f32_e32 v8, 1.0, v5
	v_sub_f32_e32 v4, v5, v4
	v_sub_f32_e32 v9, 1.0, v8
	s_delay_alu instid0(VALU_DEP_1) | instskip(NEXT) | instid1(VALU_DEP_1)
	v_dual_sub_f32 v3, v4, v3 :: v_dual_sub_f32 v4, v9, v5
	v_add_f32_e32 v3, v3, v4
	s_delay_alu instid0(VALU_DEP_1) | instskip(NEXT) | instid1(VALU_DEP_1)
	v_add_f32_e32 v4, v8, v3
	v_mul_f32_e32 v5, v7, v4
	s_delay_alu instid0(VALU_DEP_1) | instskip(NEXT) | instid1(VALU_DEP_1)
	v_dual_sub_f32 v8, v8, v4 :: v_dual_mul_f32 v9, v6, v5
	v_add_f32_e32 v3, v3, v8
	s_delay_alu instid0(VALU_DEP_2) | instskip(NEXT) | instid1(VALU_DEP_1)
	v_fma_f32 v10, v5, v6, -v9
	v_fmac_f32_e32 v10, v5, v2
	s_delay_alu instid0(VALU_DEP_1) | instskip(NEXT) | instid1(VALU_DEP_1)
	v_add_f32_e32 v11, v9, v10
	v_sub_f32_e32 v12, v4, v11
	v_sub_f32_e32 v8, v11, v9
	s_delay_alu instid0(VALU_DEP_2) | instskip(NEXT) | instid1(VALU_DEP_2)
	v_sub_f32_e32 v4, v4, v12
	v_sub_f32_e32 v8, v8, v10
	s_delay_alu instid0(VALU_DEP_2) | instskip(NEXT) | instid1(VALU_DEP_1)
	v_sub_f32_e32 v4, v4, v11
	v_add_f32_e32 v3, v3, v4
	s_delay_alu instid0(VALU_DEP_1) | instskip(NEXT) | instid1(VALU_DEP_1)
	v_dual_add_f32 v4, v7, v5 :: v_dual_add_f32 v3, v8, v3
	v_sub_f32_e32 v8, v4, v7
	s_delay_alu instid0(VALU_DEP_2) | instskip(NEXT) | instid1(VALU_DEP_2)
	v_add_f32_e32 v3, v12, v3
	v_sub_f32_e32 v5, v5, v8
	s_delay_alu instid0(VALU_DEP_2) | instskip(NEXT) | instid1(VALU_DEP_1)
	v_mul_f32_e32 v3, v7, v3
	v_add_f32_e32 v3, v5, v3
	s_delay_alu instid0(VALU_DEP_1) | instskip(NEXT) | instid1(VALU_DEP_1)
	v_add_f32_e32 v5, v4, v3
	v_ldexp_f32 v7, v5, -2
	s_delay_alu instid0(VALU_DEP_1) | instskip(NEXT) | instid1(VALU_DEP_1)
	v_dual_sub_f32 v4, v5, v4 :: v_dual_add_f32 v5, v6, v7
	v_dual_sub_f32 v3, v3, v4 :: v_dual_sub_f32 v4, v5, v6
	s_delay_alu instid0(VALU_DEP_1) | instskip(NEXT) | instid1(VALU_DEP_2)
	v_ldexp_f32 v3, v3, -2
	v_sub_f32_e32 v4, v7, v4
	s_delay_alu instid0(VALU_DEP_2) | instskip(NEXT) | instid1(VALU_DEP_1)
	v_dual_add_f32 v2, v2, v3 :: v_dual_mul_f32 v3, v0, v1
	v_add_f32_e32 v2, v2, v4
	s_delay_alu instid0(VALU_DEP_1) | instskip(NEXT) | instid1(VALU_DEP_1)
	v_add_f32_e32 v2, v5, v2
	v_cndmask_b32_e32 v2, 0x7f800000, v2, vcc_lo
.LBB82_59:
	s_or_b32 exec_lo, exec_lo, s0
	s_delay_alu instid0(SALU_CYCLE_1) | instskip(NEXT) | instid1(VALU_DEP_1)
	s_or_b32 exec_lo, exec_lo, s3
	v_dual_mov_b32 v0, v2 :: v_dual_mov_b32 v1, v3
	s_setpc_b64 s[30:31]
.LBB82_60:
	s_and_not1_saveexec_b32 s0, s10
.LBB82_61:
	v_mul_f32_e64 v3, 0x3f22f983, |v1|
	s_delay_alu instid0(VALU_DEP_1) | instskip(NEXT) | instid1(VALU_DEP_1)
	v_rndne_f32_e32 v5, v3
	v_fma_f32 v3, 0xbfc90fda, v5, |v1|
	s_delay_alu instid0(VALU_DEP_1) | instskip(NEXT) | instid1(VALU_DEP_1)
	v_fmamk_f32 v3, v5, 0xb3a22168, v3
	v_fmamk_f32 v3, v5, 0xa7c234c4, v3
	v_cvt_i32_f32_e32 v5, v5
; %bb.62:
	s_or_b32 exec_lo, exec_lo, s0
                                        ; implicit-def: $vgpr7
                                        ; implicit-def: $vgpr6
	s_and_saveexec_b32 s0, s9
	s_delay_alu instid0(SALU_CYCLE_1)
	s_xor_b32 s9, exec_lo, s0
	s_cbranch_execz .LBB82_64
; %bb.63:
	s_mov_b32 s0, 0x7fffff
	v_mov_b32_e32 v8, 0
	v_and_or_b32 v16, v4, s0, 0x800000
	v_lshrrev_b32_e32 v13, 23, v4
	s_delay_alu instid0(VALU_DEP_2) | instskip(NEXT) | instid1(VALU_DEP_2)
	v_mad_u64_u32 v[6:7], null, 0xfe5163ab, v16, 0
	v_add_nc_u32_e32 v14, 0xffffff88, v13
	s_delay_alu instid0(VALU_DEP_1) | instskip(NEXT) | instid1(VALU_DEP_3)
	v_cmp_lt_u32_e32 vcc_lo, 63, v14
	v_mad_u64_u32 v[9:10], null, 0x3c439041, v16, v[7:8]
	v_cndmask_b32_e64 v15, 0, 0xffffffc0, vcc_lo
	s_delay_alu instid0(VALU_DEP_2) | instskip(NEXT) | instid1(VALU_DEP_2)
	v_mov_b32_e32 v7, v10
	v_add_nc_u32_e32 v15, v15, v14
	s_delay_alu instid0(VALU_DEP_2) | instskip(NEXT) | instid1(VALU_DEP_2)
	v_mad_u64_u32 v[10:11], null, 0xdb629599, v16, v[7:8]
	v_cmp_lt_u32_e64 s0, 31, v15
	s_delay_alu instid0(VALU_DEP_1) | instskip(NEXT) | instid1(VALU_DEP_3)
	v_cndmask_b32_e64 v17, 0, 0xffffffe0, s0
	v_dual_mov_b32 v7, v11 :: v_dual_cndmask_b32 v6, v10, v6
	s_delay_alu instid0(VALU_DEP_2) | instskip(NEXT) | instid1(VALU_DEP_2)
	v_add_nc_u32_e32 v17, v17, v15
	v_mad_u64_u32 v[11:12], null, 0xf534ddc0, v16, v[7:8]
	s_delay_alu instid0(VALU_DEP_2) | instskip(NEXT) | instid1(VALU_DEP_2)
	v_cmp_lt_u32_e64 s1, 31, v17
	v_mov_b32_e32 v7, v12
	s_delay_alu instid0(VALU_DEP_3) | instskip(NEXT) | instid1(VALU_DEP_2)
	v_cndmask_b32_e32 v9, v11, v9, vcc_lo
	v_mad_u64_u32 v[12:13], null, 0xfc2757d1, v16, v[7:8]
	s_delay_alu instid0(VALU_DEP_2) | instskip(NEXT) | instid1(VALU_DEP_2)
	v_cndmask_b32_e64 v6, v9, v6, s0
	v_mov_b32_e32 v7, v13
	s_delay_alu instid0(VALU_DEP_1) | instskip(NEXT) | instid1(VALU_DEP_1)
	v_mad_u64_u32 v[13:14], null, 0x4e441529, v16, v[7:8]
	v_mov_b32_e32 v7, v14
	s_delay_alu instid0(VALU_DEP_1) | instskip(SKIP_1) | instid1(VALU_DEP_1)
	v_mad_u64_u32 v[14:15], null, 0xa2f9836e, v16, v[7:8]
	v_cndmask_b32_e64 v7, 0, 0xffffffe0, s1
	v_dual_cndmask_b32 v8, v13, v11 :: v_dual_add_nc_u32 v7, v7, v17
	s_delay_alu instid0(VALU_DEP_3) | instskip(NEXT) | instid1(VALU_DEP_4)
	v_cndmask_b32_e32 v14, v14, v12, vcc_lo
	v_dual_cndmask_b32 v12, v12, v10 :: v_dual_cndmask_b32 v13, v15, v13
	s_delay_alu instid0(VALU_DEP_3) | instskip(NEXT) | instid1(VALU_DEP_3)
	v_cmp_eq_u32_e64 s2, 0, v7
	v_cndmask_b32_e64 v11, v14, v8, s0
	s_delay_alu instid0(VALU_DEP_3) | instskip(NEXT) | instid1(VALU_DEP_4)
	v_cndmask_b32_e64 v8, v8, v12, s0
	v_cndmask_b32_e64 v13, v13, v14, s0
	v_sub_nc_u32_e32 v14, 32, v7
	v_cndmask_b32_e64 v12, v12, v9, s0
	s_delay_alu instid0(VALU_DEP_3) | instskip(SKIP_1) | instid1(VALU_DEP_3)
	v_cndmask_b32_e64 v13, v13, v11, s1
	v_cndmask_b32_e64 v11, v11, v8, s1
	;; [unrolled: 1-line block ×4, first 2 shown]
	s_delay_alu instid0(VALU_DEP_3) | instskip(NEXT) | instid1(VALU_DEP_3)
	v_alignbit_b32 v15, v13, v11, v14
	v_alignbit_b32 v16, v11, v8, v14
	s_delay_alu instid0(VALU_DEP_3) | instskip(NEXT) | instid1(VALU_DEP_3)
	v_alignbit_b32 v14, v8, v6, v14
	v_cndmask_b32_e64 v7, v15, v13, s2
	s_delay_alu instid0(VALU_DEP_3) | instskip(NEXT) | instid1(VALU_DEP_3)
	v_cndmask_b32_e64 v10, v16, v11, s2
	v_cndmask_b32_e64 v8, v14, v8, s2
	s_delay_alu instid0(VALU_DEP_3) | instskip(NEXT) | instid1(VALU_DEP_3)
	v_bfe_u32 v11, v7, 29, 1
	v_alignbit_b32 v9, v7, v10, 30
	s_delay_alu instid0(VALU_DEP_3) | instskip(SKIP_1) | instid1(VALU_DEP_4)
	v_alignbit_b32 v10, v10, v8, 30
	v_alignbit_b32 v6, v8, v6, 30
	v_sub_nc_u32_e32 v13, 0, v11
	s_delay_alu instid0(VALU_DEP_1) | instskip(SKIP_3) | instid1(VALU_DEP_4)
	v_xor_b32_e32 v12, v9, v13
	v_cmp_ne_u32_e32 vcc_lo, v9, v13
	v_xor_b32_e32 v8, v10, v13
	v_xor_b32_e32 v6, v6, v13
	v_clz_i32_u32_e32 v15, v12
	s_delay_alu instid0(VALU_DEP_1) | instskip(NEXT) | instid1(VALU_DEP_1)
	v_add_nc_u32_e32 v14, 1, v15
	v_cndmask_b32_e32 v9, 33, v14, vcc_lo
	s_delay_alu instid0(VALU_DEP_1) | instskip(NEXT) | instid1(VALU_DEP_1)
	v_sub_nc_u32_e32 v10, 32, v9
	v_alignbit_b32 v12, v12, v8, v10
	v_alignbit_b32 v6, v8, v6, v10
	v_lshrrev_b32_e32 v8, 29, v7
	v_lshrrev_b32_e32 v7, 30, v7
	s_delay_alu instid0(VALU_DEP_3) | instskip(NEXT) | instid1(VALU_DEP_3)
	v_alignbit_b32 v10, v12, v6, 9
	v_lshlrev_b32_e32 v8, 31, v8
	v_alignbit_b32 v12, v9, v12, 9
	s_delay_alu instid0(VALU_DEP_4) | instskip(NEXT) | instid1(VALU_DEP_4)
	v_add_nc_u32_e32 v7, v11, v7
	v_clz_i32_u32_e32 v13, v10
	s_delay_alu instid0(VALU_DEP_3) | instskip(SKIP_1) | instid1(VALU_DEP_3)
	v_or_b32_e32 v12, v12, v8
	v_or_b32_e32 v8, 0x33800000, v8
	v_min_u32_e32 v13, 32, v13
	s_delay_alu instid0(VALU_DEP_3) | instskip(NEXT) | instid1(VALU_DEP_2)
	v_xor_b32_e32 v12, 1.0, v12
	v_sub_nc_u32_e32 v14, 31, v13
	v_add_lshl_u32 v9, v13, v9, 23
	s_delay_alu instid0(VALU_DEP_3) | instskip(NEXT) | instid1(VALU_DEP_3)
	v_mul_f32_e32 v13, 0x3fc90fda, v12
	v_alignbit_b32 v6, v10, v6, v14
	s_delay_alu instid0(VALU_DEP_3) | instskip(NEXT) | instid1(VALU_DEP_3)
	v_sub_nc_u32_e32 v8, v8, v9
	v_fma_f32 v9, 0x3fc90fda, v12, -v13
	s_delay_alu instid0(VALU_DEP_3) | instskip(NEXT) | instid1(VALU_DEP_2)
	v_lshrrev_b32_e32 v6, 9, v6
	v_fmamk_f32 v9, v12, 0x33a22168, v9
	s_delay_alu instid0(VALU_DEP_2) | instskip(NEXT) | instid1(VALU_DEP_1)
	v_or_b32_e32 v6, v8, v6
	v_fmac_f32_e32 v9, 0x3fc90fda, v6
	s_delay_alu instid0(VALU_DEP_1)
	v_add_f32_e32 v6, v13, v9
	s_and_not1_saveexec_b32 s0, s9
	s_cbranch_execnz .LBB82_65
	s_branch .LBB82_66
.LBB82_64:
	s_and_not1_saveexec_b32 s0, s9
.LBB82_65:
	v_mul_f32_e64 v6, 0x3f22f983, |v1|
	s_delay_alu instid0(VALU_DEP_1) | instskip(NEXT) | instid1(VALU_DEP_1)
	v_rndne_f32_e32 v7, v6
	v_fma_f32 v6, 0xbfc90fda, v7, |v1|
	s_delay_alu instid0(VALU_DEP_1) | instskip(NEXT) | instid1(VALU_DEP_1)
	v_fmamk_f32 v6, v7, 0xb3a22168, v6
	v_fmamk_f32 v6, v7, 0xa7c234c4, v6
	v_cvt_i32_f32_e32 v7, v7
.LBB82_66:
	s_or_b32 exec_lo, exec_lo, s0
	s_delay_alu instid0(VALU_DEP_1) | instskip(SKIP_3) | instid1(VALU_DEP_2)
	v_dual_mul_f32 v8, v3, v3 :: v_dual_mul_f32 v9, v6, v6
	s_mov_b32 s0, 0xb94c1982
	s_mov_b32 s1, 0x37d75334
	v_and_b32_e32 v12, 1, v5
	v_dual_fmaak_f32 v10, s0, v8, 0x3c0881c4 :: v_dual_fmaak_f32 v13, s0, v9, 0x3c0881c4
	v_dual_fmaak_f32 v11, s1, v8, 0xbab64f3b :: v_dual_fmaak_f32 v14, s1, v9, 0xbab64f3b
	s_delay_alu instid0(VALU_DEP_2) | instskip(SKIP_1) | instid1(VALU_DEP_3)
	v_dual_fmaak_f32 v10, v8, v10, 0xbe2aaa9d :: v_dual_and_b32 v15, 1, v7
	v_lshlrev_b32_e32 v5, 30, v5
	v_dual_fmaak_f32 v11, v8, v11, 0x3d2aabf7 :: v_dual_fmaak_f32 v14, v9, v14, 0x3d2aabf7
	s_delay_alu instid0(VALU_DEP_3) | instskip(SKIP_1) | instid1(VALU_DEP_3)
	v_dual_fmaak_f32 v13, v9, v13, 0xbe2aaa9d :: v_dual_mul_f32 v10, v8, v10
	v_cmp_eq_u32_e32 vcc_lo, 0, v12
	v_dual_fmaak_f32 v11, v8, v11, 0xbf000004 :: v_dual_fmaak_f32 v14, v9, v14, 0xbf000004
	s_delay_alu instid0(VALU_DEP_3) | instskip(NEXT) | instid1(VALU_DEP_4)
	v_mul_f32_e32 v13, v9, v13
	v_fmac_f32_e32 v3, v3, v10
	v_and_b32_e32 v5, 0x80000000, v5
	s_delay_alu instid0(VALU_DEP_4) | instskip(SKIP_2) | instid1(VALU_DEP_3)
	v_fma_f32 v8, v8, v11, 1.0
	v_fma_f32 v9, v9, v14, 1.0
	v_fmac_f32_e32 v6, v6, v13
	v_cndmask_b32_e64 v3, -v3, v8, vcc_lo
	v_cmp_eq_u32_e32 vcc_lo, 0, v15
	v_lshlrev_b32_e32 v7, 30, v7
	s_delay_alu instid0(VALU_DEP_3) | instskip(SKIP_1) | instid1(VALU_DEP_3)
	v_xor_b32_e32 v3, v5, v3
	v_cndmask_b32_e32 v6, v9, v6, vcc_lo
	v_and_or_b32 v4, 0x80000000, v7, v4
	v_cmp_class_f32_e64 vcc_lo, v1, 0x1f8
	s_delay_alu instid0(VALU_DEP_2) | instskip(SKIP_1) | instid1(VALU_DEP_1)
	v_xor3_b32 v4, v4, v6, v1
	v_cndmask_b32_e32 v1, 0x7fc00000, v3, vcc_lo
	v_dual_cndmask_b32 v3, 0x7fc00000, v4 :: v_dual_mul_f32 v2, v2, v1
                                        ; implicit-def: $vgpr1
	s_delay_alu instid0(VALU_DEP_1)
	v_mul_f32_e32 v3, v3, v0
                                        ; implicit-def: $vgpr0
.LBB82_67:
	s_and_not1_saveexec_b32 s0, s8
; %bb.68:
	v_sub_f32_e32 v1, v1, v1
	s_delay_alu instid0(VALU_DEP_1)
	v_mul_f32_e32 v3, v1, v0
; %bb.69:
	s_or_b32 exec_lo, exec_lo, s0
.LBB82_70:
	s_delay_alu instid0(SALU_CYCLE_1)
	s_or_b32 exec_lo, exec_lo, s7
                                        ; implicit-def: $vgpr1
                                        ; implicit-def: $vgpr0
.LBB82_71:
	s_and_not1_saveexec_b32 s0, s4
; %bb.72:
	v_sub_f32_e32 v2, v1, v1
	s_delay_alu instid0(VALU_DEP_1)
	v_mul_f32_e32 v3, v2, v0
; %bb.73:
	s_or_b32 exec_lo, exec_lo, s0
                                        ; implicit-def: $vgpr0
                                        ; implicit-def: $vgpr1
.LBB82_74:
	s_and_not1_saveexec_b32 s0, s3
	s_cbranch_execz .LBB82_80
; %bb.75:
	v_and_b32_e32 v2, 0x7fffff, v0
                                        ; implicit-def: $vgpr3
	s_delay_alu instid0(VALU_DEP_1) | instskip(SKIP_2) | instid1(SALU_CYCLE_1)
	v_cmp_ne_u32_e32 vcc_lo, 0, v2
	v_mul_f32_e32 v2, v0, v0
	s_and_saveexec_b32 s1, vcc_lo
	s_xor_b32 s1, exec_lo, s1
; %bb.76:
	v_add_f32_e32 v0, v0, v0
	s_delay_alu instid0(VALU_DEP_1) | instskip(NEXT) | instid1(VALU_DEP_1)
	v_mul_f32_e32 v0, v0, v1
                                        ; implicit-def: $vgpr1
	v_bfi_b32 v3, 0x7fffffff, 0, v0
                                        ; implicit-def: $vgpr0
; %bb.77:
	s_and_not1_saveexec_b32 s1, s1
; %bb.78:
	v_bfi_b32 v0, 0x7fffffff, 0, v0
	s_delay_alu instid0(VALU_DEP_1)
	v_mul_f32_e32 v3, v0, v1
; %bb.79:
	s_or_b32 exec_lo, exec_lo, s1
.LBB82_80:
	s_delay_alu instid0(SALU_CYCLE_1)
	s_or_b32 exec_lo, exec_lo, s0
                                        ; implicit-def: $vgpr1
                                        ; implicit-def: $vgpr0
.LBB82_81:
	s_and_not1_saveexec_b32 s0, s6
; %bb.82:
	v_sub_f32_e32 v2, v1, v1
	s_delay_alu instid0(VALU_DEP_1) | instskip(NEXT) | instid1(VALU_DEP_1)
	v_mul_f32_e32 v0, v2, v0
	v_bfi_b32 v3, 0x7fffffff, 0, v0
; %bb.83:
	s_or_b32 exec_lo, exec_lo, s0
                                        ; implicit-def: $vgpr0
                                        ; implicit-def: $vgpr1
                                        ; implicit-def: $vgpr4
                                        ; implicit-def: $vgpr5
	s_and_not1_saveexec_b32 s3, s5
	s_cbranch_execnz .LBB82_11
.LBB82_84:
	s_or_b32 exec_lo, exec_lo, s3
	v_dual_mov_b32 v0, v2 :: v_dual_mov_b32 v1, v3
	s_setpc_b64 s[30:31]
.Lfunc_end82:
	.size	_ZN6thrust23THRUST_200600_302600_NS6detail7complex6ccoshfERKNS0_7complexIfEE, .Lfunc_end82-_ZN6thrust23THRUST_200600_302600_NS6detail7complex6ccoshfERKNS0_7complexIfEE
                                        ; -- End function
	.section	.AMDGPU.csdata,"",@progbits
; Function info:
; codeLenInByte = 11944
; NumSgprs: 34
; NumVgprs: 21
; ScratchSize: 0
; MemoryBound: 0
	.section	.text._ZN2at6native12_GLOBAL__N_125multi_tensor_apply_kernelINS1_18TensorListMetadataILi2EEENS1_14UnaryOpFunctorIN3c107complexIfEELi2ELi1ELi1EEEJNS0_4CoshIS8_EEEEEvT_T0_DpT1_,"axG",@progbits,_ZN2at6native12_GLOBAL__N_125multi_tensor_apply_kernelINS1_18TensorListMetadataILi2EEENS1_14UnaryOpFunctorIN3c107complexIfEELi2ELi1ELi1EEEJNS0_4CoshIS8_EEEEEvT_T0_DpT1_,comdat
	.globl	_ZN2at6native12_GLOBAL__N_125multi_tensor_apply_kernelINS1_18TensorListMetadataILi2EEENS1_14UnaryOpFunctorIN3c107complexIfEELi2ELi1ELi1EEEJNS0_4CoshIS8_EEEEEvT_T0_DpT1_ ; -- Begin function _ZN2at6native12_GLOBAL__N_125multi_tensor_apply_kernelINS1_18TensorListMetadataILi2EEENS1_14UnaryOpFunctorIN3c107complexIfEELi2ELi1ELi1EEEJNS0_4CoshIS8_EEEEEvT_T0_DpT1_
	.p2align	8
	.type	_ZN2at6native12_GLOBAL__N_125multi_tensor_apply_kernelINS1_18TensorListMetadataILi2EEENS1_14UnaryOpFunctorIN3c107complexIfEELi2ELi1ELi1EEEJNS0_4CoshIS8_EEEEEvT_T0_DpT1_,@function
_ZN2at6native12_GLOBAL__N_125multi_tensor_apply_kernelINS1_18TensorListMetadataILi2EEENS1_14UnaryOpFunctorIN3c107complexIfEELi2ELi1ELi1EEEJNS0_4CoshIS8_EEEEEvT_T0_DpT1_: ; @_ZN2at6native12_GLOBAL__N_125multi_tensor_apply_kernelINS1_18TensorListMetadataILi2EEENS1_14UnaryOpFunctorIN3c107complexIfEELi2ELi1ELi1EEEJNS0_4CoshIS8_EEEEEvT_T0_DpT1_
; %bb.0:
	v_dual_mov_b32 v21, v0 :: v_dual_mov_b32 v0, s15
	s_mov_b64 s[12:13], s[0:1]
	s_mov_b32 s5, 0
	s_mov_b32 s32, 0
	;; [unrolled: 1-line block ×3, first 2 shown]
	global_load_u8 v0, v0, s[0:1] offset:1536
	s_add_u32 s0, s12, s15
	s_mul_hi_u32 s1, s15, 3
	s_mul_i32 s15, s15, 3
	s_addc_u32 s2, s13, 0
	s_add_u32 s0, s0, s15
	s_addc_u32 s1, s2, s1
	s_mov_b32 s9, s5
	s_load_b32 s0, s[0:1], 0x740
	s_waitcnt vmcnt(0)
	v_readfirstlane_b32 s3, v0
	s_delay_alu instid0(VALU_DEP_1)
	s_lshl_b32 s1, s3, 3
	s_clause 0x2
	s_load_b64 s[22:23], s[12:13], s1 offset:0x0
	s_load_b64 s[24:25], s[12:13], s1 offset:0x200
	;; [unrolled: 1-line block ×3, first 2 shown]
	s_waitcnt lgkmcnt(0)
	s_ashr_i32 s1, s0, 31
	s_delay_alu instid0(SALU_CYCLE_1) | instskip(NEXT) | instid1(SALU_CYCLE_1)
	s_lshl_b64 s[14:15], s[0:1], 19
	s_add_u32 s11, s22, s14
	s_addc_u32 s18, s23, s15
	s_add_u32 s19, s24, s14
	s_addc_u32 s20, s25, s15
	s_and_b32 s6, s11, 31
	s_and_b32 s8, s2, 3
	;; [unrolled: 1-line block ×3, first 2 shown]
	s_or_b64 s[6:7], s[6:7], s[8:9]
	s_lshl_b64 s[0:1], s[0:1], 16
	s_or_b64 s[4:5], s[4:5], s[6:7]
	s_sub_u32 s16, s2, s0
	s_subb_u32 s17, s3, s1
	s_cmp_eq_u64 s[4:5], 0
	s_mov_b32 s0, -1
	s_cbranch_scc0 .LBB83_5
; %bb.1:
	v_dual_mov_b32 v31, 0 :: v_dual_lshlrev_b32 v30, 2, v21
	s_mov_b32 s21, exec_lo
	s_delay_alu instid0(VALU_DEP_1)
	v_cmpx_gt_i64_e64 s[16:17], v[30:31]
	s_cbranch_execz .LBB83_4
; %bb.2:
	s_load_b32 s0, s[12:13], 0xc5c
	v_lshlrev_b32_e32 v32, 5, v21
	s_mov_b32 s26, 0
	s_waitcnt lgkmcnt(0)
	s_and_b32 s0, s0, 0xffff
	s_delay_alu instid0(SALU_CYCLE_1)
	v_add_lshl_u32 v30, v21, s0, 2
	s_lshl_b32 s27, s0, 2
	s_lshl_b32 s28, s0, 5
.LBB83_3:                               ; =>This Inner Loop Header: Depth=1
	v_add_co_u32 v0, s0, s11, v32
	s_delay_alu instid0(VALU_DEP_1)
	v_add_co_ci_u32_e64 v1, null, s18, 0, s0
	s_getpc_b64 s[34:35]
	s_add_u32 s34, s34, _ZN6thrust23THRUST_200600_302600_NS6detail7complex6ccoshfERKNS0_7complexIfEE@rel32@lo+4
	s_addc_u32 s35, s35, _ZN6thrust23THRUST_200600_302600_NS6detail7complex6ccoshfERKNS0_7complexIfEE@rel32@hi+12
	s_clause 0x1
	global_load_b128 v[22:25], v[0:1], off
	global_load_b128 v[26:29], v[0:1], off offset:16
	s_waitcnt vmcnt(1)
	v_dual_mov_b32 v0, v22 :: v_dual_mov_b32 v1, v23
	s_swappc_b64 s[30:31], s[34:35]
	s_delay_alu instid0(VALU_DEP_1) | instskip(SKIP_2) | instid1(VALU_DEP_1)
	v_dual_mov_b32 v22, v0 :: v_dual_mov_b32 v23, v1
	v_dual_mov_b32 v0, v24 :: v_dual_mov_b32 v1, v25
	s_swappc_b64 s[30:31], s[34:35]
	v_dual_mov_b32 v24, v0 :: v_dual_mov_b32 v25, v1
	v_dual_mov_b32 v0, v26 :: v_dual_mov_b32 v1, v27
	s_swappc_b64 s[30:31], s[34:35]
	s_delay_alu instid0(VALU_DEP_1) | instskip(SKIP_4) | instid1(VALU_DEP_3)
	v_dual_mov_b32 v26, v0 :: v_dual_mov_b32 v27, v1
	v_dual_mov_b32 v0, v28 :: v_dual_mov_b32 v1, v29
	s_swappc_b64 s[30:31], s[34:35]
	v_cmp_le_i64_e32 vcc_lo, s[16:17], v[30:31]
	v_cmp_lt_u64_e64 s0, 0xffff, v[30:31]
	v_dual_mov_b32 v28, v0 :: v_dual_mov_b32 v29, v1
	v_add_co_u32 v0, s1, s19, v32
	s_delay_alu instid0(VALU_DEP_1) | instskip(NEXT) | instid1(VALU_DEP_4)
	v_add_co_ci_u32_e64 v1, null, s20, 0, s1
	s_or_b32 s0, vcc_lo, s0
	s_add_u32 s11, s11, s28
	v_add_co_u32 v30, s1, v30, s27
	s_addc_u32 s18, s18, 0
	s_add_u32 s19, s19, s28
	v_add_co_ci_u32_e64 v31, s1, 0, v31, s1
	s_addc_u32 s20, s20, 0
	s_and_b32 s0, exec_lo, s0
	s_clause 0x1
	global_store_b128 v[0:1], v[22:25], off
	global_store_b128 v[0:1], v[26:29], off offset:16
	s_or_b32 s26, s0, s26
	s_delay_alu instid0(SALU_CYCLE_1)
	s_and_not1_b32 exec_lo, exec_lo, s26
	s_cbranch_execnz .LBB83_3
.LBB83_4:
	s_or_b32 exec_lo, exec_lo, s21
	s_mov_b32 s0, 0
.LBB83_5:
	s_delay_alu instid0(SALU_CYCLE_1)
	s_and_not1_b32 vcc_lo, exec_lo, s0
	s_cbranch_vccnz .LBB83_25
; %bb.6:
	v_cmp_lt_i64_e64 s0, s[16:17], 1
	s_delay_alu instid0(VALU_DEP_1)
	s_and_b32 vcc_lo, exec_lo, s0
	s_cbranch_vccnz .LBB83_25
; %bb.7:
	s_load_b32 s0, s[12:13], 0xc5c
	v_mov_b32_e32 v22, 0
	v_lshl_or_b32 v0, v21, 3, 4
	v_cmp_gt_u64_e64 s1, 0x10000, s[16:17]
	s_mov_b32 s19, 0
	s_delay_alu instid0(VALU_DEP_3) | instskip(NEXT) | instid1(VALU_DEP_3)
	v_mov_b32_e32 v1, v22
	v_add_co_u32 v29, s2, s22, v0
	s_delay_alu instid0(VALU_DEP_1) | instskip(SKIP_1) | instid1(VALU_DEP_1)
	v_add_co_ci_u32_e64 v30, null, s23, 0, s2
	v_add_co_u32 v31, s2, s24, v0
	v_add_co_ci_u32_e64 v32, null, s25, 0, s2
	s_waitcnt lgkmcnt(0)
	s_and_b32 s26, s0, 0xffff
	s_and_b32 s0, s1, exec_lo
	v_add_lshl_u32 v4, v21, s26, 3
	v_mad_u64_u32 v[2:3], null, s26, 24, v[0:1]
	s_cselect_b32 s21, s17, 0
	s_cselect_b32 s20, s16, 0x10000
	s_delay_alu instid0(VALU_DEP_2) | instskip(NEXT) | instid1(VALU_DEP_1)
	v_add_co_u32 v33, s0, s24, v4
	v_add_co_ci_u32_e64 v34, null, s25, 0, s0
	v_add_co_u32 v37, s0, s22, v4
	s_delay_alu instid0(VALU_DEP_1)
	v_add_co_ci_u32_e64 v38, null, s23, 0, s0
	s_lshl_b32 s0, s26, 4
	v_add_co_u32 v35, vcc_lo, s22, v2
	v_add_co_u32 v0, s0, v0, s0
	v_add_co_ci_u32_e32 v36, vcc_lo, s23, v3, vcc_lo
	v_add_co_ci_u32_e64 v1, null, 0, 0, s0
	v_add_co_u32 v39, vcc_lo, s24, v2
	v_add_co_ci_u32_e32 v40, vcc_lo, s25, v3, vcc_lo
	v_add_co_u32 v41, vcc_lo, s22, v0
	s_delay_alu instid0(VALU_DEP_4)
	v_add_co_ci_u32_e32 v42, vcc_lo, s23, v1, vcc_lo
	v_add_co_u32 v43, vcc_lo, s24, v0
	v_add_co_ci_u32_e32 v44, vcc_lo, s25, v1, vcc_lo
	s_lshl_b32 s18, s26, 2
	s_lshl_b32 s27, s26, 1
	s_mul_i32 s28, s26, 3
	s_lshl_b32 s24, s26, 5
	s_mov_b64 s[22:23], s[18:19]
	s_branch .LBB83_9
.LBB83_8:                               ;   in Loop: Header=BB83_9 Depth=1
	s_or_b32 exec_lo, exec_lo, s11
	v_add_co_u32 v21, vcc_lo, v21, s18
	v_add_co_ci_u32_e32 v22, vcc_lo, 0, v22, vcc_lo
	v_add_co_u32 v29, vcc_lo, v29, s24
	v_add_co_ci_u32_e32 v30, vcc_lo, 0, v30, vcc_lo
	;; [unrolled: 2-line block ×7, first 2 shown]
	v_cmp_ge_i64_e64 s0, s[22:23], s[16:17]
	v_cmp_lt_u64_e64 s1, 0xffff, s[22:23]
	v_add_co_u32 v41, vcc_lo, v41, s24
	v_add_co_ci_u32_e32 v42, vcc_lo, 0, v42, vcc_lo
	v_add_co_u32 v43, vcc_lo, v43, s24
	v_add_co_ci_u32_e32 v44, vcc_lo, 0, v44, vcc_lo
	s_or_b32 s0, s0, s1
	s_add_u32 s22, s22, s18
	s_addc_u32 s23, s23, 0
	s_and_b32 vcc_lo, exec_lo, s0
	s_cbranch_vccnz .LBB83_25
.LBB83_9:                               ; =>This Inner Loop Header: Depth=1
	v_cmp_gt_u64_e32 vcc_lo, s[20:21], v[21:22]
	s_waitcnt vmcnt(0)
	v_dual_mov_b32 v1, 0 :: v_dual_mov_b32 v0, 0
	s_and_saveexec_b32 s1, vcc_lo
	s_cbranch_execz .LBB83_11
; %bb.10:                               ;   in Loop: Header=BB83_9 Depth=1
	v_add_co_u32 v0, s0, v29, s14
	s_delay_alu instid0(VALU_DEP_1)
	v_add_co_ci_u32_e64 v1, s0, s15, v30, s0
	global_load_b64 v[0:1], v[0:1], off offset:-4
.LBB83_11:                              ;   in Loop: Header=BB83_9 Depth=1
	s_or_b32 exec_lo, exec_lo, s1
	v_add_co_u32 v2, s0, s26, v21
	s_delay_alu instid0(VALU_DEP_1) | instskip(SKIP_2) | instid1(VALU_DEP_3)
	v_add_co_ci_u32_e64 v3, s0, 0, v22, s0
	v_dual_mov_b32 v24, 0 :: v_dual_mov_b32 v25, 0
	v_mov_b32_e32 v26, 0
	v_cmp_gt_u64_e64 s11, s[20:21], v[2:3]
	s_delay_alu instid0(VALU_DEP_1)
	s_and_saveexec_b32 s1, s11
	s_cbranch_execz .LBB83_13
; %bb.12:                               ;   in Loop: Header=BB83_9 Depth=1
	v_add_co_u32 v2, s0, v37, s14
	s_delay_alu instid0(VALU_DEP_1)
	v_add_co_ci_u32_e64 v3, s0, s15, v38, s0
	global_load_b64 v[25:26], v[2:3], off
.LBB83_13:                              ;   in Loop: Header=BB83_9 Depth=1
	s_or_b32 exec_lo, exec_lo, s1
	v_add_co_u32 v2, s0, s27, v21
	s_delay_alu instid0(VALU_DEP_1) | instskip(SKIP_1) | instid1(VALU_DEP_2)
	v_add_co_ci_u32_e64 v3, s0, 0, v22, s0
	v_mov_b32_e32 v23, 0
	v_cmp_gt_u64_e64 s12, s[20:21], v[2:3]
	s_delay_alu instid0(VALU_DEP_1)
	s_and_saveexec_b32 s1, s12
	s_cbranch_execz .LBB83_15
; %bb.14:                               ;   in Loop: Header=BB83_9 Depth=1
	v_add_co_u32 v2, s0, v41, s14
	s_delay_alu instid0(VALU_DEP_1)
	v_add_co_ci_u32_e64 v3, s0, s15, v42, s0
	global_load_b64 v[23:24], v[2:3], off offset:-4
.LBB83_15:                              ;   in Loop: Header=BB83_9 Depth=1
	s_or_b32 exec_lo, exec_lo, s1
	v_add_co_u32 v2, s0, s28, v21
	s_delay_alu instid0(VALU_DEP_1) | instskip(SKIP_1) | instid1(VALU_DEP_2)
	v_add_co_ci_u32_e64 v3, s0, 0, v22, s0
	v_dual_mov_b32 v28, 0 :: v_dual_mov_b32 v27, 0
	v_cmp_gt_u64_e64 s13, s[20:21], v[2:3]
	s_delay_alu instid0(VALU_DEP_1)
	s_and_saveexec_b32 s1, s13
	s_cbranch_execnz .LBB83_20
; %bb.16:                               ;   in Loop: Header=BB83_9 Depth=1
	s_or_b32 exec_lo, exec_lo, s1
	s_and_saveexec_b32 s19, vcc_lo
	s_cbranch_execnz .LBB83_21
.LBB83_17:                              ;   in Loop: Header=BB83_9 Depth=1
	s_or_b32 exec_lo, exec_lo, s19
	s_and_saveexec_b32 s19, s11
	s_cbranch_execnz .LBB83_22
.LBB83_18:                              ;   in Loop: Header=BB83_9 Depth=1
	s_or_b32 exec_lo, exec_lo, s19
	s_and_saveexec_b32 s11, s12
	s_cbranch_execnz .LBB83_23
.LBB83_19:                              ;   in Loop: Header=BB83_9 Depth=1
	s_or_b32 exec_lo, exec_lo, s11
	s_and_saveexec_b32 s11, s13
	s_cbranch_execz .LBB83_8
	s_branch .LBB83_24
.LBB83_20:                              ;   in Loop: Header=BB83_9 Depth=1
	v_add_co_u32 v2, s0, v35, s14
	s_delay_alu instid0(VALU_DEP_1)
	v_add_co_ci_u32_e64 v3, s0, s15, v36, s0
	global_load_b64 v[27:28], v[2:3], off offset:-4
	s_or_b32 exec_lo, exec_lo, s1
	s_and_saveexec_b32 s19, vcc_lo
	s_cbranch_execz .LBB83_17
.LBB83_21:                              ;   in Loop: Header=BB83_9 Depth=1
	s_getpc_b64 s[0:1]
	s_add_u32 s0, s0, _ZN6thrust23THRUST_200600_302600_NS6detail7complex6ccoshfERKNS0_7complexIfEE@rel32@lo+4
	s_addc_u32 s1, s1, _ZN6thrust23THRUST_200600_302600_NS6detail7complex6ccoshfERKNS0_7complexIfEE@rel32@hi+12
	s_delay_alu instid0(SALU_CYCLE_1)
	s_swappc_b64 s[30:31], s[0:1]
	v_add_co_u32 v2, vcc_lo, v31, s14
	v_add_co_ci_u32_e32 v3, vcc_lo, s15, v32, vcc_lo
	global_store_b64 v[2:3], v[0:1], off offset:-4
	s_or_b32 exec_lo, exec_lo, s19
	s_and_saveexec_b32 s19, s11
	s_cbranch_execz .LBB83_18
.LBB83_22:                              ;   in Loop: Header=BB83_9 Depth=1
	s_waitcnt vmcnt(0)
	v_dual_mov_b32 v0, v25 :: v_dual_mov_b32 v1, v26
	s_getpc_b64 s[0:1]
	s_add_u32 s0, s0, _ZN6thrust23THRUST_200600_302600_NS6detail7complex6ccoshfERKNS0_7complexIfEE@rel32@lo+4
	s_addc_u32 s1, s1, _ZN6thrust23THRUST_200600_302600_NS6detail7complex6ccoshfERKNS0_7complexIfEE@rel32@hi+12
	s_delay_alu instid0(SALU_CYCLE_1)
	s_swappc_b64 s[30:31], s[0:1]
	v_add_co_u32 v2, vcc_lo, v33, s14
	v_add_co_ci_u32_e32 v3, vcc_lo, s15, v34, vcc_lo
	global_store_b64 v[2:3], v[0:1], off
	s_or_b32 exec_lo, exec_lo, s19
	s_and_saveexec_b32 s11, s12
	s_cbranch_execz .LBB83_19
.LBB83_23:                              ;   in Loop: Header=BB83_9 Depth=1
	s_waitcnt vmcnt(0)
	v_dual_mov_b32 v0, v23 :: v_dual_mov_b32 v1, v24
	s_getpc_b64 s[0:1]
	s_add_u32 s0, s0, _ZN6thrust23THRUST_200600_302600_NS6detail7complex6ccoshfERKNS0_7complexIfEE@rel32@lo+4
	s_addc_u32 s1, s1, _ZN6thrust23THRUST_200600_302600_NS6detail7complex6ccoshfERKNS0_7complexIfEE@rel32@hi+12
	s_delay_alu instid0(SALU_CYCLE_1)
	s_swappc_b64 s[30:31], s[0:1]
	v_add_co_u32 v2, vcc_lo, v43, s14
	v_add_co_ci_u32_e32 v3, vcc_lo, s15, v44, vcc_lo
	global_store_b64 v[2:3], v[0:1], off offset:-4
	s_or_b32 exec_lo, exec_lo, s11
	s_and_saveexec_b32 s11, s13
	s_cbranch_execz .LBB83_8
.LBB83_24:                              ;   in Loop: Header=BB83_9 Depth=1
	s_waitcnt vmcnt(0)
	v_dual_mov_b32 v0, v27 :: v_dual_mov_b32 v1, v28
	s_getpc_b64 s[0:1]
	s_add_u32 s0, s0, _ZN6thrust23THRUST_200600_302600_NS6detail7complex6ccoshfERKNS0_7complexIfEE@rel32@lo+4
	s_addc_u32 s1, s1, _ZN6thrust23THRUST_200600_302600_NS6detail7complex6ccoshfERKNS0_7complexIfEE@rel32@hi+12
	s_delay_alu instid0(SALU_CYCLE_1)
	s_swappc_b64 s[30:31], s[0:1]
	v_add_co_u32 v2, vcc_lo, v39, s14
	v_add_co_ci_u32_e32 v3, vcc_lo, s15, v40, vcc_lo
	global_store_b64 v[2:3], v[0:1], off offset:-4
	s_branch .LBB83_8
.LBB83_25:
	s_endpgm
	.section	.rodata,"a",@progbits
	.p2align	6, 0x0
	.amdhsa_kernel _ZN2at6native12_GLOBAL__N_125multi_tensor_apply_kernelINS1_18TensorListMetadataILi2EEENS1_14UnaryOpFunctorIN3c107complexIfEELi2ELi1ELi1EEEJNS0_4CoshIS8_EEEEEvT_T0_DpT1_
		.amdhsa_group_segment_fixed_size 0
		.amdhsa_private_segment_fixed_size 0
		.amdhsa_kernarg_size 3408
		.amdhsa_user_sgpr_count 15
		.amdhsa_user_sgpr_dispatch_ptr 0
		.amdhsa_user_sgpr_queue_ptr 0
		.amdhsa_user_sgpr_kernarg_segment_ptr 1
		.amdhsa_user_sgpr_dispatch_id 0
		.amdhsa_user_sgpr_private_segment_size 0
		.amdhsa_wavefront_size32 1
		.amdhsa_uses_dynamic_stack 0
		.amdhsa_enable_private_segment 0
		.amdhsa_system_sgpr_workgroup_id_x 1
		.amdhsa_system_sgpr_workgroup_id_y 0
		.amdhsa_system_sgpr_workgroup_id_z 0
		.amdhsa_system_sgpr_workgroup_info 0
		.amdhsa_system_vgpr_workitem_id 0
		.amdhsa_next_free_vgpr 45
		.amdhsa_next_free_sgpr 36
		.amdhsa_reserve_vcc 1
		.amdhsa_float_round_mode_32 0
		.amdhsa_float_round_mode_16_64 0
		.amdhsa_float_denorm_mode_32 3
		.amdhsa_float_denorm_mode_16_64 3
		.amdhsa_dx10_clamp 1
		.amdhsa_ieee_mode 1
		.amdhsa_fp16_overflow 0
		.amdhsa_workgroup_processor_mode 1
		.amdhsa_memory_ordered 1
		.amdhsa_forward_progress 0
		.amdhsa_shared_vgpr_count 0
		.amdhsa_exception_fp_ieee_invalid_op 0
		.amdhsa_exception_fp_denorm_src 0
		.amdhsa_exception_fp_ieee_div_zero 0
		.amdhsa_exception_fp_ieee_overflow 0
		.amdhsa_exception_fp_ieee_underflow 0
		.amdhsa_exception_fp_ieee_inexact 0
		.amdhsa_exception_int_div_zero 0
	.end_amdhsa_kernel
	.section	.text._ZN2at6native12_GLOBAL__N_125multi_tensor_apply_kernelINS1_18TensorListMetadataILi2EEENS1_14UnaryOpFunctorIN3c107complexIfEELi2ELi1ELi1EEEJNS0_4CoshIS8_EEEEEvT_T0_DpT1_,"axG",@progbits,_ZN2at6native12_GLOBAL__N_125multi_tensor_apply_kernelINS1_18TensorListMetadataILi2EEENS1_14UnaryOpFunctorIN3c107complexIfEELi2ELi1ELi1EEEJNS0_4CoshIS8_EEEEEvT_T0_DpT1_,comdat
.Lfunc_end83:
	.size	_ZN2at6native12_GLOBAL__N_125multi_tensor_apply_kernelINS1_18TensorListMetadataILi2EEENS1_14UnaryOpFunctorIN3c107complexIfEELi2ELi1ELi1EEEJNS0_4CoshIS8_EEEEEvT_T0_DpT1_, .Lfunc_end83-_ZN2at6native12_GLOBAL__N_125multi_tensor_apply_kernelINS1_18TensorListMetadataILi2EEENS1_14UnaryOpFunctorIN3c107complexIfEELi2ELi1ELi1EEEJNS0_4CoshIS8_EEEEEvT_T0_DpT1_
                                        ; -- End function
	.section	.AMDGPU.csdata,"",@progbits
; Kernel info:
; codeLenInByte = 1608
; NumSgprs: 38
; NumVgprs: 45
; ScratchSize: 0
; MemoryBound: 0
; FloatMode: 240
; IeeeMode: 1
; LDSByteSize: 0 bytes/workgroup (compile time only)
; SGPRBlocks: 4
; VGPRBlocks: 5
; NumSGPRsForWavesPerEU: 38
; NumVGPRsForWavesPerEU: 45
; Occupancy: 16
; WaveLimiterHint : 0
; COMPUTE_PGM_RSRC2:SCRATCH_EN: 0
; COMPUTE_PGM_RSRC2:USER_SGPR: 15
; COMPUTE_PGM_RSRC2:TRAP_HANDLER: 0
; COMPUTE_PGM_RSRC2:TGID_X_EN: 1
; COMPUTE_PGM_RSRC2:TGID_Y_EN: 0
; COMPUTE_PGM_RSRC2:TGID_Z_EN: 0
; COMPUTE_PGM_RSRC2:TIDIG_COMP_CNT: 0
	.section	.text._ZN2at6native12_GLOBAL__N_125multi_tensor_apply_kernelINS1_18TensorListMetadataILi2EEENS1_14UnaryOpFunctorIN3c104HalfELi2ELi1ELi1EEEJNS0_4CoshIfEEEEEvT_T0_DpT1_,"axG",@progbits,_ZN2at6native12_GLOBAL__N_125multi_tensor_apply_kernelINS1_18TensorListMetadataILi2EEENS1_14UnaryOpFunctorIN3c104HalfELi2ELi1ELi1EEEJNS0_4CoshIfEEEEEvT_T0_DpT1_,comdat
	.globl	_ZN2at6native12_GLOBAL__N_125multi_tensor_apply_kernelINS1_18TensorListMetadataILi2EEENS1_14UnaryOpFunctorIN3c104HalfELi2ELi1ELi1EEEJNS0_4CoshIfEEEEEvT_T0_DpT1_ ; -- Begin function _ZN2at6native12_GLOBAL__N_125multi_tensor_apply_kernelINS1_18TensorListMetadataILi2EEENS1_14UnaryOpFunctorIN3c104HalfELi2ELi1ELi1EEEJNS0_4CoshIfEEEEEvT_T0_DpT1_
	.p2align	8
	.type	_ZN2at6native12_GLOBAL__N_125multi_tensor_apply_kernelINS1_18TensorListMetadataILi2EEENS1_14UnaryOpFunctorIN3c104HalfELi2ELi1ELi1EEEJNS0_4CoshIfEEEEEvT_T0_DpT1_,@function
_ZN2at6native12_GLOBAL__N_125multi_tensor_apply_kernelINS1_18TensorListMetadataILi2EEENS1_14UnaryOpFunctorIN3c104HalfELi2ELi1ELi1EEEJNS0_4CoshIfEEEEEvT_T0_DpT1_: ; @_ZN2at6native12_GLOBAL__N_125multi_tensor_apply_kernelINS1_18TensorListMetadataILi2EEENS1_14UnaryOpFunctorIN3c104HalfELi2ELi1ELi1EEEJNS0_4CoshIfEEEEEvT_T0_DpT1_
; %bb.0:
	v_mov_b32_e32 v1, s15
	s_add_u32 s2, s0, s15
	s_mul_hi_u32 s3, s15, 3
	s_mul_i32 s15, s15, 3
	s_addc_u32 s4, s1, 0
	global_load_u8 v1, v1, s[0:1] offset:1536
	s_add_u32 s2, s2, s15
	s_addc_u32 s3, s4, s3
	s_mov_b32 s17, 0
	s_load_b32 s2, s[2:3], 0x740
	s_mov_b32 s19, s17
	s_mov_b32 s21, s17
	s_waitcnt vmcnt(0)
	v_readfirstlane_b32 s5, v1
	s_delay_alu instid0(VALU_DEP_1)
	s_lshl_b32 s3, s5, 3
	s_clause 0x2
	s_load_b64 s[8:9], s[0:1], s3 offset:0x0
	s_load_b64 s[10:11], s[0:1], s3 offset:0x200
	;; [unrolled: 1-line block ×3, first 2 shown]
	s_waitcnt lgkmcnt(0)
	s_ashr_i32 s3, s2, 31
	s_delay_alu instid0(SALU_CYCLE_1) | instskip(NEXT) | instid1(SALU_CYCLE_1)
	s_lshl_b64 s[4:5], s[2:3], 17
	s_add_u32 s12, s8, s4
	s_addc_u32 s13, s9, s5
	s_and_b32 s16, s12, 7
	s_add_u32 s14, s10, s4
	s_addc_u32 s15, s11, s5
	s_and_b32 s18, s6, 3
	s_and_b32 s20, s14, 7
	s_or_b64 s[16:17], s[16:17], s[18:19]
	s_lshl_b64 s[2:3], s[2:3], 16
	s_or_b64 s[16:17], s[20:21], s[16:17]
	s_sub_u32 s6, s6, s2
	s_subb_u32 s7, s7, s3
	s_cmp_eq_u64 s[16:17], 0
	s_mov_b32 s2, -1
	s_cbranch_scc0 .LBB84_5
; %bb.1:
	v_dual_mov_b32 v2, 0 :: v_dual_lshlrev_b32 v1, 2, v0
	s_mov_b32 s16, exec_lo
	s_delay_alu instid0(VALU_DEP_1)
	v_cmpx_gt_i64_e64 s[6:7], v[1:2]
	s_cbranch_execz .LBB84_4
; %bb.2:
	s_load_b32 s2, s[0:1], 0xc5c
	v_lshlrev_b32_e32 v3, 3, v0
	s_mov_b32 s17, 0
	s_mov_b32 s20, 0x3ab42872
	s_waitcnt lgkmcnt(0)
	s_and_b32 s2, s2, 0xffff
	s_delay_alu instid0(SALU_CYCLE_1)
	v_add_lshl_u32 v1, v0, s2, 2
	s_lshl_b32 s18, s2, 2
	s_lshl_b32 s19, s2, 3
.LBB84_3:                               ; =>This Inner Loop Header: Depth=1
	v_add_co_u32 v4, s2, s12, v3
	s_delay_alu instid0(VALU_DEP_1)
	v_add_co_ci_u32_e64 v5, null, s13, 0, s2
	v_cmp_le_i64_e32 vcc_lo, s[6:7], v[1:2]
	v_cmp_lt_u64_e64 s2, 0xffff, v[1:2]
	v_add_co_u32 v6, s3, s14, v3
	global_load_b64 v[4:5], v[4:5], off
	v_add_co_ci_u32_e64 v7, null, s15, 0, s3
	v_add_co_u32 v1, s3, v1, s18
	s_delay_alu instid0(VALU_DEP_1)
	v_add_co_ci_u32_e64 v2, s3, 0, v2, s3
	s_or_b32 s3, vcc_lo, s2
	s_add_u32 s12, s12, s19
	s_addc_u32 s13, s13, 0
	s_add_u32 s14, s14, s19
	s_addc_u32 s15, s15, 0
	s_waitcnt vmcnt(0)
	v_cvt_f32_f16_e64 v8, |v4|
	v_lshrrev_b32_e32 v4, 16, v4
	v_cvt_f32_f16_e64 v9, |v5|
	v_lshrrev_b32_e32 v5, 16, v5
	s_delay_alu instid0(VALU_DEP_4) | instskip(NEXT) | instid1(VALU_DEP_4)
	v_add_f32_e32 v10, 0xbf317218, v8
	v_cvt_f32_f16_e64 v4, |v4|
	s_delay_alu instid0(VALU_DEP_4) | instskip(NEXT) | instid1(VALU_DEP_4)
	v_add_f32_e32 v11, 0xbf317218, v9
	v_cvt_f32_f16_e64 v5, |v5|
	v_cmp_nlt_f32_e32 vcc_lo, 0x42b2d4fc, v9
	v_sub_f32_e32 v12, v10, v8
	s_delay_alu instid0(VALU_DEP_4) | instskip(NEXT) | instid1(VALU_DEP_4)
	v_dual_add_f32 v13, 0xbf317218, v4 :: v_dual_sub_f32 v14, v11, v9
	v_add_f32_e32 v15, 0xbf317218, v5
	v_cmp_nlt_f32_e64 s2, 0x42b2d4fc, v8
	s_delay_alu instid0(VALU_DEP_3) | instskip(NEXT) | instid1(VALU_DEP_3)
	v_dual_sub_f32 v16, v12, v10 :: v_dual_sub_f32 v17, v13, v4
	v_dual_add_f32 v12, 0x3f317218, v12 :: v_dual_sub_f32 v19, v15, v5
	v_sub_f32_e32 v18, v14, v11
	v_add_f32_e32 v14, 0x3f317218, v14
	s_delay_alu instid0(VALU_DEP_3) | instskip(SKIP_1) | instid1(VALU_DEP_2)
	v_dual_add_f32 v16, v16, v8 :: v_dual_sub_f32 v21, v19, v15
	v_dual_add_f32 v19, 0x3f317218, v19 :: v_dual_sub_f32 v20, v17, v13
	;; [unrolled: 1-line block ×3, first 2 shown]
	v_add_f32_e32 v18, v18, v9
	s_delay_alu instid0(VALU_DEP_3) | instskip(NEXT) | instid1(VALU_DEP_1)
	v_add_f32_e32 v16, v20, v4
	v_sub_f32_e32 v16, v16, v17
	s_delay_alu instid0(VALU_DEP_1) | instskip(NEXT) | instid1(VALU_DEP_4)
	v_add_f32_e32 v16, 0x3102e308, v16
	v_sub_f32_e32 v14, v18, v14
	v_add_f32_e32 v18, v21, v5
	s_delay_alu instid0(VALU_DEP_1) | instskip(NEXT) | instid1(VALU_DEP_1)
	v_sub_f32_e32 v17, v18, v19
	v_dual_add_f32 v17, 0x3102e308, v17 :: v_dual_add_f32 v12, 0x3102e308, v12
	s_delay_alu instid0(VALU_DEP_1) | instskip(NEXT) | instid1(VALU_DEP_1)
	v_add_f32_e32 v23, v15, v17
	v_sub_f32_e32 v15, v15, v23
	s_delay_alu instid0(VALU_DEP_1) | instskip(SKIP_1) | instid1(VALU_DEP_1)
	v_add_f32_e32 v15, v17, v15
	v_dual_add_f32 v21, v13, v16 :: v_dual_add_f32 v14, 0x3102e308, v14
	v_sub_f32_e32 v13, v13, v21
	s_delay_alu instid0(VALU_DEP_2) | instskip(NEXT) | instid1(VALU_DEP_2)
	v_dual_add_f32 v19, v11, v14 :: v_dual_add_f32 v18, v10, v12
	v_add_f32_e32 v13, v16, v13
	s_delay_alu instid0(VALU_DEP_2) | instskip(SKIP_1) | instid1(VALU_DEP_4)
	v_sub_f32_e32 v11, v11, v19
	v_mul_f32_e32 v22, 0x3fb8aa3b, v19
	v_sub_f32_e32 v10, v10, v18
	s_delay_alu instid0(VALU_DEP_3) | instskip(NEXT) | instid1(VALU_DEP_3)
	v_add_f32_e32 v11, v14, v11
	v_rndne_f32_e32 v14, v22
	s_delay_alu instid0(VALU_DEP_3) | instskip(NEXT) | instid1(VALU_DEP_2)
	v_add_f32_e32 v10, v12, v10
	v_fmac_f32_e32 v19, 0xbf317200, v14
	s_delay_alu instid0(VALU_DEP_1) | instskip(SKIP_1) | instid1(VALU_DEP_2)
	v_dual_mul_f32 v20, 0x3fb8aa3b, v18 :: v_dual_add_f32 v29, v11, v19
	v_mul_f32_e32 v22, 0x3fb8aa3b, v23
	v_rndne_f32_e32 v12, v20
	s_delay_alu instid0(VALU_DEP_3) | instskip(NEXT) | instid1(VALU_DEP_3)
	v_sub_f32_e32 v19, v19, v29
	v_rndne_f32_e32 v17, v22
	s_delay_alu instid0(VALU_DEP_3) | instskip(SKIP_1) | instid1(VALU_DEP_4)
	v_fmac_f32_e32 v18, 0xbf317200, v12
	v_dual_mul_f32 v25, 0x2ea39ef3, v12 :: v_dual_mul_f32 v26, 0x2ea39ef3, v14
	v_add_f32_e32 v11, v11, v19
	s_delay_alu instid0(VALU_DEP_4) | instskip(SKIP_1) | instid1(VALU_DEP_1)
	v_mul_f32_e32 v31, 0x2ea39ef3, v17
	v_fmac_f32_e32 v23, 0xbf317200, v17
	v_dual_mul_f32 v20, 0x3fb8aa3b, v21 :: v_dual_add_f32 v35, v15, v23
	s_delay_alu instid0(VALU_DEP_1)
	v_rndne_f32_e32 v16, v20
	v_mul_f32_e32 v20, 0x35bfbc00, v14
	v_mul_f32_e32 v30, 0x35bfbc00, v17
	v_cvt_i32_f32_e32 v14, v14
	v_sub_f32_e32 v23, v23, v35
	v_dual_fmac_f32 v21, 0xbf317200, v16 :: v_dual_add_f32 v22, v10, v18
	v_mul_f32_e32 v27, 0x35bfbc00, v16
	v_sub_f32_e32 v34, v29, v20
	s_delay_alu instid0(VALU_DEP_3) | instskip(SKIP_1) | instid1(VALU_DEP_3)
	v_dual_mul_f32 v28, 0x2ea39ef3, v16 :: v_dual_add_f32 v33, v13, v21
	v_dual_mul_f32 v24, 0x35bfbc00, v12 :: v_dual_add_f32 v15, v15, v23
	v_sub_f32_e32 v19, v29, v34
	v_sub_f32_e32 v29, v35, v30
	s_delay_alu instid0(VALU_DEP_4) | instskip(NEXT) | instid1(VALU_DEP_4)
	v_dual_sub_f32 v21, v21, v33 :: v_dual_sub_f32 v18, v18, v22
	v_sub_f32_e32 v32, v22, v24
	s_delay_alu instid0(VALU_DEP_4) | instskip(SKIP_1) | instid1(VALU_DEP_4)
	v_sub_f32_e32 v19, v19, v20
	v_cvt_i32_f32_e32 v12, v12
	v_dual_add_f32 v13, v13, v21 :: v_dual_add_f32 v10, v10, v18
	s_delay_alu instid0(VALU_DEP_4)
	v_sub_f32_e32 v18, v22, v32
	v_sub_f32_e32 v20, v35, v29
	;; [unrolled: 1-line block ×3, first 2 shown]
	v_add_f32_e32 v11, v11, v19
	v_cvt_i32_f32_e32 v16, v16
	v_cvt_i32_f32_e32 v17, v17
	v_sub_f32_e32 v19, v20, v30
	v_dual_sub_f32 v21, v33, v22 :: v_dual_sub_f32 v18, v18, v24
	s_delay_alu instid0(VALU_DEP_1) | instskip(NEXT) | instid1(VALU_DEP_1)
	v_dual_add_f32 v15, v15, v19 :: v_dual_add_f32 v10, v10, v18
	v_add_f32_e32 v30, v29, v15
	s_delay_alu instid0(VALU_DEP_2) | instskip(NEXT) | instid1(VALU_DEP_1)
	v_add_f32_e32 v20, v32, v10
	v_dual_sub_f32 v18, v21, v27 :: v_dual_sub_f32 v19, v32, v20
	s_delay_alu instid0(VALU_DEP_1) | instskip(SKIP_1) | instid1(VALU_DEP_2)
	v_dual_add_f32 v13, v13, v18 :: v_dual_add_f32 v18, v34, v11
	v_sub_f32_e32 v21, v20, v25
	v_add_f32_e32 v23, v22, v13
	s_delay_alu instid0(VALU_DEP_3) | instskip(SKIP_1) | instid1(VALU_DEP_4)
	v_sub_f32_e32 v24, v34, v18
	v_sub_f32_e32 v27, v18, v26
	v_dual_add_f32 v10, v10, v19 :: v_dual_sub_f32 v19, v20, v21
	s_delay_alu instid0(VALU_DEP_4) | instskip(SKIP_4) | instid1(VALU_DEP_4)
	v_sub_f32_e32 v20, v22, v23
	v_sub_f32_e32 v22, v23, v28
	v_dual_add_f32 v11, v11, v24 :: v_dual_sub_f32 v24, v29, v30
	v_sub_f32_e32 v29, v30, v31
	v_dual_sub_f32 v19, v19, v25 :: v_dual_sub_f32 v18, v18, v27
	v_dual_add_f32 v13, v13, v20 :: v_dual_sub_f32 v20, v23, v22
	s_delay_alu instid0(VALU_DEP_3) | instskip(NEXT) | instid1(VALU_DEP_3)
	v_sub_f32_e32 v23, v30, v29
	v_add_f32_e32 v10, v10, v19
	s_delay_alu instid0(VALU_DEP_4) | instskip(NEXT) | instid1(VALU_DEP_2)
	v_dual_sub_f32 v18, v18, v26 :: v_dual_add_f32 v15, v15, v24
	v_dual_sub_f32 v19, v20, v28 :: v_dual_add_f32 v20, v21, v10
	s_delay_alu instid0(VALU_DEP_2) | instskip(NEXT) | instid1(VALU_DEP_2)
	v_add_f32_e32 v11, v11, v18
	v_dual_sub_f32 v18, v23, v31 :: v_dual_sub_f32 v21, v21, v20
	s_delay_alu instid0(VALU_DEP_1) | instskip(NEXT) | instid1(VALU_DEP_4)
	v_dual_add_f32 v15, v15, v18 :: v_dual_fmaak_f32 v18, s20, v20, 0x3c091de6
	v_add_f32_e32 v13, v13, v19
	s_delay_alu instid0(VALU_DEP_4) | instskip(NEXT) | instid1(VALU_DEP_4)
	v_add_f32_e32 v19, v27, v11
	v_dual_mul_f32 v23, v20, v20 :: v_dual_add_f32 v10, v10, v21
	s_delay_alu instid0(VALU_DEP_4) | instskip(NEXT) | instid1(VALU_DEP_4)
	v_fmaak_f32 v18, v20, v18, 0x3d2aadcc
	v_add_f32_e32 v24, v22, v13
	s_delay_alu instid0(VALU_DEP_4) | instskip(SKIP_2) | instid1(VALU_DEP_4)
	v_sub_f32_e32 v26, v27, v19
	v_fmaak_f32 v25, s20, v19, 0x3c091de6
	v_add_f32_e32 v28, v29, v15
	v_dual_mul_f32 v27, v19, v19 :: v_dual_fmaak_f32 v30, s20, v24, 0x3c091de6
	v_fma_f32 v21, v20, v20, -v23
	s_delay_alu instid0(VALU_DEP_4)
	v_dual_sub_f32 v22, v22, v24 :: v_dual_fmaak_f32 v25, v19, v25, 0x3d2aadcc
	v_mul_f32_e32 v31, v24, v24
	v_dual_add_f32 v11, v11, v26 :: v_dual_fmaak_f32 v32, s20, v28, 0x3c091de6
	v_dual_sub_f32 v29, v29, v28 :: v_dual_fmaak_f32 v18, v20, v18, 0x3e2aaa47
	v_dual_mul_f32 v33, v28, v28 :: v_dual_add_f32 v34, v10, v10
	v_fma_f32 v26, v19, v19, -v27
	s_delay_alu instid0(VALU_DEP_4) | instskip(SKIP_2) | instid1(VALU_DEP_2)
	v_dual_fmaak_f32 v30, v24, v30, 0x3d2aadcc :: v_dual_add_f32 v35, v11, v11
	v_dual_add_f32 v13, v13, v22 :: v_dual_fmaak_f32 v32, v28, v32, 0x3d2aadcc
	v_dual_add_f32 v15, v15, v29 :: v_dual_fmaak_f32 v18, v20, v18, 0x3efffffc
	v_dual_fmac_f32 v21, v20, v34 :: v_dual_add_f32 v34, v13, v13
	v_fma_f32 v22, v24, v24, -v31
	v_fma_f32 v29, v28, v28, -v33
	v_fmaak_f32 v32, v28, v32, 0x3e2aaa47
	s_delay_alu instid0(VALU_DEP_4) | instskip(SKIP_4) | instid1(VALU_DEP_3)
	v_add_f32_e32 v36, v23, v21
	v_fmac_f32_e32 v26, v19, v35
	v_add_f32_e32 v35, v15, v15
	v_dual_fmaak_f32 v25, v19, v25, 0x3e2aaa47 :: v_dual_fmaak_f32 v30, v24, v30, 0x3e2aaa47
	v_fmac_f32_e32 v22, v24, v34
	v_fmac_f32_e32 v29, v28, v35
	v_dual_mul_f32 v35, v18, v36 :: v_dual_add_f32 v34, v27, v26
	v_sub_f32_e32 v23, v36, v23
	v_dual_fmaak_f32 v25, v19, v25, 0x3efffffc :: v_dual_fmaak_f32 v30, v24, v30, 0x3efffffc
	s_delay_alu instid0(VALU_DEP_3)
	v_dual_sub_f32 v27, v34, v27 :: v_dual_fmaak_f32 v32, v28, v32, 0x3efffffc
	v_add_f32_e32 v37, v31, v22
	v_add_f32_e32 v39, v33, v29
	v_sub_f32_e32 v21, v21, v23
	v_fma_f32 v23, v36, v18, -v35
	v_sub_f32_e32 v26, v26, v27
	v_mul_f32_e32 v36, v30, v37
	v_dual_mul_f32 v38, v25, v34 :: v_dual_sub_f32 v33, v39, v33
	v_sub_f32_e32 v31, v37, v31
	v_fmac_f32_e32 v23, v21, v18
	s_delay_alu instid0(VALU_DEP_4) | instskip(NEXT) | instid1(VALU_DEP_4)
	v_fma_f32 v21, v37, v30, -v36
	v_fma_f32 v27, v34, v25, -v38
	s_delay_alu instid0(VALU_DEP_1) | instskip(NEXT) | instid1(VALU_DEP_4)
	v_dual_mul_f32 v34, v32, v39 :: v_dual_fmac_f32 v27, v26, v25
	v_add_f32_e32 v26, v35, v23
	v_sub_f32_e32 v18, v22, v31
	v_sub_f32_e32 v22, v29, v33
	s_delay_alu instid0(VALU_DEP_4) | instskip(NEXT) | instid1(VALU_DEP_4)
	v_fma_f32 v25, v39, v32, -v34
	v_add_f32_e32 v29, v20, v26
	s_delay_alu instid0(VALU_DEP_1) | instskip(NEXT) | instid1(VALU_DEP_1)
	v_dual_fmac_f32 v21, v18, v30 :: v_dual_sub_f32 v20, v29, v20
	v_add_f32_e32 v30, v36, v21
	v_add_f32_e32 v18, v38, v27
	v_fmac_f32_e32 v25, v22, v32
	v_sub_f32_e32 v22, v26, v35
	s_delay_alu instid0(VALU_DEP_4) | instskip(NEXT) | instid1(VALU_DEP_4)
	v_dual_sub_f32 v20, v26, v20 :: v_dual_add_f32 v35, v24, v30
	v_sub_f32_e32 v31, v18, v38
	s_delay_alu instid0(VALU_DEP_4) | instskip(NEXT) | instid1(VALU_DEP_2)
	v_dual_add_f32 v32, v19, v18 :: v_dual_add_f32 v33, v34, v25
	v_sub_f32_e32 v27, v27, v31
	s_delay_alu instid0(VALU_DEP_2) | instskip(SKIP_2) | instid1(VALU_DEP_2)
	v_sub_f32_e32 v31, v33, v34
	v_dual_sub_f32 v22, v23, v22 :: v_dual_sub_f32 v23, v30, v36
	v_add_f32_e32 v34, v28, v33
	v_dual_sub_f32 v19, v32, v19 :: v_dual_add_f32 v10, v10, v22
	s_delay_alu instid0(VALU_DEP_3) | instskip(NEXT) | instid1(VALU_DEP_2)
	v_dual_sub_f32 v21, v21, v23 :: v_dual_sub_f32 v22, v35, v24
	v_sub_f32_e32 v18, v18, v19
	s_delay_alu instid0(VALU_DEP_3) | instskip(NEXT) | instid1(VALU_DEP_3)
	v_dual_add_f32 v11, v11, v27 :: v_dual_add_f32 v10, v10, v20
	v_dual_sub_f32 v19, v25, v31 :: v_dual_sub_f32 v20, v30, v22
	s_delay_alu instid0(VALU_DEP_4) | instskip(NEXT) | instid1(VALU_DEP_3)
	v_add_f32_e32 v13, v13, v21
	v_add_f32_e32 v11, v11, v18
	v_sub_f32_e32 v23, v34, v28
	s_delay_alu instid0(VALU_DEP_2) | instskip(NEXT) | instid1(VALU_DEP_2)
	v_dual_add_f32 v13, v13, v20 :: v_dual_add_f32 v20, v32, v11
	v_sub_f32_e32 v18, v33, v23
	v_add_f32_e32 v15, v15, v19
	s_delay_alu instid0(VALU_DEP_3) | instskip(NEXT) | instid1(VALU_DEP_4)
	v_dual_add_f32 v19, v29, v10 :: v_dual_add_f32 v22, v35, v13
	v_add_f32_e32 v24, 1.0, v20
	v_sub_f32_e32 v23, v20, v32
	s_delay_alu instid0(VALU_DEP_3) | instskip(SKIP_3) | instid1(VALU_DEP_2)
	v_add_f32_e32 v21, 1.0, v19
	v_add_f32_e32 v15, v15, v18
	v_sub_f32_e32 v18, v19, v29
	v_sub_f32_e32 v26, v22, v35
	;; [unrolled: 1-line block ×3, first 2 shown]
	s_delay_alu instid0(VALU_DEP_4) | instskip(NEXT) | instid1(VALU_DEP_1)
	v_dual_add_f32 v18, -1.0, v21 :: v_dual_add_f32 v25, v34, v15
	v_sub_f32_e32 v18, v19, v18
	s_delay_alu instid0(VALU_DEP_2) | instskip(NEXT) | instid1(VALU_DEP_2)
	v_dual_sub_f32 v11, v11, v23 :: v_dual_sub_f32 v28, v25, v34
	v_dual_add_f32 v23, -1.0, v24 :: v_dual_add_f32 v10, v10, v18
	v_add_f32_e32 v27, 1.0, v22
	s_delay_alu instid0(VALU_DEP_2) | instskip(NEXT) | instid1(VALU_DEP_2)
	v_dual_sub_f32 v15, v15, v28 :: v_dual_sub_f32 v20, v20, v23
	v_add_f32_e32 v19, -1.0, v27
	s_delay_alu instid0(VALU_DEP_2) | instskip(SKIP_2) | instid1(VALU_DEP_4)
	v_add_f32_e32 v11, v11, v20
	v_sub_f32_e32 v13, v13, v26
	v_dual_add_f32 v20, v21, v10 :: v_dual_add_f32 v29, 1.0, v25
	v_sub_f32_e32 v18, v22, v19
	s_delay_alu instid0(VALU_DEP_1) | instskip(NEXT) | instid1(VALU_DEP_1)
	v_dual_add_f32 v13, v13, v18 :: v_dual_add_f32 v18, v24, v11
	v_dual_add_f32 v23, -1.0, v29 :: v_dual_sub_f32 v22, v18, v24
	s_delay_alu instid0(VALU_DEP_1) | instskip(SKIP_1) | instid1(VALU_DEP_2)
	v_sub_f32_e32 v19, v25, v23
	v_ldexp_f32 v18, v18, v14
	v_add_f32_e32 v15, v15, v19
	v_sub_f32_e32 v19, v20, v21
	v_add_f32_e32 v21, v27, v13
	v_ldexp_f32 v20, v20, v12
	s_delay_alu instid0(VALU_DEP_3) | instskip(NEXT) | instid1(VALU_DEP_3)
	v_sub_f32_e32 v10, v10, v19
	v_sub_f32_e32 v24, v21, v27
	s_delay_alu instid0(VALU_DEP_3) | instskip(SKIP_1) | instid1(VALU_DEP_3)
	v_rcp_f32_e32 v19, v20
	v_ldexp_f32 v21, v21, v16
	v_ldexp_f32 v10, v10, v12
	s_delay_alu instid0(VALU_DEP_3) | instskip(NEXT) | instid1(VALU_DEP_3)
	v_sub_f32_e32 v12, v13, v24
	v_rcp_f32_e32 v13, v21
	s_delay_alu instid0(VALU_DEP_1) | instskip(SKIP_2) | instid1(TRANS32_DEP_3)
	v_ldexp_f32 v12, v12, v16
	v_sub_f32_e32 v11, v11, v22
	v_rcp_f32_e32 v22, v18
	v_mul_f32_e32 v24, v20, v19
	v_add_f32_e32 v23, v29, v15
	s_delay_alu instid0(VALU_DEP_3) | instskip(NEXT) | instid1(VALU_DEP_2)
	v_ldexp_f32 v11, v11, v14
	v_sub_f32_e32 v25, v23, v29
	v_ldexp_f32 v23, v23, v17
	s_waitcnt_depctr 0xfff
	v_mul_f32_e32 v16, v18, v22
	v_sub_f32_e32 v14, v15, v25
	v_rcp_f32_e32 v15, v23
	s_delay_alu instid0(VALU_DEP_2) | instskip(NEXT) | instid1(VALU_DEP_2)
	v_fma_f32 v26, v22, v18, -v16
	v_ldexp_f32 v14, v14, v17
	v_fma_f32 v17, v19, v20, -v24
	s_delay_alu instid0(VALU_DEP_3) | instskip(NEXT) | instid1(VALU_DEP_1)
	v_fmac_f32_e32 v26, v22, v11
	v_add_f32_e32 v31, v16, v26
	s_delay_alu instid0(VALU_DEP_1) | instskip(NEXT) | instid1(VALU_DEP_1)
	v_dual_fmac_f32 v17, v19, v10 :: v_dual_sub_f32 v34, 1.0, v31
	v_add_f32_e32 v30, v24, v17
	s_delay_alu instid0(VALU_DEP_1) | instskip(NEXT) | instid1(VALU_DEP_1)
	v_dual_mul_f32 v25, v21, v13 :: v_dual_sub_f32 v24, v30, v24
	v_fma_f32 v28, v13, v21, -v25
	v_dual_sub_f32 v32, 1.0, v30 :: v_dual_mul_f32 v27, v23, v15
	s_delay_alu instid0(VALU_DEP_2) | instskip(NEXT) | instid1(VALU_DEP_2)
	v_dual_sub_f32 v17, v24, v17 :: v_dual_fmac_f32 v28, v13, v12
	v_sub_f32_e32 v36, 1.0, v32
	s_delay_alu instid0(VALU_DEP_3) | instskip(NEXT) | instid1(VALU_DEP_2)
	v_fma_f32 v29, v15, v23, -v27
	v_dual_add_f32 v33, v25, v28 :: v_dual_sub_f32 v30, v36, v30
	s_delay_alu instid0(VALU_DEP_1) | instskip(SKIP_1) | instid1(VALU_DEP_2)
	v_dual_fmac_f32 v29, v15, v14 :: v_dual_sub_f32 v24, 1.0, v33
	v_sub_f32_e32 v16, v31, v16
	v_dual_add_f32 v35, v27, v29 :: v_dual_sub_f32 v36, 1.0, v24
	s_delay_alu instid0(VALU_DEP_2) | instskip(NEXT) | instid1(VALU_DEP_2)
	v_dual_sub_f32 v16, v16, v26 :: v_dual_sub_f32 v25, v33, v25
	v_dual_sub_f32 v37, 1.0, v34 :: v_dual_sub_f32 v26, 1.0, v35
	v_add_f32_e32 v17, v17, v30
	v_sub_f32_e32 v27, v35, v27
	s_delay_alu instid0(VALU_DEP_4) | instskip(NEXT) | instid1(VALU_DEP_4)
	v_sub_f32_e32 v25, v25, v28
	v_dual_sub_f32 v28, v37, v31 :: v_dual_sub_f32 v31, 1.0, v26
	s_delay_alu instid0(VALU_DEP_4) | instskip(NEXT) | instid1(VALU_DEP_4)
	v_add_f32_e32 v30, v32, v17
	v_sub_f32_e32 v27, v27, v29
	v_sub_f32_e32 v29, v36, v33
	s_delay_alu instid0(VALU_DEP_4) | instskip(SKIP_1) | instid1(VALU_DEP_1)
	v_add_f32_e32 v16, v16, v28
	v_sub_f32_e32 v28, v31, v35
	v_add_f32_e32 v27, v27, v28
	s_delay_alu instid0(VALU_DEP_4) | instskip(NEXT) | instid1(VALU_DEP_4)
	v_dual_mul_f32 v28, v19, v30 :: v_dual_add_f32 v25, v25, v29
	v_add_f32_e32 v29, v34, v16
	s_delay_alu instid0(VALU_DEP_2) | instskip(NEXT) | instid1(VALU_DEP_2)
	v_mul_f32_e32 v36, v20, v28
	v_sub_f32_e32 v34, v34, v29
	s_delay_alu instid0(VALU_DEP_2) | instskip(NEXT) | instid1(VALU_DEP_2)
	v_fma_f32 v40, v28, v20, -v36
	v_dual_add_f32 v16, v16, v34 :: v_dual_mul_f32 v33, v22, v29
	v_sub_f32_e32 v31, v32, v30
	v_add_f32_e32 v32, v24, v25
	s_delay_alu instid0(VALU_DEP_4) | instskip(NEXT) | instid1(VALU_DEP_2)
	v_fmac_f32_e32 v40, v28, v10
	v_sub_f32_e32 v24, v24, v32
	s_delay_alu instid0(VALU_DEP_2) | instskip(NEXT) | instid1(VALU_DEP_2)
	v_add_f32_e32 v48, v36, v40
	v_add_f32_e32 v24, v25, v24
	v_dual_mul_f32 v38, v18, v33 :: v_dual_add_f32 v17, v17, v31
	v_dual_add_f32 v34, v22, v33 :: v_dual_mul_f32 v37, v13, v32
	s_delay_alu instid0(VALU_DEP_4) | instskip(NEXT) | instid1(VALU_DEP_3)
	v_sub_f32_e32 v36, v48, v36
	v_fma_f32 v43, v33, v18, -v38
	s_delay_alu instid0(VALU_DEP_3) | instskip(NEXT) | instid1(VALU_DEP_4)
	v_sub_f32_e32 v44, v34, v22
	v_dual_add_f32 v35, v26, v27 :: v_dual_mul_f32 v42, v21, v37
	v_add_f32_e32 v31, v19, v28
	v_sub_f32_e32 v36, v36, v40
	s_delay_alu instid0(VALU_DEP_3) | instskip(SKIP_3) | instid1(VALU_DEP_4)
	v_sub_f32_e32 v26, v26, v35
	v_mul_f32_e32 v39, v15, v35
	v_add_f32_e32 v25, v13, v37
	v_fmac_f32_e32 v43, v33, v11
	v_dual_sub_f32 v33, v33, v44 :: v_dual_add_f32 v26, v27, v26
	s_delay_alu instid0(VALU_DEP_3) | instskip(SKIP_1) | instid1(VALU_DEP_2)
	v_dual_sub_f32 v41, v31, v19 :: v_dual_sub_f32 v46, v25, v13
	v_mul_f32_e32 v45, v23, v39
	v_dual_add_f32 v27, v15, v39 :: v_dual_sub_f32 v28, v28, v41
	v_fma_f32 v41, v37, v21, -v42
	s_delay_alu instid0(VALU_DEP_3) | instskip(NEXT) | instid1(VALU_DEP_3)
	v_fma_f32 v44, v39, v23, -v45
	v_sub_f32_e32 v47, v27, v15
	s_delay_alu instid0(VALU_DEP_2) | instskip(NEXT) | instid1(VALU_DEP_2)
	v_dual_fmac_f32 v41, v37, v12 :: v_dual_fmac_f32 v44, v39, v14
	v_sub_f32_e32 v39, v39, v47
	v_sub_f32_e32 v47, v30, v48
	v_dual_sub_f32 v37, v37, v46 :: v_dual_add_f32 v46, v38, v43
	s_delay_alu instid0(VALU_DEP_1) | instskip(SKIP_1) | instid1(VALU_DEP_2)
	v_sub_f32_e32 v38, v46, v38
	v_dual_add_f32 v49, v42, v41 :: v_dual_sub_f32 v50, v29, v46
	v_dual_add_f32 v51, v45, v44 :: v_dual_sub_f32 v38, v38, v43
	s_delay_alu instid0(VALU_DEP_2) | instskip(SKIP_1) | instid1(VALU_DEP_4)
	v_sub_f32_e32 v40, v49, v42
	v_sub_f32_e32 v42, v32, v49
	v_dual_sub_f32 v30, v30, v47 :: v_dual_sub_f32 v29, v29, v50
	s_delay_alu instid0(VALU_DEP_4) | instskip(NEXT) | instid1(VALU_DEP_3)
	v_sub_f32_e32 v43, v51, v45
	v_dual_sub_f32 v45, v35, v51 :: v_dual_sub_f32 v32, v32, v42
	s_delay_alu instid0(VALU_DEP_3) | instskip(NEXT) | instid1(VALU_DEP_4)
	v_sub_f32_e32 v30, v30, v48
	v_dual_sub_f32 v40, v40, v41 :: v_dual_sub_f32 v29, v29, v46
	s_delay_alu instid0(VALU_DEP_4) | instskip(NEXT) | instid1(VALU_DEP_3)
	v_sub_f32_e32 v41, v43, v44
	v_dual_add_f32 v17, v17, v30 :: v_dual_sub_f32 v30, v32, v49
	s_delay_alu instid0(VALU_DEP_3) | instskip(NEXT) | instid1(VALU_DEP_2)
	v_add_f32_e32 v16, v16, v29
	v_dual_sub_f32 v35, v35, v45 :: v_dual_add_f32 v24, v24, v30
	s_delay_alu instid0(VALU_DEP_1) | instskip(NEXT) | instid1(VALU_DEP_4)
	v_dual_add_f32 v16, v38, v16 :: v_dual_sub_f32 v29, v35, v51
	v_add_f32_e32 v17, v36, v17
	s_delay_alu instid0(VALU_DEP_3) | instskip(NEXT) | instid1(VALU_DEP_2)
	v_add_f32_e32 v24, v40, v24
	v_dual_add_f32 v16, v50, v16 :: v_dual_add_f32 v17, v47, v17
	s_delay_alu instid0(VALU_DEP_1) | instskip(NEXT) | instid1(VALU_DEP_3)
	v_dual_mul_f32 v16, v22, v16 :: v_dual_mul_f32 v17, v19, v17
	v_add_f32_e32 v19, v42, v24
	v_add_f32_e32 v26, v26, v29
	s_delay_alu instid0(VALU_DEP_3) | instskip(NEXT) | instid1(VALU_DEP_3)
	v_add_f32_e32 v17, v28, v17
	v_mul_f32_e32 v13, v13, v19
	s_delay_alu instid0(VALU_DEP_3) | instskip(NEXT) | instid1(VALU_DEP_1)
	v_add_f32_e32 v26, v41, v26
	v_add_f32_e32 v22, v45, v26
	s_delay_alu instid0(VALU_DEP_4) | instskip(NEXT) | instid1(VALU_DEP_1)
	v_dual_add_f32 v16, v33, v16 :: v_dual_add_f32 v19, v31, v17
	v_dual_mul_f32 v15, v15, v22 :: v_dual_add_f32 v22, v34, v16
	s_delay_alu instid0(VALU_DEP_2) | instskip(SKIP_1) | instid1(VALU_DEP_2)
	v_dual_add_f32 v13, v37, v13 :: v_dual_sub_f32 v24, v19, v31
	v_ldexp_f32 v19, v19, -2
	v_dual_add_f32 v15, v39, v15 :: v_dual_add_f32 v26, v25, v13
	s_delay_alu instid0(VALU_DEP_4) | instskip(SKIP_1) | instid1(VALU_DEP_3)
	v_sub_f32_e32 v28, v22, v34
	v_ldexp_f32 v22, v22, -2
	v_add_f32_e32 v29, v27, v15
	v_dual_sub_f32 v17, v17, v24 :: v_dual_add_f32 v24, v20, v19
	s_delay_alu instid0(VALU_DEP_4) | instskip(SKIP_1) | instid1(VALU_DEP_4)
	v_dual_sub_f32 v25, v26, v25 :: v_dual_sub_f32 v16, v16, v28
	v_ldexp_f32 v26, v26, -2
	v_dual_add_f32 v28, v18, v22 :: v_dual_sub_f32 v27, v29, v27
	v_ldexp_f32 v29, v29, -2
	v_ldexp_f32 v17, v17, -2
	v_dual_sub_f32 v20, v24, v20 :: v_dual_sub_f32 v13, v13, v25
	v_add_f32_e32 v25, v21, v26
	v_ldexp_f32 v16, v16, -2
	s_delay_alu instid0(VALU_DEP_4) | instskip(SKIP_3) | instid1(VALU_DEP_3)
	v_add_f32_e32 v10, v10, v17
	v_dual_sub_f32 v18, v28, v18 :: v_dual_sub_f32 v15, v15, v27
	v_add_f32_e32 v27, v23, v29
	v_ldexp_f32 v13, v13, -2
	v_dual_sub_f32 v19, v19, v20 :: v_dual_sub_f32 v18, v22, v18
	v_sub_f32_e32 v17, v25, v21
	v_ldexp_f32 v15, v15, -2
	s_delay_alu instid0(VALU_DEP_4) | instskip(NEXT) | instid1(VALU_DEP_4)
	v_dual_add_f32 v12, v12, v13 :: v_dual_add_f32 v11, v11, v16
	v_add_f32_e32 v10, v10, v19
	s_delay_alu instid0(VALU_DEP_4) | instskip(NEXT) | instid1(VALU_DEP_4)
	v_dual_sub_f32 v16, v27, v23 :: v_dual_sub_f32 v17, v26, v17
	v_add_f32_e32 v14, v14, v15
	s_delay_alu instid0(VALU_DEP_2) | instskip(NEXT) | instid1(VALU_DEP_3)
	v_dual_add_f32 v10, v24, v10 :: v_dual_sub_f32 v13, v29, v16
	v_dual_add_f32 v11, v11, v18 :: v_dual_add_f32 v12, v12, v17
	s_delay_alu instid0(VALU_DEP_2) | instskip(NEXT) | instid1(VALU_DEP_3)
	v_cndmask_b32_e64 v8, 0x7f800000, v10, s2
	v_add_f32_e32 v13, v14, v13
	s_delay_alu instid0(VALU_DEP_3) | instskip(SKIP_1) | instid1(VALU_DEP_4)
	v_dual_add_f32 v11, v28, v11 :: v_dual_add_f32 v10, v25, v12
	v_cmp_nlt_f32_e64 s2, 0x42b2d4fc, v4
	v_cvt_f16_f32_e32 v8, v8
	s_delay_alu instid0(VALU_DEP_3) | instskip(SKIP_1) | instid1(VALU_DEP_2)
	v_dual_add_f32 v9, v27, v13 :: v_dual_cndmask_b32 v4, 0x7f800000, v11
	v_cmp_nlt_f32_e32 vcc_lo, 0x42b2d4fc, v5
	v_cvt_f16_f32_e32 v4, v4
	s_delay_alu instid0(VALU_DEP_3) | instskip(SKIP_2) | instid1(SALU_CYCLE_1)
	v_cndmask_b32_e32 v5, 0x7f800000, v9, vcc_lo
	v_cndmask_b32_e64 v9, 0x7f800000, v10, s2
	s_and_b32 s2, exec_lo, s3
	s_or_b32 s17, s2, s17
	s_delay_alu instid0(VALU_DEP_2) | instskip(NEXT) | instid1(VALU_DEP_2)
	v_cvt_f16_f32_e32 v5, v5
	v_cvt_f16_f32_e32 v9, v9
	s_delay_alu instid0(VALU_DEP_2) | instskip(NEXT) | instid1(VALU_DEP_2)
	v_pack_b32_f16 v5, v4, v5
	v_pack_b32_f16 v4, v8, v9
	global_store_b64 v[6:7], v[4:5], off
	s_and_not1_b32 exec_lo, exec_lo, s17
	s_cbranch_execnz .LBB84_3
.LBB84_4:
	s_or_b32 exec_lo, exec_lo, s16
	s_mov_b32 s2, 0
.LBB84_5:
	s_delay_alu instid0(SALU_CYCLE_1)
	s_and_not1_b32 vcc_lo, exec_lo, s2
	s_cbranch_vccnz .LBB84_25
; %bb.6:
	v_cmp_lt_i64_e64 s2, s[6:7], 1
	s_delay_alu instid0(VALU_DEP_1)
	s_and_b32 vcc_lo, exec_lo, s2
	s_cbranch_vccnz .LBB84_25
; %bb.7:
	s_load_b32 s0, s[0:1], 0xc5c
	v_dual_mov_b32 v10, 0 :: v_dual_lshlrev_b32 v9, 1, v0
	v_cmp_gt_u64_e64 s1, 0x10000, s[6:7]
	s_delay_alu instid0(VALU_DEP_2) | instskip(NEXT) | instid1(VALU_DEP_1)
	v_add_co_u32 v1, s2, s8, v9
	v_add_co_ci_u32_e64 v2, null, s9, 0, s2
	v_add_co_u32 v3, s2, s10, v9
	s_delay_alu instid0(VALU_DEP_1)
	v_add_co_ci_u32_e64 v4, null, s11, 0, s2
	s_waitcnt lgkmcnt(0)
	s_and_b32 s0, s0, 0xffff
	s_and_b32 s1, s1, exec_lo
	v_mad_u64_u32 v[7:8], null, s0, 6, v[9:10]
	s_cselect_b32 s13, s7, 0
	s_cselect_b32 s12, s6, 0x10000
	s_mul_i32 s2, s0, 3
	s_lshl_b32 s14, s0, 2
	s_lshl_b32 s1, s0, 1
	v_add_co_u32 v14, s3, s14, v9
	v_add_co_u32 v9, s2, s2, v0
	s_delay_alu instid0(VALU_DEP_1) | instskip(SKIP_3) | instid1(VALU_DEP_3)
	v_add_co_ci_u32_e64 v10, null, 0, 0, s2
	v_add_co_u32 v13, s2, v0, s0
	v_add_co_u32 v5, vcc_lo, s8, v7
	v_add_co_ci_u32_e32 v6, vcc_lo, s9, v8, vcc_lo
	v_lshlrev_b32_e32 v21, 1, v13
	v_add_co_u32 v7, vcc_lo, s10, v7
	v_add_co_ci_u32_e64 v15, null, 0, 0, s3
	v_add_co_ci_u32_e32 v8, vcc_lo, s11, v8, vcc_lo
	v_add_co_u32 v17, s1, s1, v0
	v_add_co_u32 v11, vcc_lo, s8, v14
	v_add_co_ci_u32_e64 v18, null, 0, 0, s1
	v_add_co_u32 v19, s1, s8, v21
	v_add_co_ci_u32_e32 v12, vcc_lo, s9, v15, vcc_lo
	v_add_co_u32 v14, vcc_lo, s10, v14
	v_add_co_ci_u32_e64 v20, null, s9, 0, s1
	v_add_co_u32 v21, s1, s10, v21
	v_add_co_ci_u32_e32 v15, vcc_lo, s11, v15, vcc_lo
	v_add_co_ci_u32_e64 v16, null, 0, 0, s2
	v_add_co_ci_u32_e64 v22, null, s11, 0, s1
	s_lshl_b32 s10, s0, 3
	s_mov_b64 s[8:9], 0
	s_mov_b32 s11, 0x3ab42872
	s_branch .LBB84_9
.LBB84_8:                               ;   in Loop: Header=BB84_9 Depth=1
	s_or_b32 exec_lo, exec_lo, s0
	v_add_co_u32 v1, vcc_lo, v1, s10
	v_add_co_ci_u32_e32 v2, vcc_lo, 0, v2, vcc_lo
	v_add_co_u32 v3, vcc_lo, v3, s10
	v_add_co_ci_u32_e32 v4, vcc_lo, 0, v4, vcc_lo
	;; [unrolled: 2-line block ×5, first 2 shown]
	s_add_u32 s8, s8, s14
	v_add_co_u32 v14, vcc_lo, v14, s10
	s_addc_u32 s9, s9, 0
	v_add_co_ci_u32_e32 v15, vcc_lo, 0, v15, vcc_lo
	v_cmp_ge_i64_e64 s0, s[8:9], s[6:7]
	v_cmp_lt_u64_e64 s1, 0xffff, s[8:9]
	v_add_co_u32 v19, vcc_lo, v19, s10
	v_add_co_ci_u32_e32 v20, vcc_lo, 0, v20, vcc_lo
	v_add_co_u32 v21, vcc_lo, v21, s10
	v_add_co_ci_u32_e32 v22, vcc_lo, 0, v22, vcc_lo
	s_or_b32 s0, s0, s1
	s_delay_alu instid0(SALU_CYCLE_1)
	s_and_b32 vcc_lo, exec_lo, s0
	s_cbranch_vccnz .LBB84_25
.LBB84_9:                               ; =>This Inner Loop Header: Depth=1
	s_waitcnt vmcnt(0)
	v_add_co_u32 v23, s0, v0, s8
	s_delay_alu instid0(VALU_DEP_1) | instskip(SKIP_1) | instid1(VALU_DEP_2)
	v_add_co_ci_u32_e64 v24, null, 0, s9, s0
	v_mov_b32_e32 v26, 0
	v_cmp_gt_u64_e64 s2, s[12:13], v[23:24]
	s_delay_alu instid0(VALU_DEP_1)
	s_and_saveexec_b32 s0, s2
	s_cbranch_execz .LBB84_11
; %bb.10:                               ;   in Loop: Header=BB84_9 Depth=1
	v_add_co_u32 v23, vcc_lo, v1, s4
	v_add_co_ci_u32_e32 v24, vcc_lo, s5, v2, vcc_lo
	global_load_u16 v26, v[23:24], off
.LBB84_11:                              ;   in Loop: Header=BB84_9 Depth=1
	s_or_b32 exec_lo, exec_lo, s0
	v_add_co_u32 v23, vcc_lo, v13, s8
	v_add_co_ci_u32_e32 v24, vcc_lo, s9, v16, vcc_lo
	v_mov_b32_e32 v25, 0
	s_delay_alu instid0(VALU_DEP_2) | instskip(NEXT) | instid1(VALU_DEP_1)
	v_cmp_gt_u64_e64 s1, s[12:13], v[23:24]
	s_and_saveexec_b32 s0, s1
	s_cbranch_execz .LBB84_13
; %bb.12:                               ;   in Loop: Header=BB84_9 Depth=1
	v_add_co_u32 v23, vcc_lo, v19, s4
	v_add_co_ci_u32_e32 v24, vcc_lo, s5, v20, vcc_lo
	global_load_u16 v25, v[23:24], off
.LBB84_13:                              ;   in Loop: Header=BB84_9 Depth=1
	s_or_b32 exec_lo, exec_lo, s0
	v_add_co_u32 v23, vcc_lo, v17, s8
	v_add_co_ci_u32_e32 v24, vcc_lo, s9, v18, vcc_lo
	s_delay_alu instid0(VALU_DEP_1) | instskip(SKIP_1) | instid1(VALU_DEP_2)
	v_cmp_gt_u64_e64 s0, s[12:13], v[23:24]
	v_dual_mov_b32 v23, 0 :: v_dual_mov_b32 v24, 0
	s_and_saveexec_b32 s3, s0
	s_cbranch_execz .LBB84_15
; %bb.14:                               ;   in Loop: Header=BB84_9 Depth=1
	v_add_co_u32 v27, vcc_lo, v11, s4
	v_add_co_ci_u32_e32 v28, vcc_lo, s5, v12, vcc_lo
	global_load_u16 v24, v[27:28], off
.LBB84_15:                              ;   in Loop: Header=BB84_9 Depth=1
	s_or_b32 exec_lo, exec_lo, s3
	v_add_co_u32 v27, vcc_lo, v9, s8
	v_add_co_ci_u32_e32 v28, vcc_lo, s9, v10, vcc_lo
	s_delay_alu instid0(VALU_DEP_1)
	v_cmp_gt_u64_e32 vcc_lo, s[12:13], v[27:28]
	s_and_saveexec_b32 s15, vcc_lo
	s_cbranch_execnz .LBB84_20
; %bb.16:                               ;   in Loop: Header=BB84_9 Depth=1
	s_or_b32 exec_lo, exec_lo, s15
	s_and_saveexec_b32 s3, s2
	s_cbranch_execnz .LBB84_21
.LBB84_17:                              ;   in Loop: Header=BB84_9 Depth=1
	s_or_b32 exec_lo, exec_lo, s3
	s_and_saveexec_b32 s2, s1
	s_cbranch_execnz .LBB84_22
.LBB84_18:                              ;   in Loop: Header=BB84_9 Depth=1
	s_or_b32 exec_lo, exec_lo, s2
	s_and_saveexec_b32 s1, s0
	s_cbranch_execnz .LBB84_23
.LBB84_19:                              ;   in Loop: Header=BB84_9 Depth=1
	s_or_b32 exec_lo, exec_lo, s1
	s_and_saveexec_b32 s0, vcc_lo
	s_cbranch_execz .LBB84_8
	s_branch .LBB84_24
.LBB84_20:                              ;   in Loop: Header=BB84_9 Depth=1
	v_add_co_u32 v27, s3, v5, s4
	s_delay_alu instid0(VALU_DEP_1)
	v_add_co_ci_u32_e64 v28, s3, s5, v6, s3
	global_load_u16 v23, v[27:28], off
	s_or_b32 exec_lo, exec_lo, s15
	s_and_saveexec_b32 s3, s2
	s_cbranch_execz .LBB84_17
.LBB84_21:                              ;   in Loop: Header=BB84_9 Depth=1
	s_waitcnt vmcnt(0)
	v_cvt_f32_f16_e64 v26, |v26|
	s_delay_alu instid0(VALU_DEP_1) | instskip(SKIP_1) | instid1(VALU_DEP_2)
	v_add_f32_e32 v27, 0xbf317218, v26
	v_cmp_nlt_f32_e64 s2, 0x42b2d4fc, v26
	v_sub_f32_e32 v28, v27, v26
	s_delay_alu instid0(VALU_DEP_1) | instskip(NEXT) | instid1(VALU_DEP_1)
	v_dual_sub_f32 v29, v28, v27 :: v_dual_add_f32 v28, 0x3f317218, v28
	v_add_f32_e32 v29, v29, v26
	s_delay_alu instid0(VALU_DEP_1) | instskip(NEXT) | instid1(VALU_DEP_1)
	v_sub_f32_e32 v28, v29, v28
	v_add_f32_e32 v28, 0x3102e308, v28
	s_delay_alu instid0(VALU_DEP_1) | instskip(NEXT) | instid1(VALU_DEP_1)
	v_add_f32_e32 v29, v27, v28
	v_sub_f32_e32 v27, v27, v29
	s_delay_alu instid0(VALU_DEP_1) | instskip(NEXT) | instid1(VALU_DEP_1)
	v_dual_mul_f32 v30, 0x3fb8aa3b, v29 :: v_dual_add_f32 v27, v28, v27
	v_rndne_f32_e32 v30, v30
	s_delay_alu instid0(VALU_DEP_1) | instskip(SKIP_1) | instid1(VALU_DEP_1)
	v_mul_f32_e32 v28, 0x35bfbc00, v30
	v_fmac_f32_e32 v29, 0xbf317200, v30
	v_add_f32_e32 v31, v27, v29
	s_delay_alu instid0(VALU_DEP_1) | instskip(NEXT) | instid1(VALU_DEP_1)
	v_dual_sub_f32 v32, v31, v28 :: v_dual_sub_f32 v29, v29, v31
	v_sub_f32_e32 v31, v31, v32
	s_delay_alu instid0(VALU_DEP_2) | instskip(NEXT) | instid1(VALU_DEP_2)
	v_add_f32_e32 v27, v27, v29
	v_sub_f32_e32 v28, v31, v28
	s_delay_alu instid0(VALU_DEP_1) | instskip(NEXT) | instid1(VALU_DEP_1)
	v_dual_add_f32 v27, v27, v28 :: v_dual_mul_f32 v28, 0x2ea39ef3, v30
	v_add_f32_e32 v29, v32, v27
	s_delay_alu instid0(VALU_DEP_1) | instskip(NEXT) | instid1(VALU_DEP_1)
	v_dual_sub_f32 v31, v29, v28 :: v_dual_sub_f32 v32, v32, v29
	v_sub_f32_e32 v29, v29, v31
	s_delay_alu instid0(VALU_DEP_2) | instskip(NEXT) | instid1(VALU_DEP_2)
	v_add_f32_e32 v27, v27, v32
	v_sub_f32_e32 v28, v29, v28
	s_delay_alu instid0(VALU_DEP_1) | instskip(NEXT) | instid1(VALU_DEP_1)
	v_add_f32_e32 v27, v27, v28
	v_add_f32_e32 v28, v31, v27
	s_delay_alu instid0(VALU_DEP_1) | instskip(SKIP_1) | instid1(VALU_DEP_2)
	v_sub_f32_e32 v29, v31, v28
	v_mul_f32_e32 v31, v28, v28
	v_add_f32_e32 v27, v27, v29
	v_fmaak_f32 v29, s11, v28, 0x3c091de6
	s_delay_alu instid0(VALU_DEP_3) | instskip(NEXT) | instid1(VALU_DEP_3)
	v_fma_f32 v32, v28, v28, -v31
	v_add_f32_e32 v33, v27, v27
	s_delay_alu instid0(VALU_DEP_3) | instskip(NEXT) | instid1(VALU_DEP_2)
	v_fmaak_f32 v29, v28, v29, 0x3d2aadcc
	v_fmac_f32_e32 v32, v28, v33
	s_delay_alu instid0(VALU_DEP_2) | instskip(NEXT) | instid1(VALU_DEP_2)
	v_fmaak_f32 v29, v28, v29, 0x3e2aaa47
	v_add_f32_e32 v33, v31, v32
	s_delay_alu instid0(VALU_DEP_2) | instskip(NEXT) | instid1(VALU_DEP_2)
	v_fmaak_f32 v29, v28, v29, 0x3efffffc
	v_sub_f32_e32 v31, v33, v31
	s_delay_alu instid0(VALU_DEP_1) | instskip(NEXT) | instid1(VALU_DEP_1)
	v_dual_mul_f32 v34, v29, v33 :: v_dual_sub_f32 v31, v32, v31
	v_fma_f32 v32, v33, v29, -v34
	s_delay_alu instid0(VALU_DEP_1) | instskip(NEXT) | instid1(VALU_DEP_1)
	v_fmac_f32_e32 v32, v31, v29
	v_add_f32_e32 v29, v34, v32
	s_delay_alu instid0(VALU_DEP_1) | instskip(SKIP_1) | instid1(VALU_DEP_1)
	v_sub_f32_e32 v31, v29, v34
	v_add_f32_e32 v33, v28, v29
	v_dual_sub_f32 v31, v32, v31 :: v_dual_sub_f32 v28, v33, v28
	s_delay_alu instid0(VALU_DEP_1) | instskip(NEXT) | instid1(VALU_DEP_1)
	v_dual_sub_f32 v28, v29, v28 :: v_dual_add_f32 v27, v27, v31
	v_add_f32_e32 v27, v27, v28
	s_delay_alu instid0(VALU_DEP_1) | instskip(NEXT) | instid1(VALU_DEP_1)
	v_add_f32_e32 v28, v33, v27
	v_add_f32_e32 v29, 1.0, v28
	v_sub_f32_e32 v31, v28, v33
	s_delay_alu instid0(VALU_DEP_1) | instskip(NEXT) | instid1(VALU_DEP_1)
	v_dual_add_f32 v32, -1.0, v29 :: v_dual_sub_f32 v27, v27, v31
	v_sub_f32_e32 v28, v28, v32
	s_delay_alu instid0(VALU_DEP_1) | instskip(SKIP_1) | instid1(VALU_DEP_2)
	v_add_f32_e32 v27, v27, v28
	v_cvt_i32_f32_e32 v28, v30
	v_add_f32_e32 v30, v29, v27
	s_delay_alu instid0(VALU_DEP_1) | instskip(SKIP_1) | instid1(VALU_DEP_2)
	v_ldexp_f32 v31, v30, v28
	v_sub_f32_e32 v29, v30, v29
	v_rcp_f32_e32 v32, v31
	s_delay_alu instid0(VALU_DEP_1) | instskip(NEXT) | instid1(VALU_DEP_1)
	v_sub_f32_e32 v27, v27, v29
	v_ldexp_f32 v27, v27, v28
	s_waitcnt_depctr 0xfff
	v_mul_f32_e32 v29, v31, v32
	s_delay_alu instid0(VALU_DEP_1) | instskip(NEXT) | instid1(VALU_DEP_1)
	v_fma_f32 v28, v32, v31, -v29
	v_fmac_f32_e32 v28, v32, v27
	s_delay_alu instid0(VALU_DEP_1) | instskip(NEXT) | instid1(VALU_DEP_1)
	v_add_f32_e32 v30, v29, v28
	v_sub_f32_e32 v33, 1.0, v30
	v_sub_f32_e32 v29, v30, v29
	s_delay_alu instid0(VALU_DEP_2) | instskip(NEXT) | instid1(VALU_DEP_1)
	v_sub_f32_e32 v34, 1.0, v33
	v_dual_sub_f32 v28, v29, v28 :: v_dual_sub_f32 v29, v34, v30
	s_delay_alu instid0(VALU_DEP_1) | instskip(NEXT) | instid1(VALU_DEP_1)
	v_add_f32_e32 v28, v28, v29
	v_add_f32_e32 v29, v33, v28
	s_delay_alu instid0(VALU_DEP_1) | instskip(NEXT) | instid1(VALU_DEP_1)
	v_mul_f32_e32 v30, v32, v29
	v_dual_sub_f32 v33, v33, v29 :: v_dual_mul_f32 v34, v31, v30
	s_delay_alu instid0(VALU_DEP_1) | instskip(NEXT) | instid1(VALU_DEP_2)
	v_add_f32_e32 v28, v28, v33
	v_fma_f32 v35, v30, v31, -v34
	s_delay_alu instid0(VALU_DEP_1) | instskip(NEXT) | instid1(VALU_DEP_1)
	v_fmac_f32_e32 v35, v30, v27
	v_add_f32_e32 v36, v34, v35
	s_delay_alu instid0(VALU_DEP_1) | instskip(SKIP_1) | instid1(VALU_DEP_2)
	v_sub_f32_e32 v37, v29, v36
	v_sub_f32_e32 v33, v36, v34
	;; [unrolled: 1-line block ×3, first 2 shown]
	s_delay_alu instid0(VALU_DEP_2) | instskip(NEXT) | instid1(VALU_DEP_2)
	v_sub_f32_e32 v33, v33, v35
	v_sub_f32_e32 v29, v29, v36
	s_delay_alu instid0(VALU_DEP_1) | instskip(NEXT) | instid1(VALU_DEP_1)
	v_add_f32_e32 v28, v28, v29
	v_dual_add_f32 v29, v32, v30 :: v_dual_add_f32 v28, v33, v28
	s_delay_alu instid0(VALU_DEP_1) | instskip(NEXT) | instid1(VALU_DEP_2)
	v_sub_f32_e32 v33, v29, v32
	v_add_f32_e32 v28, v37, v28
	s_delay_alu instid0(VALU_DEP_2) | instskip(NEXT) | instid1(VALU_DEP_2)
	v_sub_f32_e32 v30, v30, v33
	v_mul_f32_e32 v28, v32, v28
	s_delay_alu instid0(VALU_DEP_1) | instskip(NEXT) | instid1(VALU_DEP_1)
	v_add_f32_e32 v28, v30, v28
	v_add_f32_e32 v30, v29, v28
	s_delay_alu instid0(VALU_DEP_1) | instskip(SKIP_1) | instid1(VALU_DEP_1)
	v_sub_f32_e32 v29, v30, v29
	v_ldexp_f32 v30, v30, -2
	v_dual_sub_f32 v28, v28, v29 :: v_dual_add_f32 v29, v31, v30
	s_delay_alu instid0(VALU_DEP_1) | instskip(NEXT) | instid1(VALU_DEP_2)
	v_ldexp_f32 v28, v28, -2
	v_sub_f32_e32 v31, v29, v31
	s_delay_alu instid0(VALU_DEP_1) | instskip(NEXT) | instid1(VALU_DEP_1)
	v_dual_add_f32 v27, v27, v28 :: v_dual_sub_f32 v28, v30, v31
	v_add_f32_e32 v27, v27, v28
	s_delay_alu instid0(VALU_DEP_1) | instskip(NEXT) | instid1(VALU_DEP_1)
	v_add_f32_e32 v27, v29, v27
	v_cndmask_b32_e64 v26, 0x7f800000, v27, s2
	s_delay_alu instid0(VALU_DEP_1) | instskip(SKIP_1) | instid1(VALU_DEP_1)
	v_cvt_f16_f32_e32 v28, v26
	v_add_co_u32 v26, s2, v3, s4
	v_add_co_ci_u32_e64 v27, s2, s5, v4, s2
	global_store_b16 v[26:27], v28, off
	s_or_b32 exec_lo, exec_lo, s3
	s_and_saveexec_b32 s2, s1
	s_cbranch_execz .LBB84_18
.LBB84_22:                              ;   in Loop: Header=BB84_9 Depth=1
	s_waitcnt vmcnt(0)
	v_cvt_f32_f16_e64 v25, |v25|
	s_delay_alu instid0(VALU_DEP_1) | instskip(SKIP_1) | instid1(VALU_DEP_2)
	v_add_f32_e32 v26, 0xbf317218, v25
	v_cmp_nlt_f32_e64 s1, 0x42b2d4fc, v25
	v_sub_f32_e32 v27, v26, v25
	s_delay_alu instid0(VALU_DEP_1) | instskip(NEXT) | instid1(VALU_DEP_1)
	v_dual_sub_f32 v28, v27, v26 :: v_dual_add_f32 v27, 0x3f317218, v27
	v_add_f32_e32 v28, v28, v25
	s_delay_alu instid0(VALU_DEP_1) | instskip(NEXT) | instid1(VALU_DEP_1)
	v_sub_f32_e32 v27, v28, v27
	v_add_f32_e32 v27, 0x3102e308, v27
	s_delay_alu instid0(VALU_DEP_1) | instskip(NEXT) | instid1(VALU_DEP_1)
	v_add_f32_e32 v28, v26, v27
	v_sub_f32_e32 v26, v26, v28
	s_delay_alu instid0(VALU_DEP_1) | instskip(NEXT) | instid1(VALU_DEP_1)
	v_dual_mul_f32 v29, 0x3fb8aa3b, v28 :: v_dual_add_f32 v26, v27, v26
	v_rndne_f32_e32 v29, v29
	s_delay_alu instid0(VALU_DEP_1) | instskip(SKIP_1) | instid1(VALU_DEP_1)
	v_mul_f32_e32 v27, 0x35bfbc00, v29
	v_fmac_f32_e32 v28, 0xbf317200, v29
	v_add_f32_e32 v30, v26, v28
	s_delay_alu instid0(VALU_DEP_1) | instskip(NEXT) | instid1(VALU_DEP_1)
	v_dual_sub_f32 v31, v30, v27 :: v_dual_sub_f32 v28, v28, v30
	v_sub_f32_e32 v30, v30, v31
	s_delay_alu instid0(VALU_DEP_2) | instskip(NEXT) | instid1(VALU_DEP_2)
	v_add_f32_e32 v26, v26, v28
	v_sub_f32_e32 v27, v30, v27
	s_delay_alu instid0(VALU_DEP_1) | instskip(NEXT) | instid1(VALU_DEP_1)
	v_dual_add_f32 v26, v26, v27 :: v_dual_mul_f32 v27, 0x2ea39ef3, v29
	v_add_f32_e32 v28, v31, v26
	s_delay_alu instid0(VALU_DEP_1) | instskip(NEXT) | instid1(VALU_DEP_1)
	v_dual_sub_f32 v30, v28, v27 :: v_dual_sub_f32 v31, v31, v28
	v_sub_f32_e32 v28, v28, v30
	s_delay_alu instid0(VALU_DEP_2) | instskip(NEXT) | instid1(VALU_DEP_2)
	v_add_f32_e32 v26, v26, v31
	v_sub_f32_e32 v27, v28, v27
	s_delay_alu instid0(VALU_DEP_1) | instskip(NEXT) | instid1(VALU_DEP_1)
	v_add_f32_e32 v26, v26, v27
	v_add_f32_e32 v27, v30, v26
	s_delay_alu instid0(VALU_DEP_1) | instskip(SKIP_1) | instid1(VALU_DEP_2)
	v_sub_f32_e32 v28, v30, v27
	v_mul_f32_e32 v30, v27, v27
	v_add_f32_e32 v26, v26, v28
	v_fmaak_f32 v28, s11, v27, 0x3c091de6
	s_delay_alu instid0(VALU_DEP_3) | instskip(NEXT) | instid1(VALU_DEP_3)
	v_fma_f32 v31, v27, v27, -v30
	v_add_f32_e32 v32, v26, v26
	s_delay_alu instid0(VALU_DEP_3) | instskip(NEXT) | instid1(VALU_DEP_2)
	v_fmaak_f32 v28, v27, v28, 0x3d2aadcc
	v_fmac_f32_e32 v31, v27, v32
	s_delay_alu instid0(VALU_DEP_2) | instskip(NEXT) | instid1(VALU_DEP_2)
	v_fmaak_f32 v28, v27, v28, 0x3e2aaa47
	v_add_f32_e32 v32, v30, v31
	s_delay_alu instid0(VALU_DEP_2) | instskip(NEXT) | instid1(VALU_DEP_2)
	v_fmaak_f32 v28, v27, v28, 0x3efffffc
	v_sub_f32_e32 v30, v32, v30
	s_delay_alu instid0(VALU_DEP_1) | instskip(NEXT) | instid1(VALU_DEP_1)
	v_dual_mul_f32 v33, v28, v32 :: v_dual_sub_f32 v30, v31, v30
	v_fma_f32 v31, v32, v28, -v33
	s_delay_alu instid0(VALU_DEP_1) | instskip(NEXT) | instid1(VALU_DEP_1)
	v_fmac_f32_e32 v31, v30, v28
	v_add_f32_e32 v28, v33, v31
	s_delay_alu instid0(VALU_DEP_1) | instskip(SKIP_1) | instid1(VALU_DEP_2)
	v_sub_f32_e32 v32, v28, v33
	v_add_f32_e32 v30, v27, v28
	v_sub_f32_e32 v31, v31, v32
	s_delay_alu instid0(VALU_DEP_2) | instskip(NEXT) | instid1(VALU_DEP_2)
	v_sub_f32_e32 v27, v30, v27
	v_add_f32_e32 v26, v26, v31
	s_delay_alu instid0(VALU_DEP_2) | instskip(NEXT) | instid1(VALU_DEP_1)
	v_sub_f32_e32 v27, v28, v27
	v_add_f32_e32 v26, v26, v27
	s_delay_alu instid0(VALU_DEP_1) | instskip(NEXT) | instid1(VALU_DEP_1)
	v_add_f32_e32 v27, v30, v26
	v_add_f32_e32 v28, 1.0, v27
	s_delay_alu instid0(VALU_DEP_1) | instskip(NEXT) | instid1(VALU_DEP_1)
	v_dual_sub_f32 v30, v27, v30 :: v_dual_add_f32 v31, -1.0, v28
	v_dual_sub_f32 v26, v26, v30 :: v_dual_sub_f32 v27, v27, v31
	s_delay_alu instid0(VALU_DEP_1) | instskip(SKIP_1) | instid1(VALU_DEP_2)
	v_add_f32_e32 v26, v26, v27
	v_cvt_i32_f32_e32 v27, v29
	v_add_f32_e32 v29, v28, v26
	s_delay_alu instid0(VALU_DEP_1) | instskip(NEXT) | instid1(VALU_DEP_1)
	v_ldexp_f32 v30, v29, v27
	v_rcp_f32_e32 v31, v30
	v_sub_f32_e32 v28, v29, v28
	s_delay_alu instid0(VALU_DEP_1) | instskip(SKIP_3) | instid1(VALU_DEP_2)
	v_sub_f32_e32 v26, v26, v28
	s_waitcnt_depctr 0xfff
	v_mul_f32_e32 v28, v30, v31
	v_ldexp_f32 v26, v26, v27
	v_fma_f32 v27, v31, v30, -v28
	s_delay_alu instid0(VALU_DEP_1) | instskip(NEXT) | instid1(VALU_DEP_1)
	v_fmac_f32_e32 v27, v31, v26
	v_add_f32_e32 v29, v28, v27
	s_delay_alu instid0(VALU_DEP_1) | instskip(SKIP_1) | instid1(VALU_DEP_2)
	v_sub_f32_e32 v32, 1.0, v29
	v_sub_f32_e32 v28, v29, v28
	v_sub_f32_e32 v33, 1.0, v32
	s_delay_alu instid0(VALU_DEP_1) | instskip(NEXT) | instid1(VALU_DEP_1)
	v_dual_sub_f32 v27, v28, v27 :: v_dual_sub_f32 v28, v33, v29
	v_add_f32_e32 v27, v27, v28
	s_delay_alu instid0(VALU_DEP_1) | instskip(NEXT) | instid1(VALU_DEP_1)
	v_add_f32_e32 v28, v32, v27
	v_mul_f32_e32 v29, v31, v28
	s_delay_alu instid0(VALU_DEP_1) | instskip(NEXT) | instid1(VALU_DEP_1)
	v_dual_sub_f32 v32, v32, v28 :: v_dual_mul_f32 v33, v30, v29
	v_add_f32_e32 v27, v27, v32
	s_delay_alu instid0(VALU_DEP_2) | instskip(NEXT) | instid1(VALU_DEP_1)
	v_fma_f32 v34, v29, v30, -v33
	v_fmac_f32_e32 v34, v29, v26
	s_delay_alu instid0(VALU_DEP_1) | instskip(NEXT) | instid1(VALU_DEP_1)
	v_add_f32_e32 v35, v33, v34
	v_sub_f32_e32 v36, v28, v35
	v_sub_f32_e32 v32, v35, v33
	s_delay_alu instid0(VALU_DEP_2) | instskip(NEXT) | instid1(VALU_DEP_2)
	v_sub_f32_e32 v28, v28, v36
	v_sub_f32_e32 v32, v32, v34
	s_delay_alu instid0(VALU_DEP_2) | instskip(NEXT) | instid1(VALU_DEP_1)
	v_sub_f32_e32 v28, v28, v35
	v_add_f32_e32 v27, v27, v28
	s_delay_alu instid0(VALU_DEP_1) | instskip(NEXT) | instid1(VALU_DEP_1)
	v_dual_add_f32 v28, v31, v29 :: v_dual_add_f32 v27, v32, v27
	v_sub_f32_e32 v32, v28, v31
	s_delay_alu instid0(VALU_DEP_2) | instskip(NEXT) | instid1(VALU_DEP_2)
	v_add_f32_e32 v27, v36, v27
	v_sub_f32_e32 v29, v29, v32
	s_delay_alu instid0(VALU_DEP_2) | instskip(NEXT) | instid1(VALU_DEP_1)
	v_mul_f32_e32 v27, v31, v27
	v_add_f32_e32 v27, v29, v27
	s_delay_alu instid0(VALU_DEP_1) | instskip(NEXT) | instid1(VALU_DEP_1)
	v_add_f32_e32 v29, v28, v27
	v_ldexp_f32 v31, v29, -2
	s_delay_alu instid0(VALU_DEP_1) | instskip(NEXT) | instid1(VALU_DEP_1)
	v_dual_sub_f32 v28, v29, v28 :: v_dual_add_f32 v29, v30, v31
	v_dual_sub_f32 v27, v27, v28 :: v_dual_sub_f32 v28, v29, v30
	s_delay_alu instid0(VALU_DEP_1) | instskip(NEXT) | instid1(VALU_DEP_2)
	v_ldexp_f32 v27, v27, -2
	v_sub_f32_e32 v28, v31, v28
	s_delay_alu instid0(VALU_DEP_2) | instskip(NEXT) | instid1(VALU_DEP_1)
	v_add_f32_e32 v26, v26, v27
	v_add_f32_e32 v26, v26, v28
	s_delay_alu instid0(VALU_DEP_1) | instskip(NEXT) | instid1(VALU_DEP_1)
	v_add_f32_e32 v26, v29, v26
	v_cndmask_b32_e64 v25, 0x7f800000, v26, s1
	s_delay_alu instid0(VALU_DEP_1) | instskip(SKIP_1) | instid1(VALU_DEP_1)
	v_cvt_f16_f32_e32 v27, v25
	v_add_co_u32 v25, s1, v21, s4
	v_add_co_ci_u32_e64 v26, s1, s5, v22, s1
	global_store_b16 v[25:26], v27, off
	s_or_b32 exec_lo, exec_lo, s2
	s_and_saveexec_b32 s1, s0
	s_cbranch_execz .LBB84_19
.LBB84_23:                              ;   in Loop: Header=BB84_9 Depth=1
	s_waitcnt vmcnt(0)
	v_cvt_f32_f16_e64 v24, |v24|
	s_delay_alu instid0(VALU_DEP_1) | instskip(SKIP_1) | instid1(VALU_DEP_2)
	v_add_f32_e32 v25, 0xbf317218, v24
	v_cmp_nlt_f32_e64 s0, 0x42b2d4fc, v24
	v_sub_f32_e32 v26, v25, v24
	s_delay_alu instid0(VALU_DEP_1) | instskip(NEXT) | instid1(VALU_DEP_1)
	v_dual_sub_f32 v27, v26, v25 :: v_dual_add_f32 v26, 0x3f317218, v26
	v_add_f32_e32 v27, v27, v24
	s_delay_alu instid0(VALU_DEP_1) | instskip(NEXT) | instid1(VALU_DEP_1)
	v_sub_f32_e32 v26, v27, v26
	v_add_f32_e32 v26, 0x3102e308, v26
	s_delay_alu instid0(VALU_DEP_1) | instskip(NEXT) | instid1(VALU_DEP_1)
	v_add_f32_e32 v27, v25, v26
	v_sub_f32_e32 v25, v25, v27
	s_delay_alu instid0(VALU_DEP_1) | instskip(NEXT) | instid1(VALU_DEP_1)
	v_dual_mul_f32 v28, 0x3fb8aa3b, v27 :: v_dual_add_f32 v25, v26, v25
	v_rndne_f32_e32 v28, v28
	s_delay_alu instid0(VALU_DEP_1) | instskip(SKIP_1) | instid1(VALU_DEP_1)
	v_mul_f32_e32 v26, 0x35bfbc00, v28
	v_fmac_f32_e32 v27, 0xbf317200, v28
	v_add_f32_e32 v29, v25, v27
	s_delay_alu instid0(VALU_DEP_1) | instskip(NEXT) | instid1(VALU_DEP_1)
	v_dual_sub_f32 v30, v29, v26 :: v_dual_sub_f32 v27, v27, v29
	v_sub_f32_e32 v29, v29, v30
	s_delay_alu instid0(VALU_DEP_2) | instskip(NEXT) | instid1(VALU_DEP_2)
	v_add_f32_e32 v25, v25, v27
	v_sub_f32_e32 v26, v29, v26
	s_delay_alu instid0(VALU_DEP_1) | instskip(NEXT) | instid1(VALU_DEP_1)
	v_dual_add_f32 v25, v25, v26 :: v_dual_mul_f32 v26, 0x2ea39ef3, v28
	v_add_f32_e32 v27, v30, v25
	s_delay_alu instid0(VALU_DEP_1) | instskip(NEXT) | instid1(VALU_DEP_1)
	v_dual_sub_f32 v29, v27, v26 :: v_dual_sub_f32 v30, v30, v27
	v_sub_f32_e32 v27, v27, v29
	s_delay_alu instid0(VALU_DEP_2) | instskip(NEXT) | instid1(VALU_DEP_2)
	v_add_f32_e32 v25, v25, v30
	v_sub_f32_e32 v26, v27, v26
	s_delay_alu instid0(VALU_DEP_1) | instskip(NEXT) | instid1(VALU_DEP_1)
	v_add_f32_e32 v25, v25, v26
	v_add_f32_e32 v26, v29, v25
	s_delay_alu instid0(VALU_DEP_1) | instskip(SKIP_1) | instid1(VALU_DEP_2)
	v_sub_f32_e32 v27, v29, v26
	v_mul_f32_e32 v29, v26, v26
	v_add_f32_e32 v25, v25, v27
	v_fmaak_f32 v27, s11, v26, 0x3c091de6
	s_delay_alu instid0(VALU_DEP_3) | instskip(NEXT) | instid1(VALU_DEP_3)
	v_fma_f32 v30, v26, v26, -v29
	v_add_f32_e32 v31, v25, v25
	s_delay_alu instid0(VALU_DEP_3) | instskip(NEXT) | instid1(VALU_DEP_2)
	v_fmaak_f32 v27, v26, v27, 0x3d2aadcc
	v_fmac_f32_e32 v30, v26, v31
	s_delay_alu instid0(VALU_DEP_2) | instskip(NEXT) | instid1(VALU_DEP_2)
	v_fmaak_f32 v27, v26, v27, 0x3e2aaa47
	v_add_f32_e32 v31, v29, v30
	s_delay_alu instid0(VALU_DEP_2) | instskip(NEXT) | instid1(VALU_DEP_2)
	v_fmaak_f32 v27, v26, v27, 0x3efffffc
	v_sub_f32_e32 v29, v31, v29
	s_delay_alu instid0(VALU_DEP_1) | instskip(NEXT) | instid1(VALU_DEP_1)
	v_dual_mul_f32 v32, v27, v31 :: v_dual_sub_f32 v29, v30, v29
	v_fma_f32 v30, v31, v27, -v32
	s_delay_alu instid0(VALU_DEP_1) | instskip(NEXT) | instid1(VALU_DEP_1)
	v_fmac_f32_e32 v30, v29, v27
	v_add_f32_e32 v27, v32, v30
	s_delay_alu instid0(VALU_DEP_1) | instskip(SKIP_1) | instid1(VALU_DEP_2)
	v_sub_f32_e32 v31, v27, v32
	v_add_f32_e32 v29, v26, v27
	v_sub_f32_e32 v30, v30, v31
	s_delay_alu instid0(VALU_DEP_2) | instskip(NEXT) | instid1(VALU_DEP_2)
	v_sub_f32_e32 v26, v29, v26
	v_add_f32_e32 v25, v25, v30
	s_delay_alu instid0(VALU_DEP_2) | instskip(NEXT) | instid1(VALU_DEP_1)
	v_sub_f32_e32 v26, v27, v26
	v_add_f32_e32 v25, v25, v26
	s_delay_alu instid0(VALU_DEP_1) | instskip(NEXT) | instid1(VALU_DEP_1)
	v_add_f32_e32 v26, v29, v25
	v_add_f32_e32 v27, 1.0, v26
	s_delay_alu instid0(VALU_DEP_1) | instskip(NEXT) | instid1(VALU_DEP_1)
	v_dual_sub_f32 v29, v26, v29 :: v_dual_add_f32 v30, -1.0, v27
	v_dual_sub_f32 v25, v25, v29 :: v_dual_sub_f32 v26, v26, v30
	s_delay_alu instid0(VALU_DEP_1) | instskip(SKIP_1) | instid1(VALU_DEP_2)
	v_add_f32_e32 v25, v25, v26
	v_cvt_i32_f32_e32 v26, v28
	v_add_f32_e32 v28, v27, v25
	s_delay_alu instid0(VALU_DEP_1) | instskip(NEXT) | instid1(VALU_DEP_1)
	v_ldexp_f32 v29, v28, v26
	v_rcp_f32_e32 v30, v29
	v_sub_f32_e32 v27, v28, v27
	s_delay_alu instid0(VALU_DEP_1) | instskip(SKIP_3) | instid1(VALU_DEP_2)
	v_sub_f32_e32 v25, v25, v27
	s_waitcnt_depctr 0xfff
	v_mul_f32_e32 v27, v29, v30
	v_ldexp_f32 v25, v25, v26
	v_fma_f32 v26, v30, v29, -v27
	s_delay_alu instid0(VALU_DEP_1) | instskip(NEXT) | instid1(VALU_DEP_1)
	v_fmac_f32_e32 v26, v30, v25
	v_add_f32_e32 v28, v27, v26
	s_delay_alu instid0(VALU_DEP_1) | instskip(SKIP_1) | instid1(VALU_DEP_2)
	v_sub_f32_e32 v31, 1.0, v28
	v_sub_f32_e32 v27, v28, v27
	v_sub_f32_e32 v32, 1.0, v31
	s_delay_alu instid0(VALU_DEP_1) | instskip(NEXT) | instid1(VALU_DEP_1)
	v_dual_sub_f32 v26, v27, v26 :: v_dual_sub_f32 v27, v32, v28
	v_add_f32_e32 v26, v26, v27
	s_delay_alu instid0(VALU_DEP_1) | instskip(NEXT) | instid1(VALU_DEP_1)
	v_add_f32_e32 v27, v31, v26
	v_mul_f32_e32 v28, v30, v27
	s_delay_alu instid0(VALU_DEP_1) | instskip(NEXT) | instid1(VALU_DEP_1)
	v_dual_sub_f32 v31, v31, v27 :: v_dual_mul_f32 v32, v29, v28
	v_add_f32_e32 v26, v26, v31
	s_delay_alu instid0(VALU_DEP_2) | instskip(NEXT) | instid1(VALU_DEP_1)
	v_fma_f32 v33, v28, v29, -v32
	v_fmac_f32_e32 v33, v28, v25
	s_delay_alu instid0(VALU_DEP_1) | instskip(NEXT) | instid1(VALU_DEP_1)
	v_add_f32_e32 v34, v32, v33
	v_sub_f32_e32 v35, v27, v34
	v_sub_f32_e32 v31, v34, v32
	s_delay_alu instid0(VALU_DEP_2) | instskip(NEXT) | instid1(VALU_DEP_2)
	v_sub_f32_e32 v27, v27, v35
	v_sub_f32_e32 v31, v31, v33
	s_delay_alu instid0(VALU_DEP_2) | instskip(NEXT) | instid1(VALU_DEP_1)
	v_sub_f32_e32 v27, v27, v34
	v_add_f32_e32 v26, v26, v27
	s_delay_alu instid0(VALU_DEP_1) | instskip(NEXT) | instid1(VALU_DEP_1)
	v_dual_add_f32 v27, v30, v28 :: v_dual_add_f32 v26, v31, v26
	v_sub_f32_e32 v31, v27, v30
	s_delay_alu instid0(VALU_DEP_2) | instskip(NEXT) | instid1(VALU_DEP_2)
	v_add_f32_e32 v26, v35, v26
	v_sub_f32_e32 v28, v28, v31
	s_delay_alu instid0(VALU_DEP_2) | instskip(NEXT) | instid1(VALU_DEP_1)
	v_mul_f32_e32 v26, v30, v26
	v_add_f32_e32 v26, v28, v26
	s_delay_alu instid0(VALU_DEP_1) | instskip(NEXT) | instid1(VALU_DEP_1)
	v_add_f32_e32 v28, v27, v26
	v_ldexp_f32 v30, v28, -2
	s_delay_alu instid0(VALU_DEP_1) | instskip(NEXT) | instid1(VALU_DEP_1)
	v_dual_sub_f32 v27, v28, v27 :: v_dual_add_f32 v28, v29, v30
	v_dual_sub_f32 v26, v26, v27 :: v_dual_sub_f32 v27, v28, v29
	s_delay_alu instid0(VALU_DEP_1) | instskip(NEXT) | instid1(VALU_DEP_2)
	v_ldexp_f32 v26, v26, -2
	v_sub_f32_e32 v27, v30, v27
	s_delay_alu instid0(VALU_DEP_2) | instskip(NEXT) | instid1(VALU_DEP_1)
	v_add_f32_e32 v25, v25, v26
	v_add_f32_e32 v25, v25, v27
	s_delay_alu instid0(VALU_DEP_1) | instskip(NEXT) | instid1(VALU_DEP_1)
	v_add_f32_e32 v25, v28, v25
	v_cndmask_b32_e64 v24, 0x7f800000, v25, s0
	s_delay_alu instid0(VALU_DEP_1) | instskip(SKIP_1) | instid1(VALU_DEP_1)
	v_cvt_f16_f32_e32 v26, v24
	v_add_co_u32 v24, s0, v14, s4
	v_add_co_ci_u32_e64 v25, s0, s5, v15, s0
	global_store_b16 v[24:25], v26, off
	s_or_b32 exec_lo, exec_lo, s1
	s_and_saveexec_b32 s0, vcc_lo
	s_cbranch_execz .LBB84_8
.LBB84_24:                              ;   in Loop: Header=BB84_9 Depth=1
	s_waitcnt vmcnt(0)
	v_cvt_f32_f16_e64 v23, |v23|
	s_delay_alu instid0(VALU_DEP_1) | instskip(SKIP_1) | instid1(VALU_DEP_2)
	v_add_f32_e32 v24, 0xbf317218, v23
	v_cmp_nlt_f32_e32 vcc_lo, 0x42b2d4fc, v23
	v_sub_f32_e32 v25, v24, v23
	s_delay_alu instid0(VALU_DEP_1) | instskip(NEXT) | instid1(VALU_DEP_1)
	v_dual_sub_f32 v26, v25, v24 :: v_dual_add_f32 v25, 0x3f317218, v25
	v_add_f32_e32 v26, v26, v23
	s_delay_alu instid0(VALU_DEP_1) | instskip(NEXT) | instid1(VALU_DEP_1)
	v_sub_f32_e32 v25, v26, v25
	v_add_f32_e32 v25, 0x3102e308, v25
	s_delay_alu instid0(VALU_DEP_1) | instskip(NEXT) | instid1(VALU_DEP_1)
	v_add_f32_e32 v26, v24, v25
	v_sub_f32_e32 v24, v24, v26
	s_delay_alu instid0(VALU_DEP_1) | instskip(NEXT) | instid1(VALU_DEP_1)
	v_dual_mul_f32 v27, 0x3fb8aa3b, v26 :: v_dual_add_f32 v24, v25, v24
	v_rndne_f32_e32 v27, v27
	s_delay_alu instid0(VALU_DEP_1) | instskip(SKIP_1) | instid1(VALU_DEP_1)
	v_mul_f32_e32 v25, 0x35bfbc00, v27
	v_fmac_f32_e32 v26, 0xbf317200, v27
	v_add_f32_e32 v28, v24, v26
	s_delay_alu instid0(VALU_DEP_1) | instskip(NEXT) | instid1(VALU_DEP_1)
	v_dual_sub_f32 v29, v28, v25 :: v_dual_sub_f32 v26, v26, v28
	v_sub_f32_e32 v28, v28, v29
	s_delay_alu instid0(VALU_DEP_2) | instskip(NEXT) | instid1(VALU_DEP_2)
	v_add_f32_e32 v24, v24, v26
	v_sub_f32_e32 v25, v28, v25
	s_delay_alu instid0(VALU_DEP_1) | instskip(NEXT) | instid1(VALU_DEP_1)
	v_dual_add_f32 v24, v24, v25 :: v_dual_mul_f32 v25, 0x2ea39ef3, v27
	v_add_f32_e32 v26, v29, v24
	s_delay_alu instid0(VALU_DEP_1) | instskip(NEXT) | instid1(VALU_DEP_1)
	v_dual_sub_f32 v28, v26, v25 :: v_dual_sub_f32 v29, v29, v26
	v_sub_f32_e32 v26, v26, v28
	s_delay_alu instid0(VALU_DEP_2) | instskip(NEXT) | instid1(VALU_DEP_2)
	v_add_f32_e32 v24, v24, v29
	v_sub_f32_e32 v25, v26, v25
	s_delay_alu instid0(VALU_DEP_1) | instskip(NEXT) | instid1(VALU_DEP_1)
	v_add_f32_e32 v24, v24, v25
	v_add_f32_e32 v25, v28, v24
	s_delay_alu instid0(VALU_DEP_1) | instskip(SKIP_1) | instid1(VALU_DEP_2)
	v_sub_f32_e32 v26, v28, v25
	v_mul_f32_e32 v28, v25, v25
	v_add_f32_e32 v24, v24, v26
	v_fmaak_f32 v26, s11, v25, 0x3c091de6
	s_delay_alu instid0(VALU_DEP_3) | instskip(NEXT) | instid1(VALU_DEP_3)
	v_fma_f32 v29, v25, v25, -v28
	v_add_f32_e32 v30, v24, v24
	s_delay_alu instid0(VALU_DEP_3) | instskip(NEXT) | instid1(VALU_DEP_2)
	v_fmaak_f32 v26, v25, v26, 0x3d2aadcc
	v_fmac_f32_e32 v29, v25, v30
	s_delay_alu instid0(VALU_DEP_2) | instskip(NEXT) | instid1(VALU_DEP_2)
	v_fmaak_f32 v26, v25, v26, 0x3e2aaa47
	v_add_f32_e32 v30, v28, v29
	s_delay_alu instid0(VALU_DEP_2) | instskip(NEXT) | instid1(VALU_DEP_2)
	v_fmaak_f32 v26, v25, v26, 0x3efffffc
	v_sub_f32_e32 v28, v30, v28
	s_delay_alu instid0(VALU_DEP_1) | instskip(NEXT) | instid1(VALU_DEP_1)
	v_dual_mul_f32 v31, v26, v30 :: v_dual_sub_f32 v28, v29, v28
	v_fma_f32 v29, v30, v26, -v31
	s_delay_alu instid0(VALU_DEP_1) | instskip(NEXT) | instid1(VALU_DEP_1)
	v_fmac_f32_e32 v29, v28, v26
	v_add_f32_e32 v26, v31, v29
	s_delay_alu instid0(VALU_DEP_1) | instskip(SKIP_1) | instid1(VALU_DEP_2)
	v_sub_f32_e32 v30, v26, v31
	v_add_f32_e32 v28, v25, v26
	v_sub_f32_e32 v29, v29, v30
	s_delay_alu instid0(VALU_DEP_2) | instskip(NEXT) | instid1(VALU_DEP_2)
	v_sub_f32_e32 v25, v28, v25
	v_add_f32_e32 v24, v24, v29
	s_delay_alu instid0(VALU_DEP_2) | instskip(NEXT) | instid1(VALU_DEP_1)
	v_sub_f32_e32 v25, v26, v25
	v_add_f32_e32 v24, v24, v25
	s_delay_alu instid0(VALU_DEP_1) | instskip(NEXT) | instid1(VALU_DEP_1)
	v_add_f32_e32 v25, v28, v24
	v_add_f32_e32 v26, 1.0, v25
	s_delay_alu instid0(VALU_DEP_1) | instskip(NEXT) | instid1(VALU_DEP_1)
	v_dual_sub_f32 v28, v25, v28 :: v_dual_add_f32 v29, -1.0, v26
	v_dual_sub_f32 v24, v24, v28 :: v_dual_sub_f32 v25, v25, v29
	s_delay_alu instid0(VALU_DEP_1) | instskip(SKIP_1) | instid1(VALU_DEP_2)
	v_add_f32_e32 v24, v24, v25
	v_cvt_i32_f32_e32 v25, v27
	v_add_f32_e32 v27, v26, v24
	s_delay_alu instid0(VALU_DEP_1) | instskip(NEXT) | instid1(VALU_DEP_1)
	v_ldexp_f32 v28, v27, v25
	v_rcp_f32_e32 v29, v28
	v_sub_f32_e32 v26, v27, v26
	s_delay_alu instid0(VALU_DEP_1) | instskip(SKIP_3) | instid1(VALU_DEP_2)
	v_sub_f32_e32 v24, v24, v26
	s_waitcnt_depctr 0xfff
	v_mul_f32_e32 v26, v28, v29
	v_ldexp_f32 v24, v24, v25
	v_fma_f32 v25, v29, v28, -v26
	s_delay_alu instid0(VALU_DEP_1) | instskip(NEXT) | instid1(VALU_DEP_1)
	v_fmac_f32_e32 v25, v29, v24
	v_add_f32_e32 v27, v26, v25
	s_delay_alu instid0(VALU_DEP_1) | instskip(SKIP_1) | instid1(VALU_DEP_2)
	v_sub_f32_e32 v30, 1.0, v27
	v_sub_f32_e32 v26, v27, v26
	v_sub_f32_e32 v31, 1.0, v30
	s_delay_alu instid0(VALU_DEP_1) | instskip(NEXT) | instid1(VALU_DEP_1)
	v_dual_sub_f32 v25, v26, v25 :: v_dual_sub_f32 v26, v31, v27
	v_add_f32_e32 v25, v25, v26
	s_delay_alu instid0(VALU_DEP_1) | instskip(NEXT) | instid1(VALU_DEP_1)
	v_add_f32_e32 v26, v30, v25
	v_mul_f32_e32 v27, v29, v26
	s_delay_alu instid0(VALU_DEP_1) | instskip(NEXT) | instid1(VALU_DEP_1)
	v_dual_sub_f32 v30, v30, v26 :: v_dual_mul_f32 v31, v28, v27
	v_add_f32_e32 v25, v25, v30
	s_delay_alu instid0(VALU_DEP_2) | instskip(NEXT) | instid1(VALU_DEP_1)
	v_fma_f32 v32, v27, v28, -v31
	v_fmac_f32_e32 v32, v27, v24
	s_delay_alu instid0(VALU_DEP_1) | instskip(NEXT) | instid1(VALU_DEP_1)
	v_add_f32_e32 v33, v31, v32
	v_sub_f32_e32 v34, v26, v33
	v_sub_f32_e32 v30, v33, v31
	s_delay_alu instid0(VALU_DEP_2) | instskip(NEXT) | instid1(VALU_DEP_2)
	v_sub_f32_e32 v26, v26, v34
	v_sub_f32_e32 v30, v30, v32
	s_delay_alu instid0(VALU_DEP_2) | instskip(NEXT) | instid1(VALU_DEP_1)
	v_sub_f32_e32 v26, v26, v33
	v_add_f32_e32 v25, v25, v26
	s_delay_alu instid0(VALU_DEP_1) | instskip(NEXT) | instid1(VALU_DEP_1)
	v_dual_add_f32 v26, v29, v27 :: v_dual_add_f32 v25, v30, v25
	v_sub_f32_e32 v30, v26, v29
	s_delay_alu instid0(VALU_DEP_2) | instskip(NEXT) | instid1(VALU_DEP_2)
	v_add_f32_e32 v25, v34, v25
	v_sub_f32_e32 v27, v27, v30
	s_delay_alu instid0(VALU_DEP_2) | instskip(NEXT) | instid1(VALU_DEP_1)
	v_mul_f32_e32 v25, v29, v25
	v_add_f32_e32 v25, v27, v25
	s_delay_alu instid0(VALU_DEP_1) | instskip(NEXT) | instid1(VALU_DEP_1)
	v_add_f32_e32 v27, v26, v25
	v_ldexp_f32 v29, v27, -2
	s_delay_alu instid0(VALU_DEP_1) | instskip(NEXT) | instid1(VALU_DEP_1)
	v_dual_sub_f32 v26, v27, v26 :: v_dual_add_f32 v27, v28, v29
	v_dual_sub_f32 v25, v25, v26 :: v_dual_sub_f32 v26, v27, v28
	s_delay_alu instid0(VALU_DEP_1) | instskip(NEXT) | instid1(VALU_DEP_2)
	v_ldexp_f32 v25, v25, -2
	v_sub_f32_e32 v26, v29, v26
	s_delay_alu instid0(VALU_DEP_2) | instskip(NEXT) | instid1(VALU_DEP_1)
	v_add_f32_e32 v24, v24, v25
	v_add_f32_e32 v24, v24, v26
	s_delay_alu instid0(VALU_DEP_1) | instskip(NEXT) | instid1(VALU_DEP_1)
	v_add_f32_e32 v24, v27, v24
	v_cndmask_b32_e32 v23, 0x7f800000, v24, vcc_lo
	s_delay_alu instid0(VALU_DEP_1)
	v_cvt_f16_f32_e32 v25, v23
	v_add_co_u32 v23, vcc_lo, v7, s4
	v_add_co_ci_u32_e32 v24, vcc_lo, s5, v8, vcc_lo
	global_store_b16 v[23:24], v25, off
	s_branch .LBB84_8
.LBB84_25:
	s_nop 0
	s_sendmsg sendmsg(MSG_DEALLOC_VGPRS)
	s_endpgm
	.section	.rodata,"a",@progbits
	.p2align	6, 0x0
	.amdhsa_kernel _ZN2at6native12_GLOBAL__N_125multi_tensor_apply_kernelINS1_18TensorListMetadataILi2EEENS1_14UnaryOpFunctorIN3c104HalfELi2ELi1ELi1EEEJNS0_4CoshIfEEEEEvT_T0_DpT1_
		.amdhsa_group_segment_fixed_size 0
		.amdhsa_private_segment_fixed_size 0
		.amdhsa_kernarg_size 3408
		.amdhsa_user_sgpr_count 15
		.amdhsa_user_sgpr_dispatch_ptr 0
		.amdhsa_user_sgpr_queue_ptr 0
		.amdhsa_user_sgpr_kernarg_segment_ptr 1
		.amdhsa_user_sgpr_dispatch_id 0
		.amdhsa_user_sgpr_private_segment_size 0
		.amdhsa_wavefront_size32 1
		.amdhsa_uses_dynamic_stack 0
		.amdhsa_enable_private_segment 0
		.amdhsa_system_sgpr_workgroup_id_x 1
		.amdhsa_system_sgpr_workgroup_id_y 0
		.amdhsa_system_sgpr_workgroup_id_z 0
		.amdhsa_system_sgpr_workgroup_info 0
		.amdhsa_system_vgpr_workitem_id 0
		.amdhsa_next_free_vgpr 52
		.amdhsa_next_free_sgpr 22
		.amdhsa_reserve_vcc 1
		.amdhsa_float_round_mode_32 0
		.amdhsa_float_round_mode_16_64 0
		.amdhsa_float_denorm_mode_32 3
		.amdhsa_float_denorm_mode_16_64 3
		.amdhsa_dx10_clamp 1
		.amdhsa_ieee_mode 1
		.amdhsa_fp16_overflow 0
		.amdhsa_workgroup_processor_mode 1
		.amdhsa_memory_ordered 1
		.amdhsa_forward_progress 0
		.amdhsa_shared_vgpr_count 0
		.amdhsa_exception_fp_ieee_invalid_op 0
		.amdhsa_exception_fp_denorm_src 0
		.amdhsa_exception_fp_ieee_div_zero 0
		.amdhsa_exception_fp_ieee_overflow 0
		.amdhsa_exception_fp_ieee_underflow 0
		.amdhsa_exception_fp_ieee_inexact 0
		.amdhsa_exception_int_div_zero 0
	.end_amdhsa_kernel
	.section	.text._ZN2at6native12_GLOBAL__N_125multi_tensor_apply_kernelINS1_18TensorListMetadataILi2EEENS1_14UnaryOpFunctorIN3c104HalfELi2ELi1ELi1EEEJNS0_4CoshIfEEEEEvT_T0_DpT1_,"axG",@progbits,_ZN2at6native12_GLOBAL__N_125multi_tensor_apply_kernelINS1_18TensorListMetadataILi2EEENS1_14UnaryOpFunctorIN3c104HalfELi2ELi1ELi1EEEJNS0_4CoshIfEEEEEvT_T0_DpT1_,comdat
.Lfunc_end84:
	.size	_ZN2at6native12_GLOBAL__N_125multi_tensor_apply_kernelINS1_18TensorListMetadataILi2EEENS1_14UnaryOpFunctorIN3c104HalfELi2ELi1ELi1EEEJNS0_4CoshIfEEEEEvT_T0_DpT1_, .Lfunc_end84-_ZN2at6native12_GLOBAL__N_125multi_tensor_apply_kernelINS1_18TensorListMetadataILi2EEENS1_14UnaryOpFunctorIN3c104HalfELi2ELi1ELi1EEEJNS0_4CoshIfEEEEEvT_T0_DpT1_
                                        ; -- End function
	.section	.AMDGPU.csdata,"",@progbits
; Kernel info:
; codeLenInByte = 6912
; NumSgprs: 24
; NumVgprs: 52
; ScratchSize: 0
; MemoryBound: 0
; FloatMode: 240
; IeeeMode: 1
; LDSByteSize: 0 bytes/workgroup (compile time only)
; SGPRBlocks: 2
; VGPRBlocks: 6
; NumSGPRsForWavesPerEU: 24
; NumVGPRsForWavesPerEU: 52
; Occupancy: 16
; WaveLimiterHint : 0
; COMPUTE_PGM_RSRC2:SCRATCH_EN: 0
; COMPUTE_PGM_RSRC2:USER_SGPR: 15
; COMPUTE_PGM_RSRC2:TRAP_HANDLER: 0
; COMPUTE_PGM_RSRC2:TGID_X_EN: 1
; COMPUTE_PGM_RSRC2:TGID_Y_EN: 0
; COMPUTE_PGM_RSRC2:TGID_Z_EN: 0
; COMPUTE_PGM_RSRC2:TIDIG_COMP_CNT: 0
	.section	.text._ZN2at6native12_GLOBAL__N_125multi_tensor_apply_kernelINS1_18TensorListMetadataILi2EEENS1_14UnaryOpFunctorIN3c108BFloat16ELi2ELi1ELi1EEEJNS0_4CoshIfEEEEEvT_T0_DpT1_,"axG",@progbits,_ZN2at6native12_GLOBAL__N_125multi_tensor_apply_kernelINS1_18TensorListMetadataILi2EEENS1_14UnaryOpFunctorIN3c108BFloat16ELi2ELi1ELi1EEEJNS0_4CoshIfEEEEEvT_T0_DpT1_,comdat
	.globl	_ZN2at6native12_GLOBAL__N_125multi_tensor_apply_kernelINS1_18TensorListMetadataILi2EEENS1_14UnaryOpFunctorIN3c108BFloat16ELi2ELi1ELi1EEEJNS0_4CoshIfEEEEEvT_T0_DpT1_ ; -- Begin function _ZN2at6native12_GLOBAL__N_125multi_tensor_apply_kernelINS1_18TensorListMetadataILi2EEENS1_14UnaryOpFunctorIN3c108BFloat16ELi2ELi1ELi1EEEJNS0_4CoshIfEEEEEvT_T0_DpT1_
	.p2align	8
	.type	_ZN2at6native12_GLOBAL__N_125multi_tensor_apply_kernelINS1_18TensorListMetadataILi2EEENS1_14UnaryOpFunctorIN3c108BFloat16ELi2ELi1ELi1EEEJNS0_4CoshIfEEEEEvT_T0_DpT1_,@function
_ZN2at6native12_GLOBAL__N_125multi_tensor_apply_kernelINS1_18TensorListMetadataILi2EEENS1_14UnaryOpFunctorIN3c108BFloat16ELi2ELi1ELi1EEEJNS0_4CoshIfEEEEEvT_T0_DpT1_: ; @_ZN2at6native12_GLOBAL__N_125multi_tensor_apply_kernelINS1_18TensorListMetadataILi2EEENS1_14UnaryOpFunctorIN3c108BFloat16ELi2ELi1ELi1EEEJNS0_4CoshIfEEEEEvT_T0_DpT1_
; %bb.0:
	v_mov_b32_e32 v1, s15
	s_add_u32 s2, s0, s15
	s_mul_hi_u32 s3, s15, 3
	s_mul_i32 s15, s15, 3
	s_addc_u32 s4, s1, 0
	global_load_u8 v1, v1, s[0:1] offset:1536
	s_add_u32 s2, s2, s15
	s_addc_u32 s3, s4, s3
	s_mov_b32 s7, 0
	s_load_b32 s2, s[2:3], 0x740
	s_mov_b32 s17, s7
	s_mov_b32 s11, s7
	s_waitcnt vmcnt(0)
	v_readfirstlane_b32 s5, v1
	s_delay_alu instid0(VALU_DEP_1)
	s_lshl_b32 s3, s5, 3
	s_clause 0x2
	s_load_b64 s[12:13], s[0:1], s3 offset:0x0
	s_load_b64 s[14:15], s[0:1], s3 offset:0x200
	;; [unrolled: 1-line block ×3, first 2 shown]
	s_waitcnt lgkmcnt(0)
	s_ashr_i32 s3, s2, 31
	s_delay_alu instid0(SALU_CYCLE_1) | instskip(SKIP_4) | instid1(SALU_CYCLE_1)
	s_lshl_b64 s[8:9], s[2:3], 17
	s_lshl_b64 s[2:3], s[2:3], 16
	s_and_b32 s6, s12, 7
	s_and_b32 s10, s14, 7
	;; [unrolled: 1-line block ×3, first 2 shown]
	s_or_b64 s[6:7], s[6:7], s[16:17]
	s_delay_alu instid0(SALU_CYCLE_1)
	s_or_b64 s[6:7], s[10:11], s[6:7]
	s_sub_u32 s10, s4, s2
	s_subb_u32 s11, s5, s3
	s_cmp_eq_u64 s[6:7], 0
	s_mov_b32 s2, -1
	s_cbranch_scc0 .LBB85_5
; %bb.1:
	v_dual_mov_b32 v2, 0 :: v_dual_lshlrev_b32 v1, 2, v0
	s_mov_b32 s7, exec_lo
	s_delay_alu instid0(VALU_DEP_1)
	v_cmpx_gt_i64_e64 s[10:11], v[1:2]
	s_cbranch_execz .LBB85_4
; %bb.2:
	s_load_b32 s2, s[0:1], 0xc5c
	v_lshlrev_b32_e32 v1, 3, v0
	s_mov_b32 s16, 0
	s_mov_b32 s19, 0x3ab42872
	s_delay_alu instid0(VALU_DEP_1) | instskip(NEXT) | instid1(VALU_DEP_1)
	v_add_co_u32 v5, s3, s8, v1
	v_add_co_ci_u32_e64 v6, null, s9, 0, s3
	s_waitcnt lgkmcnt(0)
	s_and_b32 s2, s2, 0xffff
	s_delay_alu instid0(SALU_CYCLE_1)
	v_add_lshl_u32 v1, v0, s2, 2
	s_lshl_b32 s17, s2, 3
	s_lshl_b32 s18, s2, 2
.LBB85_3:                               ; =>This Inner Loop Header: Depth=1
	v_add_co_u32 v3, vcc_lo, s12, v5
	v_add_co_ci_u32_e32 v4, vcc_lo, s13, v6, vcc_lo
	v_add_co_u32 v7, vcc_lo, s14, v5
	v_add_co_ci_u32_e32 v8, vcc_lo, s15, v6, vcc_lo
	global_load_b64 v[3:4], v[3:4], off
	v_cmp_le_i64_e32 vcc_lo, s[10:11], v[1:2]
	v_cmp_lt_u64_e64 s2, 0xffff, v[1:2]
	v_add_co_u32 v5, s3, v5, s17
	s_delay_alu instid0(VALU_DEP_1) | instskip(SKIP_1) | instid1(VALU_DEP_4)
	v_add_co_ci_u32_e64 v6, s3, 0, v6, s3
	v_add_co_u32 v1, s3, v1, s18
	s_or_b32 s2, vcc_lo, s2
	v_add_co_ci_u32_e64 v2, s3, 0, v2, s3
	s_and_b32 s2, exec_lo, s2
	s_delay_alu instid0(SALU_CYCLE_1)
	s_or_b32 s16, s2, s16
	s_waitcnt vmcnt(0)
	v_lshlrev_b32_e32 v9, 16, v3
	v_and_b32_e32 v10, 0xffff0000, v3
	v_alignbit_b32 v3, v4, v3, 16
	v_and_b32_e32 v4, 0xffff0000, v4
	s_delay_alu instid0(VALU_DEP_4) | instskip(NEXT) | instid1(VALU_DEP_4)
	v_add_f32_e64 v11, 0xbf317218, |v9|
	v_add_f32_e64 v12, 0xbf317218, |v10|
	s_delay_alu instid0(VALU_DEP_4) | instskip(NEXT) | instid1(VALU_DEP_4)
	v_and_b32_e32 v3, 0xffff0000, v3
	v_add_f32_e64 v13, 0xbf317218, |v4|
	s_delay_alu instid0(VALU_DEP_4) | instskip(NEXT) | instid1(VALU_DEP_4)
	v_sub_f32_e64 v14, v11, |v9|
	v_sub_f32_e64 v15, v12, |v10|
	s_delay_alu instid0(VALU_DEP_4) | instskip(NEXT) | instid1(VALU_DEP_4)
	v_add_f32_e64 v16, 0xbf317218, |v3|
	v_sub_f32_e64 v17, v13, |v4|
	s_delay_alu instid0(VALU_DEP_3) | instskip(NEXT) | instid1(VALU_DEP_3)
	v_dual_sub_f32 v18, v14, v11 :: v_dual_sub_f32 v19, v15, v12
	v_sub_f32_e64 v20, v16, |v3|
	v_dual_add_f32 v14, 0x3f317218, v14 :: v_dual_add_f32 v15, 0x3f317218, v15
	s_delay_alu instid0(VALU_DEP_4)
	v_sub_f32_e32 v21, v17, v13
	v_add_f32_e32 v17, 0x3f317218, v17
	v_add_f32_e64 v18, |v9|, v18
	v_add_f32_e64 v19, |v10|, v19
	v_sub_f32_e32 v22, v20, v16
	v_add_f32_e32 v20, 0x3f317218, v20
	v_add_f32_e64 v21, |v4|, v21
	s_delay_alu instid0(VALU_DEP_4) | instskip(NEXT) | instid1(VALU_DEP_4)
	v_dual_sub_f32 v14, v18, v14 :: v_dual_sub_f32 v15, v19, v15
	v_add_f32_e64 v18, |v3|, v22
	v_cmp_nlt_f32_e64 s4, 0x42b2d4fc, |v10|
	s_delay_alu instid0(VALU_DEP_3) | instskip(NEXT) | instid1(VALU_DEP_3)
	v_dual_sub_f32 v17, v21, v17 :: v_dual_add_f32 v14, 0x3102e308, v14
	v_dual_add_f32 v15, 0x3102e308, v15 :: v_dual_sub_f32 v18, v18, v20
	v_cmp_nlt_f32_e64 s6, 0x42b2d4fc, |v9|
	s_delay_alu instid0(VALU_DEP_3) | instskip(SKIP_1) | instid1(VALU_DEP_4)
	v_add_f32_e32 v17, 0x3102e308, v17
	v_cmp_nlt_f32_e64 s5, 0x42b2d4fc, |v4|
	v_dual_add_f32 v20, v12, v15 :: v_dual_add_f32 v19, v11, v14
	s_delay_alu instid0(VALU_DEP_3) | instskip(NEXT) | instid1(VALU_DEP_2)
	v_dual_add_f32 v18, 0x3102e308, v18 :: v_dual_add_f32 v21, v13, v17
	v_dual_sub_f32 v12, v12, v20 :: v_dual_sub_f32 v11, v11, v19
	s_delay_alu instid0(VALU_DEP_2) | instskip(SKIP_1) | instid1(VALU_DEP_3)
	v_add_f32_e32 v24, v16, v18
	v_dual_mul_f32 v22, 0x3fb8aa3b, v19 :: v_dual_mul_f32 v23, 0x3fb8aa3b, v20
	v_dual_sub_f32 v13, v13, v21 :: v_dual_add_f32 v12, v15, v12
	s_delay_alu instid0(VALU_DEP_3) | instskip(SKIP_1) | instid1(VALU_DEP_4)
	v_dual_mul_f32 v25, 0x3fb8aa3b, v21 :: v_dual_sub_f32 v16, v16, v24
	v_add_f32_e32 v11, v14, v11
	v_rndne_f32_e32 v14, v22
	v_mul_f32_e32 v22, 0x3fb8aa3b, v24
	v_rndne_f32_e32 v15, v23
	v_add_f32_e32 v13, v17, v13
	v_rndne_f32_e32 v17, v25
	v_dual_fmac_f32 v19, 0xbf317200, v14 :: v_dual_add_f32 v16, v18, v16
	s_delay_alu instid0(VALU_DEP_4) | instskip(SKIP_2) | instid1(VALU_DEP_3)
	v_fmac_f32_e32 v20, 0xbf317200, v15
	v_rndne_f32_e32 v18, v22
	v_dual_mul_f32 v23, 0x35bfbc00, v14 :: v_dual_mul_f32 v26, 0x35bfbc00, v15
	v_dual_mul_f32 v27, 0x2ea39ef3, v15 :: v_dual_add_f32 v30, v12, v20
	s_delay_alu instid0(VALU_DEP_3) | instskip(SKIP_2) | instid1(VALU_DEP_3)
	v_dual_fmac_f32 v21, 0xbf317200, v17 :: v_dual_fmac_f32 v24, 0xbf317200, v18
	v_dual_mul_f32 v22, 0x35bfbc00, v17 :: v_dual_add_f32 v29, v11, v19
	v_mul_f32_e32 v31, 0x35bfbc00, v18
	v_dual_mul_f32 v32, 0x2ea39ef3, v18 :: v_dual_add_f32 v33, v13, v21
	s_delay_alu instid0(VALU_DEP_3) | instskip(SKIP_1) | instid1(VALU_DEP_3)
	v_dual_sub_f32 v20, v20, v30 :: v_dual_sub_f32 v19, v19, v29
	v_dual_sub_f32 v34, v29, v23 :: v_dual_sub_f32 v35, v30, v26
	v_dual_add_f32 v36, v16, v24 :: v_dual_sub_f32 v21, v21, v33
	s_delay_alu instid0(VALU_DEP_3) | instskip(NEXT) | instid1(VALU_DEP_3)
	v_dual_add_f32 v12, v12, v20 :: v_dual_sub_f32 v37, v33, v22
	v_sub_f32_e32 v20, v30, v35
	s_delay_alu instid0(VALU_DEP_3) | instskip(SKIP_1) | instid1(VALU_DEP_3)
	v_dual_add_f32 v11, v11, v19 :: v_dual_sub_f32 v24, v24, v36
	v_sub_f32_e32 v19, v29, v34
	v_dual_add_f32 v13, v13, v21 :: v_dual_sub_f32 v20, v20, v26
	s_delay_alu instid0(VALU_DEP_3) | instskip(NEXT) | instid1(VALU_DEP_3)
	v_dual_sub_f32 v21, v33, v37 :: v_dual_add_f32 v16, v16, v24
	v_sub_f32_e32 v19, v19, v23
	v_dual_mul_f32 v25, 0x2ea39ef3, v14 :: v_dual_mul_f32 v28, 0x2ea39ef3, v17
	s_delay_alu instid0(VALU_DEP_4) | instskip(SKIP_1) | instid1(VALU_DEP_4)
	v_add_f32_e32 v12, v12, v20
	v_cvt_i32_f32_e32 v14, v14
	v_add_f32_e32 v11, v11, v19
	v_sub_f32_e32 v21, v21, v22
	v_cvt_i32_f32_e32 v18, v18
	v_cvt_i32_f32_e32 v15, v15
	;; [unrolled: 1-line block ×3, first 2 shown]
	v_add_f32_e32 v20, v34, v11
	v_sub_f32_e32 v29, v36, v31
	v_add_f32_e32 v13, v13, v21
	v_add_f32_e32 v21, v35, v12
	s_delay_alu instid0(VALU_DEP_3) | instskip(NEXT) | instid1(VALU_DEP_2)
	v_dual_sub_f32 v22, v34, v20 :: v_dual_sub_f32 v23, v36, v29
	v_sub_f32_e32 v26, v21, v27
	s_delay_alu instid0(VALU_DEP_2) | instskip(NEXT) | instid1(VALU_DEP_1)
	v_sub_f32_e32 v19, v23, v31
	v_add_f32_e32 v16, v16, v19
	s_delay_alu instid0(VALU_DEP_1) | instskip(NEXT) | instid1(VALU_DEP_1)
	v_dual_add_f32 v30, v29, v16 :: v_dual_sub_f32 v23, v20, v25
	v_dual_add_f32 v19, v37, v13 :: v_dual_sub_f32 v20, v20, v23
	v_dual_sub_f32 v24, v35, v21 :: v_dual_sub_f32 v21, v21, v26
	s_delay_alu instid0(VALU_DEP_2) | instskip(NEXT) | instid1(VALU_DEP_2)
	v_sub_f32_e32 v20, v20, v25
	v_add_f32_e32 v12, v12, v24
	s_delay_alu instid0(VALU_DEP_4) | instskip(NEXT) | instid1(VALU_DEP_4)
	v_dual_sub_f32 v24, v30, v32 :: v_dual_sub_f32 v31, v37, v19
	v_sub_f32_e32 v21, v21, v27
	v_add_f32_e32 v11, v11, v22
	v_dual_sub_f32 v22, v29, v30 :: v_dual_sub_f32 v33, v19, v28
	s_delay_alu instid0(VALU_DEP_3) | instskip(NEXT) | instid1(VALU_DEP_2)
	v_dual_add_f32 v13, v13, v31 :: v_dual_add_f32 v12, v12, v21
	v_dual_add_f32 v11, v11, v20 :: v_dual_add_f32 v16, v16, v22
	v_sub_f32_e32 v22, v30, v24
	s_delay_alu instid0(VALU_DEP_3) | instskip(NEXT) | instid1(VALU_DEP_2)
	v_add_f32_e32 v21, v26, v12
	v_dual_sub_f32 v20, v22, v32 :: v_dual_sub_f32 v19, v19, v33
	s_delay_alu instid0(VALU_DEP_1) | instskip(NEXT) | instid1(VALU_DEP_2)
	v_add_f32_e32 v16, v16, v20
	v_dual_sub_f32 v19, v19, v28 :: v_dual_mul_f32 v28, v21, v21
	s_delay_alu instid0(VALU_DEP_1) | instskip(SKIP_1) | instid1(VALU_DEP_1)
	v_add_f32_e32 v13, v13, v19
	v_add_f32_e32 v19, v23, v11
	v_fmaak_f32 v22, s19, v19, 0x3c091de6
	s_delay_alu instid0(VALU_DEP_1) | instskip(SKIP_3) | instid1(VALU_DEP_4)
	v_fmaak_f32 v22, v19, v22, 0x3d2aadcc
	v_sub_f32_e32 v26, v26, v21
	v_dual_add_f32 v20, v33, v13 :: v_dual_sub_f32 v23, v23, v19
	v_mul_f32_e32 v25, v19, v19
	v_dual_add_f32 v29, v24, v16 :: v_dual_fmaak_f32 v22, v19, v22, 0x3e2aaa47
	s_delay_alu instid0(VALU_DEP_3) | instskip(SKIP_1) | instid1(VALU_DEP_3)
	v_fmaak_f32 v30, s19, v20, 0x3c091de6
	v_dual_add_f32 v12, v12, v26 :: v_dual_fmaak_f32 v27, s19, v21, 0x3c091de6
	v_dual_sub_f32 v31, v33, v20 :: v_dual_sub_f32 v24, v24, v29
	v_dual_mul_f32 v32, v20, v20 :: v_dual_add_f32 v11, v11, v23
	v_mul_f32_e32 v34, v29, v29
	v_fmaak_f32 v30, v20, v30, 0x3d2aadcc
	v_dual_add_f32 v36, v12, v12 :: v_dual_fmaak_f32 v27, v21, v27, 0x3d2aadcc
	v_fma_f32 v23, v19, v19, -v25
	v_fma_f32 v26, v21, v21, -v28
	v_dual_fmaak_f32 v33, s19, v29, 0x3c091de6 :: v_dual_add_f32 v16, v16, v24
	v_dual_add_f32 v13, v13, v31 :: v_dual_fmaak_f32 v30, v20, v30, 0x3e2aaa47
	s_delay_alu instid0(VALU_DEP_3) | instskip(SKIP_2) | instid1(VALU_DEP_4)
	v_dual_add_f32 v35, v11, v11 :: v_dual_fmac_f32 v26, v21, v36
	v_fma_f32 v31, v20, v20, -v32
	v_fma_f32 v24, v29, v29, -v34
	v_dual_add_f32 v37, v13, v13 :: v_dual_fmaak_f32 v22, v19, v22, 0x3efffffc
	s_delay_alu instid0(VALU_DEP_4) | instskip(NEXT) | instid1(VALU_DEP_1)
	v_dual_fmac_f32 v23, v19, v35 :: v_dual_fmaak_f32 v30, v20, v30, 0x3efffffc
	v_dual_add_f32 v35, v16, v16 :: v_dual_add_f32 v36, v25, v23
	s_delay_alu instid0(VALU_DEP_1) | instskip(SKIP_1) | instid1(VALU_DEP_3)
	v_dual_fmac_f32 v31, v20, v37 :: v_dual_fmac_f32 v24, v29, v35
	v_fmaak_f32 v27, v21, v27, 0x3e2aaa47
	v_dual_fmaak_f32 v33, v29, v33, 0x3d2aadcc :: v_dual_mul_f32 v38, v22, v36
	s_delay_alu instid0(VALU_DEP_3) | instskip(NEXT) | instid1(VALU_DEP_4)
	v_dual_add_f32 v40, v34, v24 :: v_dual_add_f32 v37, v28, v26
	v_add_f32_e32 v35, v32, v31
	s_delay_alu instid0(VALU_DEP_2) | instskip(NEXT) | instid1(VALU_DEP_3)
	v_sub_f32_e32 v34, v40, v34
	v_sub_f32_e32 v28, v37, v28
	s_delay_alu instid0(VALU_DEP_3) | instskip(NEXT) | instid1(VALU_DEP_2)
	v_dual_fmaak_f32 v27, v21, v27, 0x3efffffc :: v_dual_sub_f32 v32, v35, v32
	v_dual_fmaak_f32 v33, v29, v33, 0x3e2aaa47 :: v_dual_sub_f32 v26, v26, v28
	v_sub_f32_e32 v25, v36, v25
	s_delay_alu instid0(VALU_DEP_3) | instskip(SKIP_1) | instid1(VALU_DEP_4)
	v_sub_f32_e32 v31, v31, v32
	v_mul_f32_e32 v41, v30, v35
	v_fmaak_f32 v33, v29, v33, 0x3efffffc
	s_delay_alu instid0(VALU_DEP_2) | instskip(NEXT) | instid1(VALU_DEP_1)
	v_fma_f32 v32, v35, v30, -v41
	v_fmac_f32_e32 v32, v31, v30
	v_sub_f32_e32 v23, v23, v25
	v_fma_f32 v25, v36, v22, -v38
	v_dual_mul_f32 v36, v33, v40 :: v_dual_mul_f32 v39, v27, v37
	s_delay_alu instid0(VALU_DEP_2) | instskip(SKIP_1) | instid1(VALU_DEP_3)
	v_fmac_f32_e32 v25, v23, v22
	v_sub_f32_e32 v22, v24, v34
	v_fma_f32 v28, v37, v27, -v39
	s_delay_alu instid0(VALU_DEP_4) | instskip(NEXT) | instid1(VALU_DEP_2)
	v_fma_f32 v23, v40, v33, -v36
	v_fmac_f32_e32 v28, v26, v27
	s_delay_alu instid0(VALU_DEP_2) | instskip(NEXT) | instid1(VALU_DEP_2)
	v_dual_fmac_f32 v23, v22, v33 :: v_dual_add_f32 v22, v41, v32
	v_add_f32_e32 v26, v39, v28
	s_delay_alu instid0(VALU_DEP_2) | instskip(NEXT) | instid1(VALU_DEP_3)
	v_add_f32_e32 v34, v36, v23
	v_dual_add_f32 v24, v38, v25 :: v_dual_add_f32 v37, v20, v22
	s_delay_alu instid0(VALU_DEP_3) | instskip(SKIP_1) | instid1(VALU_DEP_3)
	v_sub_f32_e32 v31, v26, v39
	v_add_f32_e32 v33, v21, v26
	v_dual_sub_f32 v27, v24, v38 :: v_dual_add_f32 v30, v19, v24
	s_delay_alu instid0(VALU_DEP_4) | instskip(NEXT) | instid1(VALU_DEP_2)
	v_sub_f32_e32 v20, v37, v20
	v_sub_f32_e32 v25, v25, v27
	v_sub_f32_e32 v27, v28, v31
	v_sub_f32_e32 v35, v22, v41
	v_sub_f32_e32 v28, v34, v36
	v_sub_f32_e32 v20, v22, v20
	s_delay_alu instid0(VALU_DEP_4) | instskip(NEXT) | instid1(VALU_DEP_3)
	v_dual_add_f32 v12, v12, v27 :: v_dual_sub_f32 v21, v33, v21
	v_dual_sub_f32 v32, v32, v35 :: v_dual_sub_f32 v23, v23, v28
	v_add_f32_e32 v31, v29, v34
	s_delay_alu instid0(VALU_DEP_3) | instskip(SKIP_1) | instid1(VALU_DEP_4)
	v_sub_f32_e32 v21, v26, v21
	v_sub_f32_e32 v19, v30, v19
	v_dual_add_f32 v16, v16, v23 :: v_dual_add_f32 v11, v11, v25
	s_delay_alu instid0(VALU_DEP_3) | instskip(NEXT) | instid1(VALU_DEP_3)
	v_dual_add_f32 v13, v13, v32 :: v_dual_add_f32 v12, v12, v21
	v_dual_sub_f32 v19, v24, v19 :: v_dual_sub_f32 v24, v31, v29
	s_delay_alu instid0(VALU_DEP_2) | instskip(NEXT) | instid1(VALU_DEP_2)
	v_add_f32_e32 v21, v33, v12
	v_add_f32_e32 v11, v11, v19
	s_delay_alu instid0(VALU_DEP_2) | instskip(SKIP_2) | instid1(VALU_DEP_3)
	v_dual_sub_f32 v19, v34, v24 :: v_dual_sub_f32 v24, v21, v33
	v_add_f32_e32 v25, 1.0, v21
	v_add_f32_e32 v13, v13, v20
	v_sub_f32_e32 v12, v12, v24
	s_delay_alu instid0(VALU_DEP_3) | instskip(SKIP_1) | instid1(VALU_DEP_1)
	v_add_f32_e32 v24, -1.0, v25
	v_add_f32_e32 v20, v30, v11
	v_dual_sub_f32 v22, v20, v30 :: v_dual_add_f32 v23, 1.0, v20
	s_delay_alu instid0(VALU_DEP_1) | instskip(SKIP_1) | instid1(VALU_DEP_2)
	v_dual_sub_f32 v11, v11, v22 :: v_dual_add_f32 v22, -1.0, v23
	v_dual_add_f32 v16, v16, v19 :: v_dual_add_f32 v19, v37, v13
	v_sub_f32_e32 v20, v20, v22
	s_delay_alu instid0(VALU_DEP_2) | instskip(NEXT) | instid1(VALU_DEP_3)
	v_add_f32_e32 v26, v31, v16
	v_add_f32_e32 v28, 1.0, v19
	s_delay_alu instid0(VALU_DEP_2) | instskip(NEXT) | instid1(VALU_DEP_1)
	v_dual_add_f32 v30, 1.0, v26 :: v_dual_sub_f32 v21, v21, v24
	v_dual_add_f32 v22, -1.0, v30 :: v_dual_sub_f32 v27, v19, v37
	s_delay_alu instid0(VALU_DEP_2) | instskip(NEXT) | instid1(VALU_DEP_2)
	v_dual_add_f32 v12, v12, v21 :: v_dual_add_f32 v11, v11, v20
	v_sub_f32_e32 v20, v26, v22
	v_sub_f32_e32 v29, v26, v31
	s_delay_alu instid0(VALU_DEP_1) | instskip(NEXT) | instid1(VALU_DEP_1)
	v_sub_f32_e32 v16, v16, v29
	v_dual_add_f32 v16, v16, v20 :: v_dual_sub_f32 v13, v13, v27
	v_add_f32_e32 v27, -1.0, v28
	s_delay_alu instid0(VALU_DEP_1) | instskip(NEXT) | instid1(VALU_DEP_1)
	v_dual_add_f32 v24, v30, v16 :: v_dual_sub_f32 v19, v19, v27
	v_sub_f32_e32 v26, v24, v30
	v_ldexp_f32 v24, v24, v18
	s_delay_alu instid0(VALU_DEP_3) | instskip(SKIP_1) | instid1(VALU_DEP_1)
	v_add_f32_e32 v13, v13, v19
	v_add_f32_e32 v19, v23, v11
	v_sub_f32_e32 v22, v19, v23
	v_ldexp_f32 v19, v19, v14
	v_add_f32_e32 v21, v25, v12
	s_delay_alu instid0(VALU_DEP_1) | instskip(NEXT) | instid1(VALU_DEP_1)
	v_sub_f32_e32 v23, v21, v25
	v_dual_sub_f32 v12, v12, v23 :: v_dual_sub_f32 v11, v11, v22
	s_delay_alu instid0(VALU_DEP_4) | instskip(NEXT) | instid1(VALU_DEP_1)
	v_rcp_f32_e32 v22, v19
	v_ldexp_f32 v12, v12, v15
	s_delay_alu instid0(VALU_DEP_2)
	v_ldexp_f32 v11, v11, v14
	v_sub_f32_e32 v14, v16, v26
	v_add_f32_e32 v20, v28, v13
	s_waitcnt_depctr 0xfff
	v_mul_f32_e32 v16, v19, v22
	v_ldexp_f32 v21, v21, v15
	v_rcp_f32_e32 v15, v24
	v_ldexp_f32 v14, v14, v18
	s_delay_alu instid0(VALU_DEP_3) | instskip(SKIP_3) | instid1(VALU_DEP_3)
	v_fma_f32 v26, v22, v19, -v16
	v_sub_f32_e32 v25, v20, v28
	v_ldexp_f32 v20, v20, v17
	v_rcp_f32_e32 v23, v21
	v_fmac_f32_e32 v26, v22, v11
	s_delay_alu instid0(TRANS32_DEP_2) | instskip(NEXT) | instid1(VALU_DEP_2)
	v_mul_f32_e32 v28, v24, v15
	v_add_f32_e32 v31, v16, v26
	s_delay_alu instid0(VALU_DEP_2) | instskip(SKIP_2) | instid1(VALU_DEP_3)
	v_fma_f32 v30, v15, v24, -v28
	v_sub_f32_e32 v13, v13, v25
	v_rcp_f32_e32 v25, v20
	v_sub_f32_e32 v16, v31, v16
	v_sub_f32_e32 v34, 1.0, v31
	v_fmac_f32_e32 v30, v15, v14
	v_ldexp_f32 v13, v13, v17
	s_delay_alu instid0(VALU_DEP_4) | instskip(NEXT) | instid1(VALU_DEP_4)
	v_dual_mul_f32 v17, v21, v23 :: v_dual_sub_f32 v16, v16, v26
	v_sub_f32_e32 v38, 1.0, v34
	s_delay_alu instid0(VALU_DEP_4) | instskip(NEXT) | instid1(TRANS32_DEP_1)
	v_add_f32_e32 v36, v28, v30
	v_mul_f32_e32 v18, v20, v25
	s_delay_alu instid0(VALU_DEP_4) | instskip(NEXT) | instid1(VALU_DEP_3)
	v_fma_f32 v27, v23, v21, -v17
	v_sub_f32_e32 v28, v36, v28
	s_delay_alu instid0(VALU_DEP_3) | instskip(NEXT) | instid1(VALU_DEP_2)
	v_fma_f32 v29, v25, v20, -v18
	v_dual_fmac_f32 v27, v23, v12 :: v_dual_sub_f32 v28, v28, v30
	s_delay_alu instid0(VALU_DEP_2) | instskip(NEXT) | instid1(VALU_DEP_1)
	v_fmac_f32_e32 v29, v25, v13
	v_dual_add_f32 v32, v17, v27 :: v_dual_add_f32 v33, v18, v29
	s_delay_alu instid0(VALU_DEP_1) | instskip(NEXT) | instid1(VALU_DEP_1)
	v_dual_sub_f32 v35, 1.0, v32 :: v_dual_sub_f32 v18, v33, v18
	v_dual_sub_f32 v37, 1.0, v33 :: v_dual_sub_f32 v26, 1.0, v35
	v_sub_f32_e32 v17, v32, v17
	s_delay_alu instid0(VALU_DEP_3) | instskip(NEXT) | instid1(VALU_DEP_3)
	v_sub_f32_e32 v18, v18, v29
	v_dual_sub_f32 v39, 1.0, v37 :: v_dual_sub_f32 v26, v26, v32
	s_delay_alu instid0(VALU_DEP_3) | instskip(SKIP_1) | instid1(VALU_DEP_3)
	v_sub_f32_e32 v17, v17, v27
	v_sub_f32_e32 v27, 1.0, v36
	v_dual_sub_f32 v29, v38, v31 :: v_dual_sub_f32 v30, v39, v33
	s_delay_alu instid0(VALU_DEP_1) | instskip(NEXT) | instid1(VALU_DEP_4)
	v_dual_sub_f32 v31, 1.0, v27 :: v_dual_add_f32 v16, v16, v29
	v_add_f32_e32 v17, v17, v26
	s_delay_alu instid0(VALU_DEP_3) | instskip(NEXT) | instid1(VALU_DEP_3)
	v_add_f32_e32 v18, v18, v30
	v_sub_f32_e32 v26, v31, v36
	s_delay_alu instid0(VALU_DEP_3) | instskip(NEXT) | instid1(VALU_DEP_1)
	v_dual_add_f32 v29, v34, v16 :: v_dual_add_f32 v30, v35, v17
	v_dual_add_f32 v26, v28, v26 :: v_dual_mul_f32 v31, v22, v29
	s_delay_alu instid0(VALU_DEP_2) | instskip(SKIP_1) | instid1(VALU_DEP_3)
	v_dual_sub_f32 v32, v34, v29 :: v_dual_mul_f32 v33, v23, v30
	v_sub_f32_e32 v34, v35, v30
	v_add_f32_e32 v35, v27, v26
	v_add_f32_e32 v28, v37, v18
	s_delay_alu instid0(VALU_DEP_4) | instskip(NEXT) | instid1(VALU_DEP_4)
	v_dual_mul_f32 v39, v21, v33 :: v_dual_mul_f32 v38, v19, v31
	v_add_f32_e32 v17, v17, v34
	s_delay_alu instid0(VALU_DEP_3) | instskip(SKIP_1) | instid1(VALU_DEP_4)
	v_dual_sub_f32 v27, v27, v35 :: v_dual_mul_f32 v36, v25, v28
	v_dual_sub_f32 v37, v37, v28 :: v_dual_add_f32 v34, v23, v33
	v_fma_f32 v42, v31, v19, -v38
	v_fma_f32 v44, v33, v21, -v39
	s_delay_alu instid0(VALU_DEP_3)
	v_dual_mul_f32 v41, v20, v36 :: v_dual_add_f32 v18, v18, v37
	v_add_f32_e32 v37, v25, v36
	v_dual_add_f32 v16, v16, v32 :: v_dual_sub_f32 v45, v34, v23
	v_add_f32_e32 v32, v22, v31
	v_mul_f32_e32 v40, v15, v35
	v_add_f32_e32 v26, v26, v27
	v_fma_f32 v47, v36, v20, -v41
	s_delay_alu instid0(VALU_DEP_4) | instskip(NEXT) | instid1(VALU_DEP_4)
	v_dual_fmac_f32 v42, v31, v11 :: v_dual_sub_f32 v43, v32, v22
	v_mul_f32_e32 v46, v24, v40
	v_dual_add_f32 v27, v15, v40 :: v_dual_sub_f32 v48, v37, v25
	s_delay_alu instid0(VALU_DEP_4) | instskip(NEXT) | instid1(VALU_DEP_4)
	v_fmac_f32_e32 v47, v36, v13
	v_sub_f32_e32 v31, v31, v43
	s_delay_alu instid0(VALU_DEP_4) | instskip(SKIP_3) | instid1(VALU_DEP_4)
	v_fma_f32 v43, v40, v24, -v46
	v_fmac_f32_e32 v44, v33, v12
	v_sub_f32_e32 v33, v33, v45
	v_dual_sub_f32 v45, v27, v15 :: v_dual_sub_f32 v36, v36, v48
	v_fmac_f32_e32 v43, v40, v14
	s_delay_alu instid0(VALU_DEP_4) | instskip(NEXT) | instid1(VALU_DEP_3)
	v_dual_add_f32 v48, v38, v42 :: v_dual_add_f32 v49, v39, v44
	v_dual_sub_f32 v40, v40, v45 :: v_dual_add_f32 v45, v41, v47
	s_delay_alu instid0(VALU_DEP_3) | instskip(NEXT) | instid1(VALU_DEP_3)
	v_add_f32_e32 v52, v46, v43
	v_dual_sub_f32 v38, v48, v38 :: v_dual_sub_f32 v51, v30, v49
	s_delay_alu instid0(VALU_DEP_3) | instskip(SKIP_1) | instid1(VALU_DEP_3)
	v_dual_sub_f32 v50, v29, v48 :: v_dual_sub_f32 v53, v28, v45
	v_sub_f32_e32 v39, v49, v39
	v_dual_sub_f32 v41, v45, v41 :: v_dual_sub_f32 v30, v30, v51
	s_delay_alu instid0(VALU_DEP_3) | instskip(NEXT) | instid1(VALU_DEP_3)
	v_sub_f32_e32 v29, v29, v50
	v_dual_sub_f32 v38, v38, v42 :: v_dual_sub_f32 v39, v39, v44
	s_delay_alu instid0(VALU_DEP_3) | instskip(NEXT) | instid1(VALU_DEP_4)
	v_dual_sub_f32 v42, v52, v46 :: v_dual_sub_f32 v41, v41, v47
	v_sub_f32_e32 v30, v30, v49
	v_sub_f32_e32 v44, v35, v52
	v_dual_sub_f32 v28, v28, v53 :: v_dual_sub_f32 v29, v29, v48
	s_delay_alu instid0(VALU_DEP_3) | instskip(NEXT) | instid1(VALU_DEP_3)
	v_add_f32_e32 v17, v17, v30
	v_dual_sub_f32 v35, v35, v44 :: v_dual_sub_f32 v42, v42, v43
	s_delay_alu instid0(VALU_DEP_3) | instskip(NEXT) | instid1(VALU_DEP_3)
	v_add_f32_e32 v16, v16, v29
	v_add_f32_e32 v17, v39, v17
	s_delay_alu instid0(VALU_DEP_3) | instskip(NEXT) | instid1(VALU_DEP_2)
	v_sub_f32_e32 v29, v35, v52
	v_dual_add_f32 v16, v38, v16 :: v_dual_add_f32 v17, v51, v17
	s_delay_alu instid0(VALU_DEP_2) | instskip(NEXT) | instid1(VALU_DEP_2)
	v_add_f32_e32 v26, v26, v29
	v_dual_add_f32 v16, v50, v16 :: v_dual_mul_f32 v17, v23, v17
	s_delay_alu instid0(VALU_DEP_2) | instskip(NEXT) | instid1(VALU_DEP_2)
	v_add_f32_e32 v26, v42, v26
	v_dual_mul_f32 v16, v22, v16 :: v_dual_add_f32 v17, v33, v17
	s_delay_alu instid0(VALU_DEP_2) | instskip(SKIP_1) | instid1(VALU_DEP_3)
	v_add_f32_e32 v22, v44, v26
	v_sub_f32_e32 v28, v28, v45
	v_add_f32_e32 v23, v34, v17
	s_delay_alu instid0(VALU_DEP_2) | instskip(NEXT) | instid1(VALU_DEP_1)
	v_dual_mul_f32 v15, v15, v22 :: v_dual_add_f32 v18, v18, v28
	v_dual_sub_f32 v28, v23, v34 :: v_dual_add_f32 v15, v40, v15
	s_delay_alu instid0(VALU_DEP_2) | instskip(SKIP_1) | instid1(VALU_DEP_3)
	v_add_f32_e32 v18, v41, v18
	v_ldexp_f32 v23, v23, -2
	v_sub_f32_e32 v17, v17, v28
	s_delay_alu instid0(VALU_DEP_3) | instskip(NEXT) | instid1(VALU_DEP_3)
	v_dual_add_f32 v29, v27, v15 :: v_dual_add_f32 v18, v53, v18
	v_add_f32_e32 v28, v21, v23
	s_delay_alu instid0(VALU_DEP_3) | instskip(NEXT) | instid1(VALU_DEP_3)
	v_ldexp_f32 v17, v17, -2
	v_dual_sub_f32 v27, v29, v27 :: v_dual_add_f32 v16, v31, v16
	s_delay_alu instid0(VALU_DEP_3) | instskip(SKIP_1) | instid1(VALU_DEP_3)
	v_sub_f32_e32 v21, v28, v21
	v_ldexp_f32 v29, v29, -2
	v_dual_add_f32 v12, v12, v17 :: v_dual_sub_f32 v15, v15, v27
	s_delay_alu instid0(VALU_DEP_4) | instskip(NEXT) | instid1(VALU_DEP_3)
	v_add_f32_e32 v22, v32, v16
	v_add_f32_e32 v27, v24, v29
	s_delay_alu instid0(VALU_DEP_3) | instskip(NEXT) | instid1(VALU_DEP_3)
	v_ldexp_f32 v15, v15, -2
	v_sub_f32_e32 v26, v22, v32
	v_ldexp_f32 v22, v22, -2
	s_delay_alu instid0(VALU_DEP_3) | instskip(NEXT) | instid1(VALU_DEP_3)
	v_dual_sub_f32 v17, v27, v24 :: v_dual_add_f32 v14, v14, v15
	v_sub_f32_e32 v16, v16, v26
	s_delay_alu instid0(VALU_DEP_3) | instskip(SKIP_1) | instid1(VALU_DEP_3)
	v_add_f32_e32 v26, v19, v22
	v_mul_f32_e32 v18, v25, v18
	v_ldexp_f32 v16, v16, -2
	s_delay_alu instid0(VALU_DEP_2) | instskip(NEXT) | instid1(VALU_DEP_2)
	v_dual_sub_f32 v19, v26, v19 :: v_dual_add_f32 v18, v36, v18
	v_add_f32_e32 v11, v11, v16
	s_delay_alu instid0(VALU_DEP_2) | instskip(NEXT) | instid1(VALU_DEP_3)
	v_sub_f32_e32 v19, v22, v19
	v_dual_add_f32 v25, v37, v18 :: v_dual_sub_f32 v16, v23, v21
	s_delay_alu instid0(VALU_DEP_1) | instskip(SKIP_1) | instid1(VALU_DEP_3)
	v_dual_add_f32 v11, v11, v19 :: v_dual_sub_f32 v30, v25, v37
	v_ldexp_f32 v25, v25, -2
	v_add_f32_e32 v12, v12, v16
	v_sub_f32_e32 v16, v29, v17
	s_delay_alu instid0(VALU_DEP_4) | instskip(NEXT) | instid1(VALU_DEP_4)
	v_sub_f32_e32 v18, v18, v30
	v_add_f32_e32 v30, v20, v25
	s_delay_alu instid0(VALU_DEP_3) | instskip(NEXT) | instid1(VALU_DEP_3)
	v_add_f32_e32 v10, v14, v16
	v_ldexp_f32 v18, v18, -2
	s_delay_alu instid0(VALU_DEP_2) | instskip(NEXT) | instid1(VALU_DEP_2)
	v_dual_sub_f32 v20, v30, v20 :: v_dual_add_f32 v9, v27, v10
	v_add_f32_e32 v13, v13, v18
	s_delay_alu instid0(VALU_DEP_2) | instskip(NEXT) | instid1(VALU_DEP_1)
	v_sub_f32_e32 v20, v25, v20
	v_add_f32_e32 v13, v13, v20
	v_add_f32_e32 v11, v26, v11
	s_delay_alu instid0(VALU_DEP_2) | instskip(NEXT) | instid1(VALU_DEP_2)
	v_dual_add_f32 v13, v30, v13 :: v_dual_add_f32 v12, v28, v12
	v_cndmask_b32_e64 v4, 0x7f800000, v11, s6
	s_delay_alu instid0(VALU_DEP_2) | instskip(NEXT) | instid1(VALU_DEP_3)
	v_cndmask_b32_e64 v11, 0x7f800000, v13, s5
	v_cndmask_b32_e64 v10, 0x7f800000, v12, s4
	v_cmp_nlt_f32_e64 s4, 0x42b2d4fc, |v3|
	s_delay_alu instid0(VALU_DEP_4) | instskip(NEXT) | instid1(VALU_DEP_4)
	v_bfe_u32 v3, v4, 16, 1
	v_bfe_u32 v13, v11, 16, 1
	s_delay_alu instid0(VALU_DEP_4) | instskip(NEXT) | instid1(VALU_DEP_4)
	v_bfe_u32 v12, v10, 16, 1
	v_cndmask_b32_e64 v9, 0x7f800000, v9, s4
	s_delay_alu instid0(VALU_DEP_4)
	v_add3_u32 v3, v4, v3, 0x7fff
	v_cmp_o_f32_e64 s4, v4, v4
	v_add3_u32 v13, v11, v13, 0x7fff
	v_add3_u32 v12, v10, v12, 0x7fff
	v_bfe_u32 v14, v9, 16, 1
	v_lshrrev_b32_e32 v3, 16, v3
	v_cmp_o_f32_e64 s5, v10, v10
	v_and_b32_e32 v13, 0xffff0000, v13
	v_and_b32_e32 v12, 0xffff0000, v12
	v_add3_u32 v14, v9, v14, 0x7fff
	v_cndmask_b32_e64 v3, 0x7fc0, v3, s4
	v_cmp_o_f32_e64 s4, v11, v11
	s_delay_alu instid0(VALU_DEP_4) | instskip(NEXT) | instid1(VALU_DEP_4)
	v_cndmask_b32_e64 v10, 0x7fc00000, v12, s5
	v_lshrrev_b32_e32 v4, 16, v14
	s_delay_alu instid0(VALU_DEP_3) | instskip(SKIP_1) | instid1(VALU_DEP_4)
	v_cndmask_b32_e64 v11, 0x7fc00000, v13, s4
	v_cmp_o_f32_e64 s4, v9, v9
	v_or_b32_e32 v3, v3, v10
	s_delay_alu instid0(VALU_DEP_2) | instskip(NEXT) | instid1(VALU_DEP_2)
	v_cndmask_b32_e64 v4, 0x7fc0, v4, s4
	v_or3_b32 v3, v3, 0, 0
	s_delay_alu instid0(VALU_DEP_2)
	v_or3_b32 v4, 0, v4, v11
	global_store_b64 v[7:8], v[3:4], off
	s_and_not1_b32 exec_lo, exec_lo, s16
	s_cbranch_execnz .LBB85_3
.LBB85_4:
	s_or_b32 exec_lo, exec_lo, s7
	s_mov_b32 s2, 0
.LBB85_5:
	s_delay_alu instid0(SALU_CYCLE_1)
	s_and_not1_b32 vcc_lo, exec_lo, s2
	s_cbranch_vccnz .LBB85_25
; %bb.6:
	v_cmp_lt_i64_e64 s2, s[10:11], 1
	s_delay_alu instid0(VALU_DEP_1)
	s_and_b32 vcc_lo, exec_lo, s2
	s_cbranch_vccnz .LBB85_25
; %bb.7:
	s_load_b32 s0, s[0:1], 0xc5c
	v_dual_mov_b32 v10, 0 :: v_dual_lshlrev_b32 v9, 1, v0
	v_cmp_gt_u64_e64 s1, 0x10000, s[10:11]
	s_mov_b64 s[6:7], 0
	s_delay_alu instid0(VALU_DEP_2) | instskip(NEXT) | instid1(VALU_DEP_1)
	v_add_co_u32 v1, s2, s12, v9
	v_add_co_ci_u32_e64 v2, null, s13, 0, s2
	v_add_co_u32 v3, s2, s14, v9
	s_delay_alu instid0(VALU_DEP_1)
	v_add_co_ci_u32_e64 v4, null, s15, 0, s2
	s_waitcnt lgkmcnt(0)
	s_and_b32 s0, s0, 0xffff
	s_and_b32 s1, s1, exec_lo
	v_mad_u64_u32 v[7:8], null, s0, 6, v[9:10]
	s_cselect_b32 s5, s11, 0
	s_cselect_b32 s4, s10, 0x10000
	s_mul_i32 s2, s0, 3
	s_lshl_b32 s16, s0, 2
	s_lshl_b32 s1, s0, 1
	v_add_co_u32 v14, s3, s16, v9
	v_add_co_u32 v9, s2, s2, v0
	s_delay_alu instid0(VALU_DEP_1) | instskip(SKIP_3) | instid1(VALU_DEP_3)
	v_add_co_ci_u32_e64 v10, null, 0, 0, s2
	v_add_co_u32 v13, s2, v0, s0
	v_add_co_u32 v5, vcc_lo, s12, v7
	v_add_co_ci_u32_e32 v6, vcc_lo, s13, v8, vcc_lo
	v_lshlrev_b32_e32 v21, 1, v13
	v_add_co_u32 v7, vcc_lo, s14, v7
	v_add_co_ci_u32_e64 v15, null, 0, 0, s3
	v_add_co_ci_u32_e32 v8, vcc_lo, s15, v8, vcc_lo
	v_add_co_u32 v17, s1, s1, v0
	v_add_co_u32 v11, vcc_lo, s12, v14
	v_add_co_ci_u32_e64 v18, null, 0, 0, s1
	v_add_co_u32 v19, s1, s12, v21
	v_add_co_ci_u32_e32 v12, vcc_lo, s13, v15, vcc_lo
	v_add_co_u32 v14, vcc_lo, s14, v14
	v_add_co_ci_u32_e64 v20, null, s13, 0, s1
	v_add_co_u32 v21, s1, s14, v21
	v_add_co_ci_u32_e32 v15, vcc_lo, s15, v15, vcc_lo
	v_add_co_ci_u32_e64 v16, null, 0, 0, s2
	v_add_co_ci_u32_e64 v22, null, s15, 0, s1
	s_lshl_b32 s12, s0, 3
	s_mov_b32 s13, 0x3ab42872
	s_branch .LBB85_9
.LBB85_8:                               ;   in Loop: Header=BB85_9 Depth=1
	s_or_b32 exec_lo, exec_lo, s0
	v_add_co_u32 v1, vcc_lo, v1, s12
	v_add_co_ci_u32_e32 v2, vcc_lo, 0, v2, vcc_lo
	v_add_co_u32 v3, vcc_lo, v3, s12
	v_add_co_ci_u32_e32 v4, vcc_lo, 0, v4, vcc_lo
	;; [unrolled: 2-line block ×5, first 2 shown]
	s_add_u32 s6, s6, s16
	v_add_co_u32 v14, vcc_lo, v14, s12
	s_addc_u32 s7, s7, 0
	v_add_co_ci_u32_e32 v15, vcc_lo, 0, v15, vcc_lo
	v_cmp_ge_i64_e64 s0, s[6:7], s[10:11]
	v_cmp_lt_u64_e64 s1, 0xffff, s[6:7]
	v_add_co_u32 v19, vcc_lo, v19, s12
	v_add_co_ci_u32_e32 v20, vcc_lo, 0, v20, vcc_lo
	v_add_co_u32 v21, vcc_lo, v21, s12
	v_add_co_ci_u32_e32 v22, vcc_lo, 0, v22, vcc_lo
	s_or_b32 s0, s0, s1
	s_delay_alu instid0(SALU_CYCLE_1)
	s_and_b32 vcc_lo, exec_lo, s0
	s_cbranch_vccnz .LBB85_25
.LBB85_9:                               ; =>This Inner Loop Header: Depth=1
	s_waitcnt vmcnt(0)
	v_add_co_u32 v23, s0, v0, s6
	s_delay_alu instid0(VALU_DEP_1) | instskip(SKIP_1) | instid1(VALU_DEP_2)
	v_add_co_ci_u32_e64 v24, null, 0, s7, s0
	v_mov_b32_e32 v26, 0
	v_cmp_gt_u64_e64 s2, s[4:5], v[23:24]
	s_delay_alu instid0(VALU_DEP_1)
	s_and_saveexec_b32 s0, s2
	s_cbranch_execz .LBB85_11
; %bb.10:                               ;   in Loop: Header=BB85_9 Depth=1
	v_add_co_u32 v23, vcc_lo, v1, s8
	v_add_co_ci_u32_e32 v24, vcc_lo, s9, v2, vcc_lo
	global_load_u16 v26, v[23:24], off
.LBB85_11:                              ;   in Loop: Header=BB85_9 Depth=1
	s_or_b32 exec_lo, exec_lo, s0
	v_add_co_u32 v23, vcc_lo, v13, s6
	v_add_co_ci_u32_e32 v24, vcc_lo, s7, v16, vcc_lo
	v_mov_b32_e32 v25, 0
	s_delay_alu instid0(VALU_DEP_2) | instskip(NEXT) | instid1(VALU_DEP_1)
	v_cmp_gt_u64_e64 s1, s[4:5], v[23:24]
	s_and_saveexec_b32 s0, s1
	s_cbranch_execz .LBB85_13
; %bb.12:                               ;   in Loop: Header=BB85_9 Depth=1
	v_add_co_u32 v23, vcc_lo, v19, s8
	v_add_co_ci_u32_e32 v24, vcc_lo, s9, v20, vcc_lo
	global_load_u16 v25, v[23:24], off
.LBB85_13:                              ;   in Loop: Header=BB85_9 Depth=1
	s_or_b32 exec_lo, exec_lo, s0
	v_add_co_u32 v23, vcc_lo, v17, s6
	v_add_co_ci_u32_e32 v24, vcc_lo, s7, v18, vcc_lo
	s_delay_alu instid0(VALU_DEP_1) | instskip(SKIP_1) | instid1(VALU_DEP_2)
	v_cmp_gt_u64_e64 s0, s[4:5], v[23:24]
	v_dual_mov_b32 v23, 0 :: v_dual_mov_b32 v24, 0
	s_and_saveexec_b32 s3, s0
	s_cbranch_execz .LBB85_15
; %bb.14:                               ;   in Loop: Header=BB85_9 Depth=1
	v_add_co_u32 v27, vcc_lo, v11, s8
	v_add_co_ci_u32_e32 v28, vcc_lo, s9, v12, vcc_lo
	global_load_u16 v24, v[27:28], off
.LBB85_15:                              ;   in Loop: Header=BB85_9 Depth=1
	s_or_b32 exec_lo, exec_lo, s3
	v_add_co_u32 v27, vcc_lo, v9, s6
	v_add_co_ci_u32_e32 v28, vcc_lo, s7, v10, vcc_lo
	s_delay_alu instid0(VALU_DEP_1)
	v_cmp_gt_u64_e32 vcc_lo, s[4:5], v[27:28]
	s_and_saveexec_b32 s14, vcc_lo
	s_cbranch_execnz .LBB85_20
; %bb.16:                               ;   in Loop: Header=BB85_9 Depth=1
	s_or_b32 exec_lo, exec_lo, s14
	s_and_saveexec_b32 s3, s2
	s_cbranch_execnz .LBB85_21
.LBB85_17:                              ;   in Loop: Header=BB85_9 Depth=1
	s_or_b32 exec_lo, exec_lo, s3
	s_and_saveexec_b32 s2, s1
	s_cbranch_execnz .LBB85_22
.LBB85_18:                              ;   in Loop: Header=BB85_9 Depth=1
	s_or_b32 exec_lo, exec_lo, s2
	s_and_saveexec_b32 s1, s0
	s_cbranch_execnz .LBB85_23
.LBB85_19:                              ;   in Loop: Header=BB85_9 Depth=1
	s_or_b32 exec_lo, exec_lo, s1
	s_and_saveexec_b32 s0, vcc_lo
	s_cbranch_execz .LBB85_8
	s_branch .LBB85_24
.LBB85_20:                              ;   in Loop: Header=BB85_9 Depth=1
	v_add_co_u32 v27, s3, v5, s8
	s_delay_alu instid0(VALU_DEP_1)
	v_add_co_ci_u32_e64 v28, s3, s9, v6, s3
	global_load_u16 v23, v[27:28], off
	s_or_b32 exec_lo, exec_lo, s14
	s_and_saveexec_b32 s3, s2
	s_cbranch_execz .LBB85_17
.LBB85_21:                              ;   in Loop: Header=BB85_9 Depth=1
	s_waitcnt vmcnt(0)
	v_lshlrev_b32_e32 v26, 16, v26
	s_delay_alu instid0(VALU_DEP_1) | instskip(NEXT) | instid1(VALU_DEP_1)
	v_add_f32_e64 v27, 0xbf317218, |v26|
	v_sub_f32_e64 v28, v27, |v26|
	s_delay_alu instid0(VALU_DEP_1) | instskip(SKIP_1) | instid1(VALU_DEP_2)
	v_dual_sub_f32 v29, v28, v27 :: v_dual_add_f32 v28, 0x3f317218, v28
	v_cmp_nlt_f32_e64 s2, 0x42b2d4fc, |v26|
	v_add_f32_e64 v29, |v26|, v29
	s_delay_alu instid0(VALU_DEP_1) | instskip(NEXT) | instid1(VALU_DEP_1)
	v_sub_f32_e32 v28, v29, v28
	v_add_f32_e32 v28, 0x3102e308, v28
	s_delay_alu instid0(VALU_DEP_1) | instskip(NEXT) | instid1(VALU_DEP_1)
	v_add_f32_e32 v29, v27, v28
	v_sub_f32_e32 v27, v27, v29
	s_delay_alu instid0(VALU_DEP_1) | instskip(NEXT) | instid1(VALU_DEP_1)
	v_dual_mul_f32 v30, 0x3fb8aa3b, v29 :: v_dual_add_f32 v27, v28, v27
	v_rndne_f32_e32 v30, v30
	s_delay_alu instid0(VALU_DEP_1) | instskip(SKIP_1) | instid1(VALU_DEP_1)
	v_mul_f32_e32 v28, 0x35bfbc00, v30
	v_fmac_f32_e32 v29, 0xbf317200, v30
	v_add_f32_e32 v31, v27, v29
	s_delay_alu instid0(VALU_DEP_1) | instskip(NEXT) | instid1(VALU_DEP_1)
	v_dual_sub_f32 v32, v31, v28 :: v_dual_sub_f32 v29, v29, v31
	v_sub_f32_e32 v31, v31, v32
	s_delay_alu instid0(VALU_DEP_2) | instskip(NEXT) | instid1(VALU_DEP_2)
	v_add_f32_e32 v27, v27, v29
	v_sub_f32_e32 v28, v31, v28
	s_delay_alu instid0(VALU_DEP_1) | instskip(NEXT) | instid1(VALU_DEP_1)
	v_dual_add_f32 v27, v27, v28 :: v_dual_mul_f32 v28, 0x2ea39ef3, v30
	v_add_f32_e32 v29, v32, v27
	s_delay_alu instid0(VALU_DEP_1) | instskip(NEXT) | instid1(VALU_DEP_1)
	v_dual_sub_f32 v32, v32, v29 :: v_dual_sub_f32 v31, v29, v28
	v_add_f32_e32 v27, v27, v32
	s_delay_alu instid0(VALU_DEP_2) | instskip(NEXT) | instid1(VALU_DEP_1)
	v_sub_f32_e32 v29, v29, v31
	v_sub_f32_e32 v28, v29, v28
	s_delay_alu instid0(VALU_DEP_1) | instskip(NEXT) | instid1(VALU_DEP_1)
	v_add_f32_e32 v27, v27, v28
	v_add_f32_e32 v28, v31, v27
	s_delay_alu instid0(VALU_DEP_1) | instskip(SKIP_1) | instid1(VALU_DEP_2)
	v_sub_f32_e32 v29, v31, v28
	v_mul_f32_e32 v31, v28, v28
	v_add_f32_e32 v27, v27, v29
	v_fmaak_f32 v29, s13, v28, 0x3c091de6
	s_delay_alu instid0(VALU_DEP_3) | instskip(NEXT) | instid1(VALU_DEP_3)
	v_fma_f32 v32, v28, v28, -v31
	v_add_f32_e32 v33, v27, v27
	s_delay_alu instid0(VALU_DEP_3) | instskip(NEXT) | instid1(VALU_DEP_2)
	v_fmaak_f32 v29, v28, v29, 0x3d2aadcc
	v_fmac_f32_e32 v32, v28, v33
	s_delay_alu instid0(VALU_DEP_2) | instskip(NEXT) | instid1(VALU_DEP_2)
	v_fmaak_f32 v29, v28, v29, 0x3e2aaa47
	v_add_f32_e32 v33, v31, v32
	s_delay_alu instid0(VALU_DEP_2) | instskip(NEXT) | instid1(VALU_DEP_2)
	v_fmaak_f32 v29, v28, v29, 0x3efffffc
	v_sub_f32_e32 v31, v33, v31
	s_delay_alu instid0(VALU_DEP_1) | instskip(NEXT) | instid1(VALU_DEP_1)
	v_dual_mul_f32 v34, v29, v33 :: v_dual_sub_f32 v31, v32, v31
	v_fma_f32 v32, v33, v29, -v34
	s_delay_alu instid0(VALU_DEP_1) | instskip(NEXT) | instid1(VALU_DEP_1)
	v_fmac_f32_e32 v32, v31, v29
	v_add_f32_e32 v29, v34, v32
	s_delay_alu instid0(VALU_DEP_1) | instskip(SKIP_1) | instid1(VALU_DEP_1)
	v_sub_f32_e32 v31, v29, v34
	v_add_f32_e32 v33, v28, v29
	v_dual_sub_f32 v31, v32, v31 :: v_dual_sub_f32 v28, v33, v28
	s_delay_alu instid0(VALU_DEP_1) | instskip(NEXT) | instid1(VALU_DEP_1)
	v_dual_add_f32 v27, v27, v31 :: v_dual_sub_f32 v28, v29, v28
	v_add_f32_e32 v27, v27, v28
	s_delay_alu instid0(VALU_DEP_1) | instskip(NEXT) | instid1(VALU_DEP_1)
	v_add_f32_e32 v28, v33, v27
	v_add_f32_e32 v29, 1.0, v28
	v_sub_f32_e32 v31, v28, v33
	s_delay_alu instid0(VALU_DEP_1) | instskip(NEXT) | instid1(VALU_DEP_1)
	v_dual_add_f32 v32, -1.0, v29 :: v_dual_sub_f32 v27, v27, v31
	v_sub_f32_e32 v28, v28, v32
	s_delay_alu instid0(VALU_DEP_1) | instskip(SKIP_1) | instid1(VALU_DEP_2)
	v_add_f32_e32 v27, v27, v28
	v_cvt_i32_f32_e32 v28, v30
	v_add_f32_e32 v30, v29, v27
	s_delay_alu instid0(VALU_DEP_1) | instskip(NEXT) | instid1(VALU_DEP_1)
	v_ldexp_f32 v31, v30, v28
	v_rcp_f32_e32 v32, v31
	v_sub_f32_e32 v29, v30, v29
	s_delay_alu instid0(VALU_DEP_1) | instskip(SKIP_3) | instid1(VALU_DEP_2)
	v_sub_f32_e32 v27, v27, v29
	s_waitcnt_depctr 0xfff
	v_mul_f32_e32 v29, v31, v32
	v_ldexp_f32 v27, v27, v28
	v_fma_f32 v28, v32, v31, -v29
	s_delay_alu instid0(VALU_DEP_1) | instskip(NEXT) | instid1(VALU_DEP_1)
	v_fmac_f32_e32 v28, v32, v27
	v_add_f32_e32 v30, v29, v28
	s_delay_alu instid0(VALU_DEP_1) | instskip(SKIP_1) | instid1(VALU_DEP_2)
	v_sub_f32_e32 v33, 1.0, v30
	v_sub_f32_e32 v29, v30, v29
	v_sub_f32_e32 v34, 1.0, v33
	s_delay_alu instid0(VALU_DEP_1) | instskip(NEXT) | instid1(VALU_DEP_1)
	v_dual_sub_f32 v28, v29, v28 :: v_dual_sub_f32 v29, v34, v30
	v_add_f32_e32 v28, v28, v29
	s_delay_alu instid0(VALU_DEP_1) | instskip(NEXT) | instid1(VALU_DEP_1)
	v_add_f32_e32 v29, v33, v28
	v_mul_f32_e32 v30, v32, v29
	s_delay_alu instid0(VALU_DEP_1) | instskip(NEXT) | instid1(VALU_DEP_1)
	v_dual_sub_f32 v33, v33, v29 :: v_dual_mul_f32 v34, v31, v30
	v_add_f32_e32 v28, v28, v33
	s_delay_alu instid0(VALU_DEP_2) | instskip(NEXT) | instid1(VALU_DEP_1)
	v_fma_f32 v35, v30, v31, -v34
	v_fmac_f32_e32 v35, v30, v27
	s_delay_alu instid0(VALU_DEP_1) | instskip(NEXT) | instid1(VALU_DEP_1)
	v_add_f32_e32 v36, v34, v35
	v_sub_f32_e32 v37, v29, v36
	v_sub_f32_e32 v33, v36, v34
	s_delay_alu instid0(VALU_DEP_2) | instskip(NEXT) | instid1(VALU_DEP_2)
	v_sub_f32_e32 v29, v29, v37
	v_sub_f32_e32 v33, v33, v35
	s_delay_alu instid0(VALU_DEP_2) | instskip(NEXT) | instid1(VALU_DEP_1)
	v_sub_f32_e32 v29, v29, v36
	v_add_f32_e32 v28, v28, v29
	s_delay_alu instid0(VALU_DEP_1) | instskip(NEXT) | instid1(VALU_DEP_1)
	v_dual_add_f32 v29, v32, v30 :: v_dual_add_f32 v28, v33, v28
	v_sub_f32_e32 v33, v29, v32
	s_delay_alu instid0(VALU_DEP_2) | instskip(NEXT) | instid1(VALU_DEP_2)
	v_add_f32_e32 v28, v37, v28
	v_sub_f32_e32 v30, v30, v33
	s_delay_alu instid0(VALU_DEP_2) | instskip(NEXT) | instid1(VALU_DEP_1)
	v_mul_f32_e32 v28, v32, v28
	v_add_f32_e32 v28, v30, v28
	s_delay_alu instid0(VALU_DEP_1) | instskip(NEXT) | instid1(VALU_DEP_1)
	v_add_f32_e32 v30, v29, v28
	v_sub_f32_e32 v29, v30, v29
	v_ldexp_f32 v30, v30, -2
	s_delay_alu instid0(VALU_DEP_1) | instskip(NEXT) | instid1(VALU_DEP_1)
	v_dual_sub_f32 v28, v28, v29 :: v_dual_add_f32 v29, v31, v30
	v_ldexp_f32 v28, v28, -2
	s_delay_alu instid0(VALU_DEP_2) | instskip(NEXT) | instid1(VALU_DEP_1)
	v_sub_f32_e32 v31, v29, v31
	v_dual_add_f32 v27, v27, v28 :: v_dual_sub_f32 v28, v30, v31
	s_delay_alu instid0(VALU_DEP_1) | instskip(NEXT) | instid1(VALU_DEP_1)
	v_add_f32_e32 v27, v27, v28
	v_add_f32_e32 v27, v29, v27
	s_delay_alu instid0(VALU_DEP_1) | instskip(NEXT) | instid1(VALU_DEP_1)
	v_cndmask_b32_e64 v26, 0x7f800000, v27, s2
	v_bfe_u32 v27, v26, 16, 1
	v_cmp_o_f32_e64 s2, v26, v26
	s_delay_alu instid0(VALU_DEP_2) | instskip(NEXT) | instid1(VALU_DEP_1)
	v_add3_u32 v27, v26, v27, 0x7fff
	v_lshrrev_b32_e32 v27, 16, v27
	s_delay_alu instid0(VALU_DEP_1) | instskip(SKIP_1) | instid1(VALU_DEP_1)
	v_cndmask_b32_e64 v28, 0x7fc0, v27, s2
	v_add_co_u32 v26, s2, v3, s8
	v_add_co_ci_u32_e64 v27, s2, s9, v4, s2
	global_store_b16 v[26:27], v28, off
	s_or_b32 exec_lo, exec_lo, s3
	s_and_saveexec_b32 s2, s1
	s_cbranch_execz .LBB85_18
.LBB85_22:                              ;   in Loop: Header=BB85_9 Depth=1
	s_waitcnt vmcnt(0)
	v_lshlrev_b32_e32 v25, 16, v25
	s_delay_alu instid0(VALU_DEP_1) | instskip(NEXT) | instid1(VALU_DEP_1)
	v_add_f32_e64 v26, 0xbf317218, |v25|
	v_sub_f32_e64 v27, v26, |v25|
	s_delay_alu instid0(VALU_DEP_1) | instskip(SKIP_1) | instid1(VALU_DEP_2)
	v_dual_sub_f32 v28, v27, v26 :: v_dual_add_f32 v27, 0x3f317218, v27
	v_cmp_nlt_f32_e64 s1, 0x42b2d4fc, |v25|
	v_add_f32_e64 v28, |v25|, v28
	s_delay_alu instid0(VALU_DEP_1) | instskip(NEXT) | instid1(VALU_DEP_1)
	v_sub_f32_e32 v27, v28, v27
	v_add_f32_e32 v27, 0x3102e308, v27
	s_delay_alu instid0(VALU_DEP_1) | instskip(NEXT) | instid1(VALU_DEP_1)
	v_add_f32_e32 v28, v26, v27
	v_sub_f32_e32 v26, v26, v28
	s_delay_alu instid0(VALU_DEP_1) | instskip(NEXT) | instid1(VALU_DEP_1)
	v_dual_mul_f32 v29, 0x3fb8aa3b, v28 :: v_dual_add_f32 v26, v27, v26
	v_rndne_f32_e32 v29, v29
	s_delay_alu instid0(VALU_DEP_1) | instskip(SKIP_1) | instid1(VALU_DEP_1)
	v_mul_f32_e32 v27, 0x35bfbc00, v29
	v_fmac_f32_e32 v28, 0xbf317200, v29
	v_add_f32_e32 v30, v26, v28
	s_delay_alu instid0(VALU_DEP_1) | instskip(NEXT) | instid1(VALU_DEP_1)
	v_dual_sub_f32 v31, v30, v27 :: v_dual_sub_f32 v28, v28, v30
	v_sub_f32_e32 v30, v30, v31
	s_delay_alu instid0(VALU_DEP_2) | instskip(NEXT) | instid1(VALU_DEP_2)
	v_add_f32_e32 v26, v26, v28
	v_sub_f32_e32 v27, v30, v27
	s_delay_alu instid0(VALU_DEP_1) | instskip(NEXT) | instid1(VALU_DEP_1)
	v_dual_add_f32 v26, v26, v27 :: v_dual_mul_f32 v27, 0x2ea39ef3, v29
	v_add_f32_e32 v28, v31, v26
	s_delay_alu instid0(VALU_DEP_1) | instskip(NEXT) | instid1(VALU_DEP_1)
	v_dual_sub_f32 v31, v31, v28 :: v_dual_sub_f32 v30, v28, v27
	v_add_f32_e32 v26, v26, v31
	s_delay_alu instid0(VALU_DEP_2) | instskip(NEXT) | instid1(VALU_DEP_1)
	v_sub_f32_e32 v28, v28, v30
	v_sub_f32_e32 v27, v28, v27
	s_delay_alu instid0(VALU_DEP_1) | instskip(NEXT) | instid1(VALU_DEP_1)
	v_add_f32_e32 v26, v26, v27
	v_add_f32_e32 v27, v30, v26
	s_delay_alu instid0(VALU_DEP_1) | instskip(SKIP_1) | instid1(VALU_DEP_2)
	v_sub_f32_e32 v28, v30, v27
	v_mul_f32_e32 v30, v27, v27
	v_add_f32_e32 v26, v26, v28
	v_fmaak_f32 v28, s13, v27, 0x3c091de6
	s_delay_alu instid0(VALU_DEP_3) | instskip(NEXT) | instid1(VALU_DEP_3)
	v_fma_f32 v31, v27, v27, -v30
	v_add_f32_e32 v32, v26, v26
	s_delay_alu instid0(VALU_DEP_3) | instskip(NEXT) | instid1(VALU_DEP_2)
	v_fmaak_f32 v28, v27, v28, 0x3d2aadcc
	v_fmac_f32_e32 v31, v27, v32
	s_delay_alu instid0(VALU_DEP_2) | instskip(NEXT) | instid1(VALU_DEP_2)
	v_fmaak_f32 v28, v27, v28, 0x3e2aaa47
	v_add_f32_e32 v32, v30, v31
	s_delay_alu instid0(VALU_DEP_2) | instskip(NEXT) | instid1(VALU_DEP_2)
	v_fmaak_f32 v28, v27, v28, 0x3efffffc
	v_sub_f32_e32 v30, v32, v30
	s_delay_alu instid0(VALU_DEP_1) | instskip(NEXT) | instid1(VALU_DEP_1)
	v_dual_mul_f32 v33, v28, v32 :: v_dual_sub_f32 v30, v31, v30
	v_fma_f32 v31, v32, v28, -v33
	s_delay_alu instid0(VALU_DEP_1) | instskip(NEXT) | instid1(VALU_DEP_1)
	v_fmac_f32_e32 v31, v30, v28
	v_add_f32_e32 v28, v33, v31
	s_delay_alu instid0(VALU_DEP_1) | instskip(SKIP_1) | instid1(VALU_DEP_2)
	v_sub_f32_e32 v32, v28, v33
	v_add_f32_e32 v30, v27, v28
	v_sub_f32_e32 v31, v31, v32
	s_delay_alu instid0(VALU_DEP_2) | instskip(NEXT) | instid1(VALU_DEP_1)
	v_sub_f32_e32 v27, v30, v27
	v_sub_f32_e32 v27, v28, v27
	s_delay_alu instid0(VALU_DEP_3) | instskip(NEXT) | instid1(VALU_DEP_1)
	v_add_f32_e32 v26, v26, v31
	v_add_f32_e32 v26, v26, v27
	s_delay_alu instid0(VALU_DEP_1) | instskip(NEXT) | instid1(VALU_DEP_1)
	v_add_f32_e32 v27, v30, v26
	v_add_f32_e32 v28, 1.0, v27
	s_delay_alu instid0(VALU_DEP_1) | instskip(NEXT) | instid1(VALU_DEP_1)
	v_dual_sub_f32 v30, v27, v30 :: v_dual_add_f32 v31, -1.0, v28
	v_dual_sub_f32 v26, v26, v30 :: v_dual_sub_f32 v27, v27, v31
	s_delay_alu instid0(VALU_DEP_1) | instskip(SKIP_1) | instid1(VALU_DEP_2)
	v_add_f32_e32 v26, v26, v27
	v_cvt_i32_f32_e32 v27, v29
	v_add_f32_e32 v29, v28, v26
	s_delay_alu instid0(VALU_DEP_1) | instskip(NEXT) | instid1(VALU_DEP_1)
	v_ldexp_f32 v30, v29, v27
	v_rcp_f32_e32 v31, v30
	v_sub_f32_e32 v28, v29, v28
	s_delay_alu instid0(VALU_DEP_1) | instskip(SKIP_3) | instid1(VALU_DEP_2)
	v_sub_f32_e32 v26, v26, v28
	s_waitcnt_depctr 0xfff
	v_mul_f32_e32 v28, v30, v31
	v_ldexp_f32 v26, v26, v27
	v_fma_f32 v27, v31, v30, -v28
	s_delay_alu instid0(VALU_DEP_1) | instskip(NEXT) | instid1(VALU_DEP_1)
	v_fmac_f32_e32 v27, v31, v26
	v_add_f32_e32 v29, v28, v27
	s_delay_alu instid0(VALU_DEP_1) | instskip(SKIP_1) | instid1(VALU_DEP_2)
	v_sub_f32_e32 v32, 1.0, v29
	v_sub_f32_e32 v28, v29, v28
	v_sub_f32_e32 v33, 1.0, v32
	s_delay_alu instid0(VALU_DEP_1) | instskip(NEXT) | instid1(VALU_DEP_1)
	v_dual_sub_f32 v27, v28, v27 :: v_dual_sub_f32 v28, v33, v29
	v_add_f32_e32 v27, v27, v28
	s_delay_alu instid0(VALU_DEP_1) | instskip(NEXT) | instid1(VALU_DEP_1)
	v_add_f32_e32 v28, v32, v27
	v_mul_f32_e32 v29, v31, v28
	s_delay_alu instid0(VALU_DEP_1) | instskip(NEXT) | instid1(VALU_DEP_1)
	v_dual_sub_f32 v32, v32, v28 :: v_dual_mul_f32 v33, v30, v29
	v_add_f32_e32 v27, v27, v32
	s_delay_alu instid0(VALU_DEP_2) | instskip(NEXT) | instid1(VALU_DEP_1)
	v_fma_f32 v34, v29, v30, -v33
	v_fmac_f32_e32 v34, v29, v26
	s_delay_alu instid0(VALU_DEP_1) | instskip(NEXT) | instid1(VALU_DEP_1)
	v_add_f32_e32 v35, v33, v34
	v_sub_f32_e32 v36, v28, v35
	v_sub_f32_e32 v32, v35, v33
	s_delay_alu instid0(VALU_DEP_2) | instskip(NEXT) | instid1(VALU_DEP_2)
	v_sub_f32_e32 v28, v28, v36
	v_sub_f32_e32 v32, v32, v34
	s_delay_alu instid0(VALU_DEP_2) | instskip(NEXT) | instid1(VALU_DEP_1)
	v_sub_f32_e32 v28, v28, v35
	v_add_f32_e32 v27, v27, v28
	s_delay_alu instid0(VALU_DEP_1) | instskip(NEXT) | instid1(VALU_DEP_1)
	v_dual_add_f32 v28, v31, v29 :: v_dual_add_f32 v27, v32, v27
	v_sub_f32_e32 v32, v28, v31
	s_delay_alu instid0(VALU_DEP_2) | instskip(NEXT) | instid1(VALU_DEP_2)
	v_add_f32_e32 v27, v36, v27
	v_sub_f32_e32 v29, v29, v32
	s_delay_alu instid0(VALU_DEP_2) | instskip(NEXT) | instid1(VALU_DEP_1)
	v_mul_f32_e32 v27, v31, v27
	v_add_f32_e32 v27, v29, v27
	s_delay_alu instid0(VALU_DEP_1) | instskip(NEXT) | instid1(VALU_DEP_1)
	v_add_f32_e32 v29, v28, v27
	v_ldexp_f32 v31, v29, -2
	s_delay_alu instid0(VALU_DEP_1) | instskip(NEXT) | instid1(VALU_DEP_1)
	v_dual_sub_f32 v28, v29, v28 :: v_dual_add_f32 v29, v30, v31
	v_dual_sub_f32 v27, v27, v28 :: v_dual_sub_f32 v28, v29, v30
	s_delay_alu instid0(VALU_DEP_1) | instskip(NEXT) | instid1(VALU_DEP_2)
	v_ldexp_f32 v27, v27, -2
	v_sub_f32_e32 v28, v31, v28
	s_delay_alu instid0(VALU_DEP_2) | instskip(NEXT) | instid1(VALU_DEP_1)
	v_add_f32_e32 v26, v26, v27
	v_add_f32_e32 v26, v26, v28
	s_delay_alu instid0(VALU_DEP_1) | instskip(NEXT) | instid1(VALU_DEP_1)
	v_add_f32_e32 v26, v29, v26
	v_cndmask_b32_e64 v25, 0x7f800000, v26, s1
	s_delay_alu instid0(VALU_DEP_1) | instskip(SKIP_1) | instid1(VALU_DEP_2)
	v_bfe_u32 v26, v25, 16, 1
	v_cmp_o_f32_e64 s1, v25, v25
	v_add3_u32 v26, v25, v26, 0x7fff
	s_delay_alu instid0(VALU_DEP_1) | instskip(NEXT) | instid1(VALU_DEP_1)
	v_lshrrev_b32_e32 v26, 16, v26
	v_cndmask_b32_e64 v27, 0x7fc0, v26, s1
	v_add_co_u32 v25, s1, v21, s8
	s_delay_alu instid0(VALU_DEP_1)
	v_add_co_ci_u32_e64 v26, s1, s9, v22, s1
	global_store_b16 v[25:26], v27, off
	s_or_b32 exec_lo, exec_lo, s2
	s_and_saveexec_b32 s1, s0
	s_cbranch_execz .LBB85_19
.LBB85_23:                              ;   in Loop: Header=BB85_9 Depth=1
	s_waitcnt vmcnt(0)
	v_lshlrev_b32_e32 v24, 16, v24
	s_delay_alu instid0(VALU_DEP_1) | instskip(NEXT) | instid1(VALU_DEP_1)
	v_add_f32_e64 v25, 0xbf317218, |v24|
	v_sub_f32_e64 v26, v25, |v24|
	s_delay_alu instid0(VALU_DEP_1) | instskip(SKIP_1) | instid1(VALU_DEP_2)
	v_dual_sub_f32 v27, v26, v25 :: v_dual_add_f32 v26, 0x3f317218, v26
	v_cmp_nlt_f32_e64 s0, 0x42b2d4fc, |v24|
	v_add_f32_e64 v27, |v24|, v27
	s_delay_alu instid0(VALU_DEP_1) | instskip(NEXT) | instid1(VALU_DEP_1)
	v_sub_f32_e32 v26, v27, v26
	v_add_f32_e32 v26, 0x3102e308, v26
	s_delay_alu instid0(VALU_DEP_1) | instskip(NEXT) | instid1(VALU_DEP_1)
	v_add_f32_e32 v27, v25, v26
	v_sub_f32_e32 v25, v25, v27
	s_delay_alu instid0(VALU_DEP_1) | instskip(NEXT) | instid1(VALU_DEP_1)
	v_dual_mul_f32 v28, 0x3fb8aa3b, v27 :: v_dual_add_f32 v25, v26, v25
	v_rndne_f32_e32 v28, v28
	s_delay_alu instid0(VALU_DEP_1) | instskip(SKIP_1) | instid1(VALU_DEP_1)
	v_mul_f32_e32 v26, 0x35bfbc00, v28
	v_fmac_f32_e32 v27, 0xbf317200, v28
	v_add_f32_e32 v29, v25, v27
	s_delay_alu instid0(VALU_DEP_1) | instskip(NEXT) | instid1(VALU_DEP_1)
	v_dual_sub_f32 v30, v29, v26 :: v_dual_sub_f32 v27, v27, v29
	v_sub_f32_e32 v29, v29, v30
	s_delay_alu instid0(VALU_DEP_2) | instskip(NEXT) | instid1(VALU_DEP_2)
	v_add_f32_e32 v25, v25, v27
	v_sub_f32_e32 v26, v29, v26
	s_delay_alu instid0(VALU_DEP_1) | instskip(NEXT) | instid1(VALU_DEP_1)
	v_dual_add_f32 v25, v25, v26 :: v_dual_mul_f32 v26, 0x2ea39ef3, v28
	v_add_f32_e32 v27, v30, v25
	s_delay_alu instid0(VALU_DEP_1) | instskip(NEXT) | instid1(VALU_DEP_1)
	v_dual_sub_f32 v30, v30, v27 :: v_dual_sub_f32 v29, v27, v26
	v_add_f32_e32 v25, v25, v30
	s_delay_alu instid0(VALU_DEP_2) | instskip(NEXT) | instid1(VALU_DEP_1)
	v_sub_f32_e32 v27, v27, v29
	v_sub_f32_e32 v26, v27, v26
	s_delay_alu instid0(VALU_DEP_1) | instskip(NEXT) | instid1(VALU_DEP_1)
	v_add_f32_e32 v25, v25, v26
	v_add_f32_e32 v26, v29, v25
	s_delay_alu instid0(VALU_DEP_1) | instskip(SKIP_1) | instid1(VALU_DEP_2)
	v_sub_f32_e32 v27, v29, v26
	v_mul_f32_e32 v29, v26, v26
	v_add_f32_e32 v25, v25, v27
	v_fmaak_f32 v27, s13, v26, 0x3c091de6
	s_delay_alu instid0(VALU_DEP_3) | instskip(NEXT) | instid1(VALU_DEP_3)
	v_fma_f32 v30, v26, v26, -v29
	v_add_f32_e32 v31, v25, v25
	s_delay_alu instid0(VALU_DEP_3) | instskip(NEXT) | instid1(VALU_DEP_2)
	v_fmaak_f32 v27, v26, v27, 0x3d2aadcc
	v_fmac_f32_e32 v30, v26, v31
	s_delay_alu instid0(VALU_DEP_2) | instskip(NEXT) | instid1(VALU_DEP_2)
	v_fmaak_f32 v27, v26, v27, 0x3e2aaa47
	v_add_f32_e32 v31, v29, v30
	s_delay_alu instid0(VALU_DEP_2) | instskip(NEXT) | instid1(VALU_DEP_2)
	v_fmaak_f32 v27, v26, v27, 0x3efffffc
	v_sub_f32_e32 v29, v31, v29
	s_delay_alu instid0(VALU_DEP_1) | instskip(NEXT) | instid1(VALU_DEP_1)
	v_dual_mul_f32 v32, v27, v31 :: v_dual_sub_f32 v29, v30, v29
	v_fma_f32 v30, v31, v27, -v32
	s_delay_alu instid0(VALU_DEP_1) | instskip(NEXT) | instid1(VALU_DEP_1)
	v_fmac_f32_e32 v30, v29, v27
	v_add_f32_e32 v27, v32, v30
	s_delay_alu instid0(VALU_DEP_1) | instskip(SKIP_1) | instid1(VALU_DEP_2)
	v_sub_f32_e32 v31, v27, v32
	v_add_f32_e32 v29, v26, v27
	v_sub_f32_e32 v30, v30, v31
	s_delay_alu instid0(VALU_DEP_2) | instskip(NEXT) | instid1(VALU_DEP_1)
	v_sub_f32_e32 v26, v29, v26
	v_sub_f32_e32 v26, v27, v26
	s_delay_alu instid0(VALU_DEP_3) | instskip(NEXT) | instid1(VALU_DEP_1)
	v_add_f32_e32 v25, v25, v30
	v_add_f32_e32 v25, v25, v26
	s_delay_alu instid0(VALU_DEP_1) | instskip(NEXT) | instid1(VALU_DEP_1)
	v_add_f32_e32 v26, v29, v25
	v_add_f32_e32 v27, 1.0, v26
	s_delay_alu instid0(VALU_DEP_1) | instskip(NEXT) | instid1(VALU_DEP_1)
	v_dual_sub_f32 v29, v26, v29 :: v_dual_add_f32 v30, -1.0, v27
	v_dual_sub_f32 v25, v25, v29 :: v_dual_sub_f32 v26, v26, v30
	s_delay_alu instid0(VALU_DEP_1) | instskip(SKIP_1) | instid1(VALU_DEP_2)
	v_add_f32_e32 v25, v25, v26
	v_cvt_i32_f32_e32 v26, v28
	v_add_f32_e32 v28, v27, v25
	s_delay_alu instid0(VALU_DEP_1) | instskip(NEXT) | instid1(VALU_DEP_1)
	v_ldexp_f32 v29, v28, v26
	v_rcp_f32_e32 v30, v29
	v_sub_f32_e32 v27, v28, v27
	s_delay_alu instid0(VALU_DEP_1) | instskip(SKIP_3) | instid1(VALU_DEP_2)
	v_sub_f32_e32 v25, v25, v27
	s_waitcnt_depctr 0xfff
	v_mul_f32_e32 v27, v29, v30
	v_ldexp_f32 v25, v25, v26
	v_fma_f32 v26, v30, v29, -v27
	s_delay_alu instid0(VALU_DEP_1) | instskip(NEXT) | instid1(VALU_DEP_1)
	v_fmac_f32_e32 v26, v30, v25
	v_add_f32_e32 v28, v27, v26
	s_delay_alu instid0(VALU_DEP_1) | instskip(SKIP_1) | instid1(VALU_DEP_2)
	v_sub_f32_e32 v31, 1.0, v28
	v_sub_f32_e32 v27, v28, v27
	v_sub_f32_e32 v32, 1.0, v31
	s_delay_alu instid0(VALU_DEP_1) | instskip(NEXT) | instid1(VALU_DEP_1)
	v_dual_sub_f32 v26, v27, v26 :: v_dual_sub_f32 v27, v32, v28
	v_add_f32_e32 v26, v26, v27
	s_delay_alu instid0(VALU_DEP_1) | instskip(NEXT) | instid1(VALU_DEP_1)
	v_add_f32_e32 v27, v31, v26
	v_mul_f32_e32 v28, v30, v27
	s_delay_alu instid0(VALU_DEP_1) | instskip(NEXT) | instid1(VALU_DEP_1)
	v_dual_sub_f32 v31, v31, v27 :: v_dual_mul_f32 v32, v29, v28
	v_add_f32_e32 v26, v26, v31
	s_delay_alu instid0(VALU_DEP_2) | instskip(NEXT) | instid1(VALU_DEP_1)
	v_fma_f32 v33, v28, v29, -v32
	v_fmac_f32_e32 v33, v28, v25
	s_delay_alu instid0(VALU_DEP_1) | instskip(NEXT) | instid1(VALU_DEP_1)
	v_add_f32_e32 v34, v32, v33
	v_sub_f32_e32 v35, v27, v34
	v_sub_f32_e32 v31, v34, v32
	s_delay_alu instid0(VALU_DEP_2) | instskip(NEXT) | instid1(VALU_DEP_2)
	v_sub_f32_e32 v27, v27, v35
	v_sub_f32_e32 v31, v31, v33
	s_delay_alu instid0(VALU_DEP_2) | instskip(NEXT) | instid1(VALU_DEP_1)
	v_sub_f32_e32 v27, v27, v34
	v_add_f32_e32 v26, v26, v27
	s_delay_alu instid0(VALU_DEP_1) | instskip(NEXT) | instid1(VALU_DEP_1)
	v_dual_add_f32 v27, v30, v28 :: v_dual_add_f32 v26, v31, v26
	v_sub_f32_e32 v31, v27, v30
	s_delay_alu instid0(VALU_DEP_2) | instskip(NEXT) | instid1(VALU_DEP_2)
	v_add_f32_e32 v26, v35, v26
	v_sub_f32_e32 v28, v28, v31
	s_delay_alu instid0(VALU_DEP_2) | instskip(NEXT) | instid1(VALU_DEP_1)
	v_mul_f32_e32 v26, v30, v26
	v_add_f32_e32 v26, v28, v26
	s_delay_alu instid0(VALU_DEP_1) | instskip(NEXT) | instid1(VALU_DEP_1)
	v_add_f32_e32 v28, v27, v26
	v_ldexp_f32 v30, v28, -2
	s_delay_alu instid0(VALU_DEP_1) | instskip(NEXT) | instid1(VALU_DEP_1)
	v_dual_sub_f32 v27, v28, v27 :: v_dual_add_f32 v28, v29, v30
	v_dual_sub_f32 v26, v26, v27 :: v_dual_sub_f32 v27, v28, v29
	s_delay_alu instid0(VALU_DEP_1) | instskip(NEXT) | instid1(VALU_DEP_2)
	v_ldexp_f32 v26, v26, -2
	v_sub_f32_e32 v27, v30, v27
	s_delay_alu instid0(VALU_DEP_2) | instskip(NEXT) | instid1(VALU_DEP_1)
	v_add_f32_e32 v25, v25, v26
	v_add_f32_e32 v25, v25, v27
	s_delay_alu instid0(VALU_DEP_1) | instskip(NEXT) | instid1(VALU_DEP_1)
	v_add_f32_e32 v25, v28, v25
	v_cndmask_b32_e64 v24, 0x7f800000, v25, s0
	s_delay_alu instid0(VALU_DEP_1) | instskip(SKIP_1) | instid1(VALU_DEP_2)
	v_bfe_u32 v25, v24, 16, 1
	v_cmp_o_f32_e64 s0, v24, v24
	v_add3_u32 v25, v24, v25, 0x7fff
	s_delay_alu instid0(VALU_DEP_1) | instskip(NEXT) | instid1(VALU_DEP_1)
	v_lshrrev_b32_e32 v25, 16, v25
	v_cndmask_b32_e64 v26, 0x7fc0, v25, s0
	v_add_co_u32 v24, s0, v14, s8
	s_delay_alu instid0(VALU_DEP_1)
	v_add_co_ci_u32_e64 v25, s0, s9, v15, s0
	global_store_b16 v[24:25], v26, off
	s_or_b32 exec_lo, exec_lo, s1
	s_and_saveexec_b32 s0, vcc_lo
	s_cbranch_execz .LBB85_8
.LBB85_24:                              ;   in Loop: Header=BB85_9 Depth=1
	s_waitcnt vmcnt(0)
	v_lshlrev_b32_e32 v23, 16, v23
	s_delay_alu instid0(VALU_DEP_1) | instskip(NEXT) | instid1(VALU_DEP_1)
	v_add_f32_e64 v24, 0xbf317218, |v23|
	v_sub_f32_e64 v25, v24, |v23|
	s_delay_alu instid0(VALU_DEP_1) | instskip(SKIP_1) | instid1(VALU_DEP_2)
	v_dual_sub_f32 v26, v25, v24 :: v_dual_add_f32 v25, 0x3f317218, v25
	v_cmp_nlt_f32_e64 vcc_lo, 0x42b2d4fc, |v23|
	v_add_f32_e64 v26, |v23|, v26
	s_delay_alu instid0(VALU_DEP_1) | instskip(NEXT) | instid1(VALU_DEP_1)
	v_sub_f32_e32 v25, v26, v25
	v_add_f32_e32 v25, 0x3102e308, v25
	s_delay_alu instid0(VALU_DEP_1) | instskip(NEXT) | instid1(VALU_DEP_1)
	v_add_f32_e32 v26, v24, v25
	v_sub_f32_e32 v24, v24, v26
	s_delay_alu instid0(VALU_DEP_1) | instskip(NEXT) | instid1(VALU_DEP_1)
	v_dual_mul_f32 v27, 0x3fb8aa3b, v26 :: v_dual_add_f32 v24, v25, v24
	v_rndne_f32_e32 v27, v27
	s_delay_alu instid0(VALU_DEP_1) | instskip(SKIP_1) | instid1(VALU_DEP_1)
	v_mul_f32_e32 v25, 0x35bfbc00, v27
	v_fmac_f32_e32 v26, 0xbf317200, v27
	v_add_f32_e32 v28, v24, v26
	s_delay_alu instid0(VALU_DEP_1) | instskip(NEXT) | instid1(VALU_DEP_1)
	v_dual_sub_f32 v29, v28, v25 :: v_dual_sub_f32 v26, v26, v28
	v_sub_f32_e32 v28, v28, v29
	s_delay_alu instid0(VALU_DEP_2) | instskip(NEXT) | instid1(VALU_DEP_2)
	v_add_f32_e32 v24, v24, v26
	v_sub_f32_e32 v25, v28, v25
	s_delay_alu instid0(VALU_DEP_1) | instskip(NEXT) | instid1(VALU_DEP_1)
	v_dual_add_f32 v24, v24, v25 :: v_dual_mul_f32 v25, 0x2ea39ef3, v27
	v_add_f32_e32 v26, v29, v24
	s_delay_alu instid0(VALU_DEP_1) | instskip(NEXT) | instid1(VALU_DEP_1)
	v_dual_sub_f32 v29, v29, v26 :: v_dual_sub_f32 v28, v26, v25
	v_add_f32_e32 v24, v24, v29
	s_delay_alu instid0(VALU_DEP_2) | instskip(NEXT) | instid1(VALU_DEP_1)
	v_sub_f32_e32 v26, v26, v28
	v_sub_f32_e32 v25, v26, v25
	s_delay_alu instid0(VALU_DEP_1) | instskip(NEXT) | instid1(VALU_DEP_1)
	v_add_f32_e32 v24, v24, v25
	v_add_f32_e32 v25, v28, v24
	s_delay_alu instid0(VALU_DEP_1) | instskip(SKIP_1) | instid1(VALU_DEP_2)
	v_sub_f32_e32 v26, v28, v25
	v_mul_f32_e32 v28, v25, v25
	v_add_f32_e32 v24, v24, v26
	v_fmaak_f32 v26, s13, v25, 0x3c091de6
	s_delay_alu instid0(VALU_DEP_3) | instskip(NEXT) | instid1(VALU_DEP_3)
	v_fma_f32 v29, v25, v25, -v28
	v_add_f32_e32 v30, v24, v24
	s_delay_alu instid0(VALU_DEP_3) | instskip(NEXT) | instid1(VALU_DEP_2)
	v_fmaak_f32 v26, v25, v26, 0x3d2aadcc
	v_fmac_f32_e32 v29, v25, v30
	s_delay_alu instid0(VALU_DEP_2) | instskip(NEXT) | instid1(VALU_DEP_2)
	v_fmaak_f32 v26, v25, v26, 0x3e2aaa47
	v_add_f32_e32 v30, v28, v29
	s_delay_alu instid0(VALU_DEP_2) | instskip(NEXT) | instid1(VALU_DEP_2)
	v_fmaak_f32 v26, v25, v26, 0x3efffffc
	v_sub_f32_e32 v28, v30, v28
	s_delay_alu instid0(VALU_DEP_1) | instskip(NEXT) | instid1(VALU_DEP_1)
	v_dual_mul_f32 v31, v26, v30 :: v_dual_sub_f32 v28, v29, v28
	v_fma_f32 v29, v30, v26, -v31
	s_delay_alu instid0(VALU_DEP_1) | instskip(NEXT) | instid1(VALU_DEP_1)
	v_fmac_f32_e32 v29, v28, v26
	v_add_f32_e32 v26, v31, v29
	s_delay_alu instid0(VALU_DEP_1) | instskip(SKIP_1) | instid1(VALU_DEP_2)
	v_sub_f32_e32 v30, v26, v31
	v_add_f32_e32 v28, v25, v26
	v_sub_f32_e32 v29, v29, v30
	s_delay_alu instid0(VALU_DEP_2) | instskip(NEXT) | instid1(VALU_DEP_1)
	v_sub_f32_e32 v25, v28, v25
	v_sub_f32_e32 v25, v26, v25
	s_delay_alu instid0(VALU_DEP_3) | instskip(NEXT) | instid1(VALU_DEP_1)
	v_add_f32_e32 v24, v24, v29
	v_add_f32_e32 v24, v24, v25
	s_delay_alu instid0(VALU_DEP_1) | instskip(NEXT) | instid1(VALU_DEP_1)
	v_add_f32_e32 v25, v28, v24
	v_add_f32_e32 v26, 1.0, v25
	s_delay_alu instid0(VALU_DEP_1) | instskip(NEXT) | instid1(VALU_DEP_1)
	v_dual_sub_f32 v28, v25, v28 :: v_dual_add_f32 v29, -1.0, v26
	v_dual_sub_f32 v24, v24, v28 :: v_dual_sub_f32 v25, v25, v29
	s_delay_alu instid0(VALU_DEP_1) | instskip(SKIP_1) | instid1(VALU_DEP_2)
	v_add_f32_e32 v24, v24, v25
	v_cvt_i32_f32_e32 v25, v27
	v_add_f32_e32 v27, v26, v24
	s_delay_alu instid0(VALU_DEP_1) | instskip(NEXT) | instid1(VALU_DEP_1)
	v_ldexp_f32 v28, v27, v25
	v_rcp_f32_e32 v29, v28
	v_sub_f32_e32 v26, v27, v26
	s_delay_alu instid0(VALU_DEP_1) | instskip(SKIP_3) | instid1(VALU_DEP_2)
	v_sub_f32_e32 v24, v24, v26
	s_waitcnt_depctr 0xfff
	v_mul_f32_e32 v26, v28, v29
	v_ldexp_f32 v24, v24, v25
	v_fma_f32 v25, v29, v28, -v26
	s_delay_alu instid0(VALU_DEP_1) | instskip(NEXT) | instid1(VALU_DEP_1)
	v_fmac_f32_e32 v25, v29, v24
	v_add_f32_e32 v27, v26, v25
	s_delay_alu instid0(VALU_DEP_1) | instskip(SKIP_1) | instid1(VALU_DEP_2)
	v_sub_f32_e32 v30, 1.0, v27
	v_sub_f32_e32 v26, v27, v26
	v_sub_f32_e32 v31, 1.0, v30
	s_delay_alu instid0(VALU_DEP_1) | instskip(NEXT) | instid1(VALU_DEP_1)
	v_dual_sub_f32 v25, v26, v25 :: v_dual_sub_f32 v26, v31, v27
	v_add_f32_e32 v25, v25, v26
	s_delay_alu instid0(VALU_DEP_1) | instskip(NEXT) | instid1(VALU_DEP_1)
	v_add_f32_e32 v26, v30, v25
	v_mul_f32_e32 v27, v29, v26
	s_delay_alu instid0(VALU_DEP_1) | instskip(NEXT) | instid1(VALU_DEP_1)
	v_dual_sub_f32 v30, v30, v26 :: v_dual_mul_f32 v31, v28, v27
	v_add_f32_e32 v25, v25, v30
	s_delay_alu instid0(VALU_DEP_2) | instskip(NEXT) | instid1(VALU_DEP_1)
	v_fma_f32 v32, v27, v28, -v31
	v_fmac_f32_e32 v32, v27, v24
	s_delay_alu instid0(VALU_DEP_1) | instskip(NEXT) | instid1(VALU_DEP_1)
	v_add_f32_e32 v33, v31, v32
	v_sub_f32_e32 v34, v26, v33
	v_sub_f32_e32 v30, v33, v31
	s_delay_alu instid0(VALU_DEP_2) | instskip(NEXT) | instid1(VALU_DEP_2)
	v_sub_f32_e32 v26, v26, v34
	v_sub_f32_e32 v30, v30, v32
	s_delay_alu instid0(VALU_DEP_2) | instskip(NEXT) | instid1(VALU_DEP_1)
	v_sub_f32_e32 v26, v26, v33
	v_add_f32_e32 v25, v25, v26
	s_delay_alu instid0(VALU_DEP_1) | instskip(NEXT) | instid1(VALU_DEP_1)
	v_dual_add_f32 v26, v29, v27 :: v_dual_add_f32 v25, v30, v25
	v_sub_f32_e32 v30, v26, v29
	s_delay_alu instid0(VALU_DEP_2) | instskip(NEXT) | instid1(VALU_DEP_2)
	v_add_f32_e32 v25, v34, v25
	v_sub_f32_e32 v27, v27, v30
	s_delay_alu instid0(VALU_DEP_2) | instskip(NEXT) | instid1(VALU_DEP_1)
	v_mul_f32_e32 v25, v29, v25
	v_add_f32_e32 v25, v27, v25
	s_delay_alu instid0(VALU_DEP_1) | instskip(NEXT) | instid1(VALU_DEP_1)
	v_add_f32_e32 v27, v26, v25
	v_ldexp_f32 v29, v27, -2
	s_delay_alu instid0(VALU_DEP_1) | instskip(NEXT) | instid1(VALU_DEP_1)
	v_dual_sub_f32 v26, v27, v26 :: v_dual_add_f32 v27, v28, v29
	v_dual_sub_f32 v25, v25, v26 :: v_dual_sub_f32 v26, v27, v28
	s_delay_alu instid0(VALU_DEP_1) | instskip(NEXT) | instid1(VALU_DEP_2)
	v_ldexp_f32 v25, v25, -2
	v_sub_f32_e32 v26, v29, v26
	s_delay_alu instid0(VALU_DEP_2) | instskip(NEXT) | instid1(VALU_DEP_1)
	v_add_f32_e32 v24, v24, v25
	v_add_f32_e32 v24, v24, v26
	s_delay_alu instid0(VALU_DEP_1) | instskip(NEXT) | instid1(VALU_DEP_1)
	v_add_f32_e32 v24, v27, v24
	v_cndmask_b32_e32 v23, 0x7f800000, v24, vcc_lo
	s_delay_alu instid0(VALU_DEP_1) | instskip(SKIP_1) | instid1(VALU_DEP_2)
	v_bfe_u32 v24, v23, 16, 1
	v_cmp_o_f32_e32 vcc_lo, v23, v23
	v_add3_u32 v24, v23, v24, 0x7fff
	s_delay_alu instid0(VALU_DEP_1) | instskip(NEXT) | instid1(VALU_DEP_1)
	v_lshrrev_b32_e32 v24, 16, v24
	v_cndmask_b32_e32 v25, 0x7fc0, v24, vcc_lo
	v_add_co_u32 v23, vcc_lo, v7, s8
	v_add_co_ci_u32_e32 v24, vcc_lo, s9, v8, vcc_lo
	global_store_b16 v[23:24], v25, off
	s_branch .LBB85_8
.LBB85_25:
	s_nop 0
	s_sendmsg sendmsg(MSG_DEALLOC_VGPRS)
	s_endpgm
	.section	.rodata,"a",@progbits
	.p2align	6, 0x0
	.amdhsa_kernel _ZN2at6native12_GLOBAL__N_125multi_tensor_apply_kernelINS1_18TensorListMetadataILi2EEENS1_14UnaryOpFunctorIN3c108BFloat16ELi2ELi1ELi1EEEJNS0_4CoshIfEEEEEvT_T0_DpT1_
		.amdhsa_group_segment_fixed_size 0
		.amdhsa_private_segment_fixed_size 0
		.amdhsa_kernarg_size 3408
		.amdhsa_user_sgpr_count 15
		.amdhsa_user_sgpr_dispatch_ptr 0
		.amdhsa_user_sgpr_queue_ptr 0
		.amdhsa_user_sgpr_kernarg_segment_ptr 1
		.amdhsa_user_sgpr_dispatch_id 0
		.amdhsa_user_sgpr_private_segment_size 0
		.amdhsa_wavefront_size32 1
		.amdhsa_uses_dynamic_stack 0
		.amdhsa_enable_private_segment 0
		.amdhsa_system_sgpr_workgroup_id_x 1
		.amdhsa_system_sgpr_workgroup_id_y 0
		.amdhsa_system_sgpr_workgroup_id_z 0
		.amdhsa_system_sgpr_workgroup_info 0
		.amdhsa_system_vgpr_workitem_id 0
		.amdhsa_next_free_vgpr 54
		.amdhsa_next_free_sgpr 20
		.amdhsa_reserve_vcc 1
		.amdhsa_float_round_mode_32 0
		.amdhsa_float_round_mode_16_64 0
		.amdhsa_float_denorm_mode_32 3
		.amdhsa_float_denorm_mode_16_64 3
		.amdhsa_dx10_clamp 1
		.amdhsa_ieee_mode 1
		.amdhsa_fp16_overflow 0
		.amdhsa_workgroup_processor_mode 1
		.amdhsa_memory_ordered 1
		.amdhsa_forward_progress 0
		.amdhsa_shared_vgpr_count 0
		.amdhsa_exception_fp_ieee_invalid_op 0
		.amdhsa_exception_fp_denorm_src 0
		.amdhsa_exception_fp_ieee_div_zero 0
		.amdhsa_exception_fp_ieee_overflow 0
		.amdhsa_exception_fp_ieee_underflow 0
		.amdhsa_exception_fp_ieee_inexact 0
		.amdhsa_exception_int_div_zero 0
	.end_amdhsa_kernel
	.section	.text._ZN2at6native12_GLOBAL__N_125multi_tensor_apply_kernelINS1_18TensorListMetadataILi2EEENS1_14UnaryOpFunctorIN3c108BFloat16ELi2ELi1ELi1EEEJNS0_4CoshIfEEEEEvT_T0_DpT1_,"axG",@progbits,_ZN2at6native12_GLOBAL__N_125multi_tensor_apply_kernelINS1_18TensorListMetadataILi2EEENS1_14UnaryOpFunctorIN3c108BFloat16ELi2ELi1ELi1EEEJNS0_4CoshIfEEEEEvT_T0_DpT1_,comdat
.Lfunc_end85:
	.size	_ZN2at6native12_GLOBAL__N_125multi_tensor_apply_kernelINS1_18TensorListMetadataILi2EEENS1_14UnaryOpFunctorIN3c108BFloat16ELi2ELi1ELi1EEEJNS0_4CoshIfEEEEEvT_T0_DpT1_, .Lfunc_end85-_ZN2at6native12_GLOBAL__N_125multi_tensor_apply_kernelINS1_18TensorListMetadataILi2EEENS1_14UnaryOpFunctorIN3c108BFloat16ELi2ELi1ELi1EEEJNS0_4CoshIfEEEEEvT_T0_DpT1_
                                        ; -- End function
	.section	.AMDGPU.csdata,"",@progbits
; Kernel info:
; codeLenInByte = 7380
; NumSgprs: 22
; NumVgprs: 54
; ScratchSize: 0
; MemoryBound: 0
; FloatMode: 240
; IeeeMode: 1
; LDSByteSize: 0 bytes/workgroup (compile time only)
; SGPRBlocks: 2
; VGPRBlocks: 6
; NumSGPRsForWavesPerEU: 22
; NumVGPRsForWavesPerEU: 54
; Occupancy: 16
; WaveLimiterHint : 0
; COMPUTE_PGM_RSRC2:SCRATCH_EN: 0
; COMPUTE_PGM_RSRC2:USER_SGPR: 15
; COMPUTE_PGM_RSRC2:TRAP_HANDLER: 0
; COMPUTE_PGM_RSRC2:TGID_X_EN: 1
; COMPUTE_PGM_RSRC2:TGID_Y_EN: 0
; COMPUTE_PGM_RSRC2:TGID_Z_EN: 0
; COMPUTE_PGM_RSRC2:TIDIG_COMP_CNT: 0
	.section	.text._ZN2at6native12_GLOBAL__N_125multi_tensor_apply_kernelINS1_18TensorListMetadataILi1EEENS1_14UnaryOpFunctorIdLi1ELi1ELi0EEEJNS0_4CoshIdEEEEEvT_T0_DpT1_,"axG",@progbits,_ZN2at6native12_GLOBAL__N_125multi_tensor_apply_kernelINS1_18TensorListMetadataILi1EEENS1_14UnaryOpFunctorIdLi1ELi1ELi0EEEJNS0_4CoshIdEEEEEvT_T0_DpT1_,comdat
	.globl	_ZN2at6native12_GLOBAL__N_125multi_tensor_apply_kernelINS1_18TensorListMetadataILi1EEENS1_14UnaryOpFunctorIdLi1ELi1ELi0EEEJNS0_4CoshIdEEEEEvT_T0_DpT1_ ; -- Begin function _ZN2at6native12_GLOBAL__N_125multi_tensor_apply_kernelINS1_18TensorListMetadataILi1EEENS1_14UnaryOpFunctorIdLi1ELi1ELi0EEEJNS0_4CoshIdEEEEEvT_T0_DpT1_
	.p2align	8
	.type	_ZN2at6native12_GLOBAL__N_125multi_tensor_apply_kernelINS1_18TensorListMetadataILi1EEENS1_14UnaryOpFunctorIdLi1ELi1ELi0EEEJNS0_4CoshIdEEEEEvT_T0_DpT1_,@function
_ZN2at6native12_GLOBAL__N_125multi_tensor_apply_kernelINS1_18TensorListMetadataILi1EEENS1_14UnaryOpFunctorIdLi1ELi1ELi0EEEJNS0_4CoshIdEEEEEvT_T0_DpT1_: ; @_ZN2at6native12_GLOBAL__N_125multi_tensor_apply_kernelINS1_18TensorListMetadataILi1EEENS1_14UnaryOpFunctorIdLi1ELi1ELi0EEEJNS0_4CoshIdEEEEEvT_T0_DpT1_
; %bb.0:
	v_mov_b32_e32 v1, s15
	s_add_u32 s2, s0, s15
	s_mul_hi_u32 s3, s15, 3
	s_mul_i32 s15, s15, 3
	s_addc_u32 s4, s1, 0
	global_load_u8 v1, v1, s[0:1] offset:1760
	s_add_u32 s2, s2, s15
	s_addc_u32 s3, s4, s3
	s_mov_b32 s13, 0
	s_load_b32 s2, s[2:3], 0x820
	s_waitcnt vmcnt(0)
	v_readfirstlane_b32 s5, v1
	s_delay_alu instid0(VALU_DEP_1)
	s_lshl_b32 s3, s5, 3
	s_clause 0x1
	s_load_b64 s[8:9], s[0:1], s3 offset:0x0
	s_load_b64 s[4:5], s[0:1], s3 offset:0x370
	s_waitcnt lgkmcnt(0)
	s_ashr_i32 s3, s2, 31
	s_delay_alu instid0(SALU_CYCLE_1)
	s_lshl_b64 s[10:11], s[2:3], 19
	s_lshl_b64 s[2:3], s[2:3], 16
	s_and_b32 s12, s8, 31
	s_sub_u32 s6, s4, s2
	s_subb_u32 s7, s5, s3
	s_and_b32 s2, s4, 3
	s_mov_b32 s3, s13
	s_delay_alu instid0(SALU_CYCLE_1) | instskip(NEXT) | instid1(SALU_CYCLE_1)
	s_or_b64 s[2:3], s[12:13], s[2:3]
	s_cmp_eq_u64 s[2:3], 0
	s_cbranch_scc1 .LBB86_21
; %bb.1:
	v_cmp_lt_i64_e64 s2, s[6:7], 1
	s_delay_alu instid0(VALU_DEP_1)
	s_and_b32 vcc_lo, exec_lo, s2
	s_cbranch_vccnz .LBB86_20
; %bb.2:
	s_load_b32 s2, s[0:1], 0xd3c
	v_cmp_gt_u64_e64 s3, 0x10000, s[6:7]
	v_lshlrev_b32_e32 v1, 3, v0
	s_mov_b32 s14, 0xfefa39ef
	s_mov_b32 s16, 0x3b39803f
	;; [unrolled: 1-line block ×17, first 2 shown]
	s_waitcnt lgkmcnt(0)
	s_and_b32 s2, s2, 0xffff
	s_and_b32 s3, s3, exec_lo
	v_add_co_u32 v13, s5, v0, s2
	s_cselect_b32 s13, s7, 0
	s_cselect_b32 s12, s6, 0x10000
	s_lshl_b32 s3, s2, 1
	s_lshl_b32 s33, s2, 2
	s_add_u32 s48, s8, s10
	v_lshlrev_b32_e32 v3, 3, v13
	s_mul_i32 s4, s2, 3
	s_mul_i32 s54, s2, 24
	s_addc_u32 s49, s9, s11
	s_lshl_b32 s55, s2, 5
	s_lshl_b32 s56, s2, 4
	v_add_co_u32 v1, s2, s48, v1
	s_delay_alu instid0(VALU_DEP_1)
	v_add_co_ci_u32_e64 v2, null, s49, 0, s2
	v_add_co_u32 v16, s2, s3, v0
	v_add_co_u32 v14, s4, s4, v0
	v_add_co_ci_u32_e64 v17, null, 0, 0, s2
	v_add_co_u32 v3, s2, s48, v3
	v_add_co_ci_u32_e64 v15, null, 0, 0, s4
	v_add_co_ci_u32_e64 v18, null, 0, 0, s5
	;; [unrolled: 1-line block ×3, first 2 shown]
	s_mov_b32 s17, 0xbc7abc9e
	s_mov_b32 s19, 0x3ff71547
	;; [unrolled: 1-line block ×15, first 2 shown]
	s_mov_b64 s[48:49], 0
	s_mov_b32 s51, 0x3fe62e42
	s_mov_b32 s52, 0xfefa3000
	s_branch .LBB86_4
.LBB86_3:                               ;   in Loop: Header=BB86_4 Depth=1
	s_or_b32 exec_lo, exec_lo, s2
	s_add_u32 s48, s48, s33
	s_addc_u32 s49, s49, 0
	v_add_co_u32 v1, vcc_lo, v1, s55
	v_cmp_lt_i64_e64 s2, s[48:49], s[6:7]
	v_cmp_gt_u64_e64 s3, 0x10000, s[48:49]
	v_add_co_ci_u32_e32 v2, vcc_lo, 0, v2, vcc_lo
	v_add_co_u32 v3, vcc_lo, v3, s55
	v_add_co_ci_u32_e32 v4, vcc_lo, 0, v4, vcc_lo
	s_delay_alu instid0(VALU_DEP_4) | instskip(NEXT) | instid1(SALU_CYCLE_1)
	s_and_b32 s2, s2, s3
	s_and_b32 vcc_lo, exec_lo, s2
	s_cbranch_vccz .LBB86_20
.LBB86_4:                               ; =>This Inner Loop Header: Depth=1
	s_waitcnt vmcnt(0)
	v_add_co_u32 v5, s2, v0, s48
	s_delay_alu instid0(VALU_DEP_1) | instskip(SKIP_2) | instid1(VALU_DEP_3)
	v_add_co_ci_u32_e64 v6, null, 0, s49, s2
	v_mov_b32_e32 v9, 0
	v_mov_b32_e32 v10, 0
	v_cmp_gt_u64_e64 s4, s[12:13], v[5:6]
	s_delay_alu instid0(VALU_DEP_2) | instskip(NEXT) | instid1(VALU_DEP_2)
	v_dual_mov_b32 v12, v10 :: v_dual_mov_b32 v11, v9
	s_and_saveexec_b32 s2, s4
	s_cbranch_execz .LBB86_6
; %bb.5:                                ;   in Loop: Header=BB86_4 Depth=1
	global_load_b64 v[11:12], v[1:2], off
.LBB86_6:                               ;   in Loop: Header=BB86_4 Depth=1
	s_or_b32 exec_lo, exec_lo, s2
	v_add_co_u32 v5, vcc_lo, v13, s48
	v_add_co_ci_u32_e32 v6, vcc_lo, s49, v18, vcc_lo
	s_delay_alu instid0(VALU_DEP_1) | instskip(NEXT) | instid1(VALU_DEP_1)
	v_cmp_gt_u64_e64 s3, s[12:13], v[5:6]
	s_and_saveexec_b32 s2, s3
	s_cbranch_execz .LBB86_8
; %bb.7:                                ;   in Loop: Header=BB86_4 Depth=1
	global_load_b64 v[9:10], v[3:4], off
.LBB86_8:                               ;   in Loop: Header=BB86_4 Depth=1
	s_or_b32 exec_lo, exec_lo, s2
	v_add_co_u32 v7, vcc_lo, v16, s48
	v_add_co_ci_u32_e32 v8, vcc_lo, s49, v17, vcc_lo
	v_mov_b32_e32 v5, 0
	v_mov_b32_e32 v6, 0
	s_delay_alu instid0(VALU_DEP_3) | instskip(NEXT) | instid1(VALU_DEP_2)
	v_cmp_gt_u64_e64 s2, s[12:13], v[7:8]
	v_dual_mov_b32 v8, v6 :: v_dual_mov_b32 v7, v5
	s_delay_alu instid0(VALU_DEP_2)
	s_and_saveexec_b32 s5, s2
	s_cbranch_execz .LBB86_10
; %bb.9:                                ;   in Loop: Header=BB86_4 Depth=1
	v_add_co_u32 v7, vcc_lo, v1, s56
	v_add_co_ci_u32_e32 v8, vcc_lo, 0, v2, vcc_lo
	global_load_b64 v[7:8], v[7:8], off
.LBB86_10:                              ;   in Loop: Header=BB86_4 Depth=1
	s_or_b32 exec_lo, exec_lo, s5
	v_add_co_u32 v19, vcc_lo, v14, s48
	v_add_co_ci_u32_e32 v20, vcc_lo, s49, v15, vcc_lo
	s_delay_alu instid0(VALU_DEP_1)
	v_cmp_gt_u64_e32 vcc_lo, s[12:13], v[19:20]
	s_and_saveexec_b32 s50, vcc_lo
	s_cbranch_execnz .LBB86_15
; %bb.11:                               ;   in Loop: Header=BB86_4 Depth=1
	s_or_b32 exec_lo, exec_lo, s50
	s_and_saveexec_b32 s5, s4
	s_cbranch_execnz .LBB86_16
.LBB86_12:                              ;   in Loop: Header=BB86_4 Depth=1
	s_or_b32 exec_lo, exec_lo, s5
	s_and_saveexec_b32 s4, s3
	s_cbranch_execnz .LBB86_17
.LBB86_13:                              ;   in Loop: Header=BB86_4 Depth=1
	s_or_b32 exec_lo, exec_lo, s4
	s_and_saveexec_b32 s3, s2
	s_cbranch_execnz .LBB86_18
.LBB86_14:                              ;   in Loop: Header=BB86_4 Depth=1
	s_or_b32 exec_lo, exec_lo, s3
	s_and_saveexec_b32 s2, vcc_lo
	s_cbranch_execz .LBB86_3
	s_branch .LBB86_19
.LBB86_15:                              ;   in Loop: Header=BB86_4 Depth=1
	v_add_co_u32 v5, s5, v1, s54
	s_delay_alu instid0(VALU_DEP_1)
	v_add_co_ci_u32_e64 v6, s5, 0, v2, s5
	global_load_b64 v[5:6], v[5:6], off
	s_or_b32 exec_lo, exec_lo, s50
	s_and_saveexec_b32 s5, s4
	s_cbranch_execz .LBB86_12
.LBB86_16:                              ;   in Loop: Header=BB86_4 Depth=1
	s_waitcnt vmcnt(0)
	v_add_f64 v[19:20], |v[11:12]|, s[14:15]
	s_mov_b32 s50, s14
	s_mov_b32 s53, s15
	v_cmp_nge_f64_e64 s4, |v[11:12]|, s[46:47]
	s_delay_alu instid0(VALU_DEP_2) | instskip(NEXT) | instid1(VALU_DEP_1)
	v_add_f64 v[21:22], v[19:20], -|v[11:12]|
	v_add_f64 v[23:24], v[21:22], -v[19:20]
	v_add_f64 v[21:22], v[21:22], s[50:51]
	s_delay_alu instid0(VALU_DEP_2) | instskip(NEXT) | instid1(VALU_DEP_1)
	v_add_f64 v[23:24], |v[11:12]|, v[23:24]
	v_add_f64 v[21:22], v[23:24], -v[21:22]
	s_delay_alu instid0(VALU_DEP_1) | instskip(NEXT) | instid1(VALU_DEP_1)
	v_add_f64 v[21:22], v[21:22], s[16:17]
	v_add_f64 v[23:24], v[19:20], v[21:22]
	s_delay_alu instid0(VALU_DEP_1) | instskip(SKIP_1) | instid1(VALU_DEP_2)
	v_mul_f64 v[25:26], v[23:24], s[18:19]
	v_add_f64 v[19:20], v[19:20], -v[23:24]
	v_rndne_f64_e32 v[25:26], v[25:26]
	s_delay_alu instid0(VALU_DEP_2) | instskip(NEXT) | instid1(VALU_DEP_2)
	v_add_f64 v[19:20], v[21:22], v[19:20]
	v_fma_f64 v[21:22], v[25:26], s[52:53], v[23:24]
	v_mul_f64 v[23:24], v[25:26], s[20:21]
	s_delay_alu instid0(VALU_DEP_2) | instskip(NEXT) | instid1(VALU_DEP_1)
	v_add_f64 v[27:28], v[19:20], v[21:22]
	v_add_f64 v[29:30], v[27:28], v[23:24]
	v_add_f64 v[21:22], v[21:22], -v[27:28]
	s_delay_alu instid0(VALU_DEP_2) | instskip(NEXT) | instid1(VALU_DEP_2)
	v_add_f64 v[27:28], v[27:28], -v[29:30]
	v_add_f64 v[19:20], v[19:20], v[21:22]
	s_delay_alu instid0(VALU_DEP_2) | instskip(NEXT) | instid1(VALU_DEP_1)
	v_add_f64 v[21:22], v[27:28], v[23:24]
	v_add_f64 v[19:20], v[19:20], v[21:22]
	v_mul_f64 v[21:22], v[25:26], s[22:23]
	s_delay_alu instid0(VALU_DEP_2) | instskip(NEXT) | instid1(VALU_DEP_1)
	v_add_f64 v[23:24], v[29:30], v[19:20]
	v_add_f64 v[27:28], v[23:24], v[21:22]
	v_add_f64 v[29:30], v[29:30], -v[23:24]
	s_delay_alu instid0(VALU_DEP_2) | instskip(NEXT) | instid1(VALU_DEP_2)
	v_add_f64 v[23:24], v[23:24], -v[27:28]
	v_add_f64 v[19:20], v[19:20], v[29:30]
	s_delay_alu instid0(VALU_DEP_2) | instskip(NEXT) | instid1(VALU_DEP_1)
	v_add_f64 v[21:22], v[23:24], v[21:22]
	v_add_f64 v[19:20], v[19:20], v[21:22]
	s_delay_alu instid0(VALU_DEP_1) | instskip(NEXT) | instid1(VALU_DEP_1)
	v_add_f64 v[21:22], v[27:28], v[19:20]
	v_fma_f64 v[23:24], v[21:22], s[26:27], s[24:25]
	v_add_f64 v[27:28], v[27:28], -v[21:22]
	v_mul_f64 v[29:30], v[21:22], v[21:22]
	s_delay_alu instid0(VALU_DEP_3) | instskip(NEXT) | instid1(VALU_DEP_3)
	v_fma_f64 v[23:24], v[21:22], v[23:24], s[28:29]
	v_add_f64 v[19:20], v[19:20], v[27:28]
	s_delay_alu instid0(VALU_DEP_3) | instskip(NEXT) | instid1(VALU_DEP_3)
	v_fma_f64 v[27:28], v[21:22], v[21:22], -v[29:30]
	v_fma_f64 v[23:24], v[21:22], v[23:24], s[30:31]
	s_delay_alu instid0(VALU_DEP_3) | instskip(NEXT) | instid1(VALU_DEP_2)
	v_add_f64 v[31:32], v[19:20], v[19:20]
	v_fma_f64 v[23:24], v[21:22], v[23:24], s[34:35]
	s_delay_alu instid0(VALU_DEP_2) | instskip(NEXT) | instid1(VALU_DEP_2)
	v_fma_f64 v[27:28], v[21:22], v[31:32], v[27:28]
	v_fma_f64 v[23:24], v[21:22], v[23:24], s[36:37]
	s_delay_alu instid0(VALU_DEP_2) | instskip(NEXT) | instid1(VALU_DEP_2)
	v_add_f64 v[31:32], v[29:30], v[27:28]
	v_fma_f64 v[23:24], v[21:22], v[23:24], s[38:39]
	s_delay_alu instid0(VALU_DEP_2) | instskip(NEXT) | instid1(VALU_DEP_2)
	v_add_f64 v[29:30], v[31:32], -v[29:30]
	v_fma_f64 v[23:24], v[21:22], v[23:24], s[40:41]
	s_delay_alu instid0(VALU_DEP_2) | instskip(NEXT) | instid1(VALU_DEP_2)
	v_add_f64 v[27:28], v[27:28], -v[29:30]
	v_fma_f64 v[23:24], v[21:22], v[23:24], s[42:43]
	s_delay_alu instid0(VALU_DEP_1) | instskip(NEXT) | instid1(VALU_DEP_1)
	v_fma_f64 v[23:24], v[21:22], v[23:24], s[44:45]
	v_mul_f64 v[33:34], v[31:32], v[23:24]
	s_delay_alu instid0(VALU_DEP_1) | instskip(NEXT) | instid1(VALU_DEP_1)
	v_fma_f64 v[29:30], v[31:32], v[23:24], -v[33:34]
	v_fma_f64 v[23:24], v[27:28], v[23:24], v[29:30]
	s_delay_alu instid0(VALU_DEP_1) | instskip(NEXT) | instid1(VALU_DEP_1)
	v_add_f64 v[27:28], v[33:34], v[23:24]
	v_add_f64 v[29:30], v[27:28], -v[33:34]
	v_add_f64 v[31:32], v[21:22], v[27:28]
	s_delay_alu instid0(VALU_DEP_2) | instskip(NEXT) | instid1(VALU_DEP_2)
	v_add_f64 v[23:24], v[23:24], -v[29:30]
	v_add_f64 v[21:22], v[31:32], -v[21:22]
	s_delay_alu instid0(VALU_DEP_2) | instskip(NEXT) | instid1(VALU_DEP_2)
	v_add_f64 v[19:20], v[19:20], v[23:24]
	v_add_f64 v[21:22], v[27:28], -v[21:22]
	s_delay_alu instid0(VALU_DEP_1) | instskip(NEXT) | instid1(VALU_DEP_1)
	v_add_f64 v[19:20], v[19:20], v[21:22]
	v_add_f64 v[21:22], v[31:32], v[19:20]
	s_delay_alu instid0(VALU_DEP_1) | instskip(SKIP_2) | instid1(VALU_DEP_3)
	v_add_f64 v[23:24], v[21:22], 1.0
	v_add_f64 v[27:28], v[21:22], -v[31:32]
	v_cvt_i32_f64_e32 v31, v[25:26]
	v_add_f64 v[29:30], v[23:24], -1.0
	s_delay_alu instid0(VALU_DEP_3) | instskip(NEXT) | instid1(VALU_DEP_2)
	v_add_f64 v[19:20], v[19:20], -v[27:28]
	v_add_f64 v[21:22], v[21:22], -v[29:30]
	s_delay_alu instid0(VALU_DEP_1) | instskip(NEXT) | instid1(VALU_DEP_1)
	v_add_f64 v[19:20], v[19:20], v[21:22]
	v_add_f64 v[21:22], v[23:24], v[19:20]
	s_delay_alu instid0(VALU_DEP_1) | instskip(SKIP_1) | instid1(VALU_DEP_2)
	v_ldexp_f64 v[25:26], v[21:22], v31
	v_add_f64 v[21:22], v[21:22], -v[23:24]
	v_rcp_f64_e32 v[27:28], v[25:26]
	s_delay_alu instid0(VALU_DEP_1) | instskip(NEXT) | instid1(VALU_DEP_1)
	v_add_f64 v[19:20], v[19:20], -v[21:22]
	v_ldexp_f64 v[19:20], v[19:20], v31
	s_waitcnt_depctr 0xfff
	v_fma_f64 v[29:30], -v[25:26], v[27:28], 1.0
	s_delay_alu instid0(VALU_DEP_1) | instskip(NEXT) | instid1(VALU_DEP_1)
	v_fma_f64 v[27:28], v[29:30], v[27:28], v[27:28]
	v_fma_f64 v[29:30], -v[25:26], v[27:28], 1.0
	s_delay_alu instid0(VALU_DEP_1) | instskip(NEXT) | instid1(VALU_DEP_1)
	v_fma_f64 v[23:24], v[29:30], v[27:28], v[27:28]
	v_mul_f64 v[21:22], v[25:26], v[23:24]
	s_delay_alu instid0(VALU_DEP_1) | instskip(NEXT) | instid1(VALU_DEP_1)
	v_fma_f64 v[27:28], v[23:24], v[25:26], -v[21:22]
	v_fma_f64 v[27:28], v[23:24], v[19:20], v[27:28]
	s_delay_alu instid0(VALU_DEP_1) | instskip(NEXT) | instid1(VALU_DEP_1)
	v_add_f64 v[29:30], v[21:22], v[27:28]
	v_add_f64 v[31:32], -v[29:30], 1.0
	v_add_f64 v[21:22], v[29:30], -v[21:22]
	s_delay_alu instid0(VALU_DEP_2) | instskip(NEXT) | instid1(VALU_DEP_2)
	v_add_f64 v[33:34], -v[31:32], 1.0
	v_add_f64 v[21:22], v[21:22], -v[27:28]
	s_delay_alu instid0(VALU_DEP_2) | instskip(NEXT) | instid1(VALU_DEP_1)
	v_add_f64 v[27:28], v[33:34], -v[29:30]
	v_add_f64 v[21:22], v[21:22], v[27:28]
	s_delay_alu instid0(VALU_DEP_1) | instskip(NEXT) | instid1(VALU_DEP_1)
	v_add_f64 v[27:28], v[31:32], v[21:22]
	v_mul_f64 v[29:30], v[23:24], v[27:28]
	v_add_f64 v[31:32], v[31:32], -v[27:28]
	s_delay_alu instid0(VALU_DEP_2) | instskip(NEXT) | instid1(VALU_DEP_2)
	v_mul_f64 v[33:34], v[25:26], v[29:30]
	v_add_f64 v[21:22], v[21:22], v[31:32]
	s_delay_alu instid0(VALU_DEP_2) | instskip(NEXT) | instid1(VALU_DEP_1)
	v_fma_f64 v[35:36], v[29:30], v[25:26], -v[33:34]
	v_fma_f64 v[35:36], v[29:30], v[19:20], v[35:36]
	s_delay_alu instid0(VALU_DEP_1) | instskip(NEXT) | instid1(VALU_DEP_1)
	v_add_f64 v[37:38], v[33:34], v[35:36]
	v_add_f64 v[39:40], v[27:28], -v[37:38]
	v_add_f64 v[31:32], v[37:38], -v[33:34]
	s_delay_alu instid0(VALU_DEP_2) | instskip(NEXT) | instid1(VALU_DEP_2)
	v_add_f64 v[27:28], v[27:28], -v[39:40]
	v_add_f64 v[31:32], v[31:32], -v[35:36]
	s_delay_alu instid0(VALU_DEP_2) | instskip(NEXT) | instid1(VALU_DEP_1)
	v_add_f64 v[27:28], v[27:28], -v[37:38]
	v_add_f64 v[21:22], v[21:22], v[27:28]
	v_add_f64 v[27:28], v[23:24], v[29:30]
	s_delay_alu instid0(VALU_DEP_2) | instskip(NEXT) | instid1(VALU_DEP_2)
	v_add_f64 v[21:22], v[31:32], v[21:22]
	v_add_f64 v[31:32], v[27:28], -v[23:24]
	s_delay_alu instid0(VALU_DEP_2) | instskip(NEXT) | instid1(VALU_DEP_2)
	v_add_f64 v[21:22], v[39:40], v[21:22]
	v_add_f64 v[29:30], v[29:30], -v[31:32]
	s_delay_alu instid0(VALU_DEP_2) | instskip(NEXT) | instid1(VALU_DEP_1)
	v_mul_f64 v[21:22], v[23:24], v[21:22]
	v_add_f64 v[21:22], v[29:30], v[21:22]
	s_delay_alu instid0(VALU_DEP_1) | instskip(NEXT) | instid1(VALU_DEP_1)
	v_add_f64 v[23:24], v[27:28], v[21:22]
	v_add_f64 v[27:28], v[23:24], -v[27:28]
	v_ldexp_f64 v[23:24], v[23:24], -2
	s_delay_alu instid0(VALU_DEP_2) | instskip(NEXT) | instid1(VALU_DEP_2)
	v_add_f64 v[21:22], v[21:22], -v[27:28]
	v_add_f64 v[27:28], v[25:26], v[23:24]
	s_delay_alu instid0(VALU_DEP_2) | instskip(NEXT) | instid1(VALU_DEP_2)
	v_ldexp_f64 v[21:22], v[21:22], -2
	v_add_f64 v[25:26], v[27:28], -v[25:26]
	s_delay_alu instid0(VALU_DEP_2) | instskip(NEXT) | instid1(VALU_DEP_2)
	v_add_f64 v[19:20], v[19:20], v[21:22]
	v_add_f64 v[21:22], v[23:24], -v[25:26]
	s_delay_alu instid0(VALU_DEP_1) | instskip(NEXT) | instid1(VALU_DEP_1)
	v_add_f64 v[19:20], v[19:20], v[21:22]
	v_add_f64 v[19:20], v[27:28], v[19:20]
	s_delay_alu instid0(VALU_DEP_1) | instskip(NEXT) | instid1(VALU_DEP_2)
	v_cndmask_b32_e64 v12, 0x7ff00000, v20, s4
	v_cndmask_b32_e64 v11, 0, v19, s4
	global_store_b64 v[1:2], v[11:12], off
	s_or_b32 exec_lo, exec_lo, s5
	s_and_saveexec_b32 s4, s3
	s_cbranch_execz .LBB86_13
.LBB86_17:                              ;   in Loop: Header=BB86_4 Depth=1
	s_waitcnt vmcnt(0)
	v_add_f64 v[11:12], |v[9:10]|, s[14:15]
	s_mov_b32 s50, s14
	s_mov_b32 s53, s15
	v_cmp_nge_f64_e64 s3, |v[9:10]|, s[46:47]
	s_delay_alu instid0(VALU_DEP_2) | instskip(NEXT) | instid1(VALU_DEP_1)
	v_add_f64 v[19:20], v[11:12], -|v[9:10]|
	v_add_f64 v[21:22], v[19:20], -v[11:12]
	v_add_f64 v[19:20], v[19:20], s[50:51]
	s_delay_alu instid0(VALU_DEP_2) | instskip(NEXT) | instid1(VALU_DEP_1)
	v_add_f64 v[21:22], |v[9:10]|, v[21:22]
	v_add_f64 v[19:20], v[21:22], -v[19:20]
	s_delay_alu instid0(VALU_DEP_1) | instskip(NEXT) | instid1(VALU_DEP_1)
	v_add_f64 v[19:20], v[19:20], s[16:17]
	v_add_f64 v[21:22], v[11:12], v[19:20]
	s_delay_alu instid0(VALU_DEP_1) | instskip(SKIP_1) | instid1(VALU_DEP_2)
	v_mul_f64 v[23:24], v[21:22], s[18:19]
	v_add_f64 v[11:12], v[11:12], -v[21:22]
	v_rndne_f64_e32 v[23:24], v[23:24]
	s_delay_alu instid0(VALU_DEP_2) | instskip(NEXT) | instid1(VALU_DEP_2)
	v_add_f64 v[11:12], v[19:20], v[11:12]
	v_fma_f64 v[19:20], v[23:24], s[52:53], v[21:22]
	v_mul_f64 v[21:22], v[23:24], s[20:21]
	s_delay_alu instid0(VALU_DEP_2) | instskip(NEXT) | instid1(VALU_DEP_1)
	v_add_f64 v[25:26], v[11:12], v[19:20]
	v_add_f64 v[27:28], v[25:26], v[21:22]
	v_add_f64 v[19:20], v[19:20], -v[25:26]
	s_delay_alu instid0(VALU_DEP_2) | instskip(NEXT) | instid1(VALU_DEP_2)
	v_add_f64 v[25:26], v[25:26], -v[27:28]
	v_add_f64 v[11:12], v[11:12], v[19:20]
	s_delay_alu instid0(VALU_DEP_2) | instskip(NEXT) | instid1(VALU_DEP_1)
	v_add_f64 v[19:20], v[25:26], v[21:22]
	v_add_f64 v[11:12], v[11:12], v[19:20]
	v_mul_f64 v[19:20], v[23:24], s[22:23]
	s_delay_alu instid0(VALU_DEP_2) | instskip(NEXT) | instid1(VALU_DEP_1)
	v_add_f64 v[21:22], v[27:28], v[11:12]
	v_add_f64 v[25:26], v[21:22], v[19:20]
	v_add_f64 v[27:28], v[27:28], -v[21:22]
	s_delay_alu instid0(VALU_DEP_2) | instskip(NEXT) | instid1(VALU_DEP_2)
	v_add_f64 v[21:22], v[21:22], -v[25:26]
	v_add_f64 v[11:12], v[11:12], v[27:28]
	s_delay_alu instid0(VALU_DEP_2) | instskip(NEXT) | instid1(VALU_DEP_1)
	v_add_f64 v[19:20], v[21:22], v[19:20]
	v_add_f64 v[11:12], v[11:12], v[19:20]
	s_delay_alu instid0(VALU_DEP_1) | instskip(NEXT) | instid1(VALU_DEP_1)
	v_add_f64 v[19:20], v[25:26], v[11:12]
	v_fma_f64 v[21:22], v[19:20], s[26:27], s[24:25]
	v_add_f64 v[25:26], v[25:26], -v[19:20]
	v_mul_f64 v[27:28], v[19:20], v[19:20]
	s_delay_alu instid0(VALU_DEP_3) | instskip(NEXT) | instid1(VALU_DEP_3)
	v_fma_f64 v[21:22], v[19:20], v[21:22], s[28:29]
	v_add_f64 v[11:12], v[11:12], v[25:26]
	s_delay_alu instid0(VALU_DEP_3) | instskip(NEXT) | instid1(VALU_DEP_3)
	v_fma_f64 v[25:26], v[19:20], v[19:20], -v[27:28]
	v_fma_f64 v[21:22], v[19:20], v[21:22], s[30:31]
	s_delay_alu instid0(VALU_DEP_3) | instskip(NEXT) | instid1(VALU_DEP_2)
	v_add_f64 v[29:30], v[11:12], v[11:12]
	v_fma_f64 v[21:22], v[19:20], v[21:22], s[34:35]
	s_delay_alu instid0(VALU_DEP_2) | instskip(NEXT) | instid1(VALU_DEP_2)
	v_fma_f64 v[25:26], v[19:20], v[29:30], v[25:26]
	v_fma_f64 v[21:22], v[19:20], v[21:22], s[36:37]
	s_delay_alu instid0(VALU_DEP_2) | instskip(NEXT) | instid1(VALU_DEP_2)
	v_add_f64 v[29:30], v[27:28], v[25:26]
	v_fma_f64 v[21:22], v[19:20], v[21:22], s[38:39]
	s_delay_alu instid0(VALU_DEP_2) | instskip(NEXT) | instid1(VALU_DEP_2)
	v_add_f64 v[27:28], v[29:30], -v[27:28]
	v_fma_f64 v[21:22], v[19:20], v[21:22], s[40:41]
	s_delay_alu instid0(VALU_DEP_2) | instskip(NEXT) | instid1(VALU_DEP_2)
	v_add_f64 v[25:26], v[25:26], -v[27:28]
	v_fma_f64 v[21:22], v[19:20], v[21:22], s[42:43]
	s_delay_alu instid0(VALU_DEP_1) | instskip(NEXT) | instid1(VALU_DEP_1)
	v_fma_f64 v[21:22], v[19:20], v[21:22], s[44:45]
	v_mul_f64 v[31:32], v[29:30], v[21:22]
	s_delay_alu instid0(VALU_DEP_1) | instskip(NEXT) | instid1(VALU_DEP_1)
	v_fma_f64 v[27:28], v[29:30], v[21:22], -v[31:32]
	v_fma_f64 v[21:22], v[25:26], v[21:22], v[27:28]
	s_delay_alu instid0(VALU_DEP_1) | instskip(NEXT) | instid1(VALU_DEP_1)
	v_add_f64 v[25:26], v[31:32], v[21:22]
	v_add_f64 v[27:28], v[19:20], v[25:26]
	v_add_f64 v[29:30], v[25:26], -v[31:32]
	s_delay_alu instid0(VALU_DEP_2) | instskip(NEXT) | instid1(VALU_DEP_2)
	v_add_f64 v[19:20], v[27:28], -v[19:20]
	v_add_f64 v[21:22], v[21:22], -v[29:30]
	v_cvt_i32_f64_e32 v29, v[23:24]
	s_delay_alu instid0(VALU_DEP_3) | instskip(NEXT) | instid1(VALU_DEP_3)
	v_add_f64 v[19:20], v[25:26], -v[19:20]
	v_add_f64 v[11:12], v[11:12], v[21:22]
	s_delay_alu instid0(VALU_DEP_1) | instskip(NEXT) | instid1(VALU_DEP_1)
	v_add_f64 v[11:12], v[11:12], v[19:20]
	v_add_f64 v[19:20], v[27:28], v[11:12]
	s_delay_alu instid0(VALU_DEP_1) | instskip(SKIP_1) | instid1(VALU_DEP_2)
	v_add_f64 v[21:22], v[19:20], 1.0
	v_add_f64 v[25:26], v[19:20], -v[27:28]
	v_add_f64 v[27:28], v[21:22], -1.0
	s_delay_alu instid0(VALU_DEP_2) | instskip(NEXT) | instid1(VALU_DEP_2)
	v_add_f64 v[11:12], v[11:12], -v[25:26]
	v_add_f64 v[19:20], v[19:20], -v[27:28]
	s_delay_alu instid0(VALU_DEP_1) | instskip(NEXT) | instid1(VALU_DEP_1)
	v_add_f64 v[11:12], v[11:12], v[19:20]
	v_add_f64 v[19:20], v[21:22], v[11:12]
	s_delay_alu instid0(VALU_DEP_1) | instskip(SKIP_1) | instid1(VALU_DEP_2)
	v_ldexp_f64 v[23:24], v[19:20], v29
	v_add_f64 v[19:20], v[19:20], -v[21:22]
	v_rcp_f64_e32 v[25:26], v[23:24]
	s_delay_alu instid0(VALU_DEP_1) | instskip(NEXT) | instid1(VALU_DEP_1)
	v_add_f64 v[11:12], v[11:12], -v[19:20]
	v_ldexp_f64 v[11:12], v[11:12], v29
	s_waitcnt_depctr 0xfff
	v_fma_f64 v[27:28], -v[23:24], v[25:26], 1.0
	s_delay_alu instid0(VALU_DEP_1) | instskip(NEXT) | instid1(VALU_DEP_1)
	v_fma_f64 v[25:26], v[27:28], v[25:26], v[25:26]
	v_fma_f64 v[27:28], -v[23:24], v[25:26], 1.0
	s_delay_alu instid0(VALU_DEP_1) | instskip(NEXT) | instid1(VALU_DEP_1)
	v_fma_f64 v[21:22], v[27:28], v[25:26], v[25:26]
	v_mul_f64 v[19:20], v[23:24], v[21:22]
	s_delay_alu instid0(VALU_DEP_1) | instskip(NEXT) | instid1(VALU_DEP_1)
	v_fma_f64 v[25:26], v[21:22], v[23:24], -v[19:20]
	v_fma_f64 v[25:26], v[21:22], v[11:12], v[25:26]
	s_delay_alu instid0(VALU_DEP_1) | instskip(NEXT) | instid1(VALU_DEP_1)
	v_add_f64 v[27:28], v[19:20], v[25:26]
	v_add_f64 v[29:30], -v[27:28], 1.0
	v_add_f64 v[19:20], v[27:28], -v[19:20]
	s_delay_alu instid0(VALU_DEP_2) | instskip(NEXT) | instid1(VALU_DEP_2)
	v_add_f64 v[31:32], -v[29:30], 1.0
	v_add_f64 v[19:20], v[19:20], -v[25:26]
	s_delay_alu instid0(VALU_DEP_2) | instskip(NEXT) | instid1(VALU_DEP_1)
	v_add_f64 v[25:26], v[31:32], -v[27:28]
	v_add_f64 v[19:20], v[19:20], v[25:26]
	s_delay_alu instid0(VALU_DEP_1) | instskip(NEXT) | instid1(VALU_DEP_1)
	v_add_f64 v[25:26], v[29:30], v[19:20]
	v_mul_f64 v[27:28], v[21:22], v[25:26]
	v_add_f64 v[29:30], v[29:30], -v[25:26]
	s_delay_alu instid0(VALU_DEP_2) | instskip(NEXT) | instid1(VALU_DEP_2)
	v_mul_f64 v[31:32], v[23:24], v[27:28]
	v_add_f64 v[19:20], v[19:20], v[29:30]
	s_delay_alu instid0(VALU_DEP_2) | instskip(NEXT) | instid1(VALU_DEP_1)
	v_fma_f64 v[33:34], v[27:28], v[23:24], -v[31:32]
	v_fma_f64 v[33:34], v[27:28], v[11:12], v[33:34]
	s_delay_alu instid0(VALU_DEP_1) | instskip(NEXT) | instid1(VALU_DEP_1)
	v_add_f64 v[35:36], v[31:32], v[33:34]
	v_add_f64 v[37:38], v[25:26], -v[35:36]
	v_add_f64 v[29:30], v[35:36], -v[31:32]
	s_delay_alu instid0(VALU_DEP_2) | instskip(NEXT) | instid1(VALU_DEP_2)
	v_add_f64 v[25:26], v[25:26], -v[37:38]
	v_add_f64 v[29:30], v[29:30], -v[33:34]
	s_delay_alu instid0(VALU_DEP_2) | instskip(NEXT) | instid1(VALU_DEP_1)
	v_add_f64 v[25:26], v[25:26], -v[35:36]
	v_add_f64 v[19:20], v[19:20], v[25:26]
	v_add_f64 v[25:26], v[21:22], v[27:28]
	s_delay_alu instid0(VALU_DEP_2) | instskip(NEXT) | instid1(VALU_DEP_2)
	v_add_f64 v[19:20], v[29:30], v[19:20]
	v_add_f64 v[29:30], v[25:26], -v[21:22]
	s_delay_alu instid0(VALU_DEP_2) | instskip(NEXT) | instid1(VALU_DEP_2)
	v_add_f64 v[19:20], v[37:38], v[19:20]
	v_add_f64 v[27:28], v[27:28], -v[29:30]
	s_delay_alu instid0(VALU_DEP_2) | instskip(NEXT) | instid1(VALU_DEP_1)
	v_mul_f64 v[19:20], v[21:22], v[19:20]
	v_add_f64 v[19:20], v[27:28], v[19:20]
	s_delay_alu instid0(VALU_DEP_1) | instskip(NEXT) | instid1(VALU_DEP_1)
	v_add_f64 v[21:22], v[25:26], v[19:20]
	v_ldexp_f64 v[27:28], v[21:22], -2
	v_add_f64 v[21:22], v[21:22], -v[25:26]
	s_delay_alu instid0(VALU_DEP_2) | instskip(NEXT) | instid1(VALU_DEP_2)
	v_add_f64 v[25:26], v[23:24], v[27:28]
	v_add_f64 v[19:20], v[19:20], -v[21:22]
	s_delay_alu instid0(VALU_DEP_2) | instskip(NEXT) | instid1(VALU_DEP_2)
	v_add_f64 v[21:22], v[25:26], -v[23:24]
	v_ldexp_f64 v[19:20], v[19:20], -2
	s_delay_alu instid0(VALU_DEP_2) | instskip(NEXT) | instid1(VALU_DEP_2)
	v_add_f64 v[21:22], v[27:28], -v[21:22]
	v_add_f64 v[11:12], v[11:12], v[19:20]
	s_delay_alu instid0(VALU_DEP_1) | instskip(NEXT) | instid1(VALU_DEP_1)
	v_add_f64 v[11:12], v[11:12], v[21:22]
	v_add_f64 v[11:12], v[25:26], v[11:12]
	s_delay_alu instid0(VALU_DEP_1) | instskip(NEXT) | instid1(VALU_DEP_2)
	v_cndmask_b32_e64 v10, 0x7ff00000, v12, s3
	v_cndmask_b32_e64 v9, 0, v11, s3
	global_store_b64 v[3:4], v[9:10], off
	s_or_b32 exec_lo, exec_lo, s4
	s_and_saveexec_b32 s3, s2
	s_cbranch_execz .LBB86_14
.LBB86_18:                              ;   in Loop: Header=BB86_4 Depth=1
	s_waitcnt vmcnt(0)
	v_add_f64 v[9:10], |v[7:8]|, s[14:15]
	s_mov_b32 s50, s14
	s_mov_b32 s53, s15
	v_cmp_nge_f64_e64 s2, |v[7:8]|, s[46:47]
	s_delay_alu instid0(VALU_DEP_2) | instskip(NEXT) | instid1(VALU_DEP_1)
	v_add_f64 v[11:12], v[9:10], -|v[7:8]|
	v_add_f64 v[19:20], v[11:12], -v[9:10]
	v_add_f64 v[11:12], v[11:12], s[50:51]
	s_delay_alu instid0(VALU_DEP_2) | instskip(NEXT) | instid1(VALU_DEP_1)
	v_add_f64 v[19:20], |v[7:8]|, v[19:20]
	v_add_f64 v[11:12], v[19:20], -v[11:12]
	s_delay_alu instid0(VALU_DEP_1) | instskip(NEXT) | instid1(VALU_DEP_1)
	v_add_f64 v[11:12], v[11:12], s[16:17]
	v_add_f64 v[19:20], v[9:10], v[11:12]
	s_delay_alu instid0(VALU_DEP_1) | instskip(SKIP_1) | instid1(VALU_DEP_2)
	v_mul_f64 v[21:22], v[19:20], s[18:19]
	v_add_f64 v[9:10], v[9:10], -v[19:20]
	v_rndne_f64_e32 v[21:22], v[21:22]
	s_delay_alu instid0(VALU_DEP_2) | instskip(NEXT) | instid1(VALU_DEP_2)
	v_add_f64 v[9:10], v[11:12], v[9:10]
	v_fma_f64 v[11:12], v[21:22], s[52:53], v[19:20]
	v_mul_f64 v[19:20], v[21:22], s[20:21]
	s_delay_alu instid0(VALU_DEP_2) | instskip(NEXT) | instid1(VALU_DEP_1)
	v_add_f64 v[23:24], v[9:10], v[11:12]
	v_add_f64 v[25:26], v[23:24], v[19:20]
	v_add_f64 v[11:12], v[11:12], -v[23:24]
	s_delay_alu instid0(VALU_DEP_2) | instskip(NEXT) | instid1(VALU_DEP_2)
	v_add_f64 v[23:24], v[23:24], -v[25:26]
	v_add_f64 v[9:10], v[9:10], v[11:12]
	s_delay_alu instid0(VALU_DEP_2) | instskip(NEXT) | instid1(VALU_DEP_1)
	v_add_f64 v[11:12], v[23:24], v[19:20]
	v_add_f64 v[9:10], v[9:10], v[11:12]
	v_mul_f64 v[11:12], v[21:22], s[22:23]
	s_delay_alu instid0(VALU_DEP_2) | instskip(NEXT) | instid1(VALU_DEP_1)
	v_add_f64 v[19:20], v[25:26], v[9:10]
	v_add_f64 v[23:24], v[19:20], v[11:12]
	v_add_f64 v[25:26], v[25:26], -v[19:20]
	s_delay_alu instid0(VALU_DEP_2) | instskip(NEXT) | instid1(VALU_DEP_2)
	v_add_f64 v[19:20], v[19:20], -v[23:24]
	v_add_f64 v[9:10], v[9:10], v[25:26]
	s_delay_alu instid0(VALU_DEP_2) | instskip(NEXT) | instid1(VALU_DEP_1)
	v_add_f64 v[11:12], v[19:20], v[11:12]
	v_add_f64 v[9:10], v[9:10], v[11:12]
	s_delay_alu instid0(VALU_DEP_1) | instskip(NEXT) | instid1(VALU_DEP_1)
	v_add_f64 v[11:12], v[23:24], v[9:10]
	v_fma_f64 v[19:20], v[11:12], s[26:27], s[24:25]
	v_add_f64 v[23:24], v[23:24], -v[11:12]
	v_mul_f64 v[25:26], v[11:12], v[11:12]
	s_delay_alu instid0(VALU_DEP_3) | instskip(NEXT) | instid1(VALU_DEP_3)
	v_fma_f64 v[19:20], v[11:12], v[19:20], s[28:29]
	v_add_f64 v[9:10], v[9:10], v[23:24]
	s_delay_alu instid0(VALU_DEP_3) | instskip(NEXT) | instid1(VALU_DEP_3)
	v_fma_f64 v[23:24], v[11:12], v[11:12], -v[25:26]
	v_fma_f64 v[19:20], v[11:12], v[19:20], s[30:31]
	s_delay_alu instid0(VALU_DEP_3) | instskip(NEXT) | instid1(VALU_DEP_2)
	v_add_f64 v[27:28], v[9:10], v[9:10]
	v_fma_f64 v[19:20], v[11:12], v[19:20], s[34:35]
	s_delay_alu instid0(VALU_DEP_2) | instskip(NEXT) | instid1(VALU_DEP_2)
	v_fma_f64 v[23:24], v[11:12], v[27:28], v[23:24]
	v_fma_f64 v[19:20], v[11:12], v[19:20], s[36:37]
	s_delay_alu instid0(VALU_DEP_2) | instskip(NEXT) | instid1(VALU_DEP_2)
	v_add_f64 v[27:28], v[25:26], v[23:24]
	v_fma_f64 v[19:20], v[11:12], v[19:20], s[38:39]
	s_delay_alu instid0(VALU_DEP_2) | instskip(NEXT) | instid1(VALU_DEP_2)
	v_add_f64 v[25:26], v[27:28], -v[25:26]
	v_fma_f64 v[19:20], v[11:12], v[19:20], s[40:41]
	s_delay_alu instid0(VALU_DEP_2) | instskip(NEXT) | instid1(VALU_DEP_2)
	v_add_f64 v[23:24], v[23:24], -v[25:26]
	v_fma_f64 v[19:20], v[11:12], v[19:20], s[42:43]
	s_delay_alu instid0(VALU_DEP_1) | instskip(NEXT) | instid1(VALU_DEP_1)
	v_fma_f64 v[19:20], v[11:12], v[19:20], s[44:45]
	v_mul_f64 v[29:30], v[27:28], v[19:20]
	s_delay_alu instid0(VALU_DEP_1) | instskip(NEXT) | instid1(VALU_DEP_1)
	v_fma_f64 v[25:26], v[27:28], v[19:20], -v[29:30]
	v_fma_f64 v[19:20], v[23:24], v[19:20], v[25:26]
	s_delay_alu instid0(VALU_DEP_1) | instskip(NEXT) | instid1(VALU_DEP_1)
	v_add_f64 v[23:24], v[29:30], v[19:20]
	v_add_f64 v[25:26], v[11:12], v[23:24]
	v_add_f64 v[27:28], v[23:24], -v[29:30]
	s_delay_alu instid0(VALU_DEP_2) | instskip(NEXT) | instid1(VALU_DEP_2)
	v_add_f64 v[11:12], v[25:26], -v[11:12]
	v_add_f64 v[19:20], v[19:20], -v[27:28]
	v_cvt_i32_f64_e32 v27, v[21:22]
	s_delay_alu instid0(VALU_DEP_3) | instskip(NEXT) | instid1(VALU_DEP_3)
	v_add_f64 v[11:12], v[23:24], -v[11:12]
	v_add_f64 v[9:10], v[9:10], v[19:20]
	s_delay_alu instid0(VALU_DEP_1) | instskip(NEXT) | instid1(VALU_DEP_1)
	v_add_f64 v[9:10], v[9:10], v[11:12]
	v_add_f64 v[11:12], v[25:26], v[9:10]
	s_delay_alu instid0(VALU_DEP_1) | instskip(SKIP_1) | instid1(VALU_DEP_2)
	v_add_f64 v[19:20], v[11:12], 1.0
	v_add_f64 v[23:24], v[11:12], -v[25:26]
	v_add_f64 v[25:26], v[19:20], -1.0
	s_delay_alu instid0(VALU_DEP_2) | instskip(NEXT) | instid1(VALU_DEP_2)
	v_add_f64 v[9:10], v[9:10], -v[23:24]
	v_add_f64 v[11:12], v[11:12], -v[25:26]
	s_delay_alu instid0(VALU_DEP_1) | instskip(NEXT) | instid1(VALU_DEP_1)
	v_add_f64 v[9:10], v[9:10], v[11:12]
	v_add_f64 v[11:12], v[19:20], v[9:10]
	s_delay_alu instid0(VALU_DEP_1) | instskip(SKIP_1) | instid1(VALU_DEP_2)
	v_ldexp_f64 v[21:22], v[11:12], v27
	v_add_f64 v[11:12], v[11:12], -v[19:20]
	v_rcp_f64_e32 v[23:24], v[21:22]
	s_delay_alu instid0(VALU_DEP_1) | instskip(NEXT) | instid1(VALU_DEP_1)
	v_add_f64 v[9:10], v[9:10], -v[11:12]
	v_ldexp_f64 v[9:10], v[9:10], v27
	s_waitcnt_depctr 0xfff
	v_fma_f64 v[25:26], -v[21:22], v[23:24], 1.0
	s_delay_alu instid0(VALU_DEP_1) | instskip(NEXT) | instid1(VALU_DEP_1)
	v_fma_f64 v[23:24], v[25:26], v[23:24], v[23:24]
	v_fma_f64 v[25:26], -v[21:22], v[23:24], 1.0
	s_delay_alu instid0(VALU_DEP_1) | instskip(NEXT) | instid1(VALU_DEP_1)
	v_fma_f64 v[19:20], v[25:26], v[23:24], v[23:24]
	v_mul_f64 v[11:12], v[21:22], v[19:20]
	s_delay_alu instid0(VALU_DEP_1) | instskip(NEXT) | instid1(VALU_DEP_1)
	v_fma_f64 v[23:24], v[19:20], v[21:22], -v[11:12]
	v_fma_f64 v[23:24], v[19:20], v[9:10], v[23:24]
	s_delay_alu instid0(VALU_DEP_1) | instskip(NEXT) | instid1(VALU_DEP_1)
	v_add_f64 v[25:26], v[11:12], v[23:24]
	v_add_f64 v[27:28], -v[25:26], 1.0
	v_add_f64 v[11:12], v[25:26], -v[11:12]
	s_delay_alu instid0(VALU_DEP_2) | instskip(NEXT) | instid1(VALU_DEP_2)
	v_add_f64 v[29:30], -v[27:28], 1.0
	v_add_f64 v[11:12], v[11:12], -v[23:24]
	s_delay_alu instid0(VALU_DEP_2) | instskip(NEXT) | instid1(VALU_DEP_1)
	v_add_f64 v[23:24], v[29:30], -v[25:26]
	v_add_f64 v[11:12], v[11:12], v[23:24]
	s_delay_alu instid0(VALU_DEP_1) | instskip(NEXT) | instid1(VALU_DEP_1)
	v_add_f64 v[23:24], v[27:28], v[11:12]
	v_mul_f64 v[25:26], v[19:20], v[23:24]
	v_add_f64 v[27:28], v[27:28], -v[23:24]
	s_delay_alu instid0(VALU_DEP_2) | instskip(NEXT) | instid1(VALU_DEP_2)
	v_mul_f64 v[29:30], v[21:22], v[25:26]
	v_add_f64 v[11:12], v[11:12], v[27:28]
	s_delay_alu instid0(VALU_DEP_2) | instskip(NEXT) | instid1(VALU_DEP_1)
	v_fma_f64 v[31:32], v[25:26], v[21:22], -v[29:30]
	v_fma_f64 v[31:32], v[25:26], v[9:10], v[31:32]
	s_delay_alu instid0(VALU_DEP_1) | instskip(NEXT) | instid1(VALU_DEP_1)
	v_add_f64 v[33:34], v[29:30], v[31:32]
	v_add_f64 v[35:36], v[23:24], -v[33:34]
	v_add_f64 v[27:28], v[33:34], -v[29:30]
	s_delay_alu instid0(VALU_DEP_2) | instskip(NEXT) | instid1(VALU_DEP_2)
	v_add_f64 v[23:24], v[23:24], -v[35:36]
	v_add_f64 v[27:28], v[27:28], -v[31:32]
	s_delay_alu instid0(VALU_DEP_2) | instskip(NEXT) | instid1(VALU_DEP_1)
	v_add_f64 v[23:24], v[23:24], -v[33:34]
	v_add_f64 v[11:12], v[11:12], v[23:24]
	v_add_f64 v[23:24], v[19:20], v[25:26]
	s_delay_alu instid0(VALU_DEP_2) | instskip(NEXT) | instid1(VALU_DEP_2)
	v_add_f64 v[11:12], v[27:28], v[11:12]
	v_add_f64 v[27:28], v[23:24], -v[19:20]
	s_delay_alu instid0(VALU_DEP_2) | instskip(NEXT) | instid1(VALU_DEP_2)
	v_add_f64 v[11:12], v[35:36], v[11:12]
	v_add_f64 v[25:26], v[25:26], -v[27:28]
	s_delay_alu instid0(VALU_DEP_2) | instskip(NEXT) | instid1(VALU_DEP_1)
	v_mul_f64 v[11:12], v[19:20], v[11:12]
	v_add_f64 v[11:12], v[25:26], v[11:12]
	s_delay_alu instid0(VALU_DEP_1) | instskip(NEXT) | instid1(VALU_DEP_1)
	v_add_f64 v[19:20], v[23:24], v[11:12]
	v_ldexp_f64 v[25:26], v[19:20], -2
	v_add_f64 v[19:20], v[19:20], -v[23:24]
	s_delay_alu instid0(VALU_DEP_2) | instskip(NEXT) | instid1(VALU_DEP_2)
	v_add_f64 v[23:24], v[21:22], v[25:26]
	v_add_f64 v[11:12], v[11:12], -v[19:20]
	s_delay_alu instid0(VALU_DEP_2) | instskip(NEXT) | instid1(VALU_DEP_2)
	v_add_f64 v[19:20], v[23:24], -v[21:22]
	v_ldexp_f64 v[11:12], v[11:12], -2
	s_delay_alu instid0(VALU_DEP_2) | instskip(NEXT) | instid1(VALU_DEP_2)
	v_add_f64 v[19:20], v[25:26], -v[19:20]
	v_add_f64 v[9:10], v[9:10], v[11:12]
	s_delay_alu instid0(VALU_DEP_1) | instskip(NEXT) | instid1(VALU_DEP_1)
	v_add_f64 v[9:10], v[9:10], v[19:20]
	v_add_f64 v[9:10], v[23:24], v[9:10]
	s_delay_alu instid0(VALU_DEP_1) | instskip(NEXT) | instid1(VALU_DEP_2)
	v_cndmask_b32_e64 v8, 0x7ff00000, v10, s2
	v_cndmask_b32_e64 v7, 0, v9, s2
	v_add_co_u32 v9, s2, v1, s56
	s_delay_alu instid0(VALU_DEP_1)
	v_add_co_ci_u32_e64 v10, s2, 0, v2, s2
	global_store_b64 v[9:10], v[7:8], off
	s_or_b32 exec_lo, exec_lo, s3
	s_and_saveexec_b32 s2, vcc_lo
	s_cbranch_execz .LBB86_3
.LBB86_19:                              ;   in Loop: Header=BB86_4 Depth=1
	s_waitcnt vmcnt(0)
	v_add_f64 v[7:8], |v[5:6]|, s[14:15]
	s_mov_b32 s50, s14
	s_mov_b32 s53, s15
	v_cmp_nge_f64_e64 vcc_lo, |v[5:6]|, s[46:47]
	s_delay_alu instid0(VALU_DEP_2) | instskip(NEXT) | instid1(VALU_DEP_1)
	v_add_f64 v[9:10], v[7:8], -|v[5:6]|
	v_add_f64 v[11:12], v[9:10], -v[7:8]
	v_add_f64 v[9:10], v[9:10], s[50:51]
	s_delay_alu instid0(VALU_DEP_2) | instskip(NEXT) | instid1(VALU_DEP_1)
	v_add_f64 v[11:12], |v[5:6]|, v[11:12]
	v_add_f64 v[9:10], v[11:12], -v[9:10]
	s_delay_alu instid0(VALU_DEP_1) | instskip(NEXT) | instid1(VALU_DEP_1)
	v_add_f64 v[9:10], v[9:10], s[16:17]
	v_add_f64 v[11:12], v[7:8], v[9:10]
	s_delay_alu instid0(VALU_DEP_1) | instskip(SKIP_1) | instid1(VALU_DEP_2)
	v_mul_f64 v[19:20], v[11:12], s[18:19]
	v_add_f64 v[7:8], v[7:8], -v[11:12]
	v_rndne_f64_e32 v[19:20], v[19:20]
	s_delay_alu instid0(VALU_DEP_2) | instskip(NEXT) | instid1(VALU_DEP_2)
	v_add_f64 v[7:8], v[9:10], v[7:8]
	v_fma_f64 v[9:10], v[19:20], s[52:53], v[11:12]
	v_mul_f64 v[11:12], v[19:20], s[20:21]
	s_delay_alu instid0(VALU_DEP_2) | instskip(NEXT) | instid1(VALU_DEP_1)
	v_add_f64 v[21:22], v[7:8], v[9:10]
	v_add_f64 v[23:24], v[21:22], v[11:12]
	v_add_f64 v[9:10], v[9:10], -v[21:22]
	s_delay_alu instid0(VALU_DEP_2) | instskip(NEXT) | instid1(VALU_DEP_2)
	v_add_f64 v[21:22], v[21:22], -v[23:24]
	v_add_f64 v[7:8], v[7:8], v[9:10]
	s_delay_alu instid0(VALU_DEP_2) | instskip(NEXT) | instid1(VALU_DEP_1)
	v_add_f64 v[9:10], v[21:22], v[11:12]
	v_add_f64 v[7:8], v[7:8], v[9:10]
	v_mul_f64 v[9:10], v[19:20], s[22:23]
	s_delay_alu instid0(VALU_DEP_2) | instskip(NEXT) | instid1(VALU_DEP_1)
	v_add_f64 v[11:12], v[23:24], v[7:8]
	v_add_f64 v[21:22], v[11:12], v[9:10]
	v_add_f64 v[23:24], v[23:24], -v[11:12]
	s_delay_alu instid0(VALU_DEP_2) | instskip(NEXT) | instid1(VALU_DEP_2)
	v_add_f64 v[11:12], v[11:12], -v[21:22]
	v_add_f64 v[7:8], v[7:8], v[23:24]
	s_delay_alu instid0(VALU_DEP_2) | instskip(NEXT) | instid1(VALU_DEP_1)
	v_add_f64 v[9:10], v[11:12], v[9:10]
	v_add_f64 v[7:8], v[7:8], v[9:10]
	s_delay_alu instid0(VALU_DEP_1) | instskip(NEXT) | instid1(VALU_DEP_1)
	v_add_f64 v[9:10], v[21:22], v[7:8]
	v_fma_f64 v[11:12], v[9:10], s[26:27], s[24:25]
	v_add_f64 v[21:22], v[21:22], -v[9:10]
	v_mul_f64 v[23:24], v[9:10], v[9:10]
	s_delay_alu instid0(VALU_DEP_3) | instskip(NEXT) | instid1(VALU_DEP_3)
	v_fma_f64 v[11:12], v[9:10], v[11:12], s[28:29]
	v_add_f64 v[7:8], v[7:8], v[21:22]
	s_delay_alu instid0(VALU_DEP_3) | instskip(NEXT) | instid1(VALU_DEP_3)
	v_fma_f64 v[21:22], v[9:10], v[9:10], -v[23:24]
	v_fma_f64 v[11:12], v[9:10], v[11:12], s[30:31]
	s_delay_alu instid0(VALU_DEP_3) | instskip(NEXT) | instid1(VALU_DEP_2)
	v_add_f64 v[25:26], v[7:8], v[7:8]
	v_fma_f64 v[11:12], v[9:10], v[11:12], s[34:35]
	s_delay_alu instid0(VALU_DEP_2) | instskip(NEXT) | instid1(VALU_DEP_2)
	v_fma_f64 v[21:22], v[9:10], v[25:26], v[21:22]
	v_fma_f64 v[11:12], v[9:10], v[11:12], s[36:37]
	s_delay_alu instid0(VALU_DEP_2) | instskip(NEXT) | instid1(VALU_DEP_2)
	v_add_f64 v[25:26], v[23:24], v[21:22]
	v_fma_f64 v[11:12], v[9:10], v[11:12], s[38:39]
	s_delay_alu instid0(VALU_DEP_2) | instskip(NEXT) | instid1(VALU_DEP_2)
	v_add_f64 v[23:24], v[25:26], -v[23:24]
	v_fma_f64 v[11:12], v[9:10], v[11:12], s[40:41]
	s_delay_alu instid0(VALU_DEP_2) | instskip(NEXT) | instid1(VALU_DEP_2)
	v_add_f64 v[21:22], v[21:22], -v[23:24]
	v_fma_f64 v[11:12], v[9:10], v[11:12], s[42:43]
	s_delay_alu instid0(VALU_DEP_1) | instskip(NEXT) | instid1(VALU_DEP_1)
	v_fma_f64 v[11:12], v[9:10], v[11:12], s[44:45]
	v_mul_f64 v[27:28], v[25:26], v[11:12]
	s_delay_alu instid0(VALU_DEP_1) | instskip(NEXT) | instid1(VALU_DEP_1)
	v_fma_f64 v[23:24], v[25:26], v[11:12], -v[27:28]
	v_fma_f64 v[11:12], v[21:22], v[11:12], v[23:24]
	s_delay_alu instid0(VALU_DEP_1) | instskip(NEXT) | instid1(VALU_DEP_1)
	v_add_f64 v[21:22], v[27:28], v[11:12]
	v_add_f64 v[23:24], v[9:10], v[21:22]
	v_add_f64 v[25:26], v[21:22], -v[27:28]
	s_delay_alu instid0(VALU_DEP_2) | instskip(NEXT) | instid1(VALU_DEP_2)
	v_add_f64 v[9:10], v[23:24], -v[9:10]
	v_add_f64 v[11:12], v[11:12], -v[25:26]
	v_cvt_i32_f64_e32 v25, v[19:20]
	s_delay_alu instid0(VALU_DEP_3) | instskip(NEXT) | instid1(VALU_DEP_3)
	v_add_f64 v[9:10], v[21:22], -v[9:10]
	v_add_f64 v[7:8], v[7:8], v[11:12]
	s_delay_alu instid0(VALU_DEP_1) | instskip(NEXT) | instid1(VALU_DEP_1)
	v_add_f64 v[7:8], v[7:8], v[9:10]
	v_add_f64 v[9:10], v[23:24], v[7:8]
	s_delay_alu instid0(VALU_DEP_1) | instskip(SKIP_1) | instid1(VALU_DEP_2)
	v_add_f64 v[11:12], v[9:10], 1.0
	v_add_f64 v[21:22], v[9:10], -v[23:24]
	v_add_f64 v[23:24], v[11:12], -1.0
	s_delay_alu instid0(VALU_DEP_2) | instskip(NEXT) | instid1(VALU_DEP_2)
	v_add_f64 v[7:8], v[7:8], -v[21:22]
	v_add_f64 v[9:10], v[9:10], -v[23:24]
	s_delay_alu instid0(VALU_DEP_1) | instskip(NEXT) | instid1(VALU_DEP_1)
	v_add_f64 v[7:8], v[7:8], v[9:10]
	v_add_f64 v[9:10], v[11:12], v[7:8]
	s_delay_alu instid0(VALU_DEP_1) | instskip(SKIP_1) | instid1(VALU_DEP_2)
	v_ldexp_f64 v[19:20], v[9:10], v25
	v_add_f64 v[9:10], v[9:10], -v[11:12]
	v_rcp_f64_e32 v[21:22], v[19:20]
	s_delay_alu instid0(VALU_DEP_1) | instskip(NEXT) | instid1(VALU_DEP_1)
	v_add_f64 v[7:8], v[7:8], -v[9:10]
	v_ldexp_f64 v[7:8], v[7:8], v25
	s_waitcnt_depctr 0xfff
	v_fma_f64 v[23:24], -v[19:20], v[21:22], 1.0
	s_delay_alu instid0(VALU_DEP_1) | instskip(NEXT) | instid1(VALU_DEP_1)
	v_fma_f64 v[21:22], v[23:24], v[21:22], v[21:22]
	v_fma_f64 v[23:24], -v[19:20], v[21:22], 1.0
	s_delay_alu instid0(VALU_DEP_1) | instskip(NEXT) | instid1(VALU_DEP_1)
	v_fma_f64 v[11:12], v[23:24], v[21:22], v[21:22]
	v_mul_f64 v[9:10], v[19:20], v[11:12]
	s_delay_alu instid0(VALU_DEP_1) | instskip(NEXT) | instid1(VALU_DEP_1)
	v_fma_f64 v[21:22], v[11:12], v[19:20], -v[9:10]
	v_fma_f64 v[21:22], v[11:12], v[7:8], v[21:22]
	s_delay_alu instid0(VALU_DEP_1) | instskip(NEXT) | instid1(VALU_DEP_1)
	v_add_f64 v[23:24], v[9:10], v[21:22]
	v_add_f64 v[25:26], -v[23:24], 1.0
	v_add_f64 v[9:10], v[23:24], -v[9:10]
	s_delay_alu instid0(VALU_DEP_2) | instskip(NEXT) | instid1(VALU_DEP_2)
	v_add_f64 v[27:28], -v[25:26], 1.0
	v_add_f64 v[9:10], v[9:10], -v[21:22]
	s_delay_alu instid0(VALU_DEP_2) | instskip(NEXT) | instid1(VALU_DEP_1)
	v_add_f64 v[21:22], v[27:28], -v[23:24]
	v_add_f64 v[9:10], v[9:10], v[21:22]
	s_delay_alu instid0(VALU_DEP_1) | instskip(NEXT) | instid1(VALU_DEP_1)
	v_add_f64 v[21:22], v[25:26], v[9:10]
	v_mul_f64 v[23:24], v[11:12], v[21:22]
	v_add_f64 v[25:26], v[25:26], -v[21:22]
	s_delay_alu instid0(VALU_DEP_2) | instskip(NEXT) | instid1(VALU_DEP_2)
	v_mul_f64 v[27:28], v[19:20], v[23:24]
	v_add_f64 v[9:10], v[9:10], v[25:26]
	s_delay_alu instid0(VALU_DEP_2) | instskip(NEXT) | instid1(VALU_DEP_1)
	v_fma_f64 v[29:30], v[23:24], v[19:20], -v[27:28]
	v_fma_f64 v[29:30], v[23:24], v[7:8], v[29:30]
	s_delay_alu instid0(VALU_DEP_1) | instskip(NEXT) | instid1(VALU_DEP_1)
	v_add_f64 v[31:32], v[27:28], v[29:30]
	v_add_f64 v[33:34], v[21:22], -v[31:32]
	v_add_f64 v[25:26], v[31:32], -v[27:28]
	s_delay_alu instid0(VALU_DEP_2) | instskip(NEXT) | instid1(VALU_DEP_2)
	v_add_f64 v[21:22], v[21:22], -v[33:34]
	v_add_f64 v[25:26], v[25:26], -v[29:30]
	s_delay_alu instid0(VALU_DEP_2) | instskip(NEXT) | instid1(VALU_DEP_1)
	v_add_f64 v[21:22], v[21:22], -v[31:32]
	v_add_f64 v[9:10], v[9:10], v[21:22]
	v_add_f64 v[21:22], v[11:12], v[23:24]
	s_delay_alu instid0(VALU_DEP_2) | instskip(NEXT) | instid1(VALU_DEP_2)
	v_add_f64 v[9:10], v[25:26], v[9:10]
	v_add_f64 v[25:26], v[21:22], -v[11:12]
	s_delay_alu instid0(VALU_DEP_2) | instskip(NEXT) | instid1(VALU_DEP_2)
	v_add_f64 v[9:10], v[33:34], v[9:10]
	v_add_f64 v[23:24], v[23:24], -v[25:26]
	s_delay_alu instid0(VALU_DEP_2) | instskip(NEXT) | instid1(VALU_DEP_1)
	v_mul_f64 v[9:10], v[11:12], v[9:10]
	v_add_f64 v[9:10], v[23:24], v[9:10]
	s_delay_alu instid0(VALU_DEP_1) | instskip(NEXT) | instid1(VALU_DEP_1)
	v_add_f64 v[11:12], v[21:22], v[9:10]
	v_ldexp_f64 v[23:24], v[11:12], -2
	v_add_f64 v[11:12], v[11:12], -v[21:22]
	s_delay_alu instid0(VALU_DEP_2) | instskip(NEXT) | instid1(VALU_DEP_2)
	v_add_f64 v[21:22], v[19:20], v[23:24]
	v_add_f64 v[9:10], v[9:10], -v[11:12]
	s_delay_alu instid0(VALU_DEP_2) | instskip(NEXT) | instid1(VALU_DEP_2)
	v_add_f64 v[11:12], v[21:22], -v[19:20]
	v_ldexp_f64 v[9:10], v[9:10], -2
	s_delay_alu instid0(VALU_DEP_2) | instskip(NEXT) | instid1(VALU_DEP_2)
	v_add_f64 v[11:12], v[23:24], -v[11:12]
	v_add_f64 v[7:8], v[7:8], v[9:10]
	s_delay_alu instid0(VALU_DEP_1) | instskip(NEXT) | instid1(VALU_DEP_1)
	v_add_f64 v[7:8], v[7:8], v[11:12]
	v_add_f64 v[7:8], v[21:22], v[7:8]
	s_delay_alu instid0(VALU_DEP_1) | instskip(NEXT) | instid1(VALU_DEP_2)
	v_cndmask_b32_e32 v6, 0x7ff00000, v8, vcc_lo
	v_cndmask_b32_e32 v5, 0, v7, vcc_lo
	v_add_co_u32 v7, vcc_lo, v1, s54
	v_add_co_ci_u32_e32 v8, vcc_lo, 0, v2, vcc_lo
	global_store_b64 v[7:8], v[5:6], off
	s_branch .LBB86_3
.LBB86_20:
	s_cbranch_execz .LBB86_22
	s_branch .LBB86_25
.LBB86_21:
.LBB86_22:
	s_waitcnt vmcnt(0)
	v_dual_mov_b32 v9, 0 :: v_dual_lshlrev_b32 v8, 2, v0
	s_mov_b32 s5, 0
	s_mov_b32 s2, exec_lo
	s_delay_alu instid0(VALU_DEP_1)
	v_cmpx_gt_i64_e64 s[6:7], v[8:9]
	s_cbranch_execz .LBB86_25
; %bb.23:
	s_load_b32 s0, s[0:1], 0xd3c
	v_lshlrev_b32_e32 v1, 5, v0
	s_mov_b32 s12, 0xfefa39ef
	s_mov_b32 s13, 0xbfe62e42
	;; [unrolled: 1-line block ×18, first 2 shown]
	s_waitcnt lgkmcnt(0)
	s_and_b32 s0, s0, 0xffff
	s_mov_b32 s21, 0x3ac9cc01
	s_lshl_b32 s33, s0, 2
	s_add_u32 s1, s8, s10
	v_add_lshl_u32 v8, v0, s0, 2
	s_addc_u32 s2, s9, s11
	v_add_co_u32 v0, s1, s1, v1
	s_delay_alu instid0(VALU_DEP_1) | instskip(SKIP_1) | instid1(VALU_DEP_2)
	v_add_co_ci_u32_e64 v1, null, s2, 0, s1
	s_mov_b32 s8, 0x7c89e6b0
	v_add_co_u32 v10, vcc_lo, v0, 16
	s_delay_alu instid0(VALU_DEP_2)
	v_add_co_ci_u32_e32 v11, vcc_lo, 0, v1, vcc_lo
	s_mov_b32 s10, 0x14761f6e
	s_mov_b32 s23, 0x3e928af3
	;; [unrolled: 1-line block ×4, first 2 shown]
	s_lshl_b32 s46, s0, 5
	s_mov_b32 s9, 0x3efa0199
	s_mov_b32 s11, 0x3f2a01a0
	;; [unrolled: 1-line block ×12, first 2 shown]
.LBB86_24:                              ; =>This Inner Loop Header: Depth=1
	s_clause 0x1
	global_load_b128 v[4:7], v[10:11], off offset:-16
	global_load_b128 v[0:3], v[10:11], off
	v_cmp_le_i64_e64 s3, s[6:7], v[8:9]
	v_cmp_lt_u64_e64 s4, 0xffff, v[8:9]
	s_waitcnt vmcnt(1)
	v_add_f64 v[12:13], |v[4:5]|, s[12:13]
	v_add_f64 v[14:15], |v[6:7]|, s[12:13]
	s_waitcnt vmcnt(0)
	v_add_f64 v[16:17], |v[0:1]|, s[12:13]
	v_add_f64 v[18:19], |v[2:3]|, s[12:13]
	v_cmp_nge_f64_e64 vcc_lo, |v[4:5]|, s[40:41]
	v_cmp_nge_f64_e64 s0, |v[6:7]|, s[40:41]
	v_cmp_nge_f64_e64 s1, |v[0:1]|, s[40:41]
	;; [unrolled: 1-line block ×3, first 2 shown]
	v_add_f64 v[20:21], v[12:13], -|v[4:5]|
	v_add_f64 v[22:23], v[14:15], -|v[6:7]|
	;; [unrolled: 1-line block ×4, first 2 shown]
	s_delay_alu instid0(VALU_DEP_4) | instskip(NEXT) | instid1(VALU_DEP_4)
	v_add_f64 v[28:29], v[20:21], -v[12:13]
	v_add_f64 v[30:31], v[22:23], -v[14:15]
	s_delay_alu instid0(VALU_DEP_4) | instskip(NEXT) | instid1(VALU_DEP_4)
	v_add_f64 v[32:33], v[24:25], -v[16:17]
	v_add_f64 v[34:35], v[26:27], -v[18:19]
	v_add_f64 v[20:21], v[20:21], s[42:43]
	v_add_f64 v[22:23], v[22:23], s[42:43]
	;; [unrolled: 1-line block ×4, first 2 shown]
	v_add_f64 v[28:29], |v[4:5]|, v[28:29]
	v_add_f64 v[30:31], |v[6:7]|, v[30:31]
	;; [unrolled: 1-line block ×4, first 2 shown]
	s_delay_alu instid0(VALU_DEP_4) | instskip(NEXT) | instid1(VALU_DEP_4)
	v_add_f64 v[20:21], v[28:29], -v[20:21]
	v_add_f64 v[22:23], v[30:31], -v[22:23]
	s_delay_alu instid0(VALU_DEP_4) | instskip(NEXT) | instid1(VALU_DEP_4)
	v_add_f64 v[24:25], v[32:33], -v[24:25]
	v_add_f64 v[26:27], v[34:35], -v[26:27]
	s_delay_alu instid0(VALU_DEP_4) | instskip(NEXT) | instid1(VALU_DEP_4)
	v_add_f64 v[20:21], v[20:21], s[14:15]
	v_add_f64 v[22:23], v[22:23], s[14:15]
	s_delay_alu instid0(VALU_DEP_4) | instskip(NEXT) | instid1(VALU_DEP_4)
	v_add_f64 v[24:25], v[24:25], s[14:15]
	v_add_f64 v[26:27], v[26:27], s[14:15]
	;; [unrolled: 3-line block ×4, first 2 shown]
	s_delay_alu instid0(VALU_DEP_4) | instskip(NEXT) | instid1(VALU_DEP_4)
	v_mul_f64 v[36:37], v[28:29], s[16:17]
	v_mul_f64 v[38:39], v[30:31], s[16:17]
	s_delay_alu instid0(VALU_DEP_4) | instskip(NEXT) | instid1(VALU_DEP_4)
	v_mul_f64 v[40:41], v[32:33], s[16:17]
	v_mul_f64 v[42:43], v[34:35], s[16:17]
	v_add_f64 v[12:13], v[12:13], -v[28:29]
	v_add_f64 v[14:15], v[14:15], -v[30:31]
	;; [unrolled: 1-line block ×4, first 2 shown]
	v_rndne_f64_e32 v[36:37], v[36:37]
	v_rndne_f64_e32 v[38:39], v[38:39]
	;; [unrolled: 1-line block ×4, first 2 shown]
	v_add_f64 v[12:13], v[20:21], v[12:13]
	v_add_f64 v[14:15], v[22:23], v[14:15]
	;; [unrolled: 1-line block ×4, first 2 shown]
	v_fma_f64 v[20:21], v[36:37], s[44:45], v[28:29]
	v_fma_f64 v[22:23], v[38:39], s[44:45], v[30:31]
	;; [unrolled: 1-line block ×4, first 2 shown]
	v_mul_f64 v[28:29], v[36:37], s[18:19]
	v_mul_f64 v[32:33], v[38:39], s[18:19]
	;; [unrolled: 1-line block ×4, first 2 shown]
	v_add_f64 v[30:31], v[12:13], v[20:21]
	v_add_f64 v[34:35], v[14:15], v[22:23]
	;; [unrolled: 1-line block ×4, first 2 shown]
	s_delay_alu instid0(VALU_DEP_4) | instskip(NEXT) | instid1(VALU_DEP_4)
	v_add_f64 v[52:53], v[30:31], -v[28:29]
	v_add_f64 v[54:55], v[34:35], -v[32:33]
	s_delay_alu instid0(VALU_DEP_4) | instskip(NEXT) | instid1(VALU_DEP_4)
	v_add_f64 v[56:57], v[46:47], -v[44:45]
	v_add_f64 v[58:59], v[50:51], -v[48:49]
	;; [unrolled: 1-line block ×10, first 2 shown]
	v_add_f64 v[12:13], v[12:13], v[20:21]
	v_add_f64 v[14:15], v[14:15], v[22:23]
	v_add_f64 v[16:17], v[16:17], v[24:25]
	v_add_f64 v[18:19], v[18:19], v[26:27]
	v_add_f64 v[20:21], v[30:31], -v[28:29]
	v_add_f64 v[22:23], v[34:35], -v[32:33]
	;; [unrolled: 1-line block ×4, first 2 shown]
	v_mul_f64 v[28:29], v[40:41], s[20:21]
	v_mul_f64 v[32:33], v[42:43], s[20:21]
	v_add_f64 v[12:13], v[12:13], v[20:21]
	v_add_f64 v[14:15], v[14:15], v[22:23]
	;; [unrolled: 1-line block ×4, first 2 shown]
	v_mul_f64 v[20:21], v[36:37], s[20:21]
	v_mul_f64 v[24:25], v[38:39], s[20:21]
	v_add_f64 v[22:23], v[52:53], v[12:13]
	v_add_f64 v[26:27], v[54:55], v[14:15]
	;; [unrolled: 1-line block ×4, first 2 shown]
	s_delay_alu instid0(VALU_DEP_4) | instskip(NEXT) | instid1(VALU_DEP_4)
	v_add_f64 v[44:45], v[22:23], -v[20:21]
	v_add_f64 v[46:47], v[26:27], -v[24:25]
	s_delay_alu instid0(VALU_DEP_4) | instskip(NEXT) | instid1(VALU_DEP_4)
	v_add_f64 v[48:49], v[30:31], -v[28:29]
	v_add_f64 v[50:51], v[34:35], -v[32:33]
	;; [unrolled: 1-line block ×10, first 2 shown]
	v_add_f64 v[12:13], v[12:13], v[52:53]
	v_add_f64 v[14:15], v[14:15], v[54:55]
	;; [unrolled: 1-line block ×4, first 2 shown]
	v_add_f64 v[20:21], v[22:23], -v[20:21]
	v_add_f64 v[22:23], v[26:27], -v[24:25]
	;; [unrolled: 1-line block ×4, first 2 shown]
	s_delay_alu instid0(VALU_DEP_4) | instskip(NEXT) | instid1(VALU_DEP_4)
	v_add_f64 v[12:13], v[12:13], v[20:21]
	v_add_f64 v[14:15], v[14:15], v[22:23]
	s_delay_alu instid0(VALU_DEP_4) | instskip(NEXT) | instid1(VALU_DEP_4)
	v_add_f64 v[16:17], v[16:17], v[24:25]
	v_add_f64 v[18:19], v[18:19], v[26:27]
	;; [unrolled: 3-line block ×4, first 2 shown]
	s_delay_alu instid0(VALU_DEP_4) | instskip(NEXT) | instid1(VALU_DEP_4)
	v_fma_f64 v[28:29], v[20:21], s[24:25], s[22:23]
	v_fma_f64 v[30:31], v[22:23], s[24:25], s[22:23]
	s_delay_alu instid0(VALU_DEP_4) | instskip(NEXT) | instid1(VALU_DEP_4)
	v_fma_f64 v[32:33], v[24:25], s[24:25], s[22:23]
	v_fma_f64 v[34:35], v[26:27], s[24:25], s[22:23]
	v_add_f64 v[44:45], v[44:45], -v[20:21]
	v_add_f64 v[46:47], v[46:47], -v[22:23]
	;; [unrolled: 1-line block ×4, first 2 shown]
	v_mul_f64 v[52:53], v[20:21], v[20:21]
	v_mul_f64 v[54:55], v[22:23], v[22:23]
	;; [unrolled: 1-line block ×4, first 2 shown]
	v_fma_f64 v[28:29], v[20:21], v[28:29], s[26:27]
	v_fma_f64 v[30:31], v[22:23], v[30:31], s[26:27]
	;; [unrolled: 1-line block ×4, first 2 shown]
	v_add_f64 v[12:13], v[12:13], v[44:45]
	v_add_f64 v[14:15], v[14:15], v[46:47]
	;; [unrolled: 1-line block ×4, first 2 shown]
	v_fma_f64 v[44:45], v[20:21], v[20:21], -v[52:53]
	v_fma_f64 v[46:47], v[22:23], v[22:23], -v[54:55]
	;; [unrolled: 1-line block ×4, first 2 shown]
	v_fma_f64 v[28:29], v[20:21], v[28:29], s[8:9]
	v_fma_f64 v[30:31], v[22:23], v[30:31], s[8:9]
	;; [unrolled: 1-line block ×4, first 2 shown]
	v_add_f64 v[60:61], v[12:13], v[12:13]
	v_add_f64 v[62:63], v[14:15], v[14:15]
	;; [unrolled: 1-line block ×4, first 2 shown]
	v_fma_f64 v[28:29], v[20:21], v[28:29], s[10:11]
	v_fma_f64 v[30:31], v[22:23], v[30:31], s[10:11]
	;; [unrolled: 1-line block ×12, first 2 shown]
	v_add_f64 v[60:61], v[52:53], v[44:45]
	v_add_f64 v[62:63], v[54:55], v[46:47]
	;; [unrolled: 1-line block ×4, first 2 shown]
	v_fma_f64 v[28:29], v[20:21], v[28:29], s[30:31]
	v_fma_f64 v[30:31], v[22:23], v[30:31], s[30:31]
	;; [unrolled: 1-line block ×4, first 2 shown]
	v_add_f64 v[52:53], v[60:61], -v[52:53]
	v_add_f64 v[54:55], v[62:63], -v[54:55]
	;; [unrolled: 1-line block ×4, first 2 shown]
	v_fma_f64 v[28:29], v[20:21], v[28:29], s[34:35]
	v_fma_f64 v[30:31], v[22:23], v[30:31], s[34:35]
	v_fma_f64 v[32:33], v[24:25], v[32:33], s[34:35]
	v_fma_f64 v[34:35], v[26:27], v[34:35], s[34:35]
	v_add_f64 v[44:45], v[44:45], -v[52:53]
	v_add_f64 v[46:47], v[46:47], -v[54:55]
	;; [unrolled: 1-line block ×4, first 2 shown]
	v_fma_f64 v[28:29], v[20:21], v[28:29], s[36:37]
	v_fma_f64 v[30:31], v[22:23], v[30:31], s[36:37]
	;; [unrolled: 1-line block ×4, first 2 shown]
	s_delay_alu instid0(VALU_DEP_4) | instskip(NEXT) | instid1(VALU_DEP_4)
	v_fma_f64 v[28:29], v[20:21], v[28:29], s[38:39]
	v_fma_f64 v[30:31], v[22:23], v[30:31], s[38:39]
	s_delay_alu instid0(VALU_DEP_4) | instskip(NEXT) | instid1(VALU_DEP_4)
	v_fma_f64 v[32:33], v[24:25], v[32:33], s[38:39]
	v_fma_f64 v[34:35], v[26:27], v[34:35], s[38:39]
	s_delay_alu instid0(VALU_DEP_4) | instskip(NEXT) | instid1(VALU_DEP_4)
	v_mul_f64 v[68:69], v[60:61], v[28:29]
	v_mul_f64 v[70:71], v[62:63], v[30:31]
	s_delay_alu instid0(VALU_DEP_4) | instskip(NEXT) | instid1(VALU_DEP_4)
	v_mul_f64 v[72:73], v[64:65], v[32:33]
	v_mul_f64 v[74:75], v[66:67], v[34:35]
	s_delay_alu instid0(VALU_DEP_4) | instskip(NEXT) | instid1(VALU_DEP_4)
	v_fma_f64 v[52:53], v[60:61], v[28:29], -v[68:69]
	v_fma_f64 v[54:55], v[62:63], v[30:31], -v[70:71]
	s_delay_alu instid0(VALU_DEP_4) | instskip(NEXT) | instid1(VALU_DEP_4)
	v_fma_f64 v[56:57], v[64:65], v[32:33], -v[72:73]
	v_fma_f64 v[58:59], v[66:67], v[34:35], -v[74:75]
	s_delay_alu instid0(VALU_DEP_4) | instskip(NEXT) | instid1(VALU_DEP_4)
	v_fma_f64 v[28:29], v[44:45], v[28:29], v[52:53]
	v_fma_f64 v[30:31], v[46:47], v[30:31], v[54:55]
	s_delay_alu instid0(VALU_DEP_4) | instskip(NEXT) | instid1(VALU_DEP_4)
	v_fma_f64 v[32:33], v[48:49], v[32:33], v[56:57]
	v_fma_f64 v[34:35], v[50:51], v[34:35], v[58:59]
	s_delay_alu instid0(VALU_DEP_4) | instskip(NEXT) | instid1(VALU_DEP_4)
	v_add_f64 v[44:45], v[68:69], v[28:29]
	v_add_f64 v[46:47], v[70:71], v[30:31]
	s_delay_alu instid0(VALU_DEP_4) | instskip(NEXT) | instid1(VALU_DEP_4)
	v_add_f64 v[48:49], v[72:73], v[32:33]
	v_add_f64 v[50:51], v[74:75], v[34:35]
	s_delay_alu instid0(VALU_DEP_4)
	v_add_f64 v[52:53], v[20:21], v[44:45]
	v_add_f64 v[54:55], v[44:45], -v[68:69]
	v_add_f64 v[56:57], v[22:23], v[46:47]
	v_add_f64 v[58:59], v[46:47], -v[70:71]
	;; [unrolled: 2-line block ×4, first 2 shown]
	v_add_f64 v[20:21], v[52:53], -v[20:21]
	v_add_f64 v[28:29], v[28:29], -v[54:55]
	v_add_f64 v[22:23], v[56:57], -v[22:23]
	v_add_f64 v[30:31], v[30:31], -v[58:59]
	v_add_f64 v[24:25], v[60:61], -v[24:25]
	v_add_f64 v[32:33], v[32:33], -v[62:63]
	v_add_f64 v[26:27], v[64:65], -v[26:27]
	v_add_f64 v[34:35], v[34:35], -v[66:67]
	v_cvt_i32_f64_e32 v62, v[40:41]
	v_cvt_i32_f64_e32 v63, v[42:43]
	v_add_f64 v[20:21], v[44:45], -v[20:21]
	v_add_f64 v[12:13], v[12:13], v[28:29]
	v_add_f64 v[22:23], v[46:47], -v[22:23]
	v_add_f64 v[14:15], v[14:15], v[30:31]
	;; [unrolled: 2-line block ×4, first 2 shown]
	v_add_f64 v[12:13], v[12:13], v[20:21]
	v_add_f64 v[14:15], v[14:15], v[22:23]
	;; [unrolled: 1-line block ×3, first 2 shown]
	s_delay_alu instid0(VALU_DEP_4) | instskip(NEXT) | instid1(VALU_DEP_4)
	v_add_f64 v[18:19], v[18:19], v[26:27]
	v_add_f64 v[20:21], v[52:53], v[12:13]
	s_delay_alu instid0(VALU_DEP_4) | instskip(NEXT) | instid1(VALU_DEP_4)
	v_add_f64 v[22:23], v[56:57], v[14:15]
	v_add_f64 v[24:25], v[60:61], v[16:17]
	s_delay_alu instid0(VALU_DEP_4) | instskip(NEXT) | instid1(VALU_DEP_4)
	v_add_f64 v[26:27], v[64:65], v[18:19]
	v_add_f64 v[28:29], v[20:21], 1.0
	v_add_f64 v[44:45], v[20:21], -v[52:53]
	v_add_f64 v[30:31], v[22:23], 1.0
	v_add_f64 v[48:49], v[22:23], -v[56:57]
	;; [unrolled: 2-line block ×4, first 2 shown]
	v_cvt_i32_f64_e32 v60, v[36:37]
	v_cvt_i32_f64_e32 v61, v[38:39]
	v_add_f64 v[46:47], v[28:29], -1.0
	v_add_f64 v[12:13], v[12:13], -v[44:45]
	v_add_f64 v[50:51], v[30:31], -1.0
	v_add_f64 v[14:15], v[14:15], -v[48:49]
	;; [unrolled: 2-line block ×4, first 2 shown]
	v_add_f64 v[20:21], v[20:21], -v[46:47]
	v_add_f64 v[22:23], v[22:23], -v[50:51]
	;; [unrolled: 1-line block ×4, first 2 shown]
	s_delay_alu instid0(VALU_DEP_4) | instskip(NEXT) | instid1(VALU_DEP_4)
	v_add_f64 v[12:13], v[12:13], v[20:21]
	v_add_f64 v[14:15], v[14:15], v[22:23]
	s_delay_alu instid0(VALU_DEP_4) | instskip(NEXT) | instid1(VALU_DEP_4)
	v_add_f64 v[16:17], v[16:17], v[24:25]
	v_add_f64 v[18:19], v[18:19], v[26:27]
	;; [unrolled: 3-line block ×4, first 2 shown]
	s_delay_alu instid0(VALU_DEP_4)
	v_ldexp_f64 v[36:37], v[20:21], v60
	v_add_f64 v[20:21], v[20:21], -v[28:29]
	v_ldexp_f64 v[38:39], v[22:23], v61
	v_add_f64 v[22:23], v[22:23], -v[30:31]
	;; [unrolled: 2-line block ×4, first 2 shown]
	v_rcp_f64_e32 v[44:45], v[36:37]
	v_add_f64 v[12:13], v[12:13], -v[20:21]
	v_rcp_f64_e32 v[46:47], v[38:39]
	v_add_f64 v[14:15], v[14:15], -v[22:23]
	v_rcp_f64_e32 v[48:49], v[40:41]
	v_add_f64 v[16:17], v[16:17], -v[24:25]
	v_rcp_f64_e32 v[50:51], v[42:43]
	s_delay_alu instid0(VALU_DEP_4) | instskip(NEXT) | instid1(VALU_DEP_4)
	v_add_f64 v[18:19], v[18:19], -v[26:27]
	v_ldexp_f64 v[12:13], v[12:13], v60
	v_fma_f64 v[52:53], -v[36:37], v[44:45], 1.0
	v_ldexp_f64 v[14:15], v[14:15], v61
	s_delay_alu instid0(TRANS32_DEP_3) | instskip(SKIP_1) | instid1(TRANS32_DEP_2)
	v_fma_f64 v[54:55], -v[38:39], v[46:47], 1.0
	v_ldexp_f64 v[16:17], v[16:17], v62
	v_fma_f64 v[56:57], -v[40:41], v[48:49], 1.0
	v_ldexp_f64 v[18:19], v[18:19], v63
	s_delay_alu instid0(TRANS32_DEP_1) | instskip(SKIP_3) | instid1(VALU_DEP_4)
	v_fma_f64 v[58:59], -v[42:43], v[50:51], 1.0
	v_fma_f64 v[44:45], v[52:53], v[44:45], v[44:45]
	v_fma_f64 v[46:47], v[54:55], v[46:47], v[46:47]
	v_fma_f64 v[48:49], v[56:57], v[48:49], v[48:49]
	v_fma_f64 v[50:51], v[58:59], v[50:51], v[50:51]
	s_delay_alu instid0(VALU_DEP_4) | instskip(NEXT) | instid1(VALU_DEP_4)
	v_fma_f64 v[52:53], -v[36:37], v[44:45], 1.0
	v_fma_f64 v[54:55], -v[38:39], v[46:47], 1.0
	s_delay_alu instid0(VALU_DEP_4) | instskip(NEXT) | instid1(VALU_DEP_4)
	v_fma_f64 v[56:57], -v[40:41], v[48:49], 1.0
	v_fma_f64 v[58:59], -v[42:43], v[50:51], 1.0
	s_delay_alu instid0(VALU_DEP_4) | instskip(NEXT) | instid1(VALU_DEP_4)
	v_fma_f64 v[28:29], v[52:53], v[44:45], v[44:45]
	v_fma_f64 v[30:31], v[54:55], v[46:47], v[46:47]
	s_delay_alu instid0(VALU_DEP_4) | instskip(NEXT) | instid1(VALU_DEP_4)
	v_fma_f64 v[32:33], v[56:57], v[48:49], v[48:49]
	v_fma_f64 v[34:35], v[58:59], v[50:51], v[50:51]
	s_delay_alu instid0(VALU_DEP_4) | instskip(NEXT) | instid1(VALU_DEP_4)
	v_mul_f64 v[20:21], v[36:37], v[28:29]
	v_mul_f64 v[22:23], v[38:39], v[30:31]
	s_delay_alu instid0(VALU_DEP_4) | instskip(NEXT) | instid1(VALU_DEP_4)
	v_mul_f64 v[24:25], v[40:41], v[32:33]
	v_mul_f64 v[26:27], v[42:43], v[34:35]
	s_delay_alu instid0(VALU_DEP_4) | instskip(NEXT) | instid1(VALU_DEP_4)
	v_fma_f64 v[44:45], v[28:29], v[36:37], -v[20:21]
	v_fma_f64 v[46:47], v[30:31], v[38:39], -v[22:23]
	s_delay_alu instid0(VALU_DEP_4) | instskip(NEXT) | instid1(VALU_DEP_4)
	v_fma_f64 v[48:49], v[32:33], v[40:41], -v[24:25]
	v_fma_f64 v[50:51], v[34:35], v[42:43], -v[26:27]
	s_delay_alu instid0(VALU_DEP_4) | instskip(NEXT) | instid1(VALU_DEP_4)
	v_fma_f64 v[44:45], v[28:29], v[12:13], v[44:45]
	v_fma_f64 v[46:47], v[30:31], v[14:15], v[46:47]
	s_delay_alu instid0(VALU_DEP_4) | instskip(NEXT) | instid1(VALU_DEP_4)
	v_fma_f64 v[48:49], v[32:33], v[16:17], v[48:49]
	v_fma_f64 v[50:51], v[34:35], v[18:19], v[50:51]
	s_delay_alu instid0(VALU_DEP_4) | instskip(NEXT) | instid1(VALU_DEP_4)
	v_add_f64 v[52:53], v[20:21], v[44:45]
	v_add_f64 v[54:55], v[22:23], v[46:47]
	s_delay_alu instid0(VALU_DEP_4) | instskip(NEXT) | instid1(VALU_DEP_4)
	v_add_f64 v[56:57], v[24:25], v[48:49]
	v_add_f64 v[58:59], v[26:27], v[50:51]
	s_delay_alu instid0(VALU_DEP_4)
	v_add_f64 v[60:61], -v[52:53], 1.0
	v_add_f64 v[20:21], v[52:53], -v[20:21]
	v_add_f64 v[62:63], -v[54:55], 1.0
	v_add_f64 v[22:23], v[54:55], -v[22:23]
	;; [unrolled: 2-line block ×8, first 2 shown]
	v_add_f64 v[44:45], v[68:69], -v[52:53]
	v_add_f64 v[46:47], v[70:71], -v[54:55]
	;; [unrolled: 1-line block ×4, first 2 shown]
	s_delay_alu instid0(VALU_DEP_4) | instskip(NEXT) | instid1(VALU_DEP_4)
	v_add_f64 v[20:21], v[20:21], v[44:45]
	v_add_f64 v[22:23], v[22:23], v[46:47]
	s_delay_alu instid0(VALU_DEP_4) | instskip(NEXT) | instid1(VALU_DEP_4)
	v_add_f64 v[24:25], v[24:25], v[48:49]
	v_add_f64 v[26:27], v[26:27], v[50:51]
	;; [unrolled: 3-line block ×4, first 2 shown]
	s_delay_alu instid0(VALU_DEP_4)
	v_mul_f64 v[52:53], v[28:29], v[44:45]
	v_add_f64 v[60:61], v[60:61], -v[44:45]
	v_mul_f64 v[54:55], v[30:31], v[46:47]
	v_add_f64 v[62:63], v[62:63], -v[46:47]
	;; [unrolled: 2-line block ×4, first 2 shown]
	v_mul_f64 v[68:69], v[36:37], v[52:53]
	v_add_f64 v[20:21], v[20:21], v[60:61]
	v_mul_f64 v[70:71], v[38:39], v[54:55]
	v_add_f64 v[22:23], v[22:23], v[62:63]
	;; [unrolled: 2-line block ×4, first 2 shown]
	v_fma_f64 v[76:77], v[52:53], v[36:37], -v[68:69]
	v_fma_f64 v[78:79], v[54:55], v[38:39], -v[70:71]
	;; [unrolled: 1-line block ×4, first 2 shown]
	s_delay_alu instid0(VALU_DEP_4) | instskip(NEXT) | instid1(VALU_DEP_4)
	v_fma_f64 v[76:77], v[52:53], v[12:13], v[76:77]
	v_fma_f64 v[78:79], v[54:55], v[14:15], v[78:79]
	s_delay_alu instid0(VALU_DEP_4) | instskip(NEXT) | instid1(VALU_DEP_4)
	v_fma_f64 v[80:81], v[56:57], v[16:17], v[80:81]
	v_fma_f64 v[82:83], v[58:59], v[18:19], v[82:83]
	s_delay_alu instid0(VALU_DEP_4) | instskip(NEXT) | instid1(VALU_DEP_4)
	v_add_f64 v[84:85], v[68:69], v[76:77]
	v_add_f64 v[86:87], v[70:71], v[78:79]
	s_delay_alu instid0(VALU_DEP_4) | instskip(NEXT) | instid1(VALU_DEP_4)
	v_add_f64 v[88:89], v[72:73], v[80:81]
	v_add_f64 v[90:91], v[74:75], v[82:83]
	s_delay_alu instid0(VALU_DEP_4)
	v_add_f64 v[60:61], v[44:45], -v[84:85]
	v_add_f64 v[68:69], v[84:85], -v[68:69]
	;; [unrolled: 1-line block ×14, first 2 shown]
	s_delay_alu instid0(VALU_DEP_4) | instskip(NEXT) | instid1(VALU_DEP_4)
	v_add_f64 v[46:47], v[46:47], -v[86:87]
	v_add_f64 v[48:49], v[48:49], -v[88:89]
	s_delay_alu instid0(VALU_DEP_4) | instskip(NEXT) | instid1(VALU_DEP_4)
	v_add_f64 v[50:51], v[50:51], -v[90:91]
	v_add_f64 v[20:21], v[20:21], v[44:45]
	v_add_f64 v[44:45], v[70:71], -v[78:79]
	v_add_f64 v[22:23], v[22:23], v[46:47]
	;; [unrolled: 2-line block ×4, first 2 shown]
	v_add_f64 v[50:51], v[28:29], v[52:53]
	v_add_f64 v[20:21], v[68:69], v[20:21]
	;; [unrolled: 1-line block ×8, first 2 shown]
	v_add_f64 v[48:49], v[50:51], -v[28:29]
	v_add_f64 v[20:21], v[60:61], v[20:21]
	v_add_f64 v[60:61], v[68:69], -v[30:31]
	v_add_f64 v[22:23], v[62:63], v[22:23]
	;; [unrolled: 2-line block ×4, first 2 shown]
	v_add_f64 v[48:49], v[52:53], -v[48:49]
	v_mul_f64 v[20:21], v[28:29], v[20:21]
	v_add_f64 v[28:29], v[54:55], -v[60:61]
	v_mul_f64 v[22:23], v[30:31], v[22:23]
	;; [unrolled: 2-line block ×4, first 2 shown]
	v_add_f64 v[20:21], v[48:49], v[20:21]
	v_add_f64 v[22:23], v[28:29], v[22:23]
	;; [unrolled: 1-line block ×3, first 2 shown]
	s_delay_alu instid0(VALU_DEP_4) | instskip(NEXT) | instid1(VALU_DEP_4)
	v_add_f64 v[26:27], v[32:33], v[26:27]
	v_add_f64 v[28:29], v[50:51], v[20:21]
	s_delay_alu instid0(VALU_DEP_4) | instskip(NEXT) | instid1(VALU_DEP_4)
	v_add_f64 v[30:31], v[68:69], v[22:23]
	v_add_f64 v[32:33], v[44:45], v[24:25]
	s_delay_alu instid0(VALU_DEP_4) | instskip(NEXT) | instid1(VALU_DEP_4)
	v_add_f64 v[34:35], v[46:47], v[26:27]
	v_ldexp_f64 v[48:49], v[28:29], -2
	v_add_f64 v[28:29], v[28:29], -v[50:51]
	v_ldexp_f64 v[50:51], v[30:31], -2
	v_add_f64 v[30:31], v[30:31], -v[68:69]
	;; [unrolled: 2-line block ×4, first 2 shown]
	v_add_f64 v[46:47], v[36:37], v[48:49]
	v_add_f64 v[20:21], v[20:21], -v[28:29]
	v_add_f64 v[28:29], v[38:39], v[50:51]
	v_add_f64 v[22:23], v[22:23], -v[30:31]
	;; [unrolled: 2-line block ×4, first 2 shown]
	v_add_f64 v[34:35], v[46:47], -v[36:37]
	v_ldexp_f64 v[20:21], v[20:21], -2
	v_add_f64 v[36:37], v[28:29], -v[38:39]
	v_ldexp_f64 v[22:23], v[22:23], -2
	;; [unrolled: 2-line block ×4, first 2 shown]
	v_add_f64 v[34:35], v[48:49], -v[34:35]
	v_add_f64 v[12:13], v[12:13], v[20:21]
	v_add_f64 v[20:21], v[50:51], -v[36:37]
	v_add_f64 v[14:15], v[14:15], v[22:23]
	;; [unrolled: 2-line block ×4, first 2 shown]
	v_add_f64 v[12:13], v[12:13], v[34:35]
	v_add_f64 v[14:15], v[14:15], v[20:21]
	;; [unrolled: 1-line block ×3, first 2 shown]
	s_delay_alu instid0(VALU_DEP_4) | instskip(NEXT) | instid1(VALU_DEP_4)
	v_add_f64 v[18:19], v[18:19], v[24:25]
	v_add_f64 v[12:13], v[46:47], v[12:13]
	s_delay_alu instid0(VALU_DEP_4) | instskip(NEXT) | instid1(VALU_DEP_4)
	v_add_f64 v[4:5], v[28:29], v[14:15]
	v_add_f64 v[6:7], v[30:31], v[16:17]
	s_delay_alu instid0(VALU_DEP_4) | instskip(NEXT) | instid1(VALU_DEP_4)
	v_add_f64 v[14:15], v[32:33], v[18:19]
	v_cndmask_b32_e32 v1, 0x7ff00000, v13, vcc_lo
	v_cndmask_b32_e32 v0, 0, v12, vcc_lo
	v_cndmask_b32_e64 v3, 0x7ff00000, v5, s0
	v_cndmask_b32_e64 v2, 0, v4, s0
	;; [unrolled: 1-line block ×6, first 2 shown]
	v_add_co_u32 v8, vcc_lo, v8, s33
	v_add_co_ci_u32_e32 v9, vcc_lo, 0, v9, vcc_lo
	s_clause 0x1
	global_store_b128 v[10:11], v[0:3], off offset:-16
	global_store_b128 v[10:11], v[4:7], off
	v_add_co_u32 v10, vcc_lo, v10, s46
	s_or_b32 s0, s3, s4
	v_add_co_ci_u32_e32 v11, vcc_lo, 0, v11, vcc_lo
	s_and_b32 s0, exec_lo, s0
	s_delay_alu instid0(SALU_CYCLE_1) | instskip(NEXT) | instid1(SALU_CYCLE_1)
	s_or_b32 s5, s0, s5
	s_and_not1_b32 exec_lo, exec_lo, s5
	s_cbranch_execnz .LBB86_24
.LBB86_25:
	s_nop 0
	s_sendmsg sendmsg(MSG_DEALLOC_VGPRS)
	s_endpgm
	.section	.rodata,"a",@progbits
	.p2align	6, 0x0
	.amdhsa_kernel _ZN2at6native12_GLOBAL__N_125multi_tensor_apply_kernelINS1_18TensorListMetadataILi1EEENS1_14UnaryOpFunctorIdLi1ELi1ELi0EEEJNS0_4CoshIdEEEEEvT_T0_DpT1_
		.amdhsa_group_segment_fixed_size 0
		.amdhsa_private_segment_fixed_size 0
		.amdhsa_kernarg_size 3632
		.amdhsa_user_sgpr_count 15
		.amdhsa_user_sgpr_dispatch_ptr 0
		.amdhsa_user_sgpr_queue_ptr 0
		.amdhsa_user_sgpr_kernarg_segment_ptr 1
		.amdhsa_user_sgpr_dispatch_id 0
		.amdhsa_user_sgpr_private_segment_size 0
		.amdhsa_wavefront_size32 1
		.amdhsa_uses_dynamic_stack 0
		.amdhsa_enable_private_segment 0
		.amdhsa_system_sgpr_workgroup_id_x 1
		.amdhsa_system_sgpr_workgroup_id_y 0
		.amdhsa_system_sgpr_workgroup_id_z 0
		.amdhsa_system_sgpr_workgroup_info 0
		.amdhsa_system_vgpr_workitem_id 0
		.amdhsa_next_free_vgpr 92
		.amdhsa_next_free_sgpr 57
		.amdhsa_reserve_vcc 1
		.amdhsa_float_round_mode_32 0
		.amdhsa_float_round_mode_16_64 0
		.amdhsa_float_denorm_mode_32 3
		.amdhsa_float_denorm_mode_16_64 3
		.amdhsa_dx10_clamp 1
		.amdhsa_ieee_mode 1
		.amdhsa_fp16_overflow 0
		.amdhsa_workgroup_processor_mode 1
		.amdhsa_memory_ordered 1
		.amdhsa_forward_progress 0
		.amdhsa_shared_vgpr_count 0
		.amdhsa_exception_fp_ieee_invalid_op 0
		.amdhsa_exception_fp_denorm_src 0
		.amdhsa_exception_fp_ieee_div_zero 0
		.amdhsa_exception_fp_ieee_overflow 0
		.amdhsa_exception_fp_ieee_underflow 0
		.amdhsa_exception_fp_ieee_inexact 0
		.amdhsa_exception_int_div_zero 0
	.end_amdhsa_kernel
	.section	.text._ZN2at6native12_GLOBAL__N_125multi_tensor_apply_kernelINS1_18TensorListMetadataILi1EEENS1_14UnaryOpFunctorIdLi1ELi1ELi0EEEJNS0_4CoshIdEEEEEvT_T0_DpT1_,"axG",@progbits,_ZN2at6native12_GLOBAL__N_125multi_tensor_apply_kernelINS1_18TensorListMetadataILi1EEENS1_14UnaryOpFunctorIdLi1ELi1ELi0EEEJNS0_4CoshIdEEEEEvT_T0_DpT1_,comdat
.Lfunc_end86:
	.size	_ZN2at6native12_GLOBAL__N_125multi_tensor_apply_kernelINS1_18TensorListMetadataILi1EEENS1_14UnaryOpFunctorIdLi1ELi1ELi0EEEJNS0_4CoshIdEEEEEvT_T0_DpT1_, .Lfunc_end86-_ZN2at6native12_GLOBAL__N_125multi_tensor_apply_kernelINS1_18TensorListMetadataILi1EEENS1_14UnaryOpFunctorIdLi1ELi1ELi0EEEJNS0_4CoshIdEEEEEvT_T0_DpT1_
                                        ; -- End function
	.section	.AMDGPU.csdata,"",@progbits
; Kernel info:
; codeLenInByte = 10528
; NumSgprs: 59
; NumVgprs: 92
; ScratchSize: 0
; MemoryBound: 0
; FloatMode: 240
; IeeeMode: 1
; LDSByteSize: 0 bytes/workgroup (compile time only)
; SGPRBlocks: 7
; VGPRBlocks: 11
; NumSGPRsForWavesPerEU: 59
; NumVGPRsForWavesPerEU: 92
; Occupancy: 16
; WaveLimiterHint : 0
; COMPUTE_PGM_RSRC2:SCRATCH_EN: 0
; COMPUTE_PGM_RSRC2:USER_SGPR: 15
; COMPUTE_PGM_RSRC2:TRAP_HANDLER: 0
; COMPUTE_PGM_RSRC2:TGID_X_EN: 1
; COMPUTE_PGM_RSRC2:TGID_Y_EN: 0
; COMPUTE_PGM_RSRC2:TGID_Z_EN: 0
; COMPUTE_PGM_RSRC2:TIDIG_COMP_CNT: 0
	.section	.text._ZN2at6native12_GLOBAL__N_125multi_tensor_apply_kernelINS1_18TensorListMetadataILi1EEENS1_14UnaryOpFunctorIfLi1ELi1ELi0EEEJNS0_4CoshIfEEEEEvT_T0_DpT1_,"axG",@progbits,_ZN2at6native12_GLOBAL__N_125multi_tensor_apply_kernelINS1_18TensorListMetadataILi1EEENS1_14UnaryOpFunctorIfLi1ELi1ELi0EEEJNS0_4CoshIfEEEEEvT_T0_DpT1_,comdat
	.globl	_ZN2at6native12_GLOBAL__N_125multi_tensor_apply_kernelINS1_18TensorListMetadataILi1EEENS1_14UnaryOpFunctorIfLi1ELi1ELi0EEEJNS0_4CoshIfEEEEEvT_T0_DpT1_ ; -- Begin function _ZN2at6native12_GLOBAL__N_125multi_tensor_apply_kernelINS1_18TensorListMetadataILi1EEENS1_14UnaryOpFunctorIfLi1ELi1ELi0EEEJNS0_4CoshIfEEEEEvT_T0_DpT1_
	.p2align	8
	.type	_ZN2at6native12_GLOBAL__N_125multi_tensor_apply_kernelINS1_18TensorListMetadataILi1EEENS1_14UnaryOpFunctorIfLi1ELi1ELi0EEEJNS0_4CoshIfEEEEEvT_T0_DpT1_,@function
_ZN2at6native12_GLOBAL__N_125multi_tensor_apply_kernelINS1_18TensorListMetadataILi1EEENS1_14UnaryOpFunctorIfLi1ELi1ELi0EEEJNS0_4CoshIfEEEEEvT_T0_DpT1_: ; @_ZN2at6native12_GLOBAL__N_125multi_tensor_apply_kernelINS1_18TensorListMetadataILi1EEENS1_14UnaryOpFunctorIfLi1ELi1ELi0EEEJNS0_4CoshIfEEEEEvT_T0_DpT1_
; %bb.0:
	v_mov_b32_e32 v1, s15
	s_add_u32 s2, s0, s15
	s_mul_hi_u32 s3, s15, 3
	s_mul_i32 s15, s15, 3
	s_addc_u32 s4, s1, 0
	global_load_u8 v1, v1, s[0:1] offset:1760
	s_add_u32 s2, s2, s15
	s_addc_u32 s3, s4, s3
	s_mov_b32 s13, 0
	s_load_b32 s2, s[2:3], 0x820
	s_waitcnt vmcnt(0)
	v_readfirstlane_b32 s5, v1
	s_delay_alu instid0(VALU_DEP_1)
	s_lshl_b32 s3, s5, 3
	s_clause 0x1
	s_load_b64 s[8:9], s[0:1], s3 offset:0x0
	s_load_b64 s[4:5], s[0:1], s3 offset:0x370
	s_waitcnt lgkmcnt(0)
	s_ashr_i32 s3, s2, 31
	s_delay_alu instid0(SALU_CYCLE_1)
	s_lshl_b64 s[10:11], s[2:3], 18
	s_lshl_b64 s[2:3], s[2:3], 16
	s_and_b32 s12, s8, 15
	s_sub_u32 s6, s4, s2
	s_subb_u32 s7, s5, s3
	s_and_b32 s2, s4, 3
	s_mov_b32 s3, s13
	s_delay_alu instid0(SALU_CYCLE_1) | instskip(NEXT) | instid1(SALU_CYCLE_1)
	s_or_b64 s[2:3], s[12:13], s[2:3]
	s_cmp_eq_u64 s[2:3], 0
	s_cbranch_scc1 .LBB87_21
; %bb.1:
	v_cmp_lt_i64_e64 s2, s[6:7], 1
	s_delay_alu instid0(VALU_DEP_1)
	s_and_b32 vcc_lo, exec_lo, s2
	s_cbranch_vccnz .LBB87_20
; %bb.2:
	s_load_b32 s2, s[0:1], 0xd3c
	v_cmp_gt_u64_e64 s3, 0x10000, s[6:7]
	v_lshlrev_b32_e32 v1, 2, v0
	s_mov_b32 s20, 0x3ab42872
	s_waitcnt lgkmcnt(0)
	s_and_b32 s2, s2, 0xffff
	s_delay_alu instid0(VALU_DEP_2)
	s_and_b32 s3, s3, exec_lo
	v_add_co_u32 v5, s5, v0, s2
	s_cselect_b32 s13, s7, 0
	s_cselect_b32 s12, s6, 0x10000
	s_lshl_b32 s3, s2, 1
	s_lshl_b32 s16, s2, 2
	v_lshlrev_b32_e32 v3, 2, v5
	v_add_co_ci_u32_e64 v6, null, 0, 0, s5
	s_add_u32 s5, s8, s10
	v_add_co_u32 v9, s3, s3, v0
	s_mul_i32 s4, s2, 3
	s_addc_u32 s14, s9, s11
	v_add_co_ci_u32_e64 v10, null, 0, 0, s3
	v_add_co_u32 v1, s3, s5, v1
	v_add_co_u32 v7, s4, s4, v0
	v_add_co_ci_u32_e64 v2, null, s14, 0, s3
	v_add_co_u32 v3, s3, s5, v3
	v_add_co_ci_u32_e64 v8, null, 0, 0, s4
	v_add_co_ci_u32_e64 v4, null, s14, 0, s3
	s_mul_i32 s17, s2, 12
	s_lshl_b32 s18, s2, 4
	s_lshl_b32 s19, s2, 3
	s_mov_b64 s[14:15], 0
	s_branch .LBB87_4
.LBB87_3:                               ;   in Loop: Header=BB87_4 Depth=1
	s_or_b32 exec_lo, exec_lo, s2
	s_add_u32 s14, s14, s16
	s_addc_u32 s15, s15, 0
	v_add_co_u32 v1, vcc_lo, v1, s18
	v_cmp_lt_i64_e64 s2, s[14:15], s[6:7]
	v_cmp_gt_u64_e64 s3, 0x10000, s[14:15]
	v_add_co_ci_u32_e32 v2, vcc_lo, 0, v2, vcc_lo
	v_add_co_u32 v3, vcc_lo, v3, s18
	v_add_co_ci_u32_e32 v4, vcc_lo, 0, v4, vcc_lo
	s_delay_alu instid0(VALU_DEP_4) | instskip(NEXT) | instid1(SALU_CYCLE_1)
	s_and_b32 s2, s2, s3
	s_and_b32 vcc_lo, exec_lo, s2
	s_cbranch_vccz .LBB87_20
.LBB87_4:                               ; =>This Inner Loop Header: Depth=1
	s_waitcnt vmcnt(0)
	v_add_co_u32 v11, s2, v0, s14
	s_delay_alu instid0(VALU_DEP_1) | instskip(SKIP_1) | instid1(VALU_DEP_2)
	v_add_co_ci_u32_e64 v12, null, 0, s15, s2
	v_mov_b32_e32 v14, 0
	v_cmp_gt_u64_e64 s4, s[12:13], v[11:12]
	s_delay_alu instid0(VALU_DEP_1)
	s_and_saveexec_b32 s2, s4
	s_cbranch_execz .LBB87_6
; %bb.5:                                ;   in Loop: Header=BB87_4 Depth=1
	global_load_b32 v14, v[1:2], off
.LBB87_6:                               ;   in Loop: Header=BB87_4 Depth=1
	s_or_b32 exec_lo, exec_lo, s2
	v_add_co_u32 v11, vcc_lo, v5, s14
	v_add_co_ci_u32_e32 v12, vcc_lo, s15, v6, vcc_lo
	v_mov_b32_e32 v13, 0
	s_delay_alu instid0(VALU_DEP_2) | instskip(NEXT) | instid1(VALU_DEP_1)
	v_cmp_gt_u64_e64 s3, s[12:13], v[11:12]
	s_and_saveexec_b32 s2, s3
	s_cbranch_execz .LBB87_8
; %bb.7:                                ;   in Loop: Header=BB87_4 Depth=1
	global_load_b32 v13, v[3:4], off
.LBB87_8:                               ;   in Loop: Header=BB87_4 Depth=1
	s_or_b32 exec_lo, exec_lo, s2
	v_add_co_u32 v11, vcc_lo, v9, s14
	v_add_co_ci_u32_e32 v12, vcc_lo, s15, v10, vcc_lo
	s_delay_alu instid0(VALU_DEP_1) | instskip(SKIP_1) | instid1(VALU_DEP_2)
	v_cmp_gt_u64_e64 s2, s[12:13], v[11:12]
	v_dual_mov_b32 v11, 0 :: v_dual_mov_b32 v12, 0
	s_and_saveexec_b32 s5, s2
	s_cbranch_execz .LBB87_10
; %bb.9:                                ;   in Loop: Header=BB87_4 Depth=1
	v_add_co_u32 v15, vcc_lo, v1, s19
	v_add_co_ci_u32_e32 v16, vcc_lo, 0, v2, vcc_lo
	global_load_b32 v12, v[15:16], off
.LBB87_10:                              ;   in Loop: Header=BB87_4 Depth=1
	s_or_b32 exec_lo, exec_lo, s5
	v_add_co_u32 v15, vcc_lo, v7, s14
	v_add_co_ci_u32_e32 v16, vcc_lo, s15, v8, vcc_lo
	s_delay_alu instid0(VALU_DEP_1)
	v_cmp_gt_u64_e32 vcc_lo, s[12:13], v[15:16]
	s_and_saveexec_b32 s21, vcc_lo
	s_cbranch_execnz .LBB87_15
; %bb.11:                               ;   in Loop: Header=BB87_4 Depth=1
	s_or_b32 exec_lo, exec_lo, s21
	s_and_saveexec_b32 s5, s4
	s_cbranch_execnz .LBB87_16
.LBB87_12:                              ;   in Loop: Header=BB87_4 Depth=1
	s_or_b32 exec_lo, exec_lo, s5
	s_and_saveexec_b32 s4, s3
	s_cbranch_execnz .LBB87_17
.LBB87_13:                              ;   in Loop: Header=BB87_4 Depth=1
	s_or_b32 exec_lo, exec_lo, s4
	s_and_saveexec_b32 s3, s2
	s_cbranch_execnz .LBB87_18
.LBB87_14:                              ;   in Loop: Header=BB87_4 Depth=1
	s_or_b32 exec_lo, exec_lo, s3
	s_and_saveexec_b32 s2, vcc_lo
	s_cbranch_execz .LBB87_3
	s_branch .LBB87_19
.LBB87_15:                              ;   in Loop: Header=BB87_4 Depth=1
	v_add_co_u32 v15, s5, v1, s17
	s_delay_alu instid0(VALU_DEP_1)
	v_add_co_ci_u32_e64 v16, s5, 0, v2, s5
	global_load_b32 v11, v[15:16], off
	s_or_b32 exec_lo, exec_lo, s21
	s_and_saveexec_b32 s5, s4
	s_cbranch_execz .LBB87_12
.LBB87_16:                              ;   in Loop: Header=BB87_4 Depth=1
	s_waitcnt vmcnt(0)
	v_add_f32_e64 v15, 0xbf317218, |v14|
	v_cmp_nlt_f32_e64 s4, 0x42b2d4fc, |v14|
	s_delay_alu instid0(VALU_DEP_2) | instskip(NEXT) | instid1(VALU_DEP_1)
	v_sub_f32_e64 v16, v15, |v14|
	v_dual_sub_f32 v17, v16, v15 :: v_dual_add_f32 v16, 0x3f317218, v16
	s_delay_alu instid0(VALU_DEP_1) | instskip(NEXT) | instid1(VALU_DEP_1)
	v_add_f32_e64 v17, |v14|, v17
	v_sub_f32_e32 v16, v17, v16
	s_delay_alu instid0(VALU_DEP_1) | instskip(NEXT) | instid1(VALU_DEP_1)
	v_add_f32_e32 v16, 0x3102e308, v16
	v_add_f32_e32 v17, v15, v16
	s_delay_alu instid0(VALU_DEP_1) | instskip(NEXT) | instid1(VALU_DEP_1)
	v_sub_f32_e32 v15, v15, v17
	v_dual_mul_f32 v18, 0x3fb8aa3b, v17 :: v_dual_add_f32 v15, v16, v15
	s_delay_alu instid0(VALU_DEP_1) | instskip(NEXT) | instid1(VALU_DEP_1)
	v_rndne_f32_e32 v18, v18
	v_mul_f32_e32 v16, 0x35bfbc00, v18
	v_fmac_f32_e32 v17, 0xbf317200, v18
	s_delay_alu instid0(VALU_DEP_1) | instskip(NEXT) | instid1(VALU_DEP_1)
	v_add_f32_e32 v19, v15, v17
	v_dual_sub_f32 v20, v19, v16 :: v_dual_sub_f32 v17, v17, v19
	s_delay_alu instid0(VALU_DEP_1) | instskip(NEXT) | instid1(VALU_DEP_1)
	v_sub_f32_e32 v19, v19, v20
	v_sub_f32_e32 v16, v19, v16
	s_delay_alu instid0(VALU_DEP_3) | instskip(NEXT) | instid1(VALU_DEP_1)
	v_add_f32_e32 v15, v15, v17
	v_dual_add_f32 v15, v15, v16 :: v_dual_mul_f32 v16, 0x2ea39ef3, v18
	s_delay_alu instid0(VALU_DEP_1) | instskip(NEXT) | instid1(VALU_DEP_1)
	v_add_f32_e32 v17, v20, v15
	v_dual_sub_f32 v19, v17, v16 :: v_dual_sub_f32 v20, v20, v17
	s_delay_alu instid0(VALU_DEP_1) | instskip(NEXT) | instid1(VALU_DEP_2)
	v_sub_f32_e32 v17, v17, v19
	v_add_f32_e32 v15, v15, v20
	s_delay_alu instid0(VALU_DEP_2) | instskip(NEXT) | instid1(VALU_DEP_1)
	v_sub_f32_e32 v16, v17, v16
	v_add_f32_e32 v15, v15, v16
	s_delay_alu instid0(VALU_DEP_1) | instskip(NEXT) | instid1(VALU_DEP_1)
	v_add_f32_e32 v16, v19, v15
	v_sub_f32_e32 v17, v19, v16
	v_mul_f32_e32 v19, v16, v16
	s_delay_alu instid0(VALU_DEP_2) | instskip(SKIP_1) | instid1(VALU_DEP_3)
	v_add_f32_e32 v15, v15, v17
	v_fmaak_f32 v17, s20, v16, 0x3c091de6
	v_fma_f32 v20, v16, v16, -v19
	s_delay_alu instid0(VALU_DEP_3) | instskip(NEXT) | instid1(VALU_DEP_3)
	v_add_f32_e32 v21, v15, v15
	v_fmaak_f32 v17, v16, v17, 0x3d2aadcc
	s_delay_alu instid0(VALU_DEP_2) | instskip(NEXT) | instid1(VALU_DEP_2)
	v_fmac_f32_e32 v20, v16, v21
	v_fmaak_f32 v17, v16, v17, 0x3e2aaa47
	s_delay_alu instid0(VALU_DEP_2) | instskip(NEXT) | instid1(VALU_DEP_2)
	v_add_f32_e32 v21, v19, v20
	v_fmaak_f32 v17, v16, v17, 0x3efffffc
	s_delay_alu instid0(VALU_DEP_2) | instskip(NEXT) | instid1(VALU_DEP_1)
	v_sub_f32_e32 v19, v21, v19
	v_dual_mul_f32 v22, v17, v21 :: v_dual_sub_f32 v19, v20, v19
	s_delay_alu instid0(VALU_DEP_1) | instskip(NEXT) | instid1(VALU_DEP_1)
	v_fma_f32 v20, v21, v17, -v22
	v_fmac_f32_e32 v20, v19, v17
	s_delay_alu instid0(VALU_DEP_1) | instskip(NEXT) | instid1(VALU_DEP_1)
	v_add_f32_e32 v17, v22, v20
	v_sub_f32_e32 v19, v17, v22
	v_add_f32_e32 v21, v16, v17
	s_delay_alu instid0(VALU_DEP_1) | instskip(NEXT) | instid1(VALU_DEP_1)
	v_dual_sub_f32 v19, v20, v19 :: v_dual_sub_f32 v16, v21, v16
	v_dual_sub_f32 v16, v17, v16 :: v_dual_add_f32 v15, v15, v19
	s_delay_alu instid0(VALU_DEP_1) | instskip(NEXT) | instid1(VALU_DEP_1)
	v_add_f32_e32 v15, v15, v16
	v_add_f32_e32 v16, v21, v15
	s_delay_alu instid0(VALU_DEP_1) | instskip(SKIP_1) | instid1(VALU_DEP_1)
	v_add_f32_e32 v17, 1.0, v16
	v_sub_f32_e32 v19, v16, v21
	v_dual_add_f32 v20, -1.0, v17 :: v_dual_sub_f32 v15, v15, v19
	s_delay_alu instid0(VALU_DEP_1) | instskip(NEXT) | instid1(VALU_DEP_1)
	v_sub_f32_e32 v16, v16, v20
	v_add_f32_e32 v15, v15, v16
	v_cvt_i32_f32_e32 v16, v18
	s_delay_alu instid0(VALU_DEP_2) | instskip(NEXT) | instid1(VALU_DEP_1)
	v_add_f32_e32 v18, v17, v15
	v_ldexp_f32 v19, v18, v16
	s_delay_alu instid0(VALU_DEP_1) | instskip(SKIP_1) | instid1(VALU_DEP_1)
	v_rcp_f32_e32 v20, v19
	v_sub_f32_e32 v17, v18, v17
	v_sub_f32_e32 v15, v15, v17
	s_waitcnt_depctr 0xfff
	v_mul_f32_e32 v17, v19, v20
	v_ldexp_f32 v15, v15, v16
	s_delay_alu instid0(VALU_DEP_2) | instskip(NEXT) | instid1(VALU_DEP_1)
	v_fma_f32 v16, v20, v19, -v17
	v_fmac_f32_e32 v16, v20, v15
	s_delay_alu instid0(VALU_DEP_1) | instskip(NEXT) | instid1(VALU_DEP_1)
	v_add_f32_e32 v18, v17, v16
	v_sub_f32_e32 v21, 1.0, v18
	v_sub_f32_e32 v17, v18, v17
	s_delay_alu instid0(VALU_DEP_2) | instskip(NEXT) | instid1(VALU_DEP_1)
	v_sub_f32_e32 v22, 1.0, v21
	v_dual_sub_f32 v16, v17, v16 :: v_dual_sub_f32 v17, v22, v18
	s_delay_alu instid0(VALU_DEP_1) | instskip(NEXT) | instid1(VALU_DEP_1)
	v_add_f32_e32 v16, v16, v17
	v_add_f32_e32 v17, v21, v16
	s_delay_alu instid0(VALU_DEP_1) | instskip(NEXT) | instid1(VALU_DEP_1)
	v_mul_f32_e32 v18, v20, v17
	v_dual_sub_f32 v21, v21, v17 :: v_dual_mul_f32 v22, v19, v18
	s_delay_alu instid0(VALU_DEP_1) | instskip(NEXT) | instid1(VALU_DEP_2)
	v_add_f32_e32 v16, v16, v21
	v_fma_f32 v23, v18, v19, -v22
	s_delay_alu instid0(VALU_DEP_1) | instskip(NEXT) | instid1(VALU_DEP_1)
	v_fmac_f32_e32 v23, v18, v15
	v_add_f32_e32 v24, v22, v23
	s_delay_alu instid0(VALU_DEP_1) | instskip(SKIP_1) | instid1(VALU_DEP_2)
	v_sub_f32_e32 v25, v17, v24
	v_sub_f32_e32 v21, v24, v22
	;; [unrolled: 1-line block ×3, first 2 shown]
	s_delay_alu instid0(VALU_DEP_2) | instskip(NEXT) | instid1(VALU_DEP_2)
	v_sub_f32_e32 v21, v21, v23
	v_sub_f32_e32 v17, v17, v24
	s_delay_alu instid0(VALU_DEP_1) | instskip(NEXT) | instid1(VALU_DEP_1)
	v_add_f32_e32 v16, v16, v17
	v_dual_add_f32 v17, v20, v18 :: v_dual_add_f32 v16, v21, v16
	s_delay_alu instid0(VALU_DEP_1) | instskip(NEXT) | instid1(VALU_DEP_2)
	v_sub_f32_e32 v21, v17, v20
	v_add_f32_e32 v16, v25, v16
	s_delay_alu instid0(VALU_DEP_2) | instskip(NEXT) | instid1(VALU_DEP_2)
	v_sub_f32_e32 v18, v18, v21
	v_mul_f32_e32 v16, v20, v16
	s_delay_alu instid0(VALU_DEP_1) | instskip(NEXT) | instid1(VALU_DEP_1)
	v_add_f32_e32 v16, v18, v16
	v_add_f32_e32 v18, v17, v16
	s_delay_alu instid0(VALU_DEP_1) | instskip(SKIP_1) | instid1(VALU_DEP_1)
	v_sub_f32_e32 v17, v18, v17
	v_ldexp_f32 v18, v18, -2
	v_dual_sub_f32 v16, v16, v17 :: v_dual_add_f32 v17, v19, v18
	s_delay_alu instid0(VALU_DEP_1) | instskip(NEXT) | instid1(VALU_DEP_2)
	v_ldexp_f32 v16, v16, -2
	v_sub_f32_e32 v19, v17, v19
	s_delay_alu instid0(VALU_DEP_1) | instskip(NEXT) | instid1(VALU_DEP_1)
	v_dual_add_f32 v15, v15, v16 :: v_dual_sub_f32 v16, v18, v19
	v_add_f32_e32 v15, v15, v16
	s_delay_alu instid0(VALU_DEP_1) | instskip(NEXT) | instid1(VALU_DEP_1)
	v_add_f32_e32 v15, v17, v15
	v_cndmask_b32_e64 v14, 0x7f800000, v15, s4
	global_store_b32 v[1:2], v14, off
	s_or_b32 exec_lo, exec_lo, s5
	s_and_saveexec_b32 s4, s3
	s_cbranch_execz .LBB87_13
.LBB87_17:                              ;   in Loop: Header=BB87_4 Depth=1
	s_waitcnt vmcnt(0)
	v_add_f32_e64 v14, 0xbf317218, |v13|
	v_cmp_nlt_f32_e64 s3, 0x42b2d4fc, |v13|
	s_delay_alu instid0(VALU_DEP_2) | instskip(NEXT) | instid1(VALU_DEP_1)
	v_sub_f32_e64 v15, v14, |v13|
	v_dual_sub_f32 v16, v15, v14 :: v_dual_add_f32 v15, 0x3f317218, v15
	s_delay_alu instid0(VALU_DEP_1) | instskip(NEXT) | instid1(VALU_DEP_1)
	v_add_f32_e64 v16, |v13|, v16
	v_sub_f32_e32 v15, v16, v15
	s_delay_alu instid0(VALU_DEP_1) | instskip(NEXT) | instid1(VALU_DEP_1)
	v_add_f32_e32 v15, 0x3102e308, v15
	v_add_f32_e32 v16, v14, v15
	s_delay_alu instid0(VALU_DEP_1) | instskip(NEXT) | instid1(VALU_DEP_1)
	v_sub_f32_e32 v14, v14, v16
	v_dual_mul_f32 v17, 0x3fb8aa3b, v16 :: v_dual_add_f32 v14, v15, v14
	s_delay_alu instid0(VALU_DEP_1) | instskip(NEXT) | instid1(VALU_DEP_1)
	v_rndne_f32_e32 v17, v17
	v_mul_f32_e32 v15, 0x35bfbc00, v17
	v_fmac_f32_e32 v16, 0xbf317200, v17
	s_delay_alu instid0(VALU_DEP_1) | instskip(NEXT) | instid1(VALU_DEP_1)
	v_add_f32_e32 v18, v14, v16
	v_dual_sub_f32 v19, v18, v15 :: v_dual_sub_f32 v16, v16, v18
	s_delay_alu instid0(VALU_DEP_1) | instskip(NEXT) | instid1(VALU_DEP_1)
	v_sub_f32_e32 v18, v18, v19
	v_sub_f32_e32 v15, v18, v15
	s_delay_alu instid0(VALU_DEP_3) | instskip(NEXT) | instid1(VALU_DEP_1)
	v_add_f32_e32 v14, v14, v16
	v_dual_add_f32 v14, v14, v15 :: v_dual_mul_f32 v15, 0x2ea39ef3, v17
	s_delay_alu instid0(VALU_DEP_1) | instskip(NEXT) | instid1(VALU_DEP_1)
	v_add_f32_e32 v16, v19, v14
	v_dual_sub_f32 v18, v16, v15 :: v_dual_sub_f32 v19, v19, v16
	s_delay_alu instid0(VALU_DEP_1) | instskip(NEXT) | instid1(VALU_DEP_2)
	v_sub_f32_e32 v16, v16, v18
	v_add_f32_e32 v14, v14, v19
	s_delay_alu instid0(VALU_DEP_2) | instskip(NEXT) | instid1(VALU_DEP_1)
	v_sub_f32_e32 v15, v16, v15
	v_add_f32_e32 v14, v14, v15
	s_delay_alu instid0(VALU_DEP_1) | instskip(NEXT) | instid1(VALU_DEP_1)
	v_add_f32_e32 v15, v18, v14
	v_sub_f32_e32 v16, v18, v15
	v_mul_f32_e32 v18, v15, v15
	s_delay_alu instid0(VALU_DEP_2) | instskip(SKIP_1) | instid1(VALU_DEP_3)
	v_add_f32_e32 v14, v14, v16
	v_fmaak_f32 v16, s20, v15, 0x3c091de6
	v_fma_f32 v19, v15, v15, -v18
	s_delay_alu instid0(VALU_DEP_3) | instskip(NEXT) | instid1(VALU_DEP_3)
	v_add_f32_e32 v20, v14, v14
	v_fmaak_f32 v16, v15, v16, 0x3d2aadcc
	s_delay_alu instid0(VALU_DEP_2) | instskip(NEXT) | instid1(VALU_DEP_2)
	v_fmac_f32_e32 v19, v15, v20
	v_fmaak_f32 v16, v15, v16, 0x3e2aaa47
	s_delay_alu instid0(VALU_DEP_2) | instskip(NEXT) | instid1(VALU_DEP_2)
	v_add_f32_e32 v20, v18, v19
	v_fmaak_f32 v16, v15, v16, 0x3efffffc
	s_delay_alu instid0(VALU_DEP_2) | instskip(NEXT) | instid1(VALU_DEP_1)
	v_sub_f32_e32 v18, v20, v18
	v_dual_mul_f32 v21, v16, v20 :: v_dual_sub_f32 v18, v19, v18
	s_delay_alu instid0(VALU_DEP_1) | instskip(NEXT) | instid1(VALU_DEP_1)
	v_fma_f32 v19, v20, v16, -v21
	v_fmac_f32_e32 v19, v18, v16
	s_delay_alu instid0(VALU_DEP_1) | instskip(NEXT) | instid1(VALU_DEP_1)
	v_add_f32_e32 v16, v21, v19
	v_sub_f32_e32 v20, v16, v21
	v_add_f32_e32 v18, v15, v16
	s_delay_alu instid0(VALU_DEP_2) | instskip(NEXT) | instid1(VALU_DEP_2)
	v_sub_f32_e32 v19, v19, v20
	v_sub_f32_e32 v15, v18, v15
	s_delay_alu instid0(VALU_DEP_1) | instskip(NEXT) | instid1(VALU_DEP_3)
	v_sub_f32_e32 v15, v16, v15
	v_add_f32_e32 v14, v14, v19
	s_delay_alu instid0(VALU_DEP_1) | instskip(NEXT) | instid1(VALU_DEP_1)
	v_add_f32_e32 v14, v14, v15
	v_add_f32_e32 v15, v18, v14
	s_delay_alu instid0(VALU_DEP_1) | instskip(NEXT) | instid1(VALU_DEP_1)
	v_add_f32_e32 v16, 1.0, v15
	v_dual_sub_f32 v18, v15, v18 :: v_dual_add_f32 v19, -1.0, v16
	s_delay_alu instid0(VALU_DEP_1) | instskip(NEXT) | instid1(VALU_DEP_1)
	v_dual_sub_f32 v14, v14, v18 :: v_dual_sub_f32 v15, v15, v19
	v_add_f32_e32 v14, v14, v15
	v_cvt_i32_f32_e32 v15, v17
	s_delay_alu instid0(VALU_DEP_2) | instskip(NEXT) | instid1(VALU_DEP_1)
	v_add_f32_e32 v17, v16, v14
	v_ldexp_f32 v18, v17, v15
	s_delay_alu instid0(VALU_DEP_1) | instskip(SKIP_1) | instid1(VALU_DEP_1)
	v_rcp_f32_e32 v19, v18
	v_sub_f32_e32 v16, v17, v16
	v_sub_f32_e32 v14, v14, v16
	s_waitcnt_depctr 0xfff
	v_mul_f32_e32 v16, v18, v19
	v_ldexp_f32 v14, v14, v15
	s_delay_alu instid0(VALU_DEP_2) | instskip(NEXT) | instid1(VALU_DEP_1)
	v_fma_f32 v15, v19, v18, -v16
	v_fmac_f32_e32 v15, v19, v14
	s_delay_alu instid0(VALU_DEP_1) | instskip(NEXT) | instid1(VALU_DEP_1)
	v_add_f32_e32 v17, v16, v15
	v_sub_f32_e32 v20, 1.0, v17
	v_sub_f32_e32 v16, v17, v16
	s_delay_alu instid0(VALU_DEP_2) | instskip(NEXT) | instid1(VALU_DEP_1)
	v_sub_f32_e32 v21, 1.0, v20
	v_dual_sub_f32 v15, v16, v15 :: v_dual_sub_f32 v16, v21, v17
	s_delay_alu instid0(VALU_DEP_1) | instskip(NEXT) | instid1(VALU_DEP_1)
	v_add_f32_e32 v15, v15, v16
	v_add_f32_e32 v16, v20, v15
	s_delay_alu instid0(VALU_DEP_1) | instskip(NEXT) | instid1(VALU_DEP_1)
	v_mul_f32_e32 v17, v19, v16
	v_dual_sub_f32 v20, v20, v16 :: v_dual_mul_f32 v21, v18, v17
	s_delay_alu instid0(VALU_DEP_1) | instskip(NEXT) | instid1(VALU_DEP_2)
	v_add_f32_e32 v15, v15, v20
	v_fma_f32 v22, v17, v18, -v21
	s_delay_alu instid0(VALU_DEP_1) | instskip(NEXT) | instid1(VALU_DEP_1)
	v_fmac_f32_e32 v22, v17, v14
	v_add_f32_e32 v23, v21, v22
	s_delay_alu instid0(VALU_DEP_1) | instskip(SKIP_1) | instid1(VALU_DEP_2)
	v_sub_f32_e32 v24, v16, v23
	v_sub_f32_e32 v20, v23, v21
	;; [unrolled: 1-line block ×3, first 2 shown]
	s_delay_alu instid0(VALU_DEP_2) | instskip(NEXT) | instid1(VALU_DEP_2)
	v_sub_f32_e32 v20, v20, v22
	v_sub_f32_e32 v16, v16, v23
	s_delay_alu instid0(VALU_DEP_1) | instskip(NEXT) | instid1(VALU_DEP_1)
	v_add_f32_e32 v15, v15, v16
	v_dual_add_f32 v16, v19, v17 :: v_dual_add_f32 v15, v20, v15
	s_delay_alu instid0(VALU_DEP_1) | instskip(NEXT) | instid1(VALU_DEP_2)
	v_sub_f32_e32 v20, v16, v19
	v_add_f32_e32 v15, v24, v15
	s_delay_alu instid0(VALU_DEP_2) | instskip(NEXT) | instid1(VALU_DEP_2)
	v_sub_f32_e32 v17, v17, v20
	v_mul_f32_e32 v15, v19, v15
	s_delay_alu instid0(VALU_DEP_1) | instskip(NEXT) | instid1(VALU_DEP_1)
	v_add_f32_e32 v15, v17, v15
	v_add_f32_e32 v17, v16, v15
	s_delay_alu instid0(VALU_DEP_1) | instskip(NEXT) | instid1(VALU_DEP_1)
	v_ldexp_f32 v19, v17, -2
	v_dual_sub_f32 v16, v17, v16 :: v_dual_add_f32 v17, v18, v19
	s_delay_alu instid0(VALU_DEP_1) | instskip(NEXT) | instid1(VALU_DEP_1)
	v_dual_sub_f32 v15, v15, v16 :: v_dual_sub_f32 v16, v17, v18
	v_ldexp_f32 v15, v15, -2
	s_delay_alu instid0(VALU_DEP_2) | instskip(NEXT) | instid1(VALU_DEP_2)
	v_sub_f32_e32 v16, v19, v16
	v_add_f32_e32 v14, v14, v15
	s_delay_alu instid0(VALU_DEP_1) | instskip(NEXT) | instid1(VALU_DEP_1)
	v_add_f32_e32 v14, v14, v16
	v_add_f32_e32 v14, v17, v14
	s_delay_alu instid0(VALU_DEP_1)
	v_cndmask_b32_e64 v13, 0x7f800000, v14, s3
	global_store_b32 v[3:4], v13, off
	s_or_b32 exec_lo, exec_lo, s4
	s_and_saveexec_b32 s3, s2
	s_cbranch_execz .LBB87_14
.LBB87_18:                              ;   in Loop: Header=BB87_4 Depth=1
	s_waitcnt vmcnt(0)
	v_add_f32_e64 v13, 0xbf317218, |v12|
	v_cmp_nlt_f32_e64 s2, 0x42b2d4fc, |v12|
	s_delay_alu instid0(VALU_DEP_2) | instskip(NEXT) | instid1(VALU_DEP_1)
	v_sub_f32_e64 v14, v13, |v12|
	v_dual_sub_f32 v15, v14, v13 :: v_dual_add_f32 v14, 0x3f317218, v14
	s_delay_alu instid0(VALU_DEP_1) | instskip(NEXT) | instid1(VALU_DEP_1)
	v_add_f32_e64 v15, |v12|, v15
	v_sub_f32_e32 v14, v15, v14
	s_delay_alu instid0(VALU_DEP_1) | instskip(NEXT) | instid1(VALU_DEP_1)
	v_add_f32_e32 v14, 0x3102e308, v14
	v_add_f32_e32 v15, v13, v14
	s_delay_alu instid0(VALU_DEP_1) | instskip(NEXT) | instid1(VALU_DEP_1)
	v_sub_f32_e32 v13, v13, v15
	v_dual_mul_f32 v16, 0x3fb8aa3b, v15 :: v_dual_add_f32 v13, v14, v13
	s_delay_alu instid0(VALU_DEP_1) | instskip(NEXT) | instid1(VALU_DEP_1)
	v_rndne_f32_e32 v16, v16
	v_mul_f32_e32 v14, 0x35bfbc00, v16
	v_fmac_f32_e32 v15, 0xbf317200, v16
	s_delay_alu instid0(VALU_DEP_1) | instskip(NEXT) | instid1(VALU_DEP_1)
	v_add_f32_e32 v17, v13, v15
	v_dual_sub_f32 v18, v17, v14 :: v_dual_sub_f32 v15, v15, v17
	s_delay_alu instid0(VALU_DEP_1) | instskip(NEXT) | instid1(VALU_DEP_1)
	v_sub_f32_e32 v17, v17, v18
	v_sub_f32_e32 v14, v17, v14
	s_delay_alu instid0(VALU_DEP_3) | instskip(NEXT) | instid1(VALU_DEP_1)
	v_add_f32_e32 v13, v13, v15
	v_dual_add_f32 v13, v13, v14 :: v_dual_mul_f32 v14, 0x2ea39ef3, v16
	s_delay_alu instid0(VALU_DEP_1) | instskip(NEXT) | instid1(VALU_DEP_1)
	v_add_f32_e32 v15, v18, v13
	v_dual_sub_f32 v17, v15, v14 :: v_dual_sub_f32 v18, v18, v15
	s_delay_alu instid0(VALU_DEP_1) | instskip(NEXT) | instid1(VALU_DEP_2)
	v_sub_f32_e32 v15, v15, v17
	v_add_f32_e32 v13, v13, v18
	s_delay_alu instid0(VALU_DEP_2) | instskip(NEXT) | instid1(VALU_DEP_1)
	v_sub_f32_e32 v14, v15, v14
	v_add_f32_e32 v13, v13, v14
	s_delay_alu instid0(VALU_DEP_1) | instskip(NEXT) | instid1(VALU_DEP_1)
	v_add_f32_e32 v14, v17, v13
	v_sub_f32_e32 v15, v17, v14
	v_mul_f32_e32 v17, v14, v14
	s_delay_alu instid0(VALU_DEP_2) | instskip(SKIP_1) | instid1(VALU_DEP_3)
	v_add_f32_e32 v13, v13, v15
	v_fmaak_f32 v15, s20, v14, 0x3c091de6
	v_fma_f32 v18, v14, v14, -v17
	s_delay_alu instid0(VALU_DEP_3) | instskip(NEXT) | instid1(VALU_DEP_3)
	v_add_f32_e32 v19, v13, v13
	v_fmaak_f32 v15, v14, v15, 0x3d2aadcc
	s_delay_alu instid0(VALU_DEP_2) | instskip(NEXT) | instid1(VALU_DEP_2)
	v_fmac_f32_e32 v18, v14, v19
	v_fmaak_f32 v15, v14, v15, 0x3e2aaa47
	s_delay_alu instid0(VALU_DEP_2) | instskip(NEXT) | instid1(VALU_DEP_2)
	v_add_f32_e32 v19, v17, v18
	v_fmaak_f32 v15, v14, v15, 0x3efffffc
	s_delay_alu instid0(VALU_DEP_2) | instskip(NEXT) | instid1(VALU_DEP_1)
	v_sub_f32_e32 v17, v19, v17
	v_dual_mul_f32 v20, v15, v19 :: v_dual_sub_f32 v17, v18, v17
	s_delay_alu instid0(VALU_DEP_1) | instskip(NEXT) | instid1(VALU_DEP_1)
	v_fma_f32 v18, v19, v15, -v20
	v_fmac_f32_e32 v18, v17, v15
	s_delay_alu instid0(VALU_DEP_1) | instskip(NEXT) | instid1(VALU_DEP_1)
	v_add_f32_e32 v15, v20, v18
	v_sub_f32_e32 v19, v15, v20
	v_add_f32_e32 v17, v14, v15
	s_delay_alu instid0(VALU_DEP_2) | instskip(NEXT) | instid1(VALU_DEP_2)
	v_sub_f32_e32 v18, v18, v19
	v_sub_f32_e32 v14, v17, v14
	s_delay_alu instid0(VALU_DEP_1) | instskip(NEXT) | instid1(VALU_DEP_3)
	v_sub_f32_e32 v14, v15, v14
	v_add_f32_e32 v13, v13, v18
	s_delay_alu instid0(VALU_DEP_1) | instskip(NEXT) | instid1(VALU_DEP_1)
	v_add_f32_e32 v13, v13, v14
	v_add_f32_e32 v14, v17, v13
	s_delay_alu instid0(VALU_DEP_1) | instskip(NEXT) | instid1(VALU_DEP_1)
	v_add_f32_e32 v15, 1.0, v14
	v_dual_sub_f32 v17, v14, v17 :: v_dual_add_f32 v18, -1.0, v15
	s_delay_alu instid0(VALU_DEP_1) | instskip(NEXT) | instid1(VALU_DEP_1)
	v_dual_sub_f32 v13, v13, v17 :: v_dual_sub_f32 v14, v14, v18
	v_add_f32_e32 v13, v13, v14
	v_cvt_i32_f32_e32 v14, v16
	s_delay_alu instid0(VALU_DEP_2) | instskip(NEXT) | instid1(VALU_DEP_1)
	v_add_f32_e32 v16, v15, v13
	v_ldexp_f32 v17, v16, v14
	s_delay_alu instid0(VALU_DEP_1) | instskip(SKIP_1) | instid1(VALU_DEP_1)
	v_rcp_f32_e32 v18, v17
	v_sub_f32_e32 v15, v16, v15
	v_sub_f32_e32 v13, v13, v15
	s_waitcnt_depctr 0xfff
	v_mul_f32_e32 v15, v17, v18
	v_ldexp_f32 v13, v13, v14
	s_delay_alu instid0(VALU_DEP_2) | instskip(NEXT) | instid1(VALU_DEP_1)
	v_fma_f32 v14, v18, v17, -v15
	v_fmac_f32_e32 v14, v18, v13
	s_delay_alu instid0(VALU_DEP_1) | instskip(NEXT) | instid1(VALU_DEP_1)
	v_add_f32_e32 v16, v15, v14
	v_sub_f32_e32 v19, 1.0, v16
	v_sub_f32_e32 v15, v16, v15
	s_delay_alu instid0(VALU_DEP_2) | instskip(NEXT) | instid1(VALU_DEP_1)
	v_sub_f32_e32 v20, 1.0, v19
	v_dual_sub_f32 v14, v15, v14 :: v_dual_sub_f32 v15, v20, v16
	s_delay_alu instid0(VALU_DEP_1) | instskip(NEXT) | instid1(VALU_DEP_1)
	v_add_f32_e32 v14, v14, v15
	v_add_f32_e32 v15, v19, v14
	s_delay_alu instid0(VALU_DEP_1) | instskip(NEXT) | instid1(VALU_DEP_1)
	v_mul_f32_e32 v16, v18, v15
	v_dual_sub_f32 v19, v19, v15 :: v_dual_mul_f32 v20, v17, v16
	s_delay_alu instid0(VALU_DEP_1) | instskip(NEXT) | instid1(VALU_DEP_2)
	v_add_f32_e32 v14, v14, v19
	v_fma_f32 v21, v16, v17, -v20
	s_delay_alu instid0(VALU_DEP_1) | instskip(NEXT) | instid1(VALU_DEP_1)
	v_fmac_f32_e32 v21, v16, v13
	v_add_f32_e32 v22, v20, v21
	s_delay_alu instid0(VALU_DEP_1) | instskip(SKIP_1) | instid1(VALU_DEP_2)
	v_sub_f32_e32 v23, v15, v22
	v_sub_f32_e32 v19, v22, v20
	;; [unrolled: 1-line block ×3, first 2 shown]
	s_delay_alu instid0(VALU_DEP_2) | instskip(NEXT) | instid1(VALU_DEP_2)
	v_sub_f32_e32 v19, v19, v21
	v_sub_f32_e32 v15, v15, v22
	s_delay_alu instid0(VALU_DEP_1) | instskip(NEXT) | instid1(VALU_DEP_1)
	v_add_f32_e32 v14, v14, v15
	v_dual_add_f32 v15, v18, v16 :: v_dual_add_f32 v14, v19, v14
	s_delay_alu instid0(VALU_DEP_1) | instskip(NEXT) | instid1(VALU_DEP_2)
	v_sub_f32_e32 v19, v15, v18
	v_add_f32_e32 v14, v23, v14
	s_delay_alu instid0(VALU_DEP_2) | instskip(NEXT) | instid1(VALU_DEP_2)
	v_sub_f32_e32 v16, v16, v19
	v_mul_f32_e32 v14, v18, v14
	s_delay_alu instid0(VALU_DEP_1) | instskip(NEXT) | instid1(VALU_DEP_1)
	v_add_f32_e32 v14, v16, v14
	v_add_f32_e32 v16, v15, v14
	s_delay_alu instid0(VALU_DEP_1) | instskip(NEXT) | instid1(VALU_DEP_1)
	v_ldexp_f32 v18, v16, -2
	v_dual_sub_f32 v15, v16, v15 :: v_dual_add_f32 v16, v17, v18
	s_delay_alu instid0(VALU_DEP_1) | instskip(NEXT) | instid1(VALU_DEP_1)
	v_dual_sub_f32 v14, v14, v15 :: v_dual_sub_f32 v15, v16, v17
	v_ldexp_f32 v14, v14, -2
	s_delay_alu instid0(VALU_DEP_2) | instskip(NEXT) | instid1(VALU_DEP_2)
	v_sub_f32_e32 v15, v18, v15
	v_add_f32_e32 v13, v13, v14
	s_delay_alu instid0(VALU_DEP_1) | instskip(NEXT) | instid1(VALU_DEP_1)
	v_add_f32_e32 v13, v13, v15
	v_add_f32_e32 v13, v16, v13
	s_delay_alu instid0(VALU_DEP_1) | instskip(SKIP_1) | instid1(VALU_DEP_1)
	v_cndmask_b32_e64 v14, 0x7f800000, v13, s2
	v_add_co_u32 v12, s2, v1, s19
	v_add_co_ci_u32_e64 v13, s2, 0, v2, s2
	global_store_b32 v[12:13], v14, off
	s_or_b32 exec_lo, exec_lo, s3
	s_and_saveexec_b32 s2, vcc_lo
	s_cbranch_execz .LBB87_3
.LBB87_19:                              ;   in Loop: Header=BB87_4 Depth=1
	s_waitcnt vmcnt(0)
	v_add_f32_e64 v12, 0xbf317218, |v11|
	v_cmp_nlt_f32_e64 vcc_lo, 0x42b2d4fc, |v11|
	s_delay_alu instid0(VALU_DEP_2) | instskip(NEXT) | instid1(VALU_DEP_1)
	v_sub_f32_e64 v13, v12, |v11|
	v_dual_sub_f32 v14, v13, v12 :: v_dual_add_f32 v13, 0x3f317218, v13
	s_delay_alu instid0(VALU_DEP_1) | instskip(NEXT) | instid1(VALU_DEP_1)
	v_add_f32_e64 v14, |v11|, v14
	v_sub_f32_e32 v13, v14, v13
	s_delay_alu instid0(VALU_DEP_1) | instskip(NEXT) | instid1(VALU_DEP_1)
	v_add_f32_e32 v13, 0x3102e308, v13
	v_add_f32_e32 v14, v12, v13
	s_delay_alu instid0(VALU_DEP_1) | instskip(NEXT) | instid1(VALU_DEP_1)
	v_sub_f32_e32 v12, v12, v14
	v_dual_mul_f32 v15, 0x3fb8aa3b, v14 :: v_dual_add_f32 v12, v13, v12
	s_delay_alu instid0(VALU_DEP_1) | instskip(NEXT) | instid1(VALU_DEP_1)
	v_rndne_f32_e32 v15, v15
	v_mul_f32_e32 v13, 0x35bfbc00, v15
	v_fmac_f32_e32 v14, 0xbf317200, v15
	s_delay_alu instid0(VALU_DEP_1) | instskip(NEXT) | instid1(VALU_DEP_1)
	v_add_f32_e32 v16, v12, v14
	v_dual_sub_f32 v17, v16, v13 :: v_dual_sub_f32 v14, v14, v16
	s_delay_alu instid0(VALU_DEP_1) | instskip(NEXT) | instid1(VALU_DEP_1)
	v_sub_f32_e32 v16, v16, v17
	v_sub_f32_e32 v13, v16, v13
	s_delay_alu instid0(VALU_DEP_3) | instskip(NEXT) | instid1(VALU_DEP_1)
	v_add_f32_e32 v12, v12, v14
	v_dual_add_f32 v12, v12, v13 :: v_dual_mul_f32 v13, 0x2ea39ef3, v15
	s_delay_alu instid0(VALU_DEP_1) | instskip(NEXT) | instid1(VALU_DEP_1)
	v_add_f32_e32 v14, v17, v12
	v_dual_sub_f32 v16, v14, v13 :: v_dual_sub_f32 v17, v17, v14
	s_delay_alu instid0(VALU_DEP_1) | instskip(NEXT) | instid1(VALU_DEP_2)
	v_sub_f32_e32 v14, v14, v16
	v_add_f32_e32 v12, v12, v17
	s_delay_alu instid0(VALU_DEP_2) | instskip(NEXT) | instid1(VALU_DEP_1)
	v_sub_f32_e32 v13, v14, v13
	v_add_f32_e32 v12, v12, v13
	s_delay_alu instid0(VALU_DEP_1) | instskip(NEXT) | instid1(VALU_DEP_1)
	v_add_f32_e32 v13, v16, v12
	v_sub_f32_e32 v14, v16, v13
	v_mul_f32_e32 v16, v13, v13
	s_delay_alu instid0(VALU_DEP_2) | instskip(SKIP_1) | instid1(VALU_DEP_3)
	v_add_f32_e32 v12, v12, v14
	v_fmaak_f32 v14, s20, v13, 0x3c091de6
	v_fma_f32 v17, v13, v13, -v16
	s_delay_alu instid0(VALU_DEP_3) | instskip(NEXT) | instid1(VALU_DEP_3)
	v_add_f32_e32 v18, v12, v12
	v_fmaak_f32 v14, v13, v14, 0x3d2aadcc
	s_delay_alu instid0(VALU_DEP_2) | instskip(NEXT) | instid1(VALU_DEP_2)
	v_fmac_f32_e32 v17, v13, v18
	v_fmaak_f32 v14, v13, v14, 0x3e2aaa47
	s_delay_alu instid0(VALU_DEP_2) | instskip(NEXT) | instid1(VALU_DEP_2)
	v_add_f32_e32 v18, v16, v17
	v_fmaak_f32 v14, v13, v14, 0x3efffffc
	s_delay_alu instid0(VALU_DEP_2) | instskip(NEXT) | instid1(VALU_DEP_1)
	v_sub_f32_e32 v16, v18, v16
	v_dual_mul_f32 v19, v14, v18 :: v_dual_sub_f32 v16, v17, v16
	s_delay_alu instid0(VALU_DEP_1) | instskip(NEXT) | instid1(VALU_DEP_1)
	v_fma_f32 v17, v18, v14, -v19
	v_fmac_f32_e32 v17, v16, v14
	s_delay_alu instid0(VALU_DEP_1) | instskip(NEXT) | instid1(VALU_DEP_1)
	v_add_f32_e32 v14, v19, v17
	v_sub_f32_e32 v18, v14, v19
	v_add_f32_e32 v16, v13, v14
	s_delay_alu instid0(VALU_DEP_2) | instskip(NEXT) | instid1(VALU_DEP_2)
	v_sub_f32_e32 v17, v17, v18
	v_sub_f32_e32 v13, v16, v13
	s_delay_alu instid0(VALU_DEP_1) | instskip(NEXT) | instid1(VALU_DEP_3)
	v_sub_f32_e32 v13, v14, v13
	v_add_f32_e32 v12, v12, v17
	s_delay_alu instid0(VALU_DEP_1) | instskip(NEXT) | instid1(VALU_DEP_1)
	v_add_f32_e32 v12, v12, v13
	v_add_f32_e32 v13, v16, v12
	s_delay_alu instid0(VALU_DEP_1) | instskip(NEXT) | instid1(VALU_DEP_1)
	v_add_f32_e32 v14, 1.0, v13
	v_dual_sub_f32 v16, v13, v16 :: v_dual_add_f32 v17, -1.0, v14
	s_delay_alu instid0(VALU_DEP_1) | instskip(NEXT) | instid1(VALU_DEP_1)
	v_dual_sub_f32 v12, v12, v16 :: v_dual_sub_f32 v13, v13, v17
	v_add_f32_e32 v12, v12, v13
	v_cvt_i32_f32_e32 v13, v15
	s_delay_alu instid0(VALU_DEP_2) | instskip(NEXT) | instid1(VALU_DEP_1)
	v_add_f32_e32 v15, v14, v12
	v_ldexp_f32 v16, v15, v13
	s_delay_alu instid0(VALU_DEP_1) | instskip(SKIP_1) | instid1(VALU_DEP_1)
	v_rcp_f32_e32 v17, v16
	v_sub_f32_e32 v14, v15, v14
	v_sub_f32_e32 v12, v12, v14
	s_waitcnt_depctr 0xfff
	v_mul_f32_e32 v14, v16, v17
	v_ldexp_f32 v12, v12, v13
	s_delay_alu instid0(VALU_DEP_2) | instskip(NEXT) | instid1(VALU_DEP_1)
	v_fma_f32 v13, v17, v16, -v14
	v_fmac_f32_e32 v13, v17, v12
	s_delay_alu instid0(VALU_DEP_1) | instskip(NEXT) | instid1(VALU_DEP_1)
	v_add_f32_e32 v15, v14, v13
	v_sub_f32_e32 v18, 1.0, v15
	v_sub_f32_e32 v14, v15, v14
	s_delay_alu instid0(VALU_DEP_2) | instskip(NEXT) | instid1(VALU_DEP_1)
	v_sub_f32_e32 v19, 1.0, v18
	v_dual_sub_f32 v13, v14, v13 :: v_dual_sub_f32 v14, v19, v15
	s_delay_alu instid0(VALU_DEP_1) | instskip(NEXT) | instid1(VALU_DEP_1)
	v_add_f32_e32 v13, v13, v14
	v_add_f32_e32 v14, v18, v13
	s_delay_alu instid0(VALU_DEP_1) | instskip(NEXT) | instid1(VALU_DEP_1)
	v_mul_f32_e32 v15, v17, v14
	v_dual_sub_f32 v18, v18, v14 :: v_dual_mul_f32 v19, v16, v15
	s_delay_alu instid0(VALU_DEP_1) | instskip(NEXT) | instid1(VALU_DEP_2)
	v_add_f32_e32 v13, v13, v18
	v_fma_f32 v20, v15, v16, -v19
	s_delay_alu instid0(VALU_DEP_1) | instskip(NEXT) | instid1(VALU_DEP_1)
	v_fmac_f32_e32 v20, v15, v12
	v_add_f32_e32 v21, v19, v20
	s_delay_alu instid0(VALU_DEP_1) | instskip(SKIP_1) | instid1(VALU_DEP_2)
	v_sub_f32_e32 v22, v14, v21
	v_sub_f32_e32 v18, v21, v19
	v_sub_f32_e32 v14, v14, v22
	s_delay_alu instid0(VALU_DEP_2) | instskip(NEXT) | instid1(VALU_DEP_2)
	v_sub_f32_e32 v18, v18, v20
	v_sub_f32_e32 v14, v14, v21
	s_delay_alu instid0(VALU_DEP_1) | instskip(NEXT) | instid1(VALU_DEP_1)
	v_add_f32_e32 v13, v13, v14
	v_dual_add_f32 v14, v17, v15 :: v_dual_add_f32 v13, v18, v13
	s_delay_alu instid0(VALU_DEP_1) | instskip(NEXT) | instid1(VALU_DEP_2)
	v_sub_f32_e32 v18, v14, v17
	v_add_f32_e32 v13, v22, v13
	s_delay_alu instid0(VALU_DEP_2) | instskip(NEXT) | instid1(VALU_DEP_2)
	v_sub_f32_e32 v15, v15, v18
	v_mul_f32_e32 v13, v17, v13
	s_delay_alu instid0(VALU_DEP_1) | instskip(NEXT) | instid1(VALU_DEP_1)
	v_add_f32_e32 v13, v15, v13
	v_add_f32_e32 v15, v14, v13
	s_delay_alu instid0(VALU_DEP_1) | instskip(NEXT) | instid1(VALU_DEP_1)
	v_ldexp_f32 v17, v15, -2
	v_dual_sub_f32 v14, v15, v14 :: v_dual_add_f32 v15, v16, v17
	s_delay_alu instid0(VALU_DEP_1) | instskip(NEXT) | instid1(VALU_DEP_1)
	v_dual_sub_f32 v13, v13, v14 :: v_dual_sub_f32 v14, v15, v16
	v_ldexp_f32 v13, v13, -2
	s_delay_alu instid0(VALU_DEP_2) | instskip(NEXT) | instid1(VALU_DEP_2)
	v_sub_f32_e32 v14, v17, v14
	v_add_f32_e32 v12, v12, v13
	s_delay_alu instid0(VALU_DEP_1) | instskip(NEXT) | instid1(VALU_DEP_1)
	v_add_f32_e32 v12, v12, v14
	v_add_f32_e32 v12, v15, v12
	s_delay_alu instid0(VALU_DEP_1)
	v_cndmask_b32_e32 v13, 0x7f800000, v12, vcc_lo
	v_add_co_u32 v11, vcc_lo, v1, s17
	v_add_co_ci_u32_e32 v12, vcc_lo, 0, v2, vcc_lo
	global_store_b32 v[11:12], v13, off
	s_branch .LBB87_3
.LBB87_20:
	s_cbranch_execz .LBB87_22
	s_branch .LBB87_25
.LBB87_21:
.LBB87_22:
	v_dual_mov_b32 v5, 0 :: v_dual_lshlrev_b32 v4, 2, v0
	s_mov_b32 s2, 0
	s_mov_b32 s3, exec_lo
	s_delay_alu instid0(VALU_DEP_1)
	v_cmpx_gt_i64_e64 s[6:7], v[4:5]
	s_cbranch_execz .LBB87_25
; %bb.23:
	s_load_b32 s0, s[0:1], 0xd3c
	v_lshlrev_b32_e32 v1, 4, v0
	s_mov_b32 s5, 0x3ab42872
	s_waitcnt lgkmcnt(0)
	s_and_b32 s0, s0, 0xffff
	s_delay_alu instid0(SALU_CYCLE_1) | instskip(SKIP_3) | instid1(VALU_DEP_1)
	s_lshl_b32 s3, s0, 2
	s_add_u32 s1, s8, s10
	s_addc_u32 s4, s9, s11
	v_add_co_u32 v1, s1, s1, v1
	v_add_co_ci_u32_e64 v2, null, s4, 0, s1
	v_add_lshl_u32 v4, v0, s0, 2
	s_delay_alu instid0(VALU_DEP_3) | instskip(NEXT) | instid1(VALU_DEP_3)
	v_add_co_u32 v6, vcc_lo, v1, 8
	v_add_co_ci_u32_e32 v7, vcc_lo, 0, v2, vcc_lo
	s_lshl_b32 s4, s0, 4
.LBB87_24:                              ; =>This Inner Loop Header: Depth=1
	global_load_b128 v[0:3], v[6:7], off offset:-8
	v_cmp_le_i64_e32 vcc_lo, s[6:7], v[4:5]
	v_cmp_lt_u64_e64 s0, 0xffff, v[4:5]
	s_delay_alu instid0(VALU_DEP_1) | instskip(NEXT) | instid1(SALU_CYCLE_1)
	s_or_b32 s0, vcc_lo, s0
	s_and_b32 s0, exec_lo, s0
	s_delay_alu instid0(SALU_CYCLE_1)
	s_or_b32 s2, s0, s2
	s_waitcnt vmcnt(0)
	v_add_f32_e64 v8, 0xbf317218, |v0|
	v_add_f32_e64 v9, 0xbf317218, |v1|
	;; [unrolled: 1-line block ×4, first 2 shown]
	v_cmp_nlt_f32_e64 s1, 0x42b2d4fc, |v0|
	v_sub_f32_e64 v12, v8, |v0|
	v_sub_f32_e64 v13, v9, |v1|
	;; [unrolled: 1-line block ×4, first 2 shown]
	s_delay_alu instid0(VALU_DEP_3) | instskip(SKIP_1) | instid1(VALU_DEP_3)
	v_dual_sub_f32 v16, v12, v8 :: v_dual_sub_f32 v17, v13, v9
	v_dual_add_f32 v12, 0x3f317218, v12 :: v_dual_add_f32 v13, 0x3f317218, v13
	v_dual_sub_f32 v18, v14, v10 :: v_dual_sub_f32 v19, v15, v11
	s_delay_alu instid0(VALU_DEP_3) | instskip(SKIP_2) | instid1(VALU_DEP_4)
	v_add_f32_e64 v16, |v0|, v16
	v_dual_add_f32 v14, 0x3f317218, v14 :: v_dual_add_f32 v15, 0x3f317218, v15
	v_add_f32_e64 v17, |v1|, v17
	v_add_f32_e64 v18, |v2|, v18
	;; [unrolled: 1-line block ×3, first 2 shown]
	s_delay_alu instid0(VALU_DEP_3) | instskip(NEXT) | instid1(VALU_DEP_2)
	v_dual_sub_f32 v12, v16, v12 :: v_dual_sub_f32 v13, v17, v13
	v_dual_sub_f32 v14, v18, v14 :: v_dual_sub_f32 v15, v19, v15
	s_delay_alu instid0(VALU_DEP_2) | instskip(NEXT) | instid1(VALU_DEP_2)
	v_dual_add_f32 v12, 0x3102e308, v12 :: v_dual_add_f32 v13, 0x3102e308, v13
	v_dual_add_f32 v14, 0x3102e308, v14 :: v_dual_add_f32 v15, 0x3102e308, v15
	s_delay_alu instid0(VALU_DEP_2) | instskip(NEXT) | instid1(VALU_DEP_2)
	v_dual_add_f32 v16, v8, v12 :: v_dual_add_f32 v17, v9, v13
	v_dual_add_f32 v18, v10, v14 :: v_dual_add_f32 v19, v11, v15
	s_delay_alu instid0(VALU_DEP_2) | instskip(NEXT) | instid1(VALU_DEP_3)
	v_sub_f32_e32 v8, v8, v16
	v_dual_mul_f32 v20, 0x3fb8aa3b, v16 :: v_dual_mul_f32 v21, 0x3fb8aa3b, v17
	s_delay_alu instid0(VALU_DEP_3) | instskip(NEXT) | instid1(VALU_DEP_4)
	v_dual_sub_f32 v9, v9, v17 :: v_dual_sub_f32 v10, v10, v18
	v_dual_sub_f32 v11, v11, v19 :: v_dual_mul_f32 v22, 0x3fb8aa3b, v18
	s_delay_alu instid0(VALU_DEP_4) | instskip(NEXT) | instid1(VALU_DEP_3)
	v_dual_mul_f32 v23, 0x3fb8aa3b, v19 :: v_dual_add_f32 v8, v12, v8
	v_add_f32_e32 v9, v13, v9
	v_rndne_f32_e32 v12, v20
	v_rndne_f32_e32 v13, v21
	v_dual_add_f32 v10, v14, v10 :: v_dual_add_f32 v11, v15, v11
	v_rndne_f32_e32 v14, v22
	v_rndne_f32_e32 v15, v23
	s_delay_alu instid0(VALU_DEP_4) | instskip(SKIP_2) | instid1(VALU_DEP_4)
	v_dual_fmac_f32 v16, 0xbf317200, v12 :: v_dual_fmac_f32 v17, 0xbf317200, v13
	v_mul_f32_e32 v20, 0x35bfbc00, v12
	v_mul_f32_e32 v22, 0x35bfbc00, v13
	v_dual_fmac_f32 v18, 0xbf317200, v14 :: v_dual_fmac_f32 v19, 0xbf317200, v15
	s_delay_alu instid0(VALU_DEP_4) | instskip(SKIP_2) | instid1(VALU_DEP_4)
	v_add_f32_e32 v25, v8, v16
	v_mul_f32_e32 v21, 0x2ea39ef3, v12
	v_dual_mul_f32 v24, 0x35bfbc00, v14 :: v_dual_add_f32 v27, v9, v17
	v_add_f32_e32 v29, v11, v19
	s_delay_alu instid0(VALU_DEP_4) | instskip(NEXT) | instid1(VALU_DEP_3)
	v_dual_mul_f32 v23, 0x2ea39ef3, v13 :: v_dual_sub_f32 v30, v25, v20
	v_dual_mul_f32 v26, 0x35bfbc00, v15 :: v_dual_sub_f32 v31, v27, v22
	v_add_f32_e32 v28, v10, v18
	v_dual_sub_f32 v16, v16, v25 :: v_dual_sub_f32 v17, v17, v27
	s_delay_alu instid0(VALU_DEP_3) | instskip(NEXT) | instid1(VALU_DEP_3)
	v_sub_f32_e32 v33, v29, v26
	v_dual_sub_f32 v19, v19, v29 :: v_dual_sub_f32 v18, v18, v28
	v_sub_f32_e32 v32, v28, v24
	s_delay_alu instid0(VALU_DEP_4) | instskip(SKIP_1) | instid1(VALU_DEP_4)
	v_dual_add_f32 v8, v8, v16 :: v_dual_add_f32 v9, v9, v17
	v_dual_sub_f32 v16, v25, v30 :: v_dual_sub_f32 v17, v27, v31
	v_dual_add_f32 v10, v10, v18 :: v_dual_sub_f32 v25, v29, v33
	s_delay_alu instid0(VALU_DEP_4) | instskip(NEXT) | instid1(VALU_DEP_3)
	v_dual_sub_f32 v18, v28, v32 :: v_dual_add_f32 v11, v11, v19
	v_dual_sub_f32 v16, v16, v20 :: v_dual_sub_f32 v17, v17, v22
	s_delay_alu instid0(VALU_DEP_2) | instskip(SKIP_1) | instid1(VALU_DEP_3)
	v_dual_sub_f32 v19, v25, v26 :: v_dual_sub_f32 v18, v18, v24
	v_cvt_i32_f32_e32 v13, v13
	v_dual_add_f32 v8, v8, v16 :: v_dual_add_f32 v9, v9, v17
	s_delay_alu instid0(VALU_DEP_3) | instskip(NEXT) | instid1(VALU_DEP_4)
	v_dual_mul_f32 v16, 0x2ea39ef3, v14 :: v_dual_add_f32 v11, v11, v19
	v_add_f32_e32 v10, v10, v18
	s_delay_alu instid0(VALU_DEP_3) | instskip(NEXT) | instid1(VALU_DEP_4)
	v_dual_add_f32 v17, v30, v8 :: v_dual_mul_f32 v18, 0x2ea39ef3, v15
	v_add_f32_e32 v19, v31, v9
	v_cvt_i32_f32_e32 v12, v12
	s_delay_alu instid0(VALU_DEP_3) | instskip(SKIP_1) | instid1(VALU_DEP_4)
	v_dual_add_f32 v20, v32, v10 :: v_dual_sub_f32 v25, v17, v21
	v_add_f32_e32 v22, v33, v11
	v_dual_sub_f32 v24, v30, v17 :: v_dual_sub_f32 v27, v19, v23
	s_delay_alu instid0(VALU_DEP_3) | instskip(NEXT) | instid1(VALU_DEP_3)
	v_dual_sub_f32 v29, v20, v16 :: v_dual_sub_f32 v26, v31, v19
	v_sub_f32_e32 v31, v22, v18
	s_delay_alu instid0(VALU_DEP_3) | instskip(SKIP_1) | instid1(VALU_DEP_2)
	v_dual_sub_f32 v30, v33, v22 :: v_dual_sub_f32 v19, v19, v27
	v_dual_sub_f32 v28, v32, v20 :: v_dual_sub_f32 v17, v17, v25
	v_dual_sub_f32 v20, v20, v29 :: v_dual_add_f32 v11, v11, v30
	s_delay_alu instid0(VALU_DEP_4) | instskip(SKIP_1) | instid1(VALU_DEP_4)
	v_sub_f32_e32 v22, v22, v31
	v_dual_add_f32 v8, v8, v24 :: v_dual_add_f32 v9, v9, v26
	v_dual_add_f32 v10, v10, v28 :: v_dual_sub_f32 v17, v17, v21
	s_delay_alu instid0(VALU_DEP_4) | instskip(NEXT) | instid1(VALU_DEP_4)
	v_dual_sub_f32 v19, v19, v23 :: v_dual_sub_f32 v16, v20, v16
	v_sub_f32_e32 v18, v22, v18
	v_cvt_i32_f32_e32 v15, v15
	v_cvt_i32_f32_e32 v14, v14
	s_delay_alu instid0(VALU_DEP_4) | instskip(NEXT) | instid1(VALU_DEP_4)
	v_dual_add_f32 v9, v9, v19 :: v_dual_add_f32 v10, v10, v16
	v_dual_add_f32 v11, v11, v18 :: v_dual_add_f32 v8, v8, v17
	s_delay_alu instid0(VALU_DEP_2) | instskip(NEXT) | instid1(VALU_DEP_2)
	v_add_f32_e32 v17, v27, v9
	v_dual_add_f32 v19, v31, v11 :: v_dual_add_f32 v16, v25, v8
	s_delay_alu instid0(VALU_DEP_2) | instskip(SKIP_1) | instid1(VALU_DEP_3)
	v_dual_add_f32 v18, v29, v10 :: v_dual_fmaak_f32 v23, s5, v17, 0x3c091de6
	v_sub_f32_e32 v24, v27, v17
	v_dual_sub_f32 v30, v31, v19 :: v_dual_sub_f32 v21, v25, v16
	v_dual_fmaak_f32 v20, s5, v16, 0x3c091de6 :: v_dual_mul_f32 v25, v17, v17
	s_delay_alu instid0(VALU_DEP_4)
	v_dual_mul_f32 v22, v16, v16 :: v_dual_sub_f32 v27, v29, v18
	v_dual_fmaak_f32 v29, s5, v19, 0x3c091de6 :: v_dual_fmaak_f32 v26, s5, v18, 0x3c091de6
	v_mul_f32_e32 v31, v19, v19
	v_dual_add_f32 v9, v9, v24 :: v_dual_add_f32 v8, v8, v21
	v_add_f32_e32 v11, v11, v30
	v_dual_mul_f32 v28, v18, v18 :: v_dual_fmaak_f32 v23, v17, v23, 0x3d2aadcc
	v_dual_fmaak_f32 v20, v16, v20, 0x3d2aadcc :: v_dual_fmaak_f32 v29, v19, v29, 0x3d2aadcc
	v_fma_f32 v21, v16, v16, -v22
	v_dual_fmaak_f32 v26, v18, v26, 0x3d2aadcc :: v_dual_add_f32 v33, v9, v9
	s_delay_alu instid0(VALU_DEP_3)
	v_dual_add_f32 v10, v10, v27 :: v_dual_fmaak_f32 v29, v19, v29, 0x3e2aaa47
	v_fma_f32 v30, v19, v19, -v31
	v_dual_add_f32 v32, v8, v8 :: v_dual_add_f32 v35, v11, v11
	v_fma_f32 v24, v17, v17, -v25
	v_fma_f32 v27, v18, v18, -v28
	v_dual_fmaak_f32 v20, v16, v20, 0x3e2aaa47 :: v_dual_fmaak_f32 v23, v17, v23, 0x3e2aaa47
	s_delay_alu instid0(VALU_DEP_4) | instskip(SKIP_2) | instid1(VALU_DEP_4)
	v_dual_fmaak_f32 v26, v18, v26, 0x3e2aaa47 :: v_dual_fmac_f32 v21, v16, v32
	v_add_f32_e32 v34, v10, v10
	v_fmac_f32_e32 v30, v19, v35
	v_dual_fmaak_f32 v23, v17, v23, 0x3efffffc :: v_dual_fmaak_f32 v20, v16, v20, 0x3efffffc
	s_delay_alu instid0(VALU_DEP_3) | instskip(NEXT) | instid1(VALU_DEP_3)
	v_dual_fmac_f32 v24, v17, v33 :: v_dual_fmac_f32 v27, v18, v34
	v_dual_add_f32 v35, v31, v30 :: v_dual_add_f32 v32, v22, v21
	v_dual_fmaak_f32 v26, v18, v26, 0x3efffffc :: v_dual_fmaak_f32 v29, v19, v29, 0x3efffffc
	s_delay_alu instid0(VALU_DEP_3) | instskip(NEXT) | instid1(VALU_DEP_3)
	v_dual_add_f32 v33, v25, v24 :: v_dual_add_f32 v34, v28, v27
	v_dual_sub_f32 v31, v35, v31 :: v_dual_sub_f32 v22, v32, v22
	s_delay_alu instid0(VALU_DEP_3) | instskip(NEXT) | instid1(VALU_DEP_3)
	v_dual_mul_f32 v36, v20, v32 :: v_dual_mul_f32 v39, v29, v35
	v_sub_f32_e32 v25, v33, v25
	s_delay_alu instid0(VALU_DEP_4) | instskip(NEXT) | instid1(VALU_DEP_4)
	v_dual_mul_f32 v37, v23, v33 :: v_dual_sub_f32 v28, v34, v28
	v_sub_f32_e32 v21, v21, v22
	v_mul_f32_e32 v38, v26, v34
	v_fma_f32 v22, v32, v20, -v36
	s_delay_alu instid0(VALU_DEP_4) | instskip(NEXT) | instid1(VALU_DEP_3)
	v_sub_f32_e32 v27, v27, v28
	v_fma_f32 v28, v34, v26, -v38
	s_delay_alu instid0(VALU_DEP_1) | instskip(SKIP_2) | instid1(VALU_DEP_1)
	v_fmac_f32_e32 v28, v27, v26
	v_sub_f32_e32 v24, v24, v25
	v_fma_f32 v25, v33, v23, -v37
	v_dual_fmac_f32 v22, v21, v20 :: v_dual_fmac_f32 v25, v24, v23
	v_sub_f32_e32 v30, v30, v31
	v_fma_f32 v31, v35, v29, -v39
	s_delay_alu instid0(VALU_DEP_3) | instskip(NEXT) | instid1(VALU_DEP_2)
	v_dual_add_f32 v21, v37, v25 :: v_dual_add_f32 v20, v36, v22
	v_fmac_f32_e32 v31, v30, v29
	v_add_f32_e32 v23, v38, v28
	s_delay_alu instid0(VALU_DEP_3) | instskip(NEXT) | instid1(VALU_DEP_3)
	v_sub_f32_e32 v29, v21, v37
	v_dual_add_f32 v27, v16, v20 :: v_dual_add_f32 v24, v39, v31
	v_add_f32_e32 v30, v17, v21
	s_delay_alu instid0(VALU_DEP_4) | instskip(NEXT) | instid1(VALU_DEP_4)
	v_dual_sub_f32 v26, v20, v36 :: v_dual_add_f32 v33, v18, v23
	v_dual_sub_f32 v32, v23, v38 :: v_dual_sub_f32 v25, v25, v29
	s_delay_alu instid0(VALU_DEP_4) | instskip(NEXT) | instid1(VALU_DEP_4)
	v_dual_add_f32 v35, v19, v24 :: v_dual_sub_f32 v34, v24, v39
	v_sub_f32_e32 v17, v30, v17
	s_delay_alu instid0(VALU_DEP_4) | instskip(SKIP_4) | instid1(VALU_DEP_2)
	v_sub_f32_e32 v22, v22, v26
	v_sub_f32_e32 v16, v27, v16
	v_dual_sub_f32 v26, v28, v32 :: v_dual_add_f32 v9, v9, v25
	v_sub_f32_e32 v19, v35, v19
	v_dual_sub_f32 v17, v21, v17 :: v_dual_sub_f32 v28, v31, v34
	v_dual_sub_f32 v18, v33, v18 :: v_dual_sub_f32 v19, v24, v19
	s_delay_alu instid0(VALU_DEP_2) | instskip(NEXT) | instid1(VALU_DEP_3)
	v_dual_add_f32 v9, v9, v17 :: v_dual_add_f32 v8, v8, v22
	v_add_f32_e32 v11, v11, v28
	v_sub_f32_e32 v16, v20, v16
	s_delay_alu instid0(VALU_DEP_3) | instskip(NEXT) | instid1(VALU_DEP_3)
	v_dual_sub_f32 v18, v23, v18 :: v_dual_add_f32 v17, v30, v9
	v_dual_add_f32 v11, v11, v19 :: v_dual_add_f32 v10, v10, v26
	s_delay_alu instid0(VALU_DEP_2) | instskip(NEXT) | instid1(VALU_DEP_2)
	v_dual_add_f32 v8, v8, v16 :: v_dual_add_f32 v23, 1.0, v17
	v_dual_add_f32 v19, v35, v11 :: v_dual_sub_f32 v22, v17, v30
	s_delay_alu instid0(VALU_DEP_2) | instskip(NEXT) | instid1(VALU_DEP_4)
	v_add_f32_e32 v16, v27, v8
	v_add_f32_e32 v10, v10, v18
	s_delay_alu instid0(VALU_DEP_2) | instskip(NEXT) | instid1(VALU_DEP_2)
	v_dual_sub_f32 v26, v19, v35 :: v_dual_add_f32 v21, 1.0, v16
	v_add_f32_e32 v18, v33, v10
	s_delay_alu instid0(VALU_DEP_1) | instskip(SKIP_1) | instid1(VALU_DEP_1)
	v_dual_add_f32 v25, 1.0, v18 :: v_dual_sub_f32 v20, v16, v27
	v_add_f32_e32 v27, 1.0, v19
	v_add_f32_e32 v28, -1.0, v27
	s_delay_alu instid0(VALU_DEP_1) | instskip(SKIP_1) | instid1(VALU_DEP_1)
	v_sub_f32_e32 v19, v19, v28
	v_dual_sub_f32 v9, v9, v22 :: v_dual_add_f32 v22, -1.0, v23
	v_dual_sub_f32 v17, v17, v22 :: v_dual_sub_f32 v24, v18, v33
	v_dual_sub_f32 v11, v11, v26 :: v_dual_sub_f32 v8, v8, v20
	v_add_f32_e32 v20, -1.0, v21
	s_delay_alu instid0(VALU_DEP_3) | instskip(NEXT) | instid1(VALU_DEP_3)
	v_add_f32_e32 v9, v9, v17
	v_dual_add_f32 v11, v11, v19 :: v_dual_sub_f32 v10, v10, v24
	s_delay_alu instid0(VALU_DEP_2) | instskip(NEXT) | instid1(VALU_DEP_2)
	v_add_f32_e32 v17, v23, v9
	v_dual_add_f32 v24, -1.0, v25 :: v_dual_add_f32 v19, v27, v11
	v_sub_f32_e32 v16, v16, v20
	s_delay_alu instid0(VALU_DEP_1) | instskip(NEXT) | instid1(VALU_DEP_1)
	v_add_f32_e32 v8, v8, v16
	v_add_f32_e32 v16, v21, v8
	s_delay_alu instid0(VALU_DEP_1) | instskip(SKIP_3) | instid1(VALU_DEP_4)
	v_dual_sub_f32 v20, v16, v21 :: v_dual_sub_f32 v21, v17, v23
	v_ldexp_f32 v17, v17, v13
	v_dual_sub_f32 v23, v19, v27 :: v_dual_sub_f32 v18, v18, v24
	v_ldexp_f32 v16, v16, v12
	v_sub_f32_e32 v9, v9, v21
	s_delay_alu instid0(VALU_DEP_4) | instskip(NEXT) | instid1(VALU_DEP_3)
	v_rcp_f32_e32 v21, v17
	v_sub_f32_e32 v11, v11, v23
	v_ldexp_f32 v19, v19, v15
	s_delay_alu instid0(VALU_DEP_3) | instskip(NEXT) | instid1(VALU_DEP_3)
	v_ldexp_f32 v9, v9, v13
	v_ldexp_f32 v11, v11, v15
	s_waitcnt_depctr 0xfff
	v_mul_f32_e32 v13, v17, v21
	s_delay_alu instid0(VALU_DEP_1) | instskip(SKIP_2) | instid1(VALU_DEP_2)
	v_fma_f32 v15, v21, v17, -v13
	v_sub_f32_e32 v8, v8, v20
	v_rcp_f32_e32 v20, v16
	v_fmac_f32_e32 v15, v21, v9
	s_delay_alu instid0(VALU_DEP_2) | instskip(SKIP_2) | instid1(VALU_DEP_1)
	v_ldexp_f32 v8, v8, v12
	s_waitcnt_depctr 0xfff
	v_dual_add_f32 v29, v13, v15 :: v_dual_mul_f32 v12, v16, v20
	v_sub_f32_e32 v33, 1.0, v29
	v_sub_f32_e32 v13, v29, v13
	s_delay_alu instid0(VALU_DEP_3) | instskip(NEXT) | instid1(VALU_DEP_2)
	v_fma_f32 v23, v20, v16, -v12
	v_dual_add_f32 v10, v10, v18 :: v_dual_sub_f32 v13, v13, v15
	s_delay_alu instid0(VALU_DEP_1) | instskip(NEXT) | instid1(VALU_DEP_1)
	v_dual_fmac_f32 v23, v20, v8 :: v_dual_add_f32 v18, v25, v10
	v_add_f32_e32 v28, v12, v23
	s_delay_alu instid0(VALU_DEP_2) | instskip(SKIP_2) | instid1(VALU_DEP_2)
	v_sub_f32_e32 v22, v18, v25
	v_rcp_f32_e32 v25, v19
	v_ldexp_f32 v18, v18, v14
	v_sub_f32_e32 v10, v10, v22
	s_delay_alu instid0(VALU_DEP_2) | instskip(NEXT) | instid1(VALU_DEP_1)
	v_rcp_f32_e32 v24, v18
	v_ldexp_f32 v10, v10, v14
	s_waitcnt_depctr 0xfff
	v_mul_f32_e32 v22, v19, v25
	s_delay_alu instid0(VALU_DEP_1) | instskip(NEXT) | instid1(VALU_DEP_1)
	v_fma_f32 v27, v25, v19, -v22
	v_dual_mul_f32 v14, v18, v24 :: v_dual_fmac_f32 v27, v25, v11
	s_delay_alu instid0(VALU_DEP_1) | instskip(NEXT) | instid1(VALU_DEP_1)
	v_add_f32_e32 v31, v22, v27
	v_dual_sub_f32 v22, v31, v22 :: v_dual_sub_f32 v35, 1.0, v31
	s_delay_alu instid0(VALU_DEP_1) | instskip(SKIP_1) | instid1(VALU_DEP_1)
	v_sub_f32_e32 v22, v22, v27
	v_sub_f32_e32 v12, v28, v12
	v_dual_sub_f32 v12, v12, v23 :: v_dual_sub_f32 v23, 1.0, v33
	v_fma_f32 v26, v24, v18, -v14
	s_delay_alu instid0(VALU_DEP_1) | instskip(NEXT) | instid1(VALU_DEP_1)
	v_dual_sub_f32 v23, v23, v29 :: v_dual_fmac_f32 v26, v24, v10
	v_dual_add_f32 v13, v13, v23 :: v_dual_add_f32 v30, v14, v26
	s_delay_alu instid0(VALU_DEP_1) | instskip(SKIP_1) | instid1(VALU_DEP_2)
	v_dual_add_f32 v23, v33, v13 :: v_dual_sub_f32 v34, 1.0, v30
	v_sub_f32_e32 v14, v30, v14
	v_sub_f32_e32 v15, 1.0, v34
	s_delay_alu instid0(VALU_DEP_2) | instskip(SKIP_1) | instid1(VALU_DEP_3)
	v_sub_f32_e32 v14, v14, v26
	v_sub_f32_e32 v26, 1.0, v35
	v_dual_sub_f32 v32, 1.0, v28 :: v_dual_sub_f32 v15, v15, v30
	v_mul_f32_e32 v30, v21, v23
	s_delay_alu instid0(VALU_DEP_3) | instskip(NEXT) | instid1(VALU_DEP_3)
	v_sub_f32_e32 v26, v26, v31
	v_dual_sub_f32 v31, v33, v23 :: v_dual_sub_f32 v36, 1.0, v32
	s_delay_alu instid0(VALU_DEP_3) | instskip(NEXT) | instid1(VALU_DEP_2)
	v_dual_add_f32 v14, v14, v15 :: v_dual_mul_f32 v37, v17, v30
	v_add_f32_e32 v13, v13, v31
	v_add_f32_e32 v31, v21, v30
	s_delay_alu instid0(VALU_DEP_4) | instskip(NEXT) | instid1(VALU_DEP_2)
	v_dual_add_f32 v15, v22, v26 :: v_dual_sub_f32 v28, v36, v28
	v_dual_add_f32 v26, v34, v14 :: v_dual_sub_f32 v43, v31, v21
	s_delay_alu instid0(VALU_DEP_2) | instskip(NEXT) | instid1(VALU_DEP_1)
	v_add_f32_e32 v27, v35, v15
	v_dual_sub_f32 v33, v34, v26 :: v_dual_mul_f32 v34, v25, v27
	s_delay_alu instid0(VALU_DEP_4) | instskip(NEXT) | instid1(VALU_DEP_1)
	v_dual_add_f32 v12, v12, v28 :: v_dual_sub_f32 v35, v35, v27
	v_dual_mul_f32 v39, v19, v34 :: v_dual_add_f32 v22, v32, v12
	s_delay_alu instid0(VALU_DEP_2) | instskip(SKIP_1) | instid1(VALU_DEP_3)
	v_add_f32_e32 v15, v15, v35
	v_add_f32_e32 v35, v25, v34
	v_mul_f32_e32 v28, v20, v22
	v_sub_f32_e32 v29, v32, v22
	s_delay_alu instid0(VALU_DEP_3) | instskip(SKIP_1) | instid1(VALU_DEP_3)
	v_sub_f32_e32 v47, v35, v25
	v_fma_f32 v42, v30, v17, -v37
	v_add_f32_e32 v12, v12, v29
	s_delay_alu instid0(VALU_DEP_2) | instskip(SKIP_1) | instid1(VALU_DEP_2)
	v_dual_add_f32 v29, v20, v28 :: v_dual_fmac_f32 v42, v30, v9
	v_mul_f32_e32 v36, v16, v28
	v_dual_sub_f32 v41, v29, v20 :: v_dual_mul_f32 v32, v24, v26
	s_delay_alu instid0(VALU_DEP_2) | instskip(NEXT) | instid1(VALU_DEP_1)
	v_fma_f32 v40, v28, v16, -v36
	v_fmac_f32_e32 v40, v28, v8
	s_delay_alu instid0(VALU_DEP_3) | instskip(NEXT) | instid1(VALU_DEP_1)
	v_dual_sub_f32 v28, v28, v41 :: v_dual_add_f32 v41, v37, v42
	v_sub_f32_e32 v52, v23, v41
	v_dual_add_f32 v14, v14, v33 :: v_dual_add_f32 v33, v24, v32
	v_sub_f32_e32 v37, v41, v37
	s_delay_alu instid0(VALU_DEP_3) | instskip(NEXT) | instid1(VALU_DEP_3)
	v_sub_f32_e32 v23, v23, v52
	v_sub_f32_e32 v45, v33, v24
	s_delay_alu instid0(VALU_DEP_2) | instskip(NEXT) | instid1(VALU_DEP_1)
	v_dual_mul_f32 v38, v18, v32 :: v_dual_sub_f32 v23, v23, v41
	v_fma_f32 v44, v32, v18, -v38
	s_delay_alu instid0(VALU_DEP_2) | instskip(NEXT) | instid1(VALU_DEP_2)
	v_add_f32_e32 v13, v13, v23
	v_dual_sub_f32 v23, v30, v43 :: v_dual_fmac_f32 v44, v32, v10
	s_delay_alu instid0(VALU_DEP_1) | instskip(SKIP_1) | instid1(VALU_DEP_2)
	v_add_f32_e32 v49, v38, v44
	v_fma_f32 v46, v34, v19, -v39
	v_sub_f32_e32 v53, v26, v49
	s_delay_alu instid0(VALU_DEP_2) | instskip(SKIP_1) | instid1(VALU_DEP_2)
	v_fmac_f32_e32 v46, v34, v11
	v_sub_f32_e32 v38, v49, v38
	v_add_f32_e32 v50, v39, v46
	s_delay_alu instid0(VALU_DEP_1) | instskip(NEXT) | instid1(VALU_DEP_1)
	v_dual_add_f32 v48, v36, v40 :: v_dual_sub_f32 v39, v50, v39
	v_dual_sub_f32 v54, v27, v50 :: v_dual_sub_f32 v51, v22, v48
	s_delay_alu instid0(VALU_DEP_1) | instskip(SKIP_1) | instid1(VALU_DEP_2)
	v_sub_f32_e32 v27, v27, v54
	v_sub_f32_e32 v37, v37, v42
	v_sub_f32_e32 v27, v27, v50
	s_delay_alu instid0(VALU_DEP_2) | instskip(NEXT) | instid1(VALU_DEP_2)
	v_dual_add_f32 v13, v37, v13 :: v_dual_sub_f32 v22, v22, v51
	v_dual_sub_f32 v36, v48, v36 :: v_dual_add_f32 v15, v15, v27
	s_delay_alu instid0(VALU_DEP_2) | instskip(NEXT) | instid1(VALU_DEP_1)
	v_dual_add_f32 v13, v52, v13 :: v_dual_sub_f32 v22, v22, v48
	v_dual_mul_f32 v13, v21, v13 :: v_dual_sub_f32 v38, v38, v44
	s_delay_alu instid0(VALU_DEP_1) | instskip(NEXT) | instid1(VALU_DEP_1)
	v_dual_add_f32 v12, v12, v22 :: v_dual_add_f32 v13, v23, v13
	v_add_f32_e32 v21, v31, v13
	v_sub_f32_e32 v22, v39, v46
	s_delay_alu instid0(VALU_DEP_1) | instskip(NEXT) | instid1(VALU_DEP_1)
	v_dual_sub_f32 v36, v36, v40 :: v_dual_add_f32 v15, v22, v15
	v_dual_add_f32 v15, v54, v15 :: v_dual_add_f32 v12, v36, v12
	s_delay_alu instid0(VALU_DEP_1) | instskip(SKIP_2) | instid1(VALU_DEP_2)
	v_dual_sub_f32 v26, v26, v53 :: v_dual_mul_f32 v15, v25, v15
	v_sub_f32_e32 v25, v21, v31
	v_ldexp_f32 v21, v21, -2
	v_dual_add_f32 v12, v51, v12 :: v_dual_sub_f32 v13, v13, v25
	s_delay_alu instid0(VALU_DEP_1) | instskip(SKIP_2) | instid1(VALU_DEP_4)
	v_dual_add_f32 v25, v17, v21 :: v_dual_mul_f32 v12, v20, v12
	v_sub_f32_e32 v20, v34, v47
	v_sub_f32_e32 v26, v26, v49
	v_ldexp_f32 v13, v13, -2
	s_delay_alu instid0(VALU_DEP_4) | instskip(NEXT) | instid1(VALU_DEP_3)
	v_sub_f32_e32 v17, v25, v17
	v_dual_add_f32 v15, v20, v15 :: v_dual_add_f32 v14, v14, v26
	s_delay_alu instid0(VALU_DEP_3) | instskip(NEXT) | instid1(VALU_DEP_2)
	v_add_f32_e32 v9, v9, v13
	v_dual_add_f32 v23, v35, v15 :: v_dual_add_f32 v14, v38, v14
	s_delay_alu instid0(VALU_DEP_1) | instskip(SKIP_1) | instid1(VALU_DEP_3)
	v_sub_f32_e32 v27, v23, v35
	v_ldexp_f32 v23, v23, -2
	v_add_f32_e32 v14, v53, v14
	s_delay_alu instid0(VALU_DEP_3) | instskip(NEXT) | instid1(VALU_DEP_2)
	v_dual_sub_f32 v22, v32, v45 :: v_dual_sub_f32 v15, v15, v27
	v_dual_add_f32 v27, v19, v23 :: v_dual_mul_f32 v14, v24, v14
	s_delay_alu instid0(VALU_DEP_2) | instskip(NEXT) | instid1(VALU_DEP_2)
	v_ldexp_f32 v15, v15, -2
	v_dual_sub_f32 v19, v27, v19 :: v_dual_add_f32 v14, v22, v14
	s_delay_alu instid0(VALU_DEP_1) | instskip(NEXT) | instid1(VALU_DEP_1)
	v_dual_add_f32 v11, v11, v15 :: v_dual_add_f32 v22, v33, v14
	v_sub_f32_e32 v26, v22, v33
	v_ldexp_f32 v22, v22, -2
	s_delay_alu instid0(VALU_DEP_2) | instskip(NEXT) | instid1(VALU_DEP_2)
	v_sub_f32_e32 v14, v14, v26
	v_add_f32_e32 v26, v18, v22
	s_delay_alu instid0(VALU_DEP_2) | instskip(NEXT) | instid1(VALU_DEP_2)
	v_ldexp_f32 v14, v14, -2
	v_sub_f32_e32 v18, v26, v18
	v_add_f32_e32 v12, v28, v12
	s_delay_alu instid0(VALU_DEP_3) | instskip(NEXT) | instid1(VALU_DEP_3)
	v_add_f32_e32 v10, v10, v14
	v_dual_sub_f32 v13, v22, v18 :: v_dual_sub_f32 v14, v23, v19
	s_delay_alu instid0(VALU_DEP_3) | instskip(NEXT) | instid1(VALU_DEP_2)
	v_add_f32_e32 v20, v29, v12
	v_dual_add_f32 v10, v10, v13 :: v_dual_add_f32 v11, v11, v14
	s_delay_alu instid0(VALU_DEP_2) | instskip(SKIP_1) | instid1(VALU_DEP_3)
	v_sub_f32_e32 v24, v20, v29
	v_ldexp_f32 v20, v20, -2
	v_dual_add_f32 v10, v26, v10 :: v_dual_add_f32 v11, v27, v11
	s_delay_alu instid0(VALU_DEP_3) | instskip(NEXT) | instid1(VALU_DEP_3)
	v_sub_f32_e32 v12, v12, v24
	v_add_f32_e32 v24, v16, v20
	s_delay_alu instid0(VALU_DEP_2) | instskip(NEXT) | instid1(VALU_DEP_2)
	v_ldexp_f32 v12, v12, -2
	v_sub_f32_e32 v16, v24, v16
	s_delay_alu instid0(VALU_DEP_2) | instskip(NEXT) | instid1(VALU_DEP_2)
	v_add_f32_e32 v8, v8, v12
	v_sub_f32_e32 v16, v20, v16
	v_sub_f32_e32 v12, v21, v17
	s_delay_alu instid0(VALU_DEP_2) | instskip(NEXT) | instid1(VALU_DEP_2)
	v_add_f32_e32 v8, v8, v16
	v_add_f32_e32 v9, v9, v12
	s_delay_alu instid0(VALU_DEP_1) | instskip(NEXT) | instid1(VALU_DEP_1)
	v_dual_add_f32 v8, v24, v8 :: v_dual_add_f32 v9, v25, v9
	v_cndmask_b32_e64 v0, 0x7f800000, v8, s1
	v_cmp_nlt_f32_e64 s1, 0x42b2d4fc, |v1|
	s_delay_alu instid0(VALU_DEP_1) | instskip(SKIP_1) | instid1(VALU_DEP_1)
	v_cndmask_b32_e64 v1, 0x7f800000, v9, s1
	v_cmp_nlt_f32_e64 s1, 0x42b2d4fc, |v2|
	v_cndmask_b32_e64 v2, 0x7f800000, v10, s1
	v_cmp_nlt_f32_e64 s1, 0x42b2d4fc, |v3|
	s_delay_alu instid0(VALU_DEP_1) | instskip(SKIP_1) | instid1(VALU_DEP_1)
	v_cndmask_b32_e64 v3, 0x7f800000, v11, s1
	v_add_co_u32 v4, s1, v4, s3
	v_add_co_ci_u32_e64 v5, s1, 0, v5, s1
	global_store_b128 v[6:7], v[0:3], off offset:-8
	v_add_co_u32 v6, vcc_lo, v6, s4
	v_add_co_ci_u32_e32 v7, vcc_lo, 0, v7, vcc_lo
	s_and_not1_b32 exec_lo, exec_lo, s2
	s_cbranch_execnz .LBB87_24
.LBB87_25:
	s_nop 0
	s_sendmsg sendmsg(MSG_DEALLOC_VGPRS)
	s_endpgm
	.section	.rodata,"a",@progbits
	.p2align	6, 0x0
	.amdhsa_kernel _ZN2at6native12_GLOBAL__N_125multi_tensor_apply_kernelINS1_18TensorListMetadataILi1EEENS1_14UnaryOpFunctorIfLi1ELi1ELi0EEEJNS0_4CoshIfEEEEEvT_T0_DpT1_
		.amdhsa_group_segment_fixed_size 0
		.amdhsa_private_segment_fixed_size 0
		.amdhsa_kernarg_size 3632
		.amdhsa_user_sgpr_count 15
		.amdhsa_user_sgpr_dispatch_ptr 0
		.amdhsa_user_sgpr_queue_ptr 0
		.amdhsa_user_sgpr_kernarg_segment_ptr 1
		.amdhsa_user_sgpr_dispatch_id 0
		.amdhsa_user_sgpr_private_segment_size 0
		.amdhsa_wavefront_size32 1
		.amdhsa_uses_dynamic_stack 0
		.amdhsa_enable_private_segment 0
		.amdhsa_system_sgpr_workgroup_id_x 1
		.amdhsa_system_sgpr_workgroup_id_y 0
		.amdhsa_system_sgpr_workgroup_id_z 0
		.amdhsa_system_sgpr_workgroup_info 0
		.amdhsa_system_vgpr_workitem_id 0
		.amdhsa_next_free_vgpr 55
		.amdhsa_next_free_sgpr 22
		.amdhsa_reserve_vcc 1
		.amdhsa_float_round_mode_32 0
		.amdhsa_float_round_mode_16_64 0
		.amdhsa_float_denorm_mode_32 3
		.amdhsa_float_denorm_mode_16_64 3
		.amdhsa_dx10_clamp 1
		.amdhsa_ieee_mode 1
		.amdhsa_fp16_overflow 0
		.amdhsa_workgroup_processor_mode 1
		.amdhsa_memory_ordered 1
		.amdhsa_forward_progress 0
		.amdhsa_shared_vgpr_count 0
		.amdhsa_exception_fp_ieee_invalid_op 0
		.amdhsa_exception_fp_denorm_src 0
		.amdhsa_exception_fp_ieee_div_zero 0
		.amdhsa_exception_fp_ieee_overflow 0
		.amdhsa_exception_fp_ieee_underflow 0
		.amdhsa_exception_fp_ieee_inexact 0
		.amdhsa_exception_int_div_zero 0
	.end_amdhsa_kernel
	.section	.text._ZN2at6native12_GLOBAL__N_125multi_tensor_apply_kernelINS1_18TensorListMetadataILi1EEENS1_14UnaryOpFunctorIfLi1ELi1ELi0EEEJNS0_4CoshIfEEEEEvT_T0_DpT1_,"axG",@progbits,_ZN2at6native12_GLOBAL__N_125multi_tensor_apply_kernelINS1_18TensorListMetadataILi1EEENS1_14UnaryOpFunctorIfLi1ELi1ELi0EEEJNS0_4CoshIfEEEEEvT_T0_DpT1_,comdat
.Lfunc_end87:
	.size	_ZN2at6native12_GLOBAL__N_125multi_tensor_apply_kernelINS1_18TensorListMetadataILi1EEENS1_14UnaryOpFunctorIfLi1ELi1ELi0EEEJNS0_4CoshIfEEEEEvT_T0_DpT1_, .Lfunc_end87-_ZN2at6native12_GLOBAL__N_125multi_tensor_apply_kernelINS1_18TensorListMetadataILi1EEENS1_14UnaryOpFunctorIfLi1ELi1ELi0EEEJNS0_4CoshIfEEEEEvT_T0_DpT1_
                                        ; -- End function
	.section	.AMDGPU.csdata,"",@progbits
; Kernel info:
; codeLenInByte = 6572
; NumSgprs: 24
; NumVgprs: 55
; ScratchSize: 0
; MemoryBound: 0
; FloatMode: 240
; IeeeMode: 1
; LDSByteSize: 0 bytes/workgroup (compile time only)
; SGPRBlocks: 2
; VGPRBlocks: 6
; NumSGPRsForWavesPerEU: 24
; NumVGPRsForWavesPerEU: 55
; Occupancy: 16
; WaveLimiterHint : 0
; COMPUTE_PGM_RSRC2:SCRATCH_EN: 0
; COMPUTE_PGM_RSRC2:USER_SGPR: 15
; COMPUTE_PGM_RSRC2:TRAP_HANDLER: 0
; COMPUTE_PGM_RSRC2:TGID_X_EN: 1
; COMPUTE_PGM_RSRC2:TGID_Y_EN: 0
; COMPUTE_PGM_RSRC2:TGID_Z_EN: 0
; COMPUTE_PGM_RSRC2:TIDIG_COMP_CNT: 0
	.section	.text._ZN2at6native12_GLOBAL__N_125multi_tensor_apply_kernelINS1_18TensorListMetadataILi1EEENS1_14UnaryOpFunctorIN3c107complexIdEELi1ELi1ELi0EEEJNS0_4CoshIS8_EEEEEvT_T0_DpT1_,"axG",@progbits,_ZN2at6native12_GLOBAL__N_125multi_tensor_apply_kernelINS1_18TensorListMetadataILi1EEENS1_14UnaryOpFunctorIN3c107complexIdEELi1ELi1ELi0EEEJNS0_4CoshIS8_EEEEEvT_T0_DpT1_,comdat
	.globl	_ZN2at6native12_GLOBAL__N_125multi_tensor_apply_kernelINS1_18TensorListMetadataILi1EEENS1_14UnaryOpFunctorIN3c107complexIdEELi1ELi1ELi0EEEJNS0_4CoshIS8_EEEEEvT_T0_DpT1_ ; -- Begin function _ZN2at6native12_GLOBAL__N_125multi_tensor_apply_kernelINS1_18TensorListMetadataILi1EEENS1_14UnaryOpFunctorIN3c107complexIdEELi1ELi1ELi0EEEJNS0_4CoshIS8_EEEEEvT_T0_DpT1_
	.p2align	8
	.type	_ZN2at6native12_GLOBAL__N_125multi_tensor_apply_kernelINS1_18TensorListMetadataILi1EEENS1_14UnaryOpFunctorIN3c107complexIdEELi1ELi1ELi0EEEJNS0_4CoshIS8_EEEEEvT_T0_DpT1_,@function
_ZN2at6native12_GLOBAL__N_125multi_tensor_apply_kernelINS1_18TensorListMetadataILi1EEENS1_14UnaryOpFunctorIN3c107complexIdEELi1ELi1ELi0EEEJNS0_4CoshIS8_EEEEEvT_T0_DpT1_: ; @_ZN2at6native12_GLOBAL__N_125multi_tensor_apply_kernelINS1_18TensorListMetadataILi1EEENS1_14UnaryOpFunctorIN3c107complexIdEELi1ELi1ELi0EEEJNS0_4CoshIS8_EEEEEvT_T0_DpT1_
; %bb.0:
	v_mov_b32_e32 v60, v0
	v_mov_b32_e32 v0, s15
	s_mov_b64 s[18:19], s[0:1]
	s_mov_b32 s5, 0
	s_mov_b32 s32, 0
	global_load_u8 v0, v0, s[0:1] offset:1760
	s_add_u32 s0, s18, s15
	s_mul_hi_u32 s1, s15, 3
	s_mul_i32 s15, s15, 3
	s_addc_u32 s2, s19, 0
	s_add_u32 s0, s0, s15
	s_addc_u32 s1, s2, s1
	s_load_b32 s0, s[0:1], 0x820
	s_waitcnt vmcnt(0)
	v_readfirstlane_b32 s3, v0
	s_delay_alu instid0(VALU_DEP_1)
	s_lshl_b32 s1, s3, 3
	s_clause 0x1
	s_load_b64 s[26:27], s[18:19], s1 offset:0x0
	s_load_b64 s[2:3], s[18:19], s1 offset:0x370
	s_waitcnt lgkmcnt(0)
	s_ashr_i32 s1, s0, 31
	s_delay_alu instid0(SALU_CYCLE_1) | instskip(NEXT) | instid1(SALU_CYCLE_1)
	s_lshl_b64 s[28:29], s[0:1], 20
	s_add_u32 s23, s26, s28
	s_addc_u32 s33, s27, s29
	s_lshl_b64 s[0:1], s[0:1], 16
	s_and_b32 s4, s23, 63
	s_sub_u32 s24, s2, s0
	s_subb_u32 s25, s3, s1
	s_and_b32 s0, s2, 3
	s_mov_b32 s1, s5
	s_delay_alu instid0(SALU_CYCLE_1) | instskip(NEXT) | instid1(SALU_CYCLE_1)
	s_or_b64 s[0:1], s[4:5], s[0:1]
	s_cmp_eq_u64 s[0:1], 0
	s_cbranch_scc1 .LBB88_21
; %bb.1:
	v_cmp_lt_i64_e64 s0, s[24:25], 1
	s_delay_alu instid0(VALU_DEP_1)
	s_and_b32 vcc_lo, exec_lo, s0
	s_cbranch_vccnz .LBB88_20
; %bb.2:
	s_load_b32 s0, s[18:19], 0xd3c
	v_cmp_gt_u64_e64 s1, 0x10000, s[24:25]
	v_dual_mov_b32 v62, 0 :: v_dual_lshlrev_b32 v61, 4, v60
	s_mov_b64 s[36:37], 0
	s_waitcnt lgkmcnt(0)
	s_and_b32 s0, s0, 0xffff
	s_delay_alu instid0(VALU_DEP_2)
	s_and_b32 s1, s1, exec_lo
	v_add_co_u32 v63, s3, v60, s0
	v_mad_u64_u32 v[72:73], null, s0, 48, v[61:62]
	s_cselect_b32 s35, s25, 0
	s_cselect_b32 s34, s24, 0x10000
	v_add_co_ci_u32_e64 v74, null, 0, 0, s3
	s_lshl_b32 s3, s0, 5
	s_lshl_b32 s1, s0, 1
	v_add_co_u32 v0, s3, s3, v61
	s_mul_i32 s2, s0, 3
	v_add_co_u32 v79, s1, s1, v60
	v_add_co_u32 v62, s2, s2, v60
	s_delay_alu instid0(VALU_DEP_1)
	v_add_co_ci_u32_e64 v75, null, 0, 0, s2
	v_add_co_ci_u32_e64 v76, null, 0, 0, s3
	v_lshlrev_b32_e32 v77, 4, v63
	v_or_b32_e32 v78, 8, v0
	v_or_b32_e32 v72, 8, v72
	v_add_co_ci_u32_e64 v84, null, 0, 0, s1
	s_lshl_b32 s38, s0, 2
	s_lshl_b32 s39, s0, 6
	s_branch .LBB88_4
.LBB88_3:                               ;   in Loop: Header=BB88_4 Depth=1
	s_or_b32 exec_lo, exec_lo, s21
	s_add_u32 s36, s36, s38
	s_addc_u32 s37, s37, 0
	s_delay_alu instid0(SALU_CYCLE_1) | instskip(SKIP_1) | instid1(VALU_DEP_1)
	v_cmp_lt_i64_e64 s0, s[36:37], s[24:25]
	v_cmp_gt_u64_e64 s1, 0x10000, s[36:37]
	s_and_b32 s0, s0, s1
	s_add_u32 s23, s23, s39
	s_addc_u32 s33, s33, 0
	s_and_b32 vcc_lo, exec_lo, s0
	s_cbranch_vccz .LBB88_20
.LBB88_4:                               ; =>This Inner Loop Header: Depth=1
	s_waitcnt vmcnt(0)
	v_add_co_u32 v0, s0, v60, s36
	s_delay_alu instid0(VALU_DEP_1) | instskip(SKIP_2) | instid1(VALU_DEP_2)
	v_add_co_ci_u32_e64 v1, null, 0, s37, s0
	v_mov_b32_e32 v46, 0
	v_mov_b32_e32 v47, 0
	;; [unrolled: 1-line block ×3, first 2 shown]
	s_delay_alu instid0(VALU_DEP_4) | instskip(NEXT) | instid1(VALU_DEP_3)
	v_cmp_gt_u64_e32 vcc_lo, s[34:35], v[0:1]
	v_dual_mov_b32 v0, v46 :: v_dual_mov_b32 v1, v47
	v_mov_b32_e32 v3, v47
	s_and_saveexec_b32 s0, vcc_lo
	s_cbranch_execz .LBB88_6
; %bb.5:                                ;   in Loop: Header=BB88_4 Depth=1
	v_add_co_u32 v0, s1, s23, v61
	s_delay_alu instid0(VALU_DEP_1)
	v_add_co_ci_u32_e64 v1, null, s33, 0, s1
	global_load_b128 v[0:3], v[0:1], off
.LBB88_6:                               ;   in Loop: Header=BB88_4 Depth=1
	s_or_b32 exec_lo, exec_lo, s0
	v_add_co_u32 v4, s0, v63, s36
	s_delay_alu instid0(VALU_DEP_1) | instskip(SKIP_1) | instid1(VALU_DEP_2)
	v_add_co_ci_u32_e64 v5, s0, s37, v74, s0
	v_dual_mov_b32 v44, v46 :: v_dual_mov_b32 v45, v47
	v_cmp_gt_u64_e64 s22, s[34:35], v[4:5]
	s_delay_alu instid0(VALU_DEP_1)
	s_and_saveexec_b32 s0, s22
	s_cbranch_execz .LBB88_8
; %bb.7:                                ;   in Loop: Header=BB88_4 Depth=1
	v_add_co_u32 v4, s1, s23, v77
	s_delay_alu instid0(VALU_DEP_1)
	v_add_co_ci_u32_e64 v5, null, s33, 0, s1
	global_load_b128 v[44:47], v[4:5], off
.LBB88_8:                               ;   in Loop: Header=BB88_4 Depth=1
	s_or_b32 exec_lo, exec_lo, s0
	v_add_co_u32 v4, s0, v79, s36
	s_delay_alu instid0(VALU_DEP_1) | instskip(SKIP_2) | instid1(VALU_DEP_3)
	v_add_co_ci_u32_e64 v5, s0, s37, v84, s0
	v_mov_b32_e32 v42, 0
	v_mov_b32_e32 v43, 0
	v_cmp_gt_u64_e64 s21, s[34:35], v[4:5]
	s_delay_alu instid0(VALU_DEP_2) | instskip(SKIP_1) | instid1(VALU_DEP_3)
	v_dual_mov_b32 v59, v43 :: v_dual_mov_b32 v58, v42
	v_dual_mov_b32 v57, v43 :: v_dual_mov_b32 v56, v42
	s_and_saveexec_b32 s1, s21
	s_cbranch_execz .LBB88_10
; %bb.9:                                ;   in Loop: Header=BB88_4 Depth=1
	v_add_co_u32 v4, s0, s23, v78
	s_delay_alu instid0(VALU_DEP_1)
	v_add_co_ci_u32_e64 v5, s0, s33, v76, s0
	global_load_b128 v[56:59], v[4:5], off offset:-8
.LBB88_10:                              ;   in Loop: Header=BB88_4 Depth=1
	s_or_b32 exec_lo, exec_lo, s1
	v_add_co_u32 v4, s0, v62, s36
	s_delay_alu instid0(VALU_DEP_1) | instskip(SKIP_1) | instid1(VALU_DEP_2)
	v_add_co_ci_u32_e64 v5, s0, s37, v75, s0
	v_dual_mov_b32 v40, v42 :: v_dual_mov_b32 v41, v43
	v_cmp_gt_u64_e64 s20, s[34:35], v[4:5]
	s_delay_alu instid0(VALU_DEP_1)
	s_and_saveexec_b32 s1, s20
	s_cbranch_execnz .LBB88_15
; %bb.11:                               ;   in Loop: Header=BB88_4 Depth=1
	s_or_b32 exec_lo, exec_lo, s1
	s_and_saveexec_b32 s40, vcc_lo
	s_cbranch_execnz .LBB88_16
.LBB88_12:                              ;   in Loop: Header=BB88_4 Depth=1
	s_or_b32 exec_lo, exec_lo, s40
	s_and_saveexec_b32 s40, s22
	s_cbranch_execnz .LBB88_17
.LBB88_13:                              ;   in Loop: Header=BB88_4 Depth=1
	s_or_b32 exec_lo, exec_lo, s40
	s_and_saveexec_b32 s22, s21
	s_cbranch_execnz .LBB88_18
.LBB88_14:                              ;   in Loop: Header=BB88_4 Depth=1
	s_or_b32 exec_lo, exec_lo, s22
	s_and_saveexec_b32 s21, s20
	s_cbranch_execz .LBB88_3
	s_branch .LBB88_19
.LBB88_15:                              ;   in Loop: Header=BB88_4 Depth=1
	v_add_co_u32 v4, s0, s23, v72
	s_delay_alu instid0(VALU_DEP_1)
	v_add_co_ci_u32_e64 v5, s0, s33, v73, s0
	global_load_b128 v[40:43], v[4:5], off offset:-8
	s_or_b32 exec_lo, exec_lo, s1
	s_and_saveexec_b32 s40, vcc_lo
	s_cbranch_execz .LBB88_12
.LBB88_16:                              ;   in Loop: Header=BB88_4 Depth=1
	s_getpc_b64 s[0:1]
	s_add_u32 s0, s0, _ZN6thrust23THRUST_200600_302600_NS6detail7complex5ccoshERKNS0_7complexIdEE@rel32@lo+4
	s_addc_u32 s1, s1, _ZN6thrust23THRUST_200600_302600_NS6detail7complex5ccoshERKNS0_7complexIdEE@rel32@hi+12
	s_delay_alu instid0(SALU_CYCLE_1) | instskip(SKIP_1) | instid1(VALU_DEP_1)
	s_swappc_b64 s[30:31], s[0:1]
	v_add_co_u32 v4, s0, s23, v61
	v_add_co_ci_u32_e64 v5, null, s33, 0, s0
	global_store_b128 v[4:5], v[0:3], off
	s_or_b32 exec_lo, exec_lo, s40
	s_and_saveexec_b32 s40, s22
	s_cbranch_execz .LBB88_13
.LBB88_17:                              ;   in Loop: Header=BB88_4 Depth=1
	s_waitcnt vmcnt(0)
	v_dual_mov_b32 v0, v44 :: v_dual_mov_b32 v1, v45
	v_dual_mov_b32 v2, v46 :: v_dual_mov_b32 v3, v47
	s_getpc_b64 s[0:1]
	s_add_u32 s0, s0, _ZN6thrust23THRUST_200600_302600_NS6detail7complex5ccoshERKNS0_7complexIdEE@rel32@lo+4
	s_addc_u32 s1, s1, _ZN6thrust23THRUST_200600_302600_NS6detail7complex5ccoshERKNS0_7complexIdEE@rel32@hi+12
	s_delay_alu instid0(SALU_CYCLE_1) | instskip(SKIP_1) | instid1(VALU_DEP_1)
	s_swappc_b64 s[30:31], s[0:1]
	v_add_co_u32 v4, s0, s23, v77
	v_add_co_ci_u32_e64 v5, null, s33, 0, s0
	global_store_b128 v[4:5], v[0:3], off
	s_or_b32 exec_lo, exec_lo, s40
	s_and_saveexec_b32 s22, s21
	s_cbranch_execz .LBB88_14
.LBB88_18:                              ;   in Loop: Header=BB88_4 Depth=1
	s_waitcnt vmcnt(0)
	v_dual_mov_b32 v0, v56 :: v_dual_mov_b32 v1, v57
	v_dual_mov_b32 v2, v58 :: v_dual_mov_b32 v3, v59
	s_getpc_b64 s[0:1]
	s_add_u32 s0, s0, _ZN6thrust23THRUST_200600_302600_NS6detail7complex5ccoshERKNS0_7complexIdEE@rel32@lo+4
	s_addc_u32 s1, s1, _ZN6thrust23THRUST_200600_302600_NS6detail7complex5ccoshERKNS0_7complexIdEE@rel32@hi+12
	s_delay_alu instid0(SALU_CYCLE_1)
	s_swappc_b64 s[30:31], s[0:1]
	v_add_co_u32 v4, vcc_lo, s23, v78
	v_add_co_ci_u32_e32 v5, vcc_lo, s33, v76, vcc_lo
	global_store_b128 v[4:5], v[0:3], off offset:-8
	s_or_b32 exec_lo, exec_lo, s22
	s_and_saveexec_b32 s21, s20
	s_cbranch_execz .LBB88_3
.LBB88_19:                              ;   in Loop: Header=BB88_4 Depth=1
	s_waitcnt vmcnt(0)
	v_dual_mov_b32 v0, v40 :: v_dual_mov_b32 v1, v41
	v_dual_mov_b32 v2, v42 :: v_dual_mov_b32 v3, v43
	s_getpc_b64 s[0:1]
	s_add_u32 s0, s0, _ZN6thrust23THRUST_200600_302600_NS6detail7complex5ccoshERKNS0_7complexIdEE@rel32@lo+4
	s_addc_u32 s1, s1, _ZN6thrust23THRUST_200600_302600_NS6detail7complex5ccoshERKNS0_7complexIdEE@rel32@hi+12
	s_delay_alu instid0(SALU_CYCLE_1)
	s_swappc_b64 s[30:31], s[0:1]
	v_add_co_u32 v4, vcc_lo, s23, v72
	v_add_co_ci_u32_e32 v5, vcc_lo, s33, v73, vcc_lo
	global_store_b128 v[4:5], v[0:3], off offset:-8
	s_branch .LBB88_3
.LBB88_20:
	s_cbranch_execz .LBB88_22
	s_branch .LBB88_25
.LBB88_21:
.LBB88_22:
	v_dual_mov_b32 v73, 0 :: v_dual_lshlrev_b32 v72, 2, v60
	s_mov_b32 s20, 0
	s_mov_b32 s0, exec_lo
	s_delay_alu instid0(VALU_DEP_1)
	v_cmpx_gt_i64_e64 s[24:25], v[72:73]
	s_cbranch_execz .LBB88_25
; %bb.23:
	s_load_b32 s0, s[18:19], 0xd3c
	s_waitcnt vmcnt(0)
	v_lshlrev_b32_e32 v0, 6, v60
	s_waitcnt lgkmcnt(0)
	s_and_b32 s0, s0, 0xffff
	s_delay_alu instid0(SALU_CYCLE_1)
	s_lshl_b32 s18, s0, 2
	s_add_u32 s1, s26, s28
	s_addc_u32 s2, s27, s29
	v_add_co_u32 v74, s1, s1, v0
	v_add_lshl_u32 v72, v60, s0, 2
	v_add_co_ci_u32_e64 v75, null, s2, 0, s1
	s_lshl_b32 s19, s0, 6
.LBB88_24:                              ; =>This Inner Loop Header: Depth=1
	s_clause 0x3
	global_load_b128 v[0:3], v[74:75], off
	global_load_b128 v[40:43], v[74:75], off offset:16
	global_load_b128 v[44:47], v[74:75], off offset:48
	;; [unrolled: 1-line block ×3, first 2 shown]
	s_getpc_b64 s[22:23]
	s_add_u32 s22, s22, _ZN6thrust23THRUST_200600_302600_NS6detail7complex5ccoshERKNS0_7complexIdEE@rel32@lo+4
	s_addc_u32 s23, s23, _ZN6thrust23THRUST_200600_302600_NS6detail7complex5ccoshERKNS0_7complexIdEE@rel32@hi+12
	s_delay_alu instid0(SALU_CYCLE_1)
	s_swappc_b64 s[30:31], s[22:23]
	v_dual_mov_b32 v60, v0 :: v_dual_mov_b32 v61, v1
	v_dual_mov_b32 v62, v2 :: v_dual_mov_b32 v63, v3
	;; [unrolled: 1-line block ×4, first 2 shown]
	s_swappc_b64 s[30:31], s[22:23]
	s_delay_alu instid0(VALU_DEP_2) | instskip(NEXT) | instid1(VALU_DEP_2)
	v_dual_mov_b32 v40, v0 :: v_dual_mov_b32 v41, v1
	v_dual_mov_b32 v42, v2 :: v_dual_mov_b32 v43, v3
	;; [unrolled: 1-line block ×4, first 2 shown]
	s_swappc_b64 s[30:31], s[22:23]
	s_delay_alu instid0(VALU_DEP_2) | instskip(NEXT) | instid1(VALU_DEP_2)
	v_dual_mov_b32 v56, v0 :: v_dual_mov_b32 v57, v1
	v_dual_mov_b32 v58, v2 :: v_dual_mov_b32 v59, v3
	;; [unrolled: 1-line block ×4, first 2 shown]
	s_swappc_b64 s[30:31], s[22:23]
	v_cmp_le_i64_e32 vcc_lo, s[24:25], v[72:73]
	v_cmp_lt_u64_e64 s0, 0xffff, v[72:73]
	v_add_co_u32 v72, s1, v72, s18
	s_delay_alu instid0(VALU_DEP_1)
	v_add_co_ci_u32_e64 v73, s1, 0, v73, s1
	s_clause 0x3
	global_store_b128 v[74:75], v[60:63], off
	global_store_b128 v[74:75], v[40:43], off offset:16
	global_store_b128 v[74:75], v[56:59], off offset:32
	;; [unrolled: 1-line block ×3, first 2 shown]
	v_add_co_u32 v74, s1, v74, s19
	s_or_b32 s0, vcc_lo, s0
	v_add_co_ci_u32_e64 v75, vcc_lo, 0, v75, s1
	s_and_b32 s0, exec_lo, s0
	s_delay_alu instid0(SALU_CYCLE_1) | instskip(NEXT) | instid1(SALU_CYCLE_1)
	s_or_b32 s20, s0, s20
	s_and_not1_b32 exec_lo, exec_lo, s20
	s_cbranch_execnz .LBB88_24
.LBB88_25:
	s_endpgm
	.section	.rodata,"a",@progbits
	.p2align	6, 0x0
	.amdhsa_kernel _ZN2at6native12_GLOBAL__N_125multi_tensor_apply_kernelINS1_18TensorListMetadataILi1EEENS1_14UnaryOpFunctorIN3c107complexIdEELi1ELi1ELi0EEEJNS0_4CoshIS8_EEEEEvT_T0_DpT1_
		.amdhsa_group_segment_fixed_size 0
		.amdhsa_private_segment_fixed_size 0
		.amdhsa_kernarg_size 3632
		.amdhsa_user_sgpr_count 15
		.amdhsa_user_sgpr_dispatch_ptr 0
		.amdhsa_user_sgpr_queue_ptr 0
		.amdhsa_user_sgpr_kernarg_segment_ptr 1
		.amdhsa_user_sgpr_dispatch_id 0
		.amdhsa_user_sgpr_private_segment_size 0
		.amdhsa_wavefront_size32 1
		.amdhsa_uses_dynamic_stack 0
		.amdhsa_enable_private_segment 0
		.amdhsa_system_sgpr_workgroup_id_x 1
		.amdhsa_system_sgpr_workgroup_id_y 0
		.amdhsa_system_sgpr_workgroup_id_z 0
		.amdhsa_system_sgpr_workgroup_info 0
		.amdhsa_system_vgpr_workitem_id 0
		.amdhsa_next_free_vgpr 85
		.amdhsa_next_free_sgpr 41
		.amdhsa_reserve_vcc 1
		.amdhsa_float_round_mode_32 0
		.amdhsa_float_round_mode_16_64 0
		.amdhsa_float_denorm_mode_32 3
		.amdhsa_float_denorm_mode_16_64 3
		.amdhsa_dx10_clamp 1
		.amdhsa_ieee_mode 1
		.amdhsa_fp16_overflow 0
		.amdhsa_workgroup_processor_mode 1
		.amdhsa_memory_ordered 1
		.amdhsa_forward_progress 0
		.amdhsa_shared_vgpr_count 0
		.amdhsa_exception_fp_ieee_invalid_op 0
		.amdhsa_exception_fp_denorm_src 0
		.amdhsa_exception_fp_ieee_div_zero 0
		.amdhsa_exception_fp_ieee_overflow 0
		.amdhsa_exception_fp_ieee_underflow 0
		.amdhsa_exception_fp_ieee_inexact 0
		.amdhsa_exception_int_div_zero 0
	.end_amdhsa_kernel
	.section	.text._ZN2at6native12_GLOBAL__N_125multi_tensor_apply_kernelINS1_18TensorListMetadataILi1EEENS1_14UnaryOpFunctorIN3c107complexIdEELi1ELi1ELi0EEEJNS0_4CoshIS8_EEEEEvT_T0_DpT1_,"axG",@progbits,_ZN2at6native12_GLOBAL__N_125multi_tensor_apply_kernelINS1_18TensorListMetadataILi1EEENS1_14UnaryOpFunctorIN3c107complexIdEELi1ELi1ELi0EEEJNS0_4CoshIS8_EEEEEvT_T0_DpT1_,comdat
.Lfunc_end88:
	.size	_ZN2at6native12_GLOBAL__N_125multi_tensor_apply_kernelINS1_18TensorListMetadataILi1EEENS1_14UnaryOpFunctorIN3c107complexIdEELi1ELi1ELi0EEEJNS0_4CoshIS8_EEEEEvT_T0_DpT1_, .Lfunc_end88-_ZN2at6native12_GLOBAL__N_125multi_tensor_apply_kernelINS1_18TensorListMetadataILi1EEENS1_14UnaryOpFunctorIN3c107complexIdEELi1ELi1ELi0EEEJNS0_4CoshIS8_EEEEEvT_T0_DpT1_
                                        ; -- End function
	.section	.AMDGPU.csdata,"",@progbits
; Kernel info:
; codeLenInByte = 1532
; NumSgprs: 43
; NumVgprs: 85
; ScratchSize: 0
; MemoryBound: 1
; FloatMode: 240
; IeeeMode: 1
; LDSByteSize: 0 bytes/workgroup (compile time only)
; SGPRBlocks: 5
; VGPRBlocks: 10
; NumSGPRsForWavesPerEU: 43
; NumVGPRsForWavesPerEU: 85
; Occupancy: 16
; WaveLimiterHint : 0
; COMPUTE_PGM_RSRC2:SCRATCH_EN: 0
; COMPUTE_PGM_RSRC2:USER_SGPR: 15
; COMPUTE_PGM_RSRC2:TRAP_HANDLER: 0
; COMPUTE_PGM_RSRC2:TGID_X_EN: 1
; COMPUTE_PGM_RSRC2:TGID_Y_EN: 0
; COMPUTE_PGM_RSRC2:TGID_Z_EN: 0
; COMPUTE_PGM_RSRC2:TIDIG_COMP_CNT: 0
	.section	.text._ZN2at6native12_GLOBAL__N_125multi_tensor_apply_kernelINS1_18TensorListMetadataILi1EEENS1_14UnaryOpFunctorIN3c107complexIfEELi1ELi1ELi0EEEJNS0_4CoshIS8_EEEEEvT_T0_DpT1_,"axG",@progbits,_ZN2at6native12_GLOBAL__N_125multi_tensor_apply_kernelINS1_18TensorListMetadataILi1EEENS1_14UnaryOpFunctorIN3c107complexIfEELi1ELi1ELi0EEEJNS0_4CoshIS8_EEEEEvT_T0_DpT1_,comdat
	.globl	_ZN2at6native12_GLOBAL__N_125multi_tensor_apply_kernelINS1_18TensorListMetadataILi1EEENS1_14UnaryOpFunctorIN3c107complexIfEELi1ELi1ELi0EEEJNS0_4CoshIS8_EEEEEvT_T0_DpT1_ ; -- Begin function _ZN2at6native12_GLOBAL__N_125multi_tensor_apply_kernelINS1_18TensorListMetadataILi1EEENS1_14UnaryOpFunctorIN3c107complexIfEELi1ELi1ELi0EEEJNS0_4CoshIS8_EEEEEvT_T0_DpT1_
	.p2align	8
	.type	_ZN2at6native12_GLOBAL__N_125multi_tensor_apply_kernelINS1_18TensorListMetadataILi1EEENS1_14UnaryOpFunctorIN3c107complexIfEELi1ELi1ELi0EEEJNS0_4CoshIS8_EEEEEvT_T0_DpT1_,@function
_ZN2at6native12_GLOBAL__N_125multi_tensor_apply_kernelINS1_18TensorListMetadataILi1EEENS1_14UnaryOpFunctorIN3c107complexIfEELi1ELi1ELi0EEEJNS0_4CoshIS8_EEEEEvT_T0_DpT1_: ; @_ZN2at6native12_GLOBAL__N_125multi_tensor_apply_kernelINS1_18TensorListMetadataILi1EEENS1_14UnaryOpFunctorIN3c107complexIfEELi1ELi1ELi0EEEJNS0_4CoshIS8_EEEEEvT_T0_DpT1_
; %bb.0:
	v_dual_mov_b32 v27, v0 :: v_dual_mov_b32 v0, s15
	s_mov_b64 s[12:13], s[0:1]
	s_mov_b32 s5, 0
	s_mov_b32 s32, 0
	global_load_u8 v0, v0, s[0:1] offset:1760
	s_add_u32 s0, s12, s15
	s_mul_hi_u32 s1, s15, 3
	s_mul_i32 s15, s15, 3
	s_addc_u32 s2, s13, 0
	s_add_u32 s0, s0, s15
	s_addc_u32 s1, s2, s1
	s_load_b32 s0, s[0:1], 0x820
	s_waitcnt vmcnt(0)
	v_readfirstlane_b32 s3, v0
	s_delay_alu instid0(VALU_DEP_1)
	s_lshl_b32 s1, s3, 3
	s_clause 0x1
	s_load_b64 s[18:19], s[12:13], s1 offset:0x0
	s_load_b64 s[2:3], s[12:13], s1 offset:0x370
	s_waitcnt lgkmcnt(0)
	s_ashr_i32 s1, s0, 31
	s_delay_alu instid0(SALU_CYCLE_1) | instskip(NEXT) | instid1(SALU_CYCLE_1)
	s_lshl_b64 s[20:21], s[0:1], 19
	s_add_u32 s26, s18, s20
	s_addc_u32 s27, s19, s21
	s_lshl_b64 s[0:1], s[0:1], 16
	s_and_b32 s4, s26, 31
	s_sub_u32 s16, s2, s0
	s_subb_u32 s17, s3, s1
	s_and_b32 s0, s2, 3
	s_mov_b32 s1, s5
	s_delay_alu instid0(SALU_CYCLE_1) | instskip(NEXT) | instid1(SALU_CYCLE_1)
	s_or_b64 s[0:1], s[4:5], s[0:1]
	s_cmp_eq_u64 s[0:1], 0
	s_cbranch_scc1 .LBB89_21
; %bb.1:
	v_cmp_lt_i64_e64 s0, s[16:17], 1
	s_delay_alu instid0(VALU_DEP_1)
	s_and_b32 vcc_lo, exec_lo, s0
	s_cbranch_vccnz .LBB89_20
; %bb.2:
	s_load_b32 s0, s[12:13], 0xd3c
	v_cmp_gt_u64_e64 s1, 0x10000, s[16:17]
	v_dual_mov_b32 v29, 0 :: v_dual_lshlrev_b32 v28, 3, v27
	s_mov_b64 s[24:25], 0
	s_waitcnt lgkmcnt(0)
	s_and_b32 s0, s0, 0xffff
	s_delay_alu instid0(VALU_DEP_2)
	s_and_b32 s1, s1, exec_lo
	v_add_co_u32 v32, s3, v27, s0
	v_mad_u64_u32 v[30:31], null, s0, 24, v[28:29]
	s_cselect_b32 s23, s17, 0
	s_cselect_b32 s22, s16, 0x10000
	v_add_co_ci_u32_e64 v33, null, 0, 0, s3
	s_lshl_b32 s3, s0, 4
	s_lshl_b32 s1, s0, 1
	v_add_co_u32 v0, s3, s3, v28
	s_mul_i32 s2, s0, 3
	v_add_co_u32 v38, s1, s1, v27
	v_add_co_u32 v29, s2, s2, v27
	s_delay_alu instid0(VALU_DEP_1)
	v_add_co_ci_u32_e64 v34, null, 0, 0, s2
	v_add_co_ci_u32_e64 v35, null, 0, 0, s3
	v_lshlrev_b32_e32 v36, 3, v32
	v_or_b32_e32 v37, 4, v0
	v_or_b32_e32 v30, 4, v30
	v_add_co_ci_u32_e64 v39, null, 0, 0, s1
	s_lshl_b32 s28, s0, 2
	s_lshl_b32 s29, s0, 5
	s_branch .LBB89_4
.LBB89_3:                               ;   in Loop: Header=BB89_4 Depth=1
	s_or_b32 exec_lo, exec_lo, s11
	s_add_u32 s24, s24, s28
	s_addc_u32 s25, s25, 0
	s_delay_alu instid0(SALU_CYCLE_1) | instskip(SKIP_1) | instid1(VALU_DEP_1)
	v_cmp_lt_i64_e64 s0, s[24:25], s[16:17]
	v_cmp_gt_u64_e64 s1, 0x10000, s[24:25]
	s_and_b32 s0, s0, s1
	s_add_u32 s26, s26, s29
	s_addc_u32 s27, s27, 0
	s_and_b32 vcc_lo, exec_lo, s0
	s_cbranch_vccz .LBB89_20
.LBB89_4:                               ; =>This Inner Loop Header: Depth=1
	s_waitcnt vmcnt(0)
	v_add_co_u32 v0, s0, v27, s24
	s_delay_alu instid0(VALU_DEP_1) | instskip(NEXT) | instid1(VALU_DEP_1)
	v_add_co_ci_u32_e64 v1, null, 0, s25, s0
	v_cmp_gt_u64_e32 vcc_lo, s[22:23], v[0:1]
	v_dual_mov_b32 v1, 0 :: v_dual_mov_b32 v0, 0
	s_and_saveexec_b32 s0, vcc_lo
	s_cbranch_execz .LBB89_6
; %bb.5:                                ;   in Loop: Header=BB89_4 Depth=1
	v_add_co_u32 v0, s1, s26, v28
	s_delay_alu instid0(VALU_DEP_1)
	v_add_co_ci_u32_e64 v1, null, s27, 0, s1
	global_load_b64 v[0:1], v[0:1], off
.LBB89_6:                               ;   in Loop: Header=BB89_4 Depth=1
	s_or_b32 exec_lo, exec_lo, s0
	v_add_co_u32 v2, s0, v32, s24
	s_delay_alu instid0(VALU_DEP_1) | instskip(SKIP_2) | instid1(VALU_DEP_3)
	v_add_co_ci_u32_e64 v3, s0, s25, v33, s0
	v_dual_mov_b32 v22, 0 :: v_dual_mov_b32 v23, 0
	v_mov_b32_e32 v24, 0
	v_cmp_gt_u64_e64 s11, s[22:23], v[2:3]
	s_delay_alu instid0(VALU_DEP_1)
	s_and_saveexec_b32 s0, s11
	s_cbranch_execz .LBB89_8
; %bb.7:                                ;   in Loop: Header=BB89_4 Depth=1
	v_add_co_u32 v2, s1, s26, v36
	s_delay_alu instid0(VALU_DEP_1)
	v_add_co_ci_u32_e64 v3, null, s27, 0, s1
	global_load_b64 v[23:24], v[2:3], off
.LBB89_8:                               ;   in Loop: Header=BB89_4 Depth=1
	s_or_b32 exec_lo, exec_lo, s0
	v_add_co_u32 v2, s0, v38, s24
	s_delay_alu instid0(VALU_DEP_1) | instskip(SKIP_1) | instid1(VALU_DEP_2)
	v_add_co_ci_u32_e64 v3, s0, s25, v39, s0
	v_mov_b32_e32 v21, 0
	v_cmp_gt_u64_e64 s14, s[22:23], v[2:3]
	s_delay_alu instid0(VALU_DEP_1)
	s_and_saveexec_b32 s1, s14
	s_cbranch_execz .LBB89_10
; %bb.9:                                ;   in Loop: Header=BB89_4 Depth=1
	v_add_co_u32 v2, s0, s26, v37
	s_delay_alu instid0(VALU_DEP_1)
	v_add_co_ci_u32_e64 v3, s0, s27, v35, s0
	global_load_b64 v[21:22], v[2:3], off offset:-4
.LBB89_10:                              ;   in Loop: Header=BB89_4 Depth=1
	s_or_b32 exec_lo, exec_lo, s1
	v_add_co_u32 v2, s0, v29, s24
	s_delay_alu instid0(VALU_DEP_1) | instskip(SKIP_1) | instid1(VALU_DEP_2)
	v_add_co_ci_u32_e64 v3, s0, s25, v34, s0
	v_dual_mov_b32 v26, 0 :: v_dual_mov_b32 v25, 0
	v_cmp_gt_u64_e64 s15, s[22:23], v[2:3]
	s_delay_alu instid0(VALU_DEP_1)
	s_and_saveexec_b32 s1, s15
	s_cbranch_execnz .LBB89_15
; %bb.11:                               ;   in Loop: Header=BB89_4 Depth=1
	s_or_b32 exec_lo, exec_lo, s1
	s_and_saveexec_b32 s33, vcc_lo
	s_cbranch_execnz .LBB89_16
.LBB89_12:                              ;   in Loop: Header=BB89_4 Depth=1
	s_or_b32 exec_lo, exec_lo, s33
	s_and_saveexec_b32 s33, s11
	s_cbranch_execnz .LBB89_17
.LBB89_13:                              ;   in Loop: Header=BB89_4 Depth=1
	s_or_b32 exec_lo, exec_lo, s33
	s_and_saveexec_b32 s11, s14
	s_cbranch_execnz .LBB89_18
.LBB89_14:                              ;   in Loop: Header=BB89_4 Depth=1
	s_or_b32 exec_lo, exec_lo, s11
	s_and_saveexec_b32 s11, s15
	s_cbranch_execz .LBB89_3
	s_branch .LBB89_19
.LBB89_15:                              ;   in Loop: Header=BB89_4 Depth=1
	v_add_co_u32 v2, s0, s26, v30
	s_delay_alu instid0(VALU_DEP_1)
	v_add_co_ci_u32_e64 v3, s0, s27, v31, s0
	global_load_b64 v[25:26], v[2:3], off offset:-4
	s_or_b32 exec_lo, exec_lo, s1
	s_and_saveexec_b32 s33, vcc_lo
	s_cbranch_execz .LBB89_12
.LBB89_16:                              ;   in Loop: Header=BB89_4 Depth=1
	s_getpc_b64 s[0:1]
	s_add_u32 s0, s0, _ZN6thrust23THRUST_200600_302600_NS6detail7complex6ccoshfERKNS0_7complexIfEE@rel32@lo+4
	s_addc_u32 s1, s1, _ZN6thrust23THRUST_200600_302600_NS6detail7complex6ccoshfERKNS0_7complexIfEE@rel32@hi+12
	s_delay_alu instid0(SALU_CYCLE_1) | instskip(SKIP_1) | instid1(VALU_DEP_1)
	s_swappc_b64 s[30:31], s[0:1]
	v_add_co_u32 v2, s0, s26, v28
	v_add_co_ci_u32_e64 v3, null, s27, 0, s0
	global_store_b64 v[2:3], v[0:1], off
	s_or_b32 exec_lo, exec_lo, s33
	s_and_saveexec_b32 s33, s11
	s_cbranch_execz .LBB89_13
.LBB89_17:                              ;   in Loop: Header=BB89_4 Depth=1
	s_waitcnt vmcnt(0)
	v_dual_mov_b32 v0, v23 :: v_dual_mov_b32 v1, v24
	s_getpc_b64 s[0:1]
	s_add_u32 s0, s0, _ZN6thrust23THRUST_200600_302600_NS6detail7complex6ccoshfERKNS0_7complexIfEE@rel32@lo+4
	s_addc_u32 s1, s1, _ZN6thrust23THRUST_200600_302600_NS6detail7complex6ccoshfERKNS0_7complexIfEE@rel32@hi+12
	s_delay_alu instid0(SALU_CYCLE_1) | instskip(SKIP_1) | instid1(VALU_DEP_1)
	s_swappc_b64 s[30:31], s[0:1]
	v_add_co_u32 v2, s0, s26, v36
	v_add_co_ci_u32_e64 v3, null, s27, 0, s0
	global_store_b64 v[2:3], v[0:1], off
	s_or_b32 exec_lo, exec_lo, s33
	s_and_saveexec_b32 s11, s14
	s_cbranch_execz .LBB89_14
.LBB89_18:                              ;   in Loop: Header=BB89_4 Depth=1
	s_waitcnt vmcnt(0)
	v_dual_mov_b32 v0, v21 :: v_dual_mov_b32 v1, v22
	s_getpc_b64 s[0:1]
	s_add_u32 s0, s0, _ZN6thrust23THRUST_200600_302600_NS6detail7complex6ccoshfERKNS0_7complexIfEE@rel32@lo+4
	s_addc_u32 s1, s1, _ZN6thrust23THRUST_200600_302600_NS6detail7complex6ccoshfERKNS0_7complexIfEE@rel32@hi+12
	s_delay_alu instid0(SALU_CYCLE_1)
	s_swappc_b64 s[30:31], s[0:1]
	v_add_co_u32 v2, vcc_lo, s26, v37
	v_add_co_ci_u32_e32 v3, vcc_lo, s27, v35, vcc_lo
	global_store_b64 v[2:3], v[0:1], off offset:-4
	s_or_b32 exec_lo, exec_lo, s11
	s_and_saveexec_b32 s11, s15
	s_cbranch_execz .LBB89_3
.LBB89_19:                              ;   in Loop: Header=BB89_4 Depth=1
	s_waitcnt vmcnt(0)
	v_dual_mov_b32 v0, v25 :: v_dual_mov_b32 v1, v26
	s_getpc_b64 s[0:1]
	s_add_u32 s0, s0, _ZN6thrust23THRUST_200600_302600_NS6detail7complex6ccoshfERKNS0_7complexIfEE@rel32@lo+4
	s_addc_u32 s1, s1, _ZN6thrust23THRUST_200600_302600_NS6detail7complex6ccoshfERKNS0_7complexIfEE@rel32@hi+12
	s_delay_alu instid0(SALU_CYCLE_1)
	s_swappc_b64 s[30:31], s[0:1]
	v_add_co_u32 v2, vcc_lo, s26, v30
	v_add_co_ci_u32_e32 v3, vcc_lo, s27, v31, vcc_lo
	global_store_b64 v[2:3], v[0:1], off offset:-4
	s_branch .LBB89_3
.LBB89_20:
	s_cbranch_execz .LBB89_22
	s_branch .LBB89_25
.LBB89_21:
.LBB89_22:
	v_dual_mov_b32 v30, 0 :: v_dual_lshlrev_b32 v29, 2, v27
	s_mov_b32 s11, 0
	s_mov_b32 s0, exec_lo
	s_delay_alu instid0(VALU_DEP_1)
	v_cmpx_gt_i64_e64 s[16:17], v[29:30]
	s_cbranch_execz .LBB89_25
; %bb.23:
	s_load_b32 s0, s[12:13], 0xd3c
	s_waitcnt vmcnt(0)
	v_lshlrev_b32_e32 v0, 5, v27
	s_waitcnt lgkmcnt(0)
	s_and_b32 s0, s0, 0xffff
	s_delay_alu instid0(SALU_CYCLE_1)
	s_lshl_b32 s12, s0, 2
	s_add_u32 s1, s18, s20
	s_addc_u32 s2, s19, s21
	v_add_co_u32 v31, s1, s1, v0
	v_add_lshl_u32 v29, v27, s0, 2
	v_add_co_ci_u32_e64 v32, null, s2, 0, s1
	s_lshl_b32 s13, s0, 5
.LBB89_24:                              ; =>This Inner Loop Header: Depth=1
	s_clause 0x1
	global_load_b128 v[21:24], v[31:32], off
	global_load_b128 v[25:28], v[31:32], off offset:16
	s_getpc_b64 s[14:15]
	s_add_u32 s14, s14, _ZN6thrust23THRUST_200600_302600_NS6detail7complex6ccoshfERKNS0_7complexIfEE@rel32@lo+4
	s_addc_u32 s15, s15, _ZN6thrust23THRUST_200600_302600_NS6detail7complex6ccoshfERKNS0_7complexIfEE@rel32@hi+12
	s_waitcnt vmcnt(1)
	v_dual_mov_b32 v0, v21 :: v_dual_mov_b32 v1, v22
	s_swappc_b64 s[30:31], s[14:15]
	s_delay_alu instid0(VALU_DEP_1) | instskip(SKIP_2) | instid1(VALU_DEP_1)
	v_dual_mov_b32 v21, v0 :: v_dual_mov_b32 v22, v1
	v_dual_mov_b32 v0, v23 :: v_dual_mov_b32 v1, v24
	s_swappc_b64 s[30:31], s[14:15]
	v_dual_mov_b32 v23, v0 :: v_dual_mov_b32 v24, v1
	v_dual_mov_b32 v0, v25 :: v_dual_mov_b32 v1, v26
	s_swappc_b64 s[30:31], s[14:15]
	s_delay_alu instid0(VALU_DEP_1) | instskip(SKIP_4) | instid1(VALU_DEP_3)
	v_dual_mov_b32 v25, v0 :: v_dual_mov_b32 v26, v1
	v_dual_mov_b32 v0, v27 :: v_dual_mov_b32 v1, v28
	s_swappc_b64 s[30:31], s[14:15]
	v_cmp_le_i64_e32 vcc_lo, s[16:17], v[29:30]
	v_cmp_lt_u64_e64 s0, 0xffff, v[29:30]
	v_dual_mov_b32 v27, v0 :: v_dual_mov_b32 v28, v1
	v_add_co_u32 v29, s1, v29, s12
	s_delay_alu instid0(VALU_DEP_1)
	v_add_co_ci_u32_e64 v30, s1, 0, v30, s1
	s_clause 0x1
	global_store_b128 v[31:32], v[21:24], off
	global_store_b128 v[31:32], v[25:28], off offset:16
	v_add_co_u32 v31, s1, v31, s13
	s_or_b32 s0, vcc_lo, s0
	v_add_co_ci_u32_e64 v32, vcc_lo, 0, v32, s1
	s_and_b32 s0, exec_lo, s0
	s_delay_alu instid0(SALU_CYCLE_1) | instskip(NEXT) | instid1(SALU_CYCLE_1)
	s_or_b32 s11, s0, s11
	s_and_not1_b32 exec_lo, exec_lo, s11
	s_cbranch_execnz .LBB89_24
.LBB89_25:
	s_endpgm
	.section	.rodata,"a",@progbits
	.p2align	6, 0x0
	.amdhsa_kernel _ZN2at6native12_GLOBAL__N_125multi_tensor_apply_kernelINS1_18TensorListMetadataILi1EEENS1_14UnaryOpFunctorIN3c107complexIfEELi1ELi1ELi0EEEJNS0_4CoshIS8_EEEEEvT_T0_DpT1_
		.amdhsa_group_segment_fixed_size 0
		.amdhsa_private_segment_fixed_size 0
		.amdhsa_kernarg_size 3632
		.amdhsa_user_sgpr_count 15
		.amdhsa_user_sgpr_dispatch_ptr 0
		.amdhsa_user_sgpr_queue_ptr 0
		.amdhsa_user_sgpr_kernarg_segment_ptr 1
		.amdhsa_user_sgpr_dispatch_id 0
		.amdhsa_user_sgpr_private_segment_size 0
		.amdhsa_wavefront_size32 1
		.amdhsa_uses_dynamic_stack 0
		.amdhsa_enable_private_segment 0
		.amdhsa_system_sgpr_workgroup_id_x 1
		.amdhsa_system_sgpr_workgroup_id_y 0
		.amdhsa_system_sgpr_workgroup_id_z 0
		.amdhsa_system_sgpr_workgroup_info 0
		.amdhsa_system_vgpr_workitem_id 0
		.amdhsa_next_free_vgpr 40
		.amdhsa_next_free_sgpr 34
		.amdhsa_reserve_vcc 1
		.amdhsa_float_round_mode_32 0
		.amdhsa_float_round_mode_16_64 0
		.amdhsa_float_denorm_mode_32 3
		.amdhsa_float_denorm_mode_16_64 3
		.amdhsa_dx10_clamp 1
		.amdhsa_ieee_mode 1
		.amdhsa_fp16_overflow 0
		.amdhsa_workgroup_processor_mode 1
		.amdhsa_memory_ordered 1
		.amdhsa_forward_progress 0
		.amdhsa_shared_vgpr_count 0
		.amdhsa_exception_fp_ieee_invalid_op 0
		.amdhsa_exception_fp_denorm_src 0
		.amdhsa_exception_fp_ieee_div_zero 0
		.amdhsa_exception_fp_ieee_overflow 0
		.amdhsa_exception_fp_ieee_underflow 0
		.amdhsa_exception_fp_ieee_inexact 0
		.amdhsa_exception_int_div_zero 0
	.end_amdhsa_kernel
	.section	.text._ZN2at6native12_GLOBAL__N_125multi_tensor_apply_kernelINS1_18TensorListMetadataILi1EEENS1_14UnaryOpFunctorIN3c107complexIfEELi1ELi1ELi0EEEJNS0_4CoshIS8_EEEEEvT_T0_DpT1_,"axG",@progbits,_ZN2at6native12_GLOBAL__N_125multi_tensor_apply_kernelINS1_18TensorListMetadataILi1EEENS1_14UnaryOpFunctorIN3c107complexIfEELi1ELi1ELi0EEEJNS0_4CoshIS8_EEEEEvT_T0_DpT1_,comdat
.Lfunc_end89:
	.size	_ZN2at6native12_GLOBAL__N_125multi_tensor_apply_kernelINS1_18TensorListMetadataILi1EEENS1_14UnaryOpFunctorIN3c107complexIfEELi1ELi1ELi0EEEJNS0_4CoshIS8_EEEEEvT_T0_DpT1_, .Lfunc_end89-_ZN2at6native12_GLOBAL__N_125multi_tensor_apply_kernelINS1_18TensorListMetadataILi1EEENS1_14UnaryOpFunctorIN3c107complexIfEELi1ELi1ELi0EEEJNS0_4CoshIS8_EEEEEvT_T0_DpT1_
                                        ; -- End function
	.section	.AMDGPU.csdata,"",@progbits
; Kernel info:
; codeLenInByte = 1408
; NumSgprs: 36
; NumVgprs: 40
; ScratchSize: 0
; MemoryBound: 0
; FloatMode: 240
; IeeeMode: 1
; LDSByteSize: 0 bytes/workgroup (compile time only)
; SGPRBlocks: 4
; VGPRBlocks: 4
; NumSGPRsForWavesPerEU: 36
; NumVGPRsForWavesPerEU: 40
; Occupancy: 16
; WaveLimiterHint : 0
; COMPUTE_PGM_RSRC2:SCRATCH_EN: 0
; COMPUTE_PGM_RSRC2:USER_SGPR: 15
; COMPUTE_PGM_RSRC2:TRAP_HANDLER: 0
; COMPUTE_PGM_RSRC2:TGID_X_EN: 1
; COMPUTE_PGM_RSRC2:TGID_Y_EN: 0
; COMPUTE_PGM_RSRC2:TGID_Z_EN: 0
; COMPUTE_PGM_RSRC2:TIDIG_COMP_CNT: 0
	.section	.text._ZN2at6native12_GLOBAL__N_125multi_tensor_apply_kernelINS1_18TensorListMetadataILi1EEENS1_14UnaryOpFunctorIN3c104HalfELi1ELi1ELi0EEEJNS0_4CoshIfEEEEEvT_T0_DpT1_,"axG",@progbits,_ZN2at6native12_GLOBAL__N_125multi_tensor_apply_kernelINS1_18TensorListMetadataILi1EEENS1_14UnaryOpFunctorIN3c104HalfELi1ELi1ELi0EEEJNS0_4CoshIfEEEEEvT_T0_DpT1_,comdat
	.globl	_ZN2at6native12_GLOBAL__N_125multi_tensor_apply_kernelINS1_18TensorListMetadataILi1EEENS1_14UnaryOpFunctorIN3c104HalfELi1ELi1ELi0EEEJNS0_4CoshIfEEEEEvT_T0_DpT1_ ; -- Begin function _ZN2at6native12_GLOBAL__N_125multi_tensor_apply_kernelINS1_18TensorListMetadataILi1EEENS1_14UnaryOpFunctorIN3c104HalfELi1ELi1ELi0EEEJNS0_4CoshIfEEEEEvT_T0_DpT1_
	.p2align	8
	.type	_ZN2at6native12_GLOBAL__N_125multi_tensor_apply_kernelINS1_18TensorListMetadataILi1EEENS1_14UnaryOpFunctorIN3c104HalfELi1ELi1ELi0EEEJNS0_4CoshIfEEEEEvT_T0_DpT1_,@function
_ZN2at6native12_GLOBAL__N_125multi_tensor_apply_kernelINS1_18TensorListMetadataILi1EEENS1_14UnaryOpFunctorIN3c104HalfELi1ELi1ELi0EEEJNS0_4CoshIfEEEEEvT_T0_DpT1_: ; @_ZN2at6native12_GLOBAL__N_125multi_tensor_apply_kernelINS1_18TensorListMetadataILi1EEENS1_14UnaryOpFunctorIN3c104HalfELi1ELi1ELi0EEEJNS0_4CoshIfEEEEEvT_T0_DpT1_
; %bb.0:
	v_mov_b32_e32 v1, s15
	s_add_u32 s2, s0, s15
	s_mul_hi_u32 s3, s15, 3
	s_mul_i32 s15, s15, 3
	s_addc_u32 s4, s1, 0
	global_load_u8 v1, v1, s[0:1] offset:1760
	s_add_u32 s2, s2, s15
	s_addc_u32 s3, s4, s3
	s_mov_b32 s13, 0
	s_load_b32 s2, s[2:3], 0x820
	s_waitcnt vmcnt(0)
	v_readfirstlane_b32 s5, v1
	s_delay_alu instid0(VALU_DEP_1)
	s_lshl_b32 s3, s5, 3
	s_clause 0x1
	s_load_b64 s[8:9], s[0:1], s3 offset:0x0
	s_load_b64 s[4:5], s[0:1], s3 offset:0x370
	s_waitcnt lgkmcnt(0)
	s_ashr_i32 s3, s2, 31
	s_delay_alu instid0(SALU_CYCLE_1)
	s_lshl_b64 s[10:11], s[2:3], 17
	s_lshl_b64 s[2:3], s[2:3], 16
	s_and_b32 s12, s8, 7
	s_sub_u32 s6, s4, s2
	s_subb_u32 s7, s5, s3
	s_and_b32 s2, s4, 3
	s_mov_b32 s3, s13
	s_delay_alu instid0(SALU_CYCLE_1) | instskip(NEXT) | instid1(SALU_CYCLE_1)
	s_or_b64 s[2:3], s[12:13], s[2:3]
	s_cmp_eq_u64 s[2:3], 0
	s_cbranch_scc1 .LBB90_21
; %bb.1:
	v_cmp_lt_i64_e64 s2, s[6:7], 1
	s_delay_alu instid0(VALU_DEP_1)
	s_and_b32 vcc_lo, exec_lo, s2
	s_cbranch_vccnz .LBB90_20
; %bb.2:
	s_load_b32 s2, s[0:1], 0xd3c
	v_cmp_gt_u64_e64 s3, 0x10000, s[6:7]
	v_lshlrev_b32_e32 v1, 1, v0
	s_mov_b32 s19, 0x3ab42872
	s_waitcnt lgkmcnt(0)
	s_and_b32 s2, s2, 0xffff
	s_delay_alu instid0(VALU_DEP_2)
	s_and_b32 s3, s3, exec_lo
	v_add_co_u32 v5, s5, v0, s2
	s_cselect_b32 s13, s7, 0
	s_cselect_b32 s12, s6, 0x10000
	s_lshl_b32 s3, s2, 1
	s_lshl_b32 s16, s2, 2
	v_lshlrev_b32_e32 v3, 1, v5
	v_add_co_ci_u32_e64 v6, null, 0, 0, s5
	s_add_u32 s5, s8, s10
	v_add_co_u32 v9, s3, s3, v0
	s_mul_i32 s4, s2, 3
	s_addc_u32 s14, s9, s11
	v_add_co_ci_u32_e64 v10, null, 0, 0, s3
	v_add_co_u32 v1, s3, s5, v1
	v_add_co_u32 v7, s4, s4, v0
	v_add_co_ci_u32_e64 v2, null, s14, 0, s3
	v_add_co_u32 v3, s3, s5, v3
	v_add_co_ci_u32_e64 v8, null, 0, 0, s4
	v_add_co_ci_u32_e64 v4, null, s14, 0, s3
	s_lshl_b32 s17, s2, 3
	s_mul_i32 s18, s2, 6
	s_mov_b64 s[14:15], 0
	s_branch .LBB90_4
.LBB90_3:                               ;   in Loop: Header=BB90_4 Depth=1
	s_or_b32 exec_lo, exec_lo, s2
	s_add_u32 s14, s14, s16
	s_addc_u32 s15, s15, 0
	v_add_co_u32 v1, vcc_lo, v1, s17
	v_cmp_lt_i64_e64 s2, s[14:15], s[6:7]
	v_cmp_gt_u64_e64 s3, 0x10000, s[14:15]
	v_add_co_ci_u32_e32 v2, vcc_lo, 0, v2, vcc_lo
	v_add_co_u32 v3, vcc_lo, v3, s17
	v_add_co_ci_u32_e32 v4, vcc_lo, 0, v4, vcc_lo
	s_delay_alu instid0(VALU_DEP_4) | instskip(NEXT) | instid1(SALU_CYCLE_1)
	s_and_b32 s2, s2, s3
	s_and_b32 vcc_lo, exec_lo, s2
	s_cbranch_vccz .LBB90_20
.LBB90_4:                               ; =>This Inner Loop Header: Depth=1
	s_waitcnt vmcnt(0)
	v_add_co_u32 v11, s2, v0, s14
	s_delay_alu instid0(VALU_DEP_1) | instskip(SKIP_1) | instid1(VALU_DEP_2)
	v_add_co_ci_u32_e64 v12, null, 0, s15, s2
	v_mov_b32_e32 v14, 0
	v_cmp_gt_u64_e64 s4, s[12:13], v[11:12]
	s_delay_alu instid0(VALU_DEP_1)
	s_and_saveexec_b32 s2, s4
	s_cbranch_execz .LBB90_6
; %bb.5:                                ;   in Loop: Header=BB90_4 Depth=1
	global_load_u16 v14, v[1:2], off
.LBB90_6:                               ;   in Loop: Header=BB90_4 Depth=1
	s_or_b32 exec_lo, exec_lo, s2
	v_add_co_u32 v11, vcc_lo, v5, s14
	v_add_co_ci_u32_e32 v12, vcc_lo, s15, v6, vcc_lo
	v_mov_b32_e32 v13, 0
	s_delay_alu instid0(VALU_DEP_2) | instskip(NEXT) | instid1(VALU_DEP_1)
	v_cmp_gt_u64_e64 s3, s[12:13], v[11:12]
	s_and_saveexec_b32 s2, s3
	s_cbranch_execz .LBB90_8
; %bb.7:                                ;   in Loop: Header=BB90_4 Depth=1
	global_load_u16 v13, v[3:4], off
.LBB90_8:                               ;   in Loop: Header=BB90_4 Depth=1
	s_or_b32 exec_lo, exec_lo, s2
	v_add_co_u32 v11, vcc_lo, v9, s14
	v_add_co_ci_u32_e32 v12, vcc_lo, s15, v10, vcc_lo
	s_delay_alu instid0(VALU_DEP_1) | instskip(SKIP_1) | instid1(VALU_DEP_2)
	v_cmp_gt_u64_e64 s2, s[12:13], v[11:12]
	v_dual_mov_b32 v11, 0 :: v_dual_mov_b32 v12, 0
	s_and_saveexec_b32 s5, s2
	s_cbranch_execz .LBB90_10
; %bb.9:                                ;   in Loop: Header=BB90_4 Depth=1
	v_add_co_u32 v15, vcc_lo, v1, s16
	v_add_co_ci_u32_e32 v16, vcc_lo, 0, v2, vcc_lo
	global_load_u16 v12, v[15:16], off
.LBB90_10:                              ;   in Loop: Header=BB90_4 Depth=1
	s_or_b32 exec_lo, exec_lo, s5
	v_add_co_u32 v15, vcc_lo, v7, s14
	v_add_co_ci_u32_e32 v16, vcc_lo, s15, v8, vcc_lo
	s_delay_alu instid0(VALU_DEP_1)
	v_cmp_gt_u64_e32 vcc_lo, s[12:13], v[15:16]
	s_and_saveexec_b32 s20, vcc_lo
	s_cbranch_execnz .LBB90_15
; %bb.11:                               ;   in Loop: Header=BB90_4 Depth=1
	s_or_b32 exec_lo, exec_lo, s20
	s_and_saveexec_b32 s5, s4
	s_cbranch_execnz .LBB90_16
.LBB90_12:                              ;   in Loop: Header=BB90_4 Depth=1
	s_or_b32 exec_lo, exec_lo, s5
	s_and_saveexec_b32 s4, s3
	s_cbranch_execnz .LBB90_17
.LBB90_13:                              ;   in Loop: Header=BB90_4 Depth=1
	s_or_b32 exec_lo, exec_lo, s4
	s_and_saveexec_b32 s3, s2
	s_cbranch_execnz .LBB90_18
.LBB90_14:                              ;   in Loop: Header=BB90_4 Depth=1
	s_or_b32 exec_lo, exec_lo, s3
	s_and_saveexec_b32 s2, vcc_lo
	s_cbranch_execz .LBB90_3
	s_branch .LBB90_19
.LBB90_15:                              ;   in Loop: Header=BB90_4 Depth=1
	v_add_co_u32 v15, s5, v1, s18
	s_delay_alu instid0(VALU_DEP_1)
	v_add_co_ci_u32_e64 v16, s5, 0, v2, s5
	global_load_u16 v11, v[15:16], off
	s_or_b32 exec_lo, exec_lo, s20
	s_and_saveexec_b32 s5, s4
	s_cbranch_execz .LBB90_12
.LBB90_16:                              ;   in Loop: Header=BB90_4 Depth=1
	s_waitcnt vmcnt(0)
	v_cvt_f32_f16_e64 v14, |v14|
	s_delay_alu instid0(VALU_DEP_1) | instskip(SKIP_1) | instid1(VALU_DEP_2)
	v_add_f32_e32 v15, 0xbf317218, v14
	v_cmp_nlt_f32_e64 s4, 0x42b2d4fc, v14
	v_sub_f32_e32 v16, v15, v14
	s_delay_alu instid0(VALU_DEP_1) | instskip(NEXT) | instid1(VALU_DEP_1)
	v_dual_sub_f32 v17, v16, v15 :: v_dual_add_f32 v16, 0x3f317218, v16
	v_add_f32_e32 v17, v17, v14
	s_delay_alu instid0(VALU_DEP_1) | instskip(NEXT) | instid1(VALU_DEP_1)
	v_sub_f32_e32 v16, v17, v16
	v_add_f32_e32 v16, 0x3102e308, v16
	s_delay_alu instid0(VALU_DEP_1) | instskip(NEXT) | instid1(VALU_DEP_1)
	v_add_f32_e32 v17, v15, v16
	v_sub_f32_e32 v15, v15, v17
	s_delay_alu instid0(VALU_DEP_1) | instskip(NEXT) | instid1(VALU_DEP_1)
	v_dual_mul_f32 v18, 0x3fb8aa3b, v17 :: v_dual_add_f32 v15, v16, v15
	v_rndne_f32_e32 v18, v18
	s_delay_alu instid0(VALU_DEP_1) | instskip(SKIP_1) | instid1(VALU_DEP_1)
	v_mul_f32_e32 v16, 0x35bfbc00, v18
	v_fmac_f32_e32 v17, 0xbf317200, v18
	v_add_f32_e32 v19, v15, v17
	s_delay_alu instid0(VALU_DEP_1) | instskip(NEXT) | instid1(VALU_DEP_1)
	v_dual_sub_f32 v20, v19, v16 :: v_dual_sub_f32 v17, v17, v19
	v_sub_f32_e32 v19, v19, v20
	s_delay_alu instid0(VALU_DEP_2) | instskip(NEXT) | instid1(VALU_DEP_2)
	v_add_f32_e32 v15, v15, v17
	v_sub_f32_e32 v16, v19, v16
	s_delay_alu instid0(VALU_DEP_1) | instskip(NEXT) | instid1(VALU_DEP_1)
	v_dual_add_f32 v15, v15, v16 :: v_dual_mul_f32 v16, 0x2ea39ef3, v18
	v_add_f32_e32 v17, v20, v15
	s_delay_alu instid0(VALU_DEP_1) | instskip(NEXT) | instid1(VALU_DEP_1)
	v_dual_sub_f32 v19, v17, v16 :: v_dual_sub_f32 v20, v20, v17
	v_sub_f32_e32 v17, v17, v19
	s_delay_alu instid0(VALU_DEP_2) | instskip(NEXT) | instid1(VALU_DEP_2)
	v_add_f32_e32 v15, v15, v20
	v_sub_f32_e32 v16, v17, v16
	s_delay_alu instid0(VALU_DEP_1) | instskip(NEXT) | instid1(VALU_DEP_1)
	v_add_f32_e32 v15, v15, v16
	v_add_f32_e32 v16, v19, v15
	s_delay_alu instid0(VALU_DEP_1) | instskip(SKIP_1) | instid1(VALU_DEP_2)
	v_sub_f32_e32 v17, v19, v16
	v_mul_f32_e32 v19, v16, v16
	v_add_f32_e32 v15, v15, v17
	v_fmaak_f32 v17, s19, v16, 0x3c091de6
	s_delay_alu instid0(VALU_DEP_3) | instskip(NEXT) | instid1(VALU_DEP_3)
	v_fma_f32 v20, v16, v16, -v19
	v_add_f32_e32 v21, v15, v15
	s_delay_alu instid0(VALU_DEP_3) | instskip(NEXT) | instid1(VALU_DEP_2)
	v_fmaak_f32 v17, v16, v17, 0x3d2aadcc
	v_fmac_f32_e32 v20, v16, v21
	s_delay_alu instid0(VALU_DEP_2) | instskip(NEXT) | instid1(VALU_DEP_2)
	v_fmaak_f32 v17, v16, v17, 0x3e2aaa47
	v_add_f32_e32 v21, v19, v20
	s_delay_alu instid0(VALU_DEP_2) | instskip(NEXT) | instid1(VALU_DEP_2)
	v_fmaak_f32 v17, v16, v17, 0x3efffffc
	v_sub_f32_e32 v19, v21, v19
	s_delay_alu instid0(VALU_DEP_1) | instskip(NEXT) | instid1(VALU_DEP_1)
	v_dual_mul_f32 v22, v17, v21 :: v_dual_sub_f32 v19, v20, v19
	v_fma_f32 v20, v21, v17, -v22
	s_delay_alu instid0(VALU_DEP_1) | instskip(NEXT) | instid1(VALU_DEP_1)
	v_fmac_f32_e32 v20, v19, v17
	v_add_f32_e32 v17, v22, v20
	s_delay_alu instid0(VALU_DEP_1) | instskip(SKIP_1) | instid1(VALU_DEP_1)
	v_sub_f32_e32 v19, v17, v22
	v_add_f32_e32 v21, v16, v17
	v_dual_sub_f32 v19, v20, v19 :: v_dual_sub_f32 v16, v21, v16
	s_delay_alu instid0(VALU_DEP_1) | instskip(NEXT) | instid1(VALU_DEP_1)
	v_dual_sub_f32 v16, v17, v16 :: v_dual_add_f32 v15, v15, v19
	v_add_f32_e32 v15, v15, v16
	s_delay_alu instid0(VALU_DEP_1) | instskip(NEXT) | instid1(VALU_DEP_1)
	v_add_f32_e32 v16, v21, v15
	v_add_f32_e32 v17, 1.0, v16
	v_sub_f32_e32 v19, v16, v21
	s_delay_alu instid0(VALU_DEP_1) | instskip(NEXT) | instid1(VALU_DEP_1)
	v_dual_add_f32 v20, -1.0, v17 :: v_dual_sub_f32 v15, v15, v19
	v_sub_f32_e32 v16, v16, v20
	s_delay_alu instid0(VALU_DEP_1) | instskip(SKIP_1) | instid1(VALU_DEP_2)
	v_add_f32_e32 v15, v15, v16
	v_cvt_i32_f32_e32 v16, v18
	v_add_f32_e32 v18, v17, v15
	s_delay_alu instid0(VALU_DEP_1) | instskip(SKIP_1) | instid1(VALU_DEP_2)
	v_ldexp_f32 v19, v18, v16
	v_sub_f32_e32 v17, v18, v17
	v_rcp_f32_e32 v20, v19
	s_delay_alu instid0(VALU_DEP_1) | instskip(NEXT) | instid1(VALU_DEP_1)
	v_sub_f32_e32 v15, v15, v17
	v_ldexp_f32 v15, v15, v16
	s_waitcnt_depctr 0xfff
	v_mul_f32_e32 v17, v19, v20
	s_delay_alu instid0(VALU_DEP_1) | instskip(NEXT) | instid1(VALU_DEP_1)
	v_fma_f32 v16, v20, v19, -v17
	v_fmac_f32_e32 v16, v20, v15
	s_delay_alu instid0(VALU_DEP_1) | instskip(NEXT) | instid1(VALU_DEP_1)
	v_add_f32_e32 v18, v17, v16
	v_sub_f32_e32 v21, 1.0, v18
	v_sub_f32_e32 v17, v18, v17
	s_delay_alu instid0(VALU_DEP_2) | instskip(NEXT) | instid1(VALU_DEP_1)
	v_sub_f32_e32 v22, 1.0, v21
	v_dual_sub_f32 v16, v17, v16 :: v_dual_sub_f32 v17, v22, v18
	s_delay_alu instid0(VALU_DEP_1) | instskip(NEXT) | instid1(VALU_DEP_1)
	v_add_f32_e32 v16, v16, v17
	v_add_f32_e32 v17, v21, v16
	s_delay_alu instid0(VALU_DEP_1) | instskip(NEXT) | instid1(VALU_DEP_1)
	v_mul_f32_e32 v18, v20, v17
	v_dual_sub_f32 v21, v21, v17 :: v_dual_mul_f32 v22, v19, v18
	s_delay_alu instid0(VALU_DEP_1) | instskip(NEXT) | instid1(VALU_DEP_2)
	v_add_f32_e32 v16, v16, v21
	v_fma_f32 v23, v18, v19, -v22
	s_delay_alu instid0(VALU_DEP_1) | instskip(NEXT) | instid1(VALU_DEP_1)
	v_fmac_f32_e32 v23, v18, v15
	v_add_f32_e32 v24, v22, v23
	s_delay_alu instid0(VALU_DEP_1) | instskip(SKIP_1) | instid1(VALU_DEP_2)
	v_sub_f32_e32 v25, v17, v24
	v_sub_f32_e32 v21, v24, v22
	;; [unrolled: 1-line block ×3, first 2 shown]
	s_delay_alu instid0(VALU_DEP_2) | instskip(NEXT) | instid1(VALU_DEP_2)
	v_sub_f32_e32 v21, v21, v23
	v_sub_f32_e32 v17, v17, v24
	s_delay_alu instid0(VALU_DEP_1) | instskip(NEXT) | instid1(VALU_DEP_1)
	v_add_f32_e32 v16, v16, v17
	v_dual_add_f32 v17, v20, v18 :: v_dual_add_f32 v16, v21, v16
	s_delay_alu instid0(VALU_DEP_1) | instskip(NEXT) | instid1(VALU_DEP_2)
	v_sub_f32_e32 v21, v17, v20
	v_add_f32_e32 v16, v25, v16
	s_delay_alu instid0(VALU_DEP_2) | instskip(NEXT) | instid1(VALU_DEP_2)
	v_sub_f32_e32 v18, v18, v21
	v_mul_f32_e32 v16, v20, v16
	s_delay_alu instid0(VALU_DEP_1) | instskip(NEXT) | instid1(VALU_DEP_1)
	v_add_f32_e32 v16, v18, v16
	v_add_f32_e32 v18, v17, v16
	s_delay_alu instid0(VALU_DEP_1) | instskip(SKIP_1) | instid1(VALU_DEP_1)
	v_sub_f32_e32 v17, v18, v17
	v_ldexp_f32 v18, v18, -2
	v_dual_sub_f32 v16, v16, v17 :: v_dual_add_f32 v17, v19, v18
	s_delay_alu instid0(VALU_DEP_1) | instskip(NEXT) | instid1(VALU_DEP_2)
	v_ldexp_f32 v16, v16, -2
	v_sub_f32_e32 v19, v17, v19
	s_delay_alu instid0(VALU_DEP_1) | instskip(NEXT) | instid1(VALU_DEP_1)
	v_dual_add_f32 v15, v15, v16 :: v_dual_sub_f32 v16, v18, v19
	v_add_f32_e32 v15, v15, v16
	s_delay_alu instid0(VALU_DEP_1) | instskip(NEXT) | instid1(VALU_DEP_1)
	v_add_f32_e32 v15, v17, v15
	v_cndmask_b32_e64 v14, 0x7f800000, v15, s4
	s_delay_alu instid0(VALU_DEP_1)
	v_cvt_f16_f32_e32 v14, v14
	global_store_b16 v[1:2], v14, off
	s_or_b32 exec_lo, exec_lo, s5
	s_and_saveexec_b32 s4, s3
	s_cbranch_execz .LBB90_13
.LBB90_17:                              ;   in Loop: Header=BB90_4 Depth=1
	s_waitcnt vmcnt(0)
	v_cvt_f32_f16_e64 v13, |v13|
	s_delay_alu instid0(VALU_DEP_1) | instskip(SKIP_1) | instid1(VALU_DEP_2)
	v_add_f32_e32 v14, 0xbf317218, v13
	v_cmp_nlt_f32_e64 s3, 0x42b2d4fc, v13
	v_sub_f32_e32 v15, v14, v13
	s_delay_alu instid0(VALU_DEP_1) | instskip(NEXT) | instid1(VALU_DEP_1)
	v_dual_sub_f32 v16, v15, v14 :: v_dual_add_f32 v15, 0x3f317218, v15
	v_add_f32_e32 v16, v16, v13
	s_delay_alu instid0(VALU_DEP_1) | instskip(NEXT) | instid1(VALU_DEP_1)
	v_sub_f32_e32 v15, v16, v15
	v_add_f32_e32 v15, 0x3102e308, v15
	s_delay_alu instid0(VALU_DEP_1) | instskip(NEXT) | instid1(VALU_DEP_1)
	v_add_f32_e32 v16, v14, v15
	v_sub_f32_e32 v14, v14, v16
	s_delay_alu instid0(VALU_DEP_1) | instskip(NEXT) | instid1(VALU_DEP_1)
	v_dual_mul_f32 v17, 0x3fb8aa3b, v16 :: v_dual_add_f32 v14, v15, v14
	v_rndne_f32_e32 v17, v17
	s_delay_alu instid0(VALU_DEP_1) | instskip(SKIP_1) | instid1(VALU_DEP_1)
	v_mul_f32_e32 v15, 0x35bfbc00, v17
	v_fmac_f32_e32 v16, 0xbf317200, v17
	v_add_f32_e32 v18, v14, v16
	s_delay_alu instid0(VALU_DEP_1) | instskip(NEXT) | instid1(VALU_DEP_1)
	v_dual_sub_f32 v19, v18, v15 :: v_dual_sub_f32 v16, v16, v18
	v_sub_f32_e32 v18, v18, v19
	s_delay_alu instid0(VALU_DEP_2) | instskip(NEXT) | instid1(VALU_DEP_2)
	v_add_f32_e32 v14, v14, v16
	v_sub_f32_e32 v15, v18, v15
	s_delay_alu instid0(VALU_DEP_1) | instskip(NEXT) | instid1(VALU_DEP_1)
	v_dual_add_f32 v14, v14, v15 :: v_dual_mul_f32 v15, 0x2ea39ef3, v17
	v_add_f32_e32 v16, v19, v14
	s_delay_alu instid0(VALU_DEP_1) | instskip(NEXT) | instid1(VALU_DEP_1)
	v_dual_sub_f32 v18, v16, v15 :: v_dual_sub_f32 v19, v19, v16
	v_sub_f32_e32 v16, v16, v18
	s_delay_alu instid0(VALU_DEP_2) | instskip(NEXT) | instid1(VALU_DEP_2)
	v_add_f32_e32 v14, v14, v19
	v_sub_f32_e32 v15, v16, v15
	s_delay_alu instid0(VALU_DEP_1) | instskip(NEXT) | instid1(VALU_DEP_1)
	v_add_f32_e32 v14, v14, v15
	v_add_f32_e32 v15, v18, v14
	s_delay_alu instid0(VALU_DEP_1) | instskip(SKIP_1) | instid1(VALU_DEP_2)
	v_sub_f32_e32 v16, v18, v15
	v_mul_f32_e32 v18, v15, v15
	v_add_f32_e32 v14, v14, v16
	v_fmaak_f32 v16, s19, v15, 0x3c091de6
	s_delay_alu instid0(VALU_DEP_3) | instskip(NEXT) | instid1(VALU_DEP_3)
	v_fma_f32 v19, v15, v15, -v18
	v_add_f32_e32 v20, v14, v14
	s_delay_alu instid0(VALU_DEP_3) | instskip(NEXT) | instid1(VALU_DEP_2)
	v_fmaak_f32 v16, v15, v16, 0x3d2aadcc
	v_fmac_f32_e32 v19, v15, v20
	s_delay_alu instid0(VALU_DEP_2) | instskip(NEXT) | instid1(VALU_DEP_2)
	v_fmaak_f32 v16, v15, v16, 0x3e2aaa47
	v_add_f32_e32 v20, v18, v19
	s_delay_alu instid0(VALU_DEP_2) | instskip(NEXT) | instid1(VALU_DEP_2)
	v_fmaak_f32 v16, v15, v16, 0x3efffffc
	v_sub_f32_e32 v18, v20, v18
	s_delay_alu instid0(VALU_DEP_1) | instskip(NEXT) | instid1(VALU_DEP_1)
	v_dual_mul_f32 v21, v16, v20 :: v_dual_sub_f32 v18, v19, v18
	v_fma_f32 v19, v20, v16, -v21
	s_delay_alu instid0(VALU_DEP_1) | instskip(NEXT) | instid1(VALU_DEP_1)
	v_fmac_f32_e32 v19, v18, v16
	v_add_f32_e32 v16, v21, v19
	s_delay_alu instid0(VALU_DEP_1) | instskip(SKIP_1) | instid1(VALU_DEP_2)
	v_sub_f32_e32 v20, v16, v21
	v_add_f32_e32 v18, v15, v16
	v_sub_f32_e32 v19, v19, v20
	s_delay_alu instid0(VALU_DEP_2) | instskip(NEXT) | instid1(VALU_DEP_2)
	v_sub_f32_e32 v15, v18, v15
	v_add_f32_e32 v14, v14, v19
	s_delay_alu instid0(VALU_DEP_2) | instskip(NEXT) | instid1(VALU_DEP_1)
	v_sub_f32_e32 v15, v16, v15
	v_add_f32_e32 v14, v14, v15
	s_delay_alu instid0(VALU_DEP_1) | instskip(NEXT) | instid1(VALU_DEP_1)
	v_add_f32_e32 v15, v18, v14
	v_add_f32_e32 v16, 1.0, v15
	s_delay_alu instid0(VALU_DEP_1) | instskip(NEXT) | instid1(VALU_DEP_1)
	v_dual_sub_f32 v18, v15, v18 :: v_dual_add_f32 v19, -1.0, v16
	v_dual_sub_f32 v14, v14, v18 :: v_dual_sub_f32 v15, v15, v19
	s_delay_alu instid0(VALU_DEP_1) | instskip(SKIP_1) | instid1(VALU_DEP_2)
	v_add_f32_e32 v14, v14, v15
	v_cvt_i32_f32_e32 v15, v17
	v_add_f32_e32 v17, v16, v14
	s_delay_alu instid0(VALU_DEP_1) | instskip(NEXT) | instid1(VALU_DEP_1)
	v_ldexp_f32 v18, v17, v15
	v_rcp_f32_e32 v19, v18
	v_sub_f32_e32 v16, v17, v16
	s_delay_alu instid0(VALU_DEP_1) | instskip(SKIP_3) | instid1(VALU_DEP_2)
	v_sub_f32_e32 v14, v14, v16
	s_waitcnt_depctr 0xfff
	v_mul_f32_e32 v16, v18, v19
	v_ldexp_f32 v14, v14, v15
	v_fma_f32 v15, v19, v18, -v16
	s_delay_alu instid0(VALU_DEP_1) | instskip(NEXT) | instid1(VALU_DEP_1)
	v_fmac_f32_e32 v15, v19, v14
	v_add_f32_e32 v17, v16, v15
	s_delay_alu instid0(VALU_DEP_1) | instskip(SKIP_1) | instid1(VALU_DEP_2)
	v_sub_f32_e32 v20, 1.0, v17
	v_sub_f32_e32 v16, v17, v16
	v_sub_f32_e32 v21, 1.0, v20
	s_delay_alu instid0(VALU_DEP_1) | instskip(NEXT) | instid1(VALU_DEP_1)
	v_dual_sub_f32 v15, v16, v15 :: v_dual_sub_f32 v16, v21, v17
	v_add_f32_e32 v15, v15, v16
	s_delay_alu instid0(VALU_DEP_1) | instskip(NEXT) | instid1(VALU_DEP_1)
	v_add_f32_e32 v16, v20, v15
	v_mul_f32_e32 v17, v19, v16
	s_delay_alu instid0(VALU_DEP_1) | instskip(NEXT) | instid1(VALU_DEP_1)
	v_dual_sub_f32 v20, v20, v16 :: v_dual_mul_f32 v21, v18, v17
	v_add_f32_e32 v15, v15, v20
	s_delay_alu instid0(VALU_DEP_2) | instskip(NEXT) | instid1(VALU_DEP_1)
	v_fma_f32 v22, v17, v18, -v21
	v_fmac_f32_e32 v22, v17, v14
	s_delay_alu instid0(VALU_DEP_1) | instskip(NEXT) | instid1(VALU_DEP_1)
	v_add_f32_e32 v23, v21, v22
	v_sub_f32_e32 v24, v16, v23
	v_sub_f32_e32 v20, v23, v21
	s_delay_alu instid0(VALU_DEP_2) | instskip(NEXT) | instid1(VALU_DEP_2)
	v_sub_f32_e32 v16, v16, v24
	v_sub_f32_e32 v20, v20, v22
	s_delay_alu instid0(VALU_DEP_2) | instskip(NEXT) | instid1(VALU_DEP_1)
	v_sub_f32_e32 v16, v16, v23
	v_add_f32_e32 v15, v15, v16
	s_delay_alu instid0(VALU_DEP_1) | instskip(NEXT) | instid1(VALU_DEP_1)
	v_dual_add_f32 v16, v19, v17 :: v_dual_add_f32 v15, v20, v15
	v_sub_f32_e32 v20, v16, v19
	s_delay_alu instid0(VALU_DEP_2) | instskip(NEXT) | instid1(VALU_DEP_2)
	v_add_f32_e32 v15, v24, v15
	v_sub_f32_e32 v17, v17, v20
	s_delay_alu instid0(VALU_DEP_2) | instskip(NEXT) | instid1(VALU_DEP_1)
	v_mul_f32_e32 v15, v19, v15
	v_add_f32_e32 v15, v17, v15
	s_delay_alu instid0(VALU_DEP_1) | instskip(NEXT) | instid1(VALU_DEP_1)
	v_add_f32_e32 v17, v16, v15
	v_ldexp_f32 v19, v17, -2
	s_delay_alu instid0(VALU_DEP_1) | instskip(NEXT) | instid1(VALU_DEP_1)
	v_dual_sub_f32 v16, v17, v16 :: v_dual_add_f32 v17, v18, v19
	v_dual_sub_f32 v15, v15, v16 :: v_dual_sub_f32 v16, v17, v18
	s_delay_alu instid0(VALU_DEP_1) | instskip(NEXT) | instid1(VALU_DEP_2)
	v_ldexp_f32 v15, v15, -2
	v_sub_f32_e32 v16, v19, v16
	s_delay_alu instid0(VALU_DEP_2) | instskip(NEXT) | instid1(VALU_DEP_1)
	v_add_f32_e32 v14, v14, v15
	v_add_f32_e32 v14, v14, v16
	s_delay_alu instid0(VALU_DEP_1) | instskip(NEXT) | instid1(VALU_DEP_1)
	v_add_f32_e32 v14, v17, v14
	v_cndmask_b32_e64 v13, 0x7f800000, v14, s3
	s_delay_alu instid0(VALU_DEP_1)
	v_cvt_f16_f32_e32 v13, v13
	global_store_b16 v[3:4], v13, off
	s_or_b32 exec_lo, exec_lo, s4
	s_and_saveexec_b32 s3, s2
	s_cbranch_execz .LBB90_14
.LBB90_18:                              ;   in Loop: Header=BB90_4 Depth=1
	s_waitcnt vmcnt(0)
	v_cvt_f32_f16_e64 v12, |v12|
	s_delay_alu instid0(VALU_DEP_1) | instskip(SKIP_1) | instid1(VALU_DEP_2)
	v_add_f32_e32 v13, 0xbf317218, v12
	v_cmp_nlt_f32_e64 s2, 0x42b2d4fc, v12
	v_sub_f32_e32 v14, v13, v12
	s_delay_alu instid0(VALU_DEP_1) | instskip(NEXT) | instid1(VALU_DEP_1)
	v_dual_sub_f32 v15, v14, v13 :: v_dual_add_f32 v14, 0x3f317218, v14
	v_add_f32_e32 v15, v15, v12
	s_delay_alu instid0(VALU_DEP_1) | instskip(NEXT) | instid1(VALU_DEP_1)
	v_sub_f32_e32 v14, v15, v14
	v_add_f32_e32 v14, 0x3102e308, v14
	s_delay_alu instid0(VALU_DEP_1) | instskip(NEXT) | instid1(VALU_DEP_1)
	v_add_f32_e32 v15, v13, v14
	v_sub_f32_e32 v13, v13, v15
	s_delay_alu instid0(VALU_DEP_1) | instskip(NEXT) | instid1(VALU_DEP_1)
	v_dual_mul_f32 v16, 0x3fb8aa3b, v15 :: v_dual_add_f32 v13, v14, v13
	v_rndne_f32_e32 v16, v16
	s_delay_alu instid0(VALU_DEP_1) | instskip(SKIP_1) | instid1(VALU_DEP_1)
	v_mul_f32_e32 v14, 0x35bfbc00, v16
	v_fmac_f32_e32 v15, 0xbf317200, v16
	v_add_f32_e32 v17, v13, v15
	s_delay_alu instid0(VALU_DEP_1) | instskip(NEXT) | instid1(VALU_DEP_1)
	v_dual_sub_f32 v18, v17, v14 :: v_dual_sub_f32 v15, v15, v17
	v_sub_f32_e32 v17, v17, v18
	s_delay_alu instid0(VALU_DEP_2) | instskip(NEXT) | instid1(VALU_DEP_2)
	v_add_f32_e32 v13, v13, v15
	v_sub_f32_e32 v14, v17, v14
	s_delay_alu instid0(VALU_DEP_1) | instskip(NEXT) | instid1(VALU_DEP_1)
	v_dual_add_f32 v13, v13, v14 :: v_dual_mul_f32 v14, 0x2ea39ef3, v16
	v_add_f32_e32 v15, v18, v13
	s_delay_alu instid0(VALU_DEP_1) | instskip(NEXT) | instid1(VALU_DEP_1)
	v_dual_sub_f32 v17, v15, v14 :: v_dual_sub_f32 v18, v18, v15
	v_sub_f32_e32 v15, v15, v17
	s_delay_alu instid0(VALU_DEP_2) | instskip(NEXT) | instid1(VALU_DEP_2)
	v_add_f32_e32 v13, v13, v18
	v_sub_f32_e32 v14, v15, v14
	s_delay_alu instid0(VALU_DEP_1) | instskip(NEXT) | instid1(VALU_DEP_1)
	v_add_f32_e32 v13, v13, v14
	v_add_f32_e32 v14, v17, v13
	s_delay_alu instid0(VALU_DEP_1) | instskip(SKIP_1) | instid1(VALU_DEP_2)
	v_sub_f32_e32 v15, v17, v14
	v_mul_f32_e32 v17, v14, v14
	v_add_f32_e32 v13, v13, v15
	v_fmaak_f32 v15, s19, v14, 0x3c091de6
	s_delay_alu instid0(VALU_DEP_3) | instskip(NEXT) | instid1(VALU_DEP_3)
	v_fma_f32 v18, v14, v14, -v17
	v_add_f32_e32 v19, v13, v13
	s_delay_alu instid0(VALU_DEP_3) | instskip(NEXT) | instid1(VALU_DEP_2)
	v_fmaak_f32 v15, v14, v15, 0x3d2aadcc
	v_fmac_f32_e32 v18, v14, v19
	s_delay_alu instid0(VALU_DEP_2) | instskip(NEXT) | instid1(VALU_DEP_2)
	v_fmaak_f32 v15, v14, v15, 0x3e2aaa47
	v_add_f32_e32 v19, v17, v18
	s_delay_alu instid0(VALU_DEP_2) | instskip(NEXT) | instid1(VALU_DEP_2)
	v_fmaak_f32 v15, v14, v15, 0x3efffffc
	v_sub_f32_e32 v17, v19, v17
	s_delay_alu instid0(VALU_DEP_1) | instskip(NEXT) | instid1(VALU_DEP_1)
	v_dual_mul_f32 v20, v15, v19 :: v_dual_sub_f32 v17, v18, v17
	v_fma_f32 v18, v19, v15, -v20
	s_delay_alu instid0(VALU_DEP_1) | instskip(NEXT) | instid1(VALU_DEP_1)
	v_fmac_f32_e32 v18, v17, v15
	v_add_f32_e32 v15, v20, v18
	s_delay_alu instid0(VALU_DEP_1) | instskip(SKIP_1) | instid1(VALU_DEP_2)
	v_sub_f32_e32 v19, v15, v20
	v_add_f32_e32 v17, v14, v15
	v_sub_f32_e32 v18, v18, v19
	s_delay_alu instid0(VALU_DEP_2) | instskip(NEXT) | instid1(VALU_DEP_2)
	v_sub_f32_e32 v14, v17, v14
	v_add_f32_e32 v13, v13, v18
	s_delay_alu instid0(VALU_DEP_2) | instskip(NEXT) | instid1(VALU_DEP_1)
	v_sub_f32_e32 v14, v15, v14
	v_add_f32_e32 v13, v13, v14
	s_delay_alu instid0(VALU_DEP_1) | instskip(NEXT) | instid1(VALU_DEP_1)
	v_add_f32_e32 v14, v17, v13
	v_add_f32_e32 v15, 1.0, v14
	s_delay_alu instid0(VALU_DEP_1) | instskip(NEXT) | instid1(VALU_DEP_1)
	v_dual_sub_f32 v17, v14, v17 :: v_dual_add_f32 v18, -1.0, v15
	v_dual_sub_f32 v13, v13, v17 :: v_dual_sub_f32 v14, v14, v18
	s_delay_alu instid0(VALU_DEP_1) | instskip(SKIP_1) | instid1(VALU_DEP_2)
	v_add_f32_e32 v13, v13, v14
	v_cvt_i32_f32_e32 v14, v16
	v_add_f32_e32 v16, v15, v13
	s_delay_alu instid0(VALU_DEP_1) | instskip(NEXT) | instid1(VALU_DEP_1)
	v_ldexp_f32 v17, v16, v14
	v_rcp_f32_e32 v18, v17
	v_sub_f32_e32 v15, v16, v15
	s_delay_alu instid0(VALU_DEP_1) | instskip(SKIP_3) | instid1(VALU_DEP_2)
	v_sub_f32_e32 v13, v13, v15
	s_waitcnt_depctr 0xfff
	v_mul_f32_e32 v15, v17, v18
	v_ldexp_f32 v13, v13, v14
	v_fma_f32 v14, v18, v17, -v15
	s_delay_alu instid0(VALU_DEP_1) | instskip(NEXT) | instid1(VALU_DEP_1)
	v_fmac_f32_e32 v14, v18, v13
	v_add_f32_e32 v16, v15, v14
	s_delay_alu instid0(VALU_DEP_1) | instskip(SKIP_1) | instid1(VALU_DEP_2)
	v_sub_f32_e32 v19, 1.0, v16
	v_sub_f32_e32 v15, v16, v15
	v_sub_f32_e32 v20, 1.0, v19
	s_delay_alu instid0(VALU_DEP_1) | instskip(NEXT) | instid1(VALU_DEP_1)
	v_dual_sub_f32 v14, v15, v14 :: v_dual_sub_f32 v15, v20, v16
	v_add_f32_e32 v14, v14, v15
	s_delay_alu instid0(VALU_DEP_1) | instskip(NEXT) | instid1(VALU_DEP_1)
	v_add_f32_e32 v15, v19, v14
	v_mul_f32_e32 v16, v18, v15
	s_delay_alu instid0(VALU_DEP_1) | instskip(NEXT) | instid1(VALU_DEP_1)
	v_dual_sub_f32 v19, v19, v15 :: v_dual_mul_f32 v20, v17, v16
	v_add_f32_e32 v14, v14, v19
	s_delay_alu instid0(VALU_DEP_2) | instskip(NEXT) | instid1(VALU_DEP_1)
	v_fma_f32 v21, v16, v17, -v20
	v_fmac_f32_e32 v21, v16, v13
	s_delay_alu instid0(VALU_DEP_1) | instskip(NEXT) | instid1(VALU_DEP_1)
	v_add_f32_e32 v22, v20, v21
	v_sub_f32_e32 v23, v15, v22
	v_sub_f32_e32 v19, v22, v20
	s_delay_alu instid0(VALU_DEP_2) | instskip(NEXT) | instid1(VALU_DEP_2)
	v_sub_f32_e32 v15, v15, v23
	v_sub_f32_e32 v19, v19, v21
	s_delay_alu instid0(VALU_DEP_2) | instskip(NEXT) | instid1(VALU_DEP_1)
	v_sub_f32_e32 v15, v15, v22
	v_add_f32_e32 v14, v14, v15
	s_delay_alu instid0(VALU_DEP_1) | instskip(NEXT) | instid1(VALU_DEP_1)
	v_dual_add_f32 v15, v18, v16 :: v_dual_add_f32 v14, v19, v14
	v_sub_f32_e32 v19, v15, v18
	s_delay_alu instid0(VALU_DEP_2) | instskip(NEXT) | instid1(VALU_DEP_2)
	v_add_f32_e32 v14, v23, v14
	v_sub_f32_e32 v16, v16, v19
	s_delay_alu instid0(VALU_DEP_2) | instskip(NEXT) | instid1(VALU_DEP_1)
	v_mul_f32_e32 v14, v18, v14
	v_add_f32_e32 v14, v16, v14
	s_delay_alu instid0(VALU_DEP_1) | instskip(NEXT) | instid1(VALU_DEP_1)
	v_add_f32_e32 v16, v15, v14
	v_ldexp_f32 v18, v16, -2
	s_delay_alu instid0(VALU_DEP_1) | instskip(NEXT) | instid1(VALU_DEP_1)
	v_dual_sub_f32 v15, v16, v15 :: v_dual_add_f32 v16, v17, v18
	v_dual_sub_f32 v14, v14, v15 :: v_dual_sub_f32 v15, v16, v17
	s_delay_alu instid0(VALU_DEP_1) | instskip(NEXT) | instid1(VALU_DEP_2)
	v_ldexp_f32 v14, v14, -2
	v_sub_f32_e32 v15, v18, v15
	s_delay_alu instid0(VALU_DEP_2) | instskip(NEXT) | instid1(VALU_DEP_1)
	v_add_f32_e32 v13, v13, v14
	v_add_f32_e32 v13, v13, v15
	s_delay_alu instid0(VALU_DEP_1) | instskip(NEXT) | instid1(VALU_DEP_1)
	v_add_f32_e32 v13, v16, v13
	v_cndmask_b32_e64 v12, 0x7f800000, v13, s2
	s_delay_alu instid0(VALU_DEP_1) | instskip(SKIP_1) | instid1(VALU_DEP_1)
	v_cvt_f16_f32_e32 v14, v12
	v_add_co_u32 v12, s2, v1, s16
	v_add_co_ci_u32_e64 v13, s2, 0, v2, s2
	global_store_b16 v[12:13], v14, off
	s_or_b32 exec_lo, exec_lo, s3
	s_and_saveexec_b32 s2, vcc_lo
	s_cbranch_execz .LBB90_3
.LBB90_19:                              ;   in Loop: Header=BB90_4 Depth=1
	s_waitcnt vmcnt(0)
	v_cvt_f32_f16_e64 v11, |v11|
	s_delay_alu instid0(VALU_DEP_1) | instskip(SKIP_1) | instid1(VALU_DEP_2)
	v_add_f32_e32 v12, 0xbf317218, v11
	v_cmp_nlt_f32_e32 vcc_lo, 0x42b2d4fc, v11
	v_sub_f32_e32 v13, v12, v11
	s_delay_alu instid0(VALU_DEP_1) | instskip(NEXT) | instid1(VALU_DEP_1)
	v_dual_sub_f32 v14, v13, v12 :: v_dual_add_f32 v13, 0x3f317218, v13
	v_add_f32_e32 v14, v14, v11
	s_delay_alu instid0(VALU_DEP_1) | instskip(NEXT) | instid1(VALU_DEP_1)
	v_sub_f32_e32 v13, v14, v13
	v_add_f32_e32 v13, 0x3102e308, v13
	s_delay_alu instid0(VALU_DEP_1) | instskip(NEXT) | instid1(VALU_DEP_1)
	v_add_f32_e32 v14, v12, v13
	v_sub_f32_e32 v12, v12, v14
	s_delay_alu instid0(VALU_DEP_1) | instskip(NEXT) | instid1(VALU_DEP_1)
	v_dual_mul_f32 v15, 0x3fb8aa3b, v14 :: v_dual_add_f32 v12, v13, v12
	v_rndne_f32_e32 v15, v15
	s_delay_alu instid0(VALU_DEP_1) | instskip(SKIP_1) | instid1(VALU_DEP_1)
	v_mul_f32_e32 v13, 0x35bfbc00, v15
	v_fmac_f32_e32 v14, 0xbf317200, v15
	v_add_f32_e32 v16, v12, v14
	s_delay_alu instid0(VALU_DEP_1) | instskip(NEXT) | instid1(VALU_DEP_1)
	v_dual_sub_f32 v17, v16, v13 :: v_dual_sub_f32 v14, v14, v16
	v_sub_f32_e32 v16, v16, v17
	s_delay_alu instid0(VALU_DEP_2) | instskip(NEXT) | instid1(VALU_DEP_2)
	v_add_f32_e32 v12, v12, v14
	v_sub_f32_e32 v13, v16, v13
	s_delay_alu instid0(VALU_DEP_1) | instskip(NEXT) | instid1(VALU_DEP_1)
	v_dual_add_f32 v12, v12, v13 :: v_dual_mul_f32 v13, 0x2ea39ef3, v15
	v_add_f32_e32 v14, v17, v12
	s_delay_alu instid0(VALU_DEP_1) | instskip(NEXT) | instid1(VALU_DEP_1)
	v_dual_sub_f32 v16, v14, v13 :: v_dual_sub_f32 v17, v17, v14
	v_sub_f32_e32 v14, v14, v16
	s_delay_alu instid0(VALU_DEP_2) | instskip(NEXT) | instid1(VALU_DEP_2)
	v_add_f32_e32 v12, v12, v17
	v_sub_f32_e32 v13, v14, v13
	s_delay_alu instid0(VALU_DEP_1) | instskip(NEXT) | instid1(VALU_DEP_1)
	v_add_f32_e32 v12, v12, v13
	v_add_f32_e32 v13, v16, v12
	s_delay_alu instid0(VALU_DEP_1) | instskip(SKIP_1) | instid1(VALU_DEP_2)
	v_sub_f32_e32 v14, v16, v13
	v_mul_f32_e32 v16, v13, v13
	v_add_f32_e32 v12, v12, v14
	v_fmaak_f32 v14, s19, v13, 0x3c091de6
	s_delay_alu instid0(VALU_DEP_3) | instskip(NEXT) | instid1(VALU_DEP_3)
	v_fma_f32 v17, v13, v13, -v16
	v_add_f32_e32 v18, v12, v12
	s_delay_alu instid0(VALU_DEP_3) | instskip(NEXT) | instid1(VALU_DEP_2)
	v_fmaak_f32 v14, v13, v14, 0x3d2aadcc
	v_fmac_f32_e32 v17, v13, v18
	s_delay_alu instid0(VALU_DEP_2) | instskip(NEXT) | instid1(VALU_DEP_2)
	v_fmaak_f32 v14, v13, v14, 0x3e2aaa47
	v_add_f32_e32 v18, v16, v17
	s_delay_alu instid0(VALU_DEP_2) | instskip(NEXT) | instid1(VALU_DEP_2)
	v_fmaak_f32 v14, v13, v14, 0x3efffffc
	v_sub_f32_e32 v16, v18, v16
	s_delay_alu instid0(VALU_DEP_1) | instskip(NEXT) | instid1(VALU_DEP_1)
	v_dual_mul_f32 v19, v14, v18 :: v_dual_sub_f32 v16, v17, v16
	v_fma_f32 v17, v18, v14, -v19
	s_delay_alu instid0(VALU_DEP_1) | instskip(NEXT) | instid1(VALU_DEP_1)
	v_fmac_f32_e32 v17, v16, v14
	v_add_f32_e32 v14, v19, v17
	s_delay_alu instid0(VALU_DEP_1) | instskip(SKIP_1) | instid1(VALU_DEP_2)
	v_sub_f32_e32 v18, v14, v19
	v_add_f32_e32 v16, v13, v14
	v_sub_f32_e32 v17, v17, v18
	s_delay_alu instid0(VALU_DEP_2) | instskip(NEXT) | instid1(VALU_DEP_2)
	v_sub_f32_e32 v13, v16, v13
	v_add_f32_e32 v12, v12, v17
	s_delay_alu instid0(VALU_DEP_2) | instskip(NEXT) | instid1(VALU_DEP_1)
	v_sub_f32_e32 v13, v14, v13
	v_add_f32_e32 v12, v12, v13
	s_delay_alu instid0(VALU_DEP_1) | instskip(NEXT) | instid1(VALU_DEP_1)
	v_add_f32_e32 v13, v16, v12
	v_add_f32_e32 v14, 1.0, v13
	s_delay_alu instid0(VALU_DEP_1) | instskip(NEXT) | instid1(VALU_DEP_1)
	v_dual_sub_f32 v16, v13, v16 :: v_dual_add_f32 v17, -1.0, v14
	v_dual_sub_f32 v12, v12, v16 :: v_dual_sub_f32 v13, v13, v17
	s_delay_alu instid0(VALU_DEP_1) | instskip(SKIP_1) | instid1(VALU_DEP_2)
	v_add_f32_e32 v12, v12, v13
	v_cvt_i32_f32_e32 v13, v15
	v_add_f32_e32 v15, v14, v12
	s_delay_alu instid0(VALU_DEP_1) | instskip(NEXT) | instid1(VALU_DEP_1)
	v_ldexp_f32 v16, v15, v13
	v_rcp_f32_e32 v17, v16
	v_sub_f32_e32 v14, v15, v14
	s_delay_alu instid0(VALU_DEP_1) | instskip(SKIP_3) | instid1(VALU_DEP_2)
	v_sub_f32_e32 v12, v12, v14
	s_waitcnt_depctr 0xfff
	v_mul_f32_e32 v14, v16, v17
	v_ldexp_f32 v12, v12, v13
	v_fma_f32 v13, v17, v16, -v14
	s_delay_alu instid0(VALU_DEP_1) | instskip(NEXT) | instid1(VALU_DEP_1)
	v_fmac_f32_e32 v13, v17, v12
	v_add_f32_e32 v15, v14, v13
	s_delay_alu instid0(VALU_DEP_1) | instskip(SKIP_1) | instid1(VALU_DEP_2)
	v_sub_f32_e32 v18, 1.0, v15
	v_sub_f32_e32 v14, v15, v14
	v_sub_f32_e32 v19, 1.0, v18
	s_delay_alu instid0(VALU_DEP_1) | instskip(NEXT) | instid1(VALU_DEP_1)
	v_dual_sub_f32 v13, v14, v13 :: v_dual_sub_f32 v14, v19, v15
	v_add_f32_e32 v13, v13, v14
	s_delay_alu instid0(VALU_DEP_1) | instskip(NEXT) | instid1(VALU_DEP_1)
	v_add_f32_e32 v14, v18, v13
	v_mul_f32_e32 v15, v17, v14
	s_delay_alu instid0(VALU_DEP_1) | instskip(NEXT) | instid1(VALU_DEP_1)
	v_dual_sub_f32 v18, v18, v14 :: v_dual_mul_f32 v19, v16, v15
	v_add_f32_e32 v13, v13, v18
	s_delay_alu instid0(VALU_DEP_2) | instskip(NEXT) | instid1(VALU_DEP_1)
	v_fma_f32 v20, v15, v16, -v19
	v_fmac_f32_e32 v20, v15, v12
	s_delay_alu instid0(VALU_DEP_1) | instskip(NEXT) | instid1(VALU_DEP_1)
	v_add_f32_e32 v21, v19, v20
	v_sub_f32_e32 v22, v14, v21
	v_sub_f32_e32 v18, v21, v19
	s_delay_alu instid0(VALU_DEP_2) | instskip(NEXT) | instid1(VALU_DEP_2)
	v_sub_f32_e32 v14, v14, v22
	v_sub_f32_e32 v18, v18, v20
	s_delay_alu instid0(VALU_DEP_2) | instskip(NEXT) | instid1(VALU_DEP_1)
	v_sub_f32_e32 v14, v14, v21
	v_add_f32_e32 v13, v13, v14
	s_delay_alu instid0(VALU_DEP_1) | instskip(NEXT) | instid1(VALU_DEP_1)
	v_dual_add_f32 v14, v17, v15 :: v_dual_add_f32 v13, v18, v13
	v_sub_f32_e32 v18, v14, v17
	s_delay_alu instid0(VALU_DEP_2) | instskip(NEXT) | instid1(VALU_DEP_2)
	v_add_f32_e32 v13, v22, v13
	v_sub_f32_e32 v15, v15, v18
	s_delay_alu instid0(VALU_DEP_2) | instskip(NEXT) | instid1(VALU_DEP_1)
	v_mul_f32_e32 v13, v17, v13
	v_add_f32_e32 v13, v15, v13
	s_delay_alu instid0(VALU_DEP_1) | instskip(NEXT) | instid1(VALU_DEP_1)
	v_add_f32_e32 v15, v14, v13
	v_ldexp_f32 v17, v15, -2
	s_delay_alu instid0(VALU_DEP_1) | instskip(NEXT) | instid1(VALU_DEP_1)
	v_dual_sub_f32 v14, v15, v14 :: v_dual_add_f32 v15, v16, v17
	v_dual_sub_f32 v13, v13, v14 :: v_dual_sub_f32 v14, v15, v16
	s_delay_alu instid0(VALU_DEP_1) | instskip(NEXT) | instid1(VALU_DEP_2)
	v_ldexp_f32 v13, v13, -2
	v_sub_f32_e32 v14, v17, v14
	s_delay_alu instid0(VALU_DEP_2) | instskip(NEXT) | instid1(VALU_DEP_1)
	v_add_f32_e32 v12, v12, v13
	v_add_f32_e32 v12, v12, v14
	s_delay_alu instid0(VALU_DEP_1) | instskip(NEXT) | instid1(VALU_DEP_1)
	v_add_f32_e32 v12, v15, v12
	v_cndmask_b32_e32 v11, 0x7f800000, v12, vcc_lo
	s_delay_alu instid0(VALU_DEP_1)
	v_cvt_f16_f32_e32 v13, v11
	v_add_co_u32 v11, vcc_lo, v1, s18
	v_add_co_ci_u32_e32 v12, vcc_lo, 0, v2, vcc_lo
	global_store_b16 v[11:12], v13, off
	s_branch .LBB90_3
.LBB90_20:
	s_cbranch_execz .LBB90_22
	s_branch .LBB90_25
.LBB90_21:
.LBB90_22:
	v_dual_mov_b32 v2, 0 :: v_dual_lshlrev_b32 v1, 2, v0
	s_mov_b32 s2, 0
	s_mov_b32 s3, exec_lo
	s_delay_alu instid0(VALU_DEP_1)
	v_cmpx_gt_i64_e64 s[6:7], v[1:2]
	s_cbranch_execz .LBB90_25
; %bb.23:
	s_load_b32 s0, s[0:1], 0xd3c
	v_lshlrev_b32_e32 v1, 3, v0
	s_mov_b32 s5, 0x3ab42872
	s_waitcnt lgkmcnt(0)
	s_and_b32 s0, s0, 0xffff
	s_delay_alu instid0(SALU_CYCLE_1) | instskip(SKIP_3) | instid1(VALU_DEP_1)
	s_lshl_b32 s3, s0, 2
	s_add_u32 s1, s8, s10
	s_addc_u32 s4, s9, s11
	v_add_co_u32 v3, s1, s1, v1
	v_add_co_ci_u32_e64 v4, null, s4, 0, s1
	v_add_lshl_u32 v1, v0, s0, 2
	s_delay_alu instid0(VALU_DEP_3) | instskip(NEXT) | instid1(VALU_DEP_3)
	v_add_co_u32 v3, vcc_lo, v3, 4
	v_add_co_ci_u32_e32 v4, vcc_lo, 0, v4, vcc_lo
	s_lshl_b32 s4, s0, 3
.LBB90_24:                              ; =>This Inner Loop Header: Depth=1
	global_load_b64 v[6:7], v[3:4], off offset:-4
	v_cmp_lt_u64_e64 s0, 0xffff, v[1:2]
	s_waitcnt vmcnt(0)
	v_cvt_f32_f16_e64 v0, |v6|
	v_lshrrev_b32_e32 v5, 16, v6
	v_cvt_f32_f16_e64 v6, |v7|
	v_lshrrev_b32_e32 v7, 16, v7
	s_delay_alu instid0(VALU_DEP_4) | instskip(NEXT) | instid1(VALU_DEP_4)
	v_add_f32_e32 v8, 0xbf317218, v0
	v_cvt_f32_f16_e64 v5, |v5|
	s_delay_alu instid0(VALU_DEP_4) | instskip(NEXT) | instid1(VALU_DEP_4)
	v_add_f32_e32 v9, 0xbf317218, v6
	v_cvt_f32_f16_e64 v7, |v7|
	v_cmp_nlt_f32_e32 vcc_lo, 0x42b2d4fc, v0
	s_delay_alu instid0(VALU_DEP_4) | instskip(NEXT) | instid1(VALU_DEP_3)
	v_dual_sub_f32 v10, v8, v0 :: v_dual_add_f32 v11, 0xbf317218, v5
	v_dual_sub_f32 v12, v9, v6 :: v_dual_add_f32 v13, 0xbf317218, v7
	s_delay_alu instid0(VALU_DEP_2) | instskip(NEXT) | instid1(VALU_DEP_2)
	v_dual_sub_f32 v14, v10, v8 :: v_dual_sub_f32 v15, v11, v5
	v_dual_add_f32 v10, 0x3f317218, v10 :: v_dual_sub_f32 v17, v13, v7
	s_delay_alu instid0(VALU_DEP_3) | instskip(SKIP_1) | instid1(VALU_DEP_4)
	v_sub_f32_e32 v16, v12, v9
	v_add_f32_e32 v12, 0x3f317218, v12
	v_sub_f32_e32 v18, v15, v11
	v_dual_add_f32 v15, 0x3f317218, v15 :: v_dual_add_f32 v14, v14, v0
	s_delay_alu instid0(VALU_DEP_4) | instskip(NEXT) | instid1(VALU_DEP_2)
	v_dual_add_f32 v16, v16, v6 :: v_dual_sub_f32 v19, v17, v13
	v_sub_f32_e32 v10, v14, v10
	v_add_f32_e32 v14, 0x3f317218, v17
	s_delay_alu instid0(VALU_DEP_3) | instskip(NEXT) | instid1(VALU_DEP_4)
	v_dual_add_f32 v17, v18, v5 :: v_dual_sub_f32 v12, v16, v12
	v_add_f32_e32 v16, v19, v7
	s_delay_alu instid0(VALU_DEP_2) | instskip(NEXT) | instid1(VALU_DEP_1)
	v_sub_f32_e32 v15, v17, v15
	v_add_f32_e32 v15, 0x3102e308, v15
	s_delay_alu instid0(VALU_DEP_1) | instskip(NEXT) | instid1(VALU_DEP_1)
	v_dual_add_f32 v19, v11, v15 :: v_dual_add_f32 v10, 0x3102e308, v10
	v_dual_sub_f32 v11, v11, v19 :: v_dual_sub_f32 v14, v16, v14
	s_delay_alu instid0(VALU_DEP_1) | instskip(NEXT) | instid1(VALU_DEP_1)
	v_dual_add_f32 v11, v15, v11 :: v_dual_add_f32 v14, 0x3102e308, v14
	v_dual_add_f32 v21, v13, v14 :: v_dual_add_f32 v12, 0x3102e308, v12
	s_delay_alu instid0(VALU_DEP_1) | instskip(NEXT) | instid1(VALU_DEP_2)
	v_sub_f32_e32 v13, v13, v21
	v_add_f32_e32 v17, v9, v12
	s_delay_alu instid0(VALU_DEP_1) | instskip(SKIP_1) | instid1(VALU_DEP_2)
	v_sub_f32_e32 v9, v9, v17
	v_mul_f32_e32 v20, 0x3fb8aa3b, v17
	v_add_f32_e32 v9, v12, v9
	s_delay_alu instid0(VALU_DEP_2) | instskip(SKIP_1) | instid1(VALU_DEP_2)
	v_rndne_f32_e32 v12, v20
	v_dual_add_f32 v16, v8, v10 :: v_dual_add_f32 v13, v14, v13
	v_fmac_f32_e32 v17, 0xbf317200, v12
	s_delay_alu instid0(VALU_DEP_2) | instskip(NEXT) | instid1(VALU_DEP_2)
	v_sub_f32_e32 v8, v8, v16
	v_dual_mul_f32 v18, 0x3fb8aa3b, v16 :: v_dual_add_f32 v27, v9, v17
	s_delay_alu instid0(VALU_DEP_2) | instskip(NEXT) | instid1(VALU_DEP_2)
	v_add_f32_e32 v8, v10, v8
	v_rndne_f32_e32 v10, v18
	v_mul_f32_e32 v18, 0x3fb8aa3b, v19
	s_delay_alu instid0(VALU_DEP_2) | instskip(NEXT) | instid1(VALU_DEP_2)
	v_dual_sub_f32 v17, v17, v27 :: v_dual_fmac_f32 v16, 0xbf317200, v10
	v_rndne_f32_e32 v15, v18
	s_delay_alu instid0(VALU_DEP_2) | instskip(SKIP_2) | instid1(VALU_DEP_4)
	v_dual_mul_f32 v22, 0x35bfbc00, v10 :: v_dual_add_f32 v9, v9, v17
	v_mul_f32_e32 v23, 0x2ea39ef3, v10
	v_cvt_i32_f32_e32 v10, v10
	v_dual_mul_f32 v25, 0x35bfbc00, v15 :: v_dual_mul_f32 v18, 0x35bfbc00, v12
	v_mul_f32_e32 v20, 0x3fb8aa3b, v21
	v_fmac_f32_e32 v19, 0xbf317200, v15
	s_delay_alu instid0(VALU_DEP_3) | instskip(NEXT) | instid1(VALU_DEP_3)
	v_sub_f32_e32 v31, v27, v18
	v_rndne_f32_e32 v14, v20
	s_delay_alu instid0(VALU_DEP_2) | instskip(NEXT) | instid1(VALU_DEP_2)
	v_dual_add_f32 v20, v8, v16 :: v_dual_sub_f32 v17, v27, v31
	v_fmac_f32_e32 v21, 0xbf317200, v14
	v_mul_f32_e32 v28, 0x35bfbc00, v14
	s_delay_alu instid0(VALU_DEP_3) | instskip(NEXT) | instid1(VALU_DEP_4)
	v_sub_f32_e32 v29, v20, v22
	v_sub_f32_e32 v17, v17, v18
	s_delay_alu instid0(VALU_DEP_4) | instskip(NEXT) | instid1(VALU_DEP_2)
	v_add_f32_e32 v32, v13, v21
	v_dual_add_f32 v30, v11, v19 :: v_dual_add_f32 v9, v9, v17
	s_delay_alu instid0(VALU_DEP_2) | instskip(NEXT) | instid1(VALU_DEP_2)
	v_sub_f32_e32 v27, v32, v28
	v_dual_mul_f32 v24, 0x2ea39ef3, v12 :: v_dual_sub_f32 v19, v19, v30
	v_sub_f32_e32 v16, v16, v20
	v_cvt_i32_f32_e32 v12, v12
	s_delay_alu instid0(VALU_DEP_2) | instskip(SKIP_2) | instid1(VALU_DEP_1)
	v_dual_add_f32 v11, v11, v19 :: v_dual_add_f32 v8, v8, v16
	v_sub_f32_e32 v16, v20, v29
	v_sub_f32_e32 v20, v30, v25
	v_dual_sub_f32 v19, v30, v20 :: v_dual_sub_f32 v18, v32, v27
	v_dual_mul_f32 v26, 0x2ea39ef3, v15 :: v_dual_sub_f32 v21, v21, v32
	v_cvt_i32_f32_e32 v15, v15
	s_delay_alu instid0(VALU_DEP_3) | instskip(NEXT) | instid1(VALU_DEP_1)
	v_dual_sub_f32 v17, v18, v28 :: v_dual_sub_f32 v16, v16, v22
	v_dual_add_f32 v13, v13, v21 :: v_dual_add_f32 v8, v8, v16
	s_delay_alu instid0(VALU_DEP_1) | instskip(NEXT) | instid1(VALU_DEP_2)
	v_add_f32_e32 v13, v13, v17
	v_add_f32_e32 v18, v29, v8
	v_dual_sub_f32 v16, v19, v25 :: v_dual_mul_f32 v19, 0x2ea39ef3, v14
	v_cvt_i32_f32_e32 v14, v14
	s_delay_alu instid0(VALU_DEP_3) | instskip(NEXT) | instid1(VALU_DEP_3)
	v_sub_f32_e32 v17, v29, v18
	v_add_f32_e32 v11, v11, v16
	v_add_f32_e32 v29, v27, v13
	v_dual_add_f32 v16, v31, v9 :: v_dual_sub_f32 v21, v18, v23
	s_delay_alu instid0(VALU_DEP_4) | instskip(NEXT) | instid1(VALU_DEP_2)
	v_add_f32_e32 v8, v8, v17
	v_dual_add_f32 v22, v20, v11 :: v_dual_sub_f32 v25, v31, v16
	s_delay_alu instid0(VALU_DEP_3) | instskip(NEXT) | instid1(VALU_DEP_2)
	v_dual_sub_f32 v28, v16, v24 :: v_dual_sub_f32 v17, v18, v21
	v_sub_f32_e32 v18, v20, v22
	s_delay_alu instid0(VALU_DEP_3) | instskip(NEXT) | instid1(VALU_DEP_3)
	v_dual_sub_f32 v20, v22, v26 :: v_dual_add_f32 v9, v9, v25
	v_dual_sub_f32 v25, v27, v29 :: v_dual_sub_f32 v16, v16, v28
	v_sub_f32_e32 v27, v29, v19
	v_sub_f32_e32 v17, v17, v23
	s_delay_alu instid0(VALU_DEP_4) | instskip(NEXT) | instid1(VALU_DEP_4)
	v_dual_add_f32 v11, v11, v18 :: v_dual_sub_f32 v18, v22, v20
	v_sub_f32_e32 v16, v16, v24
	s_delay_alu instid0(VALU_DEP_4) | instskip(NEXT) | instid1(VALU_DEP_3)
	v_sub_f32_e32 v22, v29, v27
	v_dual_add_f32 v8, v8, v17 :: v_dual_sub_f32 v17, v18, v26
	s_delay_alu instid0(VALU_DEP_3) | instskip(NEXT) | instid1(VALU_DEP_3)
	v_add_f32_e32 v9, v9, v16
	v_dual_add_f32 v13, v13, v25 :: v_dual_sub_f32 v16, v22, v19
	s_delay_alu instid0(VALU_DEP_3) | instskip(NEXT) | instid1(VALU_DEP_3)
	v_dual_add_f32 v18, v21, v8 :: v_dual_add_f32 v11, v11, v17
	v_add_f32_e32 v17, v28, v9
	s_delay_alu instid0(VALU_DEP_2) | instskip(NEXT) | instid1(VALU_DEP_3)
	v_dual_add_f32 v13, v13, v16 :: v_dual_fmaak_f32 v16, s5, v18, 0x3c091de6
	v_dual_add_f32 v22, v20, v11 :: v_dual_sub_f32 v19, v21, v18
	s_delay_alu instid0(VALU_DEP_3) | instskip(NEXT) | instid1(VALU_DEP_3)
	v_dual_sub_f32 v24, v28, v17 :: v_dual_mul_f32 v21, v18, v18
	v_add_f32_e32 v26, v27, v13
	s_delay_alu instid0(VALU_DEP_3) | instskip(SKIP_1) | instid1(VALU_DEP_4)
	v_dual_fmaak_f32 v23, s5, v17, 0x3c091de6 :: v_dual_add_f32 v8, v8, v19
	v_dual_mul_f32 v25, v17, v17 :: v_dual_fmaak_f32 v16, v18, v16, 0x3d2aadcc
	v_dual_fmaak_f32 v28, s5, v22, 0x3c091de6 :: v_dual_add_f32 v9, v9, v24
	s_delay_alu instid0(VALU_DEP_3) | instskip(SKIP_1) | instid1(VALU_DEP_4)
	v_dual_sub_f32 v20, v20, v22 :: v_dual_fmaak_f32 v23, v17, v23, 0x3d2aadcc
	v_fmaak_f32 v30, s5, v26, 0x3c091de6
	v_dual_sub_f32 v27, v27, v26 :: v_dual_fmaak_f32 v16, v18, v16, 0x3e2aaa47
	v_fma_f32 v19, v18, v18, -v21
	v_dual_mul_f32 v29, v22, v22 :: v_dual_add_f32 v32, v8, v8
	v_fma_f32 v24, v17, v17, -v25
	v_dual_fmaak_f32 v28, v22, v28, 0x3d2aadcc :: v_dual_add_f32 v33, v9, v9
	v_add_f32_e32 v11, v11, v20
	v_mul_f32_e32 v31, v26, v26
	v_dual_fmaak_f32 v30, v26, v30, 0x3d2aadcc :: v_dual_add_f32 v13, v13, v27
	v_fma_f32 v20, v22, v22, -v29
	v_dual_fmac_f32 v19, v18, v32 :: v_dual_fmac_f32 v24, v17, v33
	v_add_f32_e32 v32, v11, v11
	v_fma_f32 v27, v26, v26, -v31
	v_dual_fmaak_f32 v30, v26, v30, 0x3e2aaa47 :: v_dual_add_f32 v33, v13, v13
	v_dual_fmaak_f32 v23, v17, v23, 0x3e2aaa47 :: v_dual_fmaak_f32 v28, v22, v28, 0x3e2aaa47
	v_fmaak_f32 v16, v18, v16, 0x3efffffc
	s_delay_alu instid0(VALU_DEP_3) | instskip(SKIP_3) | instid1(VALU_DEP_4)
	v_dual_add_f32 v34, v21, v19 :: v_dual_fmac_f32 v27, v26, v33
	v_fmac_f32_e32 v20, v22, v32
	v_add_f32_e32 v32, v25, v24
	v_fmaak_f32 v23, v17, v23, 0x3efffffc
	v_sub_f32_e32 v21, v34, v21
	v_dual_fmaak_f32 v28, v22, v28, 0x3efffffc :: v_dual_mul_f32 v33, v16, v34
	s_delay_alu instid0(VALU_DEP_4)
	v_dual_sub_f32 v25, v32, v25 :: v_dual_fmaak_f32 v30, v26, v30, 0x3efffffc
	v_add_f32_e32 v35, v29, v20
	v_add_f32_e32 v37, v31, v27
	v_sub_f32_e32 v19, v19, v21
	v_fma_f32 v21, v34, v16, -v33
	v_sub_f32_e32 v24, v24, v25
	v_mul_f32_e32 v34, v28, v35
	v_dual_mul_f32 v36, v23, v32 :: v_dual_sub_f32 v31, v37, v31
	v_sub_f32_e32 v29, v35, v29
	v_fmac_f32_e32 v21, v19, v16
	s_delay_alu instid0(VALU_DEP_4) | instskip(NEXT) | instid1(VALU_DEP_4)
	v_fma_f32 v19, v35, v28, -v34
	v_fma_f32 v25, v32, v23, -v36
	s_delay_alu instid0(VALU_DEP_1) | instskip(NEXT) | instid1(VALU_DEP_4)
	v_dual_mul_f32 v32, v30, v37 :: v_dual_fmac_f32 v25, v24, v23
	v_add_f32_e32 v24, v33, v21
	v_sub_f32_e32 v16, v20, v29
	v_sub_f32_e32 v20, v27, v31
	s_delay_alu instid0(VALU_DEP_4) | instskip(NEXT) | instid1(VALU_DEP_4)
	v_fma_f32 v23, v37, v30, -v32
	v_add_f32_e32 v27, v18, v24
	s_delay_alu instid0(VALU_DEP_1) | instskip(NEXT) | instid1(VALU_DEP_1)
	v_dual_fmac_f32 v19, v16, v28 :: v_dual_sub_f32 v18, v27, v18
	v_add_f32_e32 v28, v34, v19
	v_add_f32_e32 v16, v36, v25
	v_fmac_f32_e32 v23, v20, v30
	v_sub_f32_e32 v20, v24, v33
	s_delay_alu instid0(VALU_DEP_4) | instskip(NEXT) | instid1(VALU_DEP_4)
	v_dual_sub_f32 v18, v24, v18 :: v_dual_add_f32 v33, v22, v28
	v_sub_f32_e32 v29, v16, v36
	s_delay_alu instid0(VALU_DEP_4) | instskip(NEXT) | instid1(VALU_DEP_2)
	v_dual_add_f32 v30, v17, v16 :: v_dual_add_f32 v31, v32, v23
	v_sub_f32_e32 v25, v25, v29
	s_delay_alu instid0(VALU_DEP_2) | instskip(SKIP_2) | instid1(VALU_DEP_2)
	v_sub_f32_e32 v29, v31, v32
	v_dual_sub_f32 v20, v21, v20 :: v_dual_sub_f32 v21, v28, v34
	v_add_f32_e32 v32, v26, v31
	v_dual_sub_f32 v17, v30, v17 :: v_dual_add_f32 v8, v8, v20
	s_delay_alu instid0(VALU_DEP_3) | instskip(NEXT) | instid1(VALU_DEP_2)
	v_dual_sub_f32 v19, v19, v21 :: v_dual_sub_f32 v20, v33, v22
	v_sub_f32_e32 v16, v16, v17
	s_delay_alu instid0(VALU_DEP_3) | instskip(NEXT) | instid1(VALU_DEP_3)
	v_dual_add_f32 v9, v9, v25 :: v_dual_add_f32 v8, v8, v18
	v_dual_sub_f32 v17, v23, v29 :: v_dual_sub_f32 v18, v28, v20
	s_delay_alu instid0(VALU_DEP_4) | instskip(NEXT) | instid1(VALU_DEP_3)
	v_add_f32_e32 v11, v11, v19
	v_add_f32_e32 v9, v9, v16
	v_sub_f32_e32 v21, v32, v26
	s_delay_alu instid0(VALU_DEP_2) | instskip(NEXT) | instid1(VALU_DEP_2)
	v_dual_add_f32 v11, v11, v18 :: v_dual_add_f32 v18, v30, v9
	v_sub_f32_e32 v16, v31, v21
	v_add_f32_e32 v13, v13, v17
	s_delay_alu instid0(VALU_DEP_3) | instskip(NEXT) | instid1(VALU_DEP_4)
	v_dual_add_f32 v17, v27, v8 :: v_dual_add_f32 v20, v33, v11
	v_add_f32_e32 v22, 1.0, v18
	v_sub_f32_e32 v21, v18, v30
	s_delay_alu instid0(VALU_DEP_3) | instskip(SKIP_3) | instid1(VALU_DEP_2)
	v_add_f32_e32 v19, 1.0, v17
	v_add_f32_e32 v13, v13, v16
	v_sub_f32_e32 v16, v17, v27
	v_sub_f32_e32 v24, v20, v33
	;; [unrolled: 1-line block ×3, first 2 shown]
	s_delay_alu instid0(VALU_DEP_4) | instskip(NEXT) | instid1(VALU_DEP_1)
	v_dual_add_f32 v16, -1.0, v19 :: v_dual_add_f32 v23, v32, v13
	v_sub_f32_e32 v16, v17, v16
	s_delay_alu instid0(VALU_DEP_2) | instskip(NEXT) | instid1(VALU_DEP_2)
	v_dual_sub_f32 v9, v9, v21 :: v_dual_sub_f32 v26, v23, v32
	v_dual_add_f32 v21, -1.0, v22 :: v_dual_add_f32 v8, v8, v16
	v_add_f32_e32 v25, 1.0, v20
	s_delay_alu instid0(VALU_DEP_2) | instskip(NEXT) | instid1(VALU_DEP_2)
	v_dual_sub_f32 v13, v13, v26 :: v_dual_sub_f32 v18, v18, v21
	v_add_f32_e32 v17, -1.0, v25
	s_delay_alu instid0(VALU_DEP_2) | instskip(SKIP_2) | instid1(VALU_DEP_4)
	v_add_f32_e32 v9, v9, v18
	v_sub_f32_e32 v11, v11, v24
	v_dual_add_f32 v18, v19, v8 :: v_dual_add_f32 v27, 1.0, v23
	v_sub_f32_e32 v16, v20, v17
	s_delay_alu instid0(VALU_DEP_1) | instskip(NEXT) | instid1(VALU_DEP_1)
	v_dual_add_f32 v11, v11, v16 :: v_dual_add_f32 v16, v22, v9
	v_dual_add_f32 v21, -1.0, v27 :: v_dual_sub_f32 v20, v16, v22
	s_delay_alu instid0(VALU_DEP_1) | instskip(SKIP_1) | instid1(VALU_DEP_2)
	v_sub_f32_e32 v17, v23, v21
	v_ldexp_f32 v16, v16, v12
	v_add_f32_e32 v13, v13, v17
	s_delay_alu instid0(VALU_DEP_2) | instskip(SKIP_3) | instid1(VALU_DEP_2)
	v_rcp_f32_e32 v23, v16
	v_sub_f32_e32 v17, v18, v19
	v_add_f32_e32 v19, v25, v11
	v_ldexp_f32 v18, v18, v10
	v_dual_sub_f32 v22, v19, v25 :: v_dual_sub_f32 v9, v9, v20
	s_delay_alu instid0(VALU_DEP_1) | instskip(SKIP_2) | instid1(VALU_DEP_1)
	v_ldexp_f32 v9, v9, v12
	s_waitcnt_depctr 0xfff
	v_dual_mul_f32 v12, v16, v23 :: v_dual_sub_f32 v11, v11, v22
	v_fma_f32 v22, v23, v16, -v12
	s_delay_alu instid0(VALU_DEP_2) | instskip(NEXT) | instid1(VALU_DEP_2)
	v_ldexp_f32 v11, v11, v15
	v_fmac_f32_e32 v22, v23, v9
	v_sub_f32_e32 v8, v8, v17
	v_rcp_f32_e32 v17, v18
	s_delay_alu instid0(VALU_DEP_1) | instskip(SKIP_1) | instid1(VALU_DEP_1)
	v_ldexp_f32 v8, v8, v10
	v_add_f32_e32 v21, v27, v13
	v_ldexp_f32 v24, v21, v14
	s_waitcnt_depctr 0xfff
	v_dual_sub_f32 v20, v21, v27 :: v_dual_mul_f32 v25, v18, v17
	v_rcp_f32_e32 v10, v24
	s_waitcnt_depctr 0xfff
	v_dual_mul_f32 v26, v24, v10 :: v_dual_sub_f32 v13, v13, v20
	v_fma_f32 v20, v17, v18, -v25
	s_delay_alu instid0(VALU_DEP_2) | instskip(NEXT) | instid1(VALU_DEP_2)
	v_fma_f32 v27, v10, v24, -v26
	v_dual_fmac_f32 v20, v17, v8 :: v_dual_add_f32 v29, v12, v22
	s_delay_alu instid0(VALU_DEP_1) | instskip(NEXT) | instid1(VALU_DEP_2)
	v_add_f32_e32 v28, v25, v20
	v_sub_f32_e32 v12, v29, v12
	s_delay_alu instid0(VALU_DEP_2) | instskip(SKIP_1) | instid1(VALU_DEP_3)
	v_sub_f32_e32 v30, 1.0, v28
	v_ldexp_f32 v19, v19, v15
	v_sub_f32_e32 v12, v12, v22
	s_delay_alu instid0(VALU_DEP_3) | instskip(NEXT) | instid1(VALU_DEP_3)
	v_sub_f32_e32 v34, 1.0, v30
	v_rcp_f32_e32 v21, v19
	v_ldexp_f32 v13, v13, v14
	s_delay_alu instid0(VALU_DEP_1) | instskip(SKIP_3) | instid1(VALU_DEP_2)
	v_fmac_f32_e32 v27, v10, v13
	s_waitcnt_depctr 0xfff
	v_mul_f32_e32 v15, v19, v21
	v_add_f32_e32 v33, v26, v27
	v_fma_f32 v14, v21, v19, -v15
	s_delay_alu instid0(VALU_DEP_2) | instskip(SKIP_1) | instid1(VALU_DEP_3)
	v_sub_f32_e32 v22, 1.0, v33
	v_sub_f32_e32 v26, v33, v26
	v_dual_fmac_f32 v14, v21, v11 :: v_dual_sub_f32 v25, v28, v25
	v_sub_f32_e32 v28, v34, v28
	s_delay_alu instid0(VALU_DEP_2) | instskip(NEXT) | instid1(VALU_DEP_3)
	v_dual_sub_f32 v26, v26, v27 :: v_dual_add_f32 v31, v15, v14
	v_sub_f32_e32 v20, v25, v20
	s_delay_alu instid0(VALU_DEP_2) | instskip(NEXT) | instid1(VALU_DEP_2)
	v_dual_sub_f32 v32, 1.0, v29 :: v_dual_sub_f32 v25, 1.0, v31
	v_dual_sub_f32 v15, v31, v15 :: v_dual_add_f32 v20, v20, v28
	s_delay_alu instid0(VALU_DEP_2) | instskip(NEXT) | instid1(VALU_DEP_2)
	v_dual_sub_f32 v35, 1.0, v32 :: v_dual_sub_f32 v34, 1.0, v25
	v_sub_f32_e32 v14, v15, v14
	s_delay_alu instid0(VALU_DEP_2) | instskip(SKIP_1) | instid1(VALU_DEP_4)
	v_dual_add_f32 v28, v30, v20 :: v_dual_sub_f32 v15, v35, v29
	v_sub_f32_e32 v29, 1.0, v22
	v_sub_f32_e32 v27, v34, v31
	s_delay_alu instid0(VALU_DEP_2) | instskip(NEXT) | instid1(VALU_DEP_1)
	v_dual_add_f32 v12, v12, v15 :: v_dual_sub_f32 v15, v29, v33
	v_dual_add_f32 v15, v26, v15 :: v_dual_mul_f32 v26, v17, v28
	s_delay_alu instid0(VALU_DEP_2) | instskip(SKIP_1) | instid1(VALU_DEP_3)
	v_dual_add_f32 v14, v14, v27 :: v_dual_add_f32 v27, v32, v12
	v_sub_f32_e32 v29, v30, v28
	v_mul_f32_e32 v34, v18, v26
	s_delay_alu instid0(VALU_DEP_3) | instskip(NEXT) | instid1(VALU_DEP_4)
	v_add_f32_e32 v30, v25, v14
	v_sub_f32_e32 v32, v32, v27
	s_delay_alu instid0(VALU_DEP_4) | instskip(SKIP_1) | instid1(VALU_DEP_3)
	v_dual_add_f32 v33, v22, v15 :: v_dual_add_f32 v20, v20, v29
	v_mul_f32_e32 v31, v23, v27
	v_dual_mul_f32 v35, v21, v30 :: v_dual_add_f32 v12, v12, v32
	s_delay_alu instid0(VALU_DEP_3) | instskip(NEXT) | instid1(VALU_DEP_3)
	v_mul_f32_e32 v37, v10, v33
	v_dual_add_f32 v29, v17, v26 :: v_dual_mul_f32 v36, v16, v31
	v_fma_f32 v38, v26, v18, -v34
	s_delay_alu instid0(VALU_DEP_3) | instskip(SKIP_1) | instid1(VALU_DEP_4)
	v_dual_mul_f32 v40, v19, v35 :: v_dual_mul_f32 v43, v24, v37
	v_dual_sub_f32 v25, v25, v30 :: v_dual_add_f32 v32, v23, v31
	v_sub_f32_e32 v39, v29, v17
	v_fma_f32 v41, v31, v16, -v36
	v_fmac_f32_e32 v38, v26, v8
	v_fma_f32 v45, v37, v24, -v43
	v_sub_f32_e32 v42, v32, v23
	v_sub_f32_e32 v22, v22, v33
	v_dual_sub_f32 v26, v26, v39 :: v_dual_fmac_f32 v41, v31, v9
	s_delay_alu instid0(VALU_DEP_4) | instskip(SKIP_1) | instid1(VALU_DEP_4)
	v_dual_add_f32 v46, v34, v38 :: v_dual_fmac_f32 v45, v37, v13
	v_dual_add_f32 v14, v14, v25 :: v_dual_add_f32 v25, v21, v35
	v_dual_add_f32 v15, v15, v22 :: v_dual_add_f32 v22, v10, v37
	v_sub_f32_e32 v31, v31, v42
	v_fma_f32 v39, v35, v19, -v40
	v_add_f32_e32 v50, v43, v45
	v_add_f32_e32 v42, v36, v41
	v_dual_sub_f32 v44, v25, v21 :: v_dual_sub_f32 v47, v28, v46
	s_delay_alu instid0(VALU_DEP_2) | instskip(NEXT) | instid1(VALU_DEP_1)
	v_dual_fmac_f32 v39, v35, v11 :: v_dual_sub_f32 v36, v42, v36
	v_dual_sub_f32 v36, v36, v41 :: v_dual_sub_f32 v41, v33, v50
	s_delay_alu instid0(VALU_DEP_2) | instskip(NEXT) | instid1(VALU_DEP_2)
	v_dual_add_f32 v48, v40, v39 :: v_dual_sub_f32 v49, v27, v42
	v_dual_sub_f32 v34, v46, v34 :: v_dual_sub_f32 v33, v33, v41
	s_delay_alu instid0(VALU_DEP_2) | instskip(NEXT) | instid1(VALU_DEP_2)
	v_dual_sub_f32 v27, v27, v49 :: v_dual_sub_f32 v28, v28, v47
	v_sub_f32_e32 v34, v34, v38
	s_delay_alu instid0(VALU_DEP_2) | instskip(NEXT) | instid1(VALU_DEP_1)
	v_sub_f32_e32 v27, v27, v42
	v_dual_add_f32 v12, v12, v27 :: v_dual_sub_f32 v27, v33, v50
	s_delay_alu instid0(VALU_DEP_1) | instskip(SKIP_2) | instid1(VALU_DEP_1)
	v_dual_sub_f32 v28, v28, v46 :: v_dual_add_f32 v15, v15, v27
	v_dual_sub_f32 v27, v22, v10 :: v_dual_sub_f32 v38, v48, v40
	v_sub_f32_e32 v43, v50, v43
	v_dual_sub_f32 v40, v30, v48 :: v_dual_sub_f32 v33, v43, v45
	s_delay_alu instid0(VALU_DEP_1) | instskip(SKIP_1) | instid1(VALU_DEP_2)
	v_dual_sub_f32 v30, v30, v40 :: v_dual_add_f32 v15, v33, v15
	v_add_f32_e32 v20, v20, v28
	v_dual_sub_f32 v30, v30, v48 :: v_dual_add_f32 v15, v41, v15
	s_delay_alu instid0(VALU_DEP_2) | instskip(NEXT) | instid1(VALU_DEP_2)
	v_add_f32_e32 v20, v34, v20
	v_mul_f32_e32 v10, v10, v15
	s_delay_alu instid0(VALU_DEP_2) | instskip(NEXT) | instid1(VALU_DEP_1)
	v_add_f32_e32 v20, v47, v20
	v_dual_sub_f32 v28, v38, v39 :: v_dual_mul_f32 v17, v17, v20
	s_delay_alu instid0(VALU_DEP_1) | instskip(NEXT) | instid1(VALU_DEP_1)
	v_dual_sub_f32 v20, v35, v44 :: v_dual_add_f32 v17, v26, v17
	v_dual_add_f32 v12, v36, v12 :: v_dual_add_f32 v15, v29, v17
	s_delay_alu instid0(VALU_DEP_1) | instskip(NEXT) | instid1(VALU_DEP_1)
	v_add_f32_e32 v12, v49, v12
	v_dual_mul_f32 v12, v23, v12 :: v_dual_sub_f32 v23, v37, v27
	v_add_f32_e32 v14, v14, v30
	s_delay_alu instid0(VALU_DEP_2) | instskip(NEXT) | instid1(VALU_DEP_2)
	v_add_f32_e32 v12, v31, v12
	v_add_f32_e32 v14, v28, v14
	s_delay_alu instid0(VALU_DEP_1) | instskip(NEXT) | instid1(VALU_DEP_1)
	v_add_f32_e32 v14, v40, v14
	v_dual_mul_f32 v14, v21, v14 :: v_dual_sub_f32 v21, v15, v29
	v_ldexp_f32 v15, v15, -2
	s_delay_alu instid0(VALU_DEP_2) | instskip(NEXT) | instid1(VALU_DEP_2)
	v_dual_add_f32 v14, v20, v14 :: v_dual_sub_f32 v17, v17, v21
	v_add_f32_e32 v21, v18, v15
	s_delay_alu instid0(VALU_DEP_2) | instskip(NEXT) | instid1(VALU_DEP_2)
	v_ldexp_f32 v17, v17, -2
	v_sub_f32_e32 v18, v21, v18
	s_delay_alu instid0(VALU_DEP_1) | instskip(SKIP_1) | instid1(VALU_DEP_1)
	v_dual_add_f32 v8, v8, v17 :: v_dual_sub_f32 v15, v15, v18
	v_add_f32_e32 v10, v23, v10
	v_dual_add_f32 v8, v8, v15 :: v_dual_add_f32 v27, v22, v10
	s_delay_alu instid0(VALU_DEP_1) | instskip(NEXT) | instid1(VALU_DEP_2)
	v_add_f32_e32 v8, v21, v8
	v_sub_f32_e32 v22, v27, v22
	v_ldexp_f32 v27, v27, -2
	s_delay_alu instid0(VALU_DEP_3) | instskip(NEXT) | instid1(VALU_DEP_3)
	v_cndmask_b32_e32 v0, 0x7f800000, v8, vcc_lo
	v_sub_f32_e32 v10, v10, v22
	s_delay_alu instid0(VALU_DEP_3) | instskip(SKIP_1) | instid1(VALU_DEP_4)
	v_add_f32_e32 v22, v24, v27
	v_cmp_nlt_f32_e32 vcc_lo, 0x42b2d4fc, v6
	v_cvt_f16_f32_e32 v0, v0
	s_delay_alu instid0(VALU_DEP_4) | instskip(NEXT) | instid1(VALU_DEP_4)
	v_ldexp_f32 v10, v10, -2
	v_sub_f32_e32 v18, v22, v24
	v_add_f32_e32 v20, v32, v12
	s_delay_alu instid0(VALU_DEP_3) | instskip(NEXT) | instid1(VALU_DEP_2)
	v_add_f32_e32 v10, v13, v10
	v_dual_sub_f32 v15, v27, v18 :: v_dual_sub_f32 v26, v20, v32
	v_ldexp_f32 v20, v20, -2
	s_delay_alu instid0(VALU_DEP_2) | instskip(NEXT) | instid1(VALU_DEP_1)
	v_add_f32_e32 v10, v10, v15
	v_add_f32_e32 v8, v22, v10
	s_delay_alu instid0(VALU_DEP_4) | instskip(NEXT) | instid1(VALU_DEP_4)
	v_sub_f32_e32 v12, v12, v26
	v_add_f32_e32 v26, v16, v20
	s_delay_alu instid0(VALU_DEP_2) | instskip(NEXT) | instid1(VALU_DEP_2)
	v_ldexp_f32 v12, v12, -2
	v_sub_f32_e32 v16, v26, v16
	s_delay_alu instid0(VALU_DEP_2) | instskip(NEXT) | instid1(VALU_DEP_2)
	v_add_f32_e32 v9, v9, v12
	v_dual_add_f32 v23, v25, v14 :: v_dual_sub_f32 v16, v20, v16
	s_delay_alu instid0(VALU_DEP_1) | instskip(SKIP_1) | instid1(VALU_DEP_2)
	v_sub_f32_e32 v25, v23, v25
	v_ldexp_f32 v23, v23, -2
	v_dual_add_f32 v9, v9, v16 :: v_dual_sub_f32 v14, v14, v25
	s_delay_alu instid0(VALU_DEP_2) | instskip(NEXT) | instid1(VALU_DEP_2)
	v_add_f32_e32 v25, v19, v23
	v_add_f32_e32 v9, v26, v9
	s_delay_alu instid0(VALU_DEP_3) | instskip(NEXT) | instid1(VALU_DEP_2)
	v_ldexp_f32 v14, v14, -2
	v_dual_sub_f32 v17, v25, v19 :: v_dual_cndmask_b32 v6, 0x7f800000, v9
	v_cmp_nlt_f32_e32 vcc_lo, 0x42b2d4fc, v7
	s_delay_alu instid0(VALU_DEP_3) | instskip(NEXT) | instid1(VALU_DEP_3)
	v_add_f32_e32 v11, v11, v14
	v_sub_f32_e32 v12, v23, v17
	s_delay_alu instid0(VALU_DEP_4) | instskip(SKIP_2) | instid1(VALU_DEP_4)
	v_cvt_f16_f32_e32 v6, v6
	v_cndmask_b32_e32 v7, 0x7f800000, v8, vcc_lo
	v_cmp_nlt_f32_e32 vcc_lo, 0x42b2d4fc, v5
	v_add_f32_e32 v11, v11, v12
	s_delay_alu instid0(VALU_DEP_3) | instskip(NEXT) | instid1(VALU_DEP_2)
	v_cvt_f16_f32_e32 v7, v7
	v_add_f32_e32 v10, v25, v11
	s_delay_alu instid0(VALU_DEP_2) | instskip(NEXT) | instid1(VALU_DEP_2)
	v_pack_b32_f16 v6, v6, v7
	v_cndmask_b32_e32 v5, 0x7f800000, v10, vcc_lo
	v_cmp_le_i64_e32 vcc_lo, s[6:7], v[1:2]
	v_add_co_u32 v1, s1, v1, s3
	s_delay_alu instid0(VALU_DEP_1) | instskip(NEXT) | instid1(VALU_DEP_4)
	v_add_co_ci_u32_e64 v2, s1, 0, v2, s1
	v_cvt_f16_f32_e32 v5, v5
	s_or_b32 s0, vcc_lo, s0
	s_delay_alu instid0(SALU_CYCLE_1) | instskip(NEXT) | instid1(VALU_DEP_1)
	s_and_b32 s0, exec_lo, s0
	v_pack_b32_f16 v5, v0, v5
	s_or_b32 s2, s0, s2
	global_store_b64 v[3:4], v[5:6], off offset:-4
	v_add_co_u32 v3, vcc_lo, v3, s4
	v_add_co_ci_u32_e32 v4, vcc_lo, 0, v4, vcc_lo
	s_and_not1_b32 exec_lo, exec_lo, s2
	s_cbranch_execnz .LBB90_24
.LBB90_25:
	s_nop 0
	s_sendmsg sendmsg(MSG_DEALLOC_VGPRS)
	s_endpgm
	.section	.rodata,"a",@progbits
	.p2align	6, 0x0
	.amdhsa_kernel _ZN2at6native12_GLOBAL__N_125multi_tensor_apply_kernelINS1_18TensorListMetadataILi1EEENS1_14UnaryOpFunctorIN3c104HalfELi1ELi1ELi0EEEJNS0_4CoshIfEEEEEvT_T0_DpT1_
		.amdhsa_group_segment_fixed_size 0
		.amdhsa_private_segment_fixed_size 0
		.amdhsa_kernarg_size 3632
		.amdhsa_user_sgpr_count 15
		.amdhsa_user_sgpr_dispatch_ptr 0
		.amdhsa_user_sgpr_queue_ptr 0
		.amdhsa_user_sgpr_kernarg_segment_ptr 1
		.amdhsa_user_sgpr_dispatch_id 0
		.amdhsa_user_sgpr_private_segment_size 0
		.amdhsa_wavefront_size32 1
		.amdhsa_uses_dynamic_stack 0
		.amdhsa_enable_private_segment 0
		.amdhsa_system_sgpr_workgroup_id_x 1
		.amdhsa_system_sgpr_workgroup_id_y 0
		.amdhsa_system_sgpr_workgroup_id_z 0
		.amdhsa_system_sgpr_workgroup_info 0
		.amdhsa_system_vgpr_workitem_id 0
		.amdhsa_next_free_vgpr 51
		.amdhsa_next_free_sgpr 21
		.amdhsa_reserve_vcc 1
		.amdhsa_float_round_mode_32 0
		.amdhsa_float_round_mode_16_64 0
		.amdhsa_float_denorm_mode_32 3
		.amdhsa_float_denorm_mode_16_64 3
		.amdhsa_dx10_clamp 1
		.amdhsa_ieee_mode 1
		.amdhsa_fp16_overflow 0
		.amdhsa_workgroup_processor_mode 1
		.amdhsa_memory_ordered 1
		.amdhsa_forward_progress 0
		.amdhsa_shared_vgpr_count 0
		.amdhsa_exception_fp_ieee_invalid_op 0
		.amdhsa_exception_fp_denorm_src 0
		.amdhsa_exception_fp_ieee_div_zero 0
		.amdhsa_exception_fp_ieee_overflow 0
		.amdhsa_exception_fp_ieee_underflow 0
		.amdhsa_exception_fp_ieee_inexact 0
		.amdhsa_exception_int_div_zero 0
	.end_amdhsa_kernel
	.section	.text._ZN2at6native12_GLOBAL__N_125multi_tensor_apply_kernelINS1_18TensorListMetadataILi1EEENS1_14UnaryOpFunctorIN3c104HalfELi1ELi1ELi0EEEJNS0_4CoshIfEEEEEvT_T0_DpT1_,"axG",@progbits,_ZN2at6native12_GLOBAL__N_125multi_tensor_apply_kernelINS1_18TensorListMetadataILi1EEENS1_14UnaryOpFunctorIN3c104HalfELi1ELi1ELi0EEEJNS0_4CoshIfEEEEEvT_T0_DpT1_,comdat
.Lfunc_end90:
	.size	_ZN2at6native12_GLOBAL__N_125multi_tensor_apply_kernelINS1_18TensorListMetadataILi1EEENS1_14UnaryOpFunctorIN3c104HalfELi1ELi1ELi0EEEJNS0_4CoshIfEEEEEvT_T0_DpT1_, .Lfunc_end90-_ZN2at6native12_GLOBAL__N_125multi_tensor_apply_kernelINS1_18TensorListMetadataILi1EEENS1_14UnaryOpFunctorIN3c104HalfELi1ELi1ELi0EEEJNS0_4CoshIfEEEEEvT_T0_DpT1_
                                        ; -- End function
	.section	.AMDGPU.csdata,"",@progbits
; Kernel info:
; codeLenInByte = 6640
; NumSgprs: 23
; NumVgprs: 51
; ScratchSize: 0
; MemoryBound: 0
; FloatMode: 240
; IeeeMode: 1
; LDSByteSize: 0 bytes/workgroup (compile time only)
; SGPRBlocks: 2
; VGPRBlocks: 6
; NumSGPRsForWavesPerEU: 23
; NumVGPRsForWavesPerEU: 51
; Occupancy: 16
; WaveLimiterHint : 0
; COMPUTE_PGM_RSRC2:SCRATCH_EN: 0
; COMPUTE_PGM_RSRC2:USER_SGPR: 15
; COMPUTE_PGM_RSRC2:TRAP_HANDLER: 0
; COMPUTE_PGM_RSRC2:TGID_X_EN: 1
; COMPUTE_PGM_RSRC2:TGID_Y_EN: 0
; COMPUTE_PGM_RSRC2:TGID_Z_EN: 0
; COMPUTE_PGM_RSRC2:TIDIG_COMP_CNT: 0
	.section	.text._ZN2at6native12_GLOBAL__N_125multi_tensor_apply_kernelINS1_18TensorListMetadataILi1EEENS1_14UnaryOpFunctorIN3c108BFloat16ELi1ELi1ELi0EEEJNS0_4CoshIfEEEEEvT_T0_DpT1_,"axG",@progbits,_ZN2at6native12_GLOBAL__N_125multi_tensor_apply_kernelINS1_18TensorListMetadataILi1EEENS1_14UnaryOpFunctorIN3c108BFloat16ELi1ELi1ELi0EEEJNS0_4CoshIfEEEEEvT_T0_DpT1_,comdat
	.globl	_ZN2at6native12_GLOBAL__N_125multi_tensor_apply_kernelINS1_18TensorListMetadataILi1EEENS1_14UnaryOpFunctorIN3c108BFloat16ELi1ELi1ELi0EEEJNS0_4CoshIfEEEEEvT_T0_DpT1_ ; -- Begin function _ZN2at6native12_GLOBAL__N_125multi_tensor_apply_kernelINS1_18TensorListMetadataILi1EEENS1_14UnaryOpFunctorIN3c108BFloat16ELi1ELi1ELi0EEEJNS0_4CoshIfEEEEEvT_T0_DpT1_
	.p2align	8
	.type	_ZN2at6native12_GLOBAL__N_125multi_tensor_apply_kernelINS1_18TensorListMetadataILi1EEENS1_14UnaryOpFunctorIN3c108BFloat16ELi1ELi1ELi0EEEJNS0_4CoshIfEEEEEvT_T0_DpT1_,@function
_ZN2at6native12_GLOBAL__N_125multi_tensor_apply_kernelINS1_18TensorListMetadataILi1EEENS1_14UnaryOpFunctorIN3c108BFloat16ELi1ELi1ELi0EEEJNS0_4CoshIfEEEEEvT_T0_DpT1_: ; @_ZN2at6native12_GLOBAL__N_125multi_tensor_apply_kernelINS1_18TensorListMetadataILi1EEENS1_14UnaryOpFunctorIN3c108BFloat16ELi1ELi1ELi0EEEJNS0_4CoshIfEEEEEvT_T0_DpT1_
; %bb.0:
	v_mov_b32_e32 v1, s15
	s_add_u32 s2, s0, s15
	s_mul_hi_u32 s3, s15, 3
	s_mul_i32 s15, s15, 3
	s_addc_u32 s4, s1, 0
	global_load_u8 v1, v1, s[0:1] offset:1760
	s_add_u32 s2, s2, s15
	s_addc_u32 s3, s4, s3
	s_mov_b32 s13, 0
	s_load_b32 s2, s[2:3], 0x820
	s_waitcnt vmcnt(0)
	v_readfirstlane_b32 s5, v1
	s_delay_alu instid0(VALU_DEP_1)
	s_lshl_b32 s3, s5, 3
	s_clause 0x1
	s_load_b64 s[8:9], s[0:1], s3 offset:0x0
	s_load_b64 s[4:5], s[0:1], s3 offset:0x370
	s_waitcnt lgkmcnt(0)
	s_ashr_i32 s3, s2, 31
	s_delay_alu instid0(SALU_CYCLE_1)
	s_lshl_b64 s[10:11], s[2:3], 17
	s_lshl_b64 s[2:3], s[2:3], 16
	s_and_b32 s12, s8, 7
	s_sub_u32 s6, s4, s2
	s_subb_u32 s7, s5, s3
	s_and_b32 s2, s4, 3
	s_mov_b32 s3, s13
	s_delay_alu instid0(SALU_CYCLE_1) | instskip(NEXT) | instid1(SALU_CYCLE_1)
	s_or_b64 s[2:3], s[12:13], s[2:3]
	s_cmp_eq_u64 s[2:3], 0
	s_cbranch_scc1 .LBB91_21
; %bb.1:
	v_cmp_lt_i64_e64 s2, s[6:7], 1
	s_delay_alu instid0(VALU_DEP_1)
	s_and_b32 vcc_lo, exec_lo, s2
	s_cbranch_vccnz .LBB91_20
; %bb.2:
	s_load_b32 s2, s[0:1], 0xd3c
	v_cmp_gt_u64_e64 s3, 0x10000, s[6:7]
	v_lshlrev_b32_e32 v1, 1, v0
	s_mov_b32 s19, 0x3ab42872
	s_waitcnt lgkmcnt(0)
	s_and_b32 s2, s2, 0xffff
	s_delay_alu instid0(VALU_DEP_2)
	s_and_b32 s3, s3, exec_lo
	v_add_co_u32 v5, s5, v0, s2
	s_cselect_b32 s13, s7, 0
	s_cselect_b32 s12, s6, 0x10000
	s_lshl_b32 s3, s2, 1
	s_lshl_b32 s16, s2, 2
	v_lshlrev_b32_e32 v3, 1, v5
	v_add_co_ci_u32_e64 v6, null, 0, 0, s5
	s_add_u32 s5, s8, s10
	v_add_co_u32 v9, s3, s3, v0
	s_mul_i32 s4, s2, 3
	s_addc_u32 s14, s9, s11
	v_add_co_ci_u32_e64 v10, null, 0, 0, s3
	v_add_co_u32 v1, s3, s5, v1
	v_add_co_u32 v7, s4, s4, v0
	v_add_co_ci_u32_e64 v2, null, s14, 0, s3
	v_add_co_u32 v3, s3, s5, v3
	v_add_co_ci_u32_e64 v8, null, 0, 0, s4
	v_add_co_ci_u32_e64 v4, null, s14, 0, s3
	s_lshl_b32 s17, s2, 3
	s_mul_i32 s18, s2, 6
	s_mov_b64 s[14:15], 0
	s_branch .LBB91_4
.LBB91_3:                               ;   in Loop: Header=BB91_4 Depth=1
	s_or_b32 exec_lo, exec_lo, s2
	s_add_u32 s14, s14, s16
	s_addc_u32 s15, s15, 0
	v_add_co_u32 v1, vcc_lo, v1, s17
	v_cmp_lt_i64_e64 s2, s[14:15], s[6:7]
	v_cmp_gt_u64_e64 s3, 0x10000, s[14:15]
	v_add_co_ci_u32_e32 v2, vcc_lo, 0, v2, vcc_lo
	v_add_co_u32 v3, vcc_lo, v3, s17
	v_add_co_ci_u32_e32 v4, vcc_lo, 0, v4, vcc_lo
	s_delay_alu instid0(VALU_DEP_4) | instskip(NEXT) | instid1(SALU_CYCLE_1)
	s_and_b32 s2, s2, s3
	s_and_b32 vcc_lo, exec_lo, s2
	s_cbranch_vccz .LBB91_20
.LBB91_4:                               ; =>This Inner Loop Header: Depth=1
	s_waitcnt vmcnt(0)
	v_add_co_u32 v11, s2, v0, s14
	s_delay_alu instid0(VALU_DEP_1) | instskip(SKIP_1) | instid1(VALU_DEP_2)
	v_add_co_ci_u32_e64 v12, null, 0, s15, s2
	v_mov_b32_e32 v14, 0
	v_cmp_gt_u64_e64 s4, s[12:13], v[11:12]
	s_delay_alu instid0(VALU_DEP_1)
	s_and_saveexec_b32 s2, s4
	s_cbranch_execz .LBB91_6
; %bb.5:                                ;   in Loop: Header=BB91_4 Depth=1
	global_load_u16 v14, v[1:2], off
.LBB91_6:                               ;   in Loop: Header=BB91_4 Depth=1
	s_or_b32 exec_lo, exec_lo, s2
	v_add_co_u32 v11, vcc_lo, v5, s14
	v_add_co_ci_u32_e32 v12, vcc_lo, s15, v6, vcc_lo
	v_mov_b32_e32 v13, 0
	s_delay_alu instid0(VALU_DEP_2) | instskip(NEXT) | instid1(VALU_DEP_1)
	v_cmp_gt_u64_e64 s3, s[12:13], v[11:12]
	s_and_saveexec_b32 s2, s3
	s_cbranch_execz .LBB91_8
; %bb.7:                                ;   in Loop: Header=BB91_4 Depth=1
	global_load_u16 v13, v[3:4], off
.LBB91_8:                               ;   in Loop: Header=BB91_4 Depth=1
	s_or_b32 exec_lo, exec_lo, s2
	v_add_co_u32 v11, vcc_lo, v9, s14
	v_add_co_ci_u32_e32 v12, vcc_lo, s15, v10, vcc_lo
	s_delay_alu instid0(VALU_DEP_1) | instskip(SKIP_1) | instid1(VALU_DEP_2)
	v_cmp_gt_u64_e64 s2, s[12:13], v[11:12]
	v_dual_mov_b32 v11, 0 :: v_dual_mov_b32 v12, 0
	s_and_saveexec_b32 s5, s2
	s_cbranch_execz .LBB91_10
; %bb.9:                                ;   in Loop: Header=BB91_4 Depth=1
	v_add_co_u32 v15, vcc_lo, v1, s16
	v_add_co_ci_u32_e32 v16, vcc_lo, 0, v2, vcc_lo
	global_load_u16 v12, v[15:16], off
.LBB91_10:                              ;   in Loop: Header=BB91_4 Depth=1
	s_or_b32 exec_lo, exec_lo, s5
	v_add_co_u32 v15, vcc_lo, v7, s14
	v_add_co_ci_u32_e32 v16, vcc_lo, s15, v8, vcc_lo
	s_delay_alu instid0(VALU_DEP_1)
	v_cmp_gt_u64_e32 vcc_lo, s[12:13], v[15:16]
	s_and_saveexec_b32 s20, vcc_lo
	s_cbranch_execnz .LBB91_15
; %bb.11:                               ;   in Loop: Header=BB91_4 Depth=1
	s_or_b32 exec_lo, exec_lo, s20
	s_and_saveexec_b32 s5, s4
	s_cbranch_execnz .LBB91_16
.LBB91_12:                              ;   in Loop: Header=BB91_4 Depth=1
	s_or_b32 exec_lo, exec_lo, s5
	s_and_saveexec_b32 s4, s3
	s_cbranch_execnz .LBB91_17
.LBB91_13:                              ;   in Loop: Header=BB91_4 Depth=1
	s_or_b32 exec_lo, exec_lo, s4
	s_and_saveexec_b32 s3, s2
	s_cbranch_execnz .LBB91_18
.LBB91_14:                              ;   in Loop: Header=BB91_4 Depth=1
	s_or_b32 exec_lo, exec_lo, s3
	s_and_saveexec_b32 s2, vcc_lo
	s_cbranch_execz .LBB91_3
	s_branch .LBB91_19
.LBB91_15:                              ;   in Loop: Header=BB91_4 Depth=1
	v_add_co_u32 v15, s5, v1, s18
	s_delay_alu instid0(VALU_DEP_1)
	v_add_co_ci_u32_e64 v16, s5, 0, v2, s5
	global_load_u16 v11, v[15:16], off
	s_or_b32 exec_lo, exec_lo, s20
	s_and_saveexec_b32 s5, s4
	s_cbranch_execz .LBB91_12
.LBB91_16:                              ;   in Loop: Header=BB91_4 Depth=1
	s_waitcnt vmcnt(0)
	v_lshlrev_b32_e32 v14, 16, v14
	s_delay_alu instid0(VALU_DEP_1) | instskip(NEXT) | instid1(VALU_DEP_1)
	v_add_f32_e64 v15, 0xbf317218, |v14|
	v_sub_f32_e64 v16, v15, |v14|
	s_delay_alu instid0(VALU_DEP_1) | instskip(SKIP_1) | instid1(VALU_DEP_2)
	v_dual_sub_f32 v17, v16, v15 :: v_dual_add_f32 v16, 0x3f317218, v16
	v_cmp_nlt_f32_e64 s4, 0x42b2d4fc, |v14|
	v_add_f32_e64 v17, |v14|, v17
	s_delay_alu instid0(VALU_DEP_1) | instskip(NEXT) | instid1(VALU_DEP_1)
	v_sub_f32_e32 v16, v17, v16
	v_add_f32_e32 v16, 0x3102e308, v16
	s_delay_alu instid0(VALU_DEP_1) | instskip(NEXT) | instid1(VALU_DEP_1)
	v_add_f32_e32 v17, v15, v16
	v_sub_f32_e32 v15, v15, v17
	s_delay_alu instid0(VALU_DEP_1) | instskip(NEXT) | instid1(VALU_DEP_1)
	v_dual_mul_f32 v18, 0x3fb8aa3b, v17 :: v_dual_add_f32 v15, v16, v15
	v_rndne_f32_e32 v18, v18
	s_delay_alu instid0(VALU_DEP_1) | instskip(SKIP_1) | instid1(VALU_DEP_1)
	v_mul_f32_e32 v16, 0x35bfbc00, v18
	v_fmac_f32_e32 v17, 0xbf317200, v18
	v_add_f32_e32 v19, v15, v17
	s_delay_alu instid0(VALU_DEP_1) | instskip(NEXT) | instid1(VALU_DEP_1)
	v_dual_sub_f32 v20, v19, v16 :: v_dual_sub_f32 v17, v17, v19
	v_sub_f32_e32 v19, v19, v20
	s_delay_alu instid0(VALU_DEP_2) | instskip(NEXT) | instid1(VALU_DEP_2)
	v_add_f32_e32 v15, v15, v17
	v_sub_f32_e32 v16, v19, v16
	s_delay_alu instid0(VALU_DEP_1) | instskip(NEXT) | instid1(VALU_DEP_1)
	v_dual_add_f32 v15, v15, v16 :: v_dual_mul_f32 v16, 0x2ea39ef3, v18
	v_add_f32_e32 v17, v20, v15
	s_delay_alu instid0(VALU_DEP_1) | instskip(NEXT) | instid1(VALU_DEP_1)
	v_dual_sub_f32 v20, v20, v17 :: v_dual_sub_f32 v19, v17, v16
	v_add_f32_e32 v15, v15, v20
	s_delay_alu instid0(VALU_DEP_2) | instskip(NEXT) | instid1(VALU_DEP_1)
	v_sub_f32_e32 v17, v17, v19
	v_sub_f32_e32 v16, v17, v16
	s_delay_alu instid0(VALU_DEP_1) | instskip(NEXT) | instid1(VALU_DEP_1)
	v_add_f32_e32 v15, v15, v16
	v_add_f32_e32 v16, v19, v15
	s_delay_alu instid0(VALU_DEP_1) | instskip(SKIP_1) | instid1(VALU_DEP_2)
	v_sub_f32_e32 v17, v19, v16
	v_mul_f32_e32 v19, v16, v16
	v_add_f32_e32 v15, v15, v17
	v_fmaak_f32 v17, s19, v16, 0x3c091de6
	s_delay_alu instid0(VALU_DEP_3) | instskip(NEXT) | instid1(VALU_DEP_3)
	v_fma_f32 v20, v16, v16, -v19
	v_add_f32_e32 v21, v15, v15
	s_delay_alu instid0(VALU_DEP_3) | instskip(NEXT) | instid1(VALU_DEP_2)
	v_fmaak_f32 v17, v16, v17, 0x3d2aadcc
	v_fmac_f32_e32 v20, v16, v21
	s_delay_alu instid0(VALU_DEP_2) | instskip(NEXT) | instid1(VALU_DEP_2)
	v_fmaak_f32 v17, v16, v17, 0x3e2aaa47
	v_add_f32_e32 v21, v19, v20
	s_delay_alu instid0(VALU_DEP_2) | instskip(NEXT) | instid1(VALU_DEP_2)
	v_fmaak_f32 v17, v16, v17, 0x3efffffc
	v_sub_f32_e32 v19, v21, v19
	s_delay_alu instid0(VALU_DEP_1) | instskip(NEXT) | instid1(VALU_DEP_1)
	v_dual_mul_f32 v22, v17, v21 :: v_dual_sub_f32 v19, v20, v19
	v_fma_f32 v20, v21, v17, -v22
	s_delay_alu instid0(VALU_DEP_1) | instskip(NEXT) | instid1(VALU_DEP_1)
	v_fmac_f32_e32 v20, v19, v17
	v_add_f32_e32 v17, v22, v20
	s_delay_alu instid0(VALU_DEP_1) | instskip(SKIP_1) | instid1(VALU_DEP_1)
	v_sub_f32_e32 v19, v17, v22
	v_add_f32_e32 v21, v16, v17
	v_dual_sub_f32 v19, v20, v19 :: v_dual_sub_f32 v16, v21, v16
	s_delay_alu instid0(VALU_DEP_1) | instskip(NEXT) | instid1(VALU_DEP_1)
	v_dual_add_f32 v15, v15, v19 :: v_dual_sub_f32 v16, v17, v16
	v_add_f32_e32 v15, v15, v16
	s_delay_alu instid0(VALU_DEP_1) | instskip(NEXT) | instid1(VALU_DEP_1)
	v_add_f32_e32 v16, v21, v15
	v_add_f32_e32 v17, 1.0, v16
	v_sub_f32_e32 v19, v16, v21
	s_delay_alu instid0(VALU_DEP_1) | instskip(NEXT) | instid1(VALU_DEP_1)
	v_dual_add_f32 v20, -1.0, v17 :: v_dual_sub_f32 v15, v15, v19
	v_sub_f32_e32 v16, v16, v20
	s_delay_alu instid0(VALU_DEP_1) | instskip(SKIP_1) | instid1(VALU_DEP_2)
	v_add_f32_e32 v15, v15, v16
	v_cvt_i32_f32_e32 v16, v18
	v_add_f32_e32 v18, v17, v15
	s_delay_alu instid0(VALU_DEP_1) | instskip(NEXT) | instid1(VALU_DEP_1)
	v_ldexp_f32 v19, v18, v16
	v_rcp_f32_e32 v20, v19
	v_sub_f32_e32 v17, v18, v17
	s_delay_alu instid0(VALU_DEP_1) | instskip(SKIP_3) | instid1(VALU_DEP_2)
	v_sub_f32_e32 v15, v15, v17
	s_waitcnt_depctr 0xfff
	v_mul_f32_e32 v17, v19, v20
	v_ldexp_f32 v15, v15, v16
	v_fma_f32 v16, v20, v19, -v17
	s_delay_alu instid0(VALU_DEP_1) | instskip(NEXT) | instid1(VALU_DEP_1)
	v_fmac_f32_e32 v16, v20, v15
	v_add_f32_e32 v18, v17, v16
	s_delay_alu instid0(VALU_DEP_1) | instskip(SKIP_1) | instid1(VALU_DEP_2)
	v_sub_f32_e32 v21, 1.0, v18
	v_sub_f32_e32 v17, v18, v17
	v_sub_f32_e32 v22, 1.0, v21
	s_delay_alu instid0(VALU_DEP_1) | instskip(NEXT) | instid1(VALU_DEP_1)
	v_dual_sub_f32 v16, v17, v16 :: v_dual_sub_f32 v17, v22, v18
	v_add_f32_e32 v16, v16, v17
	s_delay_alu instid0(VALU_DEP_1) | instskip(NEXT) | instid1(VALU_DEP_1)
	v_add_f32_e32 v17, v21, v16
	v_mul_f32_e32 v18, v20, v17
	s_delay_alu instid0(VALU_DEP_1) | instskip(NEXT) | instid1(VALU_DEP_1)
	v_dual_sub_f32 v21, v21, v17 :: v_dual_mul_f32 v22, v19, v18
	v_add_f32_e32 v16, v16, v21
	s_delay_alu instid0(VALU_DEP_2) | instskip(NEXT) | instid1(VALU_DEP_1)
	v_fma_f32 v23, v18, v19, -v22
	v_fmac_f32_e32 v23, v18, v15
	s_delay_alu instid0(VALU_DEP_1) | instskip(NEXT) | instid1(VALU_DEP_1)
	v_add_f32_e32 v24, v22, v23
	v_sub_f32_e32 v25, v17, v24
	v_sub_f32_e32 v21, v24, v22
	s_delay_alu instid0(VALU_DEP_2) | instskip(NEXT) | instid1(VALU_DEP_2)
	v_sub_f32_e32 v17, v17, v25
	v_sub_f32_e32 v21, v21, v23
	s_delay_alu instid0(VALU_DEP_2) | instskip(NEXT) | instid1(VALU_DEP_1)
	v_sub_f32_e32 v17, v17, v24
	v_add_f32_e32 v16, v16, v17
	s_delay_alu instid0(VALU_DEP_1) | instskip(NEXT) | instid1(VALU_DEP_1)
	v_dual_add_f32 v17, v20, v18 :: v_dual_add_f32 v16, v21, v16
	v_sub_f32_e32 v21, v17, v20
	s_delay_alu instid0(VALU_DEP_2) | instskip(NEXT) | instid1(VALU_DEP_2)
	v_add_f32_e32 v16, v25, v16
	v_sub_f32_e32 v18, v18, v21
	s_delay_alu instid0(VALU_DEP_2) | instskip(NEXT) | instid1(VALU_DEP_1)
	v_mul_f32_e32 v16, v20, v16
	v_add_f32_e32 v16, v18, v16
	s_delay_alu instid0(VALU_DEP_1) | instskip(NEXT) | instid1(VALU_DEP_1)
	v_add_f32_e32 v18, v17, v16
	v_sub_f32_e32 v17, v18, v17
	v_ldexp_f32 v18, v18, -2
	s_delay_alu instid0(VALU_DEP_1) | instskip(NEXT) | instid1(VALU_DEP_1)
	v_dual_sub_f32 v16, v16, v17 :: v_dual_add_f32 v17, v19, v18
	v_ldexp_f32 v16, v16, -2
	s_delay_alu instid0(VALU_DEP_2) | instskip(NEXT) | instid1(VALU_DEP_1)
	v_sub_f32_e32 v19, v17, v19
	v_dual_add_f32 v15, v15, v16 :: v_dual_sub_f32 v16, v18, v19
	s_delay_alu instid0(VALU_DEP_1) | instskip(NEXT) | instid1(VALU_DEP_1)
	v_add_f32_e32 v15, v15, v16
	v_add_f32_e32 v15, v17, v15
	s_delay_alu instid0(VALU_DEP_1) | instskip(NEXT) | instid1(VALU_DEP_1)
	v_cndmask_b32_e64 v14, 0x7f800000, v15, s4
	v_bfe_u32 v15, v14, 16, 1
	v_cmp_o_f32_e64 s4, v14, v14
	s_delay_alu instid0(VALU_DEP_2) | instskip(NEXT) | instid1(VALU_DEP_1)
	v_add3_u32 v15, v14, v15, 0x7fff
	v_lshrrev_b32_e32 v15, 16, v15
	s_delay_alu instid0(VALU_DEP_1)
	v_cndmask_b32_e64 v14, 0x7fc0, v15, s4
	global_store_b16 v[1:2], v14, off
	s_or_b32 exec_lo, exec_lo, s5
	s_and_saveexec_b32 s4, s3
	s_cbranch_execz .LBB91_13
.LBB91_17:                              ;   in Loop: Header=BB91_4 Depth=1
	s_waitcnt vmcnt(0)
	v_lshlrev_b32_e32 v13, 16, v13
	s_delay_alu instid0(VALU_DEP_1) | instskip(NEXT) | instid1(VALU_DEP_1)
	v_add_f32_e64 v14, 0xbf317218, |v13|
	v_sub_f32_e64 v15, v14, |v13|
	s_delay_alu instid0(VALU_DEP_1) | instskip(SKIP_1) | instid1(VALU_DEP_2)
	v_dual_sub_f32 v16, v15, v14 :: v_dual_add_f32 v15, 0x3f317218, v15
	v_cmp_nlt_f32_e64 s3, 0x42b2d4fc, |v13|
	v_add_f32_e64 v16, |v13|, v16
	s_delay_alu instid0(VALU_DEP_1) | instskip(NEXT) | instid1(VALU_DEP_1)
	v_sub_f32_e32 v15, v16, v15
	v_add_f32_e32 v15, 0x3102e308, v15
	s_delay_alu instid0(VALU_DEP_1) | instskip(NEXT) | instid1(VALU_DEP_1)
	v_add_f32_e32 v16, v14, v15
	v_sub_f32_e32 v14, v14, v16
	s_delay_alu instid0(VALU_DEP_1) | instskip(NEXT) | instid1(VALU_DEP_1)
	v_dual_mul_f32 v17, 0x3fb8aa3b, v16 :: v_dual_add_f32 v14, v15, v14
	v_rndne_f32_e32 v17, v17
	s_delay_alu instid0(VALU_DEP_1) | instskip(SKIP_1) | instid1(VALU_DEP_1)
	v_mul_f32_e32 v15, 0x35bfbc00, v17
	v_fmac_f32_e32 v16, 0xbf317200, v17
	v_add_f32_e32 v18, v14, v16
	s_delay_alu instid0(VALU_DEP_1) | instskip(NEXT) | instid1(VALU_DEP_1)
	v_dual_sub_f32 v19, v18, v15 :: v_dual_sub_f32 v16, v16, v18
	v_sub_f32_e32 v18, v18, v19
	s_delay_alu instid0(VALU_DEP_2) | instskip(NEXT) | instid1(VALU_DEP_2)
	v_add_f32_e32 v14, v14, v16
	v_sub_f32_e32 v15, v18, v15
	s_delay_alu instid0(VALU_DEP_1) | instskip(NEXT) | instid1(VALU_DEP_1)
	v_dual_add_f32 v14, v14, v15 :: v_dual_mul_f32 v15, 0x2ea39ef3, v17
	v_add_f32_e32 v16, v19, v14
	s_delay_alu instid0(VALU_DEP_1) | instskip(NEXT) | instid1(VALU_DEP_1)
	v_dual_sub_f32 v19, v19, v16 :: v_dual_sub_f32 v18, v16, v15
	v_add_f32_e32 v14, v14, v19
	s_delay_alu instid0(VALU_DEP_2) | instskip(NEXT) | instid1(VALU_DEP_1)
	v_sub_f32_e32 v16, v16, v18
	v_sub_f32_e32 v15, v16, v15
	s_delay_alu instid0(VALU_DEP_1) | instskip(NEXT) | instid1(VALU_DEP_1)
	v_add_f32_e32 v14, v14, v15
	v_add_f32_e32 v15, v18, v14
	s_delay_alu instid0(VALU_DEP_1) | instskip(SKIP_1) | instid1(VALU_DEP_2)
	v_sub_f32_e32 v16, v18, v15
	v_mul_f32_e32 v18, v15, v15
	v_add_f32_e32 v14, v14, v16
	v_fmaak_f32 v16, s19, v15, 0x3c091de6
	s_delay_alu instid0(VALU_DEP_3) | instskip(NEXT) | instid1(VALU_DEP_3)
	v_fma_f32 v19, v15, v15, -v18
	v_add_f32_e32 v20, v14, v14
	s_delay_alu instid0(VALU_DEP_3) | instskip(NEXT) | instid1(VALU_DEP_2)
	v_fmaak_f32 v16, v15, v16, 0x3d2aadcc
	v_fmac_f32_e32 v19, v15, v20
	s_delay_alu instid0(VALU_DEP_2) | instskip(NEXT) | instid1(VALU_DEP_2)
	v_fmaak_f32 v16, v15, v16, 0x3e2aaa47
	v_add_f32_e32 v20, v18, v19
	s_delay_alu instid0(VALU_DEP_2) | instskip(NEXT) | instid1(VALU_DEP_2)
	v_fmaak_f32 v16, v15, v16, 0x3efffffc
	v_sub_f32_e32 v18, v20, v18
	s_delay_alu instid0(VALU_DEP_1) | instskip(NEXT) | instid1(VALU_DEP_1)
	v_dual_mul_f32 v21, v16, v20 :: v_dual_sub_f32 v18, v19, v18
	v_fma_f32 v19, v20, v16, -v21
	s_delay_alu instid0(VALU_DEP_1) | instskip(NEXT) | instid1(VALU_DEP_1)
	v_fmac_f32_e32 v19, v18, v16
	v_add_f32_e32 v16, v21, v19
	s_delay_alu instid0(VALU_DEP_1) | instskip(SKIP_1) | instid1(VALU_DEP_2)
	v_sub_f32_e32 v20, v16, v21
	v_add_f32_e32 v18, v15, v16
	v_sub_f32_e32 v19, v19, v20
	s_delay_alu instid0(VALU_DEP_2) | instskip(NEXT) | instid1(VALU_DEP_1)
	v_sub_f32_e32 v15, v18, v15
	v_sub_f32_e32 v15, v16, v15
	s_delay_alu instid0(VALU_DEP_3) | instskip(NEXT) | instid1(VALU_DEP_1)
	v_add_f32_e32 v14, v14, v19
	v_add_f32_e32 v14, v14, v15
	s_delay_alu instid0(VALU_DEP_1) | instskip(NEXT) | instid1(VALU_DEP_1)
	v_add_f32_e32 v15, v18, v14
	v_add_f32_e32 v16, 1.0, v15
	s_delay_alu instid0(VALU_DEP_1) | instskip(NEXT) | instid1(VALU_DEP_1)
	v_dual_sub_f32 v18, v15, v18 :: v_dual_add_f32 v19, -1.0, v16
	v_dual_sub_f32 v14, v14, v18 :: v_dual_sub_f32 v15, v15, v19
	s_delay_alu instid0(VALU_DEP_1) | instskip(SKIP_1) | instid1(VALU_DEP_2)
	v_add_f32_e32 v14, v14, v15
	v_cvt_i32_f32_e32 v15, v17
	v_add_f32_e32 v17, v16, v14
	s_delay_alu instid0(VALU_DEP_1) | instskip(NEXT) | instid1(VALU_DEP_1)
	v_ldexp_f32 v18, v17, v15
	v_rcp_f32_e32 v19, v18
	v_sub_f32_e32 v16, v17, v16
	s_delay_alu instid0(VALU_DEP_1) | instskip(SKIP_3) | instid1(VALU_DEP_2)
	v_sub_f32_e32 v14, v14, v16
	s_waitcnt_depctr 0xfff
	v_mul_f32_e32 v16, v18, v19
	v_ldexp_f32 v14, v14, v15
	v_fma_f32 v15, v19, v18, -v16
	s_delay_alu instid0(VALU_DEP_1) | instskip(NEXT) | instid1(VALU_DEP_1)
	v_fmac_f32_e32 v15, v19, v14
	v_add_f32_e32 v17, v16, v15
	s_delay_alu instid0(VALU_DEP_1) | instskip(SKIP_1) | instid1(VALU_DEP_2)
	v_sub_f32_e32 v20, 1.0, v17
	v_sub_f32_e32 v16, v17, v16
	v_sub_f32_e32 v21, 1.0, v20
	s_delay_alu instid0(VALU_DEP_1) | instskip(NEXT) | instid1(VALU_DEP_1)
	v_dual_sub_f32 v15, v16, v15 :: v_dual_sub_f32 v16, v21, v17
	v_add_f32_e32 v15, v15, v16
	s_delay_alu instid0(VALU_DEP_1) | instskip(NEXT) | instid1(VALU_DEP_1)
	v_add_f32_e32 v16, v20, v15
	v_mul_f32_e32 v17, v19, v16
	s_delay_alu instid0(VALU_DEP_1) | instskip(NEXT) | instid1(VALU_DEP_1)
	v_dual_sub_f32 v20, v20, v16 :: v_dual_mul_f32 v21, v18, v17
	v_add_f32_e32 v15, v15, v20
	s_delay_alu instid0(VALU_DEP_2) | instskip(NEXT) | instid1(VALU_DEP_1)
	v_fma_f32 v22, v17, v18, -v21
	v_fmac_f32_e32 v22, v17, v14
	s_delay_alu instid0(VALU_DEP_1) | instskip(NEXT) | instid1(VALU_DEP_1)
	v_add_f32_e32 v23, v21, v22
	v_sub_f32_e32 v24, v16, v23
	v_sub_f32_e32 v20, v23, v21
	s_delay_alu instid0(VALU_DEP_2) | instskip(NEXT) | instid1(VALU_DEP_2)
	v_sub_f32_e32 v16, v16, v24
	v_sub_f32_e32 v20, v20, v22
	s_delay_alu instid0(VALU_DEP_2) | instskip(NEXT) | instid1(VALU_DEP_1)
	v_sub_f32_e32 v16, v16, v23
	v_add_f32_e32 v15, v15, v16
	s_delay_alu instid0(VALU_DEP_1) | instskip(NEXT) | instid1(VALU_DEP_1)
	v_dual_add_f32 v16, v19, v17 :: v_dual_add_f32 v15, v20, v15
	v_sub_f32_e32 v20, v16, v19
	s_delay_alu instid0(VALU_DEP_2) | instskip(NEXT) | instid1(VALU_DEP_2)
	v_add_f32_e32 v15, v24, v15
	v_sub_f32_e32 v17, v17, v20
	s_delay_alu instid0(VALU_DEP_2) | instskip(NEXT) | instid1(VALU_DEP_1)
	v_mul_f32_e32 v15, v19, v15
	v_add_f32_e32 v15, v17, v15
	s_delay_alu instid0(VALU_DEP_1) | instskip(NEXT) | instid1(VALU_DEP_1)
	v_add_f32_e32 v17, v16, v15
	v_ldexp_f32 v19, v17, -2
	s_delay_alu instid0(VALU_DEP_1) | instskip(NEXT) | instid1(VALU_DEP_1)
	v_dual_sub_f32 v16, v17, v16 :: v_dual_add_f32 v17, v18, v19
	v_dual_sub_f32 v15, v15, v16 :: v_dual_sub_f32 v16, v17, v18
	s_delay_alu instid0(VALU_DEP_1) | instskip(NEXT) | instid1(VALU_DEP_2)
	v_ldexp_f32 v15, v15, -2
	v_sub_f32_e32 v16, v19, v16
	s_delay_alu instid0(VALU_DEP_2) | instskip(NEXT) | instid1(VALU_DEP_1)
	v_add_f32_e32 v14, v14, v15
	v_add_f32_e32 v14, v14, v16
	s_delay_alu instid0(VALU_DEP_1) | instskip(NEXT) | instid1(VALU_DEP_1)
	v_add_f32_e32 v14, v17, v14
	v_cndmask_b32_e64 v13, 0x7f800000, v14, s3
	s_delay_alu instid0(VALU_DEP_1) | instskip(SKIP_1) | instid1(VALU_DEP_2)
	v_bfe_u32 v14, v13, 16, 1
	v_cmp_o_f32_e64 s3, v13, v13
	v_add3_u32 v14, v13, v14, 0x7fff
	s_delay_alu instid0(VALU_DEP_1) | instskip(NEXT) | instid1(VALU_DEP_1)
	v_lshrrev_b32_e32 v14, 16, v14
	v_cndmask_b32_e64 v13, 0x7fc0, v14, s3
	global_store_b16 v[3:4], v13, off
	s_or_b32 exec_lo, exec_lo, s4
	s_and_saveexec_b32 s3, s2
	s_cbranch_execz .LBB91_14
.LBB91_18:                              ;   in Loop: Header=BB91_4 Depth=1
	s_waitcnt vmcnt(0)
	v_lshlrev_b32_e32 v12, 16, v12
	s_delay_alu instid0(VALU_DEP_1) | instskip(NEXT) | instid1(VALU_DEP_1)
	v_add_f32_e64 v13, 0xbf317218, |v12|
	v_sub_f32_e64 v14, v13, |v12|
	s_delay_alu instid0(VALU_DEP_1) | instskip(SKIP_1) | instid1(VALU_DEP_2)
	v_dual_sub_f32 v15, v14, v13 :: v_dual_add_f32 v14, 0x3f317218, v14
	v_cmp_nlt_f32_e64 s2, 0x42b2d4fc, |v12|
	v_add_f32_e64 v15, |v12|, v15
	s_delay_alu instid0(VALU_DEP_1) | instskip(NEXT) | instid1(VALU_DEP_1)
	v_sub_f32_e32 v14, v15, v14
	v_add_f32_e32 v14, 0x3102e308, v14
	s_delay_alu instid0(VALU_DEP_1) | instskip(NEXT) | instid1(VALU_DEP_1)
	v_add_f32_e32 v15, v13, v14
	v_sub_f32_e32 v13, v13, v15
	s_delay_alu instid0(VALU_DEP_1) | instskip(NEXT) | instid1(VALU_DEP_1)
	v_dual_mul_f32 v16, 0x3fb8aa3b, v15 :: v_dual_add_f32 v13, v14, v13
	v_rndne_f32_e32 v16, v16
	s_delay_alu instid0(VALU_DEP_1) | instskip(SKIP_1) | instid1(VALU_DEP_1)
	v_mul_f32_e32 v14, 0x35bfbc00, v16
	v_fmac_f32_e32 v15, 0xbf317200, v16
	v_add_f32_e32 v17, v13, v15
	s_delay_alu instid0(VALU_DEP_1) | instskip(NEXT) | instid1(VALU_DEP_1)
	v_dual_sub_f32 v18, v17, v14 :: v_dual_sub_f32 v15, v15, v17
	v_sub_f32_e32 v17, v17, v18
	s_delay_alu instid0(VALU_DEP_2) | instskip(NEXT) | instid1(VALU_DEP_2)
	v_add_f32_e32 v13, v13, v15
	v_sub_f32_e32 v14, v17, v14
	s_delay_alu instid0(VALU_DEP_1) | instskip(NEXT) | instid1(VALU_DEP_1)
	v_dual_add_f32 v13, v13, v14 :: v_dual_mul_f32 v14, 0x2ea39ef3, v16
	v_add_f32_e32 v15, v18, v13
	s_delay_alu instid0(VALU_DEP_1) | instskip(NEXT) | instid1(VALU_DEP_1)
	v_dual_sub_f32 v18, v18, v15 :: v_dual_sub_f32 v17, v15, v14
	v_add_f32_e32 v13, v13, v18
	s_delay_alu instid0(VALU_DEP_2) | instskip(NEXT) | instid1(VALU_DEP_1)
	v_sub_f32_e32 v15, v15, v17
	v_sub_f32_e32 v14, v15, v14
	s_delay_alu instid0(VALU_DEP_1) | instskip(NEXT) | instid1(VALU_DEP_1)
	v_add_f32_e32 v13, v13, v14
	v_add_f32_e32 v14, v17, v13
	s_delay_alu instid0(VALU_DEP_1) | instskip(SKIP_1) | instid1(VALU_DEP_2)
	v_sub_f32_e32 v15, v17, v14
	v_mul_f32_e32 v17, v14, v14
	v_add_f32_e32 v13, v13, v15
	v_fmaak_f32 v15, s19, v14, 0x3c091de6
	s_delay_alu instid0(VALU_DEP_3) | instskip(NEXT) | instid1(VALU_DEP_3)
	v_fma_f32 v18, v14, v14, -v17
	v_add_f32_e32 v19, v13, v13
	s_delay_alu instid0(VALU_DEP_3) | instskip(NEXT) | instid1(VALU_DEP_2)
	v_fmaak_f32 v15, v14, v15, 0x3d2aadcc
	v_fmac_f32_e32 v18, v14, v19
	s_delay_alu instid0(VALU_DEP_2) | instskip(NEXT) | instid1(VALU_DEP_2)
	v_fmaak_f32 v15, v14, v15, 0x3e2aaa47
	v_add_f32_e32 v19, v17, v18
	s_delay_alu instid0(VALU_DEP_2) | instskip(NEXT) | instid1(VALU_DEP_2)
	v_fmaak_f32 v15, v14, v15, 0x3efffffc
	v_sub_f32_e32 v17, v19, v17
	s_delay_alu instid0(VALU_DEP_1) | instskip(NEXT) | instid1(VALU_DEP_1)
	v_dual_mul_f32 v20, v15, v19 :: v_dual_sub_f32 v17, v18, v17
	v_fma_f32 v18, v19, v15, -v20
	s_delay_alu instid0(VALU_DEP_1) | instskip(NEXT) | instid1(VALU_DEP_1)
	v_fmac_f32_e32 v18, v17, v15
	v_add_f32_e32 v15, v20, v18
	s_delay_alu instid0(VALU_DEP_1) | instskip(SKIP_1) | instid1(VALU_DEP_2)
	v_sub_f32_e32 v19, v15, v20
	v_add_f32_e32 v17, v14, v15
	v_sub_f32_e32 v18, v18, v19
	s_delay_alu instid0(VALU_DEP_2) | instskip(NEXT) | instid1(VALU_DEP_1)
	v_sub_f32_e32 v14, v17, v14
	v_sub_f32_e32 v14, v15, v14
	s_delay_alu instid0(VALU_DEP_3) | instskip(NEXT) | instid1(VALU_DEP_1)
	v_add_f32_e32 v13, v13, v18
	v_add_f32_e32 v13, v13, v14
	s_delay_alu instid0(VALU_DEP_1) | instskip(NEXT) | instid1(VALU_DEP_1)
	v_add_f32_e32 v14, v17, v13
	v_add_f32_e32 v15, 1.0, v14
	s_delay_alu instid0(VALU_DEP_1) | instskip(NEXT) | instid1(VALU_DEP_1)
	v_dual_sub_f32 v17, v14, v17 :: v_dual_add_f32 v18, -1.0, v15
	v_dual_sub_f32 v13, v13, v17 :: v_dual_sub_f32 v14, v14, v18
	s_delay_alu instid0(VALU_DEP_1) | instskip(SKIP_1) | instid1(VALU_DEP_2)
	v_add_f32_e32 v13, v13, v14
	v_cvt_i32_f32_e32 v14, v16
	v_add_f32_e32 v16, v15, v13
	s_delay_alu instid0(VALU_DEP_1) | instskip(NEXT) | instid1(VALU_DEP_1)
	v_ldexp_f32 v17, v16, v14
	v_rcp_f32_e32 v18, v17
	v_sub_f32_e32 v15, v16, v15
	s_delay_alu instid0(VALU_DEP_1) | instskip(SKIP_3) | instid1(VALU_DEP_2)
	v_sub_f32_e32 v13, v13, v15
	s_waitcnt_depctr 0xfff
	v_mul_f32_e32 v15, v17, v18
	v_ldexp_f32 v13, v13, v14
	v_fma_f32 v14, v18, v17, -v15
	s_delay_alu instid0(VALU_DEP_1) | instskip(NEXT) | instid1(VALU_DEP_1)
	v_fmac_f32_e32 v14, v18, v13
	v_add_f32_e32 v16, v15, v14
	s_delay_alu instid0(VALU_DEP_1) | instskip(SKIP_1) | instid1(VALU_DEP_2)
	v_sub_f32_e32 v19, 1.0, v16
	v_sub_f32_e32 v15, v16, v15
	v_sub_f32_e32 v20, 1.0, v19
	s_delay_alu instid0(VALU_DEP_1) | instskip(NEXT) | instid1(VALU_DEP_1)
	v_dual_sub_f32 v14, v15, v14 :: v_dual_sub_f32 v15, v20, v16
	v_add_f32_e32 v14, v14, v15
	s_delay_alu instid0(VALU_DEP_1) | instskip(NEXT) | instid1(VALU_DEP_1)
	v_add_f32_e32 v15, v19, v14
	v_mul_f32_e32 v16, v18, v15
	s_delay_alu instid0(VALU_DEP_1) | instskip(NEXT) | instid1(VALU_DEP_1)
	v_dual_sub_f32 v19, v19, v15 :: v_dual_mul_f32 v20, v17, v16
	v_add_f32_e32 v14, v14, v19
	s_delay_alu instid0(VALU_DEP_2) | instskip(NEXT) | instid1(VALU_DEP_1)
	v_fma_f32 v21, v16, v17, -v20
	v_fmac_f32_e32 v21, v16, v13
	s_delay_alu instid0(VALU_DEP_1) | instskip(NEXT) | instid1(VALU_DEP_1)
	v_add_f32_e32 v22, v20, v21
	v_sub_f32_e32 v23, v15, v22
	v_sub_f32_e32 v19, v22, v20
	s_delay_alu instid0(VALU_DEP_2) | instskip(NEXT) | instid1(VALU_DEP_2)
	v_sub_f32_e32 v15, v15, v23
	v_sub_f32_e32 v19, v19, v21
	s_delay_alu instid0(VALU_DEP_2) | instskip(NEXT) | instid1(VALU_DEP_1)
	v_sub_f32_e32 v15, v15, v22
	v_add_f32_e32 v14, v14, v15
	s_delay_alu instid0(VALU_DEP_1) | instskip(NEXT) | instid1(VALU_DEP_1)
	v_dual_add_f32 v15, v18, v16 :: v_dual_add_f32 v14, v19, v14
	v_sub_f32_e32 v19, v15, v18
	s_delay_alu instid0(VALU_DEP_2) | instskip(NEXT) | instid1(VALU_DEP_2)
	v_add_f32_e32 v14, v23, v14
	v_sub_f32_e32 v16, v16, v19
	s_delay_alu instid0(VALU_DEP_2) | instskip(NEXT) | instid1(VALU_DEP_1)
	v_mul_f32_e32 v14, v18, v14
	v_add_f32_e32 v14, v16, v14
	s_delay_alu instid0(VALU_DEP_1) | instskip(NEXT) | instid1(VALU_DEP_1)
	v_add_f32_e32 v16, v15, v14
	v_ldexp_f32 v18, v16, -2
	s_delay_alu instid0(VALU_DEP_1) | instskip(NEXT) | instid1(VALU_DEP_1)
	v_dual_sub_f32 v15, v16, v15 :: v_dual_add_f32 v16, v17, v18
	v_dual_sub_f32 v14, v14, v15 :: v_dual_sub_f32 v15, v16, v17
	s_delay_alu instid0(VALU_DEP_1) | instskip(NEXT) | instid1(VALU_DEP_2)
	v_ldexp_f32 v14, v14, -2
	v_sub_f32_e32 v15, v18, v15
	s_delay_alu instid0(VALU_DEP_2) | instskip(NEXT) | instid1(VALU_DEP_1)
	v_add_f32_e32 v13, v13, v14
	v_add_f32_e32 v13, v13, v15
	s_delay_alu instid0(VALU_DEP_1) | instskip(NEXT) | instid1(VALU_DEP_1)
	v_add_f32_e32 v13, v16, v13
	v_cndmask_b32_e64 v12, 0x7f800000, v13, s2
	s_delay_alu instid0(VALU_DEP_1) | instskip(SKIP_1) | instid1(VALU_DEP_2)
	v_bfe_u32 v13, v12, 16, 1
	v_cmp_o_f32_e64 s2, v12, v12
	v_add3_u32 v13, v12, v13, 0x7fff
	s_delay_alu instid0(VALU_DEP_1) | instskip(NEXT) | instid1(VALU_DEP_1)
	v_lshrrev_b32_e32 v13, 16, v13
	v_cndmask_b32_e64 v14, 0x7fc0, v13, s2
	v_add_co_u32 v12, s2, v1, s16
	s_delay_alu instid0(VALU_DEP_1)
	v_add_co_ci_u32_e64 v13, s2, 0, v2, s2
	global_store_b16 v[12:13], v14, off
	s_or_b32 exec_lo, exec_lo, s3
	s_and_saveexec_b32 s2, vcc_lo
	s_cbranch_execz .LBB91_3
.LBB91_19:                              ;   in Loop: Header=BB91_4 Depth=1
	s_waitcnt vmcnt(0)
	v_lshlrev_b32_e32 v11, 16, v11
	s_delay_alu instid0(VALU_DEP_1) | instskip(NEXT) | instid1(VALU_DEP_1)
	v_add_f32_e64 v12, 0xbf317218, |v11|
	v_sub_f32_e64 v13, v12, |v11|
	s_delay_alu instid0(VALU_DEP_1) | instskip(SKIP_1) | instid1(VALU_DEP_2)
	v_dual_sub_f32 v14, v13, v12 :: v_dual_add_f32 v13, 0x3f317218, v13
	v_cmp_nlt_f32_e64 vcc_lo, 0x42b2d4fc, |v11|
	v_add_f32_e64 v14, |v11|, v14
	s_delay_alu instid0(VALU_DEP_1) | instskip(NEXT) | instid1(VALU_DEP_1)
	v_sub_f32_e32 v13, v14, v13
	v_add_f32_e32 v13, 0x3102e308, v13
	s_delay_alu instid0(VALU_DEP_1) | instskip(NEXT) | instid1(VALU_DEP_1)
	v_add_f32_e32 v14, v12, v13
	v_sub_f32_e32 v12, v12, v14
	s_delay_alu instid0(VALU_DEP_1) | instskip(NEXT) | instid1(VALU_DEP_1)
	v_dual_mul_f32 v15, 0x3fb8aa3b, v14 :: v_dual_add_f32 v12, v13, v12
	v_rndne_f32_e32 v15, v15
	s_delay_alu instid0(VALU_DEP_1) | instskip(SKIP_1) | instid1(VALU_DEP_1)
	v_mul_f32_e32 v13, 0x35bfbc00, v15
	v_fmac_f32_e32 v14, 0xbf317200, v15
	v_add_f32_e32 v16, v12, v14
	s_delay_alu instid0(VALU_DEP_1) | instskip(NEXT) | instid1(VALU_DEP_1)
	v_dual_sub_f32 v17, v16, v13 :: v_dual_sub_f32 v14, v14, v16
	v_sub_f32_e32 v16, v16, v17
	s_delay_alu instid0(VALU_DEP_2) | instskip(NEXT) | instid1(VALU_DEP_2)
	v_add_f32_e32 v12, v12, v14
	v_sub_f32_e32 v13, v16, v13
	s_delay_alu instid0(VALU_DEP_1) | instskip(NEXT) | instid1(VALU_DEP_1)
	v_dual_add_f32 v12, v12, v13 :: v_dual_mul_f32 v13, 0x2ea39ef3, v15
	v_add_f32_e32 v14, v17, v12
	s_delay_alu instid0(VALU_DEP_1) | instskip(NEXT) | instid1(VALU_DEP_1)
	v_dual_sub_f32 v17, v17, v14 :: v_dual_sub_f32 v16, v14, v13
	v_add_f32_e32 v12, v12, v17
	s_delay_alu instid0(VALU_DEP_2) | instskip(NEXT) | instid1(VALU_DEP_1)
	v_sub_f32_e32 v14, v14, v16
	v_sub_f32_e32 v13, v14, v13
	s_delay_alu instid0(VALU_DEP_1) | instskip(NEXT) | instid1(VALU_DEP_1)
	v_add_f32_e32 v12, v12, v13
	v_add_f32_e32 v13, v16, v12
	s_delay_alu instid0(VALU_DEP_1) | instskip(SKIP_1) | instid1(VALU_DEP_2)
	v_sub_f32_e32 v14, v16, v13
	v_mul_f32_e32 v16, v13, v13
	v_add_f32_e32 v12, v12, v14
	v_fmaak_f32 v14, s19, v13, 0x3c091de6
	s_delay_alu instid0(VALU_DEP_3) | instskip(NEXT) | instid1(VALU_DEP_3)
	v_fma_f32 v17, v13, v13, -v16
	v_add_f32_e32 v18, v12, v12
	s_delay_alu instid0(VALU_DEP_3) | instskip(NEXT) | instid1(VALU_DEP_2)
	v_fmaak_f32 v14, v13, v14, 0x3d2aadcc
	v_fmac_f32_e32 v17, v13, v18
	s_delay_alu instid0(VALU_DEP_2) | instskip(NEXT) | instid1(VALU_DEP_2)
	v_fmaak_f32 v14, v13, v14, 0x3e2aaa47
	v_add_f32_e32 v18, v16, v17
	s_delay_alu instid0(VALU_DEP_2) | instskip(NEXT) | instid1(VALU_DEP_2)
	v_fmaak_f32 v14, v13, v14, 0x3efffffc
	v_sub_f32_e32 v16, v18, v16
	s_delay_alu instid0(VALU_DEP_1) | instskip(NEXT) | instid1(VALU_DEP_1)
	v_dual_mul_f32 v19, v14, v18 :: v_dual_sub_f32 v16, v17, v16
	v_fma_f32 v17, v18, v14, -v19
	s_delay_alu instid0(VALU_DEP_1) | instskip(NEXT) | instid1(VALU_DEP_1)
	v_fmac_f32_e32 v17, v16, v14
	v_add_f32_e32 v14, v19, v17
	s_delay_alu instid0(VALU_DEP_1) | instskip(SKIP_1) | instid1(VALU_DEP_2)
	v_sub_f32_e32 v18, v14, v19
	v_add_f32_e32 v16, v13, v14
	v_sub_f32_e32 v17, v17, v18
	s_delay_alu instid0(VALU_DEP_2) | instskip(NEXT) | instid1(VALU_DEP_1)
	v_sub_f32_e32 v13, v16, v13
	v_sub_f32_e32 v13, v14, v13
	s_delay_alu instid0(VALU_DEP_3) | instskip(NEXT) | instid1(VALU_DEP_1)
	v_add_f32_e32 v12, v12, v17
	v_add_f32_e32 v12, v12, v13
	s_delay_alu instid0(VALU_DEP_1) | instskip(NEXT) | instid1(VALU_DEP_1)
	v_add_f32_e32 v13, v16, v12
	v_add_f32_e32 v14, 1.0, v13
	s_delay_alu instid0(VALU_DEP_1) | instskip(NEXT) | instid1(VALU_DEP_1)
	v_dual_sub_f32 v16, v13, v16 :: v_dual_add_f32 v17, -1.0, v14
	v_dual_sub_f32 v12, v12, v16 :: v_dual_sub_f32 v13, v13, v17
	s_delay_alu instid0(VALU_DEP_1) | instskip(SKIP_1) | instid1(VALU_DEP_2)
	v_add_f32_e32 v12, v12, v13
	v_cvt_i32_f32_e32 v13, v15
	v_add_f32_e32 v15, v14, v12
	s_delay_alu instid0(VALU_DEP_1) | instskip(NEXT) | instid1(VALU_DEP_1)
	v_ldexp_f32 v16, v15, v13
	v_rcp_f32_e32 v17, v16
	v_sub_f32_e32 v14, v15, v14
	s_delay_alu instid0(VALU_DEP_1) | instskip(SKIP_3) | instid1(VALU_DEP_2)
	v_sub_f32_e32 v12, v12, v14
	s_waitcnt_depctr 0xfff
	v_mul_f32_e32 v14, v16, v17
	v_ldexp_f32 v12, v12, v13
	v_fma_f32 v13, v17, v16, -v14
	s_delay_alu instid0(VALU_DEP_1) | instskip(NEXT) | instid1(VALU_DEP_1)
	v_fmac_f32_e32 v13, v17, v12
	v_add_f32_e32 v15, v14, v13
	s_delay_alu instid0(VALU_DEP_1) | instskip(SKIP_1) | instid1(VALU_DEP_2)
	v_sub_f32_e32 v18, 1.0, v15
	v_sub_f32_e32 v14, v15, v14
	v_sub_f32_e32 v19, 1.0, v18
	s_delay_alu instid0(VALU_DEP_1) | instskip(NEXT) | instid1(VALU_DEP_1)
	v_dual_sub_f32 v13, v14, v13 :: v_dual_sub_f32 v14, v19, v15
	v_add_f32_e32 v13, v13, v14
	s_delay_alu instid0(VALU_DEP_1) | instskip(NEXT) | instid1(VALU_DEP_1)
	v_add_f32_e32 v14, v18, v13
	v_mul_f32_e32 v15, v17, v14
	s_delay_alu instid0(VALU_DEP_1) | instskip(NEXT) | instid1(VALU_DEP_1)
	v_dual_sub_f32 v18, v18, v14 :: v_dual_mul_f32 v19, v16, v15
	v_add_f32_e32 v13, v13, v18
	s_delay_alu instid0(VALU_DEP_2) | instskip(NEXT) | instid1(VALU_DEP_1)
	v_fma_f32 v20, v15, v16, -v19
	v_fmac_f32_e32 v20, v15, v12
	s_delay_alu instid0(VALU_DEP_1) | instskip(NEXT) | instid1(VALU_DEP_1)
	v_add_f32_e32 v21, v19, v20
	v_sub_f32_e32 v22, v14, v21
	v_sub_f32_e32 v18, v21, v19
	s_delay_alu instid0(VALU_DEP_2) | instskip(NEXT) | instid1(VALU_DEP_2)
	v_sub_f32_e32 v14, v14, v22
	v_sub_f32_e32 v18, v18, v20
	s_delay_alu instid0(VALU_DEP_2) | instskip(NEXT) | instid1(VALU_DEP_1)
	v_sub_f32_e32 v14, v14, v21
	v_add_f32_e32 v13, v13, v14
	s_delay_alu instid0(VALU_DEP_1) | instskip(NEXT) | instid1(VALU_DEP_1)
	v_dual_add_f32 v14, v17, v15 :: v_dual_add_f32 v13, v18, v13
	v_sub_f32_e32 v18, v14, v17
	s_delay_alu instid0(VALU_DEP_2) | instskip(NEXT) | instid1(VALU_DEP_2)
	v_add_f32_e32 v13, v22, v13
	v_sub_f32_e32 v15, v15, v18
	s_delay_alu instid0(VALU_DEP_2) | instskip(NEXT) | instid1(VALU_DEP_1)
	v_mul_f32_e32 v13, v17, v13
	v_add_f32_e32 v13, v15, v13
	s_delay_alu instid0(VALU_DEP_1) | instskip(NEXT) | instid1(VALU_DEP_1)
	v_add_f32_e32 v15, v14, v13
	v_ldexp_f32 v17, v15, -2
	s_delay_alu instid0(VALU_DEP_1) | instskip(NEXT) | instid1(VALU_DEP_1)
	v_dual_sub_f32 v14, v15, v14 :: v_dual_add_f32 v15, v16, v17
	v_dual_sub_f32 v13, v13, v14 :: v_dual_sub_f32 v14, v15, v16
	s_delay_alu instid0(VALU_DEP_1) | instskip(NEXT) | instid1(VALU_DEP_2)
	v_ldexp_f32 v13, v13, -2
	v_sub_f32_e32 v14, v17, v14
	s_delay_alu instid0(VALU_DEP_2) | instskip(NEXT) | instid1(VALU_DEP_1)
	v_add_f32_e32 v12, v12, v13
	v_add_f32_e32 v12, v12, v14
	s_delay_alu instid0(VALU_DEP_1) | instskip(NEXT) | instid1(VALU_DEP_1)
	v_add_f32_e32 v12, v15, v12
	v_cndmask_b32_e32 v11, 0x7f800000, v12, vcc_lo
	s_delay_alu instid0(VALU_DEP_1) | instskip(SKIP_1) | instid1(VALU_DEP_2)
	v_bfe_u32 v12, v11, 16, 1
	v_cmp_o_f32_e32 vcc_lo, v11, v11
	v_add3_u32 v12, v11, v12, 0x7fff
	s_delay_alu instid0(VALU_DEP_1) | instskip(NEXT) | instid1(VALU_DEP_1)
	v_lshrrev_b32_e32 v12, 16, v12
	v_cndmask_b32_e32 v13, 0x7fc0, v12, vcc_lo
	v_add_co_u32 v11, vcc_lo, v1, s18
	v_add_co_ci_u32_e32 v12, vcc_lo, 0, v2, vcc_lo
	global_store_b16 v[11:12], v13, off
	s_branch .LBB91_3
.LBB91_20:
	s_cbranch_execz .LBB91_22
	s_branch .LBB91_25
.LBB91_21:
.LBB91_22:
	v_dual_mov_b32 v2, 0 :: v_dual_lshlrev_b32 v1, 2, v0
	s_mov_b32 s2, 0
	s_mov_b32 s3, exec_lo
	s_delay_alu instid0(VALU_DEP_1)
	v_cmpx_gt_i64_e64 s[6:7], v[1:2]
	s_cbranch_execz .LBB91_25
; %bb.23:
	s_load_b32 s0, s[0:1], 0xd3c
	v_lshlrev_b32_e32 v1, 3, v0
	s_mov_b32 s5, 0x3ab42872
	s_waitcnt lgkmcnt(0)
	s_and_b32 s0, s0, 0xffff
	s_add_u32 s1, s8, s10
	s_addc_u32 s3, s9, s11
	v_add_co_u32 v3, s1, s1, v1
	s_delay_alu instid0(VALU_DEP_1)
	v_add_co_ci_u32_e64 v4, null, s3, 0, s1
	v_add_lshl_u32 v1, v0, s0, 2
	s_lshl_b32 s3, s0, 3
	s_lshl_b32 s4, s0, 2
.LBB91_24:                              ; =>This Inner Loop Header: Depth=1
	global_load_b64 v[6:7], v[3:4], off
	v_cmp_lt_u64_e64 s0, 0xffff, v[1:2]
	s_waitcnt vmcnt(0)
	v_and_b32_e32 v0, 0xffff0000, v6
	s_delay_alu instid0(VALU_DEP_1) | instskip(NEXT) | instid1(VALU_DEP_1)
	v_add_f32_e64 v9, 0xbf317218, |v0|
	v_sub_f32_e64 v12, v9, |v0|
	v_lshlrev_b32_e32 v5, 16, v6
	v_alignbit_b32 v6, v7, v6, 16
	s_delay_alu instid0(VALU_DEP_3) | instskip(NEXT) | instid1(VALU_DEP_3)
	v_dual_sub_f32 v16, v12, v9 :: v_dual_and_b32 v7, 0xffff0000, v7
	v_add_f32_e64 v8, 0xbf317218, |v5|
	s_delay_alu instid0(VALU_DEP_3) | instskip(NEXT) | instid1(VALU_DEP_3)
	v_and_b32_e32 v6, 0xffff0000, v6
	v_add_f32_e64 v10, 0xbf317218, |v7|
	v_cmp_nlt_f32_e64 vcc_lo, 0x42b2d4fc, |v5|
	v_add_f32_e32 v12, 0x3f317218, v12
	v_sub_f32_e64 v11, v8, |v5|
	v_add_f32_e64 v13, 0xbf317218, |v6|
	v_sub_f32_e64 v14, v10, |v7|
	s_delay_alu instid0(VALU_DEP_3) | instskip(NEXT) | instid1(VALU_DEP_3)
	v_sub_f32_e32 v15, v11, v8
	v_sub_f32_e64 v17, v13, |v6|
	s_delay_alu instid0(VALU_DEP_3) | instskip(SKIP_1) | instid1(VALU_DEP_4)
	v_dual_add_f32 v11, 0x3f317218, v11 :: v_dual_sub_f32 v18, v14, v10
	v_add_f32_e64 v16, |v0|, v16
	v_add_f32_e64 v15, |v5|, v15
	s_delay_alu instid0(VALU_DEP_4) | instskip(NEXT) | instid1(VALU_DEP_4)
	v_dual_sub_f32 v19, v17, v13 :: v_dual_add_f32 v14, 0x3f317218, v14
	v_add_f32_e64 v18, |v7|, v18
	s_delay_alu instid0(VALU_DEP_3) | instskip(SKIP_1) | instid1(VALU_DEP_4)
	v_dual_sub_f32 v12, v16, v12 :: v_dual_sub_f32 v11, v15, v11
	v_add_f32_e32 v15, 0x3f317218, v17
	v_add_f32_e64 v16, |v6|, v19
	s_delay_alu instid0(VALU_DEP_4) | instskip(NEXT) | instid1(VALU_DEP_4)
	v_sub_f32_e32 v14, v18, v14
	v_dual_add_f32 v12, 0x3102e308, v12 :: v_dual_add_f32 v11, 0x3102e308, v11
	s_delay_alu instid0(VALU_DEP_2) | instskip(NEXT) | instid1(VALU_DEP_2)
	v_dual_sub_f32 v15, v16, v15 :: v_dual_add_f32 v14, 0x3102e308, v14
	v_dual_add_f32 v17, v9, v12 :: v_dual_add_f32 v16, v8, v11
	s_delay_alu instid0(VALU_DEP_2) | instskip(NEXT) | instid1(VALU_DEP_2)
	v_dual_add_f32 v15, 0x3102e308, v15 :: v_dual_add_f32 v18, v10, v14
	v_dual_sub_f32 v9, v9, v17 :: v_dual_sub_f32 v8, v8, v16
	v_dual_mul_f32 v19, 0x3fb8aa3b, v16 :: v_dual_mul_f32 v20, 0x3fb8aa3b, v17
	s_delay_alu instid0(VALU_DEP_3) | instskip(NEXT) | instid1(VALU_DEP_3)
	v_dual_add_f32 v21, v13, v15 :: v_dual_sub_f32 v10, v10, v18
	v_dual_add_f32 v9, v12, v9 :: v_dual_mul_f32 v22, 0x3fb8aa3b, v18
	s_delay_alu instid0(VALU_DEP_4) | instskip(NEXT) | instid1(VALU_DEP_4)
	v_add_f32_e32 v8, v11, v8
	v_rndne_f32_e32 v11, v19
	s_delay_alu instid0(VALU_DEP_4) | instskip(SKIP_3) | instid1(VALU_DEP_3)
	v_mul_f32_e32 v19, 0x3fb8aa3b, v21
	v_rndne_f32_e32 v12, v20
	v_dual_sub_f32 v13, v13, v21 :: v_dual_add_f32 v10, v14, v10
	v_rndne_f32_e32 v14, v22
	v_dual_fmac_f32 v16, 0xbf317200, v11 :: v_dual_fmac_f32 v17, 0xbf317200, v12
	s_delay_alu instid0(VALU_DEP_3) | instskip(SKIP_2) | instid1(VALU_DEP_4)
	v_add_f32_e32 v13, v15, v13
	v_rndne_f32_e32 v15, v19
	v_dual_mul_f32 v20, 0x35bfbc00, v11 :: v_dual_mul_f32 v23, 0x35bfbc00, v12
	v_dual_mul_f32 v24, 0x2ea39ef3, v12 :: v_dual_add_f32 v27, v9, v17
	s_delay_alu instid0(VALU_DEP_3) | instskip(SKIP_1) | instid1(VALU_DEP_2)
	v_dual_fmac_f32 v18, 0xbf317200, v14 :: v_dual_fmac_f32 v21, 0xbf317200, v15
	v_dual_mul_f32 v19, 0x35bfbc00, v14 :: v_dual_add_f32 v26, v8, v16
	v_dual_mul_f32 v28, 0x35bfbc00, v15 :: v_dual_add_f32 v29, v10, v18
	s_delay_alu instid0(VALU_DEP_4) | instskip(NEXT) | instid1(VALU_DEP_3)
	v_sub_f32_e32 v17, v17, v27
	v_dual_sub_f32 v31, v27, v23 :: v_dual_sub_f32 v16, v16, v26
	v_sub_f32_e32 v30, v26, v20
	v_add_f32_e32 v32, v13, v21
	v_dual_sub_f32 v18, v18, v29 :: v_dual_sub_f32 v33, v29, v19
	s_delay_alu instid0(VALU_DEP_4) | instskip(NEXT) | instid1(VALU_DEP_4)
	v_dual_add_f32 v8, v8, v16 :: v_dual_add_f32 v9, v9, v17
	v_dual_sub_f32 v17, v27, v31 :: v_dual_sub_f32 v16, v26, v30
	s_delay_alu instid0(VALU_DEP_4) | instskip(NEXT) | instid1(VALU_DEP_4)
	v_sub_f32_e32 v21, v21, v32
	v_dual_sub_f32 v26, v32, v28 :: v_dual_sub_f32 v27, v29, v33
	v_add_f32_e32 v10, v10, v18
	s_delay_alu instid0(VALU_DEP_4) | instskip(NEXT) | instid1(VALU_DEP_3)
	v_dual_sub_f32 v16, v16, v20 :: v_dual_sub_f32 v17, v17, v23
	v_dual_sub_f32 v18, v32, v26 :: v_dual_add_f32 v13, v13, v21
	s_delay_alu instid0(VALU_DEP_2) | instskip(NEXT) | instid1(VALU_DEP_2)
	v_dual_sub_f32 v19, v27, v19 :: v_dual_add_f32 v8, v8, v16
	v_dual_add_f32 v9, v9, v17 :: v_dual_sub_f32 v16, v18, v28
	v_dual_mul_f32 v22, 0x2ea39ef3, v11 :: v_dual_mul_f32 v25, 0x2ea39ef3, v14
	s_delay_alu instid0(VALU_DEP_3) | instskip(NEXT) | instid1(VALU_DEP_4)
	v_add_f32_e32 v10, v10, v19
	v_dual_add_f32 v17, v30, v8 :: v_dual_mul_f32 v18, 0x2ea39ef3, v15
	s_delay_alu instid0(VALU_DEP_4) | instskip(SKIP_1) | instid1(VALU_DEP_4)
	v_add_f32_e32 v19, v31, v9
	v_add_f32_e32 v13, v13, v16
	;; [unrolled: 1-line block ×3, first 2 shown]
	s_delay_alu instid0(VALU_DEP_4) | instskip(NEXT) | instid1(VALU_DEP_4)
	v_dual_sub_f32 v20, v30, v17 :: v_dual_sub_f32 v21, v17, v22
	v_sub_f32_e32 v23, v31, v19
	s_delay_alu instid0(VALU_DEP_4) | instskip(NEXT) | instid1(VALU_DEP_4)
	v_dual_sub_f32 v27, v19, v24 :: v_dual_add_f32 v28, v26, v13
	v_dual_sub_f32 v29, v33, v16 :: v_dual_sub_f32 v30, v16, v25
	s_delay_alu instid0(VALU_DEP_4) | instskip(NEXT) | instid1(VALU_DEP_3)
	v_dual_add_f32 v8, v8, v20 :: v_dual_sub_f32 v17, v17, v21
	v_dual_add_f32 v9, v9, v23 :: v_dual_sub_f32 v20, v26, v28
	s_delay_alu instid0(VALU_DEP_3) | instskip(NEXT) | instid1(VALU_DEP_4)
	v_dual_sub_f32 v19, v19, v27 :: v_dual_sub_f32 v16, v16, v30
	v_dual_sub_f32 v23, v28, v18 :: v_dual_add_f32 v10, v10, v29
	s_delay_alu instid0(VALU_DEP_4) | instskip(NEXT) | instid1(VALU_DEP_3)
	v_sub_f32_e32 v17, v17, v22
	v_dual_sub_f32 v19, v19, v24 :: v_dual_sub_f32 v16, v16, v25
	s_delay_alu instid0(VALU_DEP_3) | instskip(NEXT) | instid1(VALU_DEP_2)
	v_dual_sub_f32 v22, v28, v23 :: v_dual_add_f32 v13, v13, v20
	v_dual_add_f32 v8, v8, v17 :: v_dual_add_f32 v9, v9, v19
	s_delay_alu instid0(VALU_DEP_3) | instskip(NEXT) | instid1(VALU_DEP_3)
	v_add_f32_e32 v10, v10, v16
	v_sub_f32_e32 v17, v22, v18
	v_cvt_i32_f32_e32 v11, v11
	s_delay_alu instid0(VALU_DEP_4) | instskip(SKIP_4) | instid1(VALU_DEP_4)
	v_add_f32_e32 v16, v21, v8
	v_add_f32_e32 v18, v27, v9
	v_cvt_i32_f32_e32 v12, v12
	v_add_f32_e32 v13, v13, v17
	v_add_f32_e32 v17, v30, v10
	v_dual_fmaak_f32 v19, s5, v16, 0x3c091de6 :: v_dual_sub_f32 v24, v27, v18
	v_dual_sub_f32 v20, v21, v16 :: v_dual_mul_f32 v25, v18, v18
	v_dual_fmaak_f32 v22, s5, v18, 0x3c091de6 :: v_dual_mul_f32 v21, v16, v16
	v_add_f32_e32 v26, v23, v13
	s_delay_alu instid0(VALU_DEP_3) | instskip(SKIP_1) | instid1(VALU_DEP_3)
	v_dual_fmaak_f32 v27, s5, v17, 0x3c091de6 :: v_dual_add_f32 v8, v8, v20
	v_dual_sub_f32 v28, v30, v17 :: v_dual_fmaak_f32 v19, v16, v19, 0x3d2aadcc
	v_sub_f32_e32 v23, v23, v26
	v_dual_mul_f32 v29, v17, v17 :: v_dual_fmaak_f32 v22, v18, v22, 0x3d2aadcc
	v_fma_f32 v20, v16, v16, -v21
	v_dual_add_f32 v9, v9, v24 :: v_dual_fmaak_f32 v30, s5, v26, 0x3c091de6
	v_dual_mul_f32 v31, v26, v26 :: v_dual_add_f32 v32, v8, v8
	v_dual_add_f32 v10, v10, v28 :: v_dual_add_f32 v13, v13, v23
	v_fma_f32 v24, v18, v18, -v25
	s_delay_alu instid0(VALU_DEP_4)
	v_dual_fmaak_f32 v27, v17, v27, 0x3d2aadcc :: v_dual_fmaak_f32 v30, v26, v30, 0x3d2aadcc
	v_fma_f32 v28, v17, v17, -v29
	v_dual_fmaak_f32 v19, v16, v19, 0x3e2aaa47 :: v_dual_fmaak_f32 v22, v18, v22, 0x3e2aaa47
	v_dual_add_f32 v33, v9, v9 :: v_dual_add_f32 v34, v10, v10
	v_fma_f32 v23, v26, v26, -v31
	v_fmac_f32_e32 v20, v16, v32
	v_add_f32_e32 v32, v13, v13
	s_delay_alu instid0(VALU_DEP_4) | instskip(SKIP_1) | instid1(VALU_DEP_4)
	v_dual_fmaak_f32 v27, v17, v27, 0x3e2aaa47 :: v_dual_fmac_f32 v24, v18, v33
	v_dual_fmaak_f32 v19, v16, v19, 0x3efffffc :: v_dual_fmaak_f32 v22, v18, v22, 0x3efffffc
	v_dual_fmaak_f32 v30, v26, v30, 0x3e2aaa47 :: v_dual_add_f32 v33, v21, v20
	s_delay_alu instid0(VALU_DEP_4) | instskip(NEXT) | instid1(VALU_DEP_4)
	v_dual_fmac_f32 v28, v17, v34 :: v_dual_fmac_f32 v23, v26, v32
	v_add_f32_e32 v34, v25, v24
	s_delay_alu instid0(VALU_DEP_3) | instskip(NEXT) | instid1(VALU_DEP_4)
	v_dual_fmaak_f32 v27, v17, v27, 0x3efffffc :: v_dual_fmaak_f32 v30, v26, v30, 0x3efffffc
	v_mul_f32_e32 v35, v19, v33
	s_delay_alu instid0(VALU_DEP_3) | instskip(SKIP_2) | instid1(VALU_DEP_3)
	v_dual_sub_f32 v21, v33, v21 :: v_dual_mul_f32 v36, v22, v34
	v_dual_add_f32 v37, v31, v23 :: v_dual_add_f32 v32, v29, v28
	v_sub_f32_e32 v25, v34, v25
	v_sub_f32_e32 v20, v20, v21
	v_fma_f32 v21, v33, v19, -v35
	s_delay_alu instid0(VALU_DEP_4)
	v_sub_f32_e32 v31, v37, v31
	v_dual_sub_f32 v29, v32, v29 :: v_dual_mul_f32 v38, v27, v32
	v_sub_f32_e32 v24, v24, v25
	v_fma_f32 v25, v34, v22, -v36
	v_fmac_f32_e32 v21, v20, v19
	v_sub_f32_e32 v19, v23, v31
	v_mul_f32_e32 v33, v30, v37
	v_cvt_i32_f32_e32 v14, v14
	v_fmac_f32_e32 v25, v24, v22
	v_cvt_i32_f32_e32 v15, v15
	s_delay_alu instid0(VALU_DEP_4) | instskip(NEXT) | instid1(VALU_DEP_1)
	v_fma_f32 v20, v37, v30, -v33
	v_dual_add_f32 v23, v36, v25 :: v_dual_fmac_f32 v20, v19, v30
	v_sub_f32_e32 v28, v28, v29
	v_fma_f32 v29, v32, v27, -v38
	s_delay_alu instid0(VALU_DEP_3) | instskip(NEXT) | instid1(VALU_DEP_2)
	v_add_f32_e32 v31, v33, v20
	v_dual_fmac_f32 v29, v28, v27 :: v_dual_sub_f32 v28, v23, v36
	v_add_f32_e32 v22, v35, v21
	s_delay_alu instid0(VALU_DEP_1) | instskip(SKIP_1) | instid1(VALU_DEP_4)
	v_dual_sub_f32 v24, v22, v35 :: v_dual_add_f32 v27, v16, v22
	v_add_f32_e32 v30, v18, v23
	v_add_f32_e32 v19, v38, v29
	s_delay_alu instid0(VALU_DEP_3) | instskip(NEXT) | instid1(VALU_DEP_4)
	v_sub_f32_e32 v21, v21, v24
	v_sub_f32_e32 v16, v27, v16
	s_delay_alu instid0(VALU_DEP_4) | instskip(NEXT) | instid1(VALU_DEP_4)
	v_sub_f32_e32 v18, v30, v18
	v_sub_f32_e32 v32, v19, v38
	v_add_f32_e32 v34, v17, v19
	v_dual_sub_f32 v24, v25, v28 :: v_dual_sub_f32 v25, v31, v33
	s_delay_alu instid0(VALU_DEP_3) | instskip(NEXT) | instid1(VALU_DEP_3)
	v_dual_add_f32 v28, v26, v31 :: v_dual_sub_f32 v29, v29, v32
	v_sub_f32_e32 v17, v34, v17
	v_sub_f32_e32 v16, v22, v16
	s_delay_alu instid0(VALU_DEP_4) | instskip(SKIP_2) | instid1(VALU_DEP_3)
	v_dual_add_f32 v8, v8, v21 :: v_dual_add_f32 v9, v9, v24
	v_sub_f32_e32 v20, v20, v25
	v_sub_f32_e32 v21, v28, v26
	v_dual_sub_f32 v17, v19, v17 :: v_dual_add_f32 v8, v8, v16
	v_add_f32_e32 v10, v10, v29
	s_delay_alu instid0(VALU_DEP_4) | instskip(NEXT) | instid1(VALU_DEP_2)
	v_dual_sub_f32 v18, v23, v18 :: v_dual_add_f32 v13, v13, v20
	v_dual_add_f32 v10, v10, v17 :: v_dual_add_f32 v17, v27, v8
	s_delay_alu instid0(VALU_DEP_2) | instskip(NEXT) | instid1(VALU_DEP_2)
	v_dual_sub_f32 v16, v31, v21 :: v_dual_add_f32 v9, v9, v18
	v_sub_f32_e32 v19, v17, v27
	s_delay_alu instid0(VALU_DEP_2) | instskip(NEXT) | instid1(VALU_DEP_1)
	v_dual_add_f32 v13, v13, v16 :: v_dual_add_f32 v16, v34, v10
	v_add_f32_e32 v23, v28, v13
	s_delay_alu instid0(VALU_DEP_2) | instskip(SKIP_1) | instid1(VALU_DEP_3)
	v_dual_add_f32 v18, v30, v9 :: v_dual_add_f32 v25, 1.0, v16
	v_add_f32_e32 v20, 1.0, v17
	v_dual_sub_f32 v26, v23, v28 :: v_dual_add_f32 v27, 1.0, v23
	s_delay_alu instid0(VALU_DEP_3) | instskip(SKIP_1) | instid1(VALU_DEP_4)
	v_sub_f32_e32 v21, v18, v30
	v_add_f32_e32 v22, 1.0, v18
	v_dual_sub_f32 v8, v8, v19 :: v_dual_add_f32 v19, -1.0, v20
	s_delay_alu instid0(VALU_DEP_3) | instskip(NEXT) | instid1(VALU_DEP_3)
	v_dual_sub_f32 v24, v16, v34 :: v_dual_sub_f32 v9, v9, v21
	v_dual_add_f32 v21, -1.0, v22 :: v_dual_add_f32 v28, -1.0, v25
	s_delay_alu instid0(VALU_DEP_2) | instskip(NEXT) | instid1(VALU_DEP_2)
	v_dual_sub_f32 v17, v17, v19 :: v_dual_sub_f32 v10, v10, v24
	v_dual_add_f32 v19, -1.0, v27 :: v_dual_sub_f32 v18, v18, v21
	s_delay_alu instid0(VALU_DEP_3) | instskip(NEXT) | instid1(VALU_DEP_2)
	v_dual_sub_f32 v13, v13, v26 :: v_dual_sub_f32 v16, v16, v28
	v_dual_add_f32 v8, v8, v17 :: v_dual_sub_f32 v17, v23, v19
	s_delay_alu instid0(VALU_DEP_2) | instskip(NEXT) | instid1(VALU_DEP_2)
	v_dual_add_f32 v9, v9, v18 :: v_dual_add_f32 v10, v10, v16
	v_dual_add_f32 v16, v20, v8 :: v_dual_add_f32 v13, v13, v17
	s_delay_alu instid0(VALU_DEP_2) | instskip(NEXT) | instid1(VALU_DEP_2)
	v_dual_add_f32 v17, v25, v10 :: v_dual_add_f32 v18, v22, v9
	v_sub_f32_e32 v19, v16, v20
	v_ldexp_f32 v16, v16, v11
	s_delay_alu instid0(VALU_DEP_3) | instskip(SKIP_1) | instid1(VALU_DEP_3)
	v_dual_add_f32 v21, v27, v13 :: v_dual_sub_f32 v20, v18, v22
	v_ldexp_f32 v18, v18, v12
	v_rcp_f32_e32 v23, v16
	v_sub_f32_e32 v22, v17, v25
	s_delay_alu instid0(VALU_DEP_3) | instskip(NEXT) | instid1(VALU_DEP_3)
	v_dual_sub_f32 v8, v8, v19 :: v_dual_sub_f32 v9, v9, v20
	v_rcp_f32_e32 v19, v18
	v_ldexp_f32 v17, v17, v14
	v_ldexp_f32 v24, v21, v15
	s_delay_alu instid0(VALU_DEP_3) | instskip(SKIP_1) | instid1(TRANS32_DEP_2)
	v_ldexp_f32 v8, v8, v11
	v_ldexp_f32 v9, v9, v12
	v_dual_mul_f32 v11, v16, v23 :: v_dual_sub_f32 v10, v10, v22
	v_rcp_f32_e32 v25, v17
	s_delay_alu instid0(VALU_DEP_1) | instskip(NEXT) | instid1(VALU_DEP_2)
	v_fma_f32 v22, v23, v16, -v11
	v_ldexp_f32 v10, v10, v14
	s_delay_alu instid0(TRANS32_DEP_2) | instskip(NEXT) | instid1(VALU_DEP_1)
	v_mul_f32_e32 v12, v18, v19
	v_fma_f32 v14, v19, v18, -v12
	s_delay_alu instid0(VALU_DEP_1) | instskip(SKIP_2) | instid1(VALU_DEP_2)
	v_fmac_f32_e32 v14, v19, v9
	v_sub_f32_e32 v20, v21, v27
	v_rcp_f32_e32 v21, v24
	v_add_f32_e32 v29, v12, v14
	s_delay_alu instid0(VALU_DEP_2) | instskip(NEXT) | instid1(VALU_DEP_1)
	v_sub_f32_e32 v13, v13, v20
	v_ldexp_f32 v13, v13, v15
	v_fmac_f32_e32 v22, v23, v8
	s_delay_alu instid0(VALU_DEP_1) | instskip(NEXT) | instid1(VALU_DEP_1)
	v_add_f32_e32 v28, v11, v22
	v_dual_mul_f32 v20, v17, v25 :: v_dual_sub_f32 v31, 1.0, v28
	s_delay_alu instid0(TRANS32_DEP_1) | instskip(NEXT) | instid1(VALU_DEP_2)
	v_mul_f32_e32 v26, v24, v21
	v_fma_f32 v27, v25, v17, -v20
	s_delay_alu instid0(VALU_DEP_3) | instskip(NEXT) | instid1(VALU_DEP_3)
	v_sub_f32_e32 v35, 1.0, v31
	v_fma_f32 v15, v21, v24, -v26
	s_delay_alu instid0(VALU_DEP_3) | instskip(NEXT) | instid1(VALU_DEP_2)
	v_fmac_f32_e32 v27, v25, v10
	v_fmac_f32_e32 v15, v21, v13
	s_delay_alu instid0(VALU_DEP_1) | instskip(SKIP_1) | instid1(VALU_DEP_4)
	v_add_f32_e32 v33, v26, v15
	v_sub_f32_e32 v11, v28, v11
	v_add_f32_e32 v30, v20, v27
	v_sub_f32_e32 v28, v35, v28
	s_delay_alu instid0(VALU_DEP_4) | instskip(NEXT) | instid1(VALU_DEP_4)
	v_sub_f32_e32 v26, v33, v26
	v_sub_f32_e32 v11, v11, v22
	s_delay_alu instid0(VALU_DEP_2) | instskip(NEXT) | instid1(VALU_DEP_1)
	v_dual_sub_f32 v34, 1.0, v30 :: v_dual_sub_f32 v15, v26, v15
	v_dual_add_f32 v11, v11, v28 :: v_dual_sub_f32 v36, 1.0, v34
	v_sub_f32_e32 v12, v29, v12
	v_sub_f32_e32 v20, v30, v20
	s_delay_alu instid0(VALU_DEP_3) | instskip(NEXT) | instid1(VALU_DEP_3)
	v_add_f32_e32 v26, v31, v11
	v_sub_f32_e32 v12, v12, v14
	v_sub_f32_e32 v14, 1.0, v33
	v_sub_f32_e32 v32, 1.0, v29
	v_sub_f32_e32 v20, v20, v27
	v_mul_f32_e32 v28, v23, v26
	s_delay_alu instid0(VALU_DEP_3) | instskip(NEXT) | instid1(VALU_DEP_1)
	v_dual_sub_f32 v27, 1.0, v14 :: v_dual_sub_f32 v22, 1.0, v32
	v_dual_mul_f32 v35, v16, v28 :: v_dual_sub_f32 v22, v22, v29
	v_sub_f32_e32 v29, v36, v30
	s_delay_alu instid0(VALU_DEP_2) | instskip(NEXT) | instid1(VALU_DEP_2)
	v_fma_f32 v39, v28, v16, -v35
	v_dual_add_f32 v20, v20, v29 :: v_dual_sub_f32 v29, v31, v26
	s_delay_alu instid0(VALU_DEP_2) | instskip(NEXT) | instid1(VALU_DEP_2)
	v_fmac_f32_e32 v39, v28, v8
	v_add_f32_e32 v11, v11, v29
	v_dual_add_f32 v29, v23, v28 :: v_dual_add_f32 v12, v12, v22
	v_sub_f32_e32 v22, v27, v33
	s_delay_alu instid0(VALU_DEP_2) | instskip(NEXT) | instid1(VALU_DEP_2)
	v_dual_add_f32 v46, v35, v39 :: v_dual_add_f32 v27, v32, v12
	v_add_f32_e32 v15, v15, v22
	s_delay_alu instid0(VALU_DEP_2) | instskip(NEXT) | instid1(VALU_DEP_3)
	v_sub_f32_e32 v35, v46, v35
	v_mul_f32_e32 v30, v19, v27
	v_sub_f32_e32 v31, v32, v27
	s_delay_alu instid0(VALU_DEP_4) | instskip(NEXT) | instid1(VALU_DEP_4)
	v_add_f32_e32 v32, v14, v15
	v_sub_f32_e32 v35, v35, v39
	s_delay_alu instid0(VALU_DEP_2) | instskip(SKIP_1) | instid1(VALU_DEP_2)
	v_dual_mul_f32 v37, v21, v32 :: v_dual_add_f32 v12, v12, v31
	v_dual_add_f32 v31, v19, v30 :: v_dual_add_f32 v22, v34, v20
	v_dual_sub_f32 v14, v14, v32 :: v_dual_mul_f32 v43, v24, v37
	v_sub_f32_e32 v48, v26, v46
	s_delay_alu instid0(VALU_DEP_3) | instskip(NEXT) | instid1(VALU_DEP_3)
	v_sub_f32_e32 v42, v31, v19
	v_dual_add_f32 v14, v15, v14 :: v_dual_add_f32 v15, v21, v37
	v_mul_f32_e32 v33, v25, v22
	v_sub_f32_e32 v34, v34, v22
	s_delay_alu instid0(VALU_DEP_2) | instskip(NEXT) | instid1(VALU_DEP_1)
	v_mul_f32_e32 v38, v17, v33
	v_fma_f32 v44, v33, v17, -v38
	s_delay_alu instid0(VALU_DEP_1) | instskip(NEXT) | instid1(VALU_DEP_1)
	v_fmac_f32_e32 v44, v33, v10
	v_add_f32_e32 v47, v38, v44
	v_mul_f32_e32 v36, v18, v30
	v_add_f32_e32 v20, v20, v34
	v_add_f32_e32 v34, v25, v33
	v_sub_f32_e32 v26, v26, v48
	v_sub_f32_e32 v51, v22, v47
	v_fma_f32 v41, v30, v18, -v36
	s_delay_alu instid0(VALU_DEP_4) | instskip(NEXT) | instid1(VALU_DEP_4)
	v_dual_sub_f32 v38, v47, v38 :: v_dual_sub_f32 v45, v34, v25
	v_sub_f32_e32 v26, v26, v46
	s_delay_alu instid0(VALU_DEP_4) | instskip(NEXT) | instid1(VALU_DEP_4)
	v_sub_f32_e32 v22, v22, v51
	v_fmac_f32_e32 v41, v30, v9
	v_sub_f32_e32 v30, v30, v42
	s_delay_alu instid0(VALU_DEP_3) | instskip(NEXT) | instid1(VALU_DEP_1)
	v_dual_add_f32 v11, v11, v26 :: v_dual_sub_f32 v22, v22, v47
	v_dual_add_f32 v42, v36, v41 :: v_dual_add_f32 v11, v35, v11
	s_delay_alu instid0(VALU_DEP_2) | instskip(NEXT) | instid1(VALU_DEP_2)
	v_add_f32_e32 v20, v20, v22
	v_dual_sub_f32 v49, v27, v42 :: v_dual_sub_f32 v26, v38, v44
	s_delay_alu instid0(VALU_DEP_3) | instskip(NEXT) | instid1(VALU_DEP_2)
	v_add_f32_e32 v11, v48, v11
	v_dual_sub_f32 v27, v27, v49 :: v_dual_sub_f32 v40, v29, v23
	s_delay_alu instid0(VALU_DEP_2) | instskip(NEXT) | instid1(VALU_DEP_2)
	v_dual_sub_f32 v36, v42, v36 :: v_dual_mul_f32 v11, v23, v11
	v_dual_add_f32 v20, v26, v20 :: v_dual_sub_f32 v27, v27, v42
	s_delay_alu instid0(VALU_DEP_3) | instskip(SKIP_2) | instid1(VALU_DEP_4)
	v_sub_f32_e32 v28, v28, v40
	v_fma_f32 v40, v37, v24, -v43
	v_sub_f32_e32 v26, v15, v21
	v_add_f32_e32 v20, v51, v20
	v_add_f32_e32 v12, v12, v27
	s_delay_alu instid0(VALU_DEP_4) | instskip(SKIP_1) | instid1(VALU_DEP_2)
	v_dual_add_f32 v11, v28, v11 :: v_dual_fmac_f32 v40, v37, v13
	v_sub_f32_e32 v36, v36, v41
	v_add_f32_e32 v50, v43, v40
	s_delay_alu instid0(VALU_DEP_1) | instskip(SKIP_1) | instid1(VALU_DEP_2)
	v_sub_f32_e32 v39, v32, v50
	v_sub_f32_e32 v41, v50, v43
	;; [unrolled: 1-line block ×3, first 2 shown]
	s_delay_alu instid0(VALU_DEP_1) | instskip(NEXT) | instid1(VALU_DEP_1)
	v_dual_sub_f32 v22, v41, v40 :: v_dual_sub_f32 v27, v32, v50
	v_add_f32_e32 v14, v14, v27
	s_delay_alu instid0(VALU_DEP_1) | instskip(NEXT) | instid1(VALU_DEP_1)
	v_add_f32_e32 v14, v22, v14
	v_add_f32_e32 v14, v39, v14
	s_delay_alu instid0(VALU_DEP_1) | instskip(SKIP_1) | instid1(VALU_DEP_1)
	v_mul_f32_e32 v14, v21, v14
	v_add_f32_e32 v21, v29, v11
	v_sub_f32_e32 v23, v21, v29
	v_ldexp_f32 v21, v21, -2
	s_delay_alu instid0(VALU_DEP_2) | instskip(NEXT) | instid1(VALU_DEP_2)
	v_sub_f32_e32 v11, v11, v23
	v_add_f32_e32 v23, v16, v21
	v_add_f32_e32 v12, v36, v12
	s_delay_alu instid0(VALU_DEP_3) | instskip(NEXT) | instid1(VALU_DEP_3)
	v_ldexp_f32 v11, v11, -2
	v_sub_f32_e32 v16, v23, v16
	s_delay_alu instid0(VALU_DEP_3) | instskip(NEXT) | instid1(VALU_DEP_3)
	v_add_f32_e32 v12, v49, v12
	v_add_f32_e32 v8, v8, v11
	s_delay_alu instid0(VALU_DEP_3) | instskip(NEXT) | instid1(VALU_DEP_3)
	v_sub_f32_e32 v16, v21, v16
	v_mul_f32_e32 v12, v19, v12
	v_mul_f32_e32 v19, v25, v20
	v_sub_f32_e32 v20, v37, v26
	s_delay_alu instid0(VALU_DEP_4) | instskip(NEXT) | instid1(VALU_DEP_4)
	v_add_f32_e32 v8, v8, v16
	v_add_f32_e32 v12, v30, v12
	s_delay_alu instid0(VALU_DEP_3) | instskip(NEXT) | instid1(VALU_DEP_3)
	v_add_f32_e32 v14, v20, v14
	v_add_f32_e32 v8, v23, v8
	v_sub_f32_e32 v22, v33, v45
	s_delay_alu instid0(VALU_DEP_2) | instskip(NEXT) | instid1(VALU_DEP_2)
	v_dual_add_f32 v26, v15, v14 :: v_dual_cndmask_b32 v5, 0x7f800000, v8
	v_dual_add_f32 v19, v22, v19 :: v_dual_add_f32 v22, v31, v12
	s_delay_alu instid0(VALU_DEP_2) | instskip(SKIP_2) | instid1(VALU_DEP_4)
	v_sub_f32_e32 v15, v26, v15
	v_ldexp_f32 v26, v26, -2
	v_cmp_nlt_f32_e64 vcc_lo, 0x42b2d4fc, |v0|
	v_add_f32_e32 v20, v34, v19
	v_sub_f32_e32 v25, v22, v31
	v_ldexp_f32 v22, v22, -2
	v_dual_sub_f32 v14, v14, v15 :: v_dual_add_f32 v15, v24, v26
	s_delay_alu instid0(VALU_DEP_4) | instskip(SKIP_1) | instid1(VALU_DEP_4)
	v_sub_f32_e32 v27, v20, v34
	v_ldexp_f32 v20, v20, -2
	v_dual_sub_f32 v12, v12, v25 :: v_dual_add_f32 v25, v18, v22
	s_delay_alu instid0(VALU_DEP_4) | instskip(NEXT) | instid1(VALU_DEP_4)
	v_ldexp_f32 v14, v14, -2
	v_sub_f32_e32 v19, v19, v27
	s_delay_alu instid0(VALU_DEP_4) | instskip(NEXT) | instid1(VALU_DEP_4)
	v_add_f32_e32 v27, v17, v20
	v_ldexp_f32 v12, v12, -2
	v_sub_f32_e32 v18, v25, v18
	v_add_f32_e32 v13, v13, v14
	v_ldexp_f32 v19, v19, -2
	v_sub_f32_e32 v17, v27, v17
	v_add_f32_e32 v9, v9, v12
	v_dual_sub_f32 v11, v22, v18 :: v_dual_sub_f32 v12, v15, v24
	s_delay_alu instid0(VALU_DEP_3) | instskip(NEXT) | instid1(VALU_DEP_2)
	v_dual_add_f32 v10, v10, v19 :: v_dual_sub_f32 v17, v20, v17
	v_dual_add_f32 v9, v9, v11 :: v_dual_sub_f32 v12, v26, v12
	s_delay_alu instid0(VALU_DEP_2) | instskip(NEXT) | instid1(VALU_DEP_2)
	v_add_f32_e32 v10, v10, v17
	v_add_f32_e32 v9, v25, v9
	s_delay_alu instid0(VALU_DEP_2) | instskip(NEXT) | instid1(VALU_DEP_2)
	v_dual_add_f32 v11, v13, v12 :: v_dual_add_f32 v10, v27, v10
	v_cndmask_b32_e32 v0, 0x7f800000, v9, vcc_lo
	v_cmp_nlt_f32_e64 vcc_lo, 0x42b2d4fc, |v7|
	s_delay_alu instid0(VALU_DEP_3) | instskip(SKIP_3) | instid1(VALU_DEP_3)
	v_add_f32_e32 v8, v15, v11
	v_bfe_u32 v9, v5, 16, 1
	v_cndmask_b32_e32 v7, 0x7f800000, v10, vcc_lo
	v_cmp_nlt_f32_e64 vcc_lo, 0x42b2d4fc, |v6|
	v_add3_u32 v9, v5, v9, 0x7fff
	s_delay_alu instid0(VALU_DEP_3)
	v_bfe_u32 v10, v7, 16, 1
	v_cndmask_b32_e32 v6, 0x7f800000, v8, vcc_lo
	v_bfe_u32 v8, v0, 16, 1
	v_cmp_o_f32_e32 vcc_lo, v0, v0
	v_lshrrev_b32_e32 v9, 16, v9
	v_add3_u32 v10, v7, v10, 0x7fff
	v_bfe_u32 v11, v6, 16, 1
	v_add3_u32 v8, v0, v8, 0x7fff
	s_delay_alu instid0(VALU_DEP_3) | instskip(NEXT) | instid1(VALU_DEP_3)
	v_and_b32_e32 v10, 0xffff0000, v10
	v_add3_u32 v11, v6, v11, 0x7fff
	s_delay_alu instid0(VALU_DEP_3) | instskip(NEXT) | instid1(VALU_DEP_2)
	v_and_b32_e32 v8, 0xffff0000, v8
	v_lshrrev_b32_e32 v11, 16, v11
	s_delay_alu instid0(VALU_DEP_2) | instskip(SKIP_3) | instid1(VALU_DEP_2)
	v_cndmask_b32_e32 v0, 0x7fc00000, v8, vcc_lo
	v_cmp_o_f32_e32 vcc_lo, v5, v5
	v_cndmask_b32_e32 v5, 0x7fc0, v9, vcc_lo
	v_cmp_o_f32_e32 vcc_lo, v7, v7
	v_or_b32_e32 v0, v5, v0
	v_cndmask_b32_e32 v7, 0x7fc00000, v10, vcc_lo
	v_cmp_o_f32_e32 vcc_lo, v6, v6
	s_delay_alu instid0(VALU_DEP_3) | instskip(SKIP_3) | instid1(VALU_DEP_1)
	v_or3_b32 v5, v0, 0, 0
	v_cndmask_b32_e32 v6, 0x7fc0, v11, vcc_lo
	v_cmp_le_i64_e32 vcc_lo, s[6:7], v[1:2]
	v_add_co_u32 v1, s1, v1, s4
	v_add_co_ci_u32_e64 v2, s1, 0, v2, s1
	s_delay_alu instid0(VALU_DEP_4) | instskip(SKIP_1) | instid1(SALU_CYCLE_1)
	v_or3_b32 v6, 0, v6, v7
	s_or_b32 s0, vcc_lo, s0
	s_and_b32 s0, exec_lo, s0
	global_store_b64 v[3:4], v[5:6], off
	v_add_co_u32 v3, vcc_lo, v3, s3
	v_add_co_ci_u32_e32 v4, vcc_lo, 0, v4, vcc_lo
	s_or_b32 s2, s0, s2
	s_delay_alu instid0(SALU_CYCLE_1)
	s_and_not1_b32 exec_lo, exec_lo, s2
	s_cbranch_execnz .LBB91_24
.LBB91_25:
	s_nop 0
	s_sendmsg sendmsg(MSG_DEALLOC_VGPRS)
	s_endpgm
	.section	.rodata,"a",@progbits
	.p2align	6, 0x0
	.amdhsa_kernel _ZN2at6native12_GLOBAL__N_125multi_tensor_apply_kernelINS1_18TensorListMetadataILi1EEENS1_14UnaryOpFunctorIN3c108BFloat16ELi1ELi1ELi0EEEJNS0_4CoshIfEEEEEvT_T0_DpT1_
		.amdhsa_group_segment_fixed_size 0
		.amdhsa_private_segment_fixed_size 0
		.amdhsa_kernarg_size 3632
		.amdhsa_user_sgpr_count 15
		.amdhsa_user_sgpr_dispatch_ptr 0
		.amdhsa_user_sgpr_queue_ptr 0
		.amdhsa_user_sgpr_kernarg_segment_ptr 1
		.amdhsa_user_sgpr_dispatch_id 0
		.amdhsa_user_sgpr_private_segment_size 0
		.amdhsa_wavefront_size32 1
		.amdhsa_uses_dynamic_stack 0
		.amdhsa_enable_private_segment 0
		.amdhsa_system_sgpr_workgroup_id_x 1
		.amdhsa_system_sgpr_workgroup_id_y 0
		.amdhsa_system_sgpr_workgroup_id_z 0
		.amdhsa_system_sgpr_workgroup_info 0
		.amdhsa_system_vgpr_workitem_id 0
		.amdhsa_next_free_vgpr 52
		.amdhsa_next_free_sgpr 21
		.amdhsa_reserve_vcc 1
		.amdhsa_float_round_mode_32 0
		.amdhsa_float_round_mode_16_64 0
		.amdhsa_float_denorm_mode_32 3
		.amdhsa_float_denorm_mode_16_64 3
		.amdhsa_dx10_clamp 1
		.amdhsa_ieee_mode 1
		.amdhsa_fp16_overflow 0
		.amdhsa_workgroup_processor_mode 1
		.amdhsa_memory_ordered 1
		.amdhsa_forward_progress 0
		.amdhsa_shared_vgpr_count 0
		.amdhsa_exception_fp_ieee_invalid_op 0
		.amdhsa_exception_fp_denorm_src 0
		.amdhsa_exception_fp_ieee_div_zero 0
		.amdhsa_exception_fp_ieee_overflow 0
		.amdhsa_exception_fp_ieee_underflow 0
		.amdhsa_exception_fp_ieee_inexact 0
		.amdhsa_exception_int_div_zero 0
	.end_amdhsa_kernel
	.section	.text._ZN2at6native12_GLOBAL__N_125multi_tensor_apply_kernelINS1_18TensorListMetadataILi1EEENS1_14UnaryOpFunctorIN3c108BFloat16ELi1ELi1ELi0EEEJNS0_4CoshIfEEEEEvT_T0_DpT1_,"axG",@progbits,_ZN2at6native12_GLOBAL__N_125multi_tensor_apply_kernelINS1_18TensorListMetadataILi1EEENS1_14UnaryOpFunctorIN3c108BFloat16ELi1ELi1ELi0EEEJNS0_4CoshIfEEEEEvT_T0_DpT1_,comdat
.Lfunc_end91:
	.size	_ZN2at6native12_GLOBAL__N_125multi_tensor_apply_kernelINS1_18TensorListMetadataILi1EEENS1_14UnaryOpFunctorIN3c108BFloat16ELi1ELi1ELi0EEEJNS0_4CoshIfEEEEEvT_T0_DpT1_, .Lfunc_end91-_ZN2at6native12_GLOBAL__N_125multi_tensor_apply_kernelINS1_18TensorListMetadataILi1EEENS1_14UnaryOpFunctorIN3c108BFloat16ELi1ELi1ELi0EEEJNS0_4CoshIfEEEEEvT_T0_DpT1_
                                        ; -- End function
	.section	.AMDGPU.csdata,"",@progbits
; Kernel info:
; codeLenInByte = 6988
; NumSgprs: 23
; NumVgprs: 52
; ScratchSize: 0
; MemoryBound: 0
; FloatMode: 240
; IeeeMode: 1
; LDSByteSize: 0 bytes/workgroup (compile time only)
; SGPRBlocks: 2
; VGPRBlocks: 6
; NumSGPRsForWavesPerEU: 23
; NumVGPRsForWavesPerEU: 52
; Occupancy: 16
; WaveLimiterHint : 0
; COMPUTE_PGM_RSRC2:SCRATCH_EN: 0
; COMPUTE_PGM_RSRC2:USER_SGPR: 15
; COMPUTE_PGM_RSRC2:TRAP_HANDLER: 0
; COMPUTE_PGM_RSRC2:TGID_X_EN: 1
; COMPUTE_PGM_RSRC2:TGID_Y_EN: 0
; COMPUTE_PGM_RSRC2:TGID_Z_EN: 0
; COMPUTE_PGM_RSRC2:TIDIG_COMP_CNT: 0
	.section	.text._ZN2at6native12_GLOBAL__N_125multi_tensor_apply_kernelINS1_18TensorListMetadataILi2EEENS1_14UnaryOpFunctorIdLi2ELi1ELi1EEEJNS0_3TanIdEEEEEvT_T0_DpT1_,"axG",@progbits,_ZN2at6native12_GLOBAL__N_125multi_tensor_apply_kernelINS1_18TensorListMetadataILi2EEENS1_14UnaryOpFunctorIdLi2ELi1ELi1EEEJNS0_3TanIdEEEEEvT_T0_DpT1_,comdat
	.globl	_ZN2at6native12_GLOBAL__N_125multi_tensor_apply_kernelINS1_18TensorListMetadataILi2EEENS1_14UnaryOpFunctorIdLi2ELi1ELi1EEEJNS0_3TanIdEEEEEvT_T0_DpT1_ ; -- Begin function _ZN2at6native12_GLOBAL__N_125multi_tensor_apply_kernelINS1_18TensorListMetadataILi2EEENS1_14UnaryOpFunctorIdLi2ELi1ELi1EEEJNS0_3TanIdEEEEEvT_T0_DpT1_
	.p2align	8
	.type	_ZN2at6native12_GLOBAL__N_125multi_tensor_apply_kernelINS1_18TensorListMetadataILi2EEENS1_14UnaryOpFunctorIdLi2ELi1ELi1EEEJNS0_3TanIdEEEEEvT_T0_DpT1_,@function
_ZN2at6native12_GLOBAL__N_125multi_tensor_apply_kernelINS1_18TensorListMetadataILi2EEENS1_14UnaryOpFunctorIdLi2ELi1ELi1EEEJNS0_3TanIdEEEEEvT_T0_DpT1_: ; @_ZN2at6native12_GLOBAL__N_125multi_tensor_apply_kernelINS1_18TensorListMetadataILi2EEENS1_14UnaryOpFunctorIdLi2ELi1ELi1EEEJNS0_3TanIdEEEEEvT_T0_DpT1_
; %bb.0:
	v_mov_b32_e32 v1, s15
	s_add_u32 s2, s0, s15
	s_mul_hi_u32 s3, s15, 3
	s_mul_i32 s15, s15, 3
	s_addc_u32 s4, s1, 0
	global_load_u8 v1, v1, s[0:1] offset:1536
	s_add_u32 s2, s2, s15
	s_addc_u32 s3, s4, s3
	s_mov_b32 s7, 0
	s_load_b32 s2, s[2:3], 0x740
	s_mov_b32 s9, s7
	s_mov_b32 s11, s7
	s_waitcnt vmcnt(0)
	v_readfirstlane_b32 s5, v1
	s_delay_alu instid0(VALU_DEP_1)
	s_lshl_b32 s3, s5, 3
	s_clause 0x2
	s_load_b64 s[16:17], s[0:1], s3 offset:0x0
	s_load_b64 s[18:19], s[0:1], s3 offset:0x200
	;; [unrolled: 1-line block ×3, first 2 shown]
	s_waitcnt lgkmcnt(0)
	s_ashr_i32 s3, s2, 31
	s_delay_alu instid0(SALU_CYCLE_1) | instskip(NEXT) | instid1(SALU_CYCLE_1)
	s_lshl_b64 s[12:13], s[2:3], 19
	s_add_u32 s33, s16, s12
	s_addc_u32 s64, s17, s13
	s_and_b32 s6, s33, 31
	s_add_u32 s65, s18, s12
	s_addc_u32 s66, s19, s13
	s_and_b32 s8, s4, 3
	s_and_b32 s10, s65, 31
	s_or_b64 s[6:7], s[6:7], s[8:9]
	s_lshl_b64 s[2:3], s[2:3], 16
	s_or_b64 s[6:7], s[10:11], s[6:7]
	s_sub_u32 s14, s4, s2
	s_subb_u32 s15, s5, s3
	s_cmp_eq_u64 s[6:7], 0
	s_mov_b32 s2, -1
	s_cbranch_scc0 .LBB92_21
; %bb.1:
	v_mov_b32_e32 v9, 0
	v_lshlrev_b32_e32 v1, 2, v0
	s_mov_b32 s67, exec_lo
	s_delay_alu instid0(VALU_DEP_2) | instskip(NEXT) | instid1(VALU_DEP_1)
	v_mov_b32_e32 v2, v9
	v_cmpx_gt_i64_e64 s[14:15], v[1:2]
	s_cbranch_execz .LBB92_20
; %bb.2:
	s_load_b32 s2, s[0:1], 0xc5c
	v_dual_mov_b32 v12, v9 :: v_dual_lshlrev_b32 v29, 5, v0
	s_mov_b32 s20, 0x54442d18
	s_mov_b32 s22, 0x6dc9c883
	s_mov_b32 s24, 0x33145c00
	s_mov_b32 s26, 0x252049c0
	s_mov_b32 s28, 0xa9a29f71
	s_mov_b32 s30, 0xc751c08c
	s_mov_b32 s34, 0x90a8aae0
	s_mov_b32 s36, 0xa6fbf144
	s_mov_b32 s38, 0xa7943acf
	s_mov_b32 s40, 0xdeb68feb
	s_mov_b32 s42, 0xb58c4d95
	s_mov_b32 s44, 0x15120e2c
	s_mov_b32 s46, 0xe09491df
	s_mov_b32 s48, 0x2033784d
	s_mov_b32 s50, 0x9ac36ae2
	s_mov_b32 s52, 0x1b451c21
	s_mov_b32 s54, 0x111185b7
	s_waitcnt lgkmcnt(0)
	s_and_b32 s2, s2, 0xffff
	s_mov_b32 s56, 0x555554ee
	v_add_lshl_u32 v11, v0, s2, 2
	s_mov_b32 s68, 0
	s_mov_b32 s21, 0xbff921fb
	;; [unrolled: 1-line block ×9, first 2 shown]
	s_lshl_b32 s69, s2, 2
	s_mov_b32 s39, 0x3f21e634
	s_mov_b32 s41, 0x3f2d250f
	;; [unrolled: 1-line block ×10, first 2 shown]
	s_lshl_b32 s70, s2, 5
	s_mov_b32 s59, 0x3ff921fb
	s_mov_b32 s61, 0x3c91a626
	;; [unrolled: 1-line block ×3, first 2 shown]
	s_branch .LBB92_4
.LBB92_3:                               ;   in Loop: Header=BB92_4 Depth=1
	s_or_b32 exec_lo, exec_lo, s2
	v_mul_f64 v[34:35], v[23:24], v[23:24]
	v_mul_f64 v[36:37], v[19:20], v[19:20]
	;; [unrolled: 1-line block ×4, first 2 shown]
	v_add_f64 v[42:43], v[21:22], v[21:22]
	v_add_f64 v[46:47], v[17:18], v[17:18]
	;; [unrolled: 1-line block ×4, first 2 shown]
	v_cmp_class_f64_e64 s2, v[5:6], 0x1f8
	v_cmp_class_f64_e64 s4, v[3:4], 0x1f8
	;; [unrolled: 1-line block ×4, first 2 shown]
	v_and_b32_e32 v10, 1, v32
	v_and_b32_e32 v30, 1, v30
	v_and_b32_e32 v31, 1, v31
	v_and_b32_e32 v4, 0x80000000, v4
	v_and_b32_e32 v2, 0x80000000, v2
	v_cmp_eq_u32_e32 vcc_lo, 0, v10
	v_cmp_eq_u32_e64 s5, 0, v30
	v_cmp_eq_u32_e64 s3, 0, v31
	v_cmp_le_i64_e64 s9, s[14:15], v[11:12]
	v_cmp_lt_u64_e64 s10, 0xffff, v[11:12]
	v_and_b32_e32 v8, 0x80000000, v8
	v_add_co_u32 v30, s11, s65, v29
	s_delay_alu instid0(VALU_DEP_1) | instskip(NEXT) | instid1(VALU_DEP_4)
	v_add_co_ci_u32_e64 v31, null, s66, 0, s11
	s_or_b32 s9, s9, s10
	s_add_u32 s33, s33, s70
	v_add_co_u32 v11, s11, v11, s69
	s_addc_u32 s64, s64, 0
	s_add_u32 s65, s65, s70
	v_add_co_ci_u32_e64 v12, s11, 0, v12, s11
	s_addc_u32 s66, s66, 0
	v_fma_f64 v[44:45], v[23:24], v[23:24], -v[34:35]
	v_fma_f64 v[48:49], v[19:20], v[19:20], -v[36:37]
	;; [unrolled: 1-line block ×4, first 2 shown]
	s_delay_alu instid0(VALU_DEP_4) | instskip(NEXT) | instid1(VALU_DEP_4)
	v_fma_f64 v[42:43], v[23:24], v[42:43], v[44:45]
	v_fma_f64 v[44:45], v[19:20], v[46:47], v[48:49]
	s_delay_alu instid0(VALU_DEP_4) | instskip(NEXT) | instid1(VALU_DEP_4)
	v_fma_f64 v[46:47], v[15:16], v[50:51], v[52:53]
	v_fma_f64 v[48:49], v[27:28], v[54:55], v[56:57]
	s_delay_alu instid0(VALU_DEP_4) | instskip(NEXT) | instid1(VALU_DEP_4)
	v_add_f64 v[34:35], v[34:35], v[42:43]
	v_add_f64 v[36:37], v[36:37], v[44:45]
	s_delay_alu instid0(VALU_DEP_4) | instskip(NEXT) | instid1(VALU_DEP_4)
	v_add_f64 v[38:39], v[38:39], v[46:47]
	v_add_f64 v[40:41], v[40:41], v[48:49]
	s_delay_alu instid0(VALU_DEP_4) | instskip(NEXT) | instid1(VALU_DEP_4)
	v_fma_f64 v[42:43], v[34:35], s[30:31], s[28:29]
	v_fma_f64 v[44:45], v[36:37], s[30:31], s[28:29]
	s_delay_alu instid0(VALU_DEP_4) | instskip(NEXT) | instid1(VALU_DEP_4)
	v_fma_f64 v[46:47], v[38:39], s[30:31], s[28:29]
	v_fma_f64 v[48:49], v[40:41], s[30:31], s[28:29]
	s_delay_alu instid0(VALU_DEP_4) | instskip(NEXT) | instid1(VALU_DEP_4)
	v_fma_f64 v[42:43], v[34:35], v[42:43], s[34:35]
	v_fma_f64 v[44:45], v[36:37], v[44:45], s[34:35]
	s_delay_alu instid0(VALU_DEP_4) | instskip(NEXT) | instid1(VALU_DEP_4)
	v_fma_f64 v[46:47], v[38:39], v[46:47], s[34:35]
	v_fma_f64 v[48:49], v[40:41], v[48:49], s[34:35]
	s_delay_alu instid0(VALU_DEP_4) | instskip(NEXT) | instid1(VALU_DEP_4)
	v_fma_f64 v[42:43], v[34:35], v[42:43], s[36:37]
	v_fma_f64 v[44:45], v[36:37], v[44:45], s[36:37]
	s_delay_alu instid0(VALU_DEP_4) | instskip(NEXT) | instid1(VALU_DEP_4)
	v_fma_f64 v[46:47], v[38:39], v[46:47], s[36:37]
	v_fma_f64 v[48:49], v[40:41], v[48:49], s[36:37]
	s_delay_alu instid0(VALU_DEP_4) | instskip(NEXT) | instid1(VALU_DEP_4)
	v_fma_f64 v[42:43], v[34:35], v[42:43], s[38:39]
	v_fma_f64 v[44:45], v[36:37], v[44:45], s[38:39]
	s_delay_alu instid0(VALU_DEP_4) | instskip(NEXT) | instid1(VALU_DEP_4)
	v_fma_f64 v[46:47], v[38:39], v[46:47], s[38:39]
	v_fma_f64 v[48:49], v[40:41], v[48:49], s[38:39]
	s_delay_alu instid0(VALU_DEP_4) | instskip(NEXT) | instid1(VALU_DEP_4)
	v_fma_f64 v[42:43], v[34:35], v[42:43], s[40:41]
	v_fma_f64 v[44:45], v[36:37], v[44:45], s[40:41]
	s_delay_alu instid0(VALU_DEP_4) | instskip(NEXT) | instid1(VALU_DEP_4)
	v_fma_f64 v[46:47], v[38:39], v[46:47], s[40:41]
	v_fma_f64 v[48:49], v[40:41], v[48:49], s[40:41]
	s_delay_alu instid0(VALU_DEP_4) | instskip(NEXT) | instid1(VALU_DEP_4)
	v_fma_f64 v[42:43], v[34:35], v[42:43], s[42:43]
	v_fma_f64 v[44:45], v[36:37], v[44:45], s[42:43]
	s_delay_alu instid0(VALU_DEP_4) | instskip(NEXT) | instid1(VALU_DEP_4)
	v_fma_f64 v[46:47], v[38:39], v[46:47], s[42:43]
	v_fma_f64 v[48:49], v[40:41], v[48:49], s[42:43]
	s_delay_alu instid0(VALU_DEP_4) | instskip(NEXT) | instid1(VALU_DEP_4)
	v_fma_f64 v[42:43], v[34:35], v[42:43], s[44:45]
	v_fma_f64 v[44:45], v[36:37], v[44:45], s[44:45]
	s_delay_alu instid0(VALU_DEP_4) | instskip(NEXT) | instid1(VALU_DEP_4)
	v_fma_f64 v[46:47], v[38:39], v[46:47], s[44:45]
	v_fma_f64 v[48:49], v[40:41], v[48:49], s[44:45]
	s_delay_alu instid0(VALU_DEP_4) | instskip(NEXT) | instid1(VALU_DEP_4)
	v_fma_f64 v[42:43], v[34:35], v[42:43], s[46:47]
	v_fma_f64 v[44:45], v[36:37], v[44:45], s[46:47]
	s_delay_alu instid0(VALU_DEP_4) | instskip(NEXT) | instid1(VALU_DEP_4)
	v_fma_f64 v[46:47], v[38:39], v[46:47], s[46:47]
	v_fma_f64 v[48:49], v[40:41], v[48:49], s[46:47]
	s_delay_alu instid0(VALU_DEP_4) | instskip(NEXT) | instid1(VALU_DEP_4)
	v_fma_f64 v[42:43], v[34:35], v[42:43], s[48:49]
	v_fma_f64 v[44:45], v[36:37], v[44:45], s[48:49]
	s_delay_alu instid0(VALU_DEP_4) | instskip(NEXT) | instid1(VALU_DEP_4)
	v_fma_f64 v[46:47], v[38:39], v[46:47], s[48:49]
	v_fma_f64 v[48:49], v[40:41], v[48:49], s[48:49]
	s_delay_alu instid0(VALU_DEP_4) | instskip(NEXT) | instid1(VALU_DEP_4)
	v_fma_f64 v[42:43], v[34:35], v[42:43], s[50:51]
	v_fma_f64 v[44:45], v[36:37], v[44:45], s[50:51]
	s_delay_alu instid0(VALU_DEP_4) | instskip(NEXT) | instid1(VALU_DEP_4)
	v_fma_f64 v[46:47], v[38:39], v[46:47], s[50:51]
	v_fma_f64 v[48:49], v[40:41], v[48:49], s[50:51]
	s_delay_alu instid0(VALU_DEP_4) | instskip(NEXT) | instid1(VALU_DEP_4)
	v_fma_f64 v[42:43], v[34:35], v[42:43], s[52:53]
	v_fma_f64 v[44:45], v[36:37], v[44:45], s[52:53]
	s_delay_alu instid0(VALU_DEP_4) | instskip(NEXT) | instid1(VALU_DEP_4)
	v_fma_f64 v[46:47], v[38:39], v[46:47], s[52:53]
	v_fma_f64 v[48:49], v[40:41], v[48:49], s[52:53]
	s_delay_alu instid0(VALU_DEP_4) | instskip(NEXT) | instid1(VALU_DEP_4)
	v_fma_f64 v[42:43], v[34:35], v[42:43], s[54:55]
	v_fma_f64 v[44:45], v[36:37], v[44:45], s[54:55]
	s_delay_alu instid0(VALU_DEP_4) | instskip(NEXT) | instid1(VALU_DEP_4)
	v_fma_f64 v[46:47], v[38:39], v[46:47], s[54:55]
	v_fma_f64 v[48:49], v[40:41], v[48:49], s[54:55]
	s_delay_alu instid0(VALU_DEP_4) | instskip(NEXT) | instid1(VALU_DEP_4)
	v_fma_f64 v[42:43], v[34:35], v[42:43], s[56:57]
	v_fma_f64 v[44:45], v[36:37], v[44:45], s[56:57]
	s_delay_alu instid0(VALU_DEP_4) | instskip(NEXT) | instid1(VALU_DEP_4)
	v_fma_f64 v[46:47], v[38:39], v[46:47], s[56:57]
	v_fma_f64 v[48:49], v[40:41], v[48:49], s[56:57]
	s_delay_alu instid0(VALU_DEP_4) | instskip(NEXT) | instid1(VALU_DEP_4)
	v_mul_f64 v[34:35], v[34:35], v[42:43]
	v_mul_f64 v[36:37], v[36:37], v[44:45]
	s_delay_alu instid0(VALU_DEP_4) | instskip(NEXT) | instid1(VALU_DEP_4)
	v_mul_f64 v[38:39], v[38:39], v[46:47]
	v_mul_f64 v[40:41], v[40:41], v[48:49]
	;; [unrolled: 3-line block ×4, first 2 shown]
	s_delay_alu instid0(VALU_DEP_4) | instskip(NEXT) | instid1(VALU_DEP_4)
	v_add_f64 v[50:51], v[23:24], v[42:43]
	v_add_f64 v[52:53], v[19:20], v[44:45]
	s_delay_alu instid0(VALU_DEP_4) | instskip(NEXT) | instid1(VALU_DEP_4)
	v_add_f64 v[54:55], v[15:16], v[46:47]
	v_add_f64 v[56:57], v[27:28], v[48:49]
	v_fma_f64 v[34:35], v[23:24], v[34:35], -v[42:43]
	v_fma_f64 v[36:37], v[19:20], v[36:37], -v[44:45]
	;; [unrolled: 1-line block ×4, first 2 shown]
	v_add_f64 v[23:24], v[50:51], -v[23:24]
	v_add_f64 v[19:20], v[52:53], -v[19:20]
	;; [unrolled: 1-line block ×4, first 2 shown]
	v_add_f64 v[21:22], v[21:22], v[34:35]
	v_add_f64 v[17:18], v[17:18], v[36:37]
	;; [unrolled: 1-line block ×4, first 2 shown]
	v_add_f64 v[23:24], v[42:43], -v[23:24]
	v_add_f64 v[19:20], v[44:45], -v[19:20]
	;; [unrolled: 1-line block ×4, first 2 shown]
	s_delay_alu instid0(VALU_DEP_4) | instskip(NEXT) | instid1(VALU_DEP_4)
	v_add_f64 v[21:22], v[21:22], v[23:24]
	v_add_f64 v[17:18], v[17:18], v[19:20]
	s_delay_alu instid0(VALU_DEP_4) | instskip(NEXT) | instid1(VALU_DEP_4)
	v_add_f64 v[13:14], v[13:14], v[15:16]
	v_add_f64 v[15:16], v[25:26], v[27:28]
	;; [unrolled: 3-line block ×4, first 2 shown]
	s_delay_alu instid0(VALU_DEP_4) | instskip(NEXT) | instid1(VALU_DEP_3)
	v_rcp_f64_e32 v[34:35], v[19:20]
	v_rcp_f64_e32 v[36:37], v[23:24]
	s_delay_alu instid0(VALU_DEP_2) | instskip(NEXT) | instid1(VALU_DEP_1)
	v_rcp_f64_e32 v[38:39], v[25:26]
	v_rcp_f64_e32 v[40:41], v[27:28]
	v_fma_f64 v[42:43], -v[19:20], v[34:35], 1.0
	s_delay_alu instid0(TRANS32_DEP_3)
	v_fma_f64 v[44:45], -v[23:24], v[36:37], 1.0
	s_waitcnt_depctr 0xfff
	v_fma_f64 v[46:47], -v[25:26], v[38:39], 1.0
	v_fma_f64 v[48:49], -v[27:28], v[40:41], 1.0
	v_fma_f64 v[34:35], v[42:43], v[34:35], v[34:35]
	v_fma_f64 v[36:37], v[44:45], v[36:37], v[36:37]
	s_delay_alu instid0(VALU_DEP_4) | instskip(NEXT) | instid1(VALU_DEP_4)
	v_fma_f64 v[38:39], v[46:47], v[38:39], v[38:39]
	v_fma_f64 v[40:41], v[48:49], v[40:41], v[40:41]
	s_delay_alu instid0(VALU_DEP_4) | instskip(NEXT) | instid1(VALU_DEP_4)
	v_fma_f64 v[42:43], -v[19:20], v[34:35], 1.0
	v_fma_f64 v[44:45], -v[23:24], v[36:37], 1.0
	s_delay_alu instid0(VALU_DEP_4) | instskip(NEXT) | instid1(VALU_DEP_4)
	v_fma_f64 v[46:47], -v[25:26], v[38:39], 1.0
	v_fma_f64 v[48:49], -v[27:28], v[40:41], 1.0
	s_delay_alu instid0(VALU_DEP_4) | instskip(NEXT) | instid1(VALU_DEP_4)
	v_fma_f64 v[34:35], v[42:43], v[34:35], v[34:35]
	v_fma_f64 v[36:37], v[44:45], v[36:37], v[36:37]
	s_delay_alu instid0(VALU_DEP_4) | instskip(NEXT) | instid1(VALU_DEP_4)
	v_fma_f64 v[38:39], v[46:47], v[38:39], v[38:39]
	v_fma_f64 v[40:41], v[48:49], v[40:41], v[40:41]
	v_add_f64 v[42:43], v[19:20], -v[50:51]
	v_add_f64 v[46:47], v[23:24], -v[52:53]
	;; [unrolled: 1-line block ×4, first 2 shown]
	v_mul_f64 v[44:45], v[19:20], v[34:35]
	v_mul_f64 v[48:49], v[23:24], v[36:37]
	;; [unrolled: 1-line block ×4, first 2 shown]
	v_add_f64 v[21:22], v[21:22], -v[42:43]
	v_add_f64 v[17:18], v[17:18], -v[46:47]
	;; [unrolled: 1-line block ×4, first 2 shown]
	v_fma_f64 v[42:43], v[34:35], v[19:20], -v[44:45]
	v_fma_f64 v[46:47], v[36:37], v[23:24], -v[48:49]
	;; [unrolled: 1-line block ×4, first 2 shown]
	s_delay_alu instid0(VALU_DEP_4) | instskip(NEXT) | instid1(VALU_DEP_4)
	v_fma_f64 v[21:22], v[34:35], v[21:22], v[42:43]
	v_fma_f64 v[17:18], v[36:37], v[17:18], v[46:47]
	s_delay_alu instid0(VALU_DEP_4) | instskip(NEXT) | instid1(VALU_DEP_4)
	v_fma_f64 v[13:14], v[38:39], v[13:14], v[50:51]
	v_fma_f64 v[15:16], v[40:41], v[15:16], v[54:55]
	s_delay_alu instid0(VALU_DEP_4) | instskip(NEXT) | instid1(VALU_DEP_4)
	v_add_f64 v[42:43], v[44:45], v[21:22]
	v_add_f64 v[46:47], v[48:49], v[17:18]
	s_delay_alu instid0(VALU_DEP_4) | instskip(NEXT) | instid1(VALU_DEP_4)
	v_add_f64 v[50:51], v[52:53], v[13:14]
	v_add_f64 v[54:55], v[56:57], v[15:16]
	s_delay_alu instid0(VALU_DEP_4) | instskip(NEXT) | instid1(VALU_DEP_4)
	v_add_f64 v[58:59], -v[42:43], 1.0
	v_add_f64 v[60:61], -v[46:47], 1.0
	s_delay_alu instid0(VALU_DEP_4) | instskip(NEXT) | instid1(VALU_DEP_4)
	v_add_f64 v[62:63], -v[50:51], 1.0
	v_add_f64 v[64:65], -v[54:55], 1.0
	v_add_f64 v[44:45], v[42:43], -v[44:45]
	v_add_f64 v[48:49], v[46:47], -v[48:49]
	;; [unrolled: 1-line block ×4, first 2 shown]
	v_add_f64 v[66:67], -v[58:59], 1.0
	v_add_f64 v[68:69], -v[60:61], 1.0
	;; [unrolled: 1-line block ×4, first 2 shown]
	v_add_f64 v[21:22], v[44:45], -v[21:22]
	v_add_f64 v[17:18], v[48:49], -v[17:18]
	;; [unrolled: 1-line block ×8, first 2 shown]
	s_delay_alu instid0(VALU_DEP_4) | instskip(NEXT) | instid1(VALU_DEP_4)
	v_add_f64 v[21:22], v[21:22], v[42:43]
	v_add_f64 v[17:18], v[17:18], v[44:45]
	s_delay_alu instid0(VALU_DEP_4) | instskip(NEXT) | instid1(VALU_DEP_4)
	v_add_f64 v[13:14], v[13:14], v[46:47]
	v_add_f64 v[15:16], v[15:16], v[48:49]
	;; [unrolled: 3-line block ×4, first 2 shown]
	s_delay_alu instid0(VALU_DEP_4) | instskip(NEXT) | instid1(VALU_DEP_4)
	v_mul_f64 v[21:22], v[34:35], v[21:22]
	v_mul_f64 v[17:18], v[36:37], v[17:18]
	s_delay_alu instid0(VALU_DEP_4) | instskip(NEXT) | instid1(VALU_DEP_4)
	v_mul_f64 v[13:14], v[38:39], v[13:14]
	v_mul_f64 v[15:16], v[40:41], v[15:16]
	s_delay_alu instid0(VALU_DEP_4) | instskip(NEXT) | instid1(VALU_DEP_4)
	v_add_f64 v[21:22], v[34:35], v[21:22]
	v_add_f64 v[17:18], v[36:37], v[17:18]
	s_delay_alu instid0(VALU_DEP_4) | instskip(NEXT) | instid1(VALU_DEP_4)
	v_add_f64 v[13:14], v[38:39], v[13:14]
	v_add_f64 v[15:16], v[40:41], v[15:16]
	s_delay_alu instid0(VALU_DEP_4) | instskip(NEXT) | instid1(VALU_DEP_1)
	v_dual_cndmask_b32 v10, v21, v19 :: v_dual_and_b32 v33, 1, v33
	v_cmp_eq_u32_e64 s7, 0, v33
	s_delay_alu instid0(VALU_DEP_4)
	v_cndmask_b32_e64 v3, v13, v25, s5
	v_xor_b32_e32 v1, 0x80000000, v22
	v_xor_b32_e32 v7, 0x80000000, v18
	;; [unrolled: 1-line block ×4, first 2 shown]
	v_and_b32_e32 v32, 0x80000000, v6
	v_cndmask_b32_e64 v6, v15, v27, s7
	v_cndmask_b32_e32 v15, v1, v20, vcc_lo
	v_cndmask_b32_e64 v1, 0, v10, s2
	v_cndmask_b32_e64 v10, v7, v24, s3
	;; [unrolled: 1-line block ×5, first 2 shown]
	v_xor_b32_e32 v15, v15, v32
	v_xor_b32_e32 v4, v10, v4
	;; [unrolled: 1-line block ×4, first 2 shown]
	v_cndmask_b32_e64 v7, 0, v5, s4
	v_cndmask_b32_e64 v5, 0, v3, s6
	;; [unrolled: 1-line block ×7, first 2 shown]
	s_and_b32 s2, exec_lo, s9
	s_clause 0x1
	global_store_b128 v[30:31], v[5:8], off
	global_store_b128 v[30:31], v[1:4], off offset:16
	s_or_b32 s68, s2, s68
	s_delay_alu instid0(SALU_CYCLE_1)
	s_and_not1_b32 exec_lo, exec_lo, s68
	s_cbranch_execz .LBB92_20
.LBB92_4:                               ; =>This Inner Loop Header: Depth=1
	v_add_co_u32 v5, s2, s33, v29
	s_delay_alu instid0(VALU_DEP_1)
	v_add_co_ci_u32_e64 v6, null, s64, 0, s2
	s_mov_b32 s3, exec_lo
                                        ; implicit-def: $vgpr30
                                        ; implicit-def: $vgpr15_vgpr16
                                        ; implicit-def: $vgpr13_vgpr14
	s_clause 0x1
	global_load_b128 v[1:4], v[5:6], off
	global_load_b128 v[5:8], v[5:6], off offset:16
	s_waitcnt vmcnt(1)
	v_cmpx_ngt_f64_e64 0x41d00000, |v[1:2]|
	s_xor_b32 s3, exec_lo, s3
	s_cbranch_execz .LBB92_6
; %bb.5:                                ;   in Loop: Header=BB92_4 Depth=1
	v_ldexp_f64 v[13:14], |v[1:2]|, 0xffffff80
	v_cmp_le_f64_e64 vcc_lo, 0x7b000000, |v[1:2]|
	v_trig_preop_f64 v[15:16], |v[1:2]|, 0
	v_and_b32_e32 v10, 0x7fffffff, v2
	v_trig_preop_f64 v[17:18], |v[1:2]|, 1
	v_trig_preop_f64 v[27:28], |v[1:2]|, 2
	s_mov_b32 s58, s20
	s_mov_b32 s63, s61
	v_dual_cndmask_b32 v13, v1, v13 :: v_dual_cndmask_b32 v14, v10, v14
	s_delay_alu instid0(VALU_DEP_1) | instskip(NEXT) | instid1(VALU_DEP_4)
	v_mul_f64 v[19:20], v[15:16], v[13:14]
	v_mul_f64 v[21:22], v[17:18], v[13:14]
	s_delay_alu instid0(VALU_DEP_2) | instskip(NEXT) | instid1(VALU_DEP_2)
	v_fma_f64 v[15:16], v[15:16], v[13:14], -v[19:20]
	v_fma_f64 v[17:18], v[17:18], v[13:14], -v[21:22]
	s_delay_alu instid0(VALU_DEP_2) | instskip(NEXT) | instid1(VALU_DEP_1)
	v_add_f64 v[23:24], v[21:22], v[15:16]
	v_add_f64 v[25:26], v[23:24], -v[21:22]
	v_add_f64 v[32:33], v[19:20], v[23:24]
	s_delay_alu instid0(VALU_DEP_2) | instskip(SKIP_1) | instid1(VALU_DEP_3)
	v_add_f64 v[30:31], v[23:24], -v[25:26]
	v_add_f64 v[15:16], v[15:16], -v[25:26]
	v_ldexp_f64 v[25:26], v[32:33], -2
	v_add_f64 v[19:20], v[32:33], -v[19:20]
	s_delay_alu instid0(VALU_DEP_4) | instskip(NEXT) | instid1(VALU_DEP_3)
	v_add_f64 v[21:22], v[21:22], -v[30:31]
	v_cmp_neq_f64_e64 vcc_lo, 0x7ff00000, |v[25:26]|
	s_delay_alu instid0(VALU_DEP_3) | instskip(NEXT) | instid1(VALU_DEP_3)
	v_add_f64 v[19:20], v[23:24], -v[19:20]
	v_add_f64 v[15:16], v[15:16], v[21:22]
	v_fract_f64_e32 v[21:22], v[25:26]
	s_delay_alu instid0(VALU_DEP_1) | instskip(SKIP_1) | instid1(VALU_DEP_3)
	v_cndmask_b32_e32 v21, 0, v21, vcc_lo
	v_mul_f64 v[34:35], v[27:28], v[13:14]
	v_cndmask_b32_e32 v22, 0, v22, vcc_lo
	s_delay_alu instid0(VALU_DEP_1) | instskip(NEXT) | instid1(VALU_DEP_3)
	v_ldexp_f64 v[21:22], v[21:22], 2
	v_add_f64 v[30:31], v[34:35], v[17:18]
	v_fma_f64 v[13:14], v[27:28], v[13:14], -v[34:35]
	s_delay_alu instid0(VALU_DEP_2) | instskip(NEXT) | instid1(VALU_DEP_1)
	v_add_f64 v[23:24], v[30:31], v[15:16]
	v_add_f64 v[25:26], v[19:20], v[23:24]
	v_add_f64 v[36:37], v[23:24], -v[30:31]
	s_delay_alu instid0(VALU_DEP_2) | instskip(NEXT) | instid1(VALU_DEP_2)
	v_add_f64 v[32:33], v[25:26], v[21:22]
	v_add_f64 v[42:43], v[23:24], -v[36:37]
	v_add_f64 v[15:16], v[15:16], -v[36:37]
	;; [unrolled: 1-line block ×3, first 2 shown]
	s_delay_alu instid0(VALU_DEP_4) | instskip(SKIP_1) | instid1(VALU_DEP_3)
	v_cmp_gt_f64_e32 vcc_lo, 0, v[32:33]
	v_add_f64 v[32:33], v[30:31], -v[34:35]
	v_add_f64 v[19:20], v[23:24], -v[19:20]
	v_cndmask_b32_e64 v10, 0, 0x40100000, vcc_lo
	s_delay_alu instid0(VALU_DEP_3) | instskip(SKIP_2) | instid1(VALU_DEP_4)
	v_add_f64 v[40:41], v[30:31], -v[32:33]
	v_add_f64 v[17:18], v[17:18], -v[32:33]
	;; [unrolled: 1-line block ×3, first 2 shown]
	v_add_f64 v[21:22], v[21:22], v[9:10]
	s_delay_alu instid0(VALU_DEP_4) | instskip(NEXT) | instid1(VALU_DEP_3)
	v_add_f64 v[32:33], v[34:35], -v[40:41]
	v_add_f64 v[15:16], v[15:16], v[30:31]
	s_delay_alu instid0(VALU_DEP_3) | instskip(NEXT) | instid1(VALU_DEP_3)
	v_add_f64 v[38:39], v[25:26], v[21:22]
	v_add_f64 v[17:18], v[17:18], v[32:33]
	s_delay_alu instid0(VALU_DEP_2) | instskip(NEXT) | instid1(VALU_DEP_2)
	v_cvt_i32_f64_e32 v10, v[38:39]
	v_add_f64 v[15:16], v[17:18], v[15:16]
	s_delay_alu instid0(VALU_DEP_2) | instskip(NEXT) | instid1(VALU_DEP_2)
	v_cvt_f64_i32_e32 v[36:37], v10
	v_add_f64 v[13:14], v[13:14], v[15:16]
	s_delay_alu instid0(VALU_DEP_2) | instskip(NEXT) | instid1(VALU_DEP_2)
	v_add_f64 v[21:22], v[21:22], -v[36:37]
	v_add_f64 v[13:14], v[19:20], v[13:14]
	s_delay_alu instid0(VALU_DEP_2) | instskip(NEXT) | instid1(VALU_DEP_1)
	v_add_f64 v[17:18], v[25:26], v[21:22]
	v_add_f64 v[15:16], v[17:18], -v[21:22]
	v_cmp_le_f64_e32 vcc_lo, 0.5, v[17:18]
	s_delay_alu instid0(VALU_DEP_2) | instskip(SKIP_2) | instid1(VALU_DEP_3)
	v_add_f64 v[15:16], v[25:26], -v[15:16]
	v_add_co_ci_u32_e64 v30, s2, 0, v10, vcc_lo
	v_cndmask_b32_e64 v10, 0, 0x3ff00000, vcc_lo
	v_add_f64 v[13:14], v[13:14], v[15:16]
	s_delay_alu instid0(VALU_DEP_2) | instskip(NEXT) | instid1(VALU_DEP_1)
	v_add_f64 v[15:16], v[17:18], -v[9:10]
	v_add_f64 v[17:18], v[15:16], v[13:14]
	s_delay_alu instid0(VALU_DEP_1) | instskip(SKIP_1) | instid1(VALU_DEP_2)
	v_mul_f64 v[19:20], v[17:18], s[58:59]
	v_add_f64 v[15:16], v[17:18], -v[15:16]
	v_fma_f64 v[21:22], v[17:18], s[58:59], -v[19:20]
	s_delay_alu instid0(VALU_DEP_2) | instskip(NEXT) | instid1(VALU_DEP_2)
	v_add_f64 v[13:14], v[13:14], -v[15:16]
	v_fma_f64 v[15:16], v[17:18], s[62:63], v[21:22]
	s_delay_alu instid0(VALU_DEP_1) | instskip(NEXT) | instid1(VALU_DEP_1)
	v_fma_f64 v[13:14], v[13:14], s[58:59], v[15:16]
	v_add_f64 v[15:16], v[19:20], v[13:14]
	s_delay_alu instid0(VALU_DEP_1) | instskip(NEXT) | instid1(VALU_DEP_1)
	v_add_f64 v[17:18], v[15:16], -v[19:20]
	v_add_f64 v[13:14], v[13:14], -v[17:18]
.LBB92_6:                               ;   in Loop: Header=BB92_4 Depth=1
	s_and_not1_saveexec_b32 s2, s3
	s_cbranch_execz .LBB92_8
; %bb.7:                                ;   in Loop: Header=BB92_4 Depth=1
	v_mul_f64 v[13:14], |v[1:2]|, s[22:23]
	s_mov_b32 s60, s24
	s_delay_alu instid0(VALU_DEP_1) | instskip(NEXT) | instid1(VALU_DEP_1)
	v_rndne_f64_e32 v[17:18], v[13:14]
	v_fma_f64 v[13:14], v[17:18], s[20:21], |v[1:2]|
	v_mul_f64 v[15:16], v[17:18], s[24:25]
	v_cvt_i32_f64_e32 v30, v[17:18]
	s_delay_alu instid0(VALU_DEP_3) | instskip(NEXT) | instid1(VALU_DEP_3)
	v_fma_f64 v[21:22], v[17:18], s[24:25], v[13:14]
	v_add_f64 v[19:20], v[13:14], v[15:16]
	s_delay_alu instid0(VALU_DEP_1) | instskip(NEXT) | instid1(VALU_DEP_3)
	v_add_f64 v[13:14], v[13:14], -v[19:20]
	v_add_f64 v[19:20], v[19:20], -v[21:22]
	s_delay_alu instid0(VALU_DEP_2) | instskip(SKIP_1) | instid1(VALU_DEP_2)
	v_add_f64 v[13:14], v[13:14], v[15:16]
	v_fma_f64 v[15:16], v[17:18], s[60:61], v[15:16]
	v_add_f64 v[13:14], v[19:20], v[13:14]
	s_delay_alu instid0(VALU_DEP_1) | instskip(NEXT) | instid1(VALU_DEP_1)
	v_add_f64 v[13:14], v[13:14], -v[15:16]
	v_fma_f64 v[13:14], v[17:18], s[26:27], v[13:14]
	s_delay_alu instid0(VALU_DEP_1) | instskip(NEXT) | instid1(VALU_DEP_1)
	v_add_f64 v[15:16], v[21:22], v[13:14]
	v_add_f64 v[19:20], v[15:16], -v[21:22]
	s_delay_alu instid0(VALU_DEP_1)
	v_add_f64 v[13:14], v[13:14], -v[19:20]
.LBB92_8:                               ;   in Loop: Header=BB92_4 Depth=1
	s_or_b32 exec_lo, exec_lo, s2
	s_delay_alu instid0(SALU_CYCLE_1)
	s_mov_b32 s3, exec_lo
                                        ; implicit-def: $vgpr31
                                        ; implicit-def: $vgpr19_vgpr20
                                        ; implicit-def: $vgpr17_vgpr18
	v_cmpx_ngt_f64_e64 0x41d00000, |v[3:4]|
	s_xor_b32 s3, exec_lo, s3
	s_cbranch_execz .LBB92_10
; %bb.9:                                ;   in Loop: Header=BB92_4 Depth=1
	v_ldexp_f64 v[17:18], |v[3:4]|, 0xffffff80
	v_cmp_le_f64_e64 vcc_lo, 0x7b000000, |v[3:4]|
	v_trig_preop_f64 v[19:20], |v[3:4]|, 0
	v_and_b32_e32 v10, 0x7fffffff, v4
	v_trig_preop_f64 v[21:22], |v[3:4]|, 1
	v_trig_preop_f64 v[33:34], |v[3:4]|, 2
	s_mov_b32 s58, s20
	s_mov_b32 s63, s61
	v_dual_cndmask_b32 v17, v3, v17 :: v_dual_cndmask_b32 v18, v10, v18
	s_delay_alu instid0(VALU_DEP_1) | instskip(NEXT) | instid1(VALU_DEP_4)
	v_mul_f64 v[23:24], v[19:20], v[17:18]
	v_mul_f64 v[25:26], v[21:22], v[17:18]
	s_delay_alu instid0(VALU_DEP_2) | instskip(NEXT) | instid1(VALU_DEP_2)
	v_fma_f64 v[19:20], v[19:20], v[17:18], -v[23:24]
	v_fma_f64 v[21:22], v[21:22], v[17:18], -v[25:26]
	s_delay_alu instid0(VALU_DEP_2) | instskip(NEXT) | instid1(VALU_DEP_1)
	v_add_f64 v[27:28], v[25:26], v[19:20]
	v_add_f64 v[31:32], v[27:28], -v[25:26]
	v_add_f64 v[37:38], v[23:24], v[27:28]
	s_delay_alu instid0(VALU_DEP_2) | instskip(SKIP_1) | instid1(VALU_DEP_3)
	v_add_f64 v[35:36], v[27:28], -v[31:32]
	v_add_f64 v[19:20], v[19:20], -v[31:32]
	v_ldexp_f64 v[31:32], v[37:38], -2
	v_add_f64 v[23:24], v[37:38], -v[23:24]
	s_delay_alu instid0(VALU_DEP_4) | instskip(NEXT) | instid1(VALU_DEP_3)
	v_add_f64 v[25:26], v[25:26], -v[35:36]
	v_cmp_neq_f64_e64 vcc_lo, 0x7ff00000, |v[31:32]|
	s_delay_alu instid0(VALU_DEP_3) | instskip(NEXT) | instid1(VALU_DEP_3)
	v_add_f64 v[23:24], v[27:28], -v[23:24]
	v_add_f64 v[19:20], v[19:20], v[25:26]
	v_fract_f64_e32 v[25:26], v[31:32]
	s_delay_alu instid0(VALU_DEP_1) | instskip(SKIP_1) | instid1(VALU_DEP_3)
	v_cndmask_b32_e32 v25, 0, v25, vcc_lo
	v_mul_f64 v[39:40], v[33:34], v[17:18]
	v_cndmask_b32_e32 v26, 0, v26, vcc_lo
	s_delay_alu instid0(VALU_DEP_1) | instskip(NEXT) | instid1(VALU_DEP_3)
	v_ldexp_f64 v[25:26], v[25:26], 2
	v_add_f64 v[35:36], v[39:40], v[21:22]
	v_fma_f64 v[17:18], v[33:34], v[17:18], -v[39:40]
	s_delay_alu instid0(VALU_DEP_2) | instskip(NEXT) | instid1(VALU_DEP_1)
	v_add_f64 v[27:28], v[35:36], v[19:20]
	v_add_f64 v[31:32], v[23:24], v[27:28]
	v_add_f64 v[41:42], v[27:28], -v[35:36]
	s_delay_alu instid0(VALU_DEP_2) | instskip(NEXT) | instid1(VALU_DEP_2)
	v_add_f64 v[37:38], v[31:32], v[25:26]
	v_add_f64 v[47:48], v[27:28], -v[41:42]
	v_add_f64 v[19:20], v[19:20], -v[41:42]
	;; [unrolled: 1-line block ×3, first 2 shown]
	s_delay_alu instid0(VALU_DEP_4) | instskip(SKIP_1) | instid1(VALU_DEP_3)
	v_cmp_gt_f64_e32 vcc_lo, 0, v[37:38]
	v_add_f64 v[37:38], v[35:36], -v[39:40]
	v_add_f64 v[23:24], v[27:28], -v[23:24]
	v_cndmask_b32_e64 v10, 0, 0x40100000, vcc_lo
	s_delay_alu instid0(VALU_DEP_3) | instskip(SKIP_2) | instid1(VALU_DEP_4)
	v_add_f64 v[45:46], v[35:36], -v[37:38]
	v_add_f64 v[21:22], v[21:22], -v[37:38]
	;; [unrolled: 1-line block ×3, first 2 shown]
	v_add_f64 v[25:26], v[25:26], v[9:10]
	s_delay_alu instid0(VALU_DEP_4) | instskip(NEXT) | instid1(VALU_DEP_3)
	v_add_f64 v[37:38], v[39:40], -v[45:46]
	v_add_f64 v[19:20], v[19:20], v[35:36]
	s_delay_alu instid0(VALU_DEP_3) | instskip(NEXT) | instid1(VALU_DEP_3)
	v_add_f64 v[43:44], v[31:32], v[25:26]
	v_add_f64 v[21:22], v[21:22], v[37:38]
	s_delay_alu instid0(VALU_DEP_2) | instskip(NEXT) | instid1(VALU_DEP_2)
	v_cvt_i32_f64_e32 v10, v[43:44]
	v_add_f64 v[19:20], v[21:22], v[19:20]
	s_delay_alu instid0(VALU_DEP_2) | instskip(NEXT) | instid1(VALU_DEP_2)
	v_cvt_f64_i32_e32 v[41:42], v10
	v_add_f64 v[17:18], v[17:18], v[19:20]
	s_delay_alu instid0(VALU_DEP_2) | instskip(NEXT) | instid1(VALU_DEP_2)
	v_add_f64 v[25:26], v[25:26], -v[41:42]
	v_add_f64 v[17:18], v[23:24], v[17:18]
	s_delay_alu instid0(VALU_DEP_2) | instskip(NEXT) | instid1(VALU_DEP_1)
	v_add_f64 v[21:22], v[31:32], v[25:26]
	v_add_f64 v[19:20], v[21:22], -v[25:26]
	v_cmp_le_f64_e32 vcc_lo, 0.5, v[21:22]
	s_delay_alu instid0(VALU_DEP_2) | instskip(SKIP_2) | instid1(VALU_DEP_3)
	v_add_f64 v[19:20], v[31:32], -v[19:20]
	v_add_co_ci_u32_e64 v31, s2, 0, v10, vcc_lo
	v_cndmask_b32_e64 v10, 0, 0x3ff00000, vcc_lo
	v_add_f64 v[17:18], v[17:18], v[19:20]
	s_delay_alu instid0(VALU_DEP_2) | instskip(NEXT) | instid1(VALU_DEP_1)
	v_add_f64 v[19:20], v[21:22], -v[9:10]
	v_add_f64 v[21:22], v[19:20], v[17:18]
	s_delay_alu instid0(VALU_DEP_1) | instskip(SKIP_1) | instid1(VALU_DEP_2)
	v_mul_f64 v[23:24], v[21:22], s[58:59]
	v_add_f64 v[19:20], v[21:22], -v[19:20]
	v_fma_f64 v[25:26], v[21:22], s[58:59], -v[23:24]
	s_delay_alu instid0(VALU_DEP_2) | instskip(NEXT) | instid1(VALU_DEP_2)
	v_add_f64 v[17:18], v[17:18], -v[19:20]
	v_fma_f64 v[19:20], v[21:22], s[62:63], v[25:26]
	s_delay_alu instid0(VALU_DEP_1) | instskip(NEXT) | instid1(VALU_DEP_1)
	v_fma_f64 v[17:18], v[17:18], s[58:59], v[19:20]
	v_add_f64 v[19:20], v[23:24], v[17:18]
	s_delay_alu instid0(VALU_DEP_1) | instskip(NEXT) | instid1(VALU_DEP_1)
	v_add_f64 v[21:22], v[19:20], -v[23:24]
	v_add_f64 v[17:18], v[17:18], -v[21:22]
.LBB92_10:                              ;   in Loop: Header=BB92_4 Depth=1
	s_and_not1_saveexec_b32 s2, s3
	s_cbranch_execz .LBB92_12
; %bb.11:                               ;   in Loop: Header=BB92_4 Depth=1
	v_mul_f64 v[17:18], |v[3:4]|, s[22:23]
	s_mov_b32 s60, s24
	s_delay_alu instid0(VALU_DEP_1) | instskip(NEXT) | instid1(VALU_DEP_1)
	v_rndne_f64_e32 v[21:22], v[17:18]
	v_fma_f64 v[17:18], v[21:22], s[20:21], |v[3:4]|
	v_mul_f64 v[19:20], v[21:22], s[24:25]
	v_cvt_i32_f64_e32 v31, v[21:22]
	s_delay_alu instid0(VALU_DEP_3) | instskip(NEXT) | instid1(VALU_DEP_3)
	v_fma_f64 v[25:26], v[21:22], s[24:25], v[17:18]
	v_add_f64 v[23:24], v[17:18], v[19:20]
	s_delay_alu instid0(VALU_DEP_1) | instskip(NEXT) | instid1(VALU_DEP_3)
	v_add_f64 v[17:18], v[17:18], -v[23:24]
	v_add_f64 v[23:24], v[23:24], -v[25:26]
	s_delay_alu instid0(VALU_DEP_2) | instskip(SKIP_1) | instid1(VALU_DEP_2)
	v_add_f64 v[17:18], v[17:18], v[19:20]
	v_fma_f64 v[19:20], v[21:22], s[60:61], v[19:20]
	v_add_f64 v[17:18], v[23:24], v[17:18]
	s_delay_alu instid0(VALU_DEP_1) | instskip(NEXT) | instid1(VALU_DEP_1)
	v_add_f64 v[17:18], v[17:18], -v[19:20]
	v_fma_f64 v[17:18], v[21:22], s[26:27], v[17:18]
	s_delay_alu instid0(VALU_DEP_1) | instskip(NEXT) | instid1(VALU_DEP_1)
	v_add_f64 v[19:20], v[25:26], v[17:18]
	v_add_f64 v[23:24], v[19:20], -v[25:26]
	s_delay_alu instid0(VALU_DEP_1)
	v_add_f64 v[17:18], v[17:18], -v[23:24]
.LBB92_12:                              ;   in Loop: Header=BB92_4 Depth=1
	s_or_b32 exec_lo, exec_lo, s2
	s_delay_alu instid0(SALU_CYCLE_1)
	s_mov_b32 s3, exec_lo
                                        ; implicit-def: $vgpr32
                                        ; implicit-def: $vgpr23_vgpr24
                                        ; implicit-def: $vgpr21_vgpr22
	s_waitcnt vmcnt(0)
	v_cmpx_ngt_f64_e64 0x41d00000, |v[5:6]|
	s_xor_b32 s3, exec_lo, s3
	s_cbranch_execz .LBB92_14
; %bb.13:                               ;   in Loop: Header=BB92_4 Depth=1
	v_ldexp_f64 v[21:22], |v[5:6]|, 0xffffff80
	v_cmp_le_f64_e64 vcc_lo, 0x7b000000, |v[5:6]|
	v_trig_preop_f64 v[23:24], |v[5:6]|, 0
	v_and_b32_e32 v10, 0x7fffffff, v6
	v_trig_preop_f64 v[25:26], |v[5:6]|, 1
	v_trig_preop_f64 v[38:39], |v[5:6]|, 2
	s_mov_b32 s58, s20
	s_mov_b32 s63, s61
	v_dual_cndmask_b32 v21, v5, v21 :: v_dual_cndmask_b32 v22, v10, v22
	s_delay_alu instid0(VALU_DEP_1) | instskip(NEXT) | instid1(VALU_DEP_4)
	v_mul_f64 v[27:28], v[23:24], v[21:22]
	v_mul_f64 v[32:33], v[25:26], v[21:22]
	s_delay_alu instid0(VALU_DEP_2) | instskip(NEXT) | instid1(VALU_DEP_2)
	v_fma_f64 v[23:24], v[23:24], v[21:22], -v[27:28]
	v_fma_f64 v[25:26], v[25:26], v[21:22], -v[32:33]
	s_delay_alu instid0(VALU_DEP_2) | instskip(NEXT) | instid1(VALU_DEP_1)
	v_add_f64 v[34:35], v[32:33], v[23:24]
	v_add_f64 v[36:37], v[34:35], -v[32:33]
	v_add_f64 v[42:43], v[27:28], v[34:35]
	s_delay_alu instid0(VALU_DEP_2) | instskip(SKIP_1) | instid1(VALU_DEP_3)
	v_add_f64 v[40:41], v[34:35], -v[36:37]
	v_add_f64 v[23:24], v[23:24], -v[36:37]
	v_ldexp_f64 v[36:37], v[42:43], -2
	v_add_f64 v[27:28], v[42:43], -v[27:28]
	s_delay_alu instid0(VALU_DEP_4) | instskip(NEXT) | instid1(VALU_DEP_3)
	v_add_f64 v[32:33], v[32:33], -v[40:41]
	v_cmp_neq_f64_e64 vcc_lo, 0x7ff00000, |v[36:37]|
	s_delay_alu instid0(VALU_DEP_3) | instskip(NEXT) | instid1(VALU_DEP_3)
	v_add_f64 v[27:28], v[34:35], -v[27:28]
	v_add_f64 v[23:24], v[23:24], v[32:33]
	v_fract_f64_e32 v[32:33], v[36:37]
	s_delay_alu instid0(VALU_DEP_1) | instskip(SKIP_1) | instid1(VALU_DEP_3)
	v_cndmask_b32_e32 v33, 0, v33, vcc_lo
	v_mul_f64 v[44:45], v[38:39], v[21:22]
	v_cndmask_b32_e32 v32, 0, v32, vcc_lo
	s_delay_alu instid0(VALU_DEP_1) | instskip(NEXT) | instid1(VALU_DEP_3)
	v_ldexp_f64 v[32:33], v[32:33], 2
	v_add_f64 v[40:41], v[44:45], v[25:26]
	v_fma_f64 v[21:22], v[38:39], v[21:22], -v[44:45]
	s_delay_alu instid0(VALU_DEP_2) | instskip(NEXT) | instid1(VALU_DEP_1)
	v_add_f64 v[34:35], v[40:41], v[23:24]
	v_add_f64 v[36:37], v[27:28], v[34:35]
	v_add_f64 v[46:47], v[34:35], -v[40:41]
	s_delay_alu instid0(VALU_DEP_2) | instskip(NEXT) | instid1(VALU_DEP_2)
	v_add_f64 v[42:43], v[36:37], v[32:33]
	v_add_f64 v[52:53], v[34:35], -v[46:47]
	v_add_f64 v[23:24], v[23:24], -v[46:47]
	v_add_f64 v[27:28], v[36:37], -v[27:28]
	s_delay_alu instid0(VALU_DEP_4) | instskip(SKIP_1) | instid1(VALU_DEP_3)
	v_cmp_gt_f64_e32 vcc_lo, 0, v[42:43]
	v_add_f64 v[42:43], v[40:41], -v[44:45]
	v_add_f64 v[27:28], v[34:35], -v[27:28]
	v_cndmask_b32_e64 v10, 0, 0x40100000, vcc_lo
	s_delay_alu instid0(VALU_DEP_3) | instskip(SKIP_2) | instid1(VALU_DEP_4)
	v_add_f64 v[50:51], v[40:41], -v[42:43]
	v_add_f64 v[25:26], v[25:26], -v[42:43]
	;; [unrolled: 1-line block ×3, first 2 shown]
	v_add_f64 v[32:33], v[32:33], v[9:10]
	s_delay_alu instid0(VALU_DEP_4) | instskip(NEXT) | instid1(VALU_DEP_3)
	v_add_f64 v[42:43], v[44:45], -v[50:51]
	v_add_f64 v[23:24], v[23:24], v[40:41]
	s_delay_alu instid0(VALU_DEP_3) | instskip(NEXT) | instid1(VALU_DEP_3)
	v_add_f64 v[48:49], v[36:37], v[32:33]
	v_add_f64 v[25:26], v[25:26], v[42:43]
	s_delay_alu instid0(VALU_DEP_2) | instskip(NEXT) | instid1(VALU_DEP_2)
	v_cvt_i32_f64_e32 v10, v[48:49]
	v_add_f64 v[23:24], v[25:26], v[23:24]
	s_delay_alu instid0(VALU_DEP_2) | instskip(NEXT) | instid1(VALU_DEP_2)
	v_cvt_f64_i32_e32 v[46:47], v10
	v_add_f64 v[21:22], v[21:22], v[23:24]
	s_delay_alu instid0(VALU_DEP_2) | instskip(NEXT) | instid1(VALU_DEP_2)
	v_add_f64 v[32:33], v[32:33], -v[46:47]
	v_add_f64 v[21:22], v[27:28], v[21:22]
	s_delay_alu instid0(VALU_DEP_2) | instskip(NEXT) | instid1(VALU_DEP_1)
	v_add_f64 v[25:26], v[36:37], v[32:33]
	v_add_f64 v[23:24], v[25:26], -v[32:33]
	v_cmp_le_f64_e32 vcc_lo, 0.5, v[25:26]
	s_delay_alu instid0(VALU_DEP_2) | instskip(SKIP_2) | instid1(VALU_DEP_3)
	v_add_f64 v[23:24], v[36:37], -v[23:24]
	v_add_co_ci_u32_e64 v32, s2, 0, v10, vcc_lo
	v_cndmask_b32_e64 v10, 0, 0x3ff00000, vcc_lo
	v_add_f64 v[21:22], v[21:22], v[23:24]
	s_delay_alu instid0(VALU_DEP_2) | instskip(NEXT) | instid1(VALU_DEP_1)
	v_add_f64 v[23:24], v[25:26], -v[9:10]
	v_add_f64 v[25:26], v[23:24], v[21:22]
	s_delay_alu instid0(VALU_DEP_1) | instskip(SKIP_1) | instid1(VALU_DEP_2)
	v_mul_f64 v[27:28], v[25:26], s[58:59]
	v_add_f64 v[23:24], v[25:26], -v[23:24]
	v_fma_f64 v[33:34], v[25:26], s[58:59], -v[27:28]
	s_delay_alu instid0(VALU_DEP_2) | instskip(NEXT) | instid1(VALU_DEP_2)
	v_add_f64 v[21:22], v[21:22], -v[23:24]
	v_fma_f64 v[23:24], v[25:26], s[62:63], v[33:34]
	s_delay_alu instid0(VALU_DEP_1) | instskip(NEXT) | instid1(VALU_DEP_1)
	v_fma_f64 v[21:22], v[21:22], s[58:59], v[23:24]
	v_add_f64 v[23:24], v[27:28], v[21:22]
	s_delay_alu instid0(VALU_DEP_1) | instskip(NEXT) | instid1(VALU_DEP_1)
	v_add_f64 v[25:26], v[23:24], -v[27:28]
	v_add_f64 v[21:22], v[21:22], -v[25:26]
.LBB92_14:                              ;   in Loop: Header=BB92_4 Depth=1
	s_and_not1_saveexec_b32 s2, s3
	s_cbranch_execz .LBB92_16
; %bb.15:                               ;   in Loop: Header=BB92_4 Depth=1
	v_mul_f64 v[21:22], |v[5:6]|, s[22:23]
	s_mov_b32 s60, s24
	s_delay_alu instid0(VALU_DEP_1) | instskip(NEXT) | instid1(VALU_DEP_1)
	v_rndne_f64_e32 v[25:26], v[21:22]
	v_fma_f64 v[21:22], v[25:26], s[20:21], |v[5:6]|
	v_mul_f64 v[23:24], v[25:26], s[24:25]
	s_delay_alu instid0(VALU_DEP_2) | instskip(NEXT) | instid1(VALU_DEP_2)
	v_fma_f64 v[32:33], v[25:26], s[24:25], v[21:22]
	v_add_f64 v[27:28], v[21:22], v[23:24]
	s_delay_alu instid0(VALU_DEP_1) | instskip(NEXT) | instid1(VALU_DEP_3)
	v_add_f64 v[21:22], v[21:22], -v[27:28]
	v_add_f64 v[27:28], v[27:28], -v[32:33]
	s_delay_alu instid0(VALU_DEP_2) | instskip(SKIP_1) | instid1(VALU_DEP_2)
	v_add_f64 v[21:22], v[21:22], v[23:24]
	v_fma_f64 v[23:24], v[25:26], s[60:61], v[23:24]
	v_add_f64 v[21:22], v[27:28], v[21:22]
	s_delay_alu instid0(VALU_DEP_1) | instskip(NEXT) | instid1(VALU_DEP_1)
	v_add_f64 v[21:22], v[21:22], -v[23:24]
	v_fma_f64 v[21:22], v[25:26], s[26:27], v[21:22]
	s_delay_alu instid0(VALU_DEP_1) | instskip(NEXT) | instid1(VALU_DEP_1)
	v_add_f64 v[23:24], v[32:33], v[21:22]
	v_add_f64 v[27:28], v[23:24], -v[32:33]
	v_cvt_i32_f64_e32 v32, v[25:26]
	s_delay_alu instid0(VALU_DEP_2)
	v_add_f64 v[21:22], v[21:22], -v[27:28]
.LBB92_16:                              ;   in Loop: Header=BB92_4 Depth=1
	s_or_b32 exec_lo, exec_lo, s2
	s_delay_alu instid0(SALU_CYCLE_1)
	s_mov_b32 s3, exec_lo
                                        ; implicit-def: $vgpr33
                                        ; implicit-def: $vgpr27_vgpr28
                                        ; implicit-def: $vgpr25_vgpr26
	v_cmpx_ngt_f64_e64 0x41d00000, |v[7:8]|
	s_xor_b32 s3, exec_lo, s3
	s_cbranch_execz .LBB92_18
; %bb.17:                               ;   in Loop: Header=BB92_4 Depth=1
	v_ldexp_f64 v[25:26], |v[7:8]|, 0xffffff80
	v_cmp_le_f64_e64 vcc_lo, 0x7b000000, |v[7:8]|
	v_trig_preop_f64 v[27:28], |v[7:8]|, 0
	v_and_b32_e32 v10, 0x7fffffff, v8
	v_trig_preop_f64 v[33:34], |v[7:8]|, 1
	v_trig_preop_f64 v[43:44], |v[7:8]|, 2
	s_mov_b32 s58, s20
	s_mov_b32 s63, s61
	v_dual_cndmask_b32 v25, v7, v25 :: v_dual_cndmask_b32 v26, v10, v26
	s_delay_alu instid0(VALU_DEP_1) | instskip(NEXT) | instid1(VALU_DEP_4)
	v_mul_f64 v[35:36], v[27:28], v[25:26]
	v_mul_f64 v[37:38], v[33:34], v[25:26]
	s_delay_alu instid0(VALU_DEP_2) | instskip(NEXT) | instid1(VALU_DEP_2)
	v_fma_f64 v[27:28], v[27:28], v[25:26], -v[35:36]
	v_fma_f64 v[33:34], v[33:34], v[25:26], -v[37:38]
	s_delay_alu instid0(VALU_DEP_2) | instskip(NEXT) | instid1(VALU_DEP_1)
	v_add_f64 v[39:40], v[37:38], v[27:28]
	v_add_f64 v[41:42], v[39:40], -v[37:38]
	v_add_f64 v[47:48], v[35:36], v[39:40]
	s_delay_alu instid0(VALU_DEP_2) | instskip(SKIP_1) | instid1(VALU_DEP_3)
	v_add_f64 v[45:46], v[39:40], -v[41:42]
	v_add_f64 v[27:28], v[27:28], -v[41:42]
	v_ldexp_f64 v[41:42], v[47:48], -2
	v_add_f64 v[35:36], v[47:48], -v[35:36]
	s_delay_alu instid0(VALU_DEP_4) | instskip(NEXT) | instid1(VALU_DEP_3)
	v_add_f64 v[37:38], v[37:38], -v[45:46]
	v_cmp_neq_f64_e64 vcc_lo, 0x7ff00000, |v[41:42]|
	s_delay_alu instid0(VALU_DEP_3) | instskip(NEXT) | instid1(VALU_DEP_3)
	v_add_f64 v[35:36], v[39:40], -v[35:36]
	v_add_f64 v[27:28], v[27:28], v[37:38]
	v_fract_f64_e32 v[37:38], v[41:42]
	s_delay_alu instid0(VALU_DEP_1) | instskip(SKIP_1) | instid1(VALU_DEP_3)
	v_cndmask_b32_e32 v37, 0, v37, vcc_lo
	v_mul_f64 v[49:50], v[43:44], v[25:26]
	v_cndmask_b32_e32 v38, 0, v38, vcc_lo
	s_delay_alu instid0(VALU_DEP_1) | instskip(NEXT) | instid1(VALU_DEP_3)
	v_ldexp_f64 v[37:38], v[37:38], 2
	v_add_f64 v[45:46], v[49:50], v[33:34]
	v_fma_f64 v[25:26], v[43:44], v[25:26], -v[49:50]
	s_delay_alu instid0(VALU_DEP_2) | instskip(NEXT) | instid1(VALU_DEP_1)
	v_add_f64 v[39:40], v[45:46], v[27:28]
	v_add_f64 v[41:42], v[35:36], v[39:40]
	v_add_f64 v[51:52], v[39:40], -v[45:46]
	s_delay_alu instid0(VALU_DEP_2) | instskip(NEXT) | instid1(VALU_DEP_2)
	v_add_f64 v[47:48], v[41:42], v[37:38]
	v_add_f64 v[57:58], v[39:40], -v[51:52]
	v_add_f64 v[27:28], v[27:28], -v[51:52]
	;; [unrolled: 1-line block ×3, first 2 shown]
	s_delay_alu instid0(VALU_DEP_4) | instskip(SKIP_2) | instid1(VALU_DEP_2)
	v_cmp_gt_f64_e32 vcc_lo, 0, v[47:48]
	v_add_f64 v[47:48], v[45:46], -v[49:50]
	v_cndmask_b32_e64 v10, 0, 0x40100000, vcc_lo
	v_add_f64 v[55:56], v[45:46], -v[47:48]
	v_add_f64 v[33:34], v[33:34], -v[47:48]
	;; [unrolled: 1-line block ×3, first 2 shown]
	s_delay_alu instid0(VALU_DEP_4) | instskip(NEXT) | instid1(VALU_DEP_4)
	v_add_f64 v[37:38], v[37:38], v[9:10]
	v_add_f64 v[47:48], v[49:50], -v[55:56]
	s_delay_alu instid0(VALU_DEP_3) | instskip(NEXT) | instid1(VALU_DEP_3)
	v_add_f64 v[27:28], v[27:28], v[45:46]
	v_add_f64 v[53:54], v[41:42], v[37:38]
	s_delay_alu instid0(VALU_DEP_3) | instskip(NEXT) | instid1(VALU_DEP_2)
	v_add_f64 v[33:34], v[33:34], v[47:48]
	v_cvt_i32_f64_e32 v10, v[53:54]
	s_delay_alu instid0(VALU_DEP_2) | instskip(SKIP_1) | instid1(VALU_DEP_3)
	v_add_f64 v[27:28], v[33:34], v[27:28]
	v_add_f64 v[33:34], v[39:40], -v[35:36]
	v_cvt_f64_i32_e32 v[51:52], v10
	s_delay_alu instid0(VALU_DEP_3) | instskip(NEXT) | instid1(VALU_DEP_2)
	v_add_f64 v[25:26], v[25:26], v[27:28]
	v_add_f64 v[37:38], v[37:38], -v[51:52]
	s_delay_alu instid0(VALU_DEP_2) | instskip(NEXT) | instid1(VALU_DEP_2)
	v_add_f64 v[25:26], v[33:34], v[25:26]
	v_add_f64 v[43:44], v[41:42], v[37:38]
	s_delay_alu instid0(VALU_DEP_1) | instskip(SKIP_1) | instid1(VALU_DEP_2)
	v_add_f64 v[27:28], v[43:44], -v[37:38]
	v_cmp_le_f64_e32 vcc_lo, 0.5, v[43:44]
	v_add_f64 v[27:28], v[41:42], -v[27:28]
	v_add_co_ci_u32_e64 v33, s2, 0, v10, vcc_lo
	v_cndmask_b32_e64 v10, 0, 0x3ff00000, vcc_lo
	s_delay_alu instid0(VALU_DEP_3) | instskip(NEXT) | instid1(VALU_DEP_2)
	v_add_f64 v[25:26], v[25:26], v[27:28]
	v_add_f64 v[27:28], v[43:44], -v[9:10]
	s_delay_alu instid0(VALU_DEP_1) | instskip(NEXT) | instid1(VALU_DEP_1)
	v_add_f64 v[34:35], v[27:28], v[25:26]
	v_mul_f64 v[36:37], v[34:35], s[58:59]
	v_add_f64 v[27:28], v[34:35], -v[27:28]
	s_delay_alu instid0(VALU_DEP_2) | instskip(NEXT) | instid1(VALU_DEP_2)
	v_fma_f64 v[38:39], v[34:35], s[58:59], -v[36:37]
	v_add_f64 v[25:26], v[25:26], -v[27:28]
	s_delay_alu instid0(VALU_DEP_2) | instskip(NEXT) | instid1(VALU_DEP_1)
	v_fma_f64 v[27:28], v[34:35], s[62:63], v[38:39]
	v_fma_f64 v[25:26], v[25:26], s[58:59], v[27:28]
	s_delay_alu instid0(VALU_DEP_1) | instskip(NEXT) | instid1(VALU_DEP_1)
	v_add_f64 v[27:28], v[36:37], v[25:26]
	v_add_f64 v[34:35], v[27:28], -v[36:37]
	s_delay_alu instid0(VALU_DEP_1)
	v_add_f64 v[25:26], v[25:26], -v[34:35]
.LBB92_18:                              ;   in Loop: Header=BB92_4 Depth=1
	s_and_not1_saveexec_b32 s2, s3
	s_cbranch_execz .LBB92_3
; %bb.19:                               ;   in Loop: Header=BB92_4 Depth=1
	v_mul_f64 v[25:26], |v[7:8]|, s[22:23]
	s_mov_b32 s60, s24
	s_delay_alu instid0(VALU_DEP_1) | instskip(NEXT) | instid1(VALU_DEP_1)
	v_rndne_f64_e32 v[33:34], v[25:26]
	v_fma_f64 v[25:26], v[33:34], s[20:21], |v[7:8]|
	v_mul_f64 v[27:28], v[33:34], s[24:25]
	s_delay_alu instid0(VALU_DEP_2) | instskip(NEXT) | instid1(VALU_DEP_2)
	v_fma_f64 v[37:38], v[33:34], s[24:25], v[25:26]
	v_add_f64 v[35:36], v[25:26], v[27:28]
	s_delay_alu instid0(VALU_DEP_1) | instskip(NEXT) | instid1(VALU_DEP_3)
	v_add_f64 v[25:26], v[25:26], -v[35:36]
	v_add_f64 v[35:36], v[35:36], -v[37:38]
	s_delay_alu instid0(VALU_DEP_2) | instskip(SKIP_1) | instid1(VALU_DEP_2)
	v_add_f64 v[25:26], v[25:26], v[27:28]
	v_fma_f64 v[27:28], v[33:34], s[60:61], v[27:28]
	v_add_f64 v[25:26], v[35:36], v[25:26]
	s_delay_alu instid0(VALU_DEP_1) | instskip(NEXT) | instid1(VALU_DEP_1)
	v_add_f64 v[25:26], v[25:26], -v[27:28]
	v_fma_f64 v[25:26], v[33:34], s[26:27], v[25:26]
	v_cvt_i32_f64_e32 v33, v[33:34]
	s_delay_alu instid0(VALU_DEP_2) | instskip(NEXT) | instid1(VALU_DEP_1)
	v_add_f64 v[27:28], v[37:38], v[25:26]
	v_add_f64 v[35:36], v[27:28], -v[37:38]
	s_delay_alu instid0(VALU_DEP_1)
	v_add_f64 v[25:26], v[25:26], -v[35:36]
	s_branch .LBB92_3
.LBB92_20:
	s_or_b32 exec_lo, exec_lo, s67
	s_mov_b32 s2, 0
.LBB92_21:
	s_delay_alu instid0(SALU_CYCLE_1)
	s_and_not1_b32 vcc_lo, exec_lo, s2
	s_cbranch_vccnz .LBB92_57
; %bb.22:
	v_cmp_lt_i64_e64 s2, s[14:15], 1
	s_delay_alu instid0(VALU_DEP_1)
	s_and_b32 vcc_lo, exec_lo, s2
	s_cbranch_vccnz .LBB92_57
; %bb.23:
	s_load_b32 s0, s[0:1], 0xc5c
	v_dual_mov_b32 v1, 0 :: v_dual_lshlrev_b32 v2, 3, v0
	v_cmp_gt_u64_e64 s1, 0x10000, s[14:15]
	s_mov_b32 s8, 0x54442d18
	s_mov_b32 s10, 0x6dc9c883
	s_delay_alu instid0(VALU_DEP_2) | instskip(SKIP_1) | instid1(VALU_DEP_1)
	v_mov_b32_e32 v3, v1
	v_add_co_u32 v27, s2, s16, v2
	v_add_co_ci_u32_e64 v28, null, s17, 0, s2
	v_add_co_u32 v29, s2, s18, v2
	s_delay_alu instid0(VALU_DEP_1)
	v_add_co_ci_u32_e64 v30, null, s19, 0, s2
	s_mov_b32 s20, 0xa9a29f71
	s_mov_b32 s22, 0xc751c08c
	;; [unrolled: 1-line block ×5, first 2 shown]
	s_waitcnt lgkmcnt(0)
	s_and_b32 s0, s0, 0xffff
	s_and_b32 s1, s1, exec_lo
	v_mad_u64_u32 v[4:5], null, s0, 24, v[2:3]
	s_cselect_b32 s7, s15, 0
	s_cselect_b32 s6, s14, 0x10000
	s_lshl_b32 s3, s0, 4
	s_lshl_b32 s1, s0, 1
	v_add_co_u32 v2, s3, s3, v2
	s_delay_alu instid0(VALU_DEP_2) | instskip(NEXT) | instid1(VALU_DEP_3)
	v_add_co_u32 v31, vcc_lo, s16, v4
	v_add_co_ci_u32_e32 v32, vcc_lo, s17, v5, vcc_lo
	v_add_co_u32 v33, vcc_lo, s18, v4
	v_add_co_ci_u32_e64 v3, null, 0, 0, s3
	s_mul_i32 s2, s0, 3
	s_lshl_b32 s33, s0, 2
	s_lshl_b32 s56, s0, 5
	v_add_co_u32 v39, s0, v0, s0
	v_add_co_ci_u32_e32 v34, vcc_lo, s19, v5, vcc_lo
	v_add_co_u32 v37, vcc_lo, s16, v2
	v_add_co_ci_u32_e32 v38, vcc_lo, s17, v3, vcc_lo
	v_add_co_u32 v40, vcc_lo, s18, v2
	v_lshlrev_b32_e32 v2, 3, v39
	v_add_co_ci_u32_e64 v42, null, 0, 0, s0
	v_add_co_u32 v43, s0, s1, v0
	s_delay_alu instid0(VALU_DEP_1) | instskip(NEXT) | instid1(VALU_DEP_4)
	v_add_co_ci_u32_e64 v44, null, 0, 0, s0
	v_add_co_u32 v45, s0, s16, v2
	v_add_co_u32 v35, s2, s2, v0
	v_add_co_ci_u32_e64 v46, null, s17, 0, s0
	v_add_co_u32 v47, s0, s18, v2
	v_add_co_ci_u32_e64 v36, null, 0, 0, s2
	v_add_co_ci_u32_e32 v41, vcc_lo, s19, v3, vcc_lo
	v_add_co_ci_u32_e64 v48, null, s19, 0, s0
	s_mov_b32 s16, 0x33145c00
	s_mov_b32 s18, 0x252049c0
	;; [unrolled: 1-line block ×29, first 2 shown]
	s_mov_b64 s[50:51], 0
	s_mov_b32 s5, 0x3ff921fb
	s_mov_b32 s53, 0x3c91a626
	;; [unrolled: 1-line block ×3, first 2 shown]
	s_branch .LBB92_25
.LBB92_24:                              ;   in Loop: Header=BB92_25 Depth=1
	s_or_b32 exec_lo, exec_lo, s1
	v_add_co_u32 v27, vcc_lo, v27, s56
	v_add_co_ci_u32_e32 v28, vcc_lo, 0, v28, vcc_lo
	v_add_co_u32 v29, vcc_lo, v29, s56
	v_add_co_ci_u32_e32 v30, vcc_lo, 0, v30, vcc_lo
	;; [unrolled: 2-line block ×5, first 2 shown]
	s_add_u32 s50, s50, s33
	v_add_co_u32 v40, vcc_lo, v40, s56
	s_addc_u32 s51, s51, 0
	v_add_co_ci_u32_e32 v41, vcc_lo, 0, v41, vcc_lo
	v_cmp_ge_i64_e64 s0, s[50:51], s[14:15]
	v_cmp_lt_u64_e64 s1, 0xffff, s[50:51]
	v_add_co_u32 v45, vcc_lo, v45, s56
	v_add_co_ci_u32_e32 v46, vcc_lo, 0, v46, vcc_lo
	v_add_co_u32 v47, vcc_lo, v47, s56
	v_add_co_ci_u32_e32 v48, vcc_lo, 0, v48, vcc_lo
	s_or_b32 s0, s0, s1
	s_delay_alu instid0(SALU_CYCLE_1)
	s_and_b32 vcc_lo, exec_lo, s0
	s_cbranch_vccnz .LBB92_57
.LBB92_25:                              ; =>This Inner Loop Header: Depth=1
	v_add_co_u32 v2, s0, v0, s50
	s_delay_alu instid0(VALU_DEP_1) | instskip(SKIP_1) | instid1(VALU_DEP_2)
	v_add_co_ci_u32_e64 v3, null, 0, s51, s0
	v_dual_mov_b32 v9, 0 :: v_dual_mov_b32 v10, 0
	v_cmp_gt_u64_e64 s2, s[6:7], v[2:3]
	s_delay_alu instid0(VALU_DEP_1)
	s_and_saveexec_b32 s0, s2
	s_cbranch_execz .LBB92_27
; %bb.26:                               ;   in Loop: Header=BB92_25 Depth=1
	v_add_co_u32 v2, vcc_lo, v27, s12
	v_add_co_ci_u32_e32 v3, vcc_lo, s13, v28, vcc_lo
	global_load_b64 v[9:10], v[2:3], off
.LBB92_27:                              ;   in Loop: Header=BB92_25 Depth=1
	s_or_b32 exec_lo, exec_lo, s0
	v_add_co_u32 v2, vcc_lo, v39, s50
	v_add_co_ci_u32_e32 v3, vcc_lo, s51, v42, vcc_lo
	v_dual_mov_b32 v5, 0 :: v_dual_mov_b32 v8, 0
	v_mov_b32_e32 v7, 0
	s_delay_alu instid0(VALU_DEP_3) | instskip(NEXT) | instid1(VALU_DEP_1)
	v_cmp_gt_u64_e64 s1, s[6:7], v[2:3]
	s_and_saveexec_b32 s0, s1
	s_cbranch_execz .LBB92_29
; %bb.28:                               ;   in Loop: Header=BB92_25 Depth=1
	v_add_co_u32 v2, vcc_lo, v45, s12
	v_add_co_ci_u32_e32 v3, vcc_lo, s13, v46, vcc_lo
	global_load_b64 v[7:8], v[2:3], off
.LBB92_29:                              ;   in Loop: Header=BB92_25 Depth=1
	s_or_b32 exec_lo, exec_lo, s0
	v_add_co_u32 v2, vcc_lo, v43, s50
	v_add_co_ci_u32_e32 v3, vcc_lo, s51, v44, vcc_lo
	v_mov_b32_e32 v6, 0
	s_delay_alu instid0(VALU_DEP_2) | instskip(NEXT) | instid1(VALU_DEP_1)
	v_cmp_gt_u64_e64 s0, s[6:7], v[2:3]
	s_and_saveexec_b32 s3, s0
	s_cbranch_execz .LBB92_31
; %bb.30:                               ;   in Loop: Header=BB92_25 Depth=1
	v_add_co_u32 v2, vcc_lo, v37, s12
	v_add_co_ci_u32_e32 v3, vcc_lo, s13, v38, vcc_lo
	global_load_b64 v[5:6], v[2:3], off
.LBB92_31:                              ;   in Loop: Header=BB92_25 Depth=1
	s_or_b32 exec_lo, exec_lo, s3
	v_add_co_u32 v2, vcc_lo, v35, s50
	v_add_co_ci_u32_e32 v3, vcc_lo, s51, v36, vcc_lo
	s_delay_alu instid0(VALU_DEP_1)
	v_cmp_gt_u64_e32 vcc_lo, s[6:7], v[2:3]
	v_mov_b32_e32 v3, 0
	v_mov_b32_e32 v4, 0
	s_and_saveexec_b32 s4, vcc_lo
	s_cbranch_execz .LBB92_33
; %bb.32:                               ;   in Loop: Header=BB92_25 Depth=1
	v_add_co_u32 v2, s3, v31, s12
	s_delay_alu instid0(VALU_DEP_1)
	v_add_co_ci_u32_e64 v3, s3, s13, v32, s3
	global_load_b64 v[3:4], v[2:3], off
.LBB92_33:                              ;   in Loop: Header=BB92_25 Depth=1
	s_or_b32 exec_lo, exec_lo, s4
                                        ; implicit-def: $vgpr49
                                        ; implicit-def: $vgpr11_vgpr12
                                        ; implicit-def: $vgpr13_vgpr14
	s_delay_alu instid0(SALU_CYCLE_1)
	s_mov_b32 s4, exec_lo
	s_waitcnt vmcnt(0)
	v_cmpx_ngt_f64_e64 0x41d00000, |v[9:10]|
	s_xor_b32 s52, exec_lo, s4
	s_cbranch_execz .LBB92_35
; %bb.34:                               ;   in Loop: Header=BB92_25 Depth=1
	v_ldexp_f64 v[11:12], |v[9:10]|, 0xffffff80
	v_cmp_le_f64_e64 s3, 0x7b000000, |v[9:10]|
	v_trig_preop_f64 v[13:14], |v[9:10]|, 0
	v_and_b32_e32 v2, 0x7fffffff, v10
	v_trig_preop_f64 v[15:16], |v[9:10]|, 1
	v_trig_preop_f64 v[25:26], |v[9:10]|, 2
	s_mov_b32 s55, s53
	s_delay_alu instid0(VALU_DEP_3) | instskip(SKIP_1) | instid1(VALU_DEP_1)
	v_cndmask_b32_e64 v12, v2, v12, s3
	v_cndmask_b32_e64 v11, v9, v11, s3
	v_mul_f64 v[17:18], v[13:14], v[11:12]
	v_mul_f64 v[19:20], v[15:16], v[11:12]
	;; [unrolled: 1-line block ×3, first 2 shown]
	s_delay_alu instid0(VALU_DEP_3) | instskip(NEXT) | instid1(VALU_DEP_3)
	v_fma_f64 v[13:14], v[13:14], v[11:12], -v[17:18]
	v_fma_f64 v[15:16], v[15:16], v[11:12], -v[19:20]
	s_delay_alu instid0(VALU_DEP_3) | instskip(NEXT) | instid1(VALU_DEP_3)
	v_fma_f64 v[11:12], v[25:26], v[11:12], -v[53:54]
	v_add_f64 v[21:22], v[19:20], v[13:14]
	s_delay_alu instid0(VALU_DEP_1) | instskip(SKIP_1) | instid1(VALU_DEP_2)
	v_add_f64 v[23:24], v[21:22], -v[19:20]
	v_add_f64 v[51:52], v[17:18], v[21:22]
	v_add_f64 v[49:50], v[21:22], -v[23:24]
	v_add_f64 v[13:14], v[13:14], -v[23:24]
	s_delay_alu instid0(VALU_DEP_3) | instskip(SKIP_1) | instid1(VALU_DEP_4)
	v_ldexp_f64 v[23:24], v[51:52], -2
	v_add_f64 v[17:18], v[51:52], -v[17:18]
	v_add_f64 v[19:20], v[19:20], -v[49:50]
	v_add_f64 v[49:50], v[53:54], v[15:16]
	s_delay_alu instid0(VALU_DEP_4) | instskip(NEXT) | instid1(VALU_DEP_4)
	v_cmp_neq_f64_e64 s3, 0x7ff00000, |v[23:24]|
	v_add_f64 v[17:18], v[21:22], -v[17:18]
	s_delay_alu instid0(VALU_DEP_4) | instskip(SKIP_1) | instid1(VALU_DEP_2)
	v_add_f64 v[13:14], v[13:14], v[19:20]
	v_fract_f64_e32 v[19:20], v[23:24]
	v_add_f64 v[21:22], v[49:50], v[13:14]
	s_delay_alu instid0(VALU_DEP_2) | instskip(NEXT) | instid1(VALU_DEP_3)
	v_cndmask_b32_e64 v20, 0, v20, s3
	v_cndmask_b32_e64 v19, 0, v19, s3
	s_delay_alu instid0(VALU_DEP_1) | instskip(NEXT) | instid1(VALU_DEP_4)
	v_ldexp_f64 v[19:20], v[19:20], 2
	v_add_f64 v[23:24], v[17:18], v[21:22]
	v_add_f64 v[55:56], v[21:22], -v[49:50]
	s_delay_alu instid0(VALU_DEP_2) | instskip(NEXT) | instid1(VALU_DEP_2)
	v_add_f64 v[51:52], v[23:24], v[19:20]
	v_add_f64 v[61:62], v[21:22], -v[55:56]
	v_add_f64 v[13:14], v[13:14], -v[55:56]
	;; [unrolled: 1-line block ×3, first 2 shown]
	s_delay_alu instid0(VALU_DEP_4) | instskip(SKIP_1) | instid1(VALU_DEP_3)
	v_cmp_gt_f64_e64 s3, 0, v[51:52]
	v_add_f64 v[51:52], v[49:50], -v[53:54]
	v_add_f64 v[17:18], v[21:22], -v[17:18]
	s_delay_alu instid0(VALU_DEP_3) | instskip(NEXT) | instid1(VALU_DEP_3)
	v_cndmask_b32_e64 v2, 0, 0x40100000, s3
	v_add_f64 v[59:60], v[49:50], -v[51:52]
	v_add_f64 v[15:16], v[15:16], -v[51:52]
	;; [unrolled: 1-line block ×3, first 2 shown]
	s_delay_alu instid0(VALU_DEP_4) | instskip(NEXT) | instid1(VALU_DEP_4)
	v_add_f64 v[19:20], v[19:20], v[1:2]
	v_add_f64 v[51:52], v[53:54], -v[59:60]
	s_delay_alu instid0(VALU_DEP_3) | instskip(NEXT) | instid1(VALU_DEP_3)
	v_add_f64 v[13:14], v[13:14], v[49:50]
	v_add_f64 v[57:58], v[23:24], v[19:20]
	s_delay_alu instid0(VALU_DEP_3) | instskip(NEXT) | instid1(VALU_DEP_2)
	v_add_f64 v[15:16], v[15:16], v[51:52]
	v_cvt_i32_f64_e32 v2, v[57:58]
	s_delay_alu instid0(VALU_DEP_2) | instskip(NEXT) | instid1(VALU_DEP_2)
	v_add_f64 v[13:14], v[15:16], v[13:14]
	v_cvt_f64_i32_e32 v[55:56], v2
	s_delay_alu instid0(VALU_DEP_2) | instskip(NEXT) | instid1(VALU_DEP_2)
	v_add_f64 v[11:12], v[11:12], v[13:14]
	v_add_f64 v[19:20], v[19:20], -v[55:56]
	s_delay_alu instid0(VALU_DEP_2) | instskip(NEXT) | instid1(VALU_DEP_2)
	v_add_f64 v[11:12], v[17:18], v[11:12]
	v_add_f64 v[15:16], v[23:24], v[19:20]
	s_delay_alu instid0(VALU_DEP_1) | instskip(SKIP_1) | instid1(VALU_DEP_2)
	v_add_f64 v[13:14], v[15:16], -v[19:20]
	v_cmp_le_f64_e64 s3, 0.5, v[15:16]
	v_add_f64 v[13:14], v[23:24], -v[13:14]
	s_delay_alu instid0(VALU_DEP_2) | instskip(SKIP_2) | instid1(VALU_DEP_3)
	v_add_co_ci_u32_e64 v49, s4, 0, v2, s3
	v_cndmask_b32_e64 v2, 0, 0x3ff00000, s3
	s_mov_b32 s4, s8
	v_add_f64 v[11:12], v[11:12], v[13:14]
	s_delay_alu instid0(VALU_DEP_2) | instskip(NEXT) | instid1(VALU_DEP_1)
	v_add_f64 v[13:14], v[15:16], -v[1:2]
	v_add_f64 v[15:16], v[13:14], v[11:12]
	s_delay_alu instid0(VALU_DEP_1) | instskip(SKIP_1) | instid1(VALU_DEP_2)
	v_mul_f64 v[17:18], v[15:16], s[4:5]
	v_add_f64 v[13:14], v[15:16], -v[13:14]
	v_fma_f64 v[19:20], v[15:16], s[4:5], -v[17:18]
	s_delay_alu instid0(VALU_DEP_2) | instskip(NEXT) | instid1(VALU_DEP_2)
	v_add_f64 v[11:12], v[11:12], -v[13:14]
	v_fma_f64 v[13:14], v[15:16], s[54:55], v[19:20]
	s_delay_alu instid0(VALU_DEP_1) | instskip(NEXT) | instid1(VALU_DEP_1)
	v_fma_f64 v[13:14], v[11:12], s[4:5], v[13:14]
	v_add_f64 v[11:12], v[17:18], v[13:14]
	s_delay_alu instid0(VALU_DEP_1) | instskip(NEXT) | instid1(VALU_DEP_1)
	v_add_f64 v[15:16], v[11:12], -v[17:18]
	v_add_f64 v[13:14], v[13:14], -v[15:16]
.LBB92_35:                              ;   in Loop: Header=BB92_25 Depth=1
	s_and_not1_saveexec_b32 s3, s52
	s_cbranch_execz .LBB92_37
; %bb.36:                               ;   in Loop: Header=BB92_25 Depth=1
	v_mul_f64 v[11:12], |v[9:10]|, s[10:11]
	s_mov_b32 s52, s16
	s_delay_alu instid0(VALU_DEP_1) | instskip(NEXT) | instid1(VALU_DEP_1)
	v_rndne_f64_e32 v[15:16], v[11:12]
	v_fma_f64 v[11:12], v[15:16], s[8:9], |v[9:10]|
	v_mul_f64 v[13:14], v[15:16], s[16:17]
	v_cvt_i32_f64_e32 v49, v[15:16]
	s_delay_alu instid0(VALU_DEP_3) | instskip(NEXT) | instid1(VALU_DEP_3)
	v_fma_f64 v[19:20], v[15:16], s[16:17], v[11:12]
	v_add_f64 v[17:18], v[11:12], v[13:14]
	s_delay_alu instid0(VALU_DEP_1) | instskip(NEXT) | instid1(VALU_DEP_3)
	v_add_f64 v[11:12], v[11:12], -v[17:18]
	v_add_f64 v[17:18], v[17:18], -v[19:20]
	s_delay_alu instid0(VALU_DEP_2) | instskip(SKIP_1) | instid1(VALU_DEP_2)
	v_add_f64 v[11:12], v[11:12], v[13:14]
	v_fma_f64 v[13:14], v[15:16], s[52:53], v[13:14]
	v_add_f64 v[11:12], v[17:18], v[11:12]
	s_delay_alu instid0(VALU_DEP_1) | instskip(NEXT) | instid1(VALU_DEP_1)
	v_add_f64 v[11:12], v[11:12], -v[13:14]
	v_fma_f64 v[13:14], v[15:16], s[18:19], v[11:12]
	s_delay_alu instid0(VALU_DEP_1) | instskip(NEXT) | instid1(VALU_DEP_1)
	v_add_f64 v[11:12], v[19:20], v[13:14]
	v_add_f64 v[17:18], v[11:12], -v[19:20]
	s_delay_alu instid0(VALU_DEP_1)
	v_add_f64 v[13:14], v[13:14], -v[17:18]
.LBB92_37:                              ;   in Loop: Header=BB92_25 Depth=1
	s_or_b32 exec_lo, exec_lo, s3
                                        ; implicit-def: $vgpr50
                                        ; implicit-def: $vgpr15_vgpr16
                                        ; implicit-def: $vgpr17_vgpr18
	s_delay_alu instid0(SALU_CYCLE_1)
	s_mov_b32 s4, exec_lo
	v_cmpx_ngt_f64_e64 0x41d00000, |v[7:8]|
	s_xor_b32 s52, exec_lo, s4
	s_cbranch_execz .LBB92_39
; %bb.38:                               ;   in Loop: Header=BB92_25 Depth=1
	v_ldexp_f64 v[15:16], |v[7:8]|, 0xffffff80
	v_cmp_le_f64_e64 s3, 0x7b000000, |v[7:8]|
	v_trig_preop_f64 v[17:18], |v[7:8]|, 0
	v_and_b32_e32 v2, 0x7fffffff, v8
	v_trig_preop_f64 v[19:20], |v[7:8]|, 1
	v_trig_preop_f64 v[52:53], |v[7:8]|, 2
	s_mov_b32 s55, s53
	s_delay_alu instid0(VALU_DEP_3) | instskip(SKIP_1) | instid1(VALU_DEP_1)
	v_cndmask_b32_e64 v16, v2, v16, s3
	v_cndmask_b32_e64 v15, v7, v15, s3
	v_mul_f64 v[21:22], v[17:18], v[15:16]
	v_mul_f64 v[23:24], v[19:20], v[15:16]
	;; [unrolled: 1-line block ×3, first 2 shown]
	s_delay_alu instid0(VALU_DEP_3) | instskip(NEXT) | instid1(VALU_DEP_3)
	v_fma_f64 v[17:18], v[17:18], v[15:16], -v[21:22]
	v_fma_f64 v[19:20], v[19:20], v[15:16], -v[23:24]
	s_delay_alu instid0(VALU_DEP_3) | instskip(NEXT) | instid1(VALU_DEP_3)
	v_fma_f64 v[15:16], v[52:53], v[15:16], -v[58:59]
	v_add_f64 v[25:26], v[23:24], v[17:18]
	s_delay_alu instid0(VALU_DEP_1) | instskip(SKIP_1) | instid1(VALU_DEP_2)
	v_add_f64 v[50:51], v[25:26], -v[23:24]
	v_add_f64 v[56:57], v[21:22], v[25:26]
	v_add_f64 v[54:55], v[25:26], -v[50:51]
	v_add_f64 v[17:18], v[17:18], -v[50:51]
	s_delay_alu instid0(VALU_DEP_3) | instskip(SKIP_1) | instid1(VALU_DEP_4)
	v_ldexp_f64 v[50:51], v[56:57], -2
	v_add_f64 v[21:22], v[56:57], -v[21:22]
	v_add_f64 v[23:24], v[23:24], -v[54:55]
	v_add_f64 v[54:55], v[58:59], v[19:20]
	s_delay_alu instid0(VALU_DEP_4) | instskip(NEXT) | instid1(VALU_DEP_4)
	v_cmp_neq_f64_e64 s3, 0x7ff00000, |v[50:51]|
	v_add_f64 v[21:22], v[25:26], -v[21:22]
	s_delay_alu instid0(VALU_DEP_4) | instskip(SKIP_1) | instid1(VALU_DEP_2)
	v_add_f64 v[17:18], v[17:18], v[23:24]
	v_fract_f64_e32 v[23:24], v[50:51]
	v_add_f64 v[25:26], v[54:55], v[17:18]
	s_delay_alu instid0(VALU_DEP_2) | instskip(NEXT) | instid1(VALU_DEP_3)
	v_cndmask_b32_e64 v24, 0, v24, s3
	v_cndmask_b32_e64 v23, 0, v23, s3
	s_delay_alu instid0(VALU_DEP_1) | instskip(NEXT) | instid1(VALU_DEP_4)
	v_ldexp_f64 v[23:24], v[23:24], 2
	v_add_f64 v[50:51], v[21:22], v[25:26]
	v_add_f64 v[60:61], v[25:26], -v[54:55]
	s_delay_alu instid0(VALU_DEP_2) | instskip(NEXT) | instid1(VALU_DEP_2)
	v_add_f64 v[56:57], v[50:51], v[23:24]
	v_add_f64 v[66:67], v[25:26], -v[60:61]
	v_add_f64 v[17:18], v[17:18], -v[60:61]
	;; [unrolled: 1-line block ×3, first 2 shown]
	s_delay_alu instid0(VALU_DEP_4) | instskip(SKIP_1) | instid1(VALU_DEP_3)
	v_cmp_gt_f64_e64 s3, 0, v[56:57]
	v_add_f64 v[56:57], v[54:55], -v[58:59]
	v_add_f64 v[21:22], v[25:26], -v[21:22]
	s_delay_alu instid0(VALU_DEP_3) | instskip(NEXT) | instid1(VALU_DEP_3)
	v_cndmask_b32_e64 v2, 0, 0x40100000, s3
	v_add_f64 v[64:65], v[54:55], -v[56:57]
	v_add_f64 v[19:20], v[19:20], -v[56:57]
	v_add_f64 v[54:55], v[54:55], -v[66:67]
	s_delay_alu instid0(VALU_DEP_4) | instskip(NEXT) | instid1(VALU_DEP_4)
	v_add_f64 v[23:24], v[23:24], v[1:2]
	v_add_f64 v[56:57], v[58:59], -v[64:65]
	s_delay_alu instid0(VALU_DEP_3) | instskip(NEXT) | instid1(VALU_DEP_3)
	v_add_f64 v[17:18], v[17:18], v[54:55]
	v_add_f64 v[62:63], v[50:51], v[23:24]
	s_delay_alu instid0(VALU_DEP_3) | instskip(NEXT) | instid1(VALU_DEP_2)
	v_add_f64 v[19:20], v[19:20], v[56:57]
	v_cvt_i32_f64_e32 v2, v[62:63]
	s_delay_alu instid0(VALU_DEP_2) | instskip(NEXT) | instid1(VALU_DEP_2)
	v_add_f64 v[17:18], v[19:20], v[17:18]
	v_cvt_f64_i32_e32 v[60:61], v2
	s_delay_alu instid0(VALU_DEP_2) | instskip(NEXT) | instid1(VALU_DEP_2)
	v_add_f64 v[15:16], v[15:16], v[17:18]
	v_add_f64 v[23:24], v[23:24], -v[60:61]
	s_delay_alu instid0(VALU_DEP_2) | instskip(NEXT) | instid1(VALU_DEP_2)
	v_add_f64 v[15:16], v[21:22], v[15:16]
	v_add_f64 v[19:20], v[50:51], v[23:24]
	s_delay_alu instid0(VALU_DEP_1) | instskip(SKIP_1) | instid1(VALU_DEP_2)
	v_add_f64 v[17:18], v[19:20], -v[23:24]
	v_cmp_le_f64_e64 s3, 0.5, v[19:20]
	v_add_f64 v[17:18], v[50:51], -v[17:18]
	s_delay_alu instid0(VALU_DEP_2) | instskip(SKIP_2) | instid1(VALU_DEP_3)
	v_add_co_ci_u32_e64 v50, s4, 0, v2, s3
	v_cndmask_b32_e64 v2, 0, 0x3ff00000, s3
	s_mov_b32 s4, s8
	v_add_f64 v[15:16], v[15:16], v[17:18]
	s_delay_alu instid0(VALU_DEP_2) | instskip(NEXT) | instid1(VALU_DEP_1)
	v_add_f64 v[17:18], v[19:20], -v[1:2]
	v_add_f64 v[19:20], v[17:18], v[15:16]
	s_delay_alu instid0(VALU_DEP_1) | instskip(SKIP_1) | instid1(VALU_DEP_2)
	v_mul_f64 v[21:22], v[19:20], s[4:5]
	v_add_f64 v[17:18], v[19:20], -v[17:18]
	v_fma_f64 v[23:24], v[19:20], s[4:5], -v[21:22]
	s_delay_alu instid0(VALU_DEP_2) | instskip(NEXT) | instid1(VALU_DEP_2)
	v_add_f64 v[15:16], v[15:16], -v[17:18]
	v_fma_f64 v[17:18], v[19:20], s[54:55], v[23:24]
	s_delay_alu instid0(VALU_DEP_1) | instskip(NEXT) | instid1(VALU_DEP_1)
	v_fma_f64 v[17:18], v[15:16], s[4:5], v[17:18]
	v_add_f64 v[15:16], v[21:22], v[17:18]
	s_delay_alu instid0(VALU_DEP_1) | instskip(NEXT) | instid1(VALU_DEP_1)
	v_add_f64 v[19:20], v[15:16], -v[21:22]
	v_add_f64 v[17:18], v[17:18], -v[19:20]
.LBB92_39:                              ;   in Loop: Header=BB92_25 Depth=1
	s_and_not1_saveexec_b32 s3, s52
	s_cbranch_execz .LBB92_41
; %bb.40:                               ;   in Loop: Header=BB92_25 Depth=1
	v_mul_f64 v[15:16], |v[7:8]|, s[10:11]
	s_mov_b32 s52, s16
	s_delay_alu instid0(VALU_DEP_1) | instskip(NEXT) | instid1(VALU_DEP_1)
	v_rndne_f64_e32 v[19:20], v[15:16]
	v_fma_f64 v[15:16], v[19:20], s[8:9], |v[7:8]|
	v_mul_f64 v[17:18], v[19:20], s[16:17]
	v_cvt_i32_f64_e32 v50, v[19:20]
	s_delay_alu instid0(VALU_DEP_3) | instskip(NEXT) | instid1(VALU_DEP_3)
	v_fma_f64 v[23:24], v[19:20], s[16:17], v[15:16]
	v_add_f64 v[21:22], v[15:16], v[17:18]
	s_delay_alu instid0(VALU_DEP_1) | instskip(NEXT) | instid1(VALU_DEP_3)
	v_add_f64 v[15:16], v[15:16], -v[21:22]
	v_add_f64 v[21:22], v[21:22], -v[23:24]
	s_delay_alu instid0(VALU_DEP_2) | instskip(SKIP_1) | instid1(VALU_DEP_2)
	v_add_f64 v[15:16], v[15:16], v[17:18]
	v_fma_f64 v[17:18], v[19:20], s[52:53], v[17:18]
	v_add_f64 v[15:16], v[21:22], v[15:16]
	s_delay_alu instid0(VALU_DEP_1) | instskip(NEXT) | instid1(VALU_DEP_1)
	v_add_f64 v[15:16], v[15:16], -v[17:18]
	v_fma_f64 v[17:18], v[19:20], s[18:19], v[15:16]
	s_delay_alu instid0(VALU_DEP_1) | instskip(NEXT) | instid1(VALU_DEP_1)
	v_add_f64 v[15:16], v[23:24], v[17:18]
	v_add_f64 v[21:22], v[15:16], -v[23:24]
	s_delay_alu instid0(VALU_DEP_1)
	v_add_f64 v[17:18], v[17:18], -v[21:22]
.LBB92_41:                              ;   in Loop: Header=BB92_25 Depth=1
	s_or_b32 exec_lo, exec_lo, s3
                                        ; implicit-def: $vgpr51
                                        ; implicit-def: $vgpr19_vgpr20
                                        ; implicit-def: $vgpr21_vgpr22
	s_delay_alu instid0(SALU_CYCLE_1)
	s_mov_b32 s4, exec_lo
	v_cmpx_ngt_f64_e64 0x41d00000, |v[5:6]|
	s_xor_b32 s52, exec_lo, s4
	s_cbranch_execz .LBB92_43
; %bb.42:                               ;   in Loop: Header=BB92_25 Depth=1
	v_ldexp_f64 v[19:20], |v[5:6]|, 0xffffff80
	v_cmp_le_f64_e64 s3, 0x7b000000, |v[5:6]|
	v_trig_preop_f64 v[21:22], |v[5:6]|, 0
	v_and_b32_e32 v2, 0x7fffffff, v6
	v_trig_preop_f64 v[23:24], |v[5:6]|, 1
	v_trig_preop_f64 v[57:58], |v[5:6]|, 2
	s_mov_b32 s55, s53
	s_delay_alu instid0(VALU_DEP_3) | instskip(SKIP_1) | instid1(VALU_DEP_1)
	v_cndmask_b32_e64 v20, v2, v20, s3
	v_cndmask_b32_e64 v19, v5, v19, s3
	v_mul_f64 v[25:26], v[21:22], v[19:20]
	v_mul_f64 v[51:52], v[23:24], v[19:20]
	;; [unrolled: 1-line block ×3, first 2 shown]
	s_delay_alu instid0(VALU_DEP_3) | instskip(NEXT) | instid1(VALU_DEP_3)
	v_fma_f64 v[21:22], v[21:22], v[19:20], -v[25:26]
	v_fma_f64 v[23:24], v[23:24], v[19:20], -v[51:52]
	s_delay_alu instid0(VALU_DEP_3) | instskip(NEXT) | instid1(VALU_DEP_3)
	v_fma_f64 v[19:20], v[57:58], v[19:20], -v[63:64]
	v_add_f64 v[53:54], v[51:52], v[21:22]
	s_delay_alu instid0(VALU_DEP_1) | instskip(SKIP_1) | instid1(VALU_DEP_2)
	v_add_f64 v[55:56], v[53:54], -v[51:52]
	v_add_f64 v[61:62], v[25:26], v[53:54]
	v_add_f64 v[59:60], v[53:54], -v[55:56]
	v_add_f64 v[21:22], v[21:22], -v[55:56]
	s_delay_alu instid0(VALU_DEP_3) | instskip(SKIP_1) | instid1(VALU_DEP_4)
	v_ldexp_f64 v[55:56], v[61:62], -2
	v_add_f64 v[25:26], v[61:62], -v[25:26]
	v_add_f64 v[51:52], v[51:52], -v[59:60]
	v_add_f64 v[59:60], v[63:64], v[23:24]
	s_delay_alu instid0(VALU_DEP_4) | instskip(NEXT) | instid1(VALU_DEP_4)
	v_cmp_neq_f64_e64 s3, 0x7ff00000, |v[55:56]|
	v_add_f64 v[25:26], v[53:54], -v[25:26]
	s_delay_alu instid0(VALU_DEP_4) | instskip(SKIP_1) | instid1(VALU_DEP_2)
	v_add_f64 v[21:22], v[21:22], v[51:52]
	v_fract_f64_e32 v[51:52], v[55:56]
	v_add_f64 v[53:54], v[59:60], v[21:22]
	s_delay_alu instid0(VALU_DEP_2) | instskip(NEXT) | instid1(VALU_DEP_3)
	v_cndmask_b32_e64 v52, 0, v52, s3
	v_cndmask_b32_e64 v51, 0, v51, s3
	s_delay_alu instid0(VALU_DEP_1) | instskip(NEXT) | instid1(VALU_DEP_4)
	v_ldexp_f64 v[51:52], v[51:52], 2
	v_add_f64 v[55:56], v[25:26], v[53:54]
	v_add_f64 v[65:66], v[53:54], -v[59:60]
	s_delay_alu instid0(VALU_DEP_2) | instskip(NEXT) | instid1(VALU_DEP_2)
	v_add_f64 v[61:62], v[55:56], v[51:52]
	v_add_f64 v[71:72], v[53:54], -v[65:66]
	v_add_f64 v[21:22], v[21:22], -v[65:66]
	v_add_f64 v[25:26], v[55:56], -v[25:26]
	s_delay_alu instid0(VALU_DEP_4) | instskip(SKIP_1) | instid1(VALU_DEP_3)
	v_cmp_gt_f64_e64 s3, 0, v[61:62]
	v_add_f64 v[61:62], v[59:60], -v[63:64]
	v_add_f64 v[25:26], v[53:54], -v[25:26]
	s_delay_alu instid0(VALU_DEP_3) | instskip(NEXT) | instid1(VALU_DEP_3)
	v_cndmask_b32_e64 v2, 0, 0x40100000, s3
	v_add_f64 v[69:70], v[59:60], -v[61:62]
	v_add_f64 v[23:24], v[23:24], -v[61:62]
	;; [unrolled: 1-line block ×3, first 2 shown]
	s_delay_alu instid0(VALU_DEP_4) | instskip(NEXT) | instid1(VALU_DEP_4)
	v_add_f64 v[51:52], v[51:52], v[1:2]
	v_add_f64 v[61:62], v[63:64], -v[69:70]
	s_delay_alu instid0(VALU_DEP_3) | instskip(NEXT) | instid1(VALU_DEP_3)
	v_add_f64 v[21:22], v[21:22], v[59:60]
	v_add_f64 v[67:68], v[55:56], v[51:52]
	s_delay_alu instid0(VALU_DEP_3) | instskip(NEXT) | instid1(VALU_DEP_2)
	v_add_f64 v[23:24], v[23:24], v[61:62]
	v_cvt_i32_f64_e32 v2, v[67:68]
	s_delay_alu instid0(VALU_DEP_2) | instskip(NEXT) | instid1(VALU_DEP_2)
	v_add_f64 v[21:22], v[23:24], v[21:22]
	v_cvt_f64_i32_e32 v[65:66], v2
	s_delay_alu instid0(VALU_DEP_2) | instskip(NEXT) | instid1(VALU_DEP_2)
	v_add_f64 v[19:20], v[19:20], v[21:22]
	v_add_f64 v[51:52], v[51:52], -v[65:66]
	s_delay_alu instid0(VALU_DEP_2) | instskip(NEXT) | instid1(VALU_DEP_2)
	v_add_f64 v[19:20], v[25:26], v[19:20]
	v_add_f64 v[23:24], v[55:56], v[51:52]
	s_delay_alu instid0(VALU_DEP_1) | instskip(SKIP_1) | instid1(VALU_DEP_2)
	v_add_f64 v[21:22], v[23:24], -v[51:52]
	v_cmp_le_f64_e64 s3, 0.5, v[23:24]
	v_add_f64 v[21:22], v[55:56], -v[21:22]
	s_delay_alu instid0(VALU_DEP_2) | instskip(SKIP_2) | instid1(VALU_DEP_3)
	v_add_co_ci_u32_e64 v51, s4, 0, v2, s3
	v_cndmask_b32_e64 v2, 0, 0x3ff00000, s3
	s_mov_b32 s4, s8
	v_add_f64 v[19:20], v[19:20], v[21:22]
	s_delay_alu instid0(VALU_DEP_2) | instskip(NEXT) | instid1(VALU_DEP_1)
	v_add_f64 v[21:22], v[23:24], -v[1:2]
	v_add_f64 v[23:24], v[21:22], v[19:20]
	s_delay_alu instid0(VALU_DEP_1) | instskip(SKIP_1) | instid1(VALU_DEP_2)
	v_mul_f64 v[25:26], v[23:24], s[4:5]
	v_add_f64 v[21:22], v[23:24], -v[21:22]
	v_fma_f64 v[52:53], v[23:24], s[4:5], -v[25:26]
	s_delay_alu instid0(VALU_DEP_2) | instskip(NEXT) | instid1(VALU_DEP_2)
	v_add_f64 v[19:20], v[19:20], -v[21:22]
	v_fma_f64 v[21:22], v[23:24], s[54:55], v[52:53]
	s_delay_alu instid0(VALU_DEP_1) | instskip(NEXT) | instid1(VALU_DEP_1)
	v_fma_f64 v[21:22], v[19:20], s[4:5], v[21:22]
	v_add_f64 v[19:20], v[25:26], v[21:22]
	s_delay_alu instid0(VALU_DEP_1) | instskip(NEXT) | instid1(VALU_DEP_1)
	v_add_f64 v[23:24], v[19:20], -v[25:26]
	v_add_f64 v[21:22], v[21:22], -v[23:24]
.LBB92_43:                              ;   in Loop: Header=BB92_25 Depth=1
	s_and_not1_saveexec_b32 s3, s52
	s_cbranch_execz .LBB92_45
; %bb.44:                               ;   in Loop: Header=BB92_25 Depth=1
	v_mul_f64 v[19:20], |v[5:6]|, s[10:11]
	s_mov_b32 s52, s16
	s_delay_alu instid0(VALU_DEP_1) | instskip(NEXT) | instid1(VALU_DEP_1)
	v_rndne_f64_e32 v[23:24], v[19:20]
	v_fma_f64 v[19:20], v[23:24], s[8:9], |v[5:6]|
	v_mul_f64 v[21:22], v[23:24], s[16:17]
	s_delay_alu instid0(VALU_DEP_2) | instskip(NEXT) | instid1(VALU_DEP_2)
	v_fma_f64 v[51:52], v[23:24], s[16:17], v[19:20]
	v_add_f64 v[25:26], v[19:20], v[21:22]
	s_delay_alu instid0(VALU_DEP_1) | instskip(NEXT) | instid1(VALU_DEP_3)
	v_add_f64 v[19:20], v[19:20], -v[25:26]
	v_add_f64 v[25:26], v[25:26], -v[51:52]
	s_delay_alu instid0(VALU_DEP_2) | instskip(SKIP_1) | instid1(VALU_DEP_2)
	v_add_f64 v[19:20], v[19:20], v[21:22]
	v_fma_f64 v[21:22], v[23:24], s[52:53], v[21:22]
	v_add_f64 v[19:20], v[25:26], v[19:20]
	s_delay_alu instid0(VALU_DEP_1) | instskip(NEXT) | instid1(VALU_DEP_1)
	v_add_f64 v[19:20], v[19:20], -v[21:22]
	v_fma_f64 v[21:22], v[23:24], s[18:19], v[19:20]
	s_delay_alu instid0(VALU_DEP_1) | instskip(NEXT) | instid1(VALU_DEP_1)
	v_add_f64 v[19:20], v[51:52], v[21:22]
	v_add_f64 v[25:26], v[19:20], -v[51:52]
	v_cvt_i32_f64_e32 v51, v[23:24]
	s_delay_alu instid0(VALU_DEP_2)
	v_add_f64 v[21:22], v[21:22], -v[25:26]
.LBB92_45:                              ;   in Loop: Header=BB92_25 Depth=1
	s_or_b32 exec_lo, exec_lo, s3
                                        ; implicit-def: $vgpr52
                                        ; implicit-def: $vgpr23_vgpr24
                                        ; implicit-def: $vgpr25_vgpr26
	s_delay_alu instid0(SALU_CYCLE_1)
	s_mov_b32 s4, exec_lo
	v_cmpx_ngt_f64_e64 0x41d00000, |v[3:4]|
	s_xor_b32 s52, exec_lo, s4
	s_cbranch_execnz .LBB92_51
; %bb.46:                               ;   in Loop: Header=BB92_25 Depth=1
	s_and_not1_saveexec_b32 s3, s52
	s_cbranch_execnz .LBB92_52
.LBB92_47:                              ;   in Loop: Header=BB92_25 Depth=1
	s_or_b32 exec_lo, exec_lo, s3
	s_and_saveexec_b32 s3, s2
	s_delay_alu instid0(SALU_CYCLE_1)
	s_xor_b32 s4, exec_lo, s3
	s_cbranch_execnz .LBB92_53
.LBB92_48:                              ;   in Loop: Header=BB92_25 Depth=1
	s_or_b32 exec_lo, exec_lo, s4
	s_and_saveexec_b32 s3, s1
	s_cbranch_execnz .LBB92_54
.LBB92_49:                              ;   in Loop: Header=BB92_25 Depth=1
	s_or_b32 exec_lo, exec_lo, s3
	s_and_saveexec_b32 s2, s0
	s_cbranch_execnz .LBB92_55
.LBB92_50:                              ;   in Loop: Header=BB92_25 Depth=1
	s_or_b32 exec_lo, exec_lo, s2
	s_and_saveexec_b32 s1, vcc_lo
	s_cbranch_execz .LBB92_24
	s_branch .LBB92_56
.LBB92_51:                              ;   in Loop: Header=BB92_25 Depth=1
	v_ldexp_f64 v[23:24], |v[3:4]|, 0xffffff80
	v_cmp_le_f64_e64 s3, 0x7b000000, |v[3:4]|
	v_trig_preop_f64 v[25:26], |v[3:4]|, 0
	v_and_b32_e32 v2, 0x7fffffff, v4
	v_trig_preop_f64 v[52:53], |v[3:4]|, 1
	v_trig_preop_f64 v[62:63], |v[3:4]|, 2
	s_mov_b32 s55, s53
	s_delay_alu instid0(VALU_DEP_3) | instskip(SKIP_1) | instid1(VALU_DEP_1)
	v_cndmask_b32_e64 v24, v2, v24, s3
	v_cndmask_b32_e64 v23, v3, v23, s3
	v_mul_f64 v[54:55], v[25:26], v[23:24]
	v_mul_f64 v[56:57], v[52:53], v[23:24]
	;; [unrolled: 1-line block ×3, first 2 shown]
	s_delay_alu instid0(VALU_DEP_3) | instskip(NEXT) | instid1(VALU_DEP_3)
	v_fma_f64 v[25:26], v[25:26], v[23:24], -v[54:55]
	v_fma_f64 v[52:53], v[52:53], v[23:24], -v[56:57]
	s_delay_alu instid0(VALU_DEP_3) | instskip(NEXT) | instid1(VALU_DEP_3)
	v_fma_f64 v[23:24], v[62:63], v[23:24], -v[68:69]
	v_add_f64 v[58:59], v[56:57], v[25:26]
	s_delay_alu instid0(VALU_DEP_1) | instskip(SKIP_1) | instid1(VALU_DEP_2)
	v_add_f64 v[60:61], v[58:59], -v[56:57]
	v_add_f64 v[66:67], v[54:55], v[58:59]
	v_add_f64 v[64:65], v[58:59], -v[60:61]
	v_add_f64 v[25:26], v[25:26], -v[60:61]
	s_delay_alu instid0(VALU_DEP_3) | instskip(SKIP_1) | instid1(VALU_DEP_4)
	v_ldexp_f64 v[60:61], v[66:67], -2
	v_add_f64 v[54:55], v[66:67], -v[54:55]
	v_add_f64 v[56:57], v[56:57], -v[64:65]
	v_add_f64 v[64:65], v[68:69], v[52:53]
	s_delay_alu instid0(VALU_DEP_4) | instskip(NEXT) | instid1(VALU_DEP_4)
	v_cmp_neq_f64_e64 s3, 0x7ff00000, |v[60:61]|
	v_add_f64 v[54:55], v[58:59], -v[54:55]
	s_delay_alu instid0(VALU_DEP_4) | instskip(SKIP_1) | instid1(VALU_DEP_2)
	v_add_f64 v[25:26], v[25:26], v[56:57]
	v_fract_f64_e32 v[56:57], v[60:61]
	v_add_f64 v[58:59], v[64:65], v[25:26]
	s_delay_alu instid0(VALU_DEP_2) | instskip(NEXT) | instid1(VALU_DEP_3)
	v_cndmask_b32_e64 v57, 0, v57, s3
	v_cndmask_b32_e64 v56, 0, v56, s3
	s_delay_alu instid0(VALU_DEP_1) | instskip(NEXT) | instid1(VALU_DEP_4)
	v_ldexp_f64 v[56:57], v[56:57], 2
	v_add_f64 v[60:61], v[54:55], v[58:59]
	v_add_f64 v[70:71], v[58:59], -v[64:65]
	s_delay_alu instid0(VALU_DEP_2) | instskip(NEXT) | instid1(VALU_DEP_2)
	v_add_f64 v[66:67], v[60:61], v[56:57]
	v_add_f64 v[76:77], v[58:59], -v[70:71]
	v_add_f64 v[25:26], v[25:26], -v[70:71]
	;; [unrolled: 1-line block ×3, first 2 shown]
	s_delay_alu instid0(VALU_DEP_4) | instskip(SKIP_1) | instid1(VALU_DEP_2)
	v_cmp_gt_f64_e64 s3, 0, v[66:67]
	v_add_f64 v[66:67], v[64:65], -v[68:69]
	v_cndmask_b32_e64 v2, 0, 0x40100000, s3
	s_delay_alu instid0(VALU_DEP_2) | instskip(SKIP_2) | instid1(VALU_DEP_4)
	v_add_f64 v[74:75], v[64:65], -v[66:67]
	v_add_f64 v[52:53], v[52:53], -v[66:67]
	;; [unrolled: 1-line block ×3, first 2 shown]
	v_add_f64 v[56:57], v[56:57], v[1:2]
	s_delay_alu instid0(VALU_DEP_4) | instskip(NEXT) | instid1(VALU_DEP_3)
	v_add_f64 v[66:67], v[68:69], -v[74:75]
	v_add_f64 v[25:26], v[25:26], v[64:65]
	s_delay_alu instid0(VALU_DEP_3) | instskip(NEXT) | instid1(VALU_DEP_3)
	v_add_f64 v[72:73], v[60:61], v[56:57]
	v_add_f64 v[52:53], v[52:53], v[66:67]
	s_delay_alu instid0(VALU_DEP_2) | instskip(NEXT) | instid1(VALU_DEP_2)
	v_cvt_i32_f64_e32 v2, v[72:73]
	v_add_f64 v[25:26], v[52:53], v[25:26]
	v_add_f64 v[52:53], v[58:59], -v[54:55]
	s_delay_alu instid0(VALU_DEP_3) | instskip(NEXT) | instid1(VALU_DEP_3)
	v_cvt_f64_i32_e32 v[70:71], v2
	v_add_f64 v[23:24], v[23:24], v[25:26]
	s_delay_alu instid0(VALU_DEP_2) | instskip(NEXT) | instid1(VALU_DEP_2)
	v_add_f64 v[56:57], v[56:57], -v[70:71]
	v_add_f64 v[23:24], v[52:53], v[23:24]
	s_delay_alu instid0(VALU_DEP_2) | instskip(NEXT) | instid1(VALU_DEP_1)
	v_add_f64 v[62:63], v[60:61], v[56:57]
	v_add_f64 v[25:26], v[62:63], -v[56:57]
	v_cmp_le_f64_e64 s3, 0.5, v[62:63]
	s_delay_alu instid0(VALU_DEP_2) | instskip(NEXT) | instid1(VALU_DEP_2)
	v_add_f64 v[25:26], v[60:61], -v[25:26]
	v_add_co_ci_u32_e64 v52, s4, 0, v2, s3
	v_cndmask_b32_e64 v2, 0, 0x3ff00000, s3
	s_mov_b32 s4, s8
	s_delay_alu instid0(VALU_DEP_3) | instskip(NEXT) | instid1(VALU_DEP_2)
	v_add_f64 v[23:24], v[23:24], v[25:26]
	v_add_f64 v[25:26], v[62:63], -v[1:2]
	s_delay_alu instid0(VALU_DEP_1) | instskip(NEXT) | instid1(VALU_DEP_1)
	v_add_f64 v[53:54], v[25:26], v[23:24]
	v_mul_f64 v[55:56], v[53:54], s[4:5]
	v_add_f64 v[25:26], v[53:54], -v[25:26]
	s_delay_alu instid0(VALU_DEP_2) | instskip(NEXT) | instid1(VALU_DEP_2)
	v_fma_f64 v[57:58], v[53:54], s[4:5], -v[55:56]
	v_add_f64 v[23:24], v[23:24], -v[25:26]
	s_delay_alu instid0(VALU_DEP_2) | instskip(NEXT) | instid1(VALU_DEP_1)
	v_fma_f64 v[25:26], v[53:54], s[54:55], v[57:58]
	v_fma_f64 v[25:26], v[23:24], s[4:5], v[25:26]
	s_delay_alu instid0(VALU_DEP_1) | instskip(NEXT) | instid1(VALU_DEP_1)
	v_add_f64 v[23:24], v[55:56], v[25:26]
	v_add_f64 v[53:54], v[23:24], -v[55:56]
	s_delay_alu instid0(VALU_DEP_1)
	v_add_f64 v[25:26], v[25:26], -v[53:54]
	s_and_not1_saveexec_b32 s3, s52
	s_cbranch_execz .LBB92_47
.LBB92_52:                              ;   in Loop: Header=BB92_25 Depth=1
	v_mul_f64 v[23:24], |v[3:4]|, s[10:11]
	s_mov_b32 s52, s16
	s_delay_alu instid0(VALU_DEP_1) | instskip(NEXT) | instid1(VALU_DEP_1)
	v_rndne_f64_e32 v[52:53], v[23:24]
	v_fma_f64 v[23:24], v[52:53], s[8:9], |v[3:4]|
	v_mul_f64 v[25:26], v[52:53], s[16:17]
	s_delay_alu instid0(VALU_DEP_2) | instskip(NEXT) | instid1(VALU_DEP_2)
	v_fma_f64 v[56:57], v[52:53], s[16:17], v[23:24]
	v_add_f64 v[54:55], v[23:24], v[25:26]
	s_delay_alu instid0(VALU_DEP_1) | instskip(NEXT) | instid1(VALU_DEP_3)
	v_add_f64 v[23:24], v[23:24], -v[54:55]
	v_add_f64 v[54:55], v[54:55], -v[56:57]
	s_delay_alu instid0(VALU_DEP_2) | instskip(SKIP_1) | instid1(VALU_DEP_2)
	v_add_f64 v[23:24], v[23:24], v[25:26]
	v_fma_f64 v[25:26], v[52:53], s[52:53], v[25:26]
	v_add_f64 v[23:24], v[54:55], v[23:24]
	s_delay_alu instid0(VALU_DEP_1) | instskip(NEXT) | instid1(VALU_DEP_1)
	v_add_f64 v[23:24], v[23:24], -v[25:26]
	v_fma_f64 v[25:26], v[52:53], s[18:19], v[23:24]
	v_cvt_i32_f64_e32 v52, v[52:53]
	s_delay_alu instid0(VALU_DEP_2) | instskip(NEXT) | instid1(VALU_DEP_1)
	v_add_f64 v[23:24], v[56:57], v[25:26]
	v_add_f64 v[54:55], v[23:24], -v[56:57]
	s_delay_alu instid0(VALU_DEP_1) | instskip(SKIP_2) | instid1(SALU_CYCLE_1)
	v_add_f64 v[25:26], v[25:26], -v[54:55]
	s_or_b32 exec_lo, exec_lo, s3
	s_and_saveexec_b32 s3, s2
	s_xor_b32 s4, exec_lo, s3
	s_cbranch_execz .LBB92_48
.LBB92_53:                              ;   in Loop: Header=BB92_25 Depth=1
	v_mul_f64 v[53:54], v[11:12], v[11:12]
	v_add_f64 v[55:56], v[13:14], v[13:14]
	v_cmp_class_f64_e64 s3, v[9:10], 0x1f8
	v_and_b32_e32 v2, 1, v49
	v_and_b32_e32 v10, 0x80000000, v10
	s_delay_alu instid0(VALU_DEP_2) | instskip(SKIP_1) | instid1(VALU_DEP_1)
	v_cmp_eq_u32_e64 s2, 0, v2
	v_fma_f64 v[57:58], v[11:12], v[11:12], -v[53:54]
	v_fma_f64 v[55:56], v[11:12], v[55:56], v[57:58]
	s_delay_alu instid0(VALU_DEP_1) | instskip(NEXT) | instid1(VALU_DEP_1)
	v_add_f64 v[53:54], v[53:54], v[55:56]
	v_fma_f64 v[55:56], v[53:54], s[22:23], s[20:21]
	s_delay_alu instid0(VALU_DEP_1) | instskip(NEXT) | instid1(VALU_DEP_1)
	v_fma_f64 v[55:56], v[53:54], v[55:56], s[24:25]
	v_fma_f64 v[55:56], v[53:54], v[55:56], s[26:27]
	s_delay_alu instid0(VALU_DEP_1) | instskip(NEXT) | instid1(VALU_DEP_1)
	v_fma_f64 v[55:56], v[53:54], v[55:56], s[28:29]
	;; [unrolled: 3-line block ×6, first 2 shown]
	v_fma_f64 v[55:56], v[53:54], v[55:56], s[48:49]
	s_delay_alu instid0(VALU_DEP_1) | instskip(NEXT) | instid1(VALU_DEP_1)
	v_mul_f64 v[53:54], v[53:54], v[55:56]
	v_mul_f64 v[55:56], v[11:12], v[53:54]
	s_delay_alu instid0(VALU_DEP_1) | instskip(SKIP_1) | instid1(VALU_DEP_2)
	v_add_f64 v[57:58], v[11:12], v[55:56]
	v_fma_f64 v[53:54], v[11:12], v[53:54], -v[55:56]
	v_add_f64 v[11:12], v[57:58], -v[11:12]
	s_delay_alu instid0(VALU_DEP_2) | instskip(NEXT) | instid1(VALU_DEP_2)
	v_add_f64 v[13:14], v[13:14], v[53:54]
	v_add_f64 v[11:12], v[55:56], -v[11:12]
	s_delay_alu instid0(VALU_DEP_1) | instskip(NEXT) | instid1(VALU_DEP_1)
	v_add_f64 v[11:12], v[13:14], v[11:12]
	v_add_f64 v[13:14], v[57:58], v[11:12]
	s_delay_alu instid0(VALU_DEP_1) | instskip(SKIP_2) | instid1(VALU_DEP_1)
	v_rcp_f64_e32 v[53:54], v[13:14]
	s_waitcnt_depctr 0xfff
	v_fma_f64 v[55:56], -v[13:14], v[53:54], 1.0
	v_fma_f64 v[53:54], v[55:56], v[53:54], v[53:54]
	s_delay_alu instid0(VALU_DEP_1) | instskip(NEXT) | instid1(VALU_DEP_1)
	v_fma_f64 v[55:56], -v[13:14], v[53:54], 1.0
	v_fma_f64 v[53:54], v[55:56], v[53:54], v[53:54]
	v_add_f64 v[55:56], v[13:14], -v[57:58]
	s_delay_alu instid0(VALU_DEP_2) | instskip(NEXT) | instid1(VALU_DEP_2)
	v_mul_f64 v[57:58], v[13:14], v[53:54]
	v_add_f64 v[11:12], v[11:12], -v[55:56]
	s_delay_alu instid0(VALU_DEP_2) | instskip(NEXT) | instid1(VALU_DEP_1)
	v_fma_f64 v[55:56], v[53:54], v[13:14], -v[57:58]
	v_fma_f64 v[11:12], v[53:54], v[11:12], v[55:56]
	s_delay_alu instid0(VALU_DEP_1) | instskip(NEXT) | instid1(VALU_DEP_1)
	v_add_f64 v[55:56], v[57:58], v[11:12]
	v_add_f64 v[59:60], -v[55:56], 1.0
	v_add_f64 v[57:58], v[55:56], -v[57:58]
	s_delay_alu instid0(VALU_DEP_2) | instskip(NEXT) | instid1(VALU_DEP_2)
	v_add_f64 v[61:62], -v[59:60], 1.0
	v_add_f64 v[11:12], v[57:58], -v[11:12]
	s_delay_alu instid0(VALU_DEP_2) | instskip(NEXT) | instid1(VALU_DEP_1)
	v_add_f64 v[55:56], v[61:62], -v[55:56]
	v_add_f64 v[11:12], v[11:12], v[55:56]
	s_delay_alu instid0(VALU_DEP_1) | instskip(NEXT) | instid1(VALU_DEP_1)
	v_add_f64 v[11:12], v[59:60], v[11:12]
	v_mul_f64 v[11:12], v[53:54], v[11:12]
	s_delay_alu instid0(VALU_DEP_1) | instskip(NEXT) | instid1(VALU_DEP_1)
	v_add_f64 v[11:12], v[53:54], v[11:12]
	v_xor_b32_e32 v9, 0x80000000, v12
	s_delay_alu instid0(VALU_DEP_2) | instskip(NEXT) | instid1(VALU_DEP_2)
	v_cndmask_b32_e64 v2, v11, v13, s2
	v_cndmask_b32_e64 v9, v9, v14, s2
	v_add_co_u32 v11, s2, v29, s12
	s_delay_alu instid0(VALU_DEP_1) | instskip(NEXT) | instid1(VALU_DEP_3)
	v_add_co_ci_u32_e64 v12, s2, s13, v30, s2
	v_xor_b32_e32 v10, v9, v10
	v_cndmask_b32_e64 v9, 0, v2, s3
	s_delay_alu instid0(VALU_DEP_2)
	v_cndmask_b32_e64 v10, 0x7ff80000, v10, s3
	global_store_b64 v[11:12], v[9:10], off
	s_or_b32 exec_lo, exec_lo, s4
	s_and_saveexec_b32 s3, s1
	s_cbranch_execz .LBB92_49
.LBB92_54:                              ;   in Loop: Header=BB92_25 Depth=1
	v_mul_f64 v[9:10], v[15:16], v[15:16]
	s_delay_alu instid0(VALU_DEP_4) | instskip(SKIP_3) | instid1(VALU_DEP_2)
	v_add_f64 v[11:12], v[17:18], v[17:18]
	v_cmp_class_f64_e64 s2, v[7:8], 0x1f8
	v_and_b32_e32 v2, 1, v50
	v_and_b32_e32 v8, 0x80000000, v8
	v_cmp_eq_u32_e64 s1, 0, v2
	v_fma_f64 v[13:14], v[15:16], v[15:16], -v[9:10]
	s_delay_alu instid0(VALU_DEP_1) | instskip(NEXT) | instid1(VALU_DEP_1)
	v_fma_f64 v[11:12], v[15:16], v[11:12], v[13:14]
	v_add_f64 v[9:10], v[9:10], v[11:12]
	s_delay_alu instid0(VALU_DEP_1) | instskip(NEXT) | instid1(VALU_DEP_1)
	v_fma_f64 v[11:12], v[9:10], s[22:23], s[20:21]
	v_fma_f64 v[11:12], v[9:10], v[11:12], s[24:25]
	s_delay_alu instid0(VALU_DEP_1) | instskip(NEXT) | instid1(VALU_DEP_1)
	v_fma_f64 v[11:12], v[9:10], v[11:12], s[26:27]
	v_fma_f64 v[11:12], v[9:10], v[11:12], s[28:29]
	;; [unrolled: 3-line block ×6, first 2 shown]
	s_delay_alu instid0(VALU_DEP_1) | instskip(NEXT) | instid1(VALU_DEP_1)
	v_fma_f64 v[11:12], v[9:10], v[11:12], s[48:49]
	v_mul_f64 v[9:10], v[9:10], v[11:12]
	s_delay_alu instid0(VALU_DEP_1) | instskip(NEXT) | instid1(VALU_DEP_1)
	v_mul_f64 v[11:12], v[15:16], v[9:10]
	v_add_f64 v[13:14], v[15:16], v[11:12]
	v_fma_f64 v[9:10], v[15:16], v[9:10], -v[11:12]
	s_delay_alu instid0(VALU_DEP_2) | instskip(NEXT) | instid1(VALU_DEP_2)
	v_add_f64 v[15:16], v[13:14], -v[15:16]
	v_add_f64 v[9:10], v[17:18], v[9:10]
	s_delay_alu instid0(VALU_DEP_2) | instskip(NEXT) | instid1(VALU_DEP_1)
	v_add_f64 v[11:12], v[11:12], -v[15:16]
	v_add_f64 v[9:10], v[9:10], v[11:12]
	s_delay_alu instid0(VALU_DEP_1) | instskip(NEXT) | instid1(VALU_DEP_1)
	v_add_f64 v[11:12], v[13:14], v[9:10]
	v_rcp_f64_e32 v[15:16], v[11:12]
	v_add_f64 v[13:14], v[11:12], -v[13:14]
	s_delay_alu instid0(VALU_DEP_1) | instskip(SKIP_2) | instid1(VALU_DEP_1)
	v_add_f64 v[9:10], v[9:10], -v[13:14]
	s_waitcnt_depctr 0xfff
	v_fma_f64 v[17:18], -v[11:12], v[15:16], 1.0
	v_fma_f64 v[15:16], v[17:18], v[15:16], v[15:16]
	s_delay_alu instid0(VALU_DEP_1) | instskip(NEXT) | instid1(VALU_DEP_1)
	v_fma_f64 v[17:18], -v[11:12], v[15:16], 1.0
	v_fma_f64 v[15:16], v[17:18], v[15:16], v[15:16]
	s_delay_alu instid0(VALU_DEP_1) | instskip(NEXT) | instid1(VALU_DEP_1)
	v_mul_f64 v[17:18], v[11:12], v[15:16]
	v_fma_f64 v[13:14], v[15:16], v[11:12], -v[17:18]
	s_delay_alu instid0(VALU_DEP_1) | instskip(NEXT) | instid1(VALU_DEP_1)
	v_fma_f64 v[9:10], v[15:16], v[9:10], v[13:14]
	v_add_f64 v[13:14], v[17:18], v[9:10]
	s_delay_alu instid0(VALU_DEP_1) | instskip(SKIP_1) | instid1(VALU_DEP_2)
	v_add_f64 v[53:54], -v[13:14], 1.0
	v_add_f64 v[17:18], v[13:14], -v[17:18]
	v_add_f64 v[55:56], -v[53:54], 1.0
	s_delay_alu instid0(VALU_DEP_2) | instskip(NEXT) | instid1(VALU_DEP_2)
	v_add_f64 v[9:10], v[17:18], -v[9:10]
	v_add_f64 v[13:14], v[55:56], -v[13:14]
	s_delay_alu instid0(VALU_DEP_1) | instskip(NEXT) | instid1(VALU_DEP_1)
	v_add_f64 v[9:10], v[9:10], v[13:14]
	v_add_f64 v[9:10], v[53:54], v[9:10]
	s_delay_alu instid0(VALU_DEP_1) | instskip(NEXT) | instid1(VALU_DEP_1)
	v_mul_f64 v[9:10], v[15:16], v[9:10]
	v_add_f64 v[9:10], v[15:16], v[9:10]
	s_delay_alu instid0(VALU_DEP_1) | instskip(NEXT) | instid1(VALU_DEP_2)
	v_xor_b32_e32 v7, 0x80000000, v10
	v_cndmask_b32_e64 v2, v9, v11, s1
	s_delay_alu instid0(VALU_DEP_2) | instskip(SKIP_1) | instid1(VALU_DEP_1)
	v_cndmask_b32_e64 v7, v7, v12, s1
	v_add_co_u32 v9, s1, v47, s12
	v_add_co_ci_u32_e64 v10, s1, s13, v48, s1
	s_delay_alu instid0(VALU_DEP_3) | instskip(SKIP_1) | instid1(VALU_DEP_2)
	v_xor_b32_e32 v8, v7, v8
	v_cndmask_b32_e64 v7, 0, v2, s2
	v_cndmask_b32_e64 v8, 0x7ff80000, v8, s2
	global_store_b64 v[9:10], v[7:8], off
	s_or_b32 exec_lo, exec_lo, s3
	s_and_saveexec_b32 s2, s0
	s_cbranch_execz .LBB92_50
.LBB92_55:                              ;   in Loop: Header=BB92_25 Depth=1
	v_mul_f64 v[7:8], v[19:20], v[19:20]
	s_delay_alu instid0(VALU_DEP_3) | instskip(SKIP_3) | instid1(VALU_DEP_2)
	v_add_f64 v[9:10], v[21:22], v[21:22]
	v_cmp_class_f64_e64 s1, v[5:6], 0x1f8
	v_and_b32_e32 v2, 1, v51
	v_and_b32_e32 v6, 0x80000000, v6
	v_cmp_eq_u32_e64 s0, 0, v2
	v_fma_f64 v[11:12], v[19:20], v[19:20], -v[7:8]
	s_delay_alu instid0(VALU_DEP_1) | instskip(NEXT) | instid1(VALU_DEP_1)
	v_fma_f64 v[9:10], v[19:20], v[9:10], v[11:12]
	v_add_f64 v[7:8], v[7:8], v[9:10]
	s_delay_alu instid0(VALU_DEP_1) | instskip(NEXT) | instid1(VALU_DEP_1)
	v_fma_f64 v[9:10], v[7:8], s[22:23], s[20:21]
	v_fma_f64 v[9:10], v[7:8], v[9:10], s[24:25]
	s_delay_alu instid0(VALU_DEP_1) | instskip(NEXT) | instid1(VALU_DEP_1)
	v_fma_f64 v[9:10], v[7:8], v[9:10], s[26:27]
	v_fma_f64 v[9:10], v[7:8], v[9:10], s[28:29]
	;; [unrolled: 3-line block ×6, first 2 shown]
	s_delay_alu instid0(VALU_DEP_1) | instskip(NEXT) | instid1(VALU_DEP_1)
	v_fma_f64 v[9:10], v[7:8], v[9:10], s[48:49]
	v_mul_f64 v[7:8], v[7:8], v[9:10]
	s_delay_alu instid0(VALU_DEP_1) | instskip(NEXT) | instid1(VALU_DEP_1)
	v_mul_f64 v[9:10], v[19:20], v[7:8]
	v_add_f64 v[11:12], v[19:20], v[9:10]
	v_fma_f64 v[7:8], v[19:20], v[7:8], -v[9:10]
	s_delay_alu instid0(VALU_DEP_2) | instskip(NEXT) | instid1(VALU_DEP_2)
	v_add_f64 v[13:14], v[11:12], -v[19:20]
	v_add_f64 v[7:8], v[21:22], v[7:8]
	s_delay_alu instid0(VALU_DEP_2) | instskip(NEXT) | instid1(VALU_DEP_1)
	v_add_f64 v[9:10], v[9:10], -v[13:14]
	v_add_f64 v[7:8], v[7:8], v[9:10]
	s_delay_alu instid0(VALU_DEP_1) | instskip(NEXT) | instid1(VALU_DEP_1)
	v_add_f64 v[9:10], v[11:12], v[7:8]
	v_rcp_f64_e32 v[13:14], v[9:10]
	v_add_f64 v[11:12], v[9:10], -v[11:12]
	s_delay_alu instid0(VALU_DEP_1) | instskip(SKIP_2) | instid1(VALU_DEP_1)
	v_add_f64 v[7:8], v[7:8], -v[11:12]
	s_waitcnt_depctr 0xfff
	v_fma_f64 v[15:16], -v[9:10], v[13:14], 1.0
	v_fma_f64 v[13:14], v[15:16], v[13:14], v[13:14]
	s_delay_alu instid0(VALU_DEP_1) | instskip(NEXT) | instid1(VALU_DEP_1)
	v_fma_f64 v[15:16], -v[9:10], v[13:14], 1.0
	v_fma_f64 v[13:14], v[15:16], v[13:14], v[13:14]
	s_delay_alu instid0(VALU_DEP_1) | instskip(NEXT) | instid1(VALU_DEP_1)
	v_mul_f64 v[15:16], v[9:10], v[13:14]
	v_fma_f64 v[11:12], v[13:14], v[9:10], -v[15:16]
	s_delay_alu instid0(VALU_DEP_1) | instskip(NEXT) | instid1(VALU_DEP_1)
	v_fma_f64 v[7:8], v[13:14], v[7:8], v[11:12]
	v_add_f64 v[11:12], v[15:16], v[7:8]
	s_delay_alu instid0(VALU_DEP_1) | instskip(SKIP_1) | instid1(VALU_DEP_2)
	v_add_f64 v[17:18], -v[11:12], 1.0
	v_add_f64 v[15:16], v[11:12], -v[15:16]
	v_add_f64 v[19:20], -v[17:18], 1.0
	s_delay_alu instid0(VALU_DEP_2) | instskip(NEXT) | instid1(VALU_DEP_2)
	v_add_f64 v[7:8], v[15:16], -v[7:8]
	v_add_f64 v[11:12], v[19:20], -v[11:12]
	s_delay_alu instid0(VALU_DEP_1) | instskip(NEXT) | instid1(VALU_DEP_1)
	v_add_f64 v[7:8], v[7:8], v[11:12]
	v_add_f64 v[7:8], v[17:18], v[7:8]
	s_delay_alu instid0(VALU_DEP_1) | instskip(NEXT) | instid1(VALU_DEP_1)
	v_mul_f64 v[7:8], v[13:14], v[7:8]
	v_add_f64 v[7:8], v[13:14], v[7:8]
	s_delay_alu instid0(VALU_DEP_1) | instskip(NEXT) | instid1(VALU_DEP_2)
	v_xor_b32_e32 v5, 0x80000000, v8
	v_cndmask_b32_e64 v2, v7, v9, s0
	s_delay_alu instid0(VALU_DEP_2) | instskip(SKIP_1) | instid1(VALU_DEP_1)
	v_cndmask_b32_e64 v5, v5, v10, s0
	v_add_co_u32 v7, s0, v40, s12
	v_add_co_ci_u32_e64 v8, s0, s13, v41, s0
	s_delay_alu instid0(VALU_DEP_3) | instskip(SKIP_1) | instid1(VALU_DEP_2)
	v_xor_b32_e32 v6, v5, v6
	v_cndmask_b32_e64 v5, 0, v2, s1
	v_cndmask_b32_e64 v6, 0x7ff80000, v6, s1
	global_store_b64 v[7:8], v[5:6], off
	s_or_b32 exec_lo, exec_lo, s2
	s_and_saveexec_b32 s1, vcc_lo
	s_cbranch_execz .LBB92_24
.LBB92_56:                              ;   in Loop: Header=BB92_25 Depth=1
	v_mul_f64 v[5:6], v[23:24], v[23:24]
	s_delay_alu instid0(VALU_DEP_2) | instskip(SKIP_3) | instid1(VALU_DEP_2)
	v_add_f64 v[7:8], v[25:26], v[25:26]
	v_cmp_class_f64_e64 s0, v[3:4], 0x1f8
	v_and_b32_e32 v2, 1, v52
	v_and_b32_e32 v4, 0x80000000, v4
	v_cmp_eq_u32_e32 vcc_lo, 0, v2
	v_fma_f64 v[9:10], v[23:24], v[23:24], -v[5:6]
	s_delay_alu instid0(VALU_DEP_1) | instskip(NEXT) | instid1(VALU_DEP_1)
	v_fma_f64 v[7:8], v[23:24], v[7:8], v[9:10]
	v_add_f64 v[5:6], v[5:6], v[7:8]
	s_delay_alu instid0(VALU_DEP_1) | instskip(NEXT) | instid1(VALU_DEP_1)
	v_fma_f64 v[7:8], v[5:6], s[22:23], s[20:21]
	v_fma_f64 v[7:8], v[5:6], v[7:8], s[24:25]
	s_delay_alu instid0(VALU_DEP_1) | instskip(NEXT) | instid1(VALU_DEP_1)
	v_fma_f64 v[7:8], v[5:6], v[7:8], s[26:27]
	v_fma_f64 v[7:8], v[5:6], v[7:8], s[28:29]
	;; [unrolled: 3-line block ×6, first 2 shown]
	s_delay_alu instid0(VALU_DEP_1) | instskip(NEXT) | instid1(VALU_DEP_1)
	v_fma_f64 v[7:8], v[5:6], v[7:8], s[48:49]
	v_mul_f64 v[5:6], v[5:6], v[7:8]
	s_delay_alu instid0(VALU_DEP_1) | instskip(NEXT) | instid1(VALU_DEP_1)
	v_mul_f64 v[7:8], v[23:24], v[5:6]
	v_add_f64 v[9:10], v[23:24], v[7:8]
	v_fma_f64 v[5:6], v[23:24], v[5:6], -v[7:8]
	s_delay_alu instid0(VALU_DEP_2) | instskip(NEXT) | instid1(VALU_DEP_2)
	v_add_f64 v[11:12], v[9:10], -v[23:24]
	v_add_f64 v[5:6], v[25:26], v[5:6]
	s_delay_alu instid0(VALU_DEP_2) | instskip(NEXT) | instid1(VALU_DEP_1)
	v_add_f64 v[7:8], v[7:8], -v[11:12]
	v_add_f64 v[5:6], v[5:6], v[7:8]
	s_delay_alu instid0(VALU_DEP_1) | instskip(NEXT) | instid1(VALU_DEP_1)
	v_add_f64 v[7:8], v[9:10], v[5:6]
	v_rcp_f64_e32 v[11:12], v[7:8]
	v_add_f64 v[9:10], v[7:8], -v[9:10]
	s_delay_alu instid0(VALU_DEP_1) | instskip(SKIP_2) | instid1(VALU_DEP_1)
	v_add_f64 v[5:6], v[5:6], -v[9:10]
	s_waitcnt_depctr 0xfff
	v_fma_f64 v[13:14], -v[7:8], v[11:12], 1.0
	v_fma_f64 v[11:12], v[13:14], v[11:12], v[11:12]
	s_delay_alu instid0(VALU_DEP_1) | instskip(NEXT) | instid1(VALU_DEP_1)
	v_fma_f64 v[13:14], -v[7:8], v[11:12], 1.0
	v_fma_f64 v[11:12], v[13:14], v[11:12], v[11:12]
	s_delay_alu instid0(VALU_DEP_1) | instskip(NEXT) | instid1(VALU_DEP_1)
	v_mul_f64 v[13:14], v[7:8], v[11:12]
	v_fma_f64 v[9:10], v[11:12], v[7:8], -v[13:14]
	s_delay_alu instid0(VALU_DEP_1) | instskip(NEXT) | instid1(VALU_DEP_1)
	v_fma_f64 v[5:6], v[11:12], v[5:6], v[9:10]
	v_add_f64 v[9:10], v[13:14], v[5:6]
	s_delay_alu instid0(VALU_DEP_1) | instskip(SKIP_1) | instid1(VALU_DEP_2)
	v_add_f64 v[15:16], -v[9:10], 1.0
	v_add_f64 v[13:14], v[9:10], -v[13:14]
	v_add_f64 v[17:18], -v[15:16], 1.0
	s_delay_alu instid0(VALU_DEP_2) | instskip(NEXT) | instid1(VALU_DEP_2)
	v_add_f64 v[5:6], v[13:14], -v[5:6]
	v_add_f64 v[9:10], v[17:18], -v[9:10]
	s_delay_alu instid0(VALU_DEP_1) | instskip(NEXT) | instid1(VALU_DEP_1)
	v_add_f64 v[5:6], v[5:6], v[9:10]
	v_add_f64 v[5:6], v[15:16], v[5:6]
	s_delay_alu instid0(VALU_DEP_1) | instskip(NEXT) | instid1(VALU_DEP_1)
	v_mul_f64 v[5:6], v[11:12], v[5:6]
	v_add_f64 v[5:6], v[11:12], v[5:6]
	s_delay_alu instid0(VALU_DEP_1) | instskip(NEXT) | instid1(VALU_DEP_1)
	v_xor_b32_e32 v3, 0x80000000, v6
	v_dual_cndmask_b32 v2, v5, v7 :: v_dual_cndmask_b32 v3, v3, v8
	s_delay_alu instid0(VALU_DEP_1) | instskip(NEXT) | instid1(VALU_DEP_2)
	v_cndmask_b32_e64 v2, 0, v2, s0
	v_xor_b32_e32 v3, v3, v4
	v_add_co_u32 v4, vcc_lo, v33, s12
	v_add_co_ci_u32_e32 v5, vcc_lo, s13, v34, vcc_lo
	s_delay_alu instid0(VALU_DEP_3)
	v_cndmask_b32_e64 v3, 0x7ff80000, v3, s0
	global_store_b64 v[4:5], v[2:3], off
	s_branch .LBB92_24
.LBB92_57:
	s_nop 0
	s_sendmsg sendmsg(MSG_DEALLOC_VGPRS)
	s_endpgm
	.section	.rodata,"a",@progbits
	.p2align	6, 0x0
	.amdhsa_kernel _ZN2at6native12_GLOBAL__N_125multi_tensor_apply_kernelINS1_18TensorListMetadataILi2EEENS1_14UnaryOpFunctorIdLi2ELi1ELi1EEEJNS0_3TanIdEEEEEvT_T0_DpT1_
		.amdhsa_group_segment_fixed_size 0
		.amdhsa_private_segment_fixed_size 0
		.amdhsa_kernarg_size 3408
		.amdhsa_user_sgpr_count 15
		.amdhsa_user_sgpr_dispatch_ptr 0
		.amdhsa_user_sgpr_queue_ptr 0
		.amdhsa_user_sgpr_kernarg_segment_ptr 1
		.amdhsa_user_sgpr_dispatch_id 0
		.amdhsa_user_sgpr_private_segment_size 0
		.amdhsa_wavefront_size32 1
		.amdhsa_uses_dynamic_stack 0
		.amdhsa_enable_private_segment 0
		.amdhsa_system_sgpr_workgroup_id_x 1
		.amdhsa_system_sgpr_workgroup_id_y 0
		.amdhsa_system_sgpr_workgroup_id_z 0
		.amdhsa_system_sgpr_workgroup_info 0
		.amdhsa_system_vgpr_workitem_id 0
		.amdhsa_next_free_vgpr 78
		.amdhsa_next_free_sgpr 71
		.amdhsa_reserve_vcc 1
		.amdhsa_float_round_mode_32 0
		.amdhsa_float_round_mode_16_64 0
		.amdhsa_float_denorm_mode_32 3
		.amdhsa_float_denorm_mode_16_64 3
		.amdhsa_dx10_clamp 1
		.amdhsa_ieee_mode 1
		.amdhsa_fp16_overflow 0
		.amdhsa_workgroup_processor_mode 1
		.amdhsa_memory_ordered 1
		.amdhsa_forward_progress 0
		.amdhsa_shared_vgpr_count 0
		.amdhsa_exception_fp_ieee_invalid_op 0
		.amdhsa_exception_fp_denorm_src 0
		.amdhsa_exception_fp_ieee_div_zero 0
		.amdhsa_exception_fp_ieee_overflow 0
		.amdhsa_exception_fp_ieee_underflow 0
		.amdhsa_exception_fp_ieee_inexact 0
		.amdhsa_exception_int_div_zero 0
	.end_amdhsa_kernel
	.section	.text._ZN2at6native12_GLOBAL__N_125multi_tensor_apply_kernelINS1_18TensorListMetadataILi2EEENS1_14UnaryOpFunctorIdLi2ELi1ELi1EEEJNS0_3TanIdEEEEEvT_T0_DpT1_,"axG",@progbits,_ZN2at6native12_GLOBAL__N_125multi_tensor_apply_kernelINS1_18TensorListMetadataILi2EEENS1_14UnaryOpFunctorIdLi2ELi1ELi1EEEJNS0_3TanIdEEEEEvT_T0_DpT1_,comdat
.Lfunc_end92:
	.size	_ZN2at6native12_GLOBAL__N_125multi_tensor_apply_kernelINS1_18TensorListMetadataILi2EEENS1_14UnaryOpFunctorIdLi2ELi1ELi1EEEJNS0_3TanIdEEEEEvT_T0_DpT1_, .Lfunc_end92-_ZN2at6native12_GLOBAL__N_125multi_tensor_apply_kernelINS1_18TensorListMetadataILi2EEENS1_14UnaryOpFunctorIdLi2ELi1ELi1EEEJNS0_3TanIdEEEEEvT_T0_DpT1_
                                        ; -- End function
	.section	.AMDGPU.csdata,"",@progbits
; Kernel info:
; codeLenInByte = 13360
; NumSgprs: 73
; NumVgprs: 78
; ScratchSize: 0
; MemoryBound: 0
; FloatMode: 240
; IeeeMode: 1
; LDSByteSize: 0 bytes/workgroup (compile time only)
; SGPRBlocks: 9
; VGPRBlocks: 9
; NumSGPRsForWavesPerEU: 73
; NumVGPRsForWavesPerEU: 78
; Occupancy: 16
; WaveLimiterHint : 0
; COMPUTE_PGM_RSRC2:SCRATCH_EN: 0
; COMPUTE_PGM_RSRC2:USER_SGPR: 15
; COMPUTE_PGM_RSRC2:TRAP_HANDLER: 0
; COMPUTE_PGM_RSRC2:TGID_X_EN: 1
; COMPUTE_PGM_RSRC2:TGID_Y_EN: 0
; COMPUTE_PGM_RSRC2:TGID_Z_EN: 0
; COMPUTE_PGM_RSRC2:TIDIG_COMP_CNT: 0
	.section	.text._ZN2at6native12_GLOBAL__N_125multi_tensor_apply_kernelINS1_18TensorListMetadataILi2EEENS1_14UnaryOpFunctorIfLi2ELi1ELi1EEEJNS0_3TanIfEEEEEvT_T0_DpT1_,"axG",@progbits,_ZN2at6native12_GLOBAL__N_125multi_tensor_apply_kernelINS1_18TensorListMetadataILi2EEENS1_14UnaryOpFunctorIfLi2ELi1ELi1EEEJNS0_3TanIfEEEEEvT_T0_DpT1_,comdat
	.globl	_ZN2at6native12_GLOBAL__N_125multi_tensor_apply_kernelINS1_18TensorListMetadataILi2EEENS1_14UnaryOpFunctorIfLi2ELi1ELi1EEEJNS0_3TanIfEEEEEvT_T0_DpT1_ ; -- Begin function _ZN2at6native12_GLOBAL__N_125multi_tensor_apply_kernelINS1_18TensorListMetadataILi2EEENS1_14UnaryOpFunctorIfLi2ELi1ELi1EEEJNS0_3TanIfEEEEEvT_T0_DpT1_
	.p2align	8
	.type	_ZN2at6native12_GLOBAL__N_125multi_tensor_apply_kernelINS1_18TensorListMetadataILi2EEENS1_14UnaryOpFunctorIfLi2ELi1ELi1EEEJNS0_3TanIfEEEEEvT_T0_DpT1_,@function
_ZN2at6native12_GLOBAL__N_125multi_tensor_apply_kernelINS1_18TensorListMetadataILi2EEENS1_14UnaryOpFunctorIfLi2ELi1ELi1EEEJNS0_3TanIfEEEEEvT_T0_DpT1_: ; @_ZN2at6native12_GLOBAL__N_125multi_tensor_apply_kernelINS1_18TensorListMetadataILi2EEENS1_14UnaryOpFunctorIfLi2ELi1ELi1EEEJNS0_3TanIfEEEEEvT_T0_DpT1_
; %bb.0:
	v_mov_b32_e32 v1, s15
	s_add_u32 s2, s0, s15
	s_mul_hi_u32 s3, s15, 3
	s_mul_i32 s15, s15, 3
	s_addc_u32 s4, s1, 0
	global_load_u8 v1, v1, s[0:1] offset:1536
	s_add_u32 s2, s2, s15
	s_addc_u32 s3, s4, s3
	s_mov_b32 s19, 0
	s_load_b32 s2, s[2:3], 0x740
	s_mov_b32 s21, s19
	s_mov_b32 s23, s19
	s_waitcnt vmcnt(0)
	v_readfirstlane_b32 s5, v1
	s_delay_alu instid0(VALU_DEP_1)
	s_lshl_b32 s3, s5, 3
	s_clause 0x2
	s_load_b64 s[6:7], s[0:1], s3 offset:0x0
	s_load_b64 s[14:15], s[0:1], s3 offset:0x200
	;; [unrolled: 1-line block ×3, first 2 shown]
	s_waitcnt lgkmcnt(0)
	s_ashr_i32 s3, s2, 31
	s_delay_alu instid0(SALU_CYCLE_1) | instskip(NEXT) | instid1(SALU_CYCLE_1)
	s_lshl_b64 s[8:9], s[2:3], 18
	s_add_u32 s5, s6, s8
	s_addc_u32 s12, s7, s9
	s_and_b32 s18, s5, 15
	s_add_u32 s13, s14, s8
	s_addc_u32 s16, s15, s9
	s_and_b32 s20, s10, 3
	s_and_b32 s22, s13, 15
	s_or_b64 s[18:19], s[18:19], s[20:21]
	s_lshl_b64 s[2:3], s[2:3], 16
	s_or_b64 s[18:19], s[22:23], s[18:19]
	s_sub_u32 s10, s10, s2
	s_subb_u32 s11, s11, s3
	s_cmp_eq_u64 s[18:19], 0
	s_mov_b32 s2, -1
	s_cbranch_scc0 .LBB93_21
; %bb.1:
	v_dual_mov_b32 v6, 0 :: v_dual_lshlrev_b32 v5, 2, v0
	s_mov_b32 s17, exec_lo
	s_delay_alu instid0(VALU_DEP_1)
	v_cmpx_gt_i64_e64 s[10:11], v[5:6]
	s_cbranch_execz .LBB93_20
; %bb.2:
	s_load_b32 s2, s[0:1], 0xc5c
	s_mov_b32 s18, 0
	s_mov_b32 s21, 0x7fffff
	;; [unrolled: 1-line block ×4, first 2 shown]
	s_waitcnt lgkmcnt(0)
	s_and_b32 s2, s2, 0xffff
	s_delay_alu instid0(SALU_CYCLE_1) | instskip(SKIP_3) | instid1(VALU_DEP_2)
	v_add_lshl_u32 v5, v0, s2, 2
	v_dual_mov_b32 v8, v6 :: v_dual_lshlrev_b32 v9, 4, v0
	s_lshl_b32 s19, s2, 2
	s_lshl_b32 s20, s2, 4
	v_mov_b32_e32 v7, v5
	s_branch .LBB93_4
.LBB93_3:                               ;   in Loop: Header=BB93_4 Depth=1
	s_or_b32 exec_lo, exec_lo, s2
	v_dual_mul_f32 v21, v17, v17 :: v_dual_mul_f32 v22, v14, v14
	v_mul_f32_e32 v23, v12, v12
	v_dual_mul_f32 v24, v20, v20 :: v_dual_and_b32 v15, 1, v15
	s_delay_alu instid0(VALU_DEP_3) | instskip(NEXT) | instid1(VALU_DEP_2)
	v_dual_fmaak_f32 v25, s23, v21, 0xbf039337 :: v_dual_fmaak_f32 v26, s23, v22, 0xbf039337
	v_dual_fmaak_f32 v27, s23, v23, 0xbf039337 :: v_dual_fmaak_f32 v28, s23, v24, 0xbf039337
	;; [unrolled: 1-line block ×3, first 2 shown]
	s_delay_alu instid0(VALU_DEP_3) | instskip(NEXT) | instid1(VALU_DEP_3)
	v_dual_fmaak_f32 v25, v21, v25, 0x3f93f425 :: v_dual_fmaak_f32 v26, v22, v26, 0x3f93f425
	v_dual_fmaak_f32 v27, v23, v27, 0x3f93f425 :: v_dual_fmaak_f32 v28, v24, v28, 0x3f93f425
	v_dual_fmaak_f32 v31, s22, v23, 0x3ec54587 :: v_dual_fmaak_f32 v32, s22, v24, 0x3ec54587
	s_delay_alu instid0(VALU_DEP_3) | instskip(NEXT) | instid1(VALU_DEP_3)
	v_rcp_f32_e32 v25, v25
	v_rcp_f32_e32 v26, v26
	s_delay_alu instid0(VALU_DEP_2)
	v_rcp_f32_e32 v27, v27
	v_rcp_f32_e32 v28, v28
	v_and_b32_e32 v11, 1, v11
	v_and_b32_e32 v5, 1, v5
	v_cmp_lt_u64_e64 s2, 0xffff, v[7:8]
	v_cmp_class_f32_e64 s3, v4, 0x1f8
	s_delay_alu instid0(TRANS32_DEP_3) | instskip(SKIP_3) | instid1(VALU_DEP_2)
	v_dual_mul_f32 v25, v29, v25 :: v_dual_mul_f32 v26, v30, v26
	s_waitcnt_depctr 0xfff
	v_dual_mul_f32 v27, v31, v27 :: v_dual_mul_f32 v28, v32, v28
	v_dual_mul_f32 v21, v21, v25 :: v_dual_mul_f32 v22, v22, v26
	;; [unrolled: 1-line block ×3, first 2 shown]
	s_delay_alu instid0(VALU_DEP_2) | instskip(NEXT) | instid1(VALU_DEP_3)
	v_fma_f32 v25, v21, v17, v17
	v_fma_f32 v26, v22, v14, v14
	s_delay_alu instid0(VALU_DEP_3) | instskip(NEXT) | instid1(VALU_DEP_4)
	v_fma_f32 v27, v23, v12, v12
	v_fma_f32 v28, v24, v20, v20
	v_and_b32_e32 v19, 1, v19
	v_rcp_f32_e32 v30, v25
	v_rcp_f32_e32 v32, v26
	v_sub_f32_e32 v31, v26, v14
	v_rcp_f32_e32 v34, v27
	v_sub_f32_e32 v33, v27, v12
	;; [unrolled: 2-line block ×3, first 2 shown]
	v_fma_f32 v14, v22, v14, -v31
	v_cmp_eq_u32_e32 vcc_lo, 0, v19
	v_fma_f32 v12, v23, v12, -v33
	s_delay_alu instid0(TRANS32_DEP_3) | instskip(SKIP_1) | instid1(TRANS32_DEP_2)
	v_fma_f32 v22, v26, -v32, 1.0
	v_fma_f32 v20, v24, v20, -v36
	v_fma_f32 v23, v27, -v34, 1.0
	s_delay_alu instid0(TRANS32_DEP_1) | instskip(NEXT) | instid1(VALU_DEP_4)
	v_fma_f32 v24, v28, -v35, 1.0
	v_fma_f32 v14, v14, -v32, v22
	s_delay_alu instid0(VALU_DEP_3) | instskip(NEXT) | instid1(VALU_DEP_3)
	v_fma_f32 v12, v12, -v34, v23
	v_fma_f32 v20, v20, -v35, v24
	s_delay_alu instid0(VALU_DEP_3) | instskip(SKIP_1) | instid1(VALU_DEP_4)
	v_fma_f32 v14, v14, -v32, -v32
	v_sub_f32_e32 v29, v25, v17
	v_fma_f32 v12, v12, -v34, -v34
	s_delay_alu instid0(VALU_DEP_4) | instskip(NEXT) | instid1(VALU_DEP_3)
	v_fma_f32 v20, v20, -v35, -v35
	v_fma_f32 v17, v21, v17, -v29
	v_fma_f32 v21, v25, -v30, 1.0
	s_delay_alu instid0(VALU_DEP_1) | instskip(NEXT) | instid1(VALU_DEP_1)
	v_fma_f32 v17, v17, -v30, v21
	v_fma_f32 v17, v17, -v30, -v30
	s_delay_alu instid0(VALU_DEP_1) | instskip(SKIP_3) | instid1(VALU_DEP_2)
	v_cndmask_b32_e32 v17, v17, v25, vcc_lo
	v_cmp_eq_u32_e32 vcc_lo, 0, v15
	v_cndmask_b32_e32 v14, v14, v26, vcc_lo
	v_cmp_eq_u32_e32 vcc_lo, 0, v11
	v_xor3_b32 v13, v13, v2, v14
	v_cndmask_b32_e32 v11, v12, v27, vcc_lo
	v_cmp_eq_u32_e32 vcc_lo, 0, v5
	v_xor3_b32 v12, v16, v3, v17
	s_delay_alu instid0(VALU_DEP_3) | instskip(SKIP_2) | instid1(VALU_DEP_2)
	v_xor3_b32 v10, v10, v1, v11
	v_cndmask_b32_e32 v5, v20, v28, vcc_lo
	v_cmp_class_f32_e64 vcc_lo, v3, 0x1f8
	v_xor3_b32 v5, v18, v4, v5
	v_cndmask_b32_e32 v3, 0x7fc00000, v12, vcc_lo
	v_cmp_class_f32_e64 vcc_lo, v2, 0x1f8
	s_delay_alu instid0(VALU_DEP_3)
	v_cndmask_b32_e64 v4, 0x7fc00000, v5, s3
	v_cndmask_b32_e32 v2, 0x7fc00000, v13, vcc_lo
	v_cmp_class_f32_e64 vcc_lo, v1, 0x1f8
	v_cndmask_b32_e32 v1, 0x7fc00000, v10, vcc_lo
	v_cmp_le_i64_e32 vcc_lo, s[10:11], v[7:8]
	v_add_co_u32 v10, s3, s13, v9
	s_delay_alu instid0(VALU_DEP_1)
	v_add_co_ci_u32_e64 v11, null, s16, 0, s3
	s_or_b32 s2, vcc_lo, s2
	s_add_u32 s5, s5, s20
	v_add_co_u32 v7, vcc_lo, v7, s19
	s_addc_u32 s12, s12, 0
	s_add_u32 s13, s13, s20
	v_add_co_ci_u32_e32 v8, vcc_lo, 0, v8, vcc_lo
	s_addc_u32 s16, s16, 0
	s_and_b32 s2, exec_lo, s2
	global_store_b128 v[10:11], v[1:4], off
	s_or_b32 s18, s2, s18
	s_delay_alu instid0(SALU_CYCLE_1)
	s_and_not1_b32 exec_lo, exec_lo, s18
	s_cbranch_execz .LBB93_20
.LBB93_4:                               ; =>This Inner Loop Header: Depth=1
	v_add_co_u32 v1, s2, s5, v9
	s_delay_alu instid0(VALU_DEP_1)
	v_add_co_ci_u32_e64 v2, null, s12, 0, s2
                                        ; implicit-def: $vgpr11
                                        ; implicit-def: $vgpr12
	s_mov_b32 s3, exec_lo
	global_load_b128 v[1:4], v[1:2], off
	s_waitcnt vmcnt(0)
	v_and_b32_e32 v10, 0x7fffffff, v1
	v_cmpx_ngt_f32_e64 0x48000000, |v1|
	s_xor_b32 s24, exec_lo, s3
	s_cbranch_execz .LBB93_6
; %bb.5:                                ;   in Loop: Header=BB93_4 Depth=1
	s_delay_alu instid0(VALU_DEP_2) | instskip(SKIP_1) | instid1(VALU_DEP_2)
	v_lshrrev_b32_e32 v16, 23, v10
	v_and_or_b32 v19, v10, s21, 0x800000
	v_add_nc_u32_e32 v17, 0xffffff88, v16
	s_delay_alu instid0(VALU_DEP_2) | instskip(NEXT) | instid1(VALU_DEP_2)
	v_mad_u64_u32 v[11:12], null, 0xfe5163ab, v19, 0
	v_cmp_lt_u32_e32 vcc_lo, 63, v17
	v_cndmask_b32_e64 v18, 0, 0xffffffc0, vcc_lo
	s_delay_alu instid0(VALU_DEP_1) | instskip(NEXT) | instid1(VALU_DEP_1)
	v_dual_mov_b32 v5, v12 :: v_dual_add_nc_u32 v18, v18, v17
	v_mad_u64_u32 v[12:13], null, 0x3c439041, v19, v[5:6]
	s_delay_alu instid0(VALU_DEP_2) | instskip(NEXT) | instid1(VALU_DEP_1)
	v_cmp_lt_u32_e64 s2, 31, v18
	v_cndmask_b32_e64 v20, 0, 0xffffffe0, s2
	s_delay_alu instid0(VALU_DEP_1) | instskip(NEXT) | instid1(VALU_DEP_1)
	v_dual_mov_b32 v5, v13 :: v_dual_add_nc_u32 v20, v20, v18
	v_mad_u64_u32 v[13:14], null, 0xdb629599, v19, v[5:6]
	s_delay_alu instid0(VALU_DEP_2) | instskip(NEXT) | instid1(VALU_DEP_2)
	v_cmp_lt_u32_e64 s3, 31, v20
	v_mov_b32_e32 v5, v14
	s_delay_alu instid0(VALU_DEP_3) | instskip(NEXT) | instid1(VALU_DEP_2)
	v_cndmask_b32_e32 v11, v13, v11, vcc_lo
	v_mad_u64_u32 v[14:15], null, 0xf534ddc0, v19, v[5:6]
	s_delay_alu instid0(VALU_DEP_1) | instskip(NEXT) | instid1(VALU_DEP_1)
	v_dual_mov_b32 v5, v15 :: v_dual_cndmask_b32 v12, v14, v12
	v_mad_u64_u32 v[15:16], null, 0xfc2757d1, v19, v[5:6]
	s_delay_alu instid0(VALU_DEP_2) | instskip(NEXT) | instid1(VALU_DEP_2)
	v_cndmask_b32_e64 v11, v12, v11, s2
	v_mov_b32_e32 v5, v16
	s_delay_alu instid0(VALU_DEP_1) | instskip(NEXT) | instid1(VALU_DEP_1)
	v_mad_u64_u32 v[16:17], null, 0x4e441529, v19, v[5:6]
	v_mov_b32_e32 v5, v17
	s_delay_alu instid0(VALU_DEP_1) | instskip(SKIP_1) | instid1(VALU_DEP_4)
	v_mad_u64_u32 v[17:18], null, 0xa2f9836e, v19, v[5:6]
	v_cndmask_b32_e64 v5, 0, 0xffffffe0, s3
	v_cndmask_b32_e32 v19, v16, v14, vcc_lo
	s_delay_alu instid0(VALU_DEP_2) | instskip(NEXT) | instid1(VALU_DEP_4)
	v_add_nc_u32_e32 v5, v5, v20
	v_dual_cndmask_b32 v17, v17, v15 :: v_dual_cndmask_b32 v16, v18, v16
	v_cndmask_b32_e32 v15, v15, v13, vcc_lo
	s_delay_alu instid0(VALU_DEP_3) | instskip(NEXT) | instid1(VALU_DEP_3)
	v_sub_nc_u32_e32 v18, 32, v5
	v_cndmask_b32_e64 v14, v17, v19, s2
	s_delay_alu instid0(VALU_DEP_4) | instskip(NEXT) | instid1(VALU_DEP_4)
	v_cndmask_b32_e64 v16, v16, v17, s2
	v_cndmask_b32_e64 v17, v19, v15, s2
	;; [unrolled: 1-line block ×3, first 2 shown]
	v_cmp_eq_u32_e64 s4, 0, v5
	s_delay_alu instid0(VALU_DEP_4) | instskip(NEXT) | instid1(VALU_DEP_4)
	v_cndmask_b32_e64 v16, v16, v14, s3
	v_cndmask_b32_e64 v14, v14, v17, s3
	s_delay_alu instid0(VALU_DEP_4) | instskip(SKIP_1) | instid1(VALU_DEP_3)
	v_cndmask_b32_e64 v17, v17, v15, s3
	v_cndmask_b32_e64 v11, v15, v11, s3
	v_alignbit_b32 v19, v16, v14, v18
	s_delay_alu instid0(VALU_DEP_3) | instskip(NEXT) | instid1(VALU_DEP_3)
	v_alignbit_b32 v20, v14, v17, v18
	v_alignbit_b32 v18, v17, v11, v18
	s_delay_alu instid0(VALU_DEP_3) | instskip(NEXT) | instid1(VALU_DEP_3)
	v_cndmask_b32_e64 v5, v19, v16, s4
	v_cndmask_b32_e64 v13, v20, v14, s4
	s_delay_alu instid0(VALU_DEP_3) | instskip(NEXT) | instid1(VALU_DEP_3)
	v_cndmask_b32_e64 v17, v18, v17, s4
	v_bfe_u32 v14, v5, 29, 1
	s_delay_alu instid0(VALU_DEP_3) | instskip(NEXT) | instid1(VALU_DEP_3)
	v_alignbit_b32 v12, v5, v13, 30
	v_alignbit_b32 v13, v13, v17, 30
	;; [unrolled: 1-line block ×3, first 2 shown]
	s_delay_alu instid0(VALU_DEP_4) | instskip(NEXT) | instid1(VALU_DEP_1)
	v_sub_nc_u32_e32 v16, 0, v14
	v_xor_b32_e32 v15, v12, v16
	v_cmp_ne_u32_e32 vcc_lo, v12, v16
	v_xor_b32_e32 v13, v13, v16
	v_xor_b32_e32 v11, v11, v16
	s_delay_alu instid0(VALU_DEP_4) | instskip(NEXT) | instid1(VALU_DEP_1)
	v_clz_i32_u32_e32 v19, v15
	v_add_nc_u32_e32 v18, 1, v19
	s_delay_alu instid0(VALU_DEP_1) | instskip(NEXT) | instid1(VALU_DEP_1)
	v_cndmask_b32_e32 v12, 33, v18, vcc_lo
	v_sub_nc_u32_e32 v17, 32, v12
	s_delay_alu instid0(VALU_DEP_1) | instskip(SKIP_3) | instid1(VALU_DEP_3)
	v_alignbit_b32 v15, v15, v13, v17
	v_alignbit_b32 v11, v13, v11, v17
	v_lshrrev_b32_e32 v13, 29, v5
	v_lshrrev_b32_e32 v5, 30, v5
	v_alignbit_b32 v16, v15, v11, 9
	s_delay_alu instid0(VALU_DEP_3) | instskip(SKIP_1) | instid1(VALU_DEP_3)
	v_lshlrev_b32_e32 v13, 31, v13
	v_alignbit_b32 v15, v12, v15, 9
	v_clz_i32_u32_e32 v17, v16
	s_delay_alu instid0(VALU_DEP_2) | instskip(SKIP_1) | instid1(VALU_DEP_3)
	v_or_b32_e32 v15, v15, v13
	v_or_b32_e32 v13, 0x33800000, v13
	v_min_u32_e32 v17, 32, v17
	s_delay_alu instid0(VALU_DEP_3) | instskip(NEXT) | instid1(VALU_DEP_2)
	v_xor_b32_e32 v15, 1.0, v15
	v_sub_nc_u32_e32 v18, 31, v17
	v_add_lshl_u32 v12, v17, v12, 23
	s_delay_alu instid0(VALU_DEP_3) | instskip(NEXT) | instid1(VALU_DEP_3)
	v_mul_f32_e32 v17, 0x3fc90fda, v15
	v_alignbit_b32 v11, v16, v11, v18
	s_delay_alu instid0(VALU_DEP_3) | instskip(NEXT) | instid1(VALU_DEP_3)
	v_sub_nc_u32_e32 v12, v13, v12
	v_fma_f32 v13, 0x3fc90fda, v15, -v17
	s_delay_alu instid0(VALU_DEP_3) | instskip(NEXT) | instid1(VALU_DEP_2)
	v_lshrrev_b32_e32 v11, 9, v11
	v_fmac_f32_e32 v13, 0x33a22168, v15
	s_delay_alu instid0(VALU_DEP_2) | instskip(NEXT) | instid1(VALU_DEP_1)
	v_or_b32_e32 v11, v12, v11
	v_fmac_f32_e32 v13, 0x3fc90fda, v11
	v_add_nc_u32_e32 v11, v14, v5
	s_delay_alu instid0(VALU_DEP_2)
	v_add_f32_e32 v12, v17, v13
.LBB93_6:                               ;   in Loop: Header=BB93_4 Depth=1
	s_and_not1_saveexec_b32 s2, s24
; %bb.7:                                ;   in Loop: Header=BB93_4 Depth=1
	v_mul_f32_e64 v5, 0x3f22f983, |v1|
	s_delay_alu instid0(VALU_DEP_1) | instskip(NEXT) | instid1(VALU_DEP_1)
	v_rndne_f32_e32 v5, v5
	v_fma_f32 v12, 0xbfc90fda, v5, |v1|
	v_cvt_i32_f32_e32 v11, v5
	s_delay_alu instid0(VALU_DEP_2) | instskip(NEXT) | instid1(VALU_DEP_1)
	v_fmac_f32_e32 v12, 0xb3a22168, v5
	v_fmac_f32_e32 v12, 0xa7c234c4, v5
; %bb.8:                                ;   in Loop: Header=BB93_4 Depth=1
	s_or_b32 exec_lo, exec_lo, s2
	v_and_b32_e32 v13, 0x7fffffff, v2
                                        ; implicit-def: $vgpr15
                                        ; implicit-def: $vgpr14
	s_mov_b32 s3, exec_lo
	v_cmpx_ngt_f32_e64 0x48000000, |v2|
	s_xor_b32 s24, exec_lo, s3
	s_cbranch_execz .LBB93_10
; %bb.9:                                ;   in Loop: Header=BB93_4 Depth=1
	v_and_or_b32 v22, v13, s21, 0x800000
	v_lshrrev_b32_e32 v19, 23, v13
	s_delay_alu instid0(VALU_DEP_2) | instskip(NEXT) | instid1(VALU_DEP_2)
	v_mad_u64_u32 v[14:15], null, 0xfe5163ab, v22, 0
	v_add_nc_u32_e32 v20, 0xffffff88, v19
	s_delay_alu instid0(VALU_DEP_1) | instskip(NEXT) | instid1(VALU_DEP_3)
	v_cmp_lt_u32_e32 vcc_lo, 63, v20
	v_mov_b32_e32 v5, v15
	v_cndmask_b32_e64 v21, 0, 0xffffffc0, vcc_lo
	s_delay_alu instid0(VALU_DEP_2) | instskip(NEXT) | instid1(VALU_DEP_2)
	v_mad_u64_u32 v[15:16], null, 0x3c439041, v22, v[5:6]
	v_add_nc_u32_e32 v21, v21, v20
	s_delay_alu instid0(VALU_DEP_2) | instskip(NEXT) | instid1(VALU_DEP_2)
	v_mov_b32_e32 v5, v16
	v_cmp_lt_u32_e64 s2, 31, v21
	s_delay_alu instid0(VALU_DEP_2) | instskip(NEXT) | instid1(VALU_DEP_2)
	v_mad_u64_u32 v[16:17], null, 0xdb629599, v22, v[5:6]
	v_cndmask_b32_e64 v23, 0, 0xffffffe0, s2
	s_delay_alu instid0(VALU_DEP_1) | instskip(NEXT) | instid1(VALU_DEP_3)
	v_add_nc_u32_e32 v23, v23, v21
	v_dual_mov_b32 v5, v17 :: v_dual_cndmask_b32 v14, v16, v14
	s_delay_alu instid0(VALU_DEP_2) | instskip(NEXT) | instid1(VALU_DEP_2)
	v_cmp_lt_u32_e64 s3, 31, v23
	v_mad_u64_u32 v[17:18], null, 0xf534ddc0, v22, v[5:6]
	s_delay_alu instid0(VALU_DEP_1) | instskip(NEXT) | instid1(VALU_DEP_2)
	v_mov_b32_e32 v5, v18
	v_cndmask_b32_e32 v15, v17, v15, vcc_lo
	s_delay_alu instid0(VALU_DEP_2) | instskip(NEXT) | instid1(VALU_DEP_2)
	v_mad_u64_u32 v[18:19], null, 0xfc2757d1, v22, v[5:6]
	v_cndmask_b32_e64 v14, v15, v14, s2
	s_delay_alu instid0(VALU_DEP_2) | instskip(NEXT) | instid1(VALU_DEP_1)
	v_mov_b32_e32 v5, v19
	v_mad_u64_u32 v[19:20], null, 0x4e441529, v22, v[5:6]
	s_delay_alu instid0(VALU_DEP_1) | instskip(NEXT) | instid1(VALU_DEP_1)
	v_mov_b32_e32 v5, v20
	v_mad_u64_u32 v[20:21], null, 0xa2f9836e, v22, v[5:6]
	v_cndmask_b32_e64 v5, 0, 0xffffffe0, s3
	s_delay_alu instid0(VALU_DEP_1) | instskip(NEXT) | instid1(VALU_DEP_3)
	v_dual_cndmask_b32 v22, v19, v17 :: v_dual_add_nc_u32 v5, v5, v23
	v_dual_cndmask_b32 v20, v20, v18 :: v_dual_cndmask_b32 v19, v21, v19
	v_cndmask_b32_e32 v18, v18, v16, vcc_lo
	s_delay_alu instid0(VALU_DEP_3) | instskip(NEXT) | instid1(VALU_DEP_3)
	v_sub_nc_u32_e32 v21, 32, v5
	v_cndmask_b32_e64 v17, v20, v22, s2
	s_delay_alu instid0(VALU_DEP_4) | instskip(NEXT) | instid1(VALU_DEP_4)
	v_cndmask_b32_e64 v19, v19, v20, s2
	v_cndmask_b32_e64 v20, v22, v18, s2
	;; [unrolled: 1-line block ×3, first 2 shown]
	v_cmp_eq_u32_e64 s4, 0, v5
	s_delay_alu instid0(VALU_DEP_4) | instskip(NEXT) | instid1(VALU_DEP_4)
	v_cndmask_b32_e64 v19, v19, v17, s3
	v_cndmask_b32_e64 v17, v17, v20, s3
	s_delay_alu instid0(VALU_DEP_4) | instskip(SKIP_1) | instid1(VALU_DEP_3)
	v_cndmask_b32_e64 v20, v20, v18, s3
	v_cndmask_b32_e64 v14, v18, v14, s3
	v_alignbit_b32 v22, v19, v17, v21
	s_delay_alu instid0(VALU_DEP_3) | instskip(NEXT) | instid1(VALU_DEP_3)
	v_alignbit_b32 v23, v17, v20, v21
	v_alignbit_b32 v21, v20, v14, v21
	s_delay_alu instid0(VALU_DEP_3) | instskip(NEXT) | instid1(VALU_DEP_3)
	v_cndmask_b32_e64 v5, v22, v19, s4
	v_cndmask_b32_e64 v16, v23, v17, s4
	s_delay_alu instid0(VALU_DEP_3) | instskip(NEXT) | instid1(VALU_DEP_3)
	v_cndmask_b32_e64 v20, v21, v20, s4
	v_bfe_u32 v17, v5, 29, 1
	s_delay_alu instid0(VALU_DEP_3) | instskip(NEXT) | instid1(VALU_DEP_3)
	v_alignbit_b32 v15, v5, v16, 30
	v_alignbit_b32 v16, v16, v20, 30
	;; [unrolled: 1-line block ×3, first 2 shown]
	s_delay_alu instid0(VALU_DEP_4) | instskip(NEXT) | instid1(VALU_DEP_1)
	v_sub_nc_u32_e32 v19, 0, v17
	v_xor_b32_e32 v18, v15, v19
	v_cmp_ne_u32_e32 vcc_lo, v15, v19
	v_xor_b32_e32 v16, v16, v19
	v_xor_b32_e32 v14, v14, v19
	s_delay_alu instid0(VALU_DEP_4) | instskip(NEXT) | instid1(VALU_DEP_1)
	v_clz_i32_u32_e32 v22, v18
	v_add_nc_u32_e32 v21, 1, v22
	s_delay_alu instid0(VALU_DEP_1) | instskip(NEXT) | instid1(VALU_DEP_1)
	v_cndmask_b32_e32 v15, 33, v21, vcc_lo
	v_sub_nc_u32_e32 v20, 32, v15
	s_delay_alu instid0(VALU_DEP_1) | instskip(SKIP_3) | instid1(VALU_DEP_3)
	v_alignbit_b32 v18, v18, v16, v20
	v_alignbit_b32 v14, v16, v14, v20
	v_lshrrev_b32_e32 v16, 29, v5
	v_lshrrev_b32_e32 v5, 30, v5
	v_alignbit_b32 v19, v18, v14, 9
	s_delay_alu instid0(VALU_DEP_3) | instskip(SKIP_1) | instid1(VALU_DEP_3)
	v_lshlrev_b32_e32 v16, 31, v16
	v_alignbit_b32 v18, v15, v18, 9
	v_clz_i32_u32_e32 v20, v19
	s_delay_alu instid0(VALU_DEP_2) | instskip(SKIP_1) | instid1(VALU_DEP_3)
	v_or_b32_e32 v18, v18, v16
	v_or_b32_e32 v16, 0x33800000, v16
	v_min_u32_e32 v20, 32, v20
	s_delay_alu instid0(VALU_DEP_3) | instskip(NEXT) | instid1(VALU_DEP_2)
	v_xor_b32_e32 v18, 1.0, v18
	v_sub_nc_u32_e32 v21, 31, v20
	v_add_lshl_u32 v15, v20, v15, 23
	s_delay_alu instid0(VALU_DEP_3) | instskip(NEXT) | instid1(VALU_DEP_3)
	v_mul_f32_e32 v20, 0x3fc90fda, v18
	v_alignbit_b32 v14, v19, v14, v21
	s_delay_alu instid0(VALU_DEP_3) | instskip(NEXT) | instid1(VALU_DEP_3)
	v_sub_nc_u32_e32 v15, v16, v15
	v_fma_f32 v16, 0x3fc90fda, v18, -v20
	s_delay_alu instid0(VALU_DEP_3) | instskip(NEXT) | instid1(VALU_DEP_2)
	v_lshrrev_b32_e32 v14, 9, v14
	v_fmac_f32_e32 v16, 0x33a22168, v18
	s_delay_alu instid0(VALU_DEP_2) | instskip(NEXT) | instid1(VALU_DEP_1)
	v_or_b32_e32 v14, v15, v14
	v_dual_fmac_f32 v16, 0x3fc90fda, v14 :: v_dual_add_nc_u32 v15, v17, v5
	s_delay_alu instid0(VALU_DEP_1)
	v_add_f32_e32 v14, v20, v16
.LBB93_10:                              ;   in Loop: Header=BB93_4 Depth=1
	s_and_not1_saveexec_b32 s2, s24
; %bb.11:                               ;   in Loop: Header=BB93_4 Depth=1
	v_mul_f32_e64 v5, 0x3f22f983, |v2|
	s_delay_alu instid0(VALU_DEP_1) | instskip(NEXT) | instid1(VALU_DEP_1)
	v_rndne_f32_e32 v5, v5
	v_fma_f32 v14, 0xbfc90fda, v5, |v2|
	v_cvt_i32_f32_e32 v15, v5
	s_delay_alu instid0(VALU_DEP_2) | instskip(NEXT) | instid1(VALU_DEP_1)
	v_fmac_f32_e32 v14, 0xb3a22168, v5
	v_fmac_f32_e32 v14, 0xa7c234c4, v5
; %bb.12:                               ;   in Loop: Header=BB93_4 Depth=1
	s_or_b32 exec_lo, exec_lo, s2
	v_and_b32_e32 v16, 0x7fffffff, v3
                                        ; implicit-def: $vgpr19
                                        ; implicit-def: $vgpr17
	s_mov_b32 s3, exec_lo
	v_cmpx_ngt_f32_e64 0x48000000, |v3|
	s_xor_b32 s24, exec_lo, s3
	s_cbranch_execz .LBB93_14
; %bb.13:                               ;   in Loop: Header=BB93_4 Depth=1
	v_lshrrev_b32_e32 v22, 23, v16
	v_and_or_b32 v25, v16, s21, 0x800000
	s_delay_alu instid0(VALU_DEP_2) | instskip(NEXT) | instid1(VALU_DEP_2)
	v_add_nc_u32_e32 v23, 0xffffff88, v22
	v_mad_u64_u32 v[17:18], null, 0xfe5163ab, v25, 0
	s_delay_alu instid0(VALU_DEP_2) | instskip(SKIP_1) | instid1(VALU_DEP_1)
	v_cmp_lt_u32_e32 vcc_lo, 63, v23
	v_cndmask_b32_e64 v24, 0, 0xffffffc0, vcc_lo
	v_dual_mov_b32 v5, v18 :: v_dual_add_nc_u32 v24, v24, v23
	s_delay_alu instid0(VALU_DEP_1) | instskip(NEXT) | instid1(VALU_DEP_2)
	v_mad_u64_u32 v[18:19], null, 0x3c439041, v25, v[5:6]
	v_cmp_lt_u32_e64 s2, 31, v24
	s_delay_alu instid0(VALU_DEP_1) | instskip(NEXT) | instid1(VALU_DEP_1)
	v_cndmask_b32_e64 v26, 0, 0xffffffe0, s2
	v_dual_mov_b32 v5, v19 :: v_dual_add_nc_u32 v26, v26, v24
	s_delay_alu instid0(VALU_DEP_1) | instskip(NEXT) | instid1(VALU_DEP_2)
	v_mad_u64_u32 v[19:20], null, 0xdb629599, v25, v[5:6]
	v_cmp_lt_u32_e64 s3, 31, v26
	s_delay_alu instid0(VALU_DEP_2) | instskip(NEXT) | instid1(VALU_DEP_3)
	v_mov_b32_e32 v5, v20
	v_cndmask_b32_e32 v17, v19, v17, vcc_lo
	s_delay_alu instid0(VALU_DEP_2) | instskip(NEXT) | instid1(VALU_DEP_1)
	v_mad_u64_u32 v[20:21], null, 0xf534ddc0, v25, v[5:6]
	v_dual_mov_b32 v5, v21 :: v_dual_cndmask_b32 v18, v20, v18
	s_delay_alu instid0(VALU_DEP_1) | instskip(NEXT) | instid1(VALU_DEP_2)
	v_mad_u64_u32 v[21:22], null, 0xfc2757d1, v25, v[5:6]
	v_cndmask_b32_e64 v17, v18, v17, s2
	s_delay_alu instid0(VALU_DEP_2) | instskip(NEXT) | instid1(VALU_DEP_1)
	v_mov_b32_e32 v5, v22
	v_mad_u64_u32 v[22:23], null, 0x4e441529, v25, v[5:6]
	s_delay_alu instid0(VALU_DEP_1) | instskip(NEXT) | instid1(VALU_DEP_1)
	v_mov_b32_e32 v5, v23
	v_mad_u64_u32 v[23:24], null, 0xa2f9836e, v25, v[5:6]
	v_cndmask_b32_e64 v5, 0, 0xffffffe0, s3
	s_delay_alu instid0(VALU_DEP_4) | instskip(NEXT) | instid1(VALU_DEP_2)
	v_cndmask_b32_e32 v25, v22, v20, vcc_lo
	v_add_nc_u32_e32 v5, v5, v26
	s_delay_alu instid0(VALU_DEP_4) | instskip(SKIP_1) | instid1(VALU_DEP_3)
	v_dual_cndmask_b32 v23, v23, v21 :: v_dual_cndmask_b32 v22, v24, v22
	v_cndmask_b32_e32 v21, v21, v19, vcc_lo
	v_sub_nc_u32_e32 v24, 32, v5
	s_delay_alu instid0(VALU_DEP_3) | instskip(NEXT) | instid1(VALU_DEP_4)
	v_cndmask_b32_e64 v20, v23, v25, s2
	v_cndmask_b32_e64 v22, v22, v23, s2
	s_delay_alu instid0(VALU_DEP_4) | instskip(SKIP_2) | instid1(VALU_DEP_4)
	v_cndmask_b32_e64 v23, v25, v21, s2
	v_cndmask_b32_e64 v21, v21, v18, s2
	v_cmp_eq_u32_e64 s4, 0, v5
	v_cndmask_b32_e64 v22, v22, v20, s3
	s_delay_alu instid0(VALU_DEP_4) | instskip(NEXT) | instid1(VALU_DEP_4)
	v_cndmask_b32_e64 v20, v20, v23, s3
	v_cndmask_b32_e64 v23, v23, v21, s3
	;; [unrolled: 1-line block ×3, first 2 shown]
	s_delay_alu instid0(VALU_DEP_3) | instskip(NEXT) | instid1(VALU_DEP_3)
	v_alignbit_b32 v25, v22, v20, v24
	v_alignbit_b32 v26, v20, v23, v24
	s_delay_alu instid0(VALU_DEP_3) | instskip(NEXT) | instid1(VALU_DEP_3)
	v_alignbit_b32 v24, v23, v17, v24
	v_cndmask_b32_e64 v5, v25, v22, s4
	s_delay_alu instid0(VALU_DEP_3) | instskip(NEXT) | instid1(VALU_DEP_3)
	v_cndmask_b32_e64 v19, v26, v20, s4
	v_cndmask_b32_e64 v23, v24, v23, s4
	s_delay_alu instid0(VALU_DEP_3) | instskip(NEXT) | instid1(VALU_DEP_3)
	v_bfe_u32 v20, v5, 29, 1
	v_alignbit_b32 v18, v5, v19, 30
	s_delay_alu instid0(VALU_DEP_3) | instskip(SKIP_1) | instid1(VALU_DEP_4)
	v_alignbit_b32 v19, v19, v23, 30
	v_alignbit_b32 v17, v23, v17, 30
	v_sub_nc_u32_e32 v22, 0, v20
	s_delay_alu instid0(VALU_DEP_1) | instskip(SKIP_3) | instid1(VALU_DEP_4)
	v_xor_b32_e32 v21, v18, v22
	v_cmp_ne_u32_e32 vcc_lo, v18, v22
	v_xor_b32_e32 v19, v19, v22
	v_xor_b32_e32 v17, v17, v22
	v_clz_i32_u32_e32 v25, v21
	s_delay_alu instid0(VALU_DEP_1) | instskip(NEXT) | instid1(VALU_DEP_1)
	v_add_nc_u32_e32 v24, 1, v25
	v_cndmask_b32_e32 v18, 33, v24, vcc_lo
	s_delay_alu instid0(VALU_DEP_1) | instskip(NEXT) | instid1(VALU_DEP_1)
	v_sub_nc_u32_e32 v23, 32, v18
	v_alignbit_b32 v21, v21, v19, v23
	v_alignbit_b32 v17, v19, v17, v23
	v_lshrrev_b32_e32 v19, 29, v5
	v_lshrrev_b32_e32 v5, 30, v5
	s_delay_alu instid0(VALU_DEP_3) | instskip(NEXT) | instid1(VALU_DEP_3)
	v_alignbit_b32 v22, v21, v17, 9
	v_lshlrev_b32_e32 v19, 31, v19
	v_alignbit_b32 v21, v18, v21, 9
	s_delay_alu instid0(VALU_DEP_3) | instskip(NEXT) | instid1(VALU_DEP_2)
	v_clz_i32_u32_e32 v23, v22
	v_or_b32_e32 v21, v21, v19
	v_or_b32_e32 v19, 0x33800000, v19
	s_delay_alu instid0(VALU_DEP_3) | instskip(NEXT) | instid1(VALU_DEP_3)
	v_min_u32_e32 v23, 32, v23
	v_xor_b32_e32 v21, 1.0, v21
	s_delay_alu instid0(VALU_DEP_2) | instskip(SKIP_1) | instid1(VALU_DEP_3)
	v_sub_nc_u32_e32 v24, 31, v23
	v_add_lshl_u32 v18, v23, v18, 23
	v_mul_f32_e32 v23, 0x3fc90fda, v21
	s_delay_alu instid0(VALU_DEP_3) | instskip(NEXT) | instid1(VALU_DEP_3)
	v_alignbit_b32 v17, v22, v17, v24
	v_sub_nc_u32_e32 v18, v19, v18
	s_delay_alu instid0(VALU_DEP_3) | instskip(NEXT) | instid1(VALU_DEP_3)
	v_fma_f32 v19, 0x3fc90fda, v21, -v23
	v_lshrrev_b32_e32 v17, 9, v17
	s_delay_alu instid0(VALU_DEP_2) | instskip(NEXT) | instid1(VALU_DEP_2)
	v_fmac_f32_e32 v19, 0x33a22168, v21
	v_or_b32_e32 v17, v18, v17
	s_delay_alu instid0(VALU_DEP_1) | instskip(NEXT) | instid1(VALU_DEP_1)
	v_fmac_f32_e32 v19, 0x3fc90fda, v17
	v_add_f32_e32 v17, v23, v19
	v_add_nc_u32_e32 v19, v20, v5
.LBB93_14:                              ;   in Loop: Header=BB93_4 Depth=1
	s_and_not1_saveexec_b32 s2, s24
; %bb.15:                               ;   in Loop: Header=BB93_4 Depth=1
	v_mul_f32_e64 v5, 0x3f22f983, |v3|
	s_delay_alu instid0(VALU_DEP_1) | instskip(NEXT) | instid1(VALU_DEP_1)
	v_rndne_f32_e32 v5, v5
	v_fma_f32 v17, 0xbfc90fda, v5, |v3|
	v_cvt_i32_f32_e32 v19, v5
	s_delay_alu instid0(VALU_DEP_2) | instskip(NEXT) | instid1(VALU_DEP_1)
	v_fmac_f32_e32 v17, 0xb3a22168, v5
	v_fmac_f32_e32 v17, 0xa7c234c4, v5
; %bb.16:                               ;   in Loop: Header=BB93_4 Depth=1
	s_or_b32 exec_lo, exec_lo, s2
	v_and_b32_e32 v18, 0x7fffffff, v4
                                        ; implicit-def: $vgpr5
                                        ; implicit-def: $vgpr20
	s_mov_b32 s3, exec_lo
	v_cmpx_ngt_f32_e64 0x48000000, |v4|
	s_xor_b32 s24, exec_lo, s3
	s_cbranch_execz .LBB93_18
; %bb.17:                               ;   in Loop: Header=BB93_4 Depth=1
	v_and_or_b32 v28, v18, s21, 0x800000
	v_lshrrev_b32_e32 v25, 23, v18
	s_delay_alu instid0(VALU_DEP_2) | instskip(NEXT) | instid1(VALU_DEP_2)
	v_mad_u64_u32 v[20:21], null, 0xfe5163ab, v28, 0
	v_add_nc_u32_e32 v26, 0xffffff88, v25
	s_delay_alu instid0(VALU_DEP_1) | instskip(NEXT) | instid1(VALU_DEP_3)
	v_cmp_lt_u32_e32 vcc_lo, 63, v26
	v_mov_b32_e32 v5, v21
	v_cndmask_b32_e64 v27, 0, 0xffffffc0, vcc_lo
	s_delay_alu instid0(VALU_DEP_2) | instskip(NEXT) | instid1(VALU_DEP_2)
	v_mad_u64_u32 v[21:22], null, 0x3c439041, v28, v[5:6]
	v_add_nc_u32_e32 v27, v27, v26
	s_delay_alu instid0(VALU_DEP_2) | instskip(NEXT) | instid1(VALU_DEP_2)
	v_mov_b32_e32 v5, v22
	v_cmp_lt_u32_e64 s2, 31, v27
	s_delay_alu instid0(VALU_DEP_2) | instskip(NEXT) | instid1(VALU_DEP_2)
	v_mad_u64_u32 v[22:23], null, 0xdb629599, v28, v[5:6]
	v_cndmask_b32_e64 v29, 0, 0xffffffe0, s2
	s_delay_alu instid0(VALU_DEP_1) | instskip(NEXT) | instid1(VALU_DEP_3)
	v_add_nc_u32_e32 v29, v29, v27
	v_dual_mov_b32 v5, v23 :: v_dual_cndmask_b32 v20, v22, v20
	s_delay_alu instid0(VALU_DEP_2) | instskip(NEXT) | instid1(VALU_DEP_2)
	v_cmp_lt_u32_e64 s3, 31, v29
	v_mad_u64_u32 v[23:24], null, 0xf534ddc0, v28, v[5:6]
	s_delay_alu instid0(VALU_DEP_1) | instskip(NEXT) | instid1(VALU_DEP_2)
	v_mov_b32_e32 v5, v24
	v_cndmask_b32_e32 v21, v23, v21, vcc_lo
	s_delay_alu instid0(VALU_DEP_2) | instskip(NEXT) | instid1(VALU_DEP_2)
	v_mad_u64_u32 v[24:25], null, 0xfc2757d1, v28, v[5:6]
	v_cndmask_b32_e64 v20, v21, v20, s2
	s_delay_alu instid0(VALU_DEP_2) | instskip(NEXT) | instid1(VALU_DEP_1)
	v_mov_b32_e32 v5, v25
	v_mad_u64_u32 v[25:26], null, 0x4e441529, v28, v[5:6]
	s_delay_alu instid0(VALU_DEP_1) | instskip(NEXT) | instid1(VALU_DEP_1)
	v_mov_b32_e32 v5, v26
	v_mad_u64_u32 v[26:27], null, 0xa2f9836e, v28, v[5:6]
	v_cndmask_b32_e64 v5, 0, 0xffffffe0, s3
	s_delay_alu instid0(VALU_DEP_4) | instskip(NEXT) | instid1(VALU_DEP_2)
	v_cndmask_b32_e32 v28, v25, v23, vcc_lo
	v_dual_cndmask_b32 v26, v26, v24 :: v_dual_add_nc_u32 v5, v5, v29
	s_delay_alu instid0(VALU_DEP_4) | instskip(NEXT) | instid1(VALU_DEP_2)
	v_dual_cndmask_b32 v25, v27, v25 :: v_dual_cndmask_b32 v24, v24, v22
	v_sub_nc_u32_e32 v27, 32, v5
	s_delay_alu instid0(VALU_DEP_3) | instskip(NEXT) | instid1(VALU_DEP_3)
	v_cndmask_b32_e64 v23, v26, v28, s2
	v_cndmask_b32_e64 v25, v25, v26, s2
	s_delay_alu instid0(VALU_DEP_4) | instskip(SKIP_2) | instid1(VALU_DEP_4)
	v_cndmask_b32_e64 v26, v28, v24, s2
	v_cndmask_b32_e64 v24, v24, v21, s2
	v_cmp_eq_u32_e64 s4, 0, v5
	v_cndmask_b32_e64 v25, v25, v23, s3
	s_delay_alu instid0(VALU_DEP_4) | instskip(NEXT) | instid1(VALU_DEP_4)
	v_cndmask_b32_e64 v23, v23, v26, s3
	v_cndmask_b32_e64 v26, v26, v24, s3
	;; [unrolled: 1-line block ×3, first 2 shown]
	s_delay_alu instid0(VALU_DEP_3) | instskip(NEXT) | instid1(VALU_DEP_3)
	v_alignbit_b32 v28, v25, v23, v27
	v_alignbit_b32 v29, v23, v26, v27
	s_delay_alu instid0(VALU_DEP_3) | instskip(NEXT) | instid1(VALU_DEP_3)
	v_alignbit_b32 v27, v26, v20, v27
	v_cndmask_b32_e64 v5, v28, v25, s4
	s_delay_alu instid0(VALU_DEP_3) | instskip(NEXT) | instid1(VALU_DEP_3)
	v_cndmask_b32_e64 v22, v29, v23, s4
	v_cndmask_b32_e64 v26, v27, v26, s4
	s_delay_alu instid0(VALU_DEP_3) | instskip(NEXT) | instid1(VALU_DEP_3)
	v_bfe_u32 v23, v5, 29, 1
	v_alignbit_b32 v21, v5, v22, 30
	s_delay_alu instid0(VALU_DEP_3) | instskip(SKIP_1) | instid1(VALU_DEP_4)
	v_alignbit_b32 v22, v22, v26, 30
	v_alignbit_b32 v20, v26, v20, 30
	v_sub_nc_u32_e32 v25, 0, v23
	s_delay_alu instid0(VALU_DEP_1) | instskip(SKIP_3) | instid1(VALU_DEP_4)
	v_xor_b32_e32 v24, v21, v25
	v_cmp_ne_u32_e32 vcc_lo, v21, v25
	v_xor_b32_e32 v22, v22, v25
	v_xor_b32_e32 v20, v20, v25
	v_clz_i32_u32_e32 v28, v24
	s_delay_alu instid0(VALU_DEP_1) | instskip(NEXT) | instid1(VALU_DEP_1)
	v_add_nc_u32_e32 v27, 1, v28
	v_cndmask_b32_e32 v21, 33, v27, vcc_lo
	s_delay_alu instid0(VALU_DEP_1) | instskip(NEXT) | instid1(VALU_DEP_1)
	v_sub_nc_u32_e32 v26, 32, v21
	v_alignbit_b32 v24, v24, v22, v26
	v_alignbit_b32 v20, v22, v20, v26
	v_lshrrev_b32_e32 v22, 29, v5
	v_lshrrev_b32_e32 v5, 30, v5
	s_delay_alu instid0(VALU_DEP_3) | instskip(NEXT) | instid1(VALU_DEP_3)
	v_alignbit_b32 v25, v24, v20, 9
	v_lshlrev_b32_e32 v22, 31, v22
	v_alignbit_b32 v24, v21, v24, 9
	s_delay_alu instid0(VALU_DEP_4) | instskip(NEXT) | instid1(VALU_DEP_4)
	v_add_nc_u32_e32 v5, v23, v5
	v_clz_i32_u32_e32 v26, v25
	s_delay_alu instid0(VALU_DEP_3) | instskip(SKIP_1) | instid1(VALU_DEP_3)
	v_or_b32_e32 v24, v24, v22
	v_or_b32_e32 v22, 0x33800000, v22
	v_min_u32_e32 v26, 32, v26
	s_delay_alu instid0(VALU_DEP_3) | instskip(NEXT) | instid1(VALU_DEP_2)
	v_xor_b32_e32 v24, 1.0, v24
	v_sub_nc_u32_e32 v27, 31, v26
	v_add_lshl_u32 v21, v26, v21, 23
	s_delay_alu instid0(VALU_DEP_3) | instskip(NEXT) | instid1(VALU_DEP_3)
	v_mul_f32_e32 v26, 0x3fc90fda, v24
	v_alignbit_b32 v20, v25, v20, v27
	s_delay_alu instid0(VALU_DEP_3) | instskip(NEXT) | instid1(VALU_DEP_3)
	v_sub_nc_u32_e32 v21, v22, v21
	v_fma_f32 v22, 0x3fc90fda, v24, -v26
	s_delay_alu instid0(VALU_DEP_3) | instskip(NEXT) | instid1(VALU_DEP_2)
	v_lshrrev_b32_e32 v20, 9, v20
	v_fmac_f32_e32 v22, 0x33a22168, v24
	s_delay_alu instid0(VALU_DEP_2) | instskip(NEXT) | instid1(VALU_DEP_1)
	v_or_b32_e32 v20, v21, v20
	v_fmac_f32_e32 v22, 0x3fc90fda, v20
	s_delay_alu instid0(VALU_DEP_1)
	v_add_f32_e32 v20, v26, v22
.LBB93_18:                              ;   in Loop: Header=BB93_4 Depth=1
	s_and_not1_saveexec_b32 s2, s24
	s_cbranch_execz .LBB93_3
; %bb.19:                               ;   in Loop: Header=BB93_4 Depth=1
	v_mul_f32_e64 v5, 0x3f22f983, |v4|
	s_delay_alu instid0(VALU_DEP_1) | instskip(NEXT) | instid1(VALU_DEP_1)
	v_rndne_f32_e32 v5, v5
	v_fma_f32 v20, 0xbfc90fda, v5, |v4|
	s_delay_alu instid0(VALU_DEP_1) | instskip(NEXT) | instid1(VALU_DEP_1)
	v_fmac_f32_e32 v20, 0xb3a22168, v5
	v_fmac_f32_e32 v20, 0xa7c234c4, v5
	v_cvt_i32_f32_e32 v5, v5
	s_branch .LBB93_3
.LBB93_20:
	s_or_b32 exec_lo, exec_lo, s17
	s_mov_b32 s2, 0
.LBB93_21:
	s_delay_alu instid0(SALU_CYCLE_1)
	s_and_not1_b32 vcc_lo, exec_lo, s2
	s_cbranch_vccnz .LBB93_57
; %bb.22:
	v_cmp_lt_i64_e64 s2, s[10:11], 1
	s_delay_alu instid0(VALU_DEP_1)
	s_and_b32 vcc_lo, exec_lo, s2
	s_cbranch_vccnz .LBB93_57
; %bb.23:
	s_load_b32 s0, s[0:1], 0xc5c
	v_dual_mov_b32 v2, 0 :: v_dual_lshlrev_b32 v1, 2, v0
	v_cmp_gt_u64_e64 s1, 0x10000, s[10:11]
	s_mov_b32 s18, 0xbc8cedd3
	s_mov_b32 s19, 0x3c971480
	s_delay_alu instid0(VALU_DEP_2) | instskip(NEXT) | instid1(VALU_DEP_1)
	v_add_co_u32 v3, s2, s6, v1
	v_add_co_ci_u32_e64 v4, null, s7, 0, s2
	v_add_co_u32 v5, s2, s14, v1
	s_delay_alu instid0(VALU_DEP_1)
	v_add_co_ci_u32_e64 v6, null, s15, 0, s2
	s_waitcnt lgkmcnt(0)
	s_and_b32 s0, s0, 0xffff
	s_and_b32 s1, s1, exec_lo
	v_mad_u64_u32 v[9:10], null, s0, 12, v[1:2]
	s_cselect_b32 s13, s11, 0
	s_cselect_b32 s12, s10, 0x10000
	s_lshl_b32 s3, s0, 3
	s_lshl_b32 s1, s0, 1
	v_add_co_u32 v1, s3, s3, v1
	s_delay_alu instid0(VALU_DEP_2) | instskip(NEXT) | instid1(VALU_DEP_3)
	v_add_co_u32 v7, vcc_lo, s6, v9
	v_add_co_ci_u32_e32 v8, vcc_lo, s7, v10, vcc_lo
	v_add_co_u32 v9, vcc_lo, s14, v9
	v_add_co_ci_u32_e64 v17, null, 0, 0, s3
	s_mul_i32 s2, s0, 3
	s_lshl_b32 s16, s0, 2
	s_lshl_b32 s17, s0, 4
	v_add_co_u32 v15, s0, v0, s0
	v_add_co_ci_u32_e32 v10, vcc_lo, s15, v10, vcc_lo
	v_add_co_u32 v13, vcc_lo, s6, v1
	v_add_co_ci_u32_e32 v14, vcc_lo, s7, v17, vcc_lo
	v_add_co_u32 v16, vcc_lo, s14, v1
	v_lshlrev_b32_e32 v1, 2, v15
	v_add_co_ci_u32_e64 v18, null, 0, 0, s0
	v_add_co_u32 v19, s0, s1, v0
	s_delay_alu instid0(VALU_DEP_1) | instskip(NEXT) | instid1(VALU_DEP_4)
	v_add_co_ci_u32_e64 v20, null, 0, 0, s0
	v_add_co_u32 v21, s0, s6, v1
	v_add_co_u32 v11, s2, s2, v0
	v_add_co_ci_u32_e64 v22, null, s7, 0, s0
	v_add_co_u32 v23, s0, s14, v1
	v_add_co_ci_u32_e64 v12, null, 0, 0, s2
	v_add_co_ci_u32_e32 v17, vcc_lo, s15, v17, vcc_lo
	v_add_co_ci_u32_e64 v24, null, s15, 0, s0
	s_mov_b64 s[14:15], 0
	s_mov_b32 s7, 0x7fffff
	s_branch .LBB93_25
.LBB93_24:                              ;   in Loop: Header=BB93_25 Depth=1
	s_or_b32 exec_lo, exec_lo, s0
	v_add_co_u32 v3, vcc_lo, v3, s17
	v_add_co_ci_u32_e32 v4, vcc_lo, 0, v4, vcc_lo
	v_add_co_u32 v5, vcc_lo, v5, s17
	v_add_co_ci_u32_e32 v6, vcc_lo, 0, v6, vcc_lo
	;; [unrolled: 2-line block ×5, first 2 shown]
	s_add_u32 s14, s14, s16
	v_add_co_u32 v16, vcc_lo, v16, s17
	s_addc_u32 s15, s15, 0
	v_add_co_ci_u32_e32 v17, vcc_lo, 0, v17, vcc_lo
	v_cmp_ge_i64_e64 s0, s[14:15], s[10:11]
	v_cmp_lt_u64_e64 s1, 0xffff, s[14:15]
	v_add_co_u32 v21, vcc_lo, v21, s17
	v_add_co_ci_u32_e32 v22, vcc_lo, 0, v22, vcc_lo
	v_add_co_u32 v23, vcc_lo, v23, s17
	v_add_co_ci_u32_e32 v24, vcc_lo, 0, v24, vcc_lo
	s_or_b32 s0, s0, s1
	s_delay_alu instid0(SALU_CYCLE_1)
	s_and_b32 vcc_lo, exec_lo, s0
	s_cbranch_vccnz .LBB93_57
.LBB93_25:                              ; =>This Inner Loop Header: Depth=1
	v_add_co_u32 v25, s0, v0, s14
	s_delay_alu instid0(VALU_DEP_1) | instskip(SKIP_1) | instid1(VALU_DEP_2)
	v_add_co_ci_u32_e64 v26, null, 0, s15, s0
	v_mov_b32_e32 v28, 0
	v_cmp_gt_u64_e64 s2, s[12:13], v[25:26]
	s_delay_alu instid0(VALU_DEP_1)
	s_and_saveexec_b32 s0, s2
	s_cbranch_execz .LBB93_27
; %bb.26:                               ;   in Loop: Header=BB93_25 Depth=1
	v_add_co_u32 v25, vcc_lo, v3, s8
	v_add_co_ci_u32_e32 v26, vcc_lo, s9, v4, vcc_lo
	global_load_b32 v28, v[25:26], off
.LBB93_27:                              ;   in Loop: Header=BB93_25 Depth=1
	s_or_b32 exec_lo, exec_lo, s0
	v_add_co_u32 v25, vcc_lo, v15, s14
	v_add_co_ci_u32_e32 v26, vcc_lo, s15, v18, vcc_lo
	v_mov_b32_e32 v27, 0
	s_delay_alu instid0(VALU_DEP_2) | instskip(NEXT) | instid1(VALU_DEP_1)
	v_cmp_gt_u64_e64 s1, s[12:13], v[25:26]
	s_and_saveexec_b32 s0, s1
	s_cbranch_execz .LBB93_29
; %bb.28:                               ;   in Loop: Header=BB93_25 Depth=1
	v_add_co_u32 v25, vcc_lo, v21, s8
	v_add_co_ci_u32_e32 v26, vcc_lo, s9, v22, vcc_lo
	global_load_b32 v27, v[25:26], off
.LBB93_29:                              ;   in Loop: Header=BB93_25 Depth=1
	s_or_b32 exec_lo, exec_lo, s0
	v_add_co_u32 v25, vcc_lo, v19, s14
	v_add_co_ci_u32_e32 v26, vcc_lo, s15, v20, vcc_lo
	s_delay_alu instid0(VALU_DEP_1) | instskip(SKIP_1) | instid1(VALU_DEP_2)
	v_cmp_gt_u64_e64 s0, s[12:13], v[25:26]
	v_dual_mov_b32 v25, 0 :: v_dual_mov_b32 v26, 0
	s_and_saveexec_b32 s3, s0
	s_cbranch_execz .LBB93_31
; %bb.30:                               ;   in Loop: Header=BB93_25 Depth=1
	v_add_co_u32 v29, vcc_lo, v13, s8
	v_add_co_ci_u32_e32 v30, vcc_lo, s9, v14, vcc_lo
	global_load_b32 v26, v[29:30], off
.LBB93_31:                              ;   in Loop: Header=BB93_25 Depth=1
	s_or_b32 exec_lo, exec_lo, s3
	v_add_co_u32 v29, vcc_lo, v11, s14
	v_add_co_ci_u32_e32 v30, vcc_lo, s15, v12, vcc_lo
	s_delay_alu instid0(VALU_DEP_1)
	v_cmp_gt_u64_e32 vcc_lo, s[12:13], v[29:30]
	s_and_saveexec_b32 s4, vcc_lo
	s_cbranch_execz .LBB93_33
; %bb.32:                               ;   in Loop: Header=BB93_25 Depth=1
	v_add_co_u32 v29, s3, v7, s8
	s_delay_alu instid0(VALU_DEP_1)
	v_add_co_ci_u32_e64 v30, s3, s9, v8, s3
	global_load_b32 v25, v[29:30], off
.LBB93_33:                              ;   in Loop: Header=BB93_25 Depth=1
	s_or_b32 exec_lo, exec_lo, s4
	s_waitcnt vmcnt(0)
	v_and_b32_e32 v29, 0x7fffffff, v28
                                        ; implicit-def: $vgpr32
                                        ; implicit-def: $vgpr30
	s_mov_b32 s4, exec_lo
	v_cmpx_ngt_f32_e64 0x48000000, |v28|
	s_xor_b32 s20, exec_lo, s4
	s_cbranch_execz .LBB93_35
; %bb.34:                               ;   in Loop: Header=BB93_25 Depth=1
	v_and_or_b32 v38, v29, s7, 0x800000
	v_lshrrev_b32_e32 v35, 23, v29
	s_delay_alu instid0(VALU_DEP_2) | instskip(NEXT) | instid1(VALU_DEP_2)
	v_mad_u64_u32 v[30:31], null, 0xfe5163ab, v38, 0
	v_add_nc_u32_e32 v36, 0xffffff88, v35
	s_delay_alu instid0(VALU_DEP_1) | instskip(NEXT) | instid1(VALU_DEP_3)
	v_cmp_lt_u32_e64 s3, 63, v36
	v_mov_b32_e32 v1, v31
	s_delay_alu instid0(VALU_DEP_2) | instskip(NEXT) | instid1(VALU_DEP_2)
	v_cndmask_b32_e64 v37, 0, 0xffffffc0, s3
	v_mad_u64_u32 v[31:32], null, 0x3c439041, v38, v[1:2]
	s_delay_alu instid0(VALU_DEP_2) | instskip(NEXT) | instid1(VALU_DEP_2)
	v_add_nc_u32_e32 v37, v37, v36
	v_mov_b32_e32 v1, v32
	s_delay_alu instid0(VALU_DEP_2) | instskip(NEXT) | instid1(VALU_DEP_2)
	v_cmp_lt_u32_e64 s4, 31, v37
	v_mad_u64_u32 v[32:33], null, 0xdb629599, v38, v[1:2]
	s_delay_alu instid0(VALU_DEP_2) | instskip(NEXT) | instid1(VALU_DEP_1)
	v_cndmask_b32_e64 v39, 0, 0xffffffe0, s4
	v_add_nc_u32_e32 v39, v39, v37
	s_delay_alu instid0(VALU_DEP_3) | instskip(NEXT) | instid1(VALU_DEP_4)
	v_mov_b32_e32 v1, v33
	v_cndmask_b32_e64 v30, v32, v30, s3
	s_delay_alu instid0(VALU_DEP_3) | instskip(NEXT) | instid1(VALU_DEP_3)
	v_cmp_lt_u32_e64 s5, 31, v39
	v_mad_u64_u32 v[33:34], null, 0xf534ddc0, v38, v[1:2]
	s_delay_alu instid0(VALU_DEP_1) | instskip(NEXT) | instid1(VALU_DEP_2)
	v_mov_b32_e32 v1, v34
	v_cndmask_b32_e64 v31, v33, v31, s3
	s_delay_alu instid0(VALU_DEP_2) | instskip(NEXT) | instid1(VALU_DEP_2)
	v_mad_u64_u32 v[34:35], null, 0xfc2757d1, v38, v[1:2]
	v_cndmask_b32_e64 v30, v31, v30, s4
	s_delay_alu instid0(VALU_DEP_2) | instskip(NEXT) | instid1(VALU_DEP_1)
	v_mov_b32_e32 v1, v35
	v_mad_u64_u32 v[35:36], null, 0x4e441529, v38, v[1:2]
	s_delay_alu instid0(VALU_DEP_1) | instskip(NEXT) | instid1(VALU_DEP_1)
	v_mov_b32_e32 v1, v36
	v_mad_u64_u32 v[36:37], null, 0xa2f9836e, v38, v[1:2]
	v_cndmask_b32_e64 v1, 0, 0xffffffe0, s5
	s_delay_alu instid0(VALU_DEP_4) | instskip(NEXT) | instid1(VALU_DEP_2)
	v_cndmask_b32_e64 v38, v35, v33, s3
	v_add_nc_u32_e32 v1, v1, v39
	s_delay_alu instid0(VALU_DEP_4) | instskip(SKIP_2) | instid1(VALU_DEP_4)
	v_cndmask_b32_e64 v36, v36, v34, s3
	v_cndmask_b32_e64 v35, v37, v35, s3
	;; [unrolled: 1-line block ×3, first 2 shown]
	v_sub_nc_u32_e32 v37, 32, v1
	s_delay_alu instid0(VALU_DEP_4) | instskip(NEXT) | instid1(VALU_DEP_4)
	v_cndmask_b32_e64 v33, v36, v38, s4
	v_cndmask_b32_e64 v35, v35, v36, s4
	s_delay_alu instid0(VALU_DEP_4) | instskip(SKIP_2) | instid1(VALU_DEP_4)
	v_cndmask_b32_e64 v36, v38, v34, s4
	v_cndmask_b32_e64 v34, v34, v31, s4
	v_cmp_eq_u32_e64 s6, 0, v1
	v_cndmask_b32_e64 v35, v35, v33, s5
	s_delay_alu instid0(VALU_DEP_4) | instskip(NEXT) | instid1(VALU_DEP_4)
	v_cndmask_b32_e64 v33, v33, v36, s5
	v_cndmask_b32_e64 v36, v36, v34, s5
	;; [unrolled: 1-line block ×3, first 2 shown]
	s_delay_alu instid0(VALU_DEP_3) | instskip(NEXT) | instid1(VALU_DEP_3)
	v_alignbit_b32 v38, v35, v33, v37
	v_alignbit_b32 v39, v33, v36, v37
	s_delay_alu instid0(VALU_DEP_3) | instskip(NEXT) | instid1(VALU_DEP_3)
	v_alignbit_b32 v37, v36, v30, v37
	v_cndmask_b32_e64 v1, v38, v35, s6
	s_delay_alu instid0(VALU_DEP_3) | instskip(NEXT) | instid1(VALU_DEP_3)
	v_cndmask_b32_e64 v32, v39, v33, s6
	v_cndmask_b32_e64 v36, v37, v36, s6
	s_delay_alu instid0(VALU_DEP_3) | instskip(NEXT) | instid1(VALU_DEP_3)
	v_bfe_u32 v33, v1, 29, 1
	v_alignbit_b32 v31, v1, v32, 30
	s_delay_alu instid0(VALU_DEP_3) | instskip(SKIP_1) | instid1(VALU_DEP_4)
	v_alignbit_b32 v32, v32, v36, 30
	v_alignbit_b32 v30, v36, v30, 30
	v_sub_nc_u32_e32 v35, 0, v33
	s_delay_alu instid0(VALU_DEP_1) | instskip(SKIP_3) | instid1(VALU_DEP_4)
	v_xor_b32_e32 v34, v31, v35
	v_cmp_ne_u32_e64 s3, v31, v35
	v_xor_b32_e32 v32, v32, v35
	v_xor_b32_e32 v30, v30, v35
	v_clz_i32_u32_e32 v38, v34
	s_delay_alu instid0(VALU_DEP_1) | instskip(NEXT) | instid1(VALU_DEP_1)
	v_add_nc_u32_e32 v37, 1, v38
	v_cndmask_b32_e64 v31, 33, v37, s3
	s_delay_alu instid0(VALU_DEP_1) | instskip(NEXT) | instid1(VALU_DEP_1)
	v_sub_nc_u32_e32 v36, 32, v31
	v_alignbit_b32 v34, v34, v32, v36
	v_alignbit_b32 v30, v32, v30, v36
	v_lshrrev_b32_e32 v32, 29, v1
	v_lshrrev_b32_e32 v1, 30, v1
	s_delay_alu instid0(VALU_DEP_3) | instskip(NEXT) | instid1(VALU_DEP_3)
	v_alignbit_b32 v35, v34, v30, 9
	v_lshlrev_b32_e32 v32, 31, v32
	v_alignbit_b32 v34, v31, v34, 9
	s_delay_alu instid0(VALU_DEP_3) | instskip(NEXT) | instid1(VALU_DEP_2)
	v_clz_i32_u32_e32 v36, v35
	v_or_b32_e32 v34, v34, v32
	v_or_b32_e32 v32, 0x33800000, v32
	s_delay_alu instid0(VALU_DEP_3) | instskip(NEXT) | instid1(VALU_DEP_3)
	v_min_u32_e32 v36, 32, v36
	v_xor_b32_e32 v34, 1.0, v34
	s_delay_alu instid0(VALU_DEP_2) | instskip(SKIP_1) | instid1(VALU_DEP_3)
	v_sub_nc_u32_e32 v37, 31, v36
	v_add_lshl_u32 v31, v36, v31, 23
	v_mul_f32_e32 v36, 0x3fc90fda, v34
	s_delay_alu instid0(VALU_DEP_3) | instskip(NEXT) | instid1(VALU_DEP_3)
	v_alignbit_b32 v30, v35, v30, v37
	v_sub_nc_u32_e32 v31, v32, v31
	s_delay_alu instid0(VALU_DEP_3) | instskip(NEXT) | instid1(VALU_DEP_3)
	v_fma_f32 v32, 0x3fc90fda, v34, -v36
	v_lshrrev_b32_e32 v30, 9, v30
	s_delay_alu instid0(VALU_DEP_2) | instskip(NEXT) | instid1(VALU_DEP_2)
	v_fmac_f32_e32 v32, 0x33a22168, v34
	v_or_b32_e32 v30, v31, v30
	s_delay_alu instid0(VALU_DEP_1) | instskip(NEXT) | instid1(VALU_DEP_1)
	v_fmac_f32_e32 v32, 0x3fc90fda, v30
	v_add_f32_e32 v30, v36, v32
	v_add_nc_u32_e32 v32, v33, v1
.LBB93_35:                              ;   in Loop: Header=BB93_25 Depth=1
	s_and_not1_saveexec_b32 s3, s20
; %bb.36:                               ;   in Loop: Header=BB93_25 Depth=1
	v_mul_f32_e64 v1, 0x3f22f983, |v28|
	s_delay_alu instid0(VALU_DEP_1) | instskip(NEXT) | instid1(VALU_DEP_1)
	v_rndne_f32_e32 v1, v1
	v_fma_f32 v30, 0xbfc90fda, v1, |v28|
	v_cvt_i32_f32_e32 v32, v1
	s_delay_alu instid0(VALU_DEP_2) | instskip(NEXT) | instid1(VALU_DEP_1)
	v_fmac_f32_e32 v30, 0xb3a22168, v1
	v_fmac_f32_e32 v30, 0xa7c234c4, v1
; %bb.37:                               ;   in Loop: Header=BB93_25 Depth=1
	s_or_b32 exec_lo, exec_lo, s3
	v_and_b32_e32 v31, 0x7fffffff, v27
                                        ; implicit-def: $vgpr35
                                        ; implicit-def: $vgpr34
	s_mov_b32 s4, exec_lo
	v_cmpx_ngt_f32_e64 0x48000000, |v27|
	s_xor_b32 s20, exec_lo, s4
	s_cbranch_execz .LBB93_39
; %bb.38:                               ;   in Loop: Header=BB93_25 Depth=1
	v_lshrrev_b32_e32 v38, 23, v31
	v_and_or_b32 v41, v31, s7, 0x800000
	s_delay_alu instid0(VALU_DEP_2) | instskip(NEXT) | instid1(VALU_DEP_2)
	v_add_nc_u32_e32 v39, 0xffffff88, v38
	v_mad_u64_u32 v[33:34], null, 0xfe5163ab, v41, 0
	s_delay_alu instid0(VALU_DEP_2) | instskip(NEXT) | instid1(VALU_DEP_1)
	v_cmp_lt_u32_e64 s3, 63, v39
	v_cndmask_b32_e64 v40, 0, 0xffffffc0, s3
	s_delay_alu instid0(VALU_DEP_1) | instskip(NEXT) | instid1(VALU_DEP_1)
	v_dual_mov_b32 v1, v34 :: v_dual_add_nc_u32 v40, v40, v39
	v_mad_u64_u32 v[34:35], null, 0x3c439041, v41, v[1:2]
	s_delay_alu instid0(VALU_DEP_2) | instskip(NEXT) | instid1(VALU_DEP_1)
	v_cmp_lt_u32_e64 s4, 31, v40
	v_cndmask_b32_e64 v42, 0, 0xffffffe0, s4
	s_delay_alu instid0(VALU_DEP_1) | instskip(NEXT) | instid1(VALU_DEP_1)
	v_dual_mov_b32 v1, v35 :: v_dual_add_nc_u32 v42, v42, v40
	v_mad_u64_u32 v[35:36], null, 0xdb629599, v41, v[1:2]
	s_delay_alu instid0(VALU_DEP_2) | instskip(NEXT) | instid1(VALU_DEP_2)
	v_cmp_lt_u32_e64 s5, 31, v42
	v_mov_b32_e32 v1, v36
	s_delay_alu instid0(VALU_DEP_3) | instskip(NEXT) | instid1(VALU_DEP_2)
	v_cndmask_b32_e64 v33, v35, v33, s3
	v_mad_u64_u32 v[36:37], null, 0xf534ddc0, v41, v[1:2]
	s_delay_alu instid0(VALU_DEP_1) | instskip(NEXT) | instid1(VALU_DEP_2)
	v_mov_b32_e32 v1, v37
	v_cndmask_b32_e64 v34, v36, v34, s3
	s_delay_alu instid0(VALU_DEP_2) | instskip(NEXT) | instid1(VALU_DEP_2)
	v_mad_u64_u32 v[37:38], null, 0xfc2757d1, v41, v[1:2]
	v_cndmask_b32_e64 v33, v34, v33, s4
	s_delay_alu instid0(VALU_DEP_2) | instskip(NEXT) | instid1(VALU_DEP_1)
	v_mov_b32_e32 v1, v38
	v_mad_u64_u32 v[38:39], null, 0x4e441529, v41, v[1:2]
	s_delay_alu instid0(VALU_DEP_1) | instskip(NEXT) | instid1(VALU_DEP_1)
	v_mov_b32_e32 v1, v39
	v_mad_u64_u32 v[39:40], null, 0xa2f9836e, v41, v[1:2]
	v_cndmask_b32_e64 v1, 0, 0xffffffe0, s5
	s_delay_alu instid0(VALU_DEP_4) | instskip(NEXT) | instid1(VALU_DEP_2)
	v_cndmask_b32_e64 v41, v38, v36, s3
	v_add_nc_u32_e32 v1, v1, v42
	s_delay_alu instid0(VALU_DEP_4) | instskip(SKIP_2) | instid1(VALU_DEP_4)
	v_cndmask_b32_e64 v39, v39, v37, s3
	v_cndmask_b32_e64 v38, v40, v38, s3
	;; [unrolled: 1-line block ×3, first 2 shown]
	v_sub_nc_u32_e32 v40, 32, v1
	s_delay_alu instid0(VALU_DEP_4) | instskip(NEXT) | instid1(VALU_DEP_4)
	v_cndmask_b32_e64 v36, v39, v41, s4
	v_cndmask_b32_e64 v38, v38, v39, s4
	s_delay_alu instid0(VALU_DEP_4) | instskip(SKIP_2) | instid1(VALU_DEP_4)
	v_cndmask_b32_e64 v39, v41, v37, s4
	v_cndmask_b32_e64 v37, v37, v34, s4
	v_cmp_eq_u32_e64 s6, 0, v1
	v_cndmask_b32_e64 v38, v38, v36, s5
	s_delay_alu instid0(VALU_DEP_4) | instskip(NEXT) | instid1(VALU_DEP_4)
	v_cndmask_b32_e64 v36, v36, v39, s5
	v_cndmask_b32_e64 v39, v39, v37, s5
	;; [unrolled: 1-line block ×3, first 2 shown]
	s_delay_alu instid0(VALU_DEP_3) | instskip(NEXT) | instid1(VALU_DEP_3)
	v_alignbit_b32 v41, v38, v36, v40
	v_alignbit_b32 v42, v36, v39, v40
	s_delay_alu instid0(VALU_DEP_3) | instskip(NEXT) | instid1(VALU_DEP_3)
	v_alignbit_b32 v40, v39, v33, v40
	v_cndmask_b32_e64 v1, v41, v38, s6
	s_delay_alu instid0(VALU_DEP_3) | instskip(NEXT) | instid1(VALU_DEP_3)
	v_cndmask_b32_e64 v35, v42, v36, s6
	v_cndmask_b32_e64 v39, v40, v39, s6
	s_delay_alu instid0(VALU_DEP_3) | instskip(NEXT) | instid1(VALU_DEP_3)
	v_bfe_u32 v36, v1, 29, 1
	v_alignbit_b32 v34, v1, v35, 30
	s_delay_alu instid0(VALU_DEP_3) | instskip(SKIP_1) | instid1(VALU_DEP_4)
	v_alignbit_b32 v35, v35, v39, 30
	v_alignbit_b32 v33, v39, v33, 30
	v_sub_nc_u32_e32 v38, 0, v36
	s_delay_alu instid0(VALU_DEP_1) | instskip(SKIP_3) | instid1(VALU_DEP_4)
	v_xor_b32_e32 v37, v34, v38
	v_cmp_ne_u32_e64 s3, v34, v38
	v_xor_b32_e32 v35, v35, v38
	v_xor_b32_e32 v33, v33, v38
	v_clz_i32_u32_e32 v41, v37
	s_delay_alu instid0(VALU_DEP_1) | instskip(NEXT) | instid1(VALU_DEP_1)
	v_add_nc_u32_e32 v40, 1, v41
	v_cndmask_b32_e64 v34, 33, v40, s3
	s_delay_alu instid0(VALU_DEP_1) | instskip(NEXT) | instid1(VALU_DEP_1)
	v_sub_nc_u32_e32 v39, 32, v34
	v_alignbit_b32 v37, v37, v35, v39
	v_alignbit_b32 v33, v35, v33, v39
	v_lshrrev_b32_e32 v35, 29, v1
	v_lshrrev_b32_e32 v1, 30, v1
	s_delay_alu instid0(VALU_DEP_3) | instskip(NEXT) | instid1(VALU_DEP_3)
	v_alignbit_b32 v38, v37, v33, 9
	v_lshlrev_b32_e32 v35, 31, v35
	v_alignbit_b32 v37, v34, v37, 9
	s_delay_alu instid0(VALU_DEP_3) | instskip(NEXT) | instid1(VALU_DEP_2)
	v_clz_i32_u32_e32 v39, v38
	v_or_b32_e32 v37, v37, v35
	v_or_b32_e32 v35, 0x33800000, v35
	s_delay_alu instid0(VALU_DEP_3) | instskip(NEXT) | instid1(VALU_DEP_3)
	v_min_u32_e32 v39, 32, v39
	v_xor_b32_e32 v37, 1.0, v37
	s_delay_alu instid0(VALU_DEP_2) | instskip(SKIP_1) | instid1(VALU_DEP_3)
	v_sub_nc_u32_e32 v40, 31, v39
	v_add_lshl_u32 v34, v39, v34, 23
	v_mul_f32_e32 v39, 0x3fc90fda, v37
	s_delay_alu instid0(VALU_DEP_3) | instskip(NEXT) | instid1(VALU_DEP_3)
	v_alignbit_b32 v33, v38, v33, v40
	v_sub_nc_u32_e32 v34, v35, v34
	s_delay_alu instid0(VALU_DEP_3) | instskip(NEXT) | instid1(VALU_DEP_3)
	v_fma_f32 v35, 0x3fc90fda, v37, -v39
	v_lshrrev_b32_e32 v33, 9, v33
	s_delay_alu instid0(VALU_DEP_2) | instskip(NEXT) | instid1(VALU_DEP_2)
	v_fmac_f32_e32 v35, 0x33a22168, v37
	v_or_b32_e32 v33, v34, v33
	s_delay_alu instid0(VALU_DEP_1) | instskip(NEXT) | instid1(VALU_DEP_1)
	v_fmac_f32_e32 v35, 0x3fc90fda, v33
	v_dual_add_f32 v34, v39, v35 :: v_dual_add_nc_u32 v35, v36, v1
.LBB93_39:                              ;   in Loop: Header=BB93_25 Depth=1
	s_and_not1_saveexec_b32 s3, s20
; %bb.40:                               ;   in Loop: Header=BB93_25 Depth=1
	v_mul_f32_e64 v1, 0x3f22f983, |v27|
	s_delay_alu instid0(VALU_DEP_1) | instskip(NEXT) | instid1(VALU_DEP_1)
	v_rndne_f32_e32 v1, v1
	v_fma_f32 v34, 0xbfc90fda, v1, |v27|
	v_cvt_i32_f32_e32 v35, v1
	s_delay_alu instid0(VALU_DEP_2) | instskip(NEXT) | instid1(VALU_DEP_1)
	v_fmac_f32_e32 v34, 0xb3a22168, v1
	v_fmac_f32_e32 v34, 0xa7c234c4, v1
; %bb.41:                               ;   in Loop: Header=BB93_25 Depth=1
	s_or_b32 exec_lo, exec_lo, s3
	v_and_b32_e32 v33, 0x7fffffff, v26
                                        ; implicit-def: $vgpr38
                                        ; implicit-def: $vgpr37
	s_mov_b32 s4, exec_lo
	v_cmpx_ngt_f32_e64 0x48000000, |v26|
	s_xor_b32 s20, exec_lo, s4
	s_cbranch_execz .LBB93_43
; %bb.42:                               ;   in Loop: Header=BB93_25 Depth=1
	v_and_or_b32 v44, v33, s7, 0x800000
	v_lshrrev_b32_e32 v41, 23, v33
	s_delay_alu instid0(VALU_DEP_2) | instskip(NEXT) | instid1(VALU_DEP_2)
	v_mad_u64_u32 v[36:37], null, 0xfe5163ab, v44, 0
	v_add_nc_u32_e32 v42, 0xffffff88, v41
	s_delay_alu instid0(VALU_DEP_1) | instskip(NEXT) | instid1(VALU_DEP_3)
	v_cmp_lt_u32_e64 s3, 63, v42
	v_mov_b32_e32 v1, v37
	s_delay_alu instid0(VALU_DEP_2) | instskip(NEXT) | instid1(VALU_DEP_2)
	v_cndmask_b32_e64 v43, 0, 0xffffffc0, s3
	v_mad_u64_u32 v[37:38], null, 0x3c439041, v44, v[1:2]
	s_delay_alu instid0(VALU_DEP_2) | instskip(NEXT) | instid1(VALU_DEP_2)
	v_add_nc_u32_e32 v43, v43, v42
	v_mov_b32_e32 v1, v38
	s_delay_alu instid0(VALU_DEP_2) | instskip(NEXT) | instid1(VALU_DEP_2)
	v_cmp_lt_u32_e64 s4, 31, v43
	v_mad_u64_u32 v[38:39], null, 0xdb629599, v44, v[1:2]
	s_delay_alu instid0(VALU_DEP_2) | instskip(NEXT) | instid1(VALU_DEP_1)
	v_cndmask_b32_e64 v45, 0, 0xffffffe0, s4
	v_add_nc_u32_e32 v45, v45, v43
	s_delay_alu instid0(VALU_DEP_3) | instskip(NEXT) | instid1(VALU_DEP_4)
	v_mov_b32_e32 v1, v39
	v_cndmask_b32_e64 v36, v38, v36, s3
	s_delay_alu instid0(VALU_DEP_3) | instskip(NEXT) | instid1(VALU_DEP_3)
	v_cmp_lt_u32_e64 s5, 31, v45
	v_mad_u64_u32 v[39:40], null, 0xf534ddc0, v44, v[1:2]
	s_delay_alu instid0(VALU_DEP_1) | instskip(NEXT) | instid1(VALU_DEP_2)
	v_mov_b32_e32 v1, v40
	v_cndmask_b32_e64 v37, v39, v37, s3
	s_delay_alu instid0(VALU_DEP_2) | instskip(NEXT) | instid1(VALU_DEP_2)
	v_mad_u64_u32 v[40:41], null, 0xfc2757d1, v44, v[1:2]
	v_cndmask_b32_e64 v36, v37, v36, s4
	s_delay_alu instid0(VALU_DEP_2) | instskip(NEXT) | instid1(VALU_DEP_1)
	v_mov_b32_e32 v1, v41
	v_mad_u64_u32 v[41:42], null, 0x4e441529, v44, v[1:2]
	s_delay_alu instid0(VALU_DEP_1) | instskip(NEXT) | instid1(VALU_DEP_1)
	v_mov_b32_e32 v1, v42
	v_mad_u64_u32 v[42:43], null, 0xa2f9836e, v44, v[1:2]
	v_cndmask_b32_e64 v1, 0, 0xffffffe0, s5
	s_delay_alu instid0(VALU_DEP_4) | instskip(NEXT) | instid1(VALU_DEP_2)
	v_cndmask_b32_e64 v44, v41, v39, s3
	v_add_nc_u32_e32 v1, v1, v45
	s_delay_alu instid0(VALU_DEP_4) | instskip(SKIP_2) | instid1(VALU_DEP_4)
	v_cndmask_b32_e64 v42, v42, v40, s3
	v_cndmask_b32_e64 v41, v43, v41, s3
	;; [unrolled: 1-line block ×3, first 2 shown]
	v_sub_nc_u32_e32 v43, 32, v1
	s_delay_alu instid0(VALU_DEP_4) | instskip(NEXT) | instid1(VALU_DEP_4)
	v_cndmask_b32_e64 v39, v42, v44, s4
	v_cndmask_b32_e64 v41, v41, v42, s4
	s_delay_alu instid0(VALU_DEP_4) | instskip(SKIP_2) | instid1(VALU_DEP_4)
	v_cndmask_b32_e64 v42, v44, v40, s4
	v_cndmask_b32_e64 v40, v40, v37, s4
	v_cmp_eq_u32_e64 s6, 0, v1
	v_cndmask_b32_e64 v41, v41, v39, s5
	s_delay_alu instid0(VALU_DEP_4) | instskip(NEXT) | instid1(VALU_DEP_4)
	v_cndmask_b32_e64 v39, v39, v42, s5
	v_cndmask_b32_e64 v42, v42, v40, s5
	;; [unrolled: 1-line block ×3, first 2 shown]
	s_delay_alu instid0(VALU_DEP_3) | instskip(NEXT) | instid1(VALU_DEP_3)
	v_alignbit_b32 v44, v41, v39, v43
	v_alignbit_b32 v45, v39, v42, v43
	s_delay_alu instid0(VALU_DEP_3) | instskip(NEXT) | instid1(VALU_DEP_3)
	v_alignbit_b32 v43, v42, v36, v43
	v_cndmask_b32_e64 v1, v44, v41, s6
	s_delay_alu instid0(VALU_DEP_3) | instskip(NEXT) | instid1(VALU_DEP_3)
	v_cndmask_b32_e64 v38, v45, v39, s6
	v_cndmask_b32_e64 v42, v43, v42, s6
	s_delay_alu instid0(VALU_DEP_3) | instskip(NEXT) | instid1(VALU_DEP_3)
	v_bfe_u32 v39, v1, 29, 1
	v_alignbit_b32 v37, v1, v38, 30
	s_delay_alu instid0(VALU_DEP_3) | instskip(SKIP_1) | instid1(VALU_DEP_4)
	v_alignbit_b32 v38, v38, v42, 30
	v_alignbit_b32 v36, v42, v36, 30
	v_sub_nc_u32_e32 v41, 0, v39
	s_delay_alu instid0(VALU_DEP_1) | instskip(SKIP_3) | instid1(VALU_DEP_4)
	v_xor_b32_e32 v40, v37, v41
	v_cmp_ne_u32_e64 s3, v37, v41
	v_xor_b32_e32 v38, v38, v41
	v_xor_b32_e32 v36, v36, v41
	v_clz_i32_u32_e32 v44, v40
	s_delay_alu instid0(VALU_DEP_1) | instskip(NEXT) | instid1(VALU_DEP_1)
	v_add_nc_u32_e32 v43, 1, v44
	v_cndmask_b32_e64 v37, 33, v43, s3
	s_delay_alu instid0(VALU_DEP_1) | instskip(NEXT) | instid1(VALU_DEP_1)
	v_sub_nc_u32_e32 v42, 32, v37
	v_alignbit_b32 v40, v40, v38, v42
	v_alignbit_b32 v36, v38, v36, v42
	v_lshrrev_b32_e32 v38, 29, v1
	v_lshrrev_b32_e32 v1, 30, v1
	s_delay_alu instid0(VALU_DEP_3) | instskip(NEXT) | instid1(VALU_DEP_3)
	v_alignbit_b32 v41, v40, v36, 9
	v_lshlrev_b32_e32 v38, 31, v38
	v_alignbit_b32 v40, v37, v40, 9
	s_delay_alu instid0(VALU_DEP_3) | instskip(NEXT) | instid1(VALU_DEP_2)
	v_clz_i32_u32_e32 v42, v41
	v_or_b32_e32 v40, v40, v38
	v_or_b32_e32 v38, 0x33800000, v38
	s_delay_alu instid0(VALU_DEP_3) | instskip(NEXT) | instid1(VALU_DEP_3)
	v_min_u32_e32 v42, 32, v42
	v_xor_b32_e32 v40, 1.0, v40
	s_delay_alu instid0(VALU_DEP_2) | instskip(SKIP_1) | instid1(VALU_DEP_3)
	v_sub_nc_u32_e32 v43, 31, v42
	v_add_lshl_u32 v37, v42, v37, 23
	v_mul_f32_e32 v42, 0x3fc90fda, v40
	s_delay_alu instid0(VALU_DEP_3) | instskip(NEXT) | instid1(VALU_DEP_3)
	v_alignbit_b32 v36, v41, v36, v43
	v_sub_nc_u32_e32 v37, v38, v37
	s_delay_alu instid0(VALU_DEP_3) | instskip(NEXT) | instid1(VALU_DEP_3)
	v_fma_f32 v38, 0x3fc90fda, v40, -v42
	v_lshrrev_b32_e32 v36, 9, v36
	s_delay_alu instid0(VALU_DEP_2) | instskip(NEXT) | instid1(VALU_DEP_2)
	v_fmac_f32_e32 v38, 0x33a22168, v40
	v_or_b32_e32 v36, v37, v36
	s_delay_alu instid0(VALU_DEP_1) | instskip(NEXT) | instid1(VALU_DEP_1)
	v_fmac_f32_e32 v38, 0x3fc90fda, v36
	v_dual_add_f32 v37, v42, v38 :: v_dual_add_nc_u32 v38, v39, v1
.LBB93_43:                              ;   in Loop: Header=BB93_25 Depth=1
	s_and_not1_saveexec_b32 s3, s20
; %bb.44:                               ;   in Loop: Header=BB93_25 Depth=1
	v_mul_f32_e64 v1, 0x3f22f983, |v26|
	s_delay_alu instid0(VALU_DEP_1) | instskip(NEXT) | instid1(VALU_DEP_1)
	v_rndne_f32_e32 v1, v1
	v_fma_f32 v37, 0xbfc90fda, v1, |v26|
	v_cvt_i32_f32_e32 v38, v1
	s_delay_alu instid0(VALU_DEP_2) | instskip(NEXT) | instid1(VALU_DEP_1)
	v_fmac_f32_e32 v37, 0xb3a22168, v1
	v_fmac_f32_e32 v37, 0xa7c234c4, v1
; %bb.45:                               ;   in Loop: Header=BB93_25 Depth=1
	s_or_b32 exec_lo, exec_lo, s3
	v_and_b32_e32 v36, 0x7fffffff, v25
                                        ; implicit-def: $vgpr39
                                        ; implicit-def: $vgpr1
	s_mov_b32 s4, exec_lo
	v_cmpx_ngt_f32_e64 0x48000000, |v25|
	s_xor_b32 s20, exec_lo, s4
	s_cbranch_execnz .LBB93_51
; %bb.46:                               ;   in Loop: Header=BB93_25 Depth=1
	s_and_not1_saveexec_b32 s3, s20
	s_cbranch_execnz .LBB93_52
.LBB93_47:                              ;   in Loop: Header=BB93_25 Depth=1
	s_or_b32 exec_lo, exec_lo, s3
	s_and_saveexec_b32 s3, s2
	s_delay_alu instid0(SALU_CYCLE_1)
	s_xor_b32 s3, exec_lo, s3
	s_cbranch_execnz .LBB93_53
.LBB93_48:                              ;   in Loop: Header=BB93_25 Depth=1
	s_or_b32 exec_lo, exec_lo, s3
	s_and_saveexec_b32 s2, s1
	s_cbranch_execnz .LBB93_54
.LBB93_49:                              ;   in Loop: Header=BB93_25 Depth=1
	s_or_b32 exec_lo, exec_lo, s2
	s_and_saveexec_b32 s1, s0
	s_cbranch_execnz .LBB93_55
.LBB93_50:                              ;   in Loop: Header=BB93_25 Depth=1
	s_or_b32 exec_lo, exec_lo, s1
	s_and_saveexec_b32 s0, vcc_lo
	s_cbranch_execz .LBB93_24
	s_branch .LBB93_56
.LBB93_51:                              ;   in Loop: Header=BB93_25 Depth=1
	v_lshrrev_b32_e32 v44, 23, v36
	v_and_or_b32 v47, v36, s7, 0x800000
	s_delay_alu instid0(VALU_DEP_2) | instskip(NEXT) | instid1(VALU_DEP_2)
	v_add_nc_u32_e32 v45, 0xffffff88, v44
	v_mad_u64_u32 v[39:40], null, 0xfe5163ab, v47, 0
	s_delay_alu instid0(VALU_DEP_2) | instskip(NEXT) | instid1(VALU_DEP_1)
	v_cmp_lt_u32_e64 s3, 63, v45
	v_cndmask_b32_e64 v46, 0, 0xffffffc0, s3
	s_delay_alu instid0(VALU_DEP_1) | instskip(NEXT) | instid1(VALU_DEP_1)
	v_dual_mov_b32 v1, v40 :: v_dual_add_nc_u32 v46, v46, v45
	v_mad_u64_u32 v[40:41], null, 0x3c439041, v47, v[1:2]
	s_delay_alu instid0(VALU_DEP_2) | instskip(NEXT) | instid1(VALU_DEP_1)
	v_cmp_lt_u32_e64 s4, 31, v46
	v_cndmask_b32_e64 v48, 0, 0xffffffe0, s4
	s_delay_alu instid0(VALU_DEP_1) | instskip(NEXT) | instid1(VALU_DEP_1)
	v_dual_mov_b32 v1, v41 :: v_dual_add_nc_u32 v48, v48, v46
	v_mad_u64_u32 v[41:42], null, 0xdb629599, v47, v[1:2]
	s_delay_alu instid0(VALU_DEP_2) | instskip(NEXT) | instid1(VALU_DEP_2)
	v_cmp_lt_u32_e64 s5, 31, v48
	v_mov_b32_e32 v1, v42
	s_delay_alu instid0(VALU_DEP_3) | instskip(NEXT) | instid1(VALU_DEP_2)
	v_cndmask_b32_e64 v39, v41, v39, s3
	v_mad_u64_u32 v[42:43], null, 0xf534ddc0, v47, v[1:2]
	s_delay_alu instid0(VALU_DEP_1) | instskip(NEXT) | instid1(VALU_DEP_2)
	v_mov_b32_e32 v1, v43
	v_cndmask_b32_e64 v40, v42, v40, s3
	s_delay_alu instid0(VALU_DEP_2) | instskip(NEXT) | instid1(VALU_DEP_2)
	v_mad_u64_u32 v[43:44], null, 0xfc2757d1, v47, v[1:2]
	v_cndmask_b32_e64 v39, v40, v39, s4
	s_delay_alu instid0(VALU_DEP_2) | instskip(NEXT) | instid1(VALU_DEP_1)
	v_mov_b32_e32 v1, v44
	v_mad_u64_u32 v[44:45], null, 0x4e441529, v47, v[1:2]
	s_delay_alu instid0(VALU_DEP_1) | instskip(NEXT) | instid1(VALU_DEP_1)
	v_mov_b32_e32 v1, v45
	v_mad_u64_u32 v[45:46], null, 0xa2f9836e, v47, v[1:2]
	v_cndmask_b32_e64 v1, 0, 0xffffffe0, s5
	s_delay_alu instid0(VALU_DEP_4) | instskip(NEXT) | instid1(VALU_DEP_2)
	v_cndmask_b32_e64 v47, v44, v42, s3
	v_add_nc_u32_e32 v1, v1, v48
	s_delay_alu instid0(VALU_DEP_4) | instskip(SKIP_2) | instid1(VALU_DEP_4)
	v_cndmask_b32_e64 v45, v45, v43, s3
	v_cndmask_b32_e64 v44, v46, v44, s3
	;; [unrolled: 1-line block ×3, first 2 shown]
	v_sub_nc_u32_e32 v46, 32, v1
	s_delay_alu instid0(VALU_DEP_4) | instskip(NEXT) | instid1(VALU_DEP_4)
	v_cndmask_b32_e64 v42, v45, v47, s4
	v_cndmask_b32_e64 v44, v44, v45, s4
	s_delay_alu instid0(VALU_DEP_4) | instskip(SKIP_2) | instid1(VALU_DEP_4)
	v_cndmask_b32_e64 v45, v47, v43, s4
	v_cndmask_b32_e64 v43, v43, v40, s4
	v_cmp_eq_u32_e64 s6, 0, v1
	v_cndmask_b32_e64 v44, v44, v42, s5
	s_delay_alu instid0(VALU_DEP_4) | instskip(NEXT) | instid1(VALU_DEP_4)
	v_cndmask_b32_e64 v42, v42, v45, s5
	v_cndmask_b32_e64 v45, v45, v43, s5
	;; [unrolled: 1-line block ×3, first 2 shown]
	s_delay_alu instid0(VALU_DEP_3) | instskip(NEXT) | instid1(VALU_DEP_3)
	v_alignbit_b32 v47, v44, v42, v46
	v_alignbit_b32 v48, v42, v45, v46
	s_delay_alu instid0(VALU_DEP_3) | instskip(NEXT) | instid1(VALU_DEP_3)
	v_alignbit_b32 v46, v45, v39, v46
	v_cndmask_b32_e64 v1, v47, v44, s6
	s_delay_alu instid0(VALU_DEP_3) | instskip(NEXT) | instid1(VALU_DEP_3)
	v_cndmask_b32_e64 v41, v48, v42, s6
	v_cndmask_b32_e64 v45, v46, v45, s6
	s_delay_alu instid0(VALU_DEP_3) | instskip(NEXT) | instid1(VALU_DEP_3)
	v_bfe_u32 v42, v1, 29, 1
	v_alignbit_b32 v40, v1, v41, 30
	s_delay_alu instid0(VALU_DEP_3) | instskip(SKIP_1) | instid1(VALU_DEP_4)
	v_alignbit_b32 v41, v41, v45, 30
	v_alignbit_b32 v39, v45, v39, 30
	v_sub_nc_u32_e32 v44, 0, v42
	s_delay_alu instid0(VALU_DEP_1) | instskip(SKIP_3) | instid1(VALU_DEP_4)
	v_xor_b32_e32 v43, v40, v44
	v_cmp_ne_u32_e64 s3, v40, v44
	v_xor_b32_e32 v41, v41, v44
	v_xor_b32_e32 v39, v39, v44
	v_clz_i32_u32_e32 v47, v43
	s_delay_alu instid0(VALU_DEP_1) | instskip(NEXT) | instid1(VALU_DEP_1)
	v_add_nc_u32_e32 v46, 1, v47
	v_cndmask_b32_e64 v40, 33, v46, s3
	s_delay_alu instid0(VALU_DEP_1) | instskip(NEXT) | instid1(VALU_DEP_1)
	v_sub_nc_u32_e32 v45, 32, v40
	v_alignbit_b32 v43, v43, v41, v45
	v_alignbit_b32 v39, v41, v39, v45
	v_lshrrev_b32_e32 v41, 29, v1
	s_delay_alu instid0(VALU_DEP_2) | instskip(NEXT) | instid1(VALU_DEP_2)
	v_alignbit_b32 v44, v43, v39, 9
	v_lshlrev_b32_e32 v41, 31, v41
	v_alignbit_b32 v43, v40, v43, 9
	s_delay_alu instid0(VALU_DEP_3) | instskip(NEXT) | instid1(VALU_DEP_2)
	v_clz_i32_u32_e32 v45, v44
	v_or_b32_e32 v43, v43, v41
	v_or_b32_e32 v41, 0x33800000, v41
	s_delay_alu instid0(VALU_DEP_3) | instskip(NEXT) | instid1(VALU_DEP_3)
	v_min_u32_e32 v45, 32, v45
	v_xor_b32_e32 v43, 1.0, v43
	s_delay_alu instid0(VALU_DEP_2) | instskip(SKIP_1) | instid1(VALU_DEP_3)
	v_sub_nc_u32_e32 v46, 31, v45
	v_add_lshl_u32 v40, v45, v40, 23
	v_mul_f32_e32 v45, 0x3fc90fda, v43
	s_delay_alu instid0(VALU_DEP_3) | instskip(NEXT) | instid1(VALU_DEP_3)
	v_alignbit_b32 v39, v44, v39, v46
	v_sub_nc_u32_e32 v40, v41, v40
	s_delay_alu instid0(VALU_DEP_3) | instskip(NEXT) | instid1(VALU_DEP_3)
	v_fma_f32 v41, 0x3fc90fda, v43, -v45
	v_lshrrev_b32_e32 v39, 9, v39
	s_delay_alu instid0(VALU_DEP_2) | instskip(NEXT) | instid1(VALU_DEP_2)
	v_fmac_f32_e32 v41, 0x33a22168, v43
	v_or_b32_e32 v39, v40, v39
	s_delay_alu instid0(VALU_DEP_1) | instskip(SKIP_1) | instid1(VALU_DEP_2)
	v_fmac_f32_e32 v41, 0x3fc90fda, v39
	v_lshrrev_b32_e32 v39, 30, v1
	v_add_f32_e32 v1, v45, v41
	s_delay_alu instid0(VALU_DEP_2)
	v_add_nc_u32_e32 v39, v42, v39
	s_and_not1_saveexec_b32 s3, s20
	s_cbranch_execz .LBB93_47
.LBB93_52:                              ;   in Loop: Header=BB93_25 Depth=1
	v_mul_f32_e64 v1, 0x3f22f983, |v25|
	s_delay_alu instid0(VALU_DEP_1) | instskip(NEXT) | instid1(VALU_DEP_1)
	v_rndne_f32_e32 v39, v1
	v_fma_f32 v1, 0xbfc90fda, v39, |v25|
	s_delay_alu instid0(VALU_DEP_1) | instskip(NEXT) | instid1(VALU_DEP_1)
	v_fmac_f32_e32 v1, 0xb3a22168, v39
	v_fmac_f32_e32 v1, 0xa7c234c4, v39
	v_cvt_i32_f32_e32 v39, v39
	s_or_b32 exec_lo, exec_lo, s3
	s_and_saveexec_b32 s3, s2
	s_delay_alu instid0(SALU_CYCLE_1)
	s_xor_b32 s3, exec_lo, s3
	s_cbranch_execz .LBB93_48
.LBB93_53:                              ;   in Loop: Header=BB93_25 Depth=1
	v_mul_f32_e32 v40, v30, v30
	v_and_b32_e32 v32, 1, v32
	s_delay_alu instid0(VALU_DEP_2) | instskip(SKIP_1) | instid1(VALU_DEP_3)
	v_fmaak_f32 v41, s19, v40, 0xbf039337
	v_fmaak_f32 v42, s18, v40, 0x3ec54587
	v_cmp_eq_u32_e64 s2, 0, v32
	s_delay_alu instid0(VALU_DEP_3) | instskip(NEXT) | instid1(VALU_DEP_1)
	v_fmaak_f32 v41, v40, v41, 0x3f93f425
	v_rcp_f32_e32 v41, v41
	s_waitcnt_depctr 0xfff
	v_mul_f32_e32 v41, v42, v41
	s_delay_alu instid0(VALU_DEP_1) | instskip(NEXT) | instid1(VALU_DEP_1)
	v_mul_f32_e32 v40, v40, v41
	v_fma_f32 v41, v40, v30, v30
	s_delay_alu instid0(VALU_DEP_1) | instskip(SKIP_1) | instid1(VALU_DEP_1)
	v_rcp_f32_e32 v42, v41
	v_sub_f32_e32 v43, v41, v30
	v_fma_f32 v30, v40, v30, -v43
	s_waitcnt_depctr 0xfff
	v_fma_f32 v40, v41, -v42, 1.0
	s_delay_alu instid0(VALU_DEP_1) | instskip(NEXT) | instid1(VALU_DEP_1)
	v_fma_f32 v30, v30, -v42, v40
	v_fma_f32 v30, v30, -v42, -v42
	s_delay_alu instid0(VALU_DEP_1) | instskip(SKIP_1) | instid1(VALU_DEP_2)
	v_cndmask_b32_e64 v30, v30, v41, s2
	v_cmp_class_f32_e64 s2, v28, 0x1f8
	v_xor3_b32 v29, v29, v28, v30
	s_delay_alu instid0(VALU_DEP_1) | instskip(SKIP_1) | instid1(VALU_DEP_1)
	v_cndmask_b32_e64 v30, 0x7fc00000, v29, s2
	v_add_co_u32 v28, s2, v5, s8
	v_add_co_ci_u32_e64 v29, s2, s9, v6, s2
	global_store_b32 v[28:29], v30, off
	s_or_b32 exec_lo, exec_lo, s3
	s_and_saveexec_b32 s2, s1
	s_cbranch_execz .LBB93_49
.LBB93_54:                              ;   in Loop: Header=BB93_25 Depth=1
	v_mul_f32_e32 v28, v34, v34
	s_delay_alu instid0(VALU_DEP_1) | instskip(SKIP_1) | instid1(VALU_DEP_2)
	v_fmaak_f32 v29, s19, v28, 0xbf039337
	v_fmaak_f32 v30, s18, v28, 0x3ec54587
	;; [unrolled: 1-line block ×3, first 2 shown]
	s_delay_alu instid0(VALU_DEP_1) | instskip(SKIP_2) | instid1(VALU_DEP_1)
	v_rcp_f32_e32 v29, v29
	s_waitcnt_depctr 0xfff
	v_mul_f32_e32 v29, v30, v29
	v_mul_f32_e32 v28, v28, v29
	s_delay_alu instid0(VALU_DEP_1) | instskip(NEXT) | instid1(VALU_DEP_1)
	v_fma_f32 v29, v28, v34, v34
	v_rcp_f32_e32 v30, v29
	v_sub_f32_e32 v32, v29, v34
	s_delay_alu instid0(VALU_DEP_1) | instskip(SKIP_2) | instid1(VALU_DEP_1)
	v_fma_f32 v28, v28, v34, -v32
	s_waitcnt_depctr 0xfff
	v_fma_f32 v32, v29, -v30, 1.0
	v_fma_f32 v28, v28, -v30, v32
	v_and_b32_e32 v32, 1, v35
	s_delay_alu instid0(VALU_DEP_2) | instskip(NEXT) | instid1(VALU_DEP_2)
	v_fma_f32 v28, v28, -v30, -v30
	v_cmp_eq_u32_e64 s1, 0, v32
	s_delay_alu instid0(VALU_DEP_1) | instskip(SKIP_1) | instid1(VALU_DEP_2)
	v_cndmask_b32_e64 v28, v28, v29, s1
	v_cmp_class_f32_e64 s1, v27, 0x1f8
	v_xor3_b32 v28, v31, v27, v28
	s_delay_alu instid0(VALU_DEP_1) | instskip(SKIP_1) | instid1(VALU_DEP_1)
	v_cndmask_b32_e64 v29, 0x7fc00000, v28, s1
	v_add_co_u32 v27, s1, v23, s8
	v_add_co_ci_u32_e64 v28, s1, s9, v24, s1
	global_store_b32 v[27:28], v29, off
	s_or_b32 exec_lo, exec_lo, s2
	s_and_saveexec_b32 s1, s0
	s_cbranch_execz .LBB93_50
.LBB93_55:                              ;   in Loop: Header=BB93_25 Depth=1
	v_mul_f32_e32 v27, v37, v37
	s_delay_alu instid0(VALU_DEP_1) | instskip(SKIP_1) | instid1(VALU_DEP_2)
	v_fmaak_f32 v28, s19, v27, 0xbf039337
	v_fmaak_f32 v29, s18, v27, 0x3ec54587
	;; [unrolled: 1-line block ×3, first 2 shown]
	s_delay_alu instid0(VALU_DEP_1) | instskip(SKIP_2) | instid1(VALU_DEP_1)
	v_rcp_f32_e32 v28, v28
	s_waitcnt_depctr 0xfff
	v_mul_f32_e32 v28, v29, v28
	v_mul_f32_e32 v27, v27, v28
	s_delay_alu instid0(VALU_DEP_1) | instskip(NEXT) | instid1(VALU_DEP_1)
	v_fma_f32 v28, v27, v37, v37
	v_sub_f32_e32 v30, v28, v37
	v_rcp_f32_e32 v29, v28
	s_delay_alu instid0(VALU_DEP_1) | instskip(SKIP_2) | instid1(VALU_DEP_1)
	v_fma_f32 v27, v27, v37, -v30
	s_waitcnt_depctr 0xfff
	v_fma_f32 v30, v28, -v29, 1.0
	v_fma_f32 v27, v27, -v29, v30
	v_and_b32_e32 v30, 1, v38
	s_delay_alu instid0(VALU_DEP_2) | instskip(NEXT) | instid1(VALU_DEP_2)
	v_fma_f32 v27, v27, -v29, -v29
	v_cmp_eq_u32_e64 s0, 0, v30
	s_delay_alu instid0(VALU_DEP_1) | instskip(SKIP_1) | instid1(VALU_DEP_2)
	v_cndmask_b32_e64 v27, v27, v28, s0
	v_cmp_class_f32_e64 s0, v26, 0x1f8
	v_xor3_b32 v27, v33, v26, v27
	s_delay_alu instid0(VALU_DEP_1) | instskip(SKIP_1) | instid1(VALU_DEP_1)
	v_cndmask_b32_e64 v28, 0x7fc00000, v27, s0
	v_add_co_u32 v26, s0, v16, s8
	v_add_co_ci_u32_e64 v27, s0, s9, v17, s0
	global_store_b32 v[26:27], v28, off
	s_or_b32 exec_lo, exec_lo, s1
	s_and_saveexec_b32 s0, vcc_lo
	s_cbranch_execz .LBB93_24
.LBB93_56:                              ;   in Loop: Header=BB93_25 Depth=1
	v_mul_f32_e32 v26, v1, v1
	s_delay_alu instid0(VALU_DEP_1) | instskip(SKIP_1) | instid1(VALU_DEP_2)
	v_fmaak_f32 v27, s19, v26, 0xbf039337
	v_fmaak_f32 v28, s18, v26, 0x3ec54587
	v_fmaak_f32 v27, v26, v27, 0x3f93f425
	s_delay_alu instid0(VALU_DEP_1) | instskip(SKIP_2) | instid1(VALU_DEP_1)
	v_rcp_f32_e32 v27, v27
	s_waitcnt_depctr 0xfff
	v_mul_f32_e32 v27, v28, v27
	v_mul_f32_e32 v26, v26, v27
	s_delay_alu instid0(VALU_DEP_1) | instskip(NEXT) | instid1(VALU_DEP_1)
	v_fma_f32 v27, v26, v1, v1
	v_rcp_f32_e32 v28, v27
	v_sub_f32_e32 v29, v27, v1
	s_delay_alu instid0(VALU_DEP_1) | instskip(SKIP_2) | instid1(VALU_DEP_1)
	v_fma_f32 v1, v26, v1, -v29
	s_waitcnt_depctr 0xfff
	v_fma_f32 v26, v27, -v28, 1.0
	v_fma_f32 v1, v1, -v28, v26
	v_and_b32_e32 v26, 1, v39
	s_delay_alu instid0(VALU_DEP_2) | instskip(NEXT) | instid1(VALU_DEP_2)
	v_fma_f32 v1, v1, -v28, -v28
	v_cmp_eq_u32_e32 vcc_lo, 0, v26
	s_delay_alu instid0(VALU_DEP_2) | instskip(SKIP_1) | instid1(VALU_DEP_2)
	v_cndmask_b32_e32 v1, v1, v27, vcc_lo
	v_cmp_class_f32_e64 vcc_lo, v25, 0x1f8
	v_xor3_b32 v1, v36, v25, v1
	s_delay_alu instid0(VALU_DEP_1)
	v_cndmask_b32_e32 v1, 0x7fc00000, v1, vcc_lo
	v_add_co_u32 v25, vcc_lo, v9, s8
	v_add_co_ci_u32_e32 v26, vcc_lo, s9, v10, vcc_lo
	global_store_b32 v[25:26], v1, off
	s_branch .LBB93_24
.LBB93_57:
	s_nop 0
	s_sendmsg sendmsg(MSG_DEALLOC_VGPRS)
	s_endpgm
	.section	.rodata,"a",@progbits
	.p2align	6, 0x0
	.amdhsa_kernel _ZN2at6native12_GLOBAL__N_125multi_tensor_apply_kernelINS1_18TensorListMetadataILi2EEENS1_14UnaryOpFunctorIfLi2ELi1ELi1EEEJNS0_3TanIfEEEEEvT_T0_DpT1_
		.amdhsa_group_segment_fixed_size 0
		.amdhsa_private_segment_fixed_size 0
		.amdhsa_kernarg_size 3408
		.amdhsa_user_sgpr_count 15
		.amdhsa_user_sgpr_dispatch_ptr 0
		.amdhsa_user_sgpr_queue_ptr 0
		.amdhsa_user_sgpr_kernarg_segment_ptr 1
		.amdhsa_user_sgpr_dispatch_id 0
		.amdhsa_user_sgpr_private_segment_size 0
		.amdhsa_wavefront_size32 1
		.amdhsa_uses_dynamic_stack 0
		.amdhsa_enable_private_segment 0
		.amdhsa_system_sgpr_workgroup_id_x 1
		.amdhsa_system_sgpr_workgroup_id_y 0
		.amdhsa_system_sgpr_workgroup_id_z 0
		.amdhsa_system_sgpr_workgroup_info 0
		.amdhsa_system_vgpr_workitem_id 0
		.amdhsa_next_free_vgpr 49
		.amdhsa_next_free_sgpr 25
		.amdhsa_reserve_vcc 1
		.amdhsa_float_round_mode_32 0
		.amdhsa_float_round_mode_16_64 0
		.amdhsa_float_denorm_mode_32 3
		.amdhsa_float_denorm_mode_16_64 3
		.amdhsa_dx10_clamp 1
		.amdhsa_ieee_mode 1
		.amdhsa_fp16_overflow 0
		.amdhsa_workgroup_processor_mode 1
		.amdhsa_memory_ordered 1
		.amdhsa_forward_progress 0
		.amdhsa_shared_vgpr_count 0
		.amdhsa_exception_fp_ieee_invalid_op 0
		.amdhsa_exception_fp_denorm_src 0
		.amdhsa_exception_fp_ieee_div_zero 0
		.amdhsa_exception_fp_ieee_overflow 0
		.amdhsa_exception_fp_ieee_underflow 0
		.amdhsa_exception_fp_ieee_inexact 0
		.amdhsa_exception_int_div_zero 0
	.end_amdhsa_kernel
	.section	.text._ZN2at6native12_GLOBAL__N_125multi_tensor_apply_kernelINS1_18TensorListMetadataILi2EEENS1_14UnaryOpFunctorIfLi2ELi1ELi1EEEJNS0_3TanIfEEEEEvT_T0_DpT1_,"axG",@progbits,_ZN2at6native12_GLOBAL__N_125multi_tensor_apply_kernelINS1_18TensorListMetadataILi2EEENS1_14UnaryOpFunctorIfLi2ELi1ELi1EEEJNS0_3TanIfEEEEEvT_T0_DpT1_,comdat
.Lfunc_end93:
	.size	_ZN2at6native12_GLOBAL__N_125multi_tensor_apply_kernelINS1_18TensorListMetadataILi2EEENS1_14UnaryOpFunctorIfLi2ELi1ELi1EEEJNS0_3TanIfEEEEEvT_T0_DpT1_, .Lfunc_end93-_ZN2at6native12_GLOBAL__N_125multi_tensor_apply_kernelINS1_18TensorListMetadataILi2EEENS1_14UnaryOpFunctorIfLi2ELi1ELi1EEEJNS0_3TanIfEEEEEvT_T0_DpT1_
                                        ; -- End function
	.section	.AMDGPU.csdata,"",@progbits
; Kernel info:
; codeLenInByte = 9152
; NumSgprs: 27
; NumVgprs: 49
; ScratchSize: 0
; MemoryBound: 0
; FloatMode: 240
; IeeeMode: 1
; LDSByteSize: 0 bytes/workgroup (compile time only)
; SGPRBlocks: 3
; VGPRBlocks: 6
; NumSGPRsForWavesPerEU: 27
; NumVGPRsForWavesPerEU: 49
; Occupancy: 16
; WaveLimiterHint : 0
; COMPUTE_PGM_RSRC2:SCRATCH_EN: 0
; COMPUTE_PGM_RSRC2:USER_SGPR: 15
; COMPUTE_PGM_RSRC2:TRAP_HANDLER: 0
; COMPUTE_PGM_RSRC2:TGID_X_EN: 1
; COMPUTE_PGM_RSRC2:TGID_Y_EN: 0
; COMPUTE_PGM_RSRC2:TGID_Z_EN: 0
; COMPUTE_PGM_RSRC2:TIDIG_COMP_CNT: 0
	.section	.text._ZN2at6native12_GLOBAL__N_125multi_tensor_apply_kernelINS1_18TensorListMetadataILi2EEENS1_14UnaryOpFunctorIN3c107complexIdEELi2ELi1ELi1EEEJNS0_3TanIS8_EEEEEvT_T0_DpT1_,"axG",@progbits,_ZN2at6native12_GLOBAL__N_125multi_tensor_apply_kernelINS1_18TensorListMetadataILi2EEENS1_14UnaryOpFunctorIN3c107complexIdEELi2ELi1ELi1EEEJNS0_3TanIS8_EEEEEvT_T0_DpT1_,comdat
	.globl	_ZN2at6native12_GLOBAL__N_125multi_tensor_apply_kernelINS1_18TensorListMetadataILi2EEENS1_14UnaryOpFunctorIN3c107complexIdEELi2ELi1ELi1EEEJNS0_3TanIS8_EEEEEvT_T0_DpT1_ ; -- Begin function _ZN2at6native12_GLOBAL__N_125multi_tensor_apply_kernelINS1_18TensorListMetadataILi2EEENS1_14UnaryOpFunctorIN3c107complexIdEELi2ELi1ELi1EEEJNS0_3TanIS8_EEEEEvT_T0_DpT1_
	.p2align	8
	.type	_ZN2at6native12_GLOBAL__N_125multi_tensor_apply_kernelINS1_18TensorListMetadataILi2EEENS1_14UnaryOpFunctorIN3c107complexIdEELi2ELi1ELi1EEEJNS0_3TanIS8_EEEEEvT_T0_DpT1_,@function
_ZN2at6native12_GLOBAL__N_125multi_tensor_apply_kernelINS1_18TensorListMetadataILi2EEENS1_14UnaryOpFunctorIN3c107complexIdEELi2ELi1ELi1EEEJNS0_3TanIS8_EEEEEvT_T0_DpT1_: ; @_ZN2at6native12_GLOBAL__N_125multi_tensor_apply_kernelINS1_18TensorListMetadataILi2EEENS1_14UnaryOpFunctorIN3c107complexIdEELi2ELi1ELi1EEEJNS0_3TanIS8_EEEEEvT_T0_DpT1_
; %bb.0:
	v_mov_b32_e32 v1, s15
	s_add_u32 s2, s0, s15
	s_mul_hi_u32 s3, s15, 3
	s_mul_i32 s15, s15, 3
	s_addc_u32 s4, s1, 0
	global_load_u8 v1, v1, s[0:1] offset:1536
	s_add_u32 s2, s2, s15
	s_addc_u32 s3, s4, s3
	s_mov_b32 s11, 0
	s_load_b32 s2, s[2:3], 0x740
	s_mov_b32 s13, s11
	s_mov_b32 s15, s11
	s_waitcnt vmcnt(0)
	v_readfirstlane_b32 s5, v1
	s_delay_alu instid0(VALU_DEP_1)
	s_lshl_b32 s3, s5, 3
	s_clause 0x2
	s_load_b64 s[4:5], s[0:1], s3 offset:0x0
	s_load_b64 s[20:21], s[0:1], s3 offset:0x200
	;; [unrolled: 1-line block ×3, first 2 shown]
	s_waitcnt lgkmcnt(0)
	s_ashr_i32 s3, s2, 31
	s_delay_alu instid0(SALU_CYCLE_1) | instskip(NEXT) | instid1(SALU_CYCLE_1)
	s_lshl_b64 s[6:7], s[2:3], 20
	s_add_u32 s33, s4, s6
	s_addc_u32 s104, s5, s7
	s_add_u32 vcc_hi, s20, s6
	s_addc_u32 s42, s21, s7
	s_and_b32 s12, s33, 63
	s_and_b32 s14, s8, 3
	s_and_b32 s10, vcc_hi, 63
	s_or_b64 s[12:13], s[12:13], s[14:15]
	s_lshl_b64 s[2:3], s[2:3], 16
	s_or_b64 s[10:11], s[10:11], s[12:13]
	s_sub_u32 s8, s8, s2
	s_subb_u32 s9, s9, s3
	s_cmp_eq_u64 s[10:11], 0
	s_mov_b32 s2, -1
	s_cbranch_scc0 .LBB94_157
; %bb.1:
	v_mov_b32_e32 v21, 0
	s_delay_alu instid0(VALU_DEP_1) | instskip(NEXT) | instid1(VALU_DEP_1)
	v_dual_mov_b32 v2, v21 :: v_dual_lshlrev_b32 v1, 2, v0
	v_cmp_gt_i64_e32 vcc_lo, s[8:9], v[1:2]
	s_mov_b32 s2, exec_lo
                                        ; implicit-def: $vgpr64 : SGPR spill to VGPR lane
	s_delay_alu instid0(SALU_CYCLE_1) | instskip(SKIP_1) | instid1(SALU_CYCLE_1)
	v_writelane_b32 v64, s2, 0
	s_and_b32 s2, s2, vcc_lo
	s_mov_b32 exec_lo, s2
	s_cbranch_execz .LBB94_156
; %bb.2:
	s_load_b32 s2, s[0:1], 0xc5c
	v_dual_mov_b32 v24, v21 :: v_dual_lshlrev_b32 v37, 6, v0
	s_mov_b32 s12, 0x54442d18
	s_mov_b32 s18, 0x6dc9c883
	;; [unrolled: 1-line block ×17, first 2 shown]
	s_waitcnt lgkmcnt(0)
	s_and_b32 s2, s2, 0xffff
	s_mov_b32 s36, 0x11110bb3
	v_add_lshl_u32 v23, v0, s2, 2
	s_mov_b32 s40, 0x55555555
	s_mov_b32 s86, 0x55555511
	;; [unrolled: 1-line block ×21, first 2 shown]
	s_lshl_b32 s44, s2, 2
	s_lshl_b32 s45, s2, 6
	s_mov_b32 s53, 0x3fc11111
	s_mov_b32 s55, 0x3fd55555
	;; [unrolled: 1-line block ×33, first 2 shown]
	s_branch .LBB94_7
.LBB94_3:                               ;   in Loop: Header=BB94_7 Depth=1
	s_or_b32 exec_lo, exec_lo, s2
	v_cmp_class_f64_e64 vcc_lo, v[1:2], 0x1f8
	v_lshlrev_b32_e32 v1, 30, v38
	s_delay_alu instid0(VALU_DEP_3) | instskip(NEXT) | instid1(VALU_DEP_4)
	v_mul_f64 v[31:32], v[9:10], 0.5
	v_mul_f64 v[43:44], v[35:36], 0.5
	s_mov_b32 s38, s40
	s_delay_alu instid0(VALU_DEP_3) | instskip(SKIP_1) | instid1(VALU_DEP_1)
	v_xor_b32_e32 v47, v1, v2
	v_mul_f64 v[1:2], v[3:4], v[3:4]
	v_mul_f64 v[25:26], v[1:2], 0.5
	v_mul_f64 v[39:40], v[3:4], -v[1:2]
	s_delay_alu instid0(VALU_DEP_2) | instskip(NEXT) | instid1(VALU_DEP_1)
	v_add_f64 v[27:28], -v[25:26], 1.0
	v_add_f64 v[29:30], -v[27:28], 1.0
	s_delay_alu instid0(VALU_DEP_1) | instskip(SKIP_1) | instid1(VALU_DEP_2)
	v_add_f64 v[25:26], v[29:30], -v[25:26]
	v_fma_f64 v[29:30], v[1:2], s[26:27], s[102:103]
	v_fma_f64 v[25:26], v[3:4], -v[9:10], v[25:26]
	s_delay_alu instid0(VALU_DEP_2) | instskip(NEXT) | instid1(VALU_DEP_1)
	v_fma_f64 v[29:30], v[1:2], v[29:30], s[28:29]
	v_fma_f64 v[29:30], v[1:2], v[29:30], s[30:31]
	s_delay_alu instid0(VALU_DEP_1) | instskip(NEXT) | instid1(VALU_DEP_1)
	v_fma_f64 v[29:30], v[1:2], v[29:30], s[36:37]
	v_fma_f64 v[29:30], v[39:40], v[29:30], v[31:32]
	s_delay_alu instid0(VALU_DEP_1) | instskip(SKIP_1) | instid1(VALU_DEP_2)
	v_fma_f64 v[9:10], v[1:2], v[29:30], -v[9:10]
	v_fma_f64 v[29:30], v[1:2], s[94:95], s[92:93]
	v_fma_f64 v[9:10], v[39:40], s[38:39], v[9:10]
	s_delay_alu instid0(VALU_DEP_2) | instskip(NEXT) | instid1(VALU_DEP_2)
	v_fma_f64 v[29:30], v[1:2], v[29:30], s[96:97]
	v_add_f64 v[3:4], v[3:4], -v[9:10]
	s_delay_alu instid0(VALU_DEP_2) | instskip(NEXT) | instid1(VALU_DEP_1)
	v_fma_f64 v[29:30], v[1:2], v[29:30], s[98:99]
	v_fma_f64 v[29:30], v[1:2], v[29:30], s[100:101]
	s_delay_alu instid0(VALU_DEP_1) | instskip(SKIP_1) | instid1(VALU_DEP_1)
	v_fma_f64 v[29:30], v[1:2], v[29:30], s[40:41]
	v_mul_f64 v[1:2], v[1:2], v[1:2]
	v_fma_f64 v[1:2], v[1:2], v[29:30], v[25:26]
	v_mul_f64 v[25:26], v[33:34], v[33:34]
	s_delay_alu instid0(VALU_DEP_2) | instskip(NEXT) | instid1(VALU_DEP_2)
	v_add_f64 v[1:2], v[27:28], v[1:2]
	v_mul_f64 v[29:30], v[25:26], 0.5
	v_mul_f64 v[45:46], v[33:34], -v[25:26]
	s_delay_alu instid0(VALU_DEP_2) | instskip(NEXT) | instid1(VALU_DEP_1)
	v_add_f64 v[31:32], -v[29:30], 1.0
	v_add_f64 v[41:42], -v[31:32], 1.0
	s_delay_alu instid0(VALU_DEP_1) | instskip(SKIP_1) | instid1(VALU_DEP_2)
	v_add_f64 v[29:30], v[41:42], -v[29:30]
	v_fma_f64 v[41:42], v[25:26], s[26:27], s[102:103]
	v_fma_f64 v[29:30], v[33:34], -v[35:36], v[29:30]
	s_delay_alu instid0(VALU_DEP_2) | instskip(NEXT) | instid1(VALU_DEP_1)
	v_fma_f64 v[41:42], v[25:26], v[41:42], s[28:29]
	v_fma_f64 v[41:42], v[25:26], v[41:42], s[30:31]
	s_delay_alu instid0(VALU_DEP_1) | instskip(NEXT) | instid1(VALU_DEP_1)
	v_fma_f64 v[41:42], v[25:26], v[41:42], s[36:37]
	v_fma_f64 v[41:42], v[45:46], v[41:42], v[43:44]
	s_delay_alu instid0(VALU_DEP_1) | instskip(SKIP_1) | instid1(VALU_DEP_1)
	v_fma_f64 v[35:36], v[25:26], v[41:42], -v[35:36]
	v_fma_f64 v[41:42], v[25:26], s[94:95], s[92:93]
	v_fma_f64 v[41:42], v[25:26], v[41:42], s[96:97]
	s_delay_alu instid0(VALU_DEP_1) | instskip(NEXT) | instid1(VALU_DEP_1)
	v_fma_f64 v[41:42], v[25:26], v[41:42], s[98:99]
	v_fma_f64 v[41:42], v[25:26], v[41:42], s[100:101]
	s_delay_alu instid0(VALU_DEP_1) | instskip(SKIP_1) | instid1(VALU_DEP_1)
	v_fma_f64 v[41:42], v[25:26], v[41:42], s[40:41]
	v_mul_f64 v[25:26], v[25:26], v[25:26]
	v_fma_f64 v[25:26], v[25:26], v[41:42], v[29:30]
	v_fma_f64 v[29:30], v[45:46], s[38:39], v[35:36]
	s_delay_alu instid0(VALU_DEP_2) | instskip(NEXT) | instid1(VALU_DEP_2)
	v_add_f64 v[9:10], v[31:32], v[25:26]
	v_add_f64 v[29:30], v[33:34], -v[29:30]
	v_and_b32_e32 v25, 1, v38
	s_delay_alu instid0(VALU_DEP_1) | instskip(NEXT) | instid1(VALU_DEP_1)
	v_cmp_eq_u32_e64 s2, 0, v25
	v_cndmask_b32_e64 v1, v1, v3, s2
	v_and_b32_e32 v26, 1, v22
	v_cndmask_b32_e64 v2, v2, v4, s2
	s_delay_alu instid0(VALU_DEP_3) | instskip(NEXT) | instid1(VALU_DEP_3)
	v_cndmask_b32_e32 v1, 0, v1, vcc_lo
	v_cmp_eq_u32_e64 s3, 0, v26
	v_and_b32_e32 v26, 0x80000000, v47
	s_delay_alu instid0(VALU_DEP_1) | instskip(NEXT) | instid1(VALU_DEP_1)
	v_xor_b32_e32 v2, v2, v26
	v_cndmask_b32_e32 v2, 0x7ff80000, v2, vcc_lo
	v_xor_b32_e32 v25, 0x80000000, v30
	v_cndmask_b32_e64 v3, v29, v9, s3
	v_lshlrev_b32_e32 v22, 30, v22
	s_delay_alu instid0(VALU_DEP_3) | instskip(NEXT) | instid1(VALU_DEP_2)
	v_cndmask_b32_e64 v10, v25, v10, s3
	v_dual_cndmask_b32 v3, 0, v3 :: v_dual_and_b32 v4, 0x80000000, v22
	s_delay_alu instid0(VALU_DEP_1) | instskip(NEXT) | instid1(VALU_DEP_1)
	v_xor_b32_e32 v4, v10, v4
	v_cndmask_b32_e32 v4, 0x7ff80000, v4, vcc_lo
	s_delay_alu instid0(VALU_DEP_1)
	v_mul_f64 v[1:2], v[1:2], v[3:4]
.LBB94_4:                               ;   in Loop: Header=BB94_7 Depth=1
	s_or_b32 exec_lo, exec_lo, s57
	s_delay_alu instid0(VALU_DEP_1) | instskip(SKIP_2) | instid1(VALU_DEP_3)
	v_bfi_b32 v22, 0x7fffffff, 0, v2
	v_add_co_u32 v11, vcc_lo, v11, 0
	v_add_co_ci_u32_e32 v12, vcc_lo, -2.0, v12, vcc_lo
	v_dual_mov_b32 v9, v21 :: v_dual_mov_b32 v10, v22
.LBB94_5:                               ;   in Loop: Header=BB94_7 Depth=1
	s_or_b32 exec_lo, exec_lo, s47
.LBB94_6:                               ;   in Loop: Header=BB94_7 Depth=1
	s_delay_alu instid0(SALU_CYCLE_1) | instskip(SKIP_1) | instid1(VALU_DEP_1)
	s_or_b32 exec_lo, exec_lo, s46
	v_add_co_u32 v1, s2, vcc_hi, v37
	v_add_co_ci_u32_e64 v2, null, s42, 0, s2
	v_cmp_le_i64_e32 vcc_lo, s[8:9], v[23:24]
	v_cmp_lt_u64_e64 s2, 0xffff, v[23:24]
	v_xor_b32_e32 v8, 0x80000000, v8
	v_xor_b32_e32 v16, 0x80000000, v16
	;; [unrolled: 1-line block ×4, first 2 shown]
	s_or_b32 s2, vcc_lo, s2
	s_add_u32 s33, s33, s45
	v_add_co_u32 v23, vcc_lo, v23, s44
	s_addc_u32 s104, s104, 0
	s_add_u32 vcc_hi, vcc_hi, s45
	v_add_co_ci_u32_e32 v24, vcc_lo, 0, v24, vcc_lo
	s_addc_u32 s42, s42, 0
	s_and_b32 s2, exec_lo, s2
	s_clause 0x1
	global_store_b128 v[1:2], v[5:8], off
	global_store_b128 v[1:2], v[13:16], off offset:16
	s_or_b32 s43, s2, s43
	s_clause 0x1
	global_store_b128 v[1:2], v[17:20], off offset:32
	global_store_b128 v[1:2], v[9:12], off offset:48
	s_and_not1_b32 exec_lo, exec_lo, s43
	s_cbranch_execz .LBB94_156
.LBB94_7:                               ; =>This Inner Loop Header: Depth=1
	v_add_co_u32 v5, s2, s33, v37
	s_delay_alu instid0(VALU_DEP_1)
	v_add_co_ci_u32_e64 v6, null, s104, 0, s2
	s_mov_b32 s2, exec_lo
	s_clause 0x3
	global_load_b128 v[13:16], v[5:6], off
	global_load_b128 v[17:20], v[5:6], off offset:16
	global_load_b128 v[1:4], v[5:6], off offset:48
	;; [unrolled: 1-line block ×3, first 2 shown]
	s_waitcnt vmcnt(3)
	v_xor_b32_e32 v8, 0x80000000, v16
	s_delay_alu instid0(VALU_DEP_1) | instskip(NEXT) | instid1(VALU_DEP_1)
	v_dual_mov_b32 v7, v15 :: v_dual_and_b32 v22, 0x7fffffff, v8
	v_cmpx_gt_u32_e32 0x7ff00000, v22
	s_xor_b32 s3, exec_lo, s2
	s_cbranch_execz .LBB94_29
; %bb.8:                                ;   in Loop: Header=BB94_7 Depth=1
	v_cmp_class_f64_e64 s2, v[13:14], 0x1f8
                                        ; implicit-def: $vgpr5_vgpr6
	s_delay_alu instid0(VALU_DEP_1) | instskip(NEXT) | instid1(SALU_CYCLE_1)
	s_and_saveexec_b32 s10, s2
	s_xor_b32 s46, exec_lo, s10
	s_cbranch_execz .LBB94_26
; %bb.9:                                ;   in Loop: Header=BB94_7 Depth=1
                                        ; implicit-def: $vgpr5_vgpr6
	s_mov_b32 s2, exec_lo
	v_cmpx_gt_u32_e32 0x40360000, v22
	s_xor_b32 s38, exec_lo, s2
	s_cbranch_execz .LBB94_15
; %bb.10:                               ;   in Loop: Header=BB94_7 Depth=1
	v_cmp_ngt_f64_e64 s2, 0x41d00000, |v[13:14]|
                                        ; implicit-def: $vgpr22
                                        ; implicit-def: $vgpr5_vgpr6
                                        ; implicit-def: $vgpr7_vgpr8
	s_delay_alu instid0(VALU_DEP_1) | instskip(NEXT) | instid1(SALU_CYCLE_1)
	s_and_saveexec_b32 s10, s2
	s_xor_b32 s2, exec_lo, s10
	s_cbranch_execz .LBB94_12
; %bb.11:                               ;   in Loop: Header=BB94_7 Depth=1
	v_ldexp_f64 v[5:6], |v[13:14]|, 0xffffff80
	v_cmp_le_f64_e64 vcc_lo, 0x7b000000, |v[13:14]|
	v_trig_preop_f64 v[7:8], |v[13:14]|, 0
	v_and_b32_e32 v22, 0x7fffffff, v14
	v_trig_preop_f64 v[27:28], |v[13:14]|, 1
	v_trig_preop_f64 v[31:32], |v[13:14]|, 2
	s_mov_b32 s10, s12
	s_mov_b32 s17, s15
	v_dual_cndmask_b32 v5, v13, v5 :: v_dual_cndmask_b32 v6, v22, v6
	s_delay_alu instid0(VALU_DEP_1) | instskip(NEXT) | instid1(VALU_DEP_4)
	v_mul_f64 v[25:26], v[7:8], v[5:6]
	v_mul_f64 v[29:30], v[27:28], v[5:6]
	s_delay_alu instid0(VALU_DEP_4) | instskip(NEXT) | instid1(VALU_DEP_3)
	v_mul_f64 v[33:34], v[31:32], v[5:6]
	v_fma_f64 v[7:8], v[7:8], v[5:6], -v[25:26]
	s_delay_alu instid0(VALU_DEP_3) | instskip(NEXT) | instid1(VALU_DEP_3)
	v_fma_f64 v[27:28], v[27:28], v[5:6], -v[29:30]
	v_fma_f64 v[5:6], v[31:32], v[5:6], -v[33:34]
	s_delay_alu instid0(VALU_DEP_3) | instskip(NEXT) | instid1(VALU_DEP_1)
	v_add_f64 v[31:32], v[29:30], v[7:8]
	v_add_f64 v[35:36], v[31:32], -v[29:30]
	s_delay_alu instid0(VALU_DEP_1) | instskip(SKIP_1) | instid1(VALU_DEP_1)
	v_add_f64 v[7:8], v[7:8], -v[35:36]
	v_add_f64 v[35:36], v[31:32], -v[35:36]
	;; [unrolled: 1-line block ×3, first 2 shown]
	v_add_f64 v[35:36], v[25:26], v[31:32]
	s_delay_alu instid0(VALU_DEP_2) | instskip(NEXT) | instid1(VALU_DEP_2)
	v_add_f64 v[7:8], v[7:8], v[29:30]
	v_add_f64 v[25:26], v[35:36], -v[25:26]
	v_add_f64 v[29:30], v[33:34], v[27:28]
	v_ldexp_f64 v[35:36], v[35:36], -2
	s_delay_alu instid0(VALU_DEP_3) | instskip(NEXT) | instid1(VALU_DEP_3)
	v_add_f64 v[25:26], v[31:32], -v[25:26]
	v_add_f64 v[31:32], v[29:30], -v[33:34]
	s_delay_alu instid0(VALU_DEP_3) | instskip(SKIP_1) | instid1(VALU_DEP_3)
	v_cmp_neq_f64_e64 vcc_lo, 0x7ff00000, |v[35:36]|
	v_fract_f64_e32 v[35:36], v[35:36]
	v_add_f64 v[27:28], v[27:28], -v[31:32]
	v_add_f64 v[31:32], v[29:30], -v[31:32]
	s_delay_alu instid0(VALU_DEP_3) | instskip(NEXT) | instid1(VALU_DEP_2)
	v_dual_cndmask_b32 v35, 0, v35 :: v_dual_cndmask_b32 v36, 0, v36
	v_add_f64 v[31:32], v[33:34], -v[31:32]
	v_add_f64 v[33:34], v[29:30], v[7:8]
	s_delay_alu instid0(VALU_DEP_2) | instskip(NEXT) | instid1(VALU_DEP_2)
	v_add_f64 v[27:28], v[27:28], v[31:32]
	v_add_f64 v[38:39], v[33:34], -v[29:30]
	v_add_f64 v[31:32], v[25:26], v[33:34]
	s_delay_alu instid0(VALU_DEP_2) | instskip(SKIP_1) | instid1(VALU_DEP_3)
	v_add_f64 v[7:8], v[7:8], -v[38:39]
	v_add_f64 v[38:39], v[33:34], -v[38:39]
	;; [unrolled: 1-line block ×3, first 2 shown]
	s_delay_alu instid0(VALU_DEP_2) | instskip(NEXT) | instid1(VALU_DEP_2)
	v_add_f64 v[29:30], v[29:30], -v[38:39]
	v_add_f64 v[25:26], v[33:34], -v[25:26]
	s_delay_alu instid0(VALU_DEP_2) | instskip(SKIP_1) | instid1(VALU_DEP_2)
	v_add_f64 v[7:8], v[7:8], v[29:30]
	v_ldexp_f64 v[29:30], v[35:36], 2
	v_add_f64 v[7:8], v[27:28], v[7:8]
	s_delay_alu instid0(VALU_DEP_2) | instskip(NEXT) | instid1(VALU_DEP_2)
	v_add_f64 v[35:36], v[31:32], v[29:30]
	v_add_f64 v[5:6], v[5:6], v[7:8]
	s_delay_alu instid0(VALU_DEP_2) | instskip(NEXT) | instid1(VALU_DEP_2)
	v_cmp_gt_f64_e32 vcc_lo, 0, v[35:36]
	v_add_f64 v[5:6], v[25:26], v[5:6]
	v_cndmask_b32_e64 v22, 0, 0x40100000, vcc_lo
	s_delay_alu instid0(VALU_DEP_1) | instskip(NEXT) | instid1(VALU_DEP_1)
	v_add_f64 v[7:8], v[29:30], v[21:22]
	v_add_f64 v[27:28], v[31:32], v[7:8]
	s_delay_alu instid0(VALU_DEP_1) | instskip(NEXT) | instid1(VALU_DEP_1)
	v_cvt_i32_f64_e32 v29, v[27:28]
	v_cvt_f64_i32_e32 v[27:28], v29
	s_delay_alu instid0(VALU_DEP_1) | instskip(NEXT) | instid1(VALU_DEP_1)
	v_add_f64 v[7:8], v[7:8], -v[27:28]
	v_add_f64 v[25:26], v[31:32], v[7:8]
	s_delay_alu instid0(VALU_DEP_1) | instskip(SKIP_1) | instid1(VALU_DEP_2)
	v_add_f64 v[7:8], v[25:26], -v[7:8]
	v_cmp_le_f64_e32 vcc_lo, 0.5, v[25:26]
	v_add_f64 v[7:8], v[31:32], -v[7:8]
	v_cndmask_b32_e64 v22, 0, 0x3ff00000, vcc_lo
	s_delay_alu instid0(VALU_DEP_1) | instskip(SKIP_1) | instid1(VALU_DEP_4)
	v_add_f64 v[25:26], v[25:26], -v[21:22]
	v_add_co_ci_u32_e32 v22, vcc_lo, 0, v29, vcc_lo
	v_add_f64 v[5:6], v[5:6], v[7:8]
	s_delay_alu instid0(VALU_DEP_1) | instskip(NEXT) | instid1(VALU_DEP_1)
	v_add_f64 v[7:8], v[25:26], v[5:6]
	v_add_f64 v[25:26], v[7:8], -v[25:26]
	s_delay_alu instid0(VALU_DEP_1) | instskip(SKIP_1) | instid1(VALU_DEP_1)
	v_add_f64 v[5:6], v[5:6], -v[25:26]
	v_mul_f64 v[25:26], v[7:8], s[10:11]
	v_fma_f64 v[27:28], v[7:8], s[10:11], -v[25:26]
	s_delay_alu instid0(VALU_DEP_1) | instskip(NEXT) | instid1(VALU_DEP_1)
	v_fma_f64 v[7:8], v[7:8], s[16:17], v[27:28]
	v_fma_f64 v[7:8], v[5:6], s[10:11], v[7:8]
	s_delay_alu instid0(VALU_DEP_1) | instskip(NEXT) | instid1(VALU_DEP_1)
	v_add_f64 v[5:6], v[25:26], v[7:8]
	v_add_f64 v[25:26], v[5:6], -v[25:26]
	s_delay_alu instid0(VALU_DEP_1)
	v_add_f64 v[7:8], v[7:8], -v[25:26]
.LBB94_12:                              ;   in Loop: Header=BB94_7 Depth=1
	s_and_not1_saveexec_b32 s2, s2
	s_cbranch_execz .LBB94_14
; %bb.13:                               ;   in Loop: Header=BB94_7 Depth=1
	v_mul_f64 v[5:6], |v[13:14]|, s[18:19]
	s_mov_b32 s14, s22
	s_delay_alu instid0(VALU_DEP_1) | instskip(NEXT) | instid1(VALU_DEP_1)
	v_rndne_f64_e32 v[25:26], v[5:6]
	v_fma_f64 v[5:6], v[25:26], s[12:13], |v[13:14]|
	v_mul_f64 v[7:8], v[25:26], s[22:23]
	v_cvt_i32_f64_e32 v22, v[25:26]
	s_delay_alu instid0(VALU_DEP_3) | instskip(NEXT) | instid1(VALU_DEP_3)
	v_fma_f64 v[29:30], v[25:26], s[22:23], v[5:6]
	v_add_f64 v[27:28], v[5:6], v[7:8]
	s_delay_alu instid0(VALU_DEP_1) | instskip(NEXT) | instid1(VALU_DEP_3)
	v_add_f64 v[5:6], v[5:6], -v[27:28]
	v_add_f64 v[27:28], v[27:28], -v[29:30]
	s_delay_alu instid0(VALU_DEP_2) | instskip(SKIP_1) | instid1(VALU_DEP_2)
	v_add_f64 v[5:6], v[5:6], v[7:8]
	v_fma_f64 v[7:8], v[25:26], s[14:15], v[7:8]
	v_add_f64 v[5:6], v[27:28], v[5:6]
	s_delay_alu instid0(VALU_DEP_1) | instskip(NEXT) | instid1(VALU_DEP_1)
	v_add_f64 v[5:6], v[5:6], -v[7:8]
	v_fma_f64 v[7:8], v[25:26], s[24:25], v[5:6]
	s_delay_alu instid0(VALU_DEP_1) | instskip(NEXT) | instid1(VALU_DEP_1)
	v_add_f64 v[5:6], v[29:30], v[7:8]
	v_add_f64 v[27:28], v[5:6], -v[29:30]
	s_delay_alu instid0(VALU_DEP_1)
	v_add_f64 v[7:8], v[7:8], -v[27:28]
.LBB94_14:                              ;   in Loop: Header=BB94_7 Depth=1
	s_or_b32 exec_lo, exec_lo, s2
	v_add_f64 v[25:26], |v[15:16]|, s[34:35]
	s_mov_b32 s58, s34
	s_mov_b32 s62, s64
	;; [unrolled: 1-line block ×5, first 2 shown]
	v_cmp_nge_f64_e64 vcc_lo, |v[15:16]|, s[90:91]
	v_cmp_gt_f64_e64 s2, 0x3e400000, |v[15:16]|
	s_mov_b32 s48, 0xa9a29f71
	s_mov_b32 s50, 0xc751c08c
	;; [unrolled: 1-line block ×4, first 2 shown]
	s_delay_alu instid0(VALU_DEP_3) | instskip(NEXT) | instid1(VALU_DEP_1)
	v_add_f64 v[27:28], v[25:26], -|v[15:16]|
	v_add_f64 v[29:30], v[27:28], -v[25:26]
	v_add_f64 v[27:28], v[27:28], s[58:59]
	s_delay_alu instid0(VALU_DEP_2) | instskip(NEXT) | instid1(VALU_DEP_1)
	v_add_f64 v[29:30], |v[15:16]|, v[29:30]
	v_add_f64 v[27:28], v[29:30], -v[27:28]
	s_delay_alu instid0(VALU_DEP_1) | instskip(NEXT) | instid1(VALU_DEP_1)
	v_add_f64 v[27:28], v[27:28], s[60:61]
	v_add_f64 v[29:30], v[25:26], v[27:28]
	s_delay_alu instid0(VALU_DEP_1) | instskip(NEXT) | instid1(VALU_DEP_1)
	v_add_f64 v[25:26], v[25:26], -v[29:30]
	v_add_f64 v[25:26], v[27:28], v[25:26]
	v_mul_f64 v[27:28], v[29:30], s[62:63]
	s_delay_alu instid0(VALU_DEP_1) | instskip(NEXT) | instid1(VALU_DEP_1)
	v_rndne_f64_e32 v[27:28], v[27:28]
	v_fma_f64 v[29:30], v[27:28], s[56:57], v[29:30]
	v_cvt_i32_f64_e32 v13, v[27:28]
	s_delay_alu instid0(VALU_DEP_2) | instskip(NEXT) | instid1(VALU_DEP_1)
	v_add_f64 v[31:32], v[25:26], v[29:30]
	v_add_f64 v[29:30], v[29:30], -v[31:32]
	s_delay_alu instid0(VALU_DEP_1) | instskip(SKIP_1) | instid1(VALU_DEP_1)
	v_add_f64 v[25:26], v[25:26], v[29:30]
	v_mul_f64 v[29:30], v[27:28], s[66:67]
	v_add_f64 v[33:34], v[31:32], v[29:30]
	s_delay_alu instid0(VALU_DEP_1) | instskip(NEXT) | instid1(VALU_DEP_1)
	v_add_f64 v[31:32], v[31:32], -v[33:34]
	v_add_f64 v[29:30], v[31:32], v[29:30]
	s_delay_alu instid0(VALU_DEP_1) | instskip(NEXT) | instid1(VALU_DEP_1)
	v_add_f64 v[25:26], v[25:26], v[29:30]
	v_add_f64 v[29:30], v[33:34], v[25:26]
	s_delay_alu instid0(VALU_DEP_1) | instskip(NEXT) | instid1(VALU_DEP_1)
	v_add_f64 v[31:32], v[33:34], -v[29:30]
	v_add_f64 v[25:26], v[25:26], v[31:32]
	v_mul_f64 v[31:32], v[27:28], s[68:69]
	s_delay_alu instid0(VALU_DEP_1) | instskip(NEXT) | instid1(VALU_DEP_1)
	v_add_f64 v[33:34], v[29:30], v[31:32]
	v_add_f64 v[29:30], v[29:30], -v[33:34]
	s_delay_alu instid0(VALU_DEP_1) | instskip(NEXT) | instid1(VALU_DEP_1)
	v_add_f64 v[29:30], v[29:30], v[31:32]
	v_add_f64 v[25:26], v[25:26], v[29:30]
	s_delay_alu instid0(VALU_DEP_1) | instskip(NEXT) | instid1(VALU_DEP_1)
	v_add_f64 v[29:30], v[33:34], v[25:26]
	v_add_f64 v[31:32], v[33:34], -v[29:30]
	s_delay_alu instid0(VALU_DEP_1) | instskip(SKIP_1) | instid1(VALU_DEP_2)
	v_add_f64 v[25:26], v[25:26], v[31:32]
	v_mul_f64 v[31:32], v[29:30], v[29:30]
	v_add_f64 v[35:36], v[25:26], v[25:26]
	s_delay_alu instid0(VALU_DEP_2) | instskip(NEXT) | instid1(VALU_DEP_1)
	v_fma_f64 v[33:34], v[29:30], v[29:30], -v[31:32]
	v_fma_f64 v[33:34], v[29:30], v[35:36], v[33:34]
	s_delay_alu instid0(VALU_DEP_1) | instskip(NEXT) | instid1(VALU_DEP_1)
	v_add_f64 v[35:36], v[31:32], v[33:34]
	v_add_f64 v[31:32], v[35:36], -v[31:32]
	s_delay_alu instid0(VALU_DEP_1) | instskip(SKIP_1) | instid1(VALU_DEP_1)
	v_add_f64 v[31:32], v[33:34], -v[31:32]
	v_fma_f64 v[33:34], v[29:30], s[72:73], s[70:71]
	v_fma_f64 v[33:34], v[29:30], v[33:34], s[74:75]
	s_delay_alu instid0(VALU_DEP_1) | instskip(NEXT) | instid1(VALU_DEP_1)
	v_fma_f64 v[33:34], v[29:30], v[33:34], s[76:77]
	v_fma_f64 v[33:34], v[29:30], v[33:34], s[78:79]
	s_delay_alu instid0(VALU_DEP_1) | instskip(NEXT) | instid1(VALU_DEP_1)
	;; [unrolled: 3-line block ×4, first 2 shown]
	v_fma_f64 v[33:34], v[29:30], v[33:34], s[88:89]
	v_mul_f64 v[38:39], v[35:36], v[33:34]
	s_delay_alu instid0(VALU_DEP_1) | instskip(NEXT) | instid1(VALU_DEP_1)
	v_fma_f64 v[35:36], v[35:36], v[33:34], -v[38:39]
	v_fma_f64 v[31:32], v[31:32], v[33:34], v[35:36]
	s_delay_alu instid0(VALU_DEP_1) | instskip(NEXT) | instid1(VALU_DEP_1)
	v_add_f64 v[33:34], v[38:39], v[31:32]
	v_add_f64 v[35:36], v[33:34], -v[38:39]
	s_delay_alu instid0(VALU_DEP_1) | instskip(SKIP_1) | instid1(VALU_DEP_2)
	v_add_f64 v[31:32], v[31:32], -v[35:36]
	v_add_f64 v[35:36], v[29:30], v[33:34]
	v_add_f64 v[25:26], v[25:26], v[31:32]
	s_delay_alu instid0(VALU_DEP_2) | instskip(NEXT) | instid1(VALU_DEP_1)
	v_add_f64 v[29:30], v[35:36], -v[29:30]
	v_add_f64 v[29:30], v[33:34], -v[29:30]
	s_delay_alu instid0(VALU_DEP_1) | instskip(NEXT) | instid1(VALU_DEP_1)
	v_add_f64 v[25:26], v[25:26], v[29:30]
	v_add_f64 v[29:30], v[35:36], v[25:26]
	s_delay_alu instid0(VALU_DEP_1) | instskip(NEXT) | instid1(VALU_DEP_1)
	v_add_f64 v[31:32], v[29:30], -v[35:36]
	v_add_f64 v[25:26], v[25:26], -v[31:32]
	v_add_f64 v[31:32], v[29:30], 1.0
	s_delay_alu instid0(VALU_DEP_1) | instskip(NEXT) | instid1(VALU_DEP_1)
	v_add_f64 v[33:34], v[31:32], -1.0
	v_add_f64 v[29:30], v[29:30], -v[33:34]
	s_delay_alu instid0(VALU_DEP_1) | instskip(NEXT) | instid1(VALU_DEP_1)
	v_add_f64 v[25:26], v[25:26], v[29:30]
	v_add_f64 v[27:28], v[31:32], v[25:26]
	s_delay_alu instid0(VALU_DEP_1) | instskip(SKIP_1) | instid1(VALU_DEP_2)
	v_add_f64 v[29:30], v[27:28], -v[31:32]
	v_ldexp_f64 v[27:28], v[27:28], v13
	v_add_f64 v[25:26], v[25:26], -v[29:30]
	s_delay_alu instid0(VALU_DEP_2) | instskip(NEXT) | instid1(VALU_DEP_1)
	v_rcp_f64_e32 v[31:32], v[27:28]
	v_ldexp_f64 v[25:26], v[25:26], v13
	v_and_b32_e32 v13, 0x7fffffff, v16
	v_xor_b32_e32 v16, 0x80000000, v16
	s_waitcnt_depctr 0xfff
	v_fma_f64 v[33:34], -v[27:28], v[31:32], 1.0
	s_delay_alu instid0(VALU_DEP_1) | instskip(NEXT) | instid1(VALU_DEP_1)
	v_fma_f64 v[31:32], v[33:34], v[31:32], v[31:32]
	v_fma_f64 v[29:30], -v[27:28], v[31:32], 1.0
	s_delay_alu instid0(VALU_DEP_1) | instskip(NEXT) | instid1(VALU_DEP_1)
	v_fma_f64 v[29:30], v[29:30], v[31:32], v[31:32]
	v_mul_f64 v[31:32], v[27:28], v[29:30]
	s_delay_alu instid0(VALU_DEP_1) | instskip(NEXT) | instid1(VALU_DEP_1)
	v_fma_f64 v[33:34], v[29:30], v[27:28], -v[31:32]
	v_fma_f64 v[33:34], v[29:30], v[25:26], v[33:34]
	s_delay_alu instid0(VALU_DEP_1) | instskip(NEXT) | instid1(VALU_DEP_1)
	v_add_f64 v[35:36], v[31:32], v[33:34]
	v_add_f64 v[31:32], v[35:36], -v[31:32]
	s_delay_alu instid0(VALU_DEP_1) | instskip(SKIP_1) | instid1(VALU_DEP_1)
	v_add_f64 v[31:32], v[31:32], -v[33:34]
	v_add_f64 v[33:34], -v[35:36], 1.0
	v_add_f64 v[38:39], -v[33:34], 1.0
	s_delay_alu instid0(VALU_DEP_1) | instskip(NEXT) | instid1(VALU_DEP_1)
	v_add_f64 v[35:36], v[38:39], -v[35:36]
	v_add_f64 v[31:32], v[31:32], v[35:36]
	s_delay_alu instid0(VALU_DEP_1) | instskip(NEXT) | instid1(VALU_DEP_1)
	v_add_f64 v[35:36], v[33:34], v[31:32]
	v_add_f64 v[33:34], v[33:34], -v[35:36]
	s_delay_alu instid0(VALU_DEP_1) | instskip(SKIP_1) | instid1(VALU_DEP_1)
	v_add_f64 v[31:32], v[31:32], v[33:34]
	v_mul_f64 v[33:34], v[29:30], v[35:36]
	v_mul_f64 v[38:39], v[27:28], v[33:34]
	s_delay_alu instid0(VALU_DEP_1) | instskip(NEXT) | instid1(VALU_DEP_1)
	v_fma_f64 v[40:41], v[33:34], v[27:28], -v[38:39]
	v_fma_f64 v[40:41], v[33:34], v[25:26], v[40:41]
	s_delay_alu instid0(VALU_DEP_1) | instskip(NEXT) | instid1(VALU_DEP_1)
	v_add_f64 v[42:43], v[38:39], v[40:41]
	v_add_f64 v[44:45], v[35:36], -v[42:43]
	v_add_f64 v[38:39], v[42:43], -v[38:39]
	s_delay_alu instid0(VALU_DEP_2) | instskip(NEXT) | instid1(VALU_DEP_2)
	v_add_f64 v[35:36], v[35:36], -v[44:45]
	v_add_f64 v[38:39], v[38:39], -v[40:41]
	s_delay_alu instid0(VALU_DEP_2) | instskip(NEXT) | instid1(VALU_DEP_1)
	v_add_f64 v[35:36], v[35:36], -v[42:43]
	v_add_f64 v[31:32], v[31:32], v[35:36]
	v_add_f64 v[35:36], v[29:30], v[33:34]
	s_delay_alu instid0(VALU_DEP_2) | instskip(NEXT) | instid1(VALU_DEP_2)
	v_add_f64 v[31:32], v[38:39], v[31:32]
	v_add_f64 v[38:39], v[35:36], -v[29:30]
	s_delay_alu instid0(VALU_DEP_2) | instskip(NEXT) | instid1(VALU_DEP_2)
	v_add_f64 v[31:32], v[44:45], v[31:32]
	v_add_f64 v[33:34], v[33:34], -v[38:39]
	s_delay_alu instid0(VALU_DEP_2) | instskip(NEXT) | instid1(VALU_DEP_1)
	v_mul_f64 v[29:30], v[29:30], v[31:32]
	v_add_f64 v[29:30], v[33:34], v[29:30]
	s_delay_alu instid0(VALU_DEP_1) | instskip(NEXT) | instid1(VALU_DEP_1)
	v_add_f64 v[31:32], v[35:36], v[29:30]
	v_add_f64 v[33:34], v[31:32], -v[35:36]
	v_ldexp_f64 v[31:32], v[31:32], -2
	s_delay_alu instid0(VALU_DEP_2) | instskip(NEXT) | instid1(VALU_DEP_2)
	v_add_f64 v[29:30], v[29:30], -v[33:34]
	v_add_f64 v[35:36], v[27:28], -v[31:32]
	s_delay_alu instid0(VALU_DEP_1) | instskip(NEXT) | instid1(VALU_DEP_1)
	v_add_f64 v[27:28], v[27:28], -v[35:36]
	v_add_f64 v[27:28], v[27:28], -v[31:32]
	s_delay_alu instid0(VALU_DEP_1) | instskip(SKIP_1) | instid1(VALU_DEP_1)
	v_add_f64 v[25:26], v[25:26], v[27:28]
	v_ldexp_f64 v[27:28], v[29:30], -2
	v_add_f64 v[25:26], v[25:26], -v[27:28]
	s_delay_alu instid0(VALU_DEP_1) | instskip(SKIP_1) | instid1(VALU_DEP_2)
	v_add_f64 v[25:26], v[35:36], v[25:26]
	v_and_b32_e32 v35, 0x80000000, v14
	v_cndmask_b32_e32 v26, 0x7ff00000, v26, vcc_lo
	s_delay_alu instid0(VALU_DEP_3) | instskip(NEXT) | instid1(VALU_DEP_2)
	v_cndmask_b32_e32 v25, 0, v25, vcc_lo
	v_cndmask_b32_e64 v13, v26, v13, s2
	s_delay_alu instid0(VALU_DEP_2) | instskip(NEXT) | instid1(VALU_DEP_2)
	v_cndmask_b32_e64 v15, v25, v15, s2
	v_bfi_b32 v16, 0x7fffffff, v13, v16
	s_delay_alu instid0(VALU_DEP_1) | instskip(NEXT) | instid1(VALU_DEP_1)
	v_fma_f64 v[25:26], v[15:16], v[15:16], 1.0
	v_cmp_gt_f64_e32 vcc_lo, 0x10000000, v[25:26]
	v_cndmask_b32_e64 v13, 0, 1, vcc_lo
	s_delay_alu instid0(VALU_DEP_1) | instskip(NEXT) | instid1(VALU_DEP_1)
	v_lshlrev_b32_e32 v13, 8, v13
	v_ldexp_f64 v[25:26], v[25:26], v13
	v_mul_f64 v[13:14], v[5:6], v[5:6]
	s_delay_alu instid0(VALU_DEP_2) | instskip(SKIP_3) | instid1(VALU_DEP_1)
	v_rsq_f64_e32 v[27:28], v[25:26]
	s_waitcnt_depctr 0xfff
	v_mul_f64 v[29:30], v[25:26], v[27:28]
	v_mul_f64 v[27:28], v[27:28], 0.5
	v_fma_f64 v[31:32], -v[27:28], v[29:30], 0.5
	s_delay_alu instid0(VALU_DEP_1) | instskip(SKIP_1) | instid1(VALU_DEP_2)
	v_fma_f64 v[29:30], v[29:30], v[31:32], v[29:30]
	v_fma_f64 v[27:28], v[27:28], v[31:32], v[27:28]
	v_fma_f64 v[31:32], -v[29:30], v[29:30], v[25:26]
	s_delay_alu instid0(VALU_DEP_1) | instskip(NEXT) | instid1(VALU_DEP_1)
	v_fma_f64 v[29:30], v[31:32], v[27:28], v[29:30]
	v_fma_f64 v[31:32], -v[29:30], v[29:30], v[25:26]
	s_delay_alu instid0(VALU_DEP_1) | instskip(SKIP_2) | instid1(VALU_DEP_1)
	v_fma_f64 v[27:28], v[31:32], v[27:28], v[29:30]
	v_add_f64 v[29:30], v[7:8], v[7:8]
	v_fma_f64 v[31:32], v[5:6], v[5:6], -v[13:14]
	v_fma_f64 v[29:30], v[5:6], v[29:30], v[31:32]
	s_delay_alu instid0(VALU_DEP_1) | instskip(NEXT) | instid1(VALU_DEP_1)
	v_add_f64 v[13:14], v[13:14], v[29:30]
	v_fma_f64 v[29:30], v[13:14], s[50:51], s[48:49]
	s_mov_b32 s48, 0x90a8aae0
	s_mov_b32 s49, 0x3f17746f
	s_delay_alu instid0(VALU_DEP_1) | instid1(SALU_CYCLE_1)
	v_fma_f64 v[29:30], v[13:14], v[29:30], s[48:49]
	s_mov_b32 s48, 0xa6fbf144
	s_mov_b32 s49, 0xbefbb44d
	s_delay_alu instid0(VALU_DEP_1) | instid1(SALU_CYCLE_1)
	;; [unrolled: 4-line block ×10, first 2 shown]
	v_fma_f64 v[29:30], v[13:14], v[29:30], s[48:49]
	s_delay_alu instid0(VALU_DEP_1) | instskip(NEXT) | instid1(VALU_DEP_1)
	v_fma_f64 v[29:30], v[13:14], v[29:30], s[52:53]
	v_fma_f64 v[29:30], v[13:14], v[29:30], s[54:55]
	s_delay_alu instid0(VALU_DEP_1) | instskip(NEXT) | instid1(VALU_DEP_1)
	v_mul_f64 v[13:14], v[13:14], v[29:30]
	v_mul_f64 v[29:30], v[5:6], v[13:14]
	s_delay_alu instid0(VALU_DEP_1) | instskip(NEXT) | instid1(VALU_DEP_1)
	v_fma_f64 v[13:14], v[5:6], v[13:14], -v[29:30]
	v_add_f64 v[7:8], v[7:8], v[13:14]
	v_add_f64 v[13:14], v[5:6], v[29:30]
	s_delay_alu instid0(VALU_DEP_1) | instskip(NEXT) | instid1(VALU_DEP_1)
	v_add_f64 v[5:6], v[13:14], -v[5:6]
	v_add_f64 v[5:6], v[29:30], -v[5:6]
	s_delay_alu instid0(VALU_DEP_1) | instskip(NEXT) | instid1(VALU_DEP_1)
	v_add_f64 v[5:6], v[7:8], v[5:6]
	v_add_f64 v[7:8], v[13:14], v[5:6]
	s_delay_alu instid0(VALU_DEP_1) | instskip(SKIP_1) | instid1(VALU_DEP_1)
	v_rcp_f64_e32 v[29:30], v[7:8]
	v_add_f64 v[13:14], v[7:8], -v[13:14]
	v_add_f64 v[5:6], v[5:6], -v[13:14]
	s_waitcnt_depctr 0xfff
	v_fma_f64 v[31:32], -v[7:8], v[29:30], 1.0
	s_delay_alu instid0(VALU_DEP_1) | instskip(NEXT) | instid1(VALU_DEP_1)
	v_fma_f64 v[29:30], v[31:32], v[29:30], v[29:30]
	v_fma_f64 v[31:32], -v[7:8], v[29:30], 1.0
	s_delay_alu instid0(VALU_DEP_1) | instskip(NEXT) | instid1(VALU_DEP_1)
	v_fma_f64 v[29:30], v[31:32], v[29:30], v[29:30]
	v_mul_f64 v[13:14], v[7:8], v[29:30]
	s_delay_alu instid0(VALU_DEP_1) | instskip(NEXT) | instid1(VALU_DEP_1)
	v_fma_f64 v[31:32], v[29:30], v[7:8], -v[13:14]
	v_fma_f64 v[5:6], v[29:30], v[5:6], v[31:32]
	s_delay_alu instid0(VALU_DEP_1) | instskip(NEXT) | instid1(VALU_DEP_1)
	v_add_f64 v[31:32], v[13:14], v[5:6]
	v_add_f64 v[13:14], v[31:32], -v[13:14]
	s_delay_alu instid0(VALU_DEP_1) | instskip(SKIP_1) | instid1(VALU_DEP_1)
	v_add_f64 v[5:6], v[13:14], -v[5:6]
	v_add_f64 v[13:14], -v[31:32], 1.0
	v_add_f64 v[33:34], -v[13:14], 1.0
	s_delay_alu instid0(VALU_DEP_1) | instskip(NEXT) | instid1(VALU_DEP_1)
	v_add_f64 v[31:32], v[33:34], -v[31:32]
	v_add_f64 v[5:6], v[5:6], v[31:32]
	s_delay_alu instid0(VALU_DEP_1) | instskip(SKIP_1) | instid1(VALU_DEP_1)
	v_add_f64 v[5:6], v[13:14], v[5:6]
	v_and_b32_e32 v13, 1, v22
	v_cmp_eq_u32_e64 s2, 0, v13
	s_delay_alu instid0(VALU_DEP_3) | instskip(NEXT) | instid1(VALU_DEP_1)
	v_mul_f64 v[5:6], v[29:30], v[5:6]
	v_add_f64 v[5:6], v[29:30], v[5:6]
	s_delay_alu instid0(VALU_DEP_1) | instskip(NEXT) | instid1(VALU_DEP_2)
	v_xor_b32_e32 v6, 0x80000000, v6
	v_cndmask_b32_e64 v5, v5, v7, s2
	s_delay_alu instid0(VALU_DEP_2) | instskip(SKIP_2) | instid1(VALU_DEP_3)
	v_cndmask_b32_e64 v6, v6, v8, s2
	v_cndmask_b32_e64 v8, 0, 0xffffff80, vcc_lo
	v_cmp_class_f64_e64 vcc_lo, v[25:26], 0x260
	v_xor_b32_e32 v6, v6, v35
	s_delay_alu instid0(VALU_DEP_3) | instskip(NEXT) | instid1(VALU_DEP_2)
	v_ldexp_f64 v[7:8], v[27:28], v8
	v_fma_f64 v[13:14], v[5:6], v[5:6], 1.0
	s_delay_alu instid0(VALU_DEP_2) | instskip(NEXT) | instid1(VALU_DEP_2)
	v_dual_cndmask_b32 v8, v8, v26 :: v_dual_cndmask_b32 v7, v7, v25
	v_mul_f64 v[25:26], v[15:16], v[13:14]
	s_delay_alu instid0(VALU_DEP_2) | instskip(NEXT) | instid1(VALU_DEP_2)
	v_mul_f64 v[7:8], v[7:8], v[13:14]
	v_fma_f64 v[13:14], v[15:16], v[25:26], 1.0
	s_delay_alu instid0(VALU_DEP_2) | instskip(NEXT) | instid1(VALU_DEP_1)
	v_mul_f64 v[7:8], v[15:16], v[7:8]
	v_div_scale_f64 v[15:16], null, v[13:14], v[13:14], v[7:8]
	s_delay_alu instid0(VALU_DEP_1) | instskip(SKIP_2) | instid1(VALU_DEP_1)
	v_rcp_f64_e32 v[25:26], v[15:16]
	s_waitcnt_depctr 0xfff
	v_fma_f64 v[27:28], -v[15:16], v[25:26], 1.0
	v_fma_f64 v[25:26], v[25:26], v[27:28], v[25:26]
	s_delay_alu instid0(VALU_DEP_1) | instskip(NEXT) | instid1(VALU_DEP_1)
	v_fma_f64 v[27:28], -v[15:16], v[25:26], 1.0
	v_fma_f64 v[25:26], v[25:26], v[27:28], v[25:26]
	v_div_scale_f64 v[27:28], vcc_lo, v[7:8], v[13:14], v[7:8]
	s_delay_alu instid0(VALU_DEP_1) | instskip(NEXT) | instid1(VALU_DEP_1)
	v_mul_f64 v[29:30], v[27:28], v[25:26]
	v_fma_f64 v[15:16], -v[15:16], v[29:30], v[27:28]
	s_delay_alu instid0(VALU_DEP_1) | instskip(SKIP_1) | instid1(VALU_DEP_2)
	v_div_fmas_f64 v[15:16], v[15:16], v[25:26], v[29:30]
	v_div_scale_f64 v[25:26], null, v[13:14], v[13:14], v[5:6]
	v_div_fixup_f64 v[7:8], v[15:16], v[13:14], v[7:8]
	s_delay_alu instid0(VALU_DEP_2) | instskip(SKIP_2) | instid1(VALU_DEP_1)
	v_rcp_f64_e32 v[27:28], v[25:26]
	s_waitcnt_depctr 0xfff
	v_fma_f64 v[29:30], -v[25:26], v[27:28], 1.0
	v_fma_f64 v[27:28], v[27:28], v[29:30], v[27:28]
	s_delay_alu instid0(VALU_DEP_1) | instskip(NEXT) | instid1(VALU_DEP_1)
	v_fma_f64 v[29:30], -v[25:26], v[27:28], 1.0
	v_fma_f64 v[27:28], v[27:28], v[29:30], v[27:28]
	v_div_scale_f64 v[29:30], vcc_lo, v[5:6], v[13:14], v[5:6]
	s_delay_alu instid0(VALU_DEP_1) | instskip(NEXT) | instid1(VALU_DEP_1)
	v_mul_f64 v[31:32], v[29:30], v[27:28]
	v_fma_f64 v[25:26], -v[25:26], v[31:32], v[29:30]
	s_delay_alu instid0(VALU_DEP_1) | instskip(NEXT) | instid1(VALU_DEP_1)
	v_div_fmas_f64 v[25:26], v[25:26], v[27:28], v[31:32]
	v_div_fixup_f64 v[5:6], v[25:26], v[13:14], v[5:6]
                                        ; implicit-def: $vgpr13_vgpr14
.LBB94_15:                              ;   in Loop: Header=BB94_7 Depth=1
	s_and_not1_saveexec_b32 s2, s38
	s_cbranch_execz .LBB94_18
; %bb.16:                               ;   in Loop: Header=BB94_7 Depth=1
	v_cmp_ngt_f64_e64 s38, 0x41d00000, |v[13:14]|
                                        ; implicit-def: $vgpr29
                                        ; implicit-def: $vgpr5_vgpr6
                                        ; implicit-def: $vgpr7_vgpr8
	s_delay_alu instid0(VALU_DEP_1) | instskip(NEXT) | instid1(SALU_CYCLE_1)
	s_and_saveexec_b32 s10, s38
	s_xor_b32 s14, exec_lo, s10
	s_cbranch_execz .LBB94_19
; %bb.17:                               ;   in Loop: Header=BB94_7 Depth=1
	v_ldexp_f64 v[5:6], |v[13:14]|, 0xffffff80
	v_cmp_le_f64_e64 vcc_lo, 0x7b000000, |v[13:14]|
	v_trig_preop_f64 v[7:8], |v[13:14]|, 0
	v_and_b32_e32 v22, 0x7fffffff, v14
	v_trig_preop_f64 v[27:28], |v[13:14]|, 1
	v_trig_preop_f64 v[31:32], |v[13:14]|, 2
	s_mov_b32 s10, s12
	s_mov_b32 s17, s15
	v_dual_cndmask_b32 v5, v13, v5 :: v_dual_cndmask_b32 v6, v22, v6
	s_delay_alu instid0(VALU_DEP_1) | instskip(NEXT) | instid1(VALU_DEP_4)
	v_mul_f64 v[25:26], v[7:8], v[5:6]
	v_mul_f64 v[29:30], v[27:28], v[5:6]
	s_delay_alu instid0(VALU_DEP_4) | instskip(NEXT) | instid1(VALU_DEP_3)
	v_mul_f64 v[33:34], v[31:32], v[5:6]
	v_fma_f64 v[7:8], v[7:8], v[5:6], -v[25:26]
	s_delay_alu instid0(VALU_DEP_3) | instskip(NEXT) | instid1(VALU_DEP_3)
	v_fma_f64 v[27:28], v[27:28], v[5:6], -v[29:30]
	v_fma_f64 v[5:6], v[31:32], v[5:6], -v[33:34]
	s_delay_alu instid0(VALU_DEP_3) | instskip(NEXT) | instid1(VALU_DEP_1)
	v_add_f64 v[31:32], v[29:30], v[7:8]
	v_add_f64 v[35:36], v[31:32], -v[29:30]
	s_delay_alu instid0(VALU_DEP_1) | instskip(SKIP_1) | instid1(VALU_DEP_1)
	v_add_f64 v[7:8], v[7:8], -v[35:36]
	v_add_f64 v[35:36], v[31:32], -v[35:36]
	;; [unrolled: 1-line block ×3, first 2 shown]
	v_add_f64 v[35:36], v[25:26], v[31:32]
	s_delay_alu instid0(VALU_DEP_2) | instskip(NEXT) | instid1(VALU_DEP_2)
	v_add_f64 v[7:8], v[7:8], v[29:30]
	v_add_f64 v[25:26], v[35:36], -v[25:26]
	v_add_f64 v[29:30], v[33:34], v[27:28]
	v_ldexp_f64 v[35:36], v[35:36], -2
	s_delay_alu instid0(VALU_DEP_3) | instskip(NEXT) | instid1(VALU_DEP_3)
	v_add_f64 v[25:26], v[31:32], -v[25:26]
	v_add_f64 v[31:32], v[29:30], -v[33:34]
	s_delay_alu instid0(VALU_DEP_3) | instskip(SKIP_1) | instid1(VALU_DEP_3)
	v_cmp_neq_f64_e64 vcc_lo, 0x7ff00000, |v[35:36]|
	v_fract_f64_e32 v[35:36], v[35:36]
	v_add_f64 v[27:28], v[27:28], -v[31:32]
	v_add_f64 v[31:32], v[29:30], -v[31:32]
	s_delay_alu instid0(VALU_DEP_3) | instskip(NEXT) | instid1(VALU_DEP_2)
	v_dual_cndmask_b32 v35, 0, v35 :: v_dual_cndmask_b32 v36, 0, v36
	v_add_f64 v[31:32], v[33:34], -v[31:32]
	v_add_f64 v[33:34], v[29:30], v[7:8]
	s_delay_alu instid0(VALU_DEP_2) | instskip(NEXT) | instid1(VALU_DEP_2)
	v_add_f64 v[27:28], v[27:28], v[31:32]
	v_add_f64 v[38:39], v[33:34], -v[29:30]
	v_add_f64 v[31:32], v[25:26], v[33:34]
	s_delay_alu instid0(VALU_DEP_2) | instskip(SKIP_1) | instid1(VALU_DEP_3)
	v_add_f64 v[7:8], v[7:8], -v[38:39]
	v_add_f64 v[38:39], v[33:34], -v[38:39]
	;; [unrolled: 1-line block ×3, first 2 shown]
	s_delay_alu instid0(VALU_DEP_2) | instskip(NEXT) | instid1(VALU_DEP_2)
	v_add_f64 v[29:30], v[29:30], -v[38:39]
	v_add_f64 v[25:26], v[33:34], -v[25:26]
	s_delay_alu instid0(VALU_DEP_2) | instskip(SKIP_1) | instid1(VALU_DEP_2)
	v_add_f64 v[7:8], v[7:8], v[29:30]
	v_ldexp_f64 v[29:30], v[35:36], 2
	v_add_f64 v[7:8], v[27:28], v[7:8]
	s_delay_alu instid0(VALU_DEP_2) | instskip(NEXT) | instid1(VALU_DEP_2)
	v_add_f64 v[35:36], v[31:32], v[29:30]
	v_add_f64 v[5:6], v[5:6], v[7:8]
	s_delay_alu instid0(VALU_DEP_2) | instskip(NEXT) | instid1(VALU_DEP_2)
	v_cmp_gt_f64_e32 vcc_lo, 0, v[35:36]
	v_add_f64 v[5:6], v[25:26], v[5:6]
	v_cndmask_b32_e64 v22, 0, 0x40100000, vcc_lo
	s_delay_alu instid0(VALU_DEP_1) | instskip(NEXT) | instid1(VALU_DEP_1)
	v_add_f64 v[7:8], v[29:30], v[21:22]
	v_add_f64 v[27:28], v[31:32], v[7:8]
	s_delay_alu instid0(VALU_DEP_1) | instskip(NEXT) | instid1(VALU_DEP_1)
	v_cvt_i32_f64_e32 v29, v[27:28]
	v_cvt_f64_i32_e32 v[27:28], v29
	s_delay_alu instid0(VALU_DEP_1) | instskip(NEXT) | instid1(VALU_DEP_1)
	v_add_f64 v[7:8], v[7:8], -v[27:28]
	v_add_f64 v[25:26], v[31:32], v[7:8]
	s_delay_alu instid0(VALU_DEP_1) | instskip(SKIP_1) | instid1(VALU_DEP_2)
	v_add_f64 v[7:8], v[25:26], -v[7:8]
	v_cmp_le_f64_e32 vcc_lo, 0.5, v[25:26]
	v_add_f64 v[7:8], v[31:32], -v[7:8]
	v_cndmask_b32_e64 v22, 0, 0x3ff00000, vcc_lo
	v_add_co_ci_u32_e32 v29, vcc_lo, 0, v29, vcc_lo
	s_delay_alu instid0(VALU_DEP_2) | instskip(NEXT) | instid1(VALU_DEP_4)
	v_add_f64 v[25:26], v[25:26], -v[21:22]
	v_add_f64 v[5:6], v[5:6], v[7:8]
	s_delay_alu instid0(VALU_DEP_1) | instskip(NEXT) | instid1(VALU_DEP_1)
	v_add_f64 v[7:8], v[25:26], v[5:6]
	v_add_f64 v[25:26], v[7:8], -v[25:26]
	s_delay_alu instid0(VALU_DEP_1) | instskip(SKIP_1) | instid1(VALU_DEP_1)
	v_add_f64 v[5:6], v[5:6], -v[25:26]
	v_mul_f64 v[25:26], v[7:8], s[10:11]
	v_fma_f64 v[27:28], v[7:8], s[10:11], -v[25:26]
	s_delay_alu instid0(VALU_DEP_1) | instskip(NEXT) | instid1(VALU_DEP_1)
	v_fma_f64 v[7:8], v[7:8], s[16:17], v[27:28]
	v_fma_f64 v[7:8], v[5:6], s[10:11], v[7:8]
	s_delay_alu instid0(VALU_DEP_1) | instskip(NEXT) | instid1(VALU_DEP_1)
	v_add_f64 v[5:6], v[25:26], v[7:8]
	v_add_f64 v[25:26], v[5:6], -v[25:26]
	s_delay_alu instid0(VALU_DEP_1)
	v_add_f64 v[7:8], v[7:8], -v[25:26]
	s_and_not1_saveexec_b32 s10, s14
	s_cbranch_execz .LBB94_21
	s_branch .LBB94_20
.LBB94_18:                              ;   in Loop: Header=BB94_7 Depth=1
	s_or_b32 exec_lo, exec_lo, s2
                                        ; implicit-def: $vgpr13_vgpr14
	s_and_not1_saveexec_b32 s2, s46
	s_cbranch_execnz .LBB94_27
	s_branch .LBB94_28
.LBB94_19:                              ;   in Loop: Header=BB94_7 Depth=1
	s_and_not1_saveexec_b32 s10, s14
	s_cbranch_execz .LBB94_21
.LBB94_20:                              ;   in Loop: Header=BB94_7 Depth=1
	v_mul_f64 v[5:6], |v[13:14]|, s[18:19]
	s_mov_b32 s14, s22
	s_delay_alu instid0(VALU_DEP_1) | instskip(NEXT) | instid1(VALU_DEP_1)
	v_rndne_f64_e32 v[25:26], v[5:6]
	v_fma_f64 v[5:6], v[25:26], s[12:13], |v[13:14]|
	v_mul_f64 v[7:8], v[25:26], s[22:23]
	s_delay_alu instid0(VALU_DEP_2) | instskip(NEXT) | instid1(VALU_DEP_2)
	v_fma_f64 v[29:30], v[25:26], s[22:23], v[5:6]
	v_add_f64 v[27:28], v[5:6], v[7:8]
	s_delay_alu instid0(VALU_DEP_1) | instskip(NEXT) | instid1(VALU_DEP_3)
	v_add_f64 v[5:6], v[5:6], -v[27:28]
	v_add_f64 v[27:28], v[27:28], -v[29:30]
	s_delay_alu instid0(VALU_DEP_2) | instskip(SKIP_1) | instid1(VALU_DEP_2)
	v_add_f64 v[5:6], v[5:6], v[7:8]
	v_fma_f64 v[7:8], v[25:26], s[14:15], v[7:8]
	v_add_f64 v[5:6], v[27:28], v[5:6]
	s_delay_alu instid0(VALU_DEP_1) | instskip(NEXT) | instid1(VALU_DEP_1)
	v_add_f64 v[5:6], v[5:6], -v[7:8]
	v_fma_f64 v[7:8], v[25:26], s[24:25], v[5:6]
	s_delay_alu instid0(VALU_DEP_1) | instskip(NEXT) | instid1(VALU_DEP_1)
	v_add_f64 v[5:6], v[29:30], v[7:8]
	v_add_f64 v[27:28], v[5:6], -v[29:30]
	v_cvt_i32_f64_e32 v29, v[25:26]
	s_delay_alu instid0(VALU_DEP_2)
	v_add_f64 v[7:8], v[7:8], -v[27:28]
.LBB94_21:                              ;   in Loop: Header=BB94_7 Depth=1
	s_or_b32 exec_lo, exec_lo, s10
                                        ; implicit-def: $vgpr22
                                        ; implicit-def: $vgpr25_vgpr26
                                        ; implicit-def: $vgpr27_vgpr28
	s_and_saveexec_b32 s10, s38
	s_delay_alu instid0(SALU_CYCLE_1)
	s_xor_b32 s14, exec_lo, s10
	s_cbranch_execz .LBB94_23
; %bb.22:                               ;   in Loop: Header=BB94_7 Depth=1
	v_ldexp_f64 v[25:26], |v[13:14]|, 0xffffff80
	v_cmp_le_f64_e64 vcc_lo, 0x7b000000, |v[13:14]|
	v_trig_preop_f64 v[27:28], |v[13:14]|, 0
	v_and_b32_e32 v22, 0x7fffffff, v14
	v_trig_preop_f64 v[32:33], |v[13:14]|, 1
	v_trig_preop_f64 v[38:39], |v[13:14]|, 2
	s_mov_b32 s10, s12
	s_mov_b32 s17, s15
	v_dual_cndmask_b32 v25, v13, v25 :: v_dual_cndmask_b32 v26, v22, v26
	s_delay_alu instid0(VALU_DEP_1) | instskip(NEXT) | instid1(VALU_DEP_4)
	v_mul_f64 v[30:31], v[27:28], v[25:26]
	v_mul_f64 v[34:35], v[32:33], v[25:26]
	s_delay_alu instid0(VALU_DEP_4) | instskip(NEXT) | instid1(VALU_DEP_3)
	v_mul_f64 v[40:41], v[38:39], v[25:26]
	v_fma_f64 v[27:28], v[27:28], v[25:26], -v[30:31]
	s_delay_alu instid0(VALU_DEP_3) | instskip(NEXT) | instid1(VALU_DEP_3)
	v_fma_f64 v[32:33], v[32:33], v[25:26], -v[34:35]
	v_fma_f64 v[25:26], v[38:39], v[25:26], -v[40:41]
	s_delay_alu instid0(VALU_DEP_3) | instskip(NEXT) | instid1(VALU_DEP_1)
	v_add_f64 v[38:39], v[34:35], v[27:28]
	v_add_f64 v[42:43], v[38:39], -v[34:35]
	s_delay_alu instid0(VALU_DEP_1) | instskip(SKIP_1) | instid1(VALU_DEP_1)
	v_add_f64 v[27:28], v[27:28], -v[42:43]
	v_add_f64 v[42:43], v[38:39], -v[42:43]
	;; [unrolled: 1-line block ×3, first 2 shown]
	v_add_f64 v[42:43], v[30:31], v[38:39]
	s_delay_alu instid0(VALU_DEP_2) | instskip(NEXT) | instid1(VALU_DEP_2)
	v_add_f64 v[27:28], v[27:28], v[34:35]
	v_add_f64 v[30:31], v[42:43], -v[30:31]
	v_add_f64 v[34:35], v[40:41], v[32:33]
	v_ldexp_f64 v[42:43], v[42:43], -2
	s_delay_alu instid0(VALU_DEP_3) | instskip(NEXT) | instid1(VALU_DEP_3)
	v_add_f64 v[30:31], v[38:39], -v[30:31]
	v_add_f64 v[38:39], v[34:35], -v[40:41]
	s_delay_alu instid0(VALU_DEP_3) | instskip(SKIP_1) | instid1(VALU_DEP_3)
	v_cmp_neq_f64_e64 vcc_lo, 0x7ff00000, |v[42:43]|
	v_fract_f64_e32 v[42:43], v[42:43]
	v_add_f64 v[32:33], v[32:33], -v[38:39]
	v_add_f64 v[38:39], v[34:35], -v[38:39]
	s_delay_alu instid0(VALU_DEP_3) | instskip(NEXT) | instid1(VALU_DEP_2)
	v_dual_cndmask_b32 v43, 0, v43 :: v_dual_cndmask_b32 v42, 0, v42
	v_add_f64 v[38:39], v[40:41], -v[38:39]
	v_add_f64 v[40:41], v[34:35], v[27:28]
	s_delay_alu instid0(VALU_DEP_2) | instskip(NEXT) | instid1(VALU_DEP_2)
	v_add_f64 v[32:33], v[32:33], v[38:39]
	v_add_f64 v[44:45], v[40:41], -v[34:35]
	v_add_f64 v[38:39], v[30:31], v[40:41]
	s_delay_alu instid0(VALU_DEP_2) | instskip(SKIP_1) | instid1(VALU_DEP_3)
	v_add_f64 v[27:28], v[27:28], -v[44:45]
	v_add_f64 v[44:45], v[40:41], -v[44:45]
	;; [unrolled: 1-line block ×3, first 2 shown]
	s_delay_alu instid0(VALU_DEP_2) | instskip(NEXT) | instid1(VALU_DEP_2)
	v_add_f64 v[34:35], v[34:35], -v[44:45]
	v_add_f64 v[30:31], v[40:41], -v[30:31]
	s_delay_alu instid0(VALU_DEP_2) | instskip(SKIP_1) | instid1(VALU_DEP_2)
	v_add_f64 v[27:28], v[27:28], v[34:35]
	v_ldexp_f64 v[34:35], v[42:43], 2
	v_add_f64 v[27:28], v[32:33], v[27:28]
	s_delay_alu instid0(VALU_DEP_2) | instskip(NEXT) | instid1(VALU_DEP_2)
	v_add_f64 v[42:43], v[38:39], v[34:35]
	v_add_f64 v[25:26], v[25:26], v[27:28]
	s_delay_alu instid0(VALU_DEP_2) | instskip(NEXT) | instid1(VALU_DEP_2)
	v_cmp_gt_f64_e32 vcc_lo, 0, v[42:43]
	v_add_f64 v[25:26], v[30:31], v[25:26]
	v_cndmask_b32_e64 v22, 0, 0x40100000, vcc_lo
	s_delay_alu instid0(VALU_DEP_1) | instskip(NEXT) | instid1(VALU_DEP_1)
	v_add_f64 v[27:28], v[34:35], v[21:22]
	v_add_f64 v[32:33], v[38:39], v[27:28]
	s_delay_alu instid0(VALU_DEP_1) | instskip(NEXT) | instid1(VALU_DEP_1)
	v_cvt_i32_f64_e32 v34, v[32:33]
	v_cvt_f64_i32_e32 v[32:33], v34
	s_delay_alu instid0(VALU_DEP_1) | instskip(NEXT) | instid1(VALU_DEP_1)
	v_add_f64 v[27:28], v[27:28], -v[32:33]
	v_add_f64 v[30:31], v[38:39], v[27:28]
	s_delay_alu instid0(VALU_DEP_1) | instskip(SKIP_1) | instid1(VALU_DEP_2)
	v_add_f64 v[27:28], v[30:31], -v[27:28]
	v_cmp_le_f64_e32 vcc_lo, 0.5, v[30:31]
	v_add_f64 v[27:28], v[38:39], -v[27:28]
	v_cndmask_b32_e64 v22, 0, 0x3ff00000, vcc_lo
	s_delay_alu instid0(VALU_DEP_1) | instskip(SKIP_1) | instid1(VALU_DEP_4)
	v_add_f64 v[30:31], v[30:31], -v[21:22]
	v_add_co_ci_u32_e32 v22, vcc_lo, 0, v34, vcc_lo
	v_add_f64 v[25:26], v[25:26], v[27:28]
	s_delay_alu instid0(VALU_DEP_1) | instskip(NEXT) | instid1(VALU_DEP_1)
	v_add_f64 v[27:28], v[30:31], v[25:26]
	v_add_f64 v[30:31], v[27:28], -v[30:31]
	s_delay_alu instid0(VALU_DEP_1) | instskip(SKIP_1) | instid1(VALU_DEP_1)
	v_add_f64 v[25:26], v[25:26], -v[30:31]
	v_mul_f64 v[30:31], v[27:28], s[10:11]
	v_fma_f64 v[32:33], v[27:28], s[10:11], -v[30:31]
	s_delay_alu instid0(VALU_DEP_1) | instskip(NEXT) | instid1(VALU_DEP_1)
	v_fma_f64 v[27:28], v[27:28], s[16:17], v[32:33]
	v_fma_f64 v[27:28], v[25:26], s[10:11], v[27:28]
	s_delay_alu instid0(VALU_DEP_1) | instskip(NEXT) | instid1(VALU_DEP_1)
	v_add_f64 v[25:26], v[30:31], v[27:28]
	v_add_f64 v[30:31], v[25:26], -v[30:31]
	s_delay_alu instid0(VALU_DEP_1)
	v_add_f64 v[27:28], v[27:28], -v[30:31]
	s_and_not1_saveexec_b32 s10, s14
	s_cbranch_execnz .LBB94_24
	s_branch .LBB94_25
.LBB94_23:                              ;   in Loop: Header=BB94_7 Depth=1
	s_and_not1_saveexec_b32 s10, s14
	s_cbranch_execz .LBB94_25
.LBB94_24:                              ;   in Loop: Header=BB94_7 Depth=1
	v_mul_f64 v[25:26], |v[13:14]|, s[18:19]
	s_mov_b32 s14, s22
	s_delay_alu instid0(VALU_DEP_1) | instskip(NEXT) | instid1(VALU_DEP_1)
	v_rndne_f64_e32 v[30:31], v[25:26]
	v_fma_f64 v[25:26], v[30:31], s[12:13], |v[13:14]|
	v_mul_f64 v[27:28], v[30:31], s[22:23]
	v_cvt_i32_f64_e32 v22, v[30:31]
	s_delay_alu instid0(VALU_DEP_3) | instskip(NEXT) | instid1(VALU_DEP_3)
	v_fma_f64 v[34:35], v[30:31], s[22:23], v[25:26]
	v_add_f64 v[32:33], v[25:26], v[27:28]
	s_delay_alu instid0(VALU_DEP_1) | instskip(NEXT) | instid1(VALU_DEP_3)
	v_add_f64 v[25:26], v[25:26], -v[32:33]
	v_add_f64 v[32:33], v[32:33], -v[34:35]
	s_delay_alu instid0(VALU_DEP_2) | instskip(SKIP_1) | instid1(VALU_DEP_2)
	v_add_f64 v[25:26], v[25:26], v[27:28]
	v_fma_f64 v[27:28], v[30:31], s[14:15], v[27:28]
	v_add_f64 v[25:26], v[32:33], v[25:26]
	s_delay_alu instid0(VALU_DEP_1) | instskip(NEXT) | instid1(VALU_DEP_1)
	v_add_f64 v[25:26], v[25:26], -v[27:28]
	v_fma_f64 v[27:28], v[30:31], s[24:25], v[25:26]
	s_delay_alu instid0(VALU_DEP_1) | instskip(NEXT) | instid1(VALU_DEP_1)
	v_add_f64 v[25:26], v[34:35], v[27:28]
	v_add_f64 v[32:33], v[25:26], -v[34:35]
	s_delay_alu instid0(VALU_DEP_1)
	v_add_f64 v[27:28], v[27:28], -v[32:33]
.LBB94_25:                              ;   in Loop: Header=BB94_7 Depth=1
	s_or_b32 exec_lo, exec_lo, s10
	s_delay_alu instid0(VALU_DEP_2) | instskip(NEXT) | instid1(VALU_DEP_2)
	v_mul_f64 v[30:31], v[5:6], v[5:6]
	v_mul_f64 v[40:41], v[7:8], 0.5
	s_delay_alu instid0(VALU_DEP_3) | instskip(SKIP_4) | instid1(VALU_DEP_3)
	v_mul_f64 v[46:47], v[27:28], 0.5
	s_mov_b32 s38, s40
	s_mov_b32 s83, s37
	s_mov_b32 s85, s41
	s_mov_b32 s10, 0x3ff00000
	v_mul_f64 v[32:33], v[30:31], 0.5
	v_mul_f64 v[42:43], v[5:6], -v[30:31]
	s_delay_alu instid0(VALU_DEP_2) | instskip(NEXT) | instid1(VALU_DEP_1)
	v_add_f64 v[34:35], -v[32:33], 1.0
	v_add_f64 v[38:39], -v[34:35], 1.0
	s_delay_alu instid0(VALU_DEP_1) | instskip(SKIP_1) | instid1(VALU_DEP_2)
	v_add_f64 v[32:33], v[38:39], -v[32:33]
	v_fma_f64 v[38:39], v[30:31], s[26:27], s[102:103]
	v_fma_f64 v[32:33], v[5:6], -v[7:8], v[32:33]
	s_delay_alu instid0(VALU_DEP_2) | instskip(NEXT) | instid1(VALU_DEP_1)
	v_fma_f64 v[38:39], v[30:31], v[38:39], s[28:29]
	v_fma_f64 v[38:39], v[30:31], v[38:39], s[30:31]
	s_delay_alu instid0(VALU_DEP_1) | instskip(NEXT) | instid1(VALU_DEP_1)
	v_fma_f64 v[38:39], v[30:31], v[38:39], s[36:37]
	v_fma_f64 v[38:39], v[42:43], v[38:39], v[40:41]
	s_delay_alu instid0(VALU_DEP_1) | instskip(SKIP_1) | instid1(VALU_DEP_2)
	v_fma_f64 v[7:8], v[30:31], v[38:39], -v[7:8]
	v_fma_f64 v[38:39], v[30:31], s[94:95], s[92:93]
	v_fma_f64 v[7:8], v[42:43], s[38:39], v[7:8]
	s_delay_alu instid0(VALU_DEP_2) | instskip(NEXT) | instid1(VALU_DEP_2)
	v_fma_f64 v[38:39], v[30:31], v[38:39], s[96:97]
	v_add_f64 v[5:6], v[5:6], -v[7:8]
	s_delay_alu instid0(VALU_DEP_2) | instskip(NEXT) | instid1(VALU_DEP_1)
	v_fma_f64 v[38:39], v[30:31], v[38:39], s[98:99]
	v_fma_f64 v[38:39], v[30:31], v[38:39], s[100:101]
	s_delay_alu instid0(VALU_DEP_1) | instskip(SKIP_1) | instid1(VALU_DEP_1)
	v_fma_f64 v[38:39], v[30:31], v[38:39], s[40:41]
	v_mul_f64 v[30:31], v[30:31], v[30:31]
	v_fma_f64 v[30:31], v[30:31], v[38:39], v[32:33]
	v_mul_f64 v[32:33], v[25:26], v[25:26]
	s_delay_alu instid0(VALU_DEP_2) | instskip(NEXT) | instid1(VALU_DEP_2)
	v_add_f64 v[30:31], v[34:35], v[30:31]
	v_mul_f64 v[38:39], v[32:33], 0.5
	v_mul_f64 v[48:49], v[25:26], -v[32:33]
	v_and_b32_e32 v13, 1, v29
	s_delay_alu instid0(VALU_DEP_1) | instskip(SKIP_1) | instid1(VALU_DEP_1)
	v_cmp_eq_u32_e32 vcc_lo, 0, v13
	v_lshlrev_b32_e32 v13, 30, v29
	v_xor_b32_e32 v13, v13, v14
	s_delay_alu instid0(VALU_DEP_1) | instskip(SKIP_1) | instid1(VALU_DEP_2)
	v_dual_cndmask_b32 v6, v31, v6 :: v_dual_and_b32 v13, 0x80000000, v13
	v_add_f64 v[40:41], -v[38:39], 1.0
	v_xor_b32_e32 v6, v6, v13
	v_and_b32_e32 v13, 1, v22
	s_delay_alu instid0(VALU_DEP_3) | instskip(NEXT) | instid1(VALU_DEP_1)
	v_add_f64 v[44:45], -v[40:41], 1.0
	v_add_f64 v[38:39], v[44:45], -v[38:39]
	v_fma_f64 v[44:45], v[32:33], s[26:27], s[102:103]
	s_delay_alu instid0(VALU_DEP_2) | instskip(NEXT) | instid1(VALU_DEP_2)
	v_fma_f64 v[38:39], v[25:26], -v[27:28], v[38:39]
	v_fma_f64 v[44:45], v[32:33], v[44:45], s[28:29]
	s_delay_alu instid0(VALU_DEP_1) | instskip(NEXT) | instid1(VALU_DEP_1)
	v_fma_f64 v[44:45], v[32:33], v[44:45], s[30:31]
	v_fma_f64 v[44:45], v[32:33], v[44:45], s[36:37]
	s_delay_alu instid0(VALU_DEP_1) | instskip(NEXT) | instid1(VALU_DEP_1)
	v_fma_f64 v[44:45], v[48:49], v[44:45], v[46:47]
	v_fma_f64 v[27:28], v[32:33], v[44:45], -v[27:28]
	v_fma_f64 v[44:45], v[32:33], s[94:95], s[92:93]
	s_delay_alu instid0(VALU_DEP_2) | instskip(NEXT) | instid1(VALU_DEP_2)
	v_fma_f64 v[27:28], v[48:49], s[38:39], v[27:28]
	v_fma_f64 v[44:45], v[32:33], v[44:45], s[96:97]
	s_delay_alu instid0(VALU_DEP_2) | instskip(NEXT) | instid1(VALU_DEP_2)
	v_add_f64 v[7:8], v[25:26], -v[27:28]
	v_fma_f64 v[44:45], v[32:33], v[44:45], s[98:99]
	s_delay_alu instid0(VALU_DEP_2) | instskip(NEXT) | instid1(VALU_DEP_2)
	v_xor_b32_e32 v8, 0x80000000, v8
	v_fma_f64 v[44:45], v[32:33], v[44:45], s[100:101]
	s_delay_alu instid0(VALU_DEP_1) | instskip(SKIP_1) | instid1(VALU_DEP_1)
	v_fma_f64 v[44:45], v[32:33], v[44:45], s[40:41]
	v_mul_f64 v[32:33], v[32:33], v[32:33]
	v_fma_f64 v[32:33], v[32:33], v[44:45], v[38:39]
	s_delay_alu instid0(VALU_DEP_1) | instskip(SKIP_3) | instid1(VALU_DEP_1)
	v_add_f64 v[25:26], v[40:41], v[32:33]
	v_cndmask_b32_e32 v5, v30, v5, vcc_lo
	v_cmp_eq_u32_e32 vcc_lo, 0, v13
	v_lshlrev_b32_e32 v13, 30, v22
	v_dual_cndmask_b32 v8, v8, v26 :: v_dual_and_b32 v13, 0x80000000, v13
	v_cndmask_b32_e32 v7, v7, v25, vcc_lo
	v_mul_f64 v[5:6], v[5:6], 4.0
	v_cmp_nlt_f64_e64 vcc_lo, 0x4090cc00, |v[15:16]|
	s_delay_alu instid0(VALU_DEP_4) | instskip(SKIP_1) | instid1(VALU_DEP_2)
	v_xor_b32_e32 v8, v8, v13
	v_mul_f64 v[13:14], |v[15:16]|, s[64:65]
	v_mul_f64 v[5:6], v[5:6], v[7:8]
	s_delay_alu instid0(VALU_DEP_2) | instskip(NEXT) | instid1(VALU_DEP_1)
	v_rndne_f64_e32 v[13:14], v[13:14]
	v_fma_f64 v[25:26], v[13:14], s[34:35], -|v[15:16]|
	s_delay_alu instid0(VALU_DEP_1) | instskip(SKIP_1) | instid1(VALU_DEP_2)
	v_fma_f64 v[25:26], v[13:14], s[60:61], v[25:26]
	v_cvt_i32_f64_e32 v13, v[13:14]
	v_fma_f64 v[27:28], v[25:26], s[72:73], s[70:71]
	s_delay_alu instid0(VALU_DEP_1) | instskip(NEXT) | instid1(VALU_DEP_1)
	v_fma_f64 v[27:28], v[25:26], v[27:28], s[74:75]
	v_fma_f64 v[27:28], v[25:26], v[27:28], s[76:77]
	s_delay_alu instid0(VALU_DEP_1) | instskip(NEXT) | instid1(VALU_DEP_1)
	v_fma_f64 v[27:28], v[25:26], v[27:28], s[78:79]
	v_fma_f64 v[27:28], v[25:26], v[27:28], s[80:81]
	s_delay_alu instid0(VALU_DEP_1) | instskip(NEXT) | instid1(VALU_DEP_1)
	v_fma_f64 v[27:28], v[25:26], v[27:28], s[82:83]
	v_fma_f64 v[27:28], v[25:26], v[27:28], s[84:85]
	s_delay_alu instid0(VALU_DEP_1) | instskip(NEXT) | instid1(VALU_DEP_1)
	v_fma_f64 v[27:28], v[25:26], v[27:28], s[86:87]
	v_fma_f64 v[27:28], v[25:26], v[27:28], s[88:89]
	s_delay_alu instid0(VALU_DEP_1) | instskip(NEXT) | instid1(VALU_DEP_1)
	v_fma_f64 v[27:28], v[25:26], v[27:28], 1.0
	v_fma_f64 v[25:26], v[25:26], v[27:28], 1.0
	s_delay_alu instid0(VALU_DEP_1) | instskip(NEXT) | instid1(VALU_DEP_1)
	v_ldexp_f64 v[13:14], v[25:26], v13
	v_dual_cndmask_b32 v8, 0, v14 :: v_dual_cndmask_b32 v7, 0, v13
	s_delay_alu instid0(VALU_DEP_1) | instskip(NEXT) | instid1(VALU_DEP_1)
	v_mul_f64 v[5:6], v[7:8], v[5:6]
	v_mul_f64 v[5:6], v[7:8], v[5:6]
	v_xor_b32_e32 v7, 0x80000000, v16
	s_delay_alu instid0(VALU_DEP_1) | instskip(NEXT) | instid1(VALU_DEP_1)
	v_bfi_b32 v22, 0x7fffffff, s10, v7
	v_dual_mov_b32 v7, v21 :: v_dual_mov_b32 v8, v22
	s_or_b32 exec_lo, exec_lo, s2
                                        ; implicit-def: $vgpr13_vgpr14
.LBB94_26:                              ;   in Loop: Header=BB94_7 Depth=1
	s_and_not1_saveexec_b32 s2, s46
.LBB94_27:                              ;   in Loop: Header=BB94_7 Depth=1
	v_add_f64 v[5:6], v[13:14], -v[13:14]
	s_delay_alu instid0(VALU_DEP_1)
	v_dual_mov_b32 v8, v6 :: v_dual_mov_b32 v7, v5
.LBB94_28:                              ;   in Loop: Header=BB94_7 Depth=1
	s_or_b32 exec_lo, exec_lo, s2
                                        ; implicit-def: $vgpr13_vgpr14
.LBB94_29:                              ;   in Loop: Header=BB94_7 Depth=1
	s_and_not1_saveexec_b32 s46, s3
	s_cbranch_execz .LBB94_45
; %bb.30:                               ;   in Loop: Header=BB94_7 Depth=1
	s_delay_alu instid0(VALU_DEP_1) | instskip(SKIP_1) | instid1(VALU_DEP_1)
	v_and_or_b32 v5, 0xfffff, v8, v7
	s_mov_b32 s2, exec_lo
	v_cmpx_ne_u32_e32 0, v5
	s_xor_b32 s2, exec_lo, s2
; %bb.31:                               ;   in Loop: Header=BB94_7 Depth=1
	v_mul_f64 v[5:6], v[13:14], -v[15:16]
	v_cmp_eq_f64_e32 vcc_lo, 0, v[13:14]
	s_delay_alu instid0(VALU_DEP_2)
	v_dual_cndmask_b32 v6, v6, v14 :: v_dual_cndmask_b32 v5, v5, v13
                                        ; implicit-def: $vgpr13_vgpr14
; %bb.32:                               ;   in Loop: Header=BB94_7 Depth=1
	s_and_not1_saveexec_b32 s47, s2
	s_cbranch_execz .LBB94_44
; %bb.33:                               ;   in Loop: Header=BB94_7 Depth=1
	s_mov_b32 s57, exec_lo
	v_cmpx_neq_f64_e64 0x7ff00000, |v[13:14]|
	s_cbranch_execz .LBB94_43
; %bb.34:                               ;   in Loop: Header=BB94_7 Depth=1
	v_cmp_ngt_f64_e64 s2, 0x41d00000, |v[13:14]|
	v_trig_preop_f64 v[29:30], |v[13:14]|, 0
	v_trig_preop_f64 v[27:28], |v[13:14]|, 1
	v_ldexp_f64 v[31:32], |v[13:14]|, 0xffffff80
	v_trig_preop_f64 v[25:26], |v[13:14]|, 2
	v_and_b32_e32 v39, 0x7fffffff, v14
                                        ; implicit-def: $vgpr38
                                        ; implicit-def: $vgpr5_vgpr6
                                        ; implicit-def: $vgpr15_vgpr16
	s_and_saveexec_b32 s3, s2
	s_delay_alu instid0(SALU_CYCLE_1)
	s_xor_b32 s3, exec_lo, s3
	s_cbranch_execz .LBB94_36
; %bb.35:                               ;   in Loop: Header=BB94_7 Depth=1
	v_cmp_le_f64_e64 vcc_lo, 0x7b000000, |v[13:14]|
	s_mov_b32 s10, s12
	s_mov_b32 s17, s15
	s_delay_alu instid0(VALU_DEP_4) | instskip(NEXT) | instid1(VALU_DEP_1)
	v_dual_cndmask_b32 v6, v39, v32 :: v_dual_cndmask_b32 v5, v13, v31
	v_mul_f64 v[15:16], v[29:30], v[5:6]
	v_mul_f64 v[33:34], v[27:28], v[5:6]
	s_delay_alu instid0(VALU_DEP_2) | instskip(NEXT) | instid1(VALU_DEP_1)
	v_fma_f64 v[35:36], v[29:30], v[5:6], -v[15:16]
	v_add_f64 v[40:41], v[33:34], v[35:36]
	s_delay_alu instid0(VALU_DEP_1) | instskip(SKIP_1) | instid1(VALU_DEP_2)
	v_add_f64 v[42:43], v[40:41], -v[33:34]
	v_add_f64 v[44:45], v[15:16], v[40:41]
	v_add_f64 v[35:36], v[35:36], -v[42:43]
	s_delay_alu instid0(VALU_DEP_2) | instskip(SKIP_1) | instid1(VALU_DEP_2)
	v_add_f64 v[15:16], v[44:45], -v[15:16]
	v_add_f64 v[42:43], v[40:41], -v[42:43]
	;; [unrolled: 1-line block ×3, first 2 shown]
	s_delay_alu instid0(VALU_DEP_2) | instskip(SKIP_2) | instid1(VALU_DEP_3)
	v_add_f64 v[40:41], v[33:34], -v[42:43]
	v_fma_f64 v[33:34], v[27:28], v[5:6], -v[33:34]
	v_mul_f64 v[42:43], v[25:26], v[5:6]
	v_add_f64 v[35:36], v[35:36], v[40:41]
	v_ldexp_f64 v[40:41], v[44:45], -2
	s_delay_alu instid0(VALU_DEP_3) | instskip(SKIP_1) | instid1(VALU_DEP_3)
	v_add_f64 v[44:45], v[42:43], v[33:34]
	v_fma_f64 v[5:6], v[25:26], v[5:6], -v[42:43]
	v_cmp_neq_f64_e64 vcc_lo, 0x7ff00000, |v[40:41]|
	s_delay_alu instid0(VALU_DEP_3) | instskip(SKIP_2) | instid1(VALU_DEP_3)
	v_add_f64 v[48:49], v[44:45], v[35:36]
	v_add_f64 v[46:47], v[44:45], -v[42:43]
	v_fract_f64_e32 v[40:41], v[40:41]
	v_add_f64 v[50:51], v[48:49], -v[44:45]
	s_delay_alu instid0(VALU_DEP_3) | instskip(SKIP_1) | instid1(VALU_DEP_4)
	v_add_f64 v[33:34], v[33:34], -v[46:47]
	v_add_f64 v[46:47], v[44:45], -v[46:47]
	v_dual_cndmask_b32 v41, 0, v41 :: v_dual_cndmask_b32 v40, 0, v40
	s_delay_alu instid0(VALU_DEP_1) | instskip(SKIP_4) | instid1(VALU_DEP_3)
	v_ldexp_f64 v[40:41], v[40:41], 2
	v_add_f64 v[35:36], v[35:36], -v[50:51]
	v_add_f64 v[50:51], v[48:49], -v[50:51]
	;; [unrolled: 1-line block ×3, first 2 shown]
	v_add_f64 v[42:43], v[15:16], v[48:49]
	v_add_f64 v[44:45], v[44:45], -v[50:51]
	s_delay_alu instid0(VALU_DEP_3) | instskip(NEXT) | instid1(VALU_DEP_3)
	v_add_f64 v[33:34], v[33:34], v[46:47]
	v_add_f64 v[15:16], v[42:43], -v[15:16]
	s_delay_alu instid0(VALU_DEP_3) | instskip(SKIP_1) | instid1(VALU_DEP_3)
	v_add_f64 v[35:36], v[35:36], v[44:45]
	v_add_f64 v[44:45], v[42:43], v[40:41]
	v_add_f64 v[15:16], v[48:49], -v[15:16]
	s_delay_alu instid0(VALU_DEP_3) | instskip(NEXT) | instid1(VALU_DEP_3)
	v_add_f64 v[33:34], v[33:34], v[35:36]
	v_cmp_gt_f64_e32 vcc_lo, 0, v[44:45]
	s_delay_alu instid0(VALU_DEP_2) | instskip(SKIP_1) | instid1(VALU_DEP_1)
	v_add_f64 v[5:6], v[5:6], v[33:34]
	v_cndmask_b32_e64 v22, 0, 0x40100000, vcc_lo
	v_add_f64 v[33:34], v[40:41], v[21:22]
	s_delay_alu instid0(VALU_DEP_3) | instskip(NEXT) | instid1(VALU_DEP_2)
	v_add_f64 v[5:6], v[15:16], v[5:6]
	v_add_f64 v[35:36], v[42:43], v[33:34]
	s_delay_alu instid0(VALU_DEP_1) | instskip(NEXT) | instid1(VALU_DEP_1)
	v_cvt_i32_f64_e32 v38, v[35:36]
	v_cvt_f64_i32_e32 v[35:36], v38
	s_delay_alu instid0(VALU_DEP_1) | instskip(NEXT) | instid1(VALU_DEP_1)
	v_add_f64 v[33:34], v[33:34], -v[35:36]
	v_add_f64 v[15:16], v[42:43], v[33:34]
	s_delay_alu instid0(VALU_DEP_1) | instskip(SKIP_1) | instid1(VALU_DEP_2)
	v_add_f64 v[33:34], v[15:16], -v[33:34]
	v_cmp_le_f64_e32 vcc_lo, 0.5, v[15:16]
	v_add_f64 v[33:34], v[42:43], -v[33:34]
	v_cndmask_b32_e64 v22, 0, 0x3ff00000, vcc_lo
	v_add_co_ci_u32_e32 v38, vcc_lo, 0, v38, vcc_lo
	s_delay_alu instid0(VALU_DEP_2) | instskip(NEXT) | instid1(VALU_DEP_4)
	v_add_f64 v[15:16], v[15:16], -v[21:22]
	v_add_f64 v[5:6], v[5:6], v[33:34]
	s_delay_alu instid0(VALU_DEP_1) | instskip(NEXT) | instid1(VALU_DEP_1)
	v_add_f64 v[33:34], v[15:16], v[5:6]
	v_add_f64 v[15:16], v[33:34], -v[15:16]
	s_delay_alu instid0(VALU_DEP_1) | instskip(SKIP_1) | instid1(VALU_DEP_1)
	v_add_f64 v[5:6], v[5:6], -v[15:16]
	v_mul_f64 v[15:16], v[33:34], s[10:11]
	v_fma_f64 v[35:36], v[33:34], s[10:11], -v[15:16]
	s_delay_alu instid0(VALU_DEP_1) | instskip(NEXT) | instid1(VALU_DEP_1)
	v_fma_f64 v[33:34], v[33:34], s[16:17], v[35:36]
	v_fma_f64 v[33:34], v[5:6], s[10:11], v[33:34]
	s_delay_alu instid0(VALU_DEP_1) | instskip(NEXT) | instid1(VALU_DEP_1)
	v_add_f64 v[5:6], v[15:16], v[33:34]
	v_add_f64 v[15:16], v[5:6], -v[15:16]
	s_delay_alu instid0(VALU_DEP_1)
	v_add_f64 v[15:16], v[33:34], -v[15:16]
	s_and_not1_saveexec_b32 s3, s3
	s_cbranch_execz .LBB94_38
	s_branch .LBB94_37
.LBB94_36:                              ;   in Loop: Header=BB94_7 Depth=1
	s_and_not1_saveexec_b32 s3, s3
	s_cbranch_execz .LBB94_38
.LBB94_37:                              ;   in Loop: Header=BB94_7 Depth=1
	v_mul_f64 v[5:6], |v[13:14]|, s[18:19]
	s_mov_b32 s14, s22
	s_delay_alu instid0(VALU_DEP_1) | instskip(NEXT) | instid1(VALU_DEP_1)
	v_rndne_f64_e32 v[33:34], v[5:6]
	v_fma_f64 v[5:6], v[33:34], s[12:13], |v[13:14]|
	v_mul_f64 v[15:16], v[33:34], s[22:23]
	v_cvt_i32_f64_e32 v38, v[33:34]
	s_delay_alu instid0(VALU_DEP_3) | instskip(NEXT) | instid1(VALU_DEP_3)
	v_fma_f64 v[40:41], v[33:34], s[22:23], v[5:6]
	v_add_f64 v[35:36], v[5:6], v[15:16]
	s_delay_alu instid0(VALU_DEP_1) | instskip(NEXT) | instid1(VALU_DEP_3)
	v_add_f64 v[5:6], v[5:6], -v[35:36]
	v_add_f64 v[35:36], v[35:36], -v[40:41]
	s_delay_alu instid0(VALU_DEP_2) | instskip(SKIP_1) | instid1(VALU_DEP_2)
	v_add_f64 v[5:6], v[5:6], v[15:16]
	v_fma_f64 v[15:16], v[33:34], s[14:15], v[15:16]
	v_add_f64 v[5:6], v[35:36], v[5:6]
	s_delay_alu instid0(VALU_DEP_1) | instskip(NEXT) | instid1(VALU_DEP_1)
	v_add_f64 v[5:6], v[5:6], -v[15:16]
	v_fma_f64 v[15:16], v[33:34], s[24:25], v[5:6]
	s_delay_alu instid0(VALU_DEP_1) | instskip(NEXT) | instid1(VALU_DEP_1)
	v_add_f64 v[5:6], v[40:41], v[15:16]
	v_add_f64 v[35:36], v[5:6], -v[40:41]
	s_delay_alu instid0(VALU_DEP_1)
	v_add_f64 v[15:16], v[15:16], -v[35:36]
.LBB94_38:                              ;   in Loop: Header=BB94_7 Depth=1
	s_or_b32 exec_lo, exec_lo, s3
                                        ; implicit-def: $vgpr22
                                        ; implicit-def: $vgpr33_vgpr34
                                        ; implicit-def: $vgpr35_vgpr36
	s_and_saveexec_b32 s3, s2
	s_delay_alu instid0(SALU_CYCLE_1)
	s_xor_b32 s2, exec_lo, s3
	s_cbranch_execz .LBB94_40
; %bb.39:                               ;   in Loop: Header=BB94_7 Depth=1
	v_cmp_le_f64_e64 vcc_lo, 0x7b000000, |v[13:14]|
	s_mov_b32 s10, s12
	s_mov_b32 s17, s15
	s_delay_alu instid0(VALU_DEP_4) | instskip(NEXT) | instid1(VALU_DEP_1)
	v_dual_cndmask_b32 v32, v39, v32 :: v_dual_cndmask_b32 v31, v13, v31
	v_mul_f64 v[33:34], v[29:30], v[31:32]
	v_mul_f64 v[35:36], v[27:28], v[31:32]
	;; [unrolled: 1-line block ×3, first 2 shown]
	s_delay_alu instid0(VALU_DEP_3) | instskip(NEXT) | instid1(VALU_DEP_3)
	v_fma_f64 v[29:30], v[29:30], v[31:32], -v[33:34]
	v_fma_f64 v[27:28], v[27:28], v[31:32], -v[35:36]
	s_delay_alu instid0(VALU_DEP_3) | instskip(NEXT) | instid1(VALU_DEP_3)
	v_fma_f64 v[25:26], v[25:26], v[31:32], -v[39:40]
	v_add_f64 v[31:32], v[35:36], v[29:30]
	s_delay_alu instid0(VALU_DEP_1) | instskip(NEXT) | instid1(VALU_DEP_1)
	v_add_f64 v[41:42], v[31:32], -v[35:36]
	v_add_f64 v[29:30], v[29:30], -v[41:42]
	v_add_f64 v[41:42], v[31:32], -v[41:42]
	s_delay_alu instid0(VALU_DEP_1) | instskip(SKIP_1) | instid1(VALU_DEP_2)
	v_add_f64 v[35:36], v[35:36], -v[41:42]
	v_add_f64 v[41:42], v[33:34], v[31:32]
	v_add_f64 v[29:30], v[29:30], v[35:36]
	s_delay_alu instid0(VALU_DEP_2) | instskip(SKIP_1) | instid1(VALU_DEP_2)
	v_add_f64 v[33:34], v[41:42], -v[33:34]
	v_ldexp_f64 v[41:42], v[41:42], -2
	v_add_f64 v[31:32], v[31:32], -v[33:34]
	v_add_f64 v[33:34], v[39:40], v[27:28]
	s_delay_alu instid0(VALU_DEP_3) | instskip(SKIP_1) | instid1(VALU_DEP_3)
	v_cmp_neq_f64_e64 vcc_lo, 0x7ff00000, |v[41:42]|
	v_fract_f64_e32 v[41:42], v[41:42]
	v_add_f64 v[35:36], v[33:34], -v[39:40]
	s_delay_alu instid0(VALU_DEP_2) | instskip(NEXT) | instid1(VALU_DEP_2)
	v_dual_cndmask_b32 v42, 0, v42 :: v_dual_cndmask_b32 v41, 0, v41
	v_add_f64 v[27:28], v[27:28], -v[35:36]
	v_add_f64 v[35:36], v[33:34], -v[35:36]
	s_delay_alu instid0(VALU_DEP_1) | instskip(SKIP_1) | instid1(VALU_DEP_2)
	v_add_f64 v[35:36], v[39:40], -v[35:36]
	v_add_f64 v[39:40], v[33:34], v[29:30]
	v_add_f64 v[27:28], v[27:28], v[35:36]
	s_delay_alu instid0(VALU_DEP_2) | instskip(SKIP_1) | instid1(VALU_DEP_2)
	v_add_f64 v[43:44], v[39:40], -v[33:34]
	v_add_f64 v[35:36], v[31:32], v[39:40]
	v_add_f64 v[29:30], v[29:30], -v[43:44]
	v_add_f64 v[43:44], v[39:40], -v[43:44]
	s_delay_alu instid0(VALU_DEP_1) | instskip(NEXT) | instid1(VALU_DEP_1)
	v_add_f64 v[33:34], v[33:34], -v[43:44]
	v_add_f64 v[29:30], v[29:30], v[33:34]
	v_ldexp_f64 v[33:34], v[41:42], 2
	s_delay_alu instid0(VALU_DEP_2) | instskip(NEXT) | instid1(VALU_DEP_2)
	v_add_f64 v[27:28], v[27:28], v[29:30]
	v_add_f64 v[41:42], v[35:36], v[33:34]
	v_add_f64 v[29:30], v[35:36], -v[31:32]
	s_delay_alu instid0(VALU_DEP_3) | instskip(NEXT) | instid1(VALU_DEP_3)
	v_add_f64 v[25:26], v[25:26], v[27:28]
	v_cmp_gt_f64_e32 vcc_lo, 0, v[41:42]
	s_delay_alu instid0(VALU_DEP_3) | instskip(SKIP_1) | instid1(VALU_DEP_2)
	v_add_f64 v[29:30], v[39:40], -v[29:30]
	v_cndmask_b32_e64 v22, 0, 0x40100000, vcc_lo
	v_add_f64 v[25:26], v[29:30], v[25:26]
	s_delay_alu instid0(VALU_DEP_2) | instskip(NEXT) | instid1(VALU_DEP_1)
	v_add_f64 v[27:28], v[33:34], v[21:22]
	v_add_f64 v[31:32], v[35:36], v[27:28]
	s_delay_alu instid0(VALU_DEP_1) | instskip(NEXT) | instid1(VALU_DEP_1)
	v_cvt_i32_f64_e32 v39, v[31:32]
	v_cvt_f64_i32_e32 v[31:32], v39
	s_delay_alu instid0(VALU_DEP_1) | instskip(NEXT) | instid1(VALU_DEP_1)
	v_add_f64 v[27:28], v[27:28], -v[31:32]
	v_add_f64 v[29:30], v[35:36], v[27:28]
	s_delay_alu instid0(VALU_DEP_1) | instskip(SKIP_1) | instid1(VALU_DEP_2)
	v_add_f64 v[27:28], v[29:30], -v[27:28]
	v_cmp_le_f64_e32 vcc_lo, 0.5, v[29:30]
	v_add_f64 v[27:28], v[35:36], -v[27:28]
	v_cndmask_b32_e64 v22, 0, 0x3ff00000, vcc_lo
	s_delay_alu instid0(VALU_DEP_1) | instskip(SKIP_1) | instid1(VALU_DEP_4)
	v_add_f64 v[29:30], v[29:30], -v[21:22]
	v_add_co_ci_u32_e32 v22, vcc_lo, 0, v39, vcc_lo
	v_add_f64 v[25:26], v[25:26], v[27:28]
	s_delay_alu instid0(VALU_DEP_1) | instskip(NEXT) | instid1(VALU_DEP_1)
	v_add_f64 v[27:28], v[29:30], v[25:26]
	v_add_f64 v[29:30], v[27:28], -v[29:30]
	s_delay_alu instid0(VALU_DEP_1) | instskip(SKIP_1) | instid1(VALU_DEP_1)
	v_add_f64 v[25:26], v[25:26], -v[29:30]
	v_mul_f64 v[29:30], v[27:28], s[10:11]
	v_fma_f64 v[31:32], v[27:28], s[10:11], -v[29:30]
	s_delay_alu instid0(VALU_DEP_1) | instskip(NEXT) | instid1(VALU_DEP_1)
	v_fma_f64 v[27:28], v[27:28], s[16:17], v[31:32]
	v_fma_f64 v[25:26], v[25:26], s[10:11], v[27:28]
	s_delay_alu instid0(VALU_DEP_1) | instskip(NEXT) | instid1(VALU_DEP_1)
	v_add_f64 v[33:34], v[29:30], v[25:26]
	v_add_f64 v[27:28], v[33:34], -v[29:30]
	s_delay_alu instid0(VALU_DEP_1)
	v_add_f64 v[35:36], v[25:26], -v[27:28]
	s_and_not1_saveexec_b32 s2, s2
	s_cbranch_execnz .LBB94_41
	s_branch .LBB94_42
.LBB94_40:                              ;   in Loop: Header=BB94_7 Depth=1
	s_and_not1_saveexec_b32 s2, s2
	s_cbranch_execz .LBB94_42
.LBB94_41:                              ;   in Loop: Header=BB94_7 Depth=1
	v_mul_f64 v[25:26], |v[13:14]|, s[18:19]
	s_mov_b32 s14, s22
	s_delay_alu instid0(VALU_DEP_1) | instskip(NEXT) | instid1(VALU_DEP_1)
	v_rndne_f64_e32 v[25:26], v[25:26]
	v_fma_f64 v[27:28], v[25:26], s[12:13], |v[13:14]|
	v_mul_f64 v[29:30], v[25:26], s[22:23]
	v_cvt_i32_f64_e32 v22, v[25:26]
	s_delay_alu instid0(VALU_DEP_3) | instskip(NEXT) | instid1(VALU_DEP_3)
	v_fma_f64 v[35:36], v[25:26], s[22:23], v[27:28]
	v_add_f64 v[31:32], v[27:28], v[29:30]
	s_delay_alu instid0(VALU_DEP_1) | instskip(NEXT) | instid1(VALU_DEP_3)
	v_add_f64 v[27:28], v[27:28], -v[31:32]
	v_add_f64 v[31:32], v[31:32], -v[35:36]
	s_delay_alu instid0(VALU_DEP_2) | instskip(SKIP_1) | instid1(VALU_DEP_2)
	v_add_f64 v[27:28], v[27:28], v[29:30]
	v_fma_f64 v[29:30], v[25:26], s[14:15], v[29:30]
	v_add_f64 v[27:28], v[31:32], v[27:28]
	s_delay_alu instid0(VALU_DEP_1) | instskip(NEXT) | instid1(VALU_DEP_1)
	v_add_f64 v[27:28], v[27:28], -v[29:30]
	v_fma_f64 v[27:28], v[25:26], s[24:25], v[27:28]
	s_delay_alu instid0(VALU_DEP_1) | instskip(NEXT) | instid1(VALU_DEP_1)
	v_add_f64 v[33:34], v[35:36], v[27:28]
	v_add_f64 v[29:30], v[33:34], -v[35:36]
	s_delay_alu instid0(VALU_DEP_1)
	v_add_f64 v[35:36], v[27:28], -v[29:30]
.LBB94_42:                              ;   in Loop: Header=BB94_7 Depth=1
	s_or_b32 exec_lo, exec_lo, s2
	v_cmp_class_f64_e64 vcc_lo, v[13:14], 0x1f8
	v_lshlrev_b32_e32 v13, 30, v38
	s_delay_alu instid0(VALU_DEP_3) | instskip(NEXT) | instid1(VALU_DEP_4)
	v_mul_f64 v[31:32], v[15:16], 0.5
	v_mul_f64 v[43:44], v[35:36], 0.5
	s_mov_b32 s38, s40
	s_delay_alu instid0(VALU_DEP_3) | instskip(SKIP_1) | instid1(VALU_DEP_1)
	v_xor_b32_e32 v47, v13, v14
	v_mul_f64 v[13:14], v[5:6], v[5:6]
	v_mul_f64 v[25:26], v[13:14], 0.5
	v_mul_f64 v[39:40], v[5:6], -v[13:14]
	s_delay_alu instid0(VALU_DEP_2) | instskip(NEXT) | instid1(VALU_DEP_1)
	v_add_f64 v[27:28], -v[25:26], 1.0
	v_add_f64 v[29:30], -v[27:28], 1.0
	s_delay_alu instid0(VALU_DEP_1) | instskip(SKIP_1) | instid1(VALU_DEP_2)
	v_add_f64 v[25:26], v[29:30], -v[25:26]
	v_fma_f64 v[29:30], v[13:14], s[26:27], s[102:103]
	v_fma_f64 v[25:26], v[5:6], -v[15:16], v[25:26]
	s_delay_alu instid0(VALU_DEP_2) | instskip(NEXT) | instid1(VALU_DEP_1)
	v_fma_f64 v[29:30], v[13:14], v[29:30], s[28:29]
	v_fma_f64 v[29:30], v[13:14], v[29:30], s[30:31]
	s_delay_alu instid0(VALU_DEP_1) | instskip(NEXT) | instid1(VALU_DEP_1)
	v_fma_f64 v[29:30], v[13:14], v[29:30], s[36:37]
	v_fma_f64 v[29:30], v[39:40], v[29:30], v[31:32]
	s_delay_alu instid0(VALU_DEP_1) | instskip(SKIP_1) | instid1(VALU_DEP_2)
	v_fma_f64 v[15:16], v[13:14], v[29:30], -v[15:16]
	v_fma_f64 v[29:30], v[13:14], s[94:95], s[92:93]
	v_fma_f64 v[15:16], v[39:40], s[38:39], v[15:16]
	s_delay_alu instid0(VALU_DEP_2) | instskip(NEXT) | instid1(VALU_DEP_2)
	v_fma_f64 v[29:30], v[13:14], v[29:30], s[96:97]
	v_add_f64 v[5:6], v[5:6], -v[15:16]
	s_delay_alu instid0(VALU_DEP_2) | instskip(NEXT) | instid1(VALU_DEP_1)
	v_fma_f64 v[29:30], v[13:14], v[29:30], s[98:99]
	v_fma_f64 v[29:30], v[13:14], v[29:30], s[100:101]
	s_delay_alu instid0(VALU_DEP_1) | instskip(SKIP_1) | instid1(VALU_DEP_1)
	v_fma_f64 v[29:30], v[13:14], v[29:30], s[40:41]
	v_mul_f64 v[13:14], v[13:14], v[13:14]
	v_fma_f64 v[13:14], v[13:14], v[29:30], v[25:26]
	v_mul_f64 v[25:26], v[33:34], v[33:34]
	s_delay_alu instid0(VALU_DEP_2) | instskip(NEXT) | instid1(VALU_DEP_2)
	v_add_f64 v[13:14], v[27:28], v[13:14]
	v_mul_f64 v[29:30], v[25:26], 0.5
	v_mul_f64 v[45:46], v[33:34], -v[25:26]
	s_delay_alu instid0(VALU_DEP_2) | instskip(NEXT) | instid1(VALU_DEP_1)
	v_add_f64 v[31:32], -v[29:30], 1.0
	v_add_f64 v[41:42], -v[31:32], 1.0
	s_delay_alu instid0(VALU_DEP_1) | instskip(SKIP_1) | instid1(VALU_DEP_2)
	v_add_f64 v[29:30], v[41:42], -v[29:30]
	v_fma_f64 v[41:42], v[25:26], s[26:27], s[102:103]
	v_fma_f64 v[29:30], v[33:34], -v[35:36], v[29:30]
	s_delay_alu instid0(VALU_DEP_2) | instskip(NEXT) | instid1(VALU_DEP_1)
	v_fma_f64 v[41:42], v[25:26], v[41:42], s[28:29]
	v_fma_f64 v[41:42], v[25:26], v[41:42], s[30:31]
	s_delay_alu instid0(VALU_DEP_1) | instskip(NEXT) | instid1(VALU_DEP_1)
	v_fma_f64 v[41:42], v[25:26], v[41:42], s[36:37]
	v_fma_f64 v[41:42], v[45:46], v[41:42], v[43:44]
	s_delay_alu instid0(VALU_DEP_1) | instskip(SKIP_1) | instid1(VALU_DEP_1)
	v_fma_f64 v[35:36], v[25:26], v[41:42], -v[35:36]
	v_fma_f64 v[41:42], v[25:26], s[94:95], s[92:93]
	v_fma_f64 v[41:42], v[25:26], v[41:42], s[96:97]
	s_delay_alu instid0(VALU_DEP_1) | instskip(NEXT) | instid1(VALU_DEP_1)
	v_fma_f64 v[41:42], v[25:26], v[41:42], s[98:99]
	v_fma_f64 v[41:42], v[25:26], v[41:42], s[100:101]
	s_delay_alu instid0(VALU_DEP_1) | instskip(SKIP_1) | instid1(VALU_DEP_1)
	v_fma_f64 v[41:42], v[25:26], v[41:42], s[40:41]
	v_mul_f64 v[25:26], v[25:26], v[25:26]
	v_fma_f64 v[25:26], v[25:26], v[41:42], v[29:30]
	v_fma_f64 v[29:30], v[45:46], s[38:39], v[35:36]
	s_delay_alu instid0(VALU_DEP_2) | instskip(NEXT) | instid1(VALU_DEP_2)
	v_add_f64 v[15:16], v[31:32], v[25:26]
	v_add_f64 v[29:30], v[33:34], -v[29:30]
	v_and_b32_e32 v25, 1, v38
	s_delay_alu instid0(VALU_DEP_1) | instskip(NEXT) | instid1(VALU_DEP_1)
	v_cmp_eq_u32_e64 s2, 0, v25
	v_cndmask_b32_e64 v5, v13, v5, s2
	v_and_b32_e32 v26, 1, v22
	v_cndmask_b32_e64 v6, v14, v6, s2
	s_delay_alu instid0(VALU_DEP_3) | instskip(NEXT) | instid1(VALU_DEP_3)
	v_cndmask_b32_e32 v5, 0, v5, vcc_lo
	v_cmp_eq_u32_e64 s3, 0, v26
	v_and_b32_e32 v26, 0x80000000, v47
	s_delay_alu instid0(VALU_DEP_1) | instskip(NEXT) | instid1(VALU_DEP_1)
	v_xor_b32_e32 v6, v6, v26
	v_cndmask_b32_e32 v6, 0x7ff80000, v6, vcc_lo
	v_xor_b32_e32 v25, 0x80000000, v30
	v_cndmask_b32_e64 v13, v29, v15, s3
	v_lshlrev_b32_e32 v22, 30, v22
	s_delay_alu instid0(VALU_DEP_3) | instskip(NEXT) | instid1(VALU_DEP_2)
	v_cndmask_b32_e64 v16, v25, v16, s3
	v_dual_cndmask_b32 v13, 0, v13 :: v_dual_and_b32 v14, 0x80000000, v22
	s_delay_alu instid0(VALU_DEP_1) | instskip(NEXT) | instid1(VALU_DEP_1)
	v_xor_b32_e32 v14, v16, v14
	v_cndmask_b32_e32 v14, 0x7ff80000, v14, vcc_lo
	s_delay_alu instid0(VALU_DEP_1)
	v_mul_f64 v[13:14], v[5:6], v[13:14]
.LBB94_43:                              ;   in Loop: Header=BB94_7 Depth=1
	s_or_b32 exec_lo, exec_lo, s57
	s_delay_alu instid0(VALU_DEP_1) | instskip(SKIP_2) | instid1(VALU_DEP_3)
	v_bfi_b32 v22, 0x7fffffff, 0, v14
	v_add_co_u32 v7, vcc_lo, v7, 0
	v_add_co_ci_u32_e32 v8, vcc_lo, -2.0, v8, vcc_lo
	v_dual_mov_b32 v5, v21 :: v_dual_mov_b32 v6, v22
.LBB94_44:                              ;   in Loop: Header=BB94_7 Depth=1
	s_or_b32 exec_lo, exec_lo, s47
.LBB94_45:                              ;   in Loop: Header=BB94_7 Depth=1
	s_delay_alu instid0(SALU_CYCLE_1) | instskip(SKIP_3) | instid1(VALU_DEP_1)
	s_or_b32 exec_lo, exec_lo, s46
	s_waitcnt vmcnt(2)
	v_xor_b32_e32 v16, 0x80000000, v20
	s_mov_b32 s2, exec_lo
	v_dual_mov_b32 v15, v19 :: v_dual_and_b32 v22, 0x7fffffff, v16
	s_delay_alu instid0(VALU_DEP_1)
	v_cmpx_gt_u32_e32 0x7ff00000, v22
	s_xor_b32 s3, exec_lo, s2
	s_cbranch_execz .LBB94_67
; %bb.46:                               ;   in Loop: Header=BB94_7 Depth=1
	v_cmp_class_f64_e64 s2, v[17:18], 0x1f8
                                        ; implicit-def: $vgpr13_vgpr14
	s_delay_alu instid0(VALU_DEP_1) | instskip(NEXT) | instid1(SALU_CYCLE_1)
	s_and_saveexec_b32 s10, s2
	s_xor_b32 s46, exec_lo, s10
	s_cbranch_execz .LBB94_64
; %bb.47:                               ;   in Loop: Header=BB94_7 Depth=1
                                        ; implicit-def: $vgpr13_vgpr14
	s_mov_b32 s2, exec_lo
	v_cmpx_gt_u32_e32 0x40360000, v22
	s_xor_b32 s38, exec_lo, s2
	s_cbranch_execz .LBB94_53
; %bb.48:                               ;   in Loop: Header=BB94_7 Depth=1
	v_cmp_ngt_f64_e64 s2, 0x41d00000, |v[17:18]|
                                        ; implicit-def: $vgpr22
                                        ; implicit-def: $vgpr13_vgpr14
                                        ; implicit-def: $vgpr15_vgpr16
	s_delay_alu instid0(VALU_DEP_1) | instskip(NEXT) | instid1(SALU_CYCLE_1)
	s_and_saveexec_b32 s10, s2
	s_xor_b32 s2, exec_lo, s10
	s_cbranch_execz .LBB94_50
; %bb.49:                               ;   in Loop: Header=BB94_7 Depth=1
	v_ldexp_f64 v[13:14], |v[17:18]|, 0xffffff80
	v_cmp_le_f64_e64 vcc_lo, 0x7b000000, |v[17:18]|
	v_trig_preop_f64 v[15:16], |v[17:18]|, 0
	v_and_b32_e32 v22, 0x7fffffff, v18
	v_trig_preop_f64 v[27:28], |v[17:18]|, 1
	v_trig_preop_f64 v[31:32], |v[17:18]|, 2
	s_mov_b32 s10, s12
	s_mov_b32 s17, s15
	v_dual_cndmask_b32 v13, v17, v13 :: v_dual_cndmask_b32 v14, v22, v14
	s_delay_alu instid0(VALU_DEP_1) | instskip(NEXT) | instid1(VALU_DEP_4)
	v_mul_f64 v[25:26], v[15:16], v[13:14]
	v_mul_f64 v[29:30], v[27:28], v[13:14]
	s_delay_alu instid0(VALU_DEP_4) | instskip(NEXT) | instid1(VALU_DEP_3)
	v_mul_f64 v[33:34], v[31:32], v[13:14]
	v_fma_f64 v[15:16], v[15:16], v[13:14], -v[25:26]
	s_delay_alu instid0(VALU_DEP_3) | instskip(NEXT) | instid1(VALU_DEP_3)
	v_fma_f64 v[27:28], v[27:28], v[13:14], -v[29:30]
	v_fma_f64 v[13:14], v[31:32], v[13:14], -v[33:34]
	s_delay_alu instid0(VALU_DEP_3) | instskip(NEXT) | instid1(VALU_DEP_1)
	v_add_f64 v[31:32], v[29:30], v[15:16]
	v_add_f64 v[35:36], v[31:32], -v[29:30]
	s_delay_alu instid0(VALU_DEP_1) | instskip(SKIP_1) | instid1(VALU_DEP_1)
	v_add_f64 v[15:16], v[15:16], -v[35:36]
	v_add_f64 v[35:36], v[31:32], -v[35:36]
	;; [unrolled: 1-line block ×3, first 2 shown]
	v_add_f64 v[35:36], v[25:26], v[31:32]
	s_delay_alu instid0(VALU_DEP_2) | instskip(NEXT) | instid1(VALU_DEP_2)
	v_add_f64 v[15:16], v[15:16], v[29:30]
	v_add_f64 v[25:26], v[35:36], -v[25:26]
	v_add_f64 v[29:30], v[33:34], v[27:28]
	v_ldexp_f64 v[35:36], v[35:36], -2
	s_delay_alu instid0(VALU_DEP_3) | instskip(NEXT) | instid1(VALU_DEP_3)
	v_add_f64 v[25:26], v[31:32], -v[25:26]
	v_add_f64 v[31:32], v[29:30], -v[33:34]
	s_delay_alu instid0(VALU_DEP_3) | instskip(SKIP_1) | instid1(VALU_DEP_3)
	v_cmp_neq_f64_e64 vcc_lo, 0x7ff00000, |v[35:36]|
	v_fract_f64_e32 v[35:36], v[35:36]
	v_add_f64 v[27:28], v[27:28], -v[31:32]
	v_add_f64 v[31:32], v[29:30], -v[31:32]
	s_delay_alu instid0(VALU_DEP_3) | instskip(NEXT) | instid1(VALU_DEP_2)
	v_dual_cndmask_b32 v35, 0, v35 :: v_dual_cndmask_b32 v36, 0, v36
	v_add_f64 v[31:32], v[33:34], -v[31:32]
	v_add_f64 v[33:34], v[29:30], v[15:16]
	s_delay_alu instid0(VALU_DEP_2) | instskip(NEXT) | instid1(VALU_DEP_2)
	v_add_f64 v[27:28], v[27:28], v[31:32]
	v_add_f64 v[38:39], v[33:34], -v[29:30]
	v_add_f64 v[31:32], v[25:26], v[33:34]
	s_delay_alu instid0(VALU_DEP_2) | instskip(SKIP_1) | instid1(VALU_DEP_3)
	v_add_f64 v[15:16], v[15:16], -v[38:39]
	v_add_f64 v[38:39], v[33:34], -v[38:39]
	;; [unrolled: 1-line block ×3, first 2 shown]
	s_delay_alu instid0(VALU_DEP_2) | instskip(NEXT) | instid1(VALU_DEP_2)
	v_add_f64 v[29:30], v[29:30], -v[38:39]
	v_add_f64 v[25:26], v[33:34], -v[25:26]
	s_delay_alu instid0(VALU_DEP_2) | instskip(SKIP_1) | instid1(VALU_DEP_2)
	v_add_f64 v[15:16], v[15:16], v[29:30]
	v_ldexp_f64 v[29:30], v[35:36], 2
	v_add_f64 v[15:16], v[27:28], v[15:16]
	s_delay_alu instid0(VALU_DEP_2) | instskip(NEXT) | instid1(VALU_DEP_2)
	v_add_f64 v[35:36], v[31:32], v[29:30]
	v_add_f64 v[13:14], v[13:14], v[15:16]
	s_delay_alu instid0(VALU_DEP_2) | instskip(NEXT) | instid1(VALU_DEP_2)
	v_cmp_gt_f64_e32 vcc_lo, 0, v[35:36]
	v_add_f64 v[13:14], v[25:26], v[13:14]
	v_cndmask_b32_e64 v22, 0, 0x40100000, vcc_lo
	s_delay_alu instid0(VALU_DEP_1) | instskip(NEXT) | instid1(VALU_DEP_1)
	v_add_f64 v[15:16], v[29:30], v[21:22]
	v_add_f64 v[27:28], v[31:32], v[15:16]
	s_delay_alu instid0(VALU_DEP_1) | instskip(NEXT) | instid1(VALU_DEP_1)
	v_cvt_i32_f64_e32 v29, v[27:28]
	v_cvt_f64_i32_e32 v[27:28], v29
	s_delay_alu instid0(VALU_DEP_1) | instskip(NEXT) | instid1(VALU_DEP_1)
	v_add_f64 v[15:16], v[15:16], -v[27:28]
	v_add_f64 v[25:26], v[31:32], v[15:16]
	s_delay_alu instid0(VALU_DEP_1) | instskip(SKIP_1) | instid1(VALU_DEP_2)
	v_add_f64 v[15:16], v[25:26], -v[15:16]
	v_cmp_le_f64_e32 vcc_lo, 0.5, v[25:26]
	v_add_f64 v[15:16], v[31:32], -v[15:16]
	v_cndmask_b32_e64 v22, 0, 0x3ff00000, vcc_lo
	s_delay_alu instid0(VALU_DEP_1) | instskip(SKIP_1) | instid1(VALU_DEP_4)
	v_add_f64 v[25:26], v[25:26], -v[21:22]
	v_add_co_ci_u32_e32 v22, vcc_lo, 0, v29, vcc_lo
	v_add_f64 v[13:14], v[13:14], v[15:16]
	s_delay_alu instid0(VALU_DEP_1) | instskip(NEXT) | instid1(VALU_DEP_1)
	v_add_f64 v[15:16], v[25:26], v[13:14]
	v_add_f64 v[25:26], v[15:16], -v[25:26]
	s_delay_alu instid0(VALU_DEP_1) | instskip(SKIP_1) | instid1(VALU_DEP_1)
	v_add_f64 v[13:14], v[13:14], -v[25:26]
	v_mul_f64 v[25:26], v[15:16], s[10:11]
	v_fma_f64 v[27:28], v[15:16], s[10:11], -v[25:26]
	s_delay_alu instid0(VALU_DEP_1) | instskip(NEXT) | instid1(VALU_DEP_1)
	v_fma_f64 v[15:16], v[15:16], s[16:17], v[27:28]
	v_fma_f64 v[15:16], v[13:14], s[10:11], v[15:16]
	s_delay_alu instid0(VALU_DEP_1) | instskip(NEXT) | instid1(VALU_DEP_1)
	v_add_f64 v[13:14], v[25:26], v[15:16]
	v_add_f64 v[25:26], v[13:14], -v[25:26]
	s_delay_alu instid0(VALU_DEP_1)
	v_add_f64 v[15:16], v[15:16], -v[25:26]
.LBB94_50:                              ;   in Loop: Header=BB94_7 Depth=1
	s_and_not1_saveexec_b32 s2, s2
	s_cbranch_execz .LBB94_52
; %bb.51:                               ;   in Loop: Header=BB94_7 Depth=1
	v_mul_f64 v[13:14], |v[17:18]|, s[18:19]
	s_mov_b32 s14, s22
	s_delay_alu instid0(VALU_DEP_1) | instskip(NEXT) | instid1(VALU_DEP_1)
	v_rndne_f64_e32 v[25:26], v[13:14]
	v_fma_f64 v[13:14], v[25:26], s[12:13], |v[17:18]|
	v_mul_f64 v[15:16], v[25:26], s[22:23]
	v_cvt_i32_f64_e32 v22, v[25:26]
	s_delay_alu instid0(VALU_DEP_3) | instskip(NEXT) | instid1(VALU_DEP_3)
	v_fma_f64 v[29:30], v[25:26], s[22:23], v[13:14]
	v_add_f64 v[27:28], v[13:14], v[15:16]
	s_delay_alu instid0(VALU_DEP_1) | instskip(NEXT) | instid1(VALU_DEP_3)
	v_add_f64 v[13:14], v[13:14], -v[27:28]
	v_add_f64 v[27:28], v[27:28], -v[29:30]
	s_delay_alu instid0(VALU_DEP_2) | instskip(SKIP_1) | instid1(VALU_DEP_2)
	v_add_f64 v[13:14], v[13:14], v[15:16]
	v_fma_f64 v[15:16], v[25:26], s[14:15], v[15:16]
	v_add_f64 v[13:14], v[27:28], v[13:14]
	s_delay_alu instid0(VALU_DEP_1) | instskip(NEXT) | instid1(VALU_DEP_1)
	v_add_f64 v[13:14], v[13:14], -v[15:16]
	v_fma_f64 v[15:16], v[25:26], s[24:25], v[13:14]
	s_delay_alu instid0(VALU_DEP_1) | instskip(NEXT) | instid1(VALU_DEP_1)
	v_add_f64 v[13:14], v[29:30], v[15:16]
	v_add_f64 v[27:28], v[13:14], -v[29:30]
	s_delay_alu instid0(VALU_DEP_1)
	v_add_f64 v[15:16], v[15:16], -v[27:28]
.LBB94_52:                              ;   in Loop: Header=BB94_7 Depth=1
	s_or_b32 exec_lo, exec_lo, s2
	v_add_f64 v[25:26], |v[19:20]|, s[34:35]
	s_mov_b32 s58, s34
	s_mov_b32 s62, s64
	;; [unrolled: 1-line block ×5, first 2 shown]
	v_cmp_nge_f64_e64 vcc_lo, |v[19:20]|, s[90:91]
	v_cmp_gt_f64_e64 s2, 0x3e400000, |v[19:20]|
	s_mov_b32 s48, 0xa9a29f71
	s_mov_b32 s50, 0xc751c08c
	;; [unrolled: 1-line block ×4, first 2 shown]
	s_delay_alu instid0(VALU_DEP_3) | instskip(NEXT) | instid1(VALU_DEP_1)
	v_add_f64 v[27:28], v[25:26], -|v[19:20]|
	v_add_f64 v[29:30], v[27:28], -v[25:26]
	v_add_f64 v[27:28], v[27:28], s[58:59]
	s_delay_alu instid0(VALU_DEP_2) | instskip(NEXT) | instid1(VALU_DEP_1)
	v_add_f64 v[29:30], |v[19:20]|, v[29:30]
	v_add_f64 v[27:28], v[29:30], -v[27:28]
	s_delay_alu instid0(VALU_DEP_1) | instskip(NEXT) | instid1(VALU_DEP_1)
	v_add_f64 v[27:28], v[27:28], s[60:61]
	v_add_f64 v[29:30], v[25:26], v[27:28]
	s_delay_alu instid0(VALU_DEP_1) | instskip(NEXT) | instid1(VALU_DEP_1)
	v_add_f64 v[25:26], v[25:26], -v[29:30]
	v_add_f64 v[25:26], v[27:28], v[25:26]
	v_mul_f64 v[27:28], v[29:30], s[62:63]
	s_delay_alu instid0(VALU_DEP_1) | instskip(NEXT) | instid1(VALU_DEP_1)
	v_rndne_f64_e32 v[27:28], v[27:28]
	v_fma_f64 v[29:30], v[27:28], s[56:57], v[29:30]
	v_cvt_i32_f64_e32 v17, v[27:28]
	s_delay_alu instid0(VALU_DEP_2) | instskip(NEXT) | instid1(VALU_DEP_1)
	v_add_f64 v[31:32], v[25:26], v[29:30]
	v_add_f64 v[29:30], v[29:30], -v[31:32]
	s_delay_alu instid0(VALU_DEP_1) | instskip(SKIP_1) | instid1(VALU_DEP_1)
	v_add_f64 v[25:26], v[25:26], v[29:30]
	v_mul_f64 v[29:30], v[27:28], s[66:67]
	v_add_f64 v[33:34], v[31:32], v[29:30]
	s_delay_alu instid0(VALU_DEP_1) | instskip(NEXT) | instid1(VALU_DEP_1)
	v_add_f64 v[31:32], v[31:32], -v[33:34]
	v_add_f64 v[29:30], v[31:32], v[29:30]
	s_delay_alu instid0(VALU_DEP_1) | instskip(NEXT) | instid1(VALU_DEP_1)
	v_add_f64 v[25:26], v[25:26], v[29:30]
	v_add_f64 v[29:30], v[33:34], v[25:26]
	s_delay_alu instid0(VALU_DEP_1) | instskip(NEXT) | instid1(VALU_DEP_1)
	v_add_f64 v[31:32], v[33:34], -v[29:30]
	v_add_f64 v[25:26], v[25:26], v[31:32]
	v_mul_f64 v[31:32], v[27:28], s[68:69]
	s_delay_alu instid0(VALU_DEP_1) | instskip(NEXT) | instid1(VALU_DEP_1)
	v_add_f64 v[33:34], v[29:30], v[31:32]
	v_add_f64 v[29:30], v[29:30], -v[33:34]
	s_delay_alu instid0(VALU_DEP_1) | instskip(NEXT) | instid1(VALU_DEP_1)
	v_add_f64 v[29:30], v[29:30], v[31:32]
	v_add_f64 v[25:26], v[25:26], v[29:30]
	s_delay_alu instid0(VALU_DEP_1) | instskip(NEXT) | instid1(VALU_DEP_1)
	v_add_f64 v[29:30], v[33:34], v[25:26]
	v_add_f64 v[31:32], v[33:34], -v[29:30]
	s_delay_alu instid0(VALU_DEP_1) | instskip(SKIP_1) | instid1(VALU_DEP_2)
	v_add_f64 v[25:26], v[25:26], v[31:32]
	v_mul_f64 v[31:32], v[29:30], v[29:30]
	v_add_f64 v[35:36], v[25:26], v[25:26]
	s_delay_alu instid0(VALU_DEP_2) | instskip(NEXT) | instid1(VALU_DEP_1)
	v_fma_f64 v[33:34], v[29:30], v[29:30], -v[31:32]
	v_fma_f64 v[33:34], v[29:30], v[35:36], v[33:34]
	s_delay_alu instid0(VALU_DEP_1) | instskip(NEXT) | instid1(VALU_DEP_1)
	v_add_f64 v[35:36], v[31:32], v[33:34]
	v_add_f64 v[31:32], v[35:36], -v[31:32]
	s_delay_alu instid0(VALU_DEP_1) | instskip(SKIP_1) | instid1(VALU_DEP_1)
	v_add_f64 v[31:32], v[33:34], -v[31:32]
	v_fma_f64 v[33:34], v[29:30], s[72:73], s[70:71]
	v_fma_f64 v[33:34], v[29:30], v[33:34], s[74:75]
	s_delay_alu instid0(VALU_DEP_1) | instskip(NEXT) | instid1(VALU_DEP_1)
	v_fma_f64 v[33:34], v[29:30], v[33:34], s[76:77]
	v_fma_f64 v[33:34], v[29:30], v[33:34], s[78:79]
	s_delay_alu instid0(VALU_DEP_1) | instskip(NEXT) | instid1(VALU_DEP_1)
	;; [unrolled: 3-line block ×4, first 2 shown]
	v_fma_f64 v[33:34], v[29:30], v[33:34], s[88:89]
	v_mul_f64 v[38:39], v[35:36], v[33:34]
	s_delay_alu instid0(VALU_DEP_1) | instskip(NEXT) | instid1(VALU_DEP_1)
	v_fma_f64 v[35:36], v[35:36], v[33:34], -v[38:39]
	v_fma_f64 v[31:32], v[31:32], v[33:34], v[35:36]
	s_delay_alu instid0(VALU_DEP_1) | instskip(NEXT) | instid1(VALU_DEP_1)
	v_add_f64 v[33:34], v[38:39], v[31:32]
	v_add_f64 v[35:36], v[33:34], -v[38:39]
	s_delay_alu instid0(VALU_DEP_1) | instskip(SKIP_1) | instid1(VALU_DEP_2)
	v_add_f64 v[31:32], v[31:32], -v[35:36]
	v_add_f64 v[35:36], v[29:30], v[33:34]
	v_add_f64 v[25:26], v[25:26], v[31:32]
	s_delay_alu instid0(VALU_DEP_2) | instskip(NEXT) | instid1(VALU_DEP_1)
	v_add_f64 v[29:30], v[35:36], -v[29:30]
	v_add_f64 v[29:30], v[33:34], -v[29:30]
	s_delay_alu instid0(VALU_DEP_1) | instskip(NEXT) | instid1(VALU_DEP_1)
	v_add_f64 v[25:26], v[25:26], v[29:30]
	v_add_f64 v[29:30], v[35:36], v[25:26]
	s_delay_alu instid0(VALU_DEP_1) | instskip(NEXT) | instid1(VALU_DEP_1)
	v_add_f64 v[31:32], v[29:30], -v[35:36]
	v_add_f64 v[25:26], v[25:26], -v[31:32]
	v_add_f64 v[31:32], v[29:30], 1.0
	s_delay_alu instid0(VALU_DEP_1) | instskip(NEXT) | instid1(VALU_DEP_1)
	v_add_f64 v[33:34], v[31:32], -1.0
	v_add_f64 v[29:30], v[29:30], -v[33:34]
	s_delay_alu instid0(VALU_DEP_1) | instskip(NEXT) | instid1(VALU_DEP_1)
	v_add_f64 v[25:26], v[25:26], v[29:30]
	v_add_f64 v[27:28], v[31:32], v[25:26]
	s_delay_alu instid0(VALU_DEP_1) | instskip(SKIP_1) | instid1(VALU_DEP_2)
	v_add_f64 v[29:30], v[27:28], -v[31:32]
	v_ldexp_f64 v[27:28], v[27:28], v17
	v_add_f64 v[25:26], v[25:26], -v[29:30]
	s_delay_alu instid0(VALU_DEP_2) | instskip(NEXT) | instid1(VALU_DEP_1)
	v_rcp_f64_e32 v[31:32], v[27:28]
	v_ldexp_f64 v[25:26], v[25:26], v17
	v_and_b32_e32 v17, 0x7fffffff, v20
	v_xor_b32_e32 v20, 0x80000000, v20
	s_waitcnt_depctr 0xfff
	v_fma_f64 v[33:34], -v[27:28], v[31:32], 1.0
	s_delay_alu instid0(VALU_DEP_1) | instskip(NEXT) | instid1(VALU_DEP_1)
	v_fma_f64 v[31:32], v[33:34], v[31:32], v[31:32]
	v_fma_f64 v[29:30], -v[27:28], v[31:32], 1.0
	s_delay_alu instid0(VALU_DEP_1) | instskip(NEXT) | instid1(VALU_DEP_1)
	v_fma_f64 v[29:30], v[29:30], v[31:32], v[31:32]
	v_mul_f64 v[31:32], v[27:28], v[29:30]
	s_delay_alu instid0(VALU_DEP_1) | instskip(NEXT) | instid1(VALU_DEP_1)
	v_fma_f64 v[33:34], v[29:30], v[27:28], -v[31:32]
	v_fma_f64 v[33:34], v[29:30], v[25:26], v[33:34]
	s_delay_alu instid0(VALU_DEP_1) | instskip(NEXT) | instid1(VALU_DEP_1)
	v_add_f64 v[35:36], v[31:32], v[33:34]
	v_add_f64 v[31:32], v[35:36], -v[31:32]
	s_delay_alu instid0(VALU_DEP_1) | instskip(SKIP_1) | instid1(VALU_DEP_1)
	v_add_f64 v[31:32], v[31:32], -v[33:34]
	v_add_f64 v[33:34], -v[35:36], 1.0
	v_add_f64 v[38:39], -v[33:34], 1.0
	s_delay_alu instid0(VALU_DEP_1) | instskip(NEXT) | instid1(VALU_DEP_1)
	v_add_f64 v[35:36], v[38:39], -v[35:36]
	v_add_f64 v[31:32], v[31:32], v[35:36]
	s_delay_alu instid0(VALU_DEP_1) | instskip(NEXT) | instid1(VALU_DEP_1)
	v_add_f64 v[35:36], v[33:34], v[31:32]
	v_add_f64 v[33:34], v[33:34], -v[35:36]
	s_delay_alu instid0(VALU_DEP_1) | instskip(SKIP_1) | instid1(VALU_DEP_1)
	v_add_f64 v[31:32], v[31:32], v[33:34]
	v_mul_f64 v[33:34], v[29:30], v[35:36]
	v_mul_f64 v[38:39], v[27:28], v[33:34]
	s_delay_alu instid0(VALU_DEP_1) | instskip(NEXT) | instid1(VALU_DEP_1)
	v_fma_f64 v[40:41], v[33:34], v[27:28], -v[38:39]
	v_fma_f64 v[40:41], v[33:34], v[25:26], v[40:41]
	s_delay_alu instid0(VALU_DEP_1) | instskip(NEXT) | instid1(VALU_DEP_1)
	v_add_f64 v[42:43], v[38:39], v[40:41]
	v_add_f64 v[44:45], v[35:36], -v[42:43]
	v_add_f64 v[38:39], v[42:43], -v[38:39]
	s_delay_alu instid0(VALU_DEP_2) | instskip(NEXT) | instid1(VALU_DEP_2)
	v_add_f64 v[35:36], v[35:36], -v[44:45]
	v_add_f64 v[38:39], v[38:39], -v[40:41]
	s_delay_alu instid0(VALU_DEP_2) | instskip(NEXT) | instid1(VALU_DEP_1)
	v_add_f64 v[35:36], v[35:36], -v[42:43]
	v_add_f64 v[31:32], v[31:32], v[35:36]
	v_add_f64 v[35:36], v[29:30], v[33:34]
	s_delay_alu instid0(VALU_DEP_2) | instskip(NEXT) | instid1(VALU_DEP_2)
	v_add_f64 v[31:32], v[38:39], v[31:32]
	v_add_f64 v[38:39], v[35:36], -v[29:30]
	s_delay_alu instid0(VALU_DEP_2) | instskip(NEXT) | instid1(VALU_DEP_2)
	v_add_f64 v[31:32], v[44:45], v[31:32]
	v_add_f64 v[33:34], v[33:34], -v[38:39]
	s_delay_alu instid0(VALU_DEP_2) | instskip(NEXT) | instid1(VALU_DEP_1)
	v_mul_f64 v[29:30], v[29:30], v[31:32]
	v_add_f64 v[29:30], v[33:34], v[29:30]
	s_delay_alu instid0(VALU_DEP_1) | instskip(NEXT) | instid1(VALU_DEP_1)
	v_add_f64 v[31:32], v[35:36], v[29:30]
	v_add_f64 v[33:34], v[31:32], -v[35:36]
	v_ldexp_f64 v[31:32], v[31:32], -2
	s_delay_alu instid0(VALU_DEP_2) | instskip(NEXT) | instid1(VALU_DEP_2)
	v_add_f64 v[29:30], v[29:30], -v[33:34]
	v_add_f64 v[35:36], v[27:28], -v[31:32]
	s_delay_alu instid0(VALU_DEP_1) | instskip(NEXT) | instid1(VALU_DEP_1)
	v_add_f64 v[27:28], v[27:28], -v[35:36]
	v_add_f64 v[27:28], v[27:28], -v[31:32]
	s_delay_alu instid0(VALU_DEP_1) | instskip(SKIP_1) | instid1(VALU_DEP_1)
	v_add_f64 v[25:26], v[25:26], v[27:28]
	v_ldexp_f64 v[27:28], v[29:30], -2
	v_add_f64 v[25:26], v[25:26], -v[27:28]
	s_delay_alu instid0(VALU_DEP_1) | instskip(SKIP_1) | instid1(VALU_DEP_2)
	v_add_f64 v[25:26], v[35:36], v[25:26]
	v_and_b32_e32 v35, 0x80000000, v18
	v_cndmask_b32_e32 v26, 0x7ff00000, v26, vcc_lo
	s_delay_alu instid0(VALU_DEP_3) | instskip(NEXT) | instid1(VALU_DEP_2)
	v_cndmask_b32_e32 v25, 0, v25, vcc_lo
	v_cndmask_b32_e64 v17, v26, v17, s2
	s_delay_alu instid0(VALU_DEP_2) | instskip(NEXT) | instid1(VALU_DEP_2)
	v_cndmask_b32_e64 v19, v25, v19, s2
	v_bfi_b32 v20, 0x7fffffff, v17, v20
	s_delay_alu instid0(VALU_DEP_1) | instskip(NEXT) | instid1(VALU_DEP_1)
	v_fma_f64 v[25:26], v[19:20], v[19:20], 1.0
	v_cmp_gt_f64_e32 vcc_lo, 0x10000000, v[25:26]
	v_cndmask_b32_e64 v17, 0, 1, vcc_lo
	s_delay_alu instid0(VALU_DEP_1) | instskip(NEXT) | instid1(VALU_DEP_1)
	v_lshlrev_b32_e32 v17, 8, v17
	v_ldexp_f64 v[25:26], v[25:26], v17
	v_mul_f64 v[17:18], v[13:14], v[13:14]
	s_delay_alu instid0(VALU_DEP_2) | instskip(SKIP_3) | instid1(VALU_DEP_1)
	v_rsq_f64_e32 v[27:28], v[25:26]
	s_waitcnt_depctr 0xfff
	v_mul_f64 v[29:30], v[25:26], v[27:28]
	v_mul_f64 v[27:28], v[27:28], 0.5
	v_fma_f64 v[31:32], -v[27:28], v[29:30], 0.5
	s_delay_alu instid0(VALU_DEP_1) | instskip(SKIP_1) | instid1(VALU_DEP_2)
	v_fma_f64 v[29:30], v[29:30], v[31:32], v[29:30]
	v_fma_f64 v[27:28], v[27:28], v[31:32], v[27:28]
	v_fma_f64 v[31:32], -v[29:30], v[29:30], v[25:26]
	s_delay_alu instid0(VALU_DEP_1) | instskip(NEXT) | instid1(VALU_DEP_1)
	v_fma_f64 v[29:30], v[31:32], v[27:28], v[29:30]
	v_fma_f64 v[31:32], -v[29:30], v[29:30], v[25:26]
	s_delay_alu instid0(VALU_DEP_1) | instskip(SKIP_2) | instid1(VALU_DEP_1)
	v_fma_f64 v[27:28], v[31:32], v[27:28], v[29:30]
	v_add_f64 v[29:30], v[15:16], v[15:16]
	v_fma_f64 v[31:32], v[13:14], v[13:14], -v[17:18]
	v_fma_f64 v[29:30], v[13:14], v[29:30], v[31:32]
	s_delay_alu instid0(VALU_DEP_1) | instskip(NEXT) | instid1(VALU_DEP_1)
	v_add_f64 v[17:18], v[17:18], v[29:30]
	v_fma_f64 v[29:30], v[17:18], s[50:51], s[48:49]
	s_mov_b32 s48, 0x90a8aae0
	s_mov_b32 s49, 0x3f17746f
	s_delay_alu instid0(VALU_DEP_1) | instid1(SALU_CYCLE_1)
	v_fma_f64 v[29:30], v[17:18], v[29:30], s[48:49]
	s_mov_b32 s48, 0xa6fbf144
	s_mov_b32 s49, 0xbefbb44d
	s_delay_alu instid0(VALU_DEP_1) | instid1(SALU_CYCLE_1)
	;; [unrolled: 4-line block ×10, first 2 shown]
	v_fma_f64 v[29:30], v[17:18], v[29:30], s[48:49]
	s_delay_alu instid0(VALU_DEP_1) | instskip(NEXT) | instid1(VALU_DEP_1)
	v_fma_f64 v[29:30], v[17:18], v[29:30], s[52:53]
	v_fma_f64 v[29:30], v[17:18], v[29:30], s[54:55]
	s_delay_alu instid0(VALU_DEP_1) | instskip(NEXT) | instid1(VALU_DEP_1)
	v_mul_f64 v[17:18], v[17:18], v[29:30]
	v_mul_f64 v[29:30], v[13:14], v[17:18]
	s_delay_alu instid0(VALU_DEP_1) | instskip(NEXT) | instid1(VALU_DEP_1)
	v_fma_f64 v[17:18], v[13:14], v[17:18], -v[29:30]
	v_add_f64 v[15:16], v[15:16], v[17:18]
	v_add_f64 v[17:18], v[13:14], v[29:30]
	s_delay_alu instid0(VALU_DEP_1) | instskip(NEXT) | instid1(VALU_DEP_1)
	v_add_f64 v[13:14], v[17:18], -v[13:14]
	v_add_f64 v[13:14], v[29:30], -v[13:14]
	s_delay_alu instid0(VALU_DEP_1) | instskip(NEXT) | instid1(VALU_DEP_1)
	v_add_f64 v[13:14], v[15:16], v[13:14]
	v_add_f64 v[15:16], v[17:18], v[13:14]
	s_delay_alu instid0(VALU_DEP_1) | instskip(SKIP_1) | instid1(VALU_DEP_1)
	v_rcp_f64_e32 v[29:30], v[15:16]
	v_add_f64 v[17:18], v[15:16], -v[17:18]
	v_add_f64 v[13:14], v[13:14], -v[17:18]
	s_waitcnt_depctr 0xfff
	v_fma_f64 v[31:32], -v[15:16], v[29:30], 1.0
	s_delay_alu instid0(VALU_DEP_1) | instskip(NEXT) | instid1(VALU_DEP_1)
	v_fma_f64 v[29:30], v[31:32], v[29:30], v[29:30]
	v_fma_f64 v[31:32], -v[15:16], v[29:30], 1.0
	s_delay_alu instid0(VALU_DEP_1) | instskip(NEXT) | instid1(VALU_DEP_1)
	v_fma_f64 v[29:30], v[31:32], v[29:30], v[29:30]
	v_mul_f64 v[17:18], v[15:16], v[29:30]
	s_delay_alu instid0(VALU_DEP_1) | instskip(NEXT) | instid1(VALU_DEP_1)
	v_fma_f64 v[31:32], v[29:30], v[15:16], -v[17:18]
	v_fma_f64 v[13:14], v[29:30], v[13:14], v[31:32]
	s_delay_alu instid0(VALU_DEP_1) | instskip(NEXT) | instid1(VALU_DEP_1)
	v_add_f64 v[31:32], v[17:18], v[13:14]
	v_add_f64 v[17:18], v[31:32], -v[17:18]
	s_delay_alu instid0(VALU_DEP_1) | instskip(SKIP_1) | instid1(VALU_DEP_1)
	v_add_f64 v[13:14], v[17:18], -v[13:14]
	v_add_f64 v[17:18], -v[31:32], 1.0
	v_add_f64 v[33:34], -v[17:18], 1.0
	s_delay_alu instid0(VALU_DEP_1) | instskip(NEXT) | instid1(VALU_DEP_1)
	v_add_f64 v[31:32], v[33:34], -v[31:32]
	v_add_f64 v[13:14], v[13:14], v[31:32]
	s_delay_alu instid0(VALU_DEP_1) | instskip(SKIP_1) | instid1(VALU_DEP_1)
	v_add_f64 v[13:14], v[17:18], v[13:14]
	v_and_b32_e32 v17, 1, v22
	v_cmp_eq_u32_e64 s2, 0, v17
	s_delay_alu instid0(VALU_DEP_3) | instskip(NEXT) | instid1(VALU_DEP_1)
	v_mul_f64 v[13:14], v[29:30], v[13:14]
	v_add_f64 v[13:14], v[29:30], v[13:14]
	s_delay_alu instid0(VALU_DEP_1) | instskip(NEXT) | instid1(VALU_DEP_2)
	v_xor_b32_e32 v14, 0x80000000, v14
	v_cndmask_b32_e64 v13, v13, v15, s2
	s_delay_alu instid0(VALU_DEP_2) | instskip(SKIP_2) | instid1(VALU_DEP_3)
	v_cndmask_b32_e64 v14, v14, v16, s2
	v_cndmask_b32_e64 v16, 0, 0xffffff80, vcc_lo
	v_cmp_class_f64_e64 vcc_lo, v[25:26], 0x260
	v_xor_b32_e32 v14, v14, v35
	s_delay_alu instid0(VALU_DEP_3) | instskip(NEXT) | instid1(VALU_DEP_2)
	v_ldexp_f64 v[15:16], v[27:28], v16
	v_fma_f64 v[17:18], v[13:14], v[13:14], 1.0
	s_delay_alu instid0(VALU_DEP_2) | instskip(NEXT) | instid1(VALU_DEP_2)
	v_dual_cndmask_b32 v16, v16, v26 :: v_dual_cndmask_b32 v15, v15, v25
	v_mul_f64 v[25:26], v[19:20], v[17:18]
	s_delay_alu instid0(VALU_DEP_2) | instskip(NEXT) | instid1(VALU_DEP_2)
	v_mul_f64 v[15:16], v[15:16], v[17:18]
	v_fma_f64 v[17:18], v[19:20], v[25:26], 1.0
	s_delay_alu instid0(VALU_DEP_2) | instskip(NEXT) | instid1(VALU_DEP_1)
	v_mul_f64 v[15:16], v[19:20], v[15:16]
	v_div_scale_f64 v[19:20], null, v[17:18], v[17:18], v[15:16]
	s_delay_alu instid0(VALU_DEP_1) | instskip(SKIP_2) | instid1(VALU_DEP_1)
	v_rcp_f64_e32 v[25:26], v[19:20]
	s_waitcnt_depctr 0xfff
	v_fma_f64 v[27:28], -v[19:20], v[25:26], 1.0
	v_fma_f64 v[25:26], v[25:26], v[27:28], v[25:26]
	s_delay_alu instid0(VALU_DEP_1) | instskip(NEXT) | instid1(VALU_DEP_1)
	v_fma_f64 v[27:28], -v[19:20], v[25:26], 1.0
	v_fma_f64 v[25:26], v[25:26], v[27:28], v[25:26]
	v_div_scale_f64 v[27:28], vcc_lo, v[15:16], v[17:18], v[15:16]
	s_delay_alu instid0(VALU_DEP_1) | instskip(NEXT) | instid1(VALU_DEP_1)
	v_mul_f64 v[29:30], v[27:28], v[25:26]
	v_fma_f64 v[19:20], -v[19:20], v[29:30], v[27:28]
	s_delay_alu instid0(VALU_DEP_1) | instskip(SKIP_1) | instid1(VALU_DEP_2)
	v_div_fmas_f64 v[19:20], v[19:20], v[25:26], v[29:30]
	v_div_scale_f64 v[25:26], null, v[17:18], v[17:18], v[13:14]
	v_div_fixup_f64 v[15:16], v[19:20], v[17:18], v[15:16]
	s_delay_alu instid0(VALU_DEP_2) | instskip(SKIP_2) | instid1(VALU_DEP_1)
	v_rcp_f64_e32 v[27:28], v[25:26]
	s_waitcnt_depctr 0xfff
	v_fma_f64 v[29:30], -v[25:26], v[27:28], 1.0
	v_fma_f64 v[27:28], v[27:28], v[29:30], v[27:28]
	s_delay_alu instid0(VALU_DEP_1) | instskip(NEXT) | instid1(VALU_DEP_1)
	v_fma_f64 v[29:30], -v[25:26], v[27:28], 1.0
	v_fma_f64 v[27:28], v[27:28], v[29:30], v[27:28]
	v_div_scale_f64 v[29:30], vcc_lo, v[13:14], v[17:18], v[13:14]
	s_delay_alu instid0(VALU_DEP_1) | instskip(NEXT) | instid1(VALU_DEP_1)
	v_mul_f64 v[31:32], v[29:30], v[27:28]
	v_fma_f64 v[25:26], -v[25:26], v[31:32], v[29:30]
	s_delay_alu instid0(VALU_DEP_1) | instskip(NEXT) | instid1(VALU_DEP_1)
	v_div_fmas_f64 v[25:26], v[25:26], v[27:28], v[31:32]
	v_div_fixup_f64 v[13:14], v[25:26], v[17:18], v[13:14]
                                        ; implicit-def: $vgpr17_vgpr18
.LBB94_53:                              ;   in Loop: Header=BB94_7 Depth=1
	s_and_not1_saveexec_b32 s2, s38
	s_cbranch_execz .LBB94_63
; %bb.54:                               ;   in Loop: Header=BB94_7 Depth=1
	v_cmp_ngt_f64_e64 s38, 0x41d00000, |v[17:18]|
                                        ; implicit-def: $vgpr29
                                        ; implicit-def: $vgpr13_vgpr14
                                        ; implicit-def: $vgpr15_vgpr16
	s_delay_alu instid0(VALU_DEP_1) | instskip(NEXT) | instid1(SALU_CYCLE_1)
	s_and_saveexec_b32 s10, s38
	s_xor_b32 s14, exec_lo, s10
	s_cbranch_execz .LBB94_56
; %bb.55:                               ;   in Loop: Header=BB94_7 Depth=1
	v_ldexp_f64 v[13:14], |v[17:18]|, 0xffffff80
	v_cmp_le_f64_e64 vcc_lo, 0x7b000000, |v[17:18]|
	v_trig_preop_f64 v[15:16], |v[17:18]|, 0
	v_and_b32_e32 v22, 0x7fffffff, v18
	v_trig_preop_f64 v[27:28], |v[17:18]|, 1
	v_trig_preop_f64 v[31:32], |v[17:18]|, 2
	s_mov_b32 s10, s12
	s_mov_b32 s17, s15
	v_dual_cndmask_b32 v13, v17, v13 :: v_dual_cndmask_b32 v14, v22, v14
	s_delay_alu instid0(VALU_DEP_1) | instskip(NEXT) | instid1(VALU_DEP_4)
	v_mul_f64 v[25:26], v[15:16], v[13:14]
	v_mul_f64 v[29:30], v[27:28], v[13:14]
	s_delay_alu instid0(VALU_DEP_4) | instskip(NEXT) | instid1(VALU_DEP_3)
	v_mul_f64 v[33:34], v[31:32], v[13:14]
	v_fma_f64 v[15:16], v[15:16], v[13:14], -v[25:26]
	s_delay_alu instid0(VALU_DEP_3) | instskip(NEXT) | instid1(VALU_DEP_3)
	v_fma_f64 v[27:28], v[27:28], v[13:14], -v[29:30]
	v_fma_f64 v[13:14], v[31:32], v[13:14], -v[33:34]
	s_delay_alu instid0(VALU_DEP_3) | instskip(NEXT) | instid1(VALU_DEP_1)
	v_add_f64 v[31:32], v[29:30], v[15:16]
	v_add_f64 v[35:36], v[31:32], -v[29:30]
	s_delay_alu instid0(VALU_DEP_1) | instskip(SKIP_1) | instid1(VALU_DEP_1)
	v_add_f64 v[15:16], v[15:16], -v[35:36]
	v_add_f64 v[35:36], v[31:32], -v[35:36]
	v_add_f64 v[29:30], v[29:30], -v[35:36]
	v_add_f64 v[35:36], v[25:26], v[31:32]
	s_delay_alu instid0(VALU_DEP_2) | instskip(NEXT) | instid1(VALU_DEP_2)
	v_add_f64 v[15:16], v[15:16], v[29:30]
	v_add_f64 v[25:26], v[35:36], -v[25:26]
	v_add_f64 v[29:30], v[33:34], v[27:28]
	v_ldexp_f64 v[35:36], v[35:36], -2
	s_delay_alu instid0(VALU_DEP_3) | instskip(NEXT) | instid1(VALU_DEP_3)
	v_add_f64 v[25:26], v[31:32], -v[25:26]
	v_add_f64 v[31:32], v[29:30], -v[33:34]
	s_delay_alu instid0(VALU_DEP_3) | instskip(SKIP_1) | instid1(VALU_DEP_3)
	v_cmp_neq_f64_e64 vcc_lo, 0x7ff00000, |v[35:36]|
	v_fract_f64_e32 v[35:36], v[35:36]
	v_add_f64 v[27:28], v[27:28], -v[31:32]
	v_add_f64 v[31:32], v[29:30], -v[31:32]
	s_delay_alu instid0(VALU_DEP_3) | instskip(NEXT) | instid1(VALU_DEP_2)
	v_dual_cndmask_b32 v35, 0, v35 :: v_dual_cndmask_b32 v36, 0, v36
	v_add_f64 v[31:32], v[33:34], -v[31:32]
	v_add_f64 v[33:34], v[29:30], v[15:16]
	s_delay_alu instid0(VALU_DEP_2) | instskip(NEXT) | instid1(VALU_DEP_2)
	v_add_f64 v[27:28], v[27:28], v[31:32]
	v_add_f64 v[38:39], v[33:34], -v[29:30]
	v_add_f64 v[31:32], v[25:26], v[33:34]
	s_delay_alu instid0(VALU_DEP_2) | instskip(SKIP_1) | instid1(VALU_DEP_3)
	v_add_f64 v[15:16], v[15:16], -v[38:39]
	v_add_f64 v[38:39], v[33:34], -v[38:39]
	;; [unrolled: 1-line block ×3, first 2 shown]
	s_delay_alu instid0(VALU_DEP_2) | instskip(NEXT) | instid1(VALU_DEP_2)
	v_add_f64 v[29:30], v[29:30], -v[38:39]
	v_add_f64 v[25:26], v[33:34], -v[25:26]
	s_delay_alu instid0(VALU_DEP_2) | instskip(SKIP_1) | instid1(VALU_DEP_2)
	v_add_f64 v[15:16], v[15:16], v[29:30]
	v_ldexp_f64 v[29:30], v[35:36], 2
	v_add_f64 v[15:16], v[27:28], v[15:16]
	s_delay_alu instid0(VALU_DEP_2) | instskip(NEXT) | instid1(VALU_DEP_2)
	v_add_f64 v[35:36], v[31:32], v[29:30]
	v_add_f64 v[13:14], v[13:14], v[15:16]
	s_delay_alu instid0(VALU_DEP_2) | instskip(NEXT) | instid1(VALU_DEP_2)
	v_cmp_gt_f64_e32 vcc_lo, 0, v[35:36]
	v_add_f64 v[13:14], v[25:26], v[13:14]
	v_cndmask_b32_e64 v22, 0, 0x40100000, vcc_lo
	s_delay_alu instid0(VALU_DEP_1) | instskip(NEXT) | instid1(VALU_DEP_1)
	v_add_f64 v[15:16], v[29:30], v[21:22]
	v_add_f64 v[27:28], v[31:32], v[15:16]
	s_delay_alu instid0(VALU_DEP_1) | instskip(NEXT) | instid1(VALU_DEP_1)
	v_cvt_i32_f64_e32 v29, v[27:28]
	v_cvt_f64_i32_e32 v[27:28], v29
	s_delay_alu instid0(VALU_DEP_1) | instskip(NEXT) | instid1(VALU_DEP_1)
	v_add_f64 v[15:16], v[15:16], -v[27:28]
	v_add_f64 v[25:26], v[31:32], v[15:16]
	s_delay_alu instid0(VALU_DEP_1) | instskip(SKIP_1) | instid1(VALU_DEP_2)
	v_add_f64 v[15:16], v[25:26], -v[15:16]
	v_cmp_le_f64_e32 vcc_lo, 0.5, v[25:26]
	v_add_f64 v[15:16], v[31:32], -v[15:16]
	v_cndmask_b32_e64 v22, 0, 0x3ff00000, vcc_lo
	v_add_co_ci_u32_e32 v29, vcc_lo, 0, v29, vcc_lo
	s_delay_alu instid0(VALU_DEP_2) | instskip(NEXT) | instid1(VALU_DEP_4)
	v_add_f64 v[25:26], v[25:26], -v[21:22]
	v_add_f64 v[13:14], v[13:14], v[15:16]
	s_delay_alu instid0(VALU_DEP_1) | instskip(NEXT) | instid1(VALU_DEP_1)
	v_add_f64 v[15:16], v[25:26], v[13:14]
	v_add_f64 v[25:26], v[15:16], -v[25:26]
	s_delay_alu instid0(VALU_DEP_1) | instskip(SKIP_1) | instid1(VALU_DEP_1)
	v_add_f64 v[13:14], v[13:14], -v[25:26]
	v_mul_f64 v[25:26], v[15:16], s[10:11]
	v_fma_f64 v[27:28], v[15:16], s[10:11], -v[25:26]
	s_delay_alu instid0(VALU_DEP_1) | instskip(NEXT) | instid1(VALU_DEP_1)
	v_fma_f64 v[15:16], v[15:16], s[16:17], v[27:28]
	v_fma_f64 v[15:16], v[13:14], s[10:11], v[15:16]
	s_delay_alu instid0(VALU_DEP_1) | instskip(NEXT) | instid1(VALU_DEP_1)
	v_add_f64 v[13:14], v[25:26], v[15:16]
	v_add_f64 v[25:26], v[13:14], -v[25:26]
	s_delay_alu instid0(VALU_DEP_1)
	v_add_f64 v[15:16], v[15:16], -v[25:26]
	s_and_not1_saveexec_b32 s10, s14
	s_cbranch_execz .LBB94_58
	s_branch .LBB94_57
.LBB94_56:                              ;   in Loop: Header=BB94_7 Depth=1
	s_and_not1_saveexec_b32 s10, s14
	s_cbranch_execz .LBB94_58
.LBB94_57:                              ;   in Loop: Header=BB94_7 Depth=1
	v_mul_f64 v[13:14], |v[17:18]|, s[18:19]
	s_mov_b32 s14, s22
	s_delay_alu instid0(VALU_DEP_1) | instskip(NEXT) | instid1(VALU_DEP_1)
	v_rndne_f64_e32 v[25:26], v[13:14]
	v_fma_f64 v[13:14], v[25:26], s[12:13], |v[17:18]|
	v_mul_f64 v[15:16], v[25:26], s[22:23]
	s_delay_alu instid0(VALU_DEP_2) | instskip(NEXT) | instid1(VALU_DEP_2)
	v_fma_f64 v[29:30], v[25:26], s[22:23], v[13:14]
	v_add_f64 v[27:28], v[13:14], v[15:16]
	s_delay_alu instid0(VALU_DEP_1) | instskip(NEXT) | instid1(VALU_DEP_3)
	v_add_f64 v[13:14], v[13:14], -v[27:28]
	v_add_f64 v[27:28], v[27:28], -v[29:30]
	s_delay_alu instid0(VALU_DEP_2) | instskip(SKIP_1) | instid1(VALU_DEP_2)
	v_add_f64 v[13:14], v[13:14], v[15:16]
	v_fma_f64 v[15:16], v[25:26], s[14:15], v[15:16]
	v_add_f64 v[13:14], v[27:28], v[13:14]
	s_delay_alu instid0(VALU_DEP_1) | instskip(NEXT) | instid1(VALU_DEP_1)
	v_add_f64 v[13:14], v[13:14], -v[15:16]
	v_fma_f64 v[15:16], v[25:26], s[24:25], v[13:14]
	s_delay_alu instid0(VALU_DEP_1) | instskip(NEXT) | instid1(VALU_DEP_1)
	v_add_f64 v[13:14], v[29:30], v[15:16]
	v_add_f64 v[27:28], v[13:14], -v[29:30]
	v_cvt_i32_f64_e32 v29, v[25:26]
	s_delay_alu instid0(VALU_DEP_2)
	v_add_f64 v[15:16], v[15:16], -v[27:28]
.LBB94_58:                              ;   in Loop: Header=BB94_7 Depth=1
	s_or_b32 exec_lo, exec_lo, s10
                                        ; implicit-def: $vgpr22
                                        ; implicit-def: $vgpr25_vgpr26
                                        ; implicit-def: $vgpr27_vgpr28
	s_and_saveexec_b32 s10, s38
	s_delay_alu instid0(SALU_CYCLE_1)
	s_xor_b32 s14, exec_lo, s10
	s_cbranch_execz .LBB94_60
; %bb.59:                               ;   in Loop: Header=BB94_7 Depth=1
	v_ldexp_f64 v[25:26], |v[17:18]|, 0xffffff80
	v_cmp_le_f64_e64 vcc_lo, 0x7b000000, |v[17:18]|
	v_trig_preop_f64 v[27:28], |v[17:18]|, 0
	v_and_b32_e32 v22, 0x7fffffff, v18
	v_trig_preop_f64 v[32:33], |v[17:18]|, 1
	v_trig_preop_f64 v[38:39], |v[17:18]|, 2
	s_mov_b32 s10, s12
	s_mov_b32 s17, s15
	v_dual_cndmask_b32 v25, v17, v25 :: v_dual_cndmask_b32 v26, v22, v26
	s_delay_alu instid0(VALU_DEP_1) | instskip(NEXT) | instid1(VALU_DEP_4)
	v_mul_f64 v[30:31], v[27:28], v[25:26]
	v_mul_f64 v[34:35], v[32:33], v[25:26]
	s_delay_alu instid0(VALU_DEP_4) | instskip(NEXT) | instid1(VALU_DEP_3)
	v_mul_f64 v[40:41], v[38:39], v[25:26]
	v_fma_f64 v[27:28], v[27:28], v[25:26], -v[30:31]
	s_delay_alu instid0(VALU_DEP_3) | instskip(NEXT) | instid1(VALU_DEP_3)
	v_fma_f64 v[32:33], v[32:33], v[25:26], -v[34:35]
	v_fma_f64 v[25:26], v[38:39], v[25:26], -v[40:41]
	s_delay_alu instid0(VALU_DEP_3) | instskip(NEXT) | instid1(VALU_DEP_1)
	v_add_f64 v[38:39], v[34:35], v[27:28]
	v_add_f64 v[42:43], v[38:39], -v[34:35]
	s_delay_alu instid0(VALU_DEP_1) | instskip(SKIP_1) | instid1(VALU_DEP_1)
	v_add_f64 v[27:28], v[27:28], -v[42:43]
	v_add_f64 v[42:43], v[38:39], -v[42:43]
	;; [unrolled: 1-line block ×3, first 2 shown]
	v_add_f64 v[42:43], v[30:31], v[38:39]
	s_delay_alu instid0(VALU_DEP_2) | instskip(NEXT) | instid1(VALU_DEP_2)
	v_add_f64 v[27:28], v[27:28], v[34:35]
	v_add_f64 v[30:31], v[42:43], -v[30:31]
	v_add_f64 v[34:35], v[40:41], v[32:33]
	v_ldexp_f64 v[42:43], v[42:43], -2
	s_delay_alu instid0(VALU_DEP_3) | instskip(NEXT) | instid1(VALU_DEP_3)
	v_add_f64 v[30:31], v[38:39], -v[30:31]
	v_add_f64 v[38:39], v[34:35], -v[40:41]
	s_delay_alu instid0(VALU_DEP_3) | instskip(SKIP_1) | instid1(VALU_DEP_3)
	v_cmp_neq_f64_e64 vcc_lo, 0x7ff00000, |v[42:43]|
	v_fract_f64_e32 v[42:43], v[42:43]
	v_add_f64 v[32:33], v[32:33], -v[38:39]
	v_add_f64 v[38:39], v[34:35], -v[38:39]
	s_delay_alu instid0(VALU_DEP_3) | instskip(NEXT) | instid1(VALU_DEP_2)
	v_dual_cndmask_b32 v43, 0, v43 :: v_dual_cndmask_b32 v42, 0, v42
	v_add_f64 v[38:39], v[40:41], -v[38:39]
	v_add_f64 v[40:41], v[34:35], v[27:28]
	s_delay_alu instid0(VALU_DEP_2) | instskip(NEXT) | instid1(VALU_DEP_2)
	v_add_f64 v[32:33], v[32:33], v[38:39]
	v_add_f64 v[44:45], v[40:41], -v[34:35]
	v_add_f64 v[38:39], v[30:31], v[40:41]
	s_delay_alu instid0(VALU_DEP_2) | instskip(SKIP_1) | instid1(VALU_DEP_3)
	v_add_f64 v[27:28], v[27:28], -v[44:45]
	v_add_f64 v[44:45], v[40:41], -v[44:45]
	;; [unrolled: 1-line block ×3, first 2 shown]
	s_delay_alu instid0(VALU_DEP_2) | instskip(NEXT) | instid1(VALU_DEP_2)
	v_add_f64 v[34:35], v[34:35], -v[44:45]
	v_add_f64 v[30:31], v[40:41], -v[30:31]
	s_delay_alu instid0(VALU_DEP_2) | instskip(SKIP_1) | instid1(VALU_DEP_2)
	v_add_f64 v[27:28], v[27:28], v[34:35]
	v_ldexp_f64 v[34:35], v[42:43], 2
	v_add_f64 v[27:28], v[32:33], v[27:28]
	s_delay_alu instid0(VALU_DEP_2) | instskip(NEXT) | instid1(VALU_DEP_2)
	v_add_f64 v[42:43], v[38:39], v[34:35]
	v_add_f64 v[25:26], v[25:26], v[27:28]
	s_delay_alu instid0(VALU_DEP_2) | instskip(NEXT) | instid1(VALU_DEP_2)
	v_cmp_gt_f64_e32 vcc_lo, 0, v[42:43]
	v_add_f64 v[25:26], v[30:31], v[25:26]
	v_cndmask_b32_e64 v22, 0, 0x40100000, vcc_lo
	s_delay_alu instid0(VALU_DEP_1) | instskip(NEXT) | instid1(VALU_DEP_1)
	v_add_f64 v[27:28], v[34:35], v[21:22]
	v_add_f64 v[32:33], v[38:39], v[27:28]
	s_delay_alu instid0(VALU_DEP_1) | instskip(NEXT) | instid1(VALU_DEP_1)
	v_cvt_i32_f64_e32 v34, v[32:33]
	v_cvt_f64_i32_e32 v[32:33], v34
	s_delay_alu instid0(VALU_DEP_1) | instskip(NEXT) | instid1(VALU_DEP_1)
	v_add_f64 v[27:28], v[27:28], -v[32:33]
	v_add_f64 v[30:31], v[38:39], v[27:28]
	s_delay_alu instid0(VALU_DEP_1) | instskip(SKIP_1) | instid1(VALU_DEP_2)
	v_add_f64 v[27:28], v[30:31], -v[27:28]
	v_cmp_le_f64_e32 vcc_lo, 0.5, v[30:31]
	v_add_f64 v[27:28], v[38:39], -v[27:28]
	v_cndmask_b32_e64 v22, 0, 0x3ff00000, vcc_lo
	s_delay_alu instid0(VALU_DEP_1) | instskip(SKIP_1) | instid1(VALU_DEP_4)
	v_add_f64 v[30:31], v[30:31], -v[21:22]
	v_add_co_ci_u32_e32 v22, vcc_lo, 0, v34, vcc_lo
	v_add_f64 v[25:26], v[25:26], v[27:28]
	s_delay_alu instid0(VALU_DEP_1) | instskip(NEXT) | instid1(VALU_DEP_1)
	v_add_f64 v[27:28], v[30:31], v[25:26]
	v_add_f64 v[30:31], v[27:28], -v[30:31]
	s_delay_alu instid0(VALU_DEP_1) | instskip(SKIP_1) | instid1(VALU_DEP_1)
	v_add_f64 v[25:26], v[25:26], -v[30:31]
	v_mul_f64 v[30:31], v[27:28], s[10:11]
	v_fma_f64 v[32:33], v[27:28], s[10:11], -v[30:31]
	s_delay_alu instid0(VALU_DEP_1) | instskip(NEXT) | instid1(VALU_DEP_1)
	v_fma_f64 v[27:28], v[27:28], s[16:17], v[32:33]
	v_fma_f64 v[27:28], v[25:26], s[10:11], v[27:28]
	s_delay_alu instid0(VALU_DEP_1) | instskip(NEXT) | instid1(VALU_DEP_1)
	v_add_f64 v[25:26], v[30:31], v[27:28]
	v_add_f64 v[30:31], v[25:26], -v[30:31]
	s_delay_alu instid0(VALU_DEP_1)
	v_add_f64 v[27:28], v[27:28], -v[30:31]
	s_and_not1_saveexec_b32 s10, s14
	s_cbranch_execnz .LBB94_61
	s_branch .LBB94_62
.LBB94_60:                              ;   in Loop: Header=BB94_7 Depth=1
	s_and_not1_saveexec_b32 s10, s14
	s_cbranch_execz .LBB94_62
.LBB94_61:                              ;   in Loop: Header=BB94_7 Depth=1
	v_mul_f64 v[25:26], |v[17:18]|, s[18:19]
	s_mov_b32 s14, s22
	s_delay_alu instid0(VALU_DEP_1) | instskip(NEXT) | instid1(VALU_DEP_1)
	v_rndne_f64_e32 v[30:31], v[25:26]
	v_fma_f64 v[25:26], v[30:31], s[12:13], |v[17:18]|
	v_mul_f64 v[27:28], v[30:31], s[22:23]
	v_cvt_i32_f64_e32 v22, v[30:31]
	s_delay_alu instid0(VALU_DEP_3) | instskip(NEXT) | instid1(VALU_DEP_3)
	v_fma_f64 v[34:35], v[30:31], s[22:23], v[25:26]
	v_add_f64 v[32:33], v[25:26], v[27:28]
	s_delay_alu instid0(VALU_DEP_1) | instskip(NEXT) | instid1(VALU_DEP_3)
	v_add_f64 v[25:26], v[25:26], -v[32:33]
	v_add_f64 v[32:33], v[32:33], -v[34:35]
	s_delay_alu instid0(VALU_DEP_2) | instskip(SKIP_1) | instid1(VALU_DEP_2)
	v_add_f64 v[25:26], v[25:26], v[27:28]
	v_fma_f64 v[27:28], v[30:31], s[14:15], v[27:28]
	v_add_f64 v[25:26], v[32:33], v[25:26]
	s_delay_alu instid0(VALU_DEP_1) | instskip(NEXT) | instid1(VALU_DEP_1)
	v_add_f64 v[25:26], v[25:26], -v[27:28]
	v_fma_f64 v[27:28], v[30:31], s[24:25], v[25:26]
	s_delay_alu instid0(VALU_DEP_1) | instskip(NEXT) | instid1(VALU_DEP_1)
	v_add_f64 v[25:26], v[34:35], v[27:28]
	v_add_f64 v[32:33], v[25:26], -v[34:35]
	s_delay_alu instid0(VALU_DEP_1)
	v_add_f64 v[27:28], v[27:28], -v[32:33]
.LBB94_62:                              ;   in Loop: Header=BB94_7 Depth=1
	s_or_b32 exec_lo, exec_lo, s10
	s_delay_alu instid0(VALU_DEP_2) | instskip(NEXT) | instid1(VALU_DEP_2)
	v_mul_f64 v[30:31], v[13:14], v[13:14]
	v_mul_f64 v[40:41], v[15:16], 0.5
	s_delay_alu instid0(VALU_DEP_3) | instskip(SKIP_4) | instid1(VALU_DEP_3)
	v_mul_f64 v[46:47], v[27:28], 0.5
	s_mov_b32 s38, s40
	s_mov_b32 s83, s37
	;; [unrolled: 1-line block ×4, first 2 shown]
	v_mul_f64 v[32:33], v[30:31], 0.5
	v_mul_f64 v[42:43], v[13:14], -v[30:31]
	s_delay_alu instid0(VALU_DEP_2) | instskip(NEXT) | instid1(VALU_DEP_1)
	v_add_f64 v[34:35], -v[32:33], 1.0
	v_add_f64 v[38:39], -v[34:35], 1.0
	s_delay_alu instid0(VALU_DEP_1) | instskip(SKIP_1) | instid1(VALU_DEP_2)
	v_add_f64 v[32:33], v[38:39], -v[32:33]
	v_fma_f64 v[38:39], v[30:31], s[26:27], s[102:103]
	v_fma_f64 v[32:33], v[13:14], -v[15:16], v[32:33]
	s_delay_alu instid0(VALU_DEP_2) | instskip(NEXT) | instid1(VALU_DEP_1)
	v_fma_f64 v[38:39], v[30:31], v[38:39], s[28:29]
	v_fma_f64 v[38:39], v[30:31], v[38:39], s[30:31]
	s_delay_alu instid0(VALU_DEP_1) | instskip(NEXT) | instid1(VALU_DEP_1)
	v_fma_f64 v[38:39], v[30:31], v[38:39], s[36:37]
	v_fma_f64 v[38:39], v[42:43], v[38:39], v[40:41]
	s_delay_alu instid0(VALU_DEP_1) | instskip(SKIP_1) | instid1(VALU_DEP_2)
	v_fma_f64 v[15:16], v[30:31], v[38:39], -v[15:16]
	v_fma_f64 v[38:39], v[30:31], s[94:95], s[92:93]
	v_fma_f64 v[15:16], v[42:43], s[38:39], v[15:16]
	s_delay_alu instid0(VALU_DEP_2) | instskip(NEXT) | instid1(VALU_DEP_2)
	v_fma_f64 v[38:39], v[30:31], v[38:39], s[96:97]
	v_add_f64 v[13:14], v[13:14], -v[15:16]
	s_delay_alu instid0(VALU_DEP_2) | instskip(NEXT) | instid1(VALU_DEP_1)
	v_fma_f64 v[38:39], v[30:31], v[38:39], s[98:99]
	v_fma_f64 v[38:39], v[30:31], v[38:39], s[100:101]
	s_delay_alu instid0(VALU_DEP_1) | instskip(SKIP_1) | instid1(VALU_DEP_1)
	v_fma_f64 v[38:39], v[30:31], v[38:39], s[40:41]
	v_mul_f64 v[30:31], v[30:31], v[30:31]
	v_fma_f64 v[30:31], v[30:31], v[38:39], v[32:33]
	v_mul_f64 v[32:33], v[25:26], v[25:26]
	s_delay_alu instid0(VALU_DEP_2) | instskip(NEXT) | instid1(VALU_DEP_2)
	v_add_f64 v[30:31], v[34:35], v[30:31]
	v_mul_f64 v[38:39], v[32:33], 0.5
	v_mul_f64 v[48:49], v[25:26], -v[32:33]
	v_and_b32_e32 v17, 1, v29
	s_delay_alu instid0(VALU_DEP_1) | instskip(SKIP_1) | instid1(VALU_DEP_1)
	v_cmp_eq_u32_e32 vcc_lo, 0, v17
	v_lshlrev_b32_e32 v17, 30, v29
	v_xor_b32_e32 v17, v17, v18
	s_delay_alu instid0(VALU_DEP_1) | instskip(SKIP_1) | instid1(VALU_DEP_2)
	v_dual_cndmask_b32 v14, v31, v14 :: v_dual_and_b32 v17, 0x80000000, v17
	v_add_f64 v[40:41], -v[38:39], 1.0
	v_xor_b32_e32 v14, v14, v17
	v_and_b32_e32 v17, 1, v22
	s_delay_alu instid0(VALU_DEP_3) | instskip(NEXT) | instid1(VALU_DEP_1)
	v_add_f64 v[44:45], -v[40:41], 1.0
	v_add_f64 v[38:39], v[44:45], -v[38:39]
	v_fma_f64 v[44:45], v[32:33], s[26:27], s[102:103]
	s_delay_alu instid0(VALU_DEP_2) | instskip(NEXT) | instid1(VALU_DEP_2)
	v_fma_f64 v[38:39], v[25:26], -v[27:28], v[38:39]
	v_fma_f64 v[44:45], v[32:33], v[44:45], s[28:29]
	s_delay_alu instid0(VALU_DEP_1) | instskip(NEXT) | instid1(VALU_DEP_1)
	v_fma_f64 v[44:45], v[32:33], v[44:45], s[30:31]
	v_fma_f64 v[44:45], v[32:33], v[44:45], s[36:37]
	s_delay_alu instid0(VALU_DEP_1) | instskip(NEXT) | instid1(VALU_DEP_1)
	v_fma_f64 v[44:45], v[48:49], v[44:45], v[46:47]
	v_fma_f64 v[27:28], v[32:33], v[44:45], -v[27:28]
	v_fma_f64 v[44:45], v[32:33], s[94:95], s[92:93]
	s_delay_alu instid0(VALU_DEP_2) | instskip(NEXT) | instid1(VALU_DEP_2)
	v_fma_f64 v[27:28], v[48:49], s[38:39], v[27:28]
	v_fma_f64 v[44:45], v[32:33], v[44:45], s[96:97]
	s_delay_alu instid0(VALU_DEP_2) | instskip(NEXT) | instid1(VALU_DEP_2)
	v_add_f64 v[15:16], v[25:26], -v[27:28]
	v_fma_f64 v[44:45], v[32:33], v[44:45], s[98:99]
	s_delay_alu instid0(VALU_DEP_2) | instskip(NEXT) | instid1(VALU_DEP_2)
	v_xor_b32_e32 v16, 0x80000000, v16
	v_fma_f64 v[44:45], v[32:33], v[44:45], s[100:101]
	s_delay_alu instid0(VALU_DEP_1) | instskip(SKIP_1) | instid1(VALU_DEP_1)
	v_fma_f64 v[44:45], v[32:33], v[44:45], s[40:41]
	v_mul_f64 v[32:33], v[32:33], v[32:33]
	v_fma_f64 v[32:33], v[32:33], v[44:45], v[38:39]
	s_delay_alu instid0(VALU_DEP_1) | instskip(SKIP_3) | instid1(VALU_DEP_1)
	v_add_f64 v[25:26], v[40:41], v[32:33]
	v_cndmask_b32_e32 v13, v30, v13, vcc_lo
	v_cmp_eq_u32_e32 vcc_lo, 0, v17
	v_lshlrev_b32_e32 v17, 30, v22
	v_dual_cndmask_b32 v16, v16, v26 :: v_dual_and_b32 v17, 0x80000000, v17
	v_cndmask_b32_e32 v15, v15, v25, vcc_lo
	v_mul_f64 v[13:14], v[13:14], 4.0
	v_cmp_nlt_f64_e64 vcc_lo, 0x4090cc00, |v[19:20]|
	s_delay_alu instid0(VALU_DEP_4) | instskip(SKIP_1) | instid1(VALU_DEP_2)
	v_xor_b32_e32 v16, v16, v17
	v_mul_f64 v[17:18], |v[19:20]|, s[64:65]
	v_mul_f64 v[13:14], v[13:14], v[15:16]
	s_delay_alu instid0(VALU_DEP_2) | instskip(NEXT) | instid1(VALU_DEP_1)
	v_rndne_f64_e32 v[17:18], v[17:18]
	v_fma_f64 v[25:26], v[17:18], s[34:35], -|v[19:20]|
	s_delay_alu instid0(VALU_DEP_1) | instskip(SKIP_1) | instid1(VALU_DEP_2)
	v_fma_f64 v[25:26], v[17:18], s[60:61], v[25:26]
	v_cvt_i32_f64_e32 v17, v[17:18]
	v_fma_f64 v[27:28], v[25:26], s[72:73], s[70:71]
	s_delay_alu instid0(VALU_DEP_1) | instskip(NEXT) | instid1(VALU_DEP_1)
	v_fma_f64 v[27:28], v[25:26], v[27:28], s[74:75]
	v_fma_f64 v[27:28], v[25:26], v[27:28], s[76:77]
	s_delay_alu instid0(VALU_DEP_1) | instskip(NEXT) | instid1(VALU_DEP_1)
	v_fma_f64 v[27:28], v[25:26], v[27:28], s[78:79]
	;; [unrolled: 3-line block ×4, first 2 shown]
	v_fma_f64 v[27:28], v[25:26], v[27:28], s[88:89]
	s_delay_alu instid0(VALU_DEP_1) | instskip(NEXT) | instid1(VALU_DEP_1)
	v_fma_f64 v[27:28], v[25:26], v[27:28], 1.0
	v_fma_f64 v[25:26], v[25:26], v[27:28], 1.0
	s_delay_alu instid0(VALU_DEP_1) | instskip(NEXT) | instid1(VALU_DEP_1)
	v_ldexp_f64 v[17:18], v[25:26], v17
	v_dual_cndmask_b32 v16, 0, v18 :: v_dual_cndmask_b32 v15, 0, v17
	s_delay_alu instid0(VALU_DEP_1) | instskip(NEXT) | instid1(VALU_DEP_1)
	v_mul_f64 v[13:14], v[15:16], v[13:14]
	v_mul_f64 v[13:14], v[15:16], v[13:14]
	v_xor_b32_e32 v15, 0x80000000, v20
	s_delay_alu instid0(VALU_DEP_1) | instskip(NEXT) | instid1(VALU_DEP_1)
	v_bfi_b32 v22, 0x7fffffff, s10, v15
	v_dual_mov_b32 v15, v21 :: v_dual_mov_b32 v16, v22
.LBB94_63:                              ;   in Loop: Header=BB94_7 Depth=1
	s_or_b32 exec_lo, exec_lo, s2
                                        ; implicit-def: $vgpr17_vgpr18
.LBB94_64:                              ;   in Loop: Header=BB94_7 Depth=1
	s_and_not1_saveexec_b32 s2, s46
; %bb.65:                               ;   in Loop: Header=BB94_7 Depth=1
	v_add_f64 v[13:14], v[17:18], -v[17:18]
	s_delay_alu instid0(VALU_DEP_1)
	v_dual_mov_b32 v16, v14 :: v_dual_mov_b32 v15, v13
; %bb.66:                               ;   in Loop: Header=BB94_7 Depth=1
	s_or_b32 exec_lo, exec_lo, s2
                                        ; implicit-def: $vgpr17_vgpr18
.LBB94_67:                              ;   in Loop: Header=BB94_7 Depth=1
	s_and_not1_saveexec_b32 s46, s3
	s_cbranch_execz .LBB94_83
; %bb.68:                               ;   in Loop: Header=BB94_7 Depth=1
	s_delay_alu instid0(VALU_DEP_1) | instskip(SKIP_1) | instid1(VALU_DEP_1)
	v_and_or_b32 v13, 0xfffff, v16, v15
	s_mov_b32 s2, exec_lo
	v_cmpx_ne_u32_e32 0, v13
	s_xor_b32 s2, exec_lo, s2
; %bb.69:                               ;   in Loop: Header=BB94_7 Depth=1
	v_mul_f64 v[13:14], v[17:18], -v[19:20]
	v_cmp_eq_f64_e32 vcc_lo, 0, v[17:18]
	s_delay_alu instid0(VALU_DEP_2)
	v_dual_cndmask_b32 v14, v14, v18 :: v_dual_cndmask_b32 v13, v13, v17
                                        ; implicit-def: $vgpr17_vgpr18
; %bb.70:                               ;   in Loop: Header=BB94_7 Depth=1
	s_and_not1_saveexec_b32 s47, s2
	s_cbranch_execz .LBB94_82
; %bb.71:                               ;   in Loop: Header=BB94_7 Depth=1
	s_mov_b32 s57, exec_lo
	v_cmpx_neq_f64_e64 0x7ff00000, |v[17:18]|
	s_cbranch_execz .LBB94_81
; %bb.72:                               ;   in Loop: Header=BB94_7 Depth=1
	v_cmp_ngt_f64_e64 s2, 0x41d00000, |v[17:18]|
	v_trig_preop_f64 v[29:30], |v[17:18]|, 0
	v_trig_preop_f64 v[27:28], |v[17:18]|, 1
	v_ldexp_f64 v[31:32], |v[17:18]|, 0xffffff80
	v_trig_preop_f64 v[25:26], |v[17:18]|, 2
	v_and_b32_e32 v39, 0x7fffffff, v18
                                        ; implicit-def: $vgpr38
                                        ; implicit-def: $vgpr13_vgpr14
                                        ; implicit-def: $vgpr19_vgpr20
	s_and_saveexec_b32 s3, s2
	s_delay_alu instid0(SALU_CYCLE_1)
	s_xor_b32 s3, exec_lo, s3
	s_cbranch_execz .LBB94_74
; %bb.73:                               ;   in Loop: Header=BB94_7 Depth=1
	v_cmp_le_f64_e64 vcc_lo, 0x7b000000, |v[17:18]|
	s_mov_b32 s10, s12
	s_mov_b32 s17, s15
	s_delay_alu instid0(VALU_DEP_4) | instskip(NEXT) | instid1(VALU_DEP_1)
	v_dual_cndmask_b32 v14, v39, v32 :: v_dual_cndmask_b32 v13, v17, v31
	v_mul_f64 v[19:20], v[29:30], v[13:14]
	v_mul_f64 v[33:34], v[27:28], v[13:14]
	s_delay_alu instid0(VALU_DEP_2) | instskip(NEXT) | instid1(VALU_DEP_1)
	v_fma_f64 v[35:36], v[29:30], v[13:14], -v[19:20]
	v_add_f64 v[40:41], v[33:34], v[35:36]
	s_delay_alu instid0(VALU_DEP_1) | instskip(SKIP_1) | instid1(VALU_DEP_2)
	v_add_f64 v[42:43], v[40:41], -v[33:34]
	v_add_f64 v[44:45], v[19:20], v[40:41]
	v_add_f64 v[35:36], v[35:36], -v[42:43]
	s_delay_alu instid0(VALU_DEP_2) | instskip(SKIP_1) | instid1(VALU_DEP_2)
	v_add_f64 v[19:20], v[44:45], -v[19:20]
	v_add_f64 v[42:43], v[40:41], -v[42:43]
	;; [unrolled: 1-line block ×3, first 2 shown]
	s_delay_alu instid0(VALU_DEP_2) | instskip(SKIP_2) | instid1(VALU_DEP_3)
	v_add_f64 v[40:41], v[33:34], -v[42:43]
	v_fma_f64 v[33:34], v[27:28], v[13:14], -v[33:34]
	v_mul_f64 v[42:43], v[25:26], v[13:14]
	v_add_f64 v[35:36], v[35:36], v[40:41]
	v_ldexp_f64 v[40:41], v[44:45], -2
	s_delay_alu instid0(VALU_DEP_3) | instskip(SKIP_1) | instid1(VALU_DEP_3)
	v_add_f64 v[44:45], v[42:43], v[33:34]
	v_fma_f64 v[13:14], v[25:26], v[13:14], -v[42:43]
	v_cmp_neq_f64_e64 vcc_lo, 0x7ff00000, |v[40:41]|
	s_delay_alu instid0(VALU_DEP_3) | instskip(SKIP_2) | instid1(VALU_DEP_3)
	v_add_f64 v[48:49], v[44:45], v[35:36]
	v_add_f64 v[46:47], v[44:45], -v[42:43]
	v_fract_f64_e32 v[40:41], v[40:41]
	v_add_f64 v[50:51], v[48:49], -v[44:45]
	s_delay_alu instid0(VALU_DEP_3) | instskip(SKIP_1) | instid1(VALU_DEP_4)
	v_add_f64 v[33:34], v[33:34], -v[46:47]
	v_add_f64 v[46:47], v[44:45], -v[46:47]
	v_dual_cndmask_b32 v41, 0, v41 :: v_dual_cndmask_b32 v40, 0, v40
	s_delay_alu instid0(VALU_DEP_1) | instskip(SKIP_4) | instid1(VALU_DEP_3)
	v_ldexp_f64 v[40:41], v[40:41], 2
	v_add_f64 v[35:36], v[35:36], -v[50:51]
	v_add_f64 v[50:51], v[48:49], -v[50:51]
	;; [unrolled: 1-line block ×3, first 2 shown]
	v_add_f64 v[42:43], v[19:20], v[48:49]
	v_add_f64 v[44:45], v[44:45], -v[50:51]
	s_delay_alu instid0(VALU_DEP_3) | instskip(NEXT) | instid1(VALU_DEP_3)
	v_add_f64 v[33:34], v[33:34], v[46:47]
	v_add_f64 v[19:20], v[42:43], -v[19:20]
	s_delay_alu instid0(VALU_DEP_3) | instskip(SKIP_1) | instid1(VALU_DEP_3)
	v_add_f64 v[35:36], v[35:36], v[44:45]
	v_add_f64 v[44:45], v[42:43], v[40:41]
	v_add_f64 v[19:20], v[48:49], -v[19:20]
	s_delay_alu instid0(VALU_DEP_3) | instskip(NEXT) | instid1(VALU_DEP_3)
	v_add_f64 v[33:34], v[33:34], v[35:36]
	v_cmp_gt_f64_e32 vcc_lo, 0, v[44:45]
	s_delay_alu instid0(VALU_DEP_2) | instskip(SKIP_1) | instid1(VALU_DEP_1)
	v_add_f64 v[13:14], v[13:14], v[33:34]
	v_cndmask_b32_e64 v22, 0, 0x40100000, vcc_lo
	v_add_f64 v[33:34], v[40:41], v[21:22]
	s_delay_alu instid0(VALU_DEP_3) | instskip(NEXT) | instid1(VALU_DEP_2)
	v_add_f64 v[13:14], v[19:20], v[13:14]
	v_add_f64 v[35:36], v[42:43], v[33:34]
	s_delay_alu instid0(VALU_DEP_1) | instskip(NEXT) | instid1(VALU_DEP_1)
	v_cvt_i32_f64_e32 v38, v[35:36]
	v_cvt_f64_i32_e32 v[35:36], v38
	s_delay_alu instid0(VALU_DEP_1) | instskip(NEXT) | instid1(VALU_DEP_1)
	v_add_f64 v[33:34], v[33:34], -v[35:36]
	v_add_f64 v[19:20], v[42:43], v[33:34]
	s_delay_alu instid0(VALU_DEP_1) | instskip(SKIP_1) | instid1(VALU_DEP_2)
	v_add_f64 v[33:34], v[19:20], -v[33:34]
	v_cmp_le_f64_e32 vcc_lo, 0.5, v[19:20]
	v_add_f64 v[33:34], v[42:43], -v[33:34]
	v_cndmask_b32_e64 v22, 0, 0x3ff00000, vcc_lo
	v_add_co_ci_u32_e32 v38, vcc_lo, 0, v38, vcc_lo
	s_delay_alu instid0(VALU_DEP_2) | instskip(NEXT) | instid1(VALU_DEP_4)
	v_add_f64 v[19:20], v[19:20], -v[21:22]
	v_add_f64 v[13:14], v[13:14], v[33:34]
	s_delay_alu instid0(VALU_DEP_1) | instskip(NEXT) | instid1(VALU_DEP_1)
	v_add_f64 v[33:34], v[19:20], v[13:14]
	v_add_f64 v[19:20], v[33:34], -v[19:20]
	s_delay_alu instid0(VALU_DEP_1) | instskip(SKIP_1) | instid1(VALU_DEP_1)
	v_add_f64 v[13:14], v[13:14], -v[19:20]
	v_mul_f64 v[19:20], v[33:34], s[10:11]
	v_fma_f64 v[35:36], v[33:34], s[10:11], -v[19:20]
	s_delay_alu instid0(VALU_DEP_1) | instskip(NEXT) | instid1(VALU_DEP_1)
	v_fma_f64 v[33:34], v[33:34], s[16:17], v[35:36]
	v_fma_f64 v[33:34], v[13:14], s[10:11], v[33:34]
	s_delay_alu instid0(VALU_DEP_1) | instskip(NEXT) | instid1(VALU_DEP_1)
	v_add_f64 v[13:14], v[19:20], v[33:34]
	v_add_f64 v[19:20], v[13:14], -v[19:20]
	s_delay_alu instid0(VALU_DEP_1)
	v_add_f64 v[19:20], v[33:34], -v[19:20]
	s_and_not1_saveexec_b32 s3, s3
	s_cbranch_execz .LBB94_76
	s_branch .LBB94_75
.LBB94_74:                              ;   in Loop: Header=BB94_7 Depth=1
	s_and_not1_saveexec_b32 s3, s3
	s_cbranch_execz .LBB94_76
.LBB94_75:                              ;   in Loop: Header=BB94_7 Depth=1
	v_mul_f64 v[13:14], |v[17:18]|, s[18:19]
	s_mov_b32 s14, s22
	s_delay_alu instid0(VALU_DEP_1) | instskip(NEXT) | instid1(VALU_DEP_1)
	v_rndne_f64_e32 v[33:34], v[13:14]
	v_fma_f64 v[13:14], v[33:34], s[12:13], |v[17:18]|
	v_mul_f64 v[19:20], v[33:34], s[22:23]
	v_cvt_i32_f64_e32 v38, v[33:34]
	s_delay_alu instid0(VALU_DEP_3) | instskip(NEXT) | instid1(VALU_DEP_3)
	v_fma_f64 v[40:41], v[33:34], s[22:23], v[13:14]
	v_add_f64 v[35:36], v[13:14], v[19:20]
	s_delay_alu instid0(VALU_DEP_1) | instskip(NEXT) | instid1(VALU_DEP_3)
	v_add_f64 v[13:14], v[13:14], -v[35:36]
	v_add_f64 v[35:36], v[35:36], -v[40:41]
	s_delay_alu instid0(VALU_DEP_2) | instskip(SKIP_1) | instid1(VALU_DEP_2)
	v_add_f64 v[13:14], v[13:14], v[19:20]
	v_fma_f64 v[19:20], v[33:34], s[14:15], v[19:20]
	v_add_f64 v[13:14], v[35:36], v[13:14]
	s_delay_alu instid0(VALU_DEP_1) | instskip(NEXT) | instid1(VALU_DEP_1)
	v_add_f64 v[13:14], v[13:14], -v[19:20]
	v_fma_f64 v[19:20], v[33:34], s[24:25], v[13:14]
	s_delay_alu instid0(VALU_DEP_1) | instskip(NEXT) | instid1(VALU_DEP_1)
	v_add_f64 v[13:14], v[40:41], v[19:20]
	v_add_f64 v[35:36], v[13:14], -v[40:41]
	s_delay_alu instid0(VALU_DEP_1)
	v_add_f64 v[19:20], v[19:20], -v[35:36]
.LBB94_76:                              ;   in Loop: Header=BB94_7 Depth=1
	s_or_b32 exec_lo, exec_lo, s3
                                        ; implicit-def: $vgpr22
                                        ; implicit-def: $vgpr33_vgpr34
                                        ; implicit-def: $vgpr35_vgpr36
	s_and_saveexec_b32 s3, s2
	s_delay_alu instid0(SALU_CYCLE_1)
	s_xor_b32 s2, exec_lo, s3
	s_cbranch_execz .LBB94_78
; %bb.77:                               ;   in Loop: Header=BB94_7 Depth=1
	v_cmp_le_f64_e64 vcc_lo, 0x7b000000, |v[17:18]|
	s_mov_b32 s10, s12
	s_mov_b32 s17, s15
	s_delay_alu instid0(VALU_DEP_4) | instskip(NEXT) | instid1(VALU_DEP_1)
	v_dual_cndmask_b32 v32, v39, v32 :: v_dual_cndmask_b32 v31, v17, v31
	v_mul_f64 v[33:34], v[29:30], v[31:32]
	v_mul_f64 v[35:36], v[27:28], v[31:32]
	;; [unrolled: 1-line block ×3, first 2 shown]
	s_delay_alu instid0(VALU_DEP_3) | instskip(NEXT) | instid1(VALU_DEP_3)
	v_fma_f64 v[29:30], v[29:30], v[31:32], -v[33:34]
	v_fma_f64 v[27:28], v[27:28], v[31:32], -v[35:36]
	s_delay_alu instid0(VALU_DEP_3) | instskip(NEXT) | instid1(VALU_DEP_3)
	v_fma_f64 v[25:26], v[25:26], v[31:32], -v[39:40]
	v_add_f64 v[31:32], v[35:36], v[29:30]
	s_delay_alu instid0(VALU_DEP_1) | instskip(NEXT) | instid1(VALU_DEP_1)
	v_add_f64 v[41:42], v[31:32], -v[35:36]
	v_add_f64 v[29:30], v[29:30], -v[41:42]
	;; [unrolled: 1-line block ×3, first 2 shown]
	s_delay_alu instid0(VALU_DEP_1) | instskip(SKIP_1) | instid1(VALU_DEP_2)
	v_add_f64 v[35:36], v[35:36], -v[41:42]
	v_add_f64 v[41:42], v[33:34], v[31:32]
	v_add_f64 v[29:30], v[29:30], v[35:36]
	s_delay_alu instid0(VALU_DEP_2) | instskip(SKIP_1) | instid1(VALU_DEP_2)
	v_add_f64 v[33:34], v[41:42], -v[33:34]
	v_ldexp_f64 v[41:42], v[41:42], -2
	v_add_f64 v[31:32], v[31:32], -v[33:34]
	v_add_f64 v[33:34], v[39:40], v[27:28]
	s_delay_alu instid0(VALU_DEP_3) | instskip(SKIP_1) | instid1(VALU_DEP_3)
	v_cmp_neq_f64_e64 vcc_lo, 0x7ff00000, |v[41:42]|
	v_fract_f64_e32 v[41:42], v[41:42]
	v_add_f64 v[35:36], v[33:34], -v[39:40]
	s_delay_alu instid0(VALU_DEP_2) | instskip(NEXT) | instid1(VALU_DEP_2)
	v_dual_cndmask_b32 v42, 0, v42 :: v_dual_cndmask_b32 v41, 0, v41
	v_add_f64 v[27:28], v[27:28], -v[35:36]
	v_add_f64 v[35:36], v[33:34], -v[35:36]
	s_delay_alu instid0(VALU_DEP_1) | instskip(SKIP_1) | instid1(VALU_DEP_2)
	v_add_f64 v[35:36], v[39:40], -v[35:36]
	v_add_f64 v[39:40], v[33:34], v[29:30]
	v_add_f64 v[27:28], v[27:28], v[35:36]
	s_delay_alu instid0(VALU_DEP_2) | instskip(SKIP_1) | instid1(VALU_DEP_2)
	v_add_f64 v[43:44], v[39:40], -v[33:34]
	v_add_f64 v[35:36], v[31:32], v[39:40]
	v_add_f64 v[29:30], v[29:30], -v[43:44]
	v_add_f64 v[43:44], v[39:40], -v[43:44]
	s_delay_alu instid0(VALU_DEP_1) | instskip(NEXT) | instid1(VALU_DEP_1)
	v_add_f64 v[33:34], v[33:34], -v[43:44]
	v_add_f64 v[29:30], v[29:30], v[33:34]
	v_ldexp_f64 v[33:34], v[41:42], 2
	s_delay_alu instid0(VALU_DEP_2) | instskip(NEXT) | instid1(VALU_DEP_2)
	v_add_f64 v[27:28], v[27:28], v[29:30]
	v_add_f64 v[41:42], v[35:36], v[33:34]
	v_add_f64 v[29:30], v[35:36], -v[31:32]
	s_delay_alu instid0(VALU_DEP_3) | instskip(NEXT) | instid1(VALU_DEP_3)
	v_add_f64 v[25:26], v[25:26], v[27:28]
	v_cmp_gt_f64_e32 vcc_lo, 0, v[41:42]
	s_delay_alu instid0(VALU_DEP_3) | instskip(SKIP_1) | instid1(VALU_DEP_2)
	v_add_f64 v[29:30], v[39:40], -v[29:30]
	v_cndmask_b32_e64 v22, 0, 0x40100000, vcc_lo
	v_add_f64 v[25:26], v[29:30], v[25:26]
	s_delay_alu instid0(VALU_DEP_2) | instskip(NEXT) | instid1(VALU_DEP_1)
	v_add_f64 v[27:28], v[33:34], v[21:22]
	v_add_f64 v[31:32], v[35:36], v[27:28]
	s_delay_alu instid0(VALU_DEP_1) | instskip(NEXT) | instid1(VALU_DEP_1)
	v_cvt_i32_f64_e32 v39, v[31:32]
	v_cvt_f64_i32_e32 v[31:32], v39
	s_delay_alu instid0(VALU_DEP_1) | instskip(NEXT) | instid1(VALU_DEP_1)
	v_add_f64 v[27:28], v[27:28], -v[31:32]
	v_add_f64 v[29:30], v[35:36], v[27:28]
	s_delay_alu instid0(VALU_DEP_1) | instskip(SKIP_1) | instid1(VALU_DEP_2)
	v_add_f64 v[27:28], v[29:30], -v[27:28]
	v_cmp_le_f64_e32 vcc_lo, 0.5, v[29:30]
	v_add_f64 v[27:28], v[35:36], -v[27:28]
	v_cndmask_b32_e64 v22, 0, 0x3ff00000, vcc_lo
	s_delay_alu instid0(VALU_DEP_1) | instskip(SKIP_1) | instid1(VALU_DEP_4)
	v_add_f64 v[29:30], v[29:30], -v[21:22]
	v_add_co_ci_u32_e32 v22, vcc_lo, 0, v39, vcc_lo
	v_add_f64 v[25:26], v[25:26], v[27:28]
	s_delay_alu instid0(VALU_DEP_1) | instskip(NEXT) | instid1(VALU_DEP_1)
	v_add_f64 v[27:28], v[29:30], v[25:26]
	v_add_f64 v[29:30], v[27:28], -v[29:30]
	s_delay_alu instid0(VALU_DEP_1) | instskip(SKIP_1) | instid1(VALU_DEP_1)
	v_add_f64 v[25:26], v[25:26], -v[29:30]
	v_mul_f64 v[29:30], v[27:28], s[10:11]
	v_fma_f64 v[31:32], v[27:28], s[10:11], -v[29:30]
	s_delay_alu instid0(VALU_DEP_1) | instskip(NEXT) | instid1(VALU_DEP_1)
	v_fma_f64 v[27:28], v[27:28], s[16:17], v[31:32]
	v_fma_f64 v[25:26], v[25:26], s[10:11], v[27:28]
	s_delay_alu instid0(VALU_DEP_1) | instskip(NEXT) | instid1(VALU_DEP_1)
	v_add_f64 v[33:34], v[29:30], v[25:26]
	v_add_f64 v[27:28], v[33:34], -v[29:30]
	s_delay_alu instid0(VALU_DEP_1)
	v_add_f64 v[35:36], v[25:26], -v[27:28]
	s_and_not1_saveexec_b32 s2, s2
	s_cbranch_execnz .LBB94_79
	s_branch .LBB94_80
.LBB94_78:                              ;   in Loop: Header=BB94_7 Depth=1
	s_and_not1_saveexec_b32 s2, s2
	s_cbranch_execz .LBB94_80
.LBB94_79:                              ;   in Loop: Header=BB94_7 Depth=1
	v_mul_f64 v[25:26], |v[17:18]|, s[18:19]
	s_mov_b32 s14, s22
	s_delay_alu instid0(VALU_DEP_1) | instskip(NEXT) | instid1(VALU_DEP_1)
	v_rndne_f64_e32 v[25:26], v[25:26]
	v_fma_f64 v[27:28], v[25:26], s[12:13], |v[17:18]|
	v_mul_f64 v[29:30], v[25:26], s[22:23]
	v_cvt_i32_f64_e32 v22, v[25:26]
	s_delay_alu instid0(VALU_DEP_3) | instskip(NEXT) | instid1(VALU_DEP_3)
	v_fma_f64 v[35:36], v[25:26], s[22:23], v[27:28]
	v_add_f64 v[31:32], v[27:28], v[29:30]
	s_delay_alu instid0(VALU_DEP_1) | instskip(NEXT) | instid1(VALU_DEP_3)
	v_add_f64 v[27:28], v[27:28], -v[31:32]
	v_add_f64 v[31:32], v[31:32], -v[35:36]
	s_delay_alu instid0(VALU_DEP_2) | instskip(SKIP_1) | instid1(VALU_DEP_2)
	v_add_f64 v[27:28], v[27:28], v[29:30]
	v_fma_f64 v[29:30], v[25:26], s[14:15], v[29:30]
	v_add_f64 v[27:28], v[31:32], v[27:28]
	s_delay_alu instid0(VALU_DEP_1) | instskip(NEXT) | instid1(VALU_DEP_1)
	v_add_f64 v[27:28], v[27:28], -v[29:30]
	v_fma_f64 v[27:28], v[25:26], s[24:25], v[27:28]
	s_delay_alu instid0(VALU_DEP_1) | instskip(NEXT) | instid1(VALU_DEP_1)
	v_add_f64 v[33:34], v[35:36], v[27:28]
	v_add_f64 v[29:30], v[33:34], -v[35:36]
	s_delay_alu instid0(VALU_DEP_1)
	v_add_f64 v[35:36], v[27:28], -v[29:30]
.LBB94_80:                              ;   in Loop: Header=BB94_7 Depth=1
	s_or_b32 exec_lo, exec_lo, s2
	v_cmp_class_f64_e64 vcc_lo, v[17:18], 0x1f8
	v_lshlrev_b32_e32 v17, 30, v38
	s_delay_alu instid0(VALU_DEP_3) | instskip(NEXT) | instid1(VALU_DEP_4)
	v_mul_f64 v[31:32], v[19:20], 0.5
	v_mul_f64 v[43:44], v[35:36], 0.5
	s_mov_b32 s38, s40
	s_delay_alu instid0(VALU_DEP_3) | instskip(SKIP_1) | instid1(VALU_DEP_1)
	v_xor_b32_e32 v47, v17, v18
	v_mul_f64 v[17:18], v[13:14], v[13:14]
	v_mul_f64 v[25:26], v[17:18], 0.5
	v_mul_f64 v[39:40], v[13:14], -v[17:18]
	s_delay_alu instid0(VALU_DEP_2) | instskip(NEXT) | instid1(VALU_DEP_1)
	v_add_f64 v[27:28], -v[25:26], 1.0
	v_add_f64 v[29:30], -v[27:28], 1.0
	s_delay_alu instid0(VALU_DEP_1) | instskip(SKIP_1) | instid1(VALU_DEP_2)
	v_add_f64 v[25:26], v[29:30], -v[25:26]
	v_fma_f64 v[29:30], v[17:18], s[26:27], s[102:103]
	v_fma_f64 v[25:26], v[13:14], -v[19:20], v[25:26]
	s_delay_alu instid0(VALU_DEP_2) | instskip(NEXT) | instid1(VALU_DEP_1)
	v_fma_f64 v[29:30], v[17:18], v[29:30], s[28:29]
	v_fma_f64 v[29:30], v[17:18], v[29:30], s[30:31]
	s_delay_alu instid0(VALU_DEP_1) | instskip(NEXT) | instid1(VALU_DEP_1)
	v_fma_f64 v[29:30], v[17:18], v[29:30], s[36:37]
	v_fma_f64 v[29:30], v[39:40], v[29:30], v[31:32]
	s_delay_alu instid0(VALU_DEP_1) | instskip(SKIP_1) | instid1(VALU_DEP_2)
	v_fma_f64 v[19:20], v[17:18], v[29:30], -v[19:20]
	v_fma_f64 v[29:30], v[17:18], s[94:95], s[92:93]
	v_fma_f64 v[19:20], v[39:40], s[38:39], v[19:20]
	s_delay_alu instid0(VALU_DEP_2) | instskip(NEXT) | instid1(VALU_DEP_2)
	v_fma_f64 v[29:30], v[17:18], v[29:30], s[96:97]
	v_add_f64 v[13:14], v[13:14], -v[19:20]
	s_delay_alu instid0(VALU_DEP_2) | instskip(NEXT) | instid1(VALU_DEP_1)
	v_fma_f64 v[29:30], v[17:18], v[29:30], s[98:99]
	v_fma_f64 v[29:30], v[17:18], v[29:30], s[100:101]
	s_delay_alu instid0(VALU_DEP_1) | instskip(SKIP_1) | instid1(VALU_DEP_1)
	v_fma_f64 v[29:30], v[17:18], v[29:30], s[40:41]
	v_mul_f64 v[17:18], v[17:18], v[17:18]
	v_fma_f64 v[17:18], v[17:18], v[29:30], v[25:26]
	v_mul_f64 v[25:26], v[33:34], v[33:34]
	s_delay_alu instid0(VALU_DEP_2) | instskip(NEXT) | instid1(VALU_DEP_2)
	v_add_f64 v[17:18], v[27:28], v[17:18]
	v_mul_f64 v[29:30], v[25:26], 0.5
	v_mul_f64 v[45:46], v[33:34], -v[25:26]
	s_delay_alu instid0(VALU_DEP_2) | instskip(NEXT) | instid1(VALU_DEP_1)
	v_add_f64 v[31:32], -v[29:30], 1.0
	v_add_f64 v[41:42], -v[31:32], 1.0
	s_delay_alu instid0(VALU_DEP_1) | instskip(SKIP_1) | instid1(VALU_DEP_2)
	v_add_f64 v[29:30], v[41:42], -v[29:30]
	v_fma_f64 v[41:42], v[25:26], s[26:27], s[102:103]
	v_fma_f64 v[29:30], v[33:34], -v[35:36], v[29:30]
	s_delay_alu instid0(VALU_DEP_2) | instskip(NEXT) | instid1(VALU_DEP_1)
	v_fma_f64 v[41:42], v[25:26], v[41:42], s[28:29]
	v_fma_f64 v[41:42], v[25:26], v[41:42], s[30:31]
	s_delay_alu instid0(VALU_DEP_1) | instskip(NEXT) | instid1(VALU_DEP_1)
	v_fma_f64 v[41:42], v[25:26], v[41:42], s[36:37]
	v_fma_f64 v[41:42], v[45:46], v[41:42], v[43:44]
	s_delay_alu instid0(VALU_DEP_1) | instskip(SKIP_1) | instid1(VALU_DEP_1)
	v_fma_f64 v[35:36], v[25:26], v[41:42], -v[35:36]
	v_fma_f64 v[41:42], v[25:26], s[94:95], s[92:93]
	v_fma_f64 v[41:42], v[25:26], v[41:42], s[96:97]
	s_delay_alu instid0(VALU_DEP_1) | instskip(NEXT) | instid1(VALU_DEP_1)
	v_fma_f64 v[41:42], v[25:26], v[41:42], s[98:99]
	v_fma_f64 v[41:42], v[25:26], v[41:42], s[100:101]
	s_delay_alu instid0(VALU_DEP_1) | instskip(SKIP_1) | instid1(VALU_DEP_1)
	v_fma_f64 v[41:42], v[25:26], v[41:42], s[40:41]
	v_mul_f64 v[25:26], v[25:26], v[25:26]
	v_fma_f64 v[25:26], v[25:26], v[41:42], v[29:30]
	v_fma_f64 v[29:30], v[45:46], s[38:39], v[35:36]
	s_delay_alu instid0(VALU_DEP_2) | instskip(NEXT) | instid1(VALU_DEP_2)
	v_add_f64 v[19:20], v[31:32], v[25:26]
	v_add_f64 v[29:30], v[33:34], -v[29:30]
	v_and_b32_e32 v25, 1, v38
	s_delay_alu instid0(VALU_DEP_1) | instskip(NEXT) | instid1(VALU_DEP_1)
	v_cmp_eq_u32_e64 s2, 0, v25
	v_cndmask_b32_e64 v13, v17, v13, s2
	v_and_b32_e32 v26, 1, v22
	v_cndmask_b32_e64 v14, v18, v14, s2
	s_delay_alu instid0(VALU_DEP_3) | instskip(NEXT) | instid1(VALU_DEP_3)
	v_cndmask_b32_e32 v13, 0, v13, vcc_lo
	v_cmp_eq_u32_e64 s3, 0, v26
	v_and_b32_e32 v26, 0x80000000, v47
	s_delay_alu instid0(VALU_DEP_1) | instskip(NEXT) | instid1(VALU_DEP_1)
	v_xor_b32_e32 v14, v14, v26
	v_cndmask_b32_e32 v14, 0x7ff80000, v14, vcc_lo
	v_xor_b32_e32 v25, 0x80000000, v30
	v_cndmask_b32_e64 v17, v29, v19, s3
	v_lshlrev_b32_e32 v22, 30, v22
	s_delay_alu instid0(VALU_DEP_3) | instskip(NEXT) | instid1(VALU_DEP_2)
	v_cndmask_b32_e64 v20, v25, v20, s3
	v_dual_cndmask_b32 v17, 0, v17 :: v_dual_and_b32 v18, 0x80000000, v22
	s_delay_alu instid0(VALU_DEP_1) | instskip(NEXT) | instid1(VALU_DEP_1)
	v_xor_b32_e32 v18, v20, v18
	v_cndmask_b32_e32 v18, 0x7ff80000, v18, vcc_lo
	s_delay_alu instid0(VALU_DEP_1)
	v_mul_f64 v[17:18], v[13:14], v[17:18]
.LBB94_81:                              ;   in Loop: Header=BB94_7 Depth=1
	s_or_b32 exec_lo, exec_lo, s57
	s_delay_alu instid0(VALU_DEP_1) | instskip(SKIP_2) | instid1(VALU_DEP_3)
	v_bfi_b32 v22, 0x7fffffff, 0, v18
	v_add_co_u32 v15, vcc_lo, v15, 0
	v_add_co_ci_u32_e32 v16, vcc_lo, -2.0, v16, vcc_lo
	v_dual_mov_b32 v13, v21 :: v_dual_mov_b32 v14, v22
.LBB94_82:                              ;   in Loop: Header=BB94_7 Depth=1
	s_or_b32 exec_lo, exec_lo, s47
.LBB94_83:                              ;   in Loop: Header=BB94_7 Depth=1
	s_delay_alu instid0(SALU_CYCLE_1) | instskip(SKIP_3) | instid1(VALU_DEP_1)
	s_or_b32 exec_lo, exec_lo, s46
	s_waitcnt vmcnt(0)
	v_xor_b32_e32 v20, 0x80000000, v12
	s_mov_b32 s2, exec_lo
	v_dual_mov_b32 v19, v11 :: v_dual_and_b32 v22, 0x7fffffff, v20
	s_delay_alu instid0(VALU_DEP_1)
	v_cmpx_gt_u32_e32 0x7ff00000, v22
	s_xor_b32 s3, exec_lo, s2
	s_cbranch_execz .LBB94_105
; %bb.84:                               ;   in Loop: Header=BB94_7 Depth=1
	v_cmp_class_f64_e64 s2, v[9:10], 0x1f8
                                        ; implicit-def: $vgpr17_vgpr18
	s_delay_alu instid0(VALU_DEP_1) | instskip(NEXT) | instid1(SALU_CYCLE_1)
	s_and_saveexec_b32 s10, s2
	s_xor_b32 s46, exec_lo, s10
	s_cbranch_execz .LBB94_102
; %bb.85:                               ;   in Loop: Header=BB94_7 Depth=1
                                        ; implicit-def: $vgpr17_vgpr18
	s_mov_b32 s2, exec_lo
	v_cmpx_gt_u32_e32 0x40360000, v22
	s_xor_b32 s38, exec_lo, s2
	s_cbranch_execz .LBB94_91
; %bb.86:                               ;   in Loop: Header=BB94_7 Depth=1
	v_cmp_ngt_f64_e64 s2, 0x41d00000, |v[9:10]|
                                        ; implicit-def: $vgpr22
                                        ; implicit-def: $vgpr17_vgpr18
                                        ; implicit-def: $vgpr19_vgpr20
	s_delay_alu instid0(VALU_DEP_1) | instskip(NEXT) | instid1(SALU_CYCLE_1)
	s_and_saveexec_b32 s10, s2
	s_xor_b32 s2, exec_lo, s10
	s_cbranch_execz .LBB94_88
; %bb.87:                               ;   in Loop: Header=BB94_7 Depth=1
	v_ldexp_f64 v[17:18], |v[9:10]|, 0xffffff80
	v_cmp_le_f64_e64 vcc_lo, 0x7b000000, |v[9:10]|
	v_trig_preop_f64 v[19:20], |v[9:10]|, 0
	v_and_b32_e32 v22, 0x7fffffff, v10
	v_trig_preop_f64 v[27:28], |v[9:10]|, 1
	v_trig_preop_f64 v[31:32], |v[9:10]|, 2
	s_mov_b32 s10, s12
	s_mov_b32 s17, s15
	v_dual_cndmask_b32 v17, v9, v17 :: v_dual_cndmask_b32 v18, v22, v18
	s_delay_alu instid0(VALU_DEP_1) | instskip(NEXT) | instid1(VALU_DEP_4)
	v_mul_f64 v[25:26], v[19:20], v[17:18]
	v_mul_f64 v[29:30], v[27:28], v[17:18]
	s_delay_alu instid0(VALU_DEP_4) | instskip(NEXT) | instid1(VALU_DEP_3)
	v_mul_f64 v[33:34], v[31:32], v[17:18]
	v_fma_f64 v[19:20], v[19:20], v[17:18], -v[25:26]
	s_delay_alu instid0(VALU_DEP_3) | instskip(NEXT) | instid1(VALU_DEP_3)
	v_fma_f64 v[27:28], v[27:28], v[17:18], -v[29:30]
	v_fma_f64 v[17:18], v[31:32], v[17:18], -v[33:34]
	s_delay_alu instid0(VALU_DEP_3) | instskip(NEXT) | instid1(VALU_DEP_1)
	v_add_f64 v[31:32], v[29:30], v[19:20]
	v_add_f64 v[35:36], v[31:32], -v[29:30]
	s_delay_alu instid0(VALU_DEP_1) | instskip(SKIP_1) | instid1(VALU_DEP_1)
	v_add_f64 v[19:20], v[19:20], -v[35:36]
	v_add_f64 v[35:36], v[31:32], -v[35:36]
	;; [unrolled: 1-line block ×3, first 2 shown]
	v_add_f64 v[35:36], v[25:26], v[31:32]
	s_delay_alu instid0(VALU_DEP_2) | instskip(NEXT) | instid1(VALU_DEP_2)
	v_add_f64 v[19:20], v[19:20], v[29:30]
	v_add_f64 v[25:26], v[35:36], -v[25:26]
	v_add_f64 v[29:30], v[33:34], v[27:28]
	v_ldexp_f64 v[35:36], v[35:36], -2
	s_delay_alu instid0(VALU_DEP_3) | instskip(NEXT) | instid1(VALU_DEP_3)
	v_add_f64 v[25:26], v[31:32], -v[25:26]
	v_add_f64 v[31:32], v[29:30], -v[33:34]
	s_delay_alu instid0(VALU_DEP_3) | instskip(SKIP_1) | instid1(VALU_DEP_3)
	v_cmp_neq_f64_e64 vcc_lo, 0x7ff00000, |v[35:36]|
	v_fract_f64_e32 v[35:36], v[35:36]
	v_add_f64 v[27:28], v[27:28], -v[31:32]
	v_add_f64 v[31:32], v[29:30], -v[31:32]
	s_delay_alu instid0(VALU_DEP_3) | instskip(NEXT) | instid1(VALU_DEP_2)
	v_dual_cndmask_b32 v35, 0, v35 :: v_dual_cndmask_b32 v36, 0, v36
	v_add_f64 v[31:32], v[33:34], -v[31:32]
	v_add_f64 v[33:34], v[29:30], v[19:20]
	s_delay_alu instid0(VALU_DEP_2) | instskip(NEXT) | instid1(VALU_DEP_2)
	v_add_f64 v[27:28], v[27:28], v[31:32]
	v_add_f64 v[38:39], v[33:34], -v[29:30]
	v_add_f64 v[31:32], v[25:26], v[33:34]
	s_delay_alu instid0(VALU_DEP_2) | instskip(SKIP_1) | instid1(VALU_DEP_3)
	v_add_f64 v[19:20], v[19:20], -v[38:39]
	v_add_f64 v[38:39], v[33:34], -v[38:39]
	;; [unrolled: 1-line block ×3, first 2 shown]
	s_delay_alu instid0(VALU_DEP_2) | instskip(NEXT) | instid1(VALU_DEP_2)
	v_add_f64 v[29:30], v[29:30], -v[38:39]
	v_add_f64 v[25:26], v[33:34], -v[25:26]
	s_delay_alu instid0(VALU_DEP_2) | instskip(SKIP_1) | instid1(VALU_DEP_2)
	v_add_f64 v[19:20], v[19:20], v[29:30]
	v_ldexp_f64 v[29:30], v[35:36], 2
	v_add_f64 v[19:20], v[27:28], v[19:20]
	s_delay_alu instid0(VALU_DEP_2) | instskip(NEXT) | instid1(VALU_DEP_2)
	v_add_f64 v[35:36], v[31:32], v[29:30]
	v_add_f64 v[17:18], v[17:18], v[19:20]
	s_delay_alu instid0(VALU_DEP_2) | instskip(NEXT) | instid1(VALU_DEP_2)
	v_cmp_gt_f64_e32 vcc_lo, 0, v[35:36]
	v_add_f64 v[17:18], v[25:26], v[17:18]
	v_cndmask_b32_e64 v22, 0, 0x40100000, vcc_lo
	s_delay_alu instid0(VALU_DEP_1) | instskip(NEXT) | instid1(VALU_DEP_1)
	v_add_f64 v[19:20], v[29:30], v[21:22]
	v_add_f64 v[27:28], v[31:32], v[19:20]
	s_delay_alu instid0(VALU_DEP_1) | instskip(NEXT) | instid1(VALU_DEP_1)
	v_cvt_i32_f64_e32 v29, v[27:28]
	v_cvt_f64_i32_e32 v[27:28], v29
	s_delay_alu instid0(VALU_DEP_1) | instskip(NEXT) | instid1(VALU_DEP_1)
	v_add_f64 v[19:20], v[19:20], -v[27:28]
	v_add_f64 v[25:26], v[31:32], v[19:20]
	s_delay_alu instid0(VALU_DEP_1) | instskip(SKIP_1) | instid1(VALU_DEP_2)
	v_add_f64 v[19:20], v[25:26], -v[19:20]
	v_cmp_le_f64_e32 vcc_lo, 0.5, v[25:26]
	v_add_f64 v[19:20], v[31:32], -v[19:20]
	v_cndmask_b32_e64 v22, 0, 0x3ff00000, vcc_lo
	s_delay_alu instid0(VALU_DEP_1) | instskip(SKIP_1) | instid1(VALU_DEP_4)
	v_add_f64 v[25:26], v[25:26], -v[21:22]
	v_add_co_ci_u32_e32 v22, vcc_lo, 0, v29, vcc_lo
	v_add_f64 v[17:18], v[17:18], v[19:20]
	s_delay_alu instid0(VALU_DEP_1) | instskip(NEXT) | instid1(VALU_DEP_1)
	v_add_f64 v[19:20], v[25:26], v[17:18]
	v_add_f64 v[25:26], v[19:20], -v[25:26]
	s_delay_alu instid0(VALU_DEP_1) | instskip(SKIP_1) | instid1(VALU_DEP_1)
	v_add_f64 v[17:18], v[17:18], -v[25:26]
	v_mul_f64 v[25:26], v[19:20], s[10:11]
	v_fma_f64 v[27:28], v[19:20], s[10:11], -v[25:26]
	s_delay_alu instid0(VALU_DEP_1) | instskip(NEXT) | instid1(VALU_DEP_1)
	v_fma_f64 v[19:20], v[19:20], s[16:17], v[27:28]
	v_fma_f64 v[19:20], v[17:18], s[10:11], v[19:20]
	s_delay_alu instid0(VALU_DEP_1) | instskip(NEXT) | instid1(VALU_DEP_1)
	v_add_f64 v[17:18], v[25:26], v[19:20]
	v_add_f64 v[25:26], v[17:18], -v[25:26]
	s_delay_alu instid0(VALU_DEP_1)
	v_add_f64 v[19:20], v[19:20], -v[25:26]
.LBB94_88:                              ;   in Loop: Header=BB94_7 Depth=1
	s_and_not1_saveexec_b32 s2, s2
	s_cbranch_execz .LBB94_90
; %bb.89:                               ;   in Loop: Header=BB94_7 Depth=1
	v_mul_f64 v[17:18], |v[9:10]|, s[18:19]
	s_mov_b32 s14, s22
	s_delay_alu instid0(VALU_DEP_1) | instskip(NEXT) | instid1(VALU_DEP_1)
	v_rndne_f64_e32 v[25:26], v[17:18]
	v_fma_f64 v[17:18], v[25:26], s[12:13], |v[9:10]|
	v_mul_f64 v[19:20], v[25:26], s[22:23]
	v_cvt_i32_f64_e32 v22, v[25:26]
	s_delay_alu instid0(VALU_DEP_3) | instskip(NEXT) | instid1(VALU_DEP_3)
	v_fma_f64 v[29:30], v[25:26], s[22:23], v[17:18]
	v_add_f64 v[27:28], v[17:18], v[19:20]
	s_delay_alu instid0(VALU_DEP_1) | instskip(NEXT) | instid1(VALU_DEP_3)
	v_add_f64 v[17:18], v[17:18], -v[27:28]
	v_add_f64 v[27:28], v[27:28], -v[29:30]
	s_delay_alu instid0(VALU_DEP_2) | instskip(SKIP_1) | instid1(VALU_DEP_2)
	v_add_f64 v[17:18], v[17:18], v[19:20]
	v_fma_f64 v[19:20], v[25:26], s[14:15], v[19:20]
	v_add_f64 v[17:18], v[27:28], v[17:18]
	s_delay_alu instid0(VALU_DEP_1) | instskip(NEXT) | instid1(VALU_DEP_1)
	v_add_f64 v[17:18], v[17:18], -v[19:20]
	v_fma_f64 v[19:20], v[25:26], s[24:25], v[17:18]
	s_delay_alu instid0(VALU_DEP_1) | instskip(NEXT) | instid1(VALU_DEP_1)
	v_add_f64 v[17:18], v[29:30], v[19:20]
	v_add_f64 v[27:28], v[17:18], -v[29:30]
	s_delay_alu instid0(VALU_DEP_1)
	v_add_f64 v[19:20], v[19:20], -v[27:28]
.LBB94_90:                              ;   in Loop: Header=BB94_7 Depth=1
	s_or_b32 exec_lo, exec_lo, s2
	v_add_f64 v[25:26], |v[11:12]|, s[34:35]
	s_mov_b32 s58, s34
	s_mov_b32 s62, s64
	;; [unrolled: 1-line block ×5, first 2 shown]
	v_cmp_nge_f64_e64 vcc_lo, |v[11:12]|, s[90:91]
	v_cmp_gt_f64_e64 s2, 0x3e400000, |v[11:12]|
	s_mov_b32 s48, 0xa9a29f71
	s_mov_b32 s50, 0xc751c08c
	;; [unrolled: 1-line block ×4, first 2 shown]
	s_delay_alu instid0(VALU_DEP_3) | instskip(NEXT) | instid1(VALU_DEP_1)
	v_add_f64 v[27:28], v[25:26], -|v[11:12]|
	v_add_f64 v[29:30], v[27:28], -v[25:26]
	v_add_f64 v[27:28], v[27:28], s[58:59]
	s_delay_alu instid0(VALU_DEP_2) | instskip(NEXT) | instid1(VALU_DEP_1)
	v_add_f64 v[29:30], |v[11:12]|, v[29:30]
	v_add_f64 v[27:28], v[29:30], -v[27:28]
	s_delay_alu instid0(VALU_DEP_1) | instskip(NEXT) | instid1(VALU_DEP_1)
	v_add_f64 v[27:28], v[27:28], s[60:61]
	v_add_f64 v[29:30], v[25:26], v[27:28]
	s_delay_alu instid0(VALU_DEP_1) | instskip(NEXT) | instid1(VALU_DEP_1)
	v_add_f64 v[25:26], v[25:26], -v[29:30]
	v_add_f64 v[25:26], v[27:28], v[25:26]
	v_mul_f64 v[27:28], v[29:30], s[62:63]
	s_delay_alu instid0(VALU_DEP_1) | instskip(NEXT) | instid1(VALU_DEP_1)
	v_rndne_f64_e32 v[27:28], v[27:28]
	v_fma_f64 v[29:30], v[27:28], s[56:57], v[29:30]
	v_cvt_i32_f64_e32 v9, v[27:28]
	s_delay_alu instid0(VALU_DEP_2) | instskip(NEXT) | instid1(VALU_DEP_1)
	v_add_f64 v[31:32], v[25:26], v[29:30]
	v_add_f64 v[29:30], v[29:30], -v[31:32]
	s_delay_alu instid0(VALU_DEP_1) | instskip(SKIP_1) | instid1(VALU_DEP_1)
	v_add_f64 v[25:26], v[25:26], v[29:30]
	v_mul_f64 v[29:30], v[27:28], s[66:67]
	v_add_f64 v[33:34], v[31:32], v[29:30]
	s_delay_alu instid0(VALU_DEP_1) | instskip(NEXT) | instid1(VALU_DEP_1)
	v_add_f64 v[31:32], v[31:32], -v[33:34]
	v_add_f64 v[29:30], v[31:32], v[29:30]
	s_delay_alu instid0(VALU_DEP_1) | instskip(NEXT) | instid1(VALU_DEP_1)
	v_add_f64 v[25:26], v[25:26], v[29:30]
	v_add_f64 v[29:30], v[33:34], v[25:26]
	s_delay_alu instid0(VALU_DEP_1) | instskip(NEXT) | instid1(VALU_DEP_1)
	v_add_f64 v[31:32], v[33:34], -v[29:30]
	v_add_f64 v[25:26], v[25:26], v[31:32]
	v_mul_f64 v[31:32], v[27:28], s[68:69]
	s_delay_alu instid0(VALU_DEP_1) | instskip(NEXT) | instid1(VALU_DEP_1)
	v_add_f64 v[33:34], v[29:30], v[31:32]
	v_add_f64 v[29:30], v[29:30], -v[33:34]
	s_delay_alu instid0(VALU_DEP_1) | instskip(NEXT) | instid1(VALU_DEP_1)
	v_add_f64 v[29:30], v[29:30], v[31:32]
	v_add_f64 v[25:26], v[25:26], v[29:30]
	s_delay_alu instid0(VALU_DEP_1) | instskip(NEXT) | instid1(VALU_DEP_1)
	v_add_f64 v[29:30], v[33:34], v[25:26]
	v_add_f64 v[31:32], v[33:34], -v[29:30]
	s_delay_alu instid0(VALU_DEP_1) | instskip(SKIP_1) | instid1(VALU_DEP_2)
	v_add_f64 v[25:26], v[25:26], v[31:32]
	v_mul_f64 v[31:32], v[29:30], v[29:30]
	v_add_f64 v[35:36], v[25:26], v[25:26]
	s_delay_alu instid0(VALU_DEP_2) | instskip(NEXT) | instid1(VALU_DEP_1)
	v_fma_f64 v[33:34], v[29:30], v[29:30], -v[31:32]
	v_fma_f64 v[33:34], v[29:30], v[35:36], v[33:34]
	s_delay_alu instid0(VALU_DEP_1) | instskip(NEXT) | instid1(VALU_DEP_1)
	v_add_f64 v[35:36], v[31:32], v[33:34]
	v_add_f64 v[31:32], v[35:36], -v[31:32]
	s_delay_alu instid0(VALU_DEP_1) | instskip(SKIP_1) | instid1(VALU_DEP_1)
	v_add_f64 v[31:32], v[33:34], -v[31:32]
	v_fma_f64 v[33:34], v[29:30], s[72:73], s[70:71]
	v_fma_f64 v[33:34], v[29:30], v[33:34], s[74:75]
	s_delay_alu instid0(VALU_DEP_1) | instskip(NEXT) | instid1(VALU_DEP_1)
	v_fma_f64 v[33:34], v[29:30], v[33:34], s[76:77]
	v_fma_f64 v[33:34], v[29:30], v[33:34], s[78:79]
	s_delay_alu instid0(VALU_DEP_1) | instskip(NEXT) | instid1(VALU_DEP_1)
	;; [unrolled: 3-line block ×4, first 2 shown]
	v_fma_f64 v[33:34], v[29:30], v[33:34], s[88:89]
	v_mul_f64 v[38:39], v[35:36], v[33:34]
	s_delay_alu instid0(VALU_DEP_1) | instskip(NEXT) | instid1(VALU_DEP_1)
	v_fma_f64 v[35:36], v[35:36], v[33:34], -v[38:39]
	v_fma_f64 v[31:32], v[31:32], v[33:34], v[35:36]
	s_delay_alu instid0(VALU_DEP_1) | instskip(NEXT) | instid1(VALU_DEP_1)
	v_add_f64 v[33:34], v[38:39], v[31:32]
	v_add_f64 v[35:36], v[33:34], -v[38:39]
	s_delay_alu instid0(VALU_DEP_1) | instskip(SKIP_1) | instid1(VALU_DEP_2)
	v_add_f64 v[31:32], v[31:32], -v[35:36]
	v_add_f64 v[35:36], v[29:30], v[33:34]
	v_add_f64 v[25:26], v[25:26], v[31:32]
	s_delay_alu instid0(VALU_DEP_2) | instskip(NEXT) | instid1(VALU_DEP_1)
	v_add_f64 v[29:30], v[35:36], -v[29:30]
	v_add_f64 v[29:30], v[33:34], -v[29:30]
	s_delay_alu instid0(VALU_DEP_1) | instskip(NEXT) | instid1(VALU_DEP_1)
	v_add_f64 v[25:26], v[25:26], v[29:30]
	v_add_f64 v[29:30], v[35:36], v[25:26]
	s_delay_alu instid0(VALU_DEP_1) | instskip(NEXT) | instid1(VALU_DEP_1)
	v_add_f64 v[31:32], v[29:30], -v[35:36]
	v_add_f64 v[25:26], v[25:26], -v[31:32]
	v_add_f64 v[31:32], v[29:30], 1.0
	s_delay_alu instid0(VALU_DEP_1) | instskip(NEXT) | instid1(VALU_DEP_1)
	v_add_f64 v[33:34], v[31:32], -1.0
	v_add_f64 v[29:30], v[29:30], -v[33:34]
	s_delay_alu instid0(VALU_DEP_1) | instskip(NEXT) | instid1(VALU_DEP_1)
	v_add_f64 v[25:26], v[25:26], v[29:30]
	v_add_f64 v[27:28], v[31:32], v[25:26]
	s_delay_alu instid0(VALU_DEP_1) | instskip(SKIP_1) | instid1(VALU_DEP_2)
	v_add_f64 v[29:30], v[27:28], -v[31:32]
	v_ldexp_f64 v[27:28], v[27:28], v9
	v_add_f64 v[25:26], v[25:26], -v[29:30]
	s_delay_alu instid0(VALU_DEP_2) | instskip(NEXT) | instid1(VALU_DEP_1)
	v_rcp_f64_e32 v[31:32], v[27:28]
	v_ldexp_f64 v[25:26], v[25:26], v9
	v_and_b32_e32 v9, 0x7fffffff, v12
	v_xor_b32_e32 v12, 0x80000000, v12
	s_waitcnt_depctr 0xfff
	v_fma_f64 v[33:34], -v[27:28], v[31:32], 1.0
	s_delay_alu instid0(VALU_DEP_1) | instskip(NEXT) | instid1(VALU_DEP_1)
	v_fma_f64 v[31:32], v[33:34], v[31:32], v[31:32]
	v_fma_f64 v[29:30], -v[27:28], v[31:32], 1.0
	s_delay_alu instid0(VALU_DEP_1) | instskip(NEXT) | instid1(VALU_DEP_1)
	v_fma_f64 v[29:30], v[29:30], v[31:32], v[31:32]
	v_mul_f64 v[31:32], v[27:28], v[29:30]
	s_delay_alu instid0(VALU_DEP_1) | instskip(NEXT) | instid1(VALU_DEP_1)
	v_fma_f64 v[33:34], v[29:30], v[27:28], -v[31:32]
	v_fma_f64 v[33:34], v[29:30], v[25:26], v[33:34]
	s_delay_alu instid0(VALU_DEP_1) | instskip(NEXT) | instid1(VALU_DEP_1)
	v_add_f64 v[35:36], v[31:32], v[33:34]
	v_add_f64 v[31:32], v[35:36], -v[31:32]
	s_delay_alu instid0(VALU_DEP_1) | instskip(SKIP_1) | instid1(VALU_DEP_1)
	v_add_f64 v[31:32], v[31:32], -v[33:34]
	v_add_f64 v[33:34], -v[35:36], 1.0
	v_add_f64 v[38:39], -v[33:34], 1.0
	s_delay_alu instid0(VALU_DEP_1) | instskip(NEXT) | instid1(VALU_DEP_1)
	v_add_f64 v[35:36], v[38:39], -v[35:36]
	v_add_f64 v[31:32], v[31:32], v[35:36]
	s_delay_alu instid0(VALU_DEP_1) | instskip(NEXT) | instid1(VALU_DEP_1)
	v_add_f64 v[35:36], v[33:34], v[31:32]
	v_add_f64 v[33:34], v[33:34], -v[35:36]
	s_delay_alu instid0(VALU_DEP_1) | instskip(SKIP_1) | instid1(VALU_DEP_1)
	v_add_f64 v[31:32], v[31:32], v[33:34]
	v_mul_f64 v[33:34], v[29:30], v[35:36]
	v_mul_f64 v[38:39], v[27:28], v[33:34]
	s_delay_alu instid0(VALU_DEP_1) | instskip(NEXT) | instid1(VALU_DEP_1)
	v_fma_f64 v[40:41], v[33:34], v[27:28], -v[38:39]
	v_fma_f64 v[40:41], v[33:34], v[25:26], v[40:41]
	s_delay_alu instid0(VALU_DEP_1) | instskip(NEXT) | instid1(VALU_DEP_1)
	v_add_f64 v[42:43], v[38:39], v[40:41]
	v_add_f64 v[44:45], v[35:36], -v[42:43]
	v_add_f64 v[38:39], v[42:43], -v[38:39]
	s_delay_alu instid0(VALU_DEP_2) | instskip(NEXT) | instid1(VALU_DEP_2)
	v_add_f64 v[35:36], v[35:36], -v[44:45]
	v_add_f64 v[38:39], v[38:39], -v[40:41]
	s_delay_alu instid0(VALU_DEP_2) | instskip(NEXT) | instid1(VALU_DEP_1)
	v_add_f64 v[35:36], v[35:36], -v[42:43]
	v_add_f64 v[31:32], v[31:32], v[35:36]
	v_add_f64 v[35:36], v[29:30], v[33:34]
	s_delay_alu instid0(VALU_DEP_2) | instskip(NEXT) | instid1(VALU_DEP_2)
	v_add_f64 v[31:32], v[38:39], v[31:32]
	v_add_f64 v[38:39], v[35:36], -v[29:30]
	s_delay_alu instid0(VALU_DEP_2) | instskip(NEXT) | instid1(VALU_DEP_2)
	v_add_f64 v[31:32], v[44:45], v[31:32]
	v_add_f64 v[33:34], v[33:34], -v[38:39]
	s_delay_alu instid0(VALU_DEP_2) | instskip(NEXT) | instid1(VALU_DEP_1)
	v_mul_f64 v[29:30], v[29:30], v[31:32]
	v_add_f64 v[29:30], v[33:34], v[29:30]
	s_delay_alu instid0(VALU_DEP_1) | instskip(NEXT) | instid1(VALU_DEP_1)
	v_add_f64 v[31:32], v[35:36], v[29:30]
	v_add_f64 v[33:34], v[31:32], -v[35:36]
	v_ldexp_f64 v[31:32], v[31:32], -2
	s_delay_alu instid0(VALU_DEP_2) | instskip(NEXT) | instid1(VALU_DEP_2)
	v_add_f64 v[29:30], v[29:30], -v[33:34]
	v_add_f64 v[35:36], v[27:28], -v[31:32]
	s_delay_alu instid0(VALU_DEP_1) | instskip(NEXT) | instid1(VALU_DEP_1)
	v_add_f64 v[27:28], v[27:28], -v[35:36]
	v_add_f64 v[27:28], v[27:28], -v[31:32]
	s_delay_alu instid0(VALU_DEP_1) | instskip(SKIP_1) | instid1(VALU_DEP_1)
	v_add_f64 v[25:26], v[25:26], v[27:28]
	v_ldexp_f64 v[27:28], v[29:30], -2
	v_add_f64 v[25:26], v[25:26], -v[27:28]
	s_delay_alu instid0(VALU_DEP_1) | instskip(SKIP_1) | instid1(VALU_DEP_2)
	v_add_f64 v[25:26], v[35:36], v[25:26]
	v_and_b32_e32 v35, 0x80000000, v10
	v_cndmask_b32_e32 v26, 0x7ff00000, v26, vcc_lo
	s_delay_alu instid0(VALU_DEP_3) | instskip(NEXT) | instid1(VALU_DEP_2)
	v_cndmask_b32_e32 v25, 0, v25, vcc_lo
	v_cndmask_b32_e64 v9, v26, v9, s2
	s_delay_alu instid0(VALU_DEP_2) | instskip(NEXT) | instid1(VALU_DEP_2)
	v_cndmask_b32_e64 v11, v25, v11, s2
	v_bfi_b32 v12, 0x7fffffff, v9, v12
	s_delay_alu instid0(VALU_DEP_1) | instskip(NEXT) | instid1(VALU_DEP_1)
	v_fma_f64 v[25:26], v[11:12], v[11:12], 1.0
	v_cmp_gt_f64_e32 vcc_lo, 0x10000000, v[25:26]
	v_cndmask_b32_e64 v9, 0, 1, vcc_lo
	s_delay_alu instid0(VALU_DEP_1) | instskip(NEXT) | instid1(VALU_DEP_1)
	v_lshlrev_b32_e32 v9, 8, v9
	v_ldexp_f64 v[25:26], v[25:26], v9
	v_mul_f64 v[9:10], v[17:18], v[17:18]
	s_delay_alu instid0(VALU_DEP_2) | instskip(SKIP_3) | instid1(VALU_DEP_1)
	v_rsq_f64_e32 v[27:28], v[25:26]
	s_waitcnt_depctr 0xfff
	v_mul_f64 v[29:30], v[25:26], v[27:28]
	v_mul_f64 v[27:28], v[27:28], 0.5
	v_fma_f64 v[31:32], -v[27:28], v[29:30], 0.5
	s_delay_alu instid0(VALU_DEP_1) | instskip(SKIP_1) | instid1(VALU_DEP_2)
	v_fma_f64 v[29:30], v[29:30], v[31:32], v[29:30]
	v_fma_f64 v[27:28], v[27:28], v[31:32], v[27:28]
	v_fma_f64 v[31:32], -v[29:30], v[29:30], v[25:26]
	s_delay_alu instid0(VALU_DEP_1) | instskip(NEXT) | instid1(VALU_DEP_1)
	v_fma_f64 v[29:30], v[31:32], v[27:28], v[29:30]
	v_fma_f64 v[31:32], -v[29:30], v[29:30], v[25:26]
	s_delay_alu instid0(VALU_DEP_1) | instskip(SKIP_2) | instid1(VALU_DEP_1)
	v_fma_f64 v[27:28], v[31:32], v[27:28], v[29:30]
	v_add_f64 v[29:30], v[19:20], v[19:20]
	v_fma_f64 v[31:32], v[17:18], v[17:18], -v[9:10]
	v_fma_f64 v[29:30], v[17:18], v[29:30], v[31:32]
	s_delay_alu instid0(VALU_DEP_1) | instskip(NEXT) | instid1(VALU_DEP_1)
	v_add_f64 v[9:10], v[9:10], v[29:30]
	v_fma_f64 v[29:30], v[9:10], s[50:51], s[48:49]
	s_mov_b32 s48, 0x90a8aae0
	s_mov_b32 s49, 0x3f17746f
	s_delay_alu instid0(VALU_DEP_1) | instid1(SALU_CYCLE_1)
	v_fma_f64 v[29:30], v[9:10], v[29:30], s[48:49]
	s_mov_b32 s48, 0xa6fbf144
	s_mov_b32 s49, 0xbefbb44d
	s_delay_alu instid0(VALU_DEP_1) | instid1(SALU_CYCLE_1)
	v_fma_f64 v[29:30], v[9:10], v[29:30], s[48:49]
	s_mov_b32 s48, 0xa7943acf
	s_mov_b32 s49, 0x3f21e634
	s_delay_alu instid0(VALU_DEP_1) | instid1(SALU_CYCLE_1)
	v_fma_f64 v[29:30], v[9:10], v[29:30], s[48:49]
	s_mov_b32 s48, 0xdeb68feb
	s_mov_b32 s49, 0x3f2d250f
	s_delay_alu instid0(VALU_DEP_1) | instid1(SALU_CYCLE_1)
	v_fma_f64 v[29:30], v[9:10], v[29:30], s[48:49]
	s_mov_b32 s48, 0xb58c4d95
	s_mov_b32 s49, 0x3f437fd9
	s_delay_alu instid0(VALU_DEP_1) | instid1(SALU_CYCLE_1)
	v_fma_f64 v[29:30], v[9:10], v[29:30], s[48:49]
	s_mov_b32 s48, 0x15120e2c
	s_mov_b32 s49, 0x3f57d5af
	s_delay_alu instid0(VALU_DEP_1) | instid1(SALU_CYCLE_1)
	v_fma_f64 v[29:30], v[9:10], v[29:30], s[48:49]
	s_mov_b32 s48, 0xe09491df
	s_mov_b32 s49, 0x3f6d6d93
	s_delay_alu instid0(VALU_DEP_1) | instid1(SALU_CYCLE_1)
	v_fma_f64 v[29:30], v[9:10], v[29:30], s[48:49]
	s_mov_b32 s48, 0x2033784d
	s_mov_b32 s49, 0x3f8226e1
	s_delay_alu instid0(VALU_DEP_1) | instid1(SALU_CYCLE_1)
	v_fma_f64 v[29:30], v[9:10], v[29:30], s[48:49]
	s_mov_b32 s48, 0x9ac36ae2
	s_mov_b32 s49, 0x3f9664f4
	s_delay_alu instid0(VALU_DEP_1) | instid1(SALU_CYCLE_1)
	v_fma_f64 v[29:30], v[9:10], v[29:30], s[48:49]
	s_mov_b32 s48, 0x1b451c21
	s_mov_b32 s49, 0x3faba1ba
	s_delay_alu instid0(VALU_DEP_1) | instid1(SALU_CYCLE_1)
	v_fma_f64 v[29:30], v[9:10], v[29:30], s[48:49]
	s_delay_alu instid0(VALU_DEP_1) | instskip(NEXT) | instid1(VALU_DEP_1)
	v_fma_f64 v[29:30], v[9:10], v[29:30], s[52:53]
	v_fma_f64 v[29:30], v[9:10], v[29:30], s[54:55]
	s_delay_alu instid0(VALU_DEP_1) | instskip(NEXT) | instid1(VALU_DEP_1)
	v_mul_f64 v[9:10], v[9:10], v[29:30]
	v_mul_f64 v[29:30], v[17:18], v[9:10]
	s_delay_alu instid0(VALU_DEP_1) | instskip(NEXT) | instid1(VALU_DEP_1)
	v_fma_f64 v[9:10], v[17:18], v[9:10], -v[29:30]
	v_add_f64 v[9:10], v[19:20], v[9:10]
	v_add_f64 v[19:20], v[17:18], v[29:30]
	s_delay_alu instid0(VALU_DEP_1) | instskip(NEXT) | instid1(VALU_DEP_1)
	v_add_f64 v[17:18], v[19:20], -v[17:18]
	v_add_f64 v[17:18], v[29:30], -v[17:18]
	s_delay_alu instid0(VALU_DEP_1) | instskip(NEXT) | instid1(VALU_DEP_1)
	v_add_f64 v[9:10], v[9:10], v[17:18]
	v_add_f64 v[17:18], v[19:20], v[9:10]
	s_delay_alu instid0(VALU_DEP_1) | instskip(SKIP_1) | instid1(VALU_DEP_1)
	v_rcp_f64_e32 v[29:30], v[17:18]
	v_add_f64 v[19:20], v[17:18], -v[19:20]
	v_add_f64 v[9:10], v[9:10], -v[19:20]
	s_waitcnt_depctr 0xfff
	v_fma_f64 v[31:32], -v[17:18], v[29:30], 1.0
	s_delay_alu instid0(VALU_DEP_1) | instskip(NEXT) | instid1(VALU_DEP_1)
	v_fma_f64 v[29:30], v[31:32], v[29:30], v[29:30]
	v_fma_f64 v[31:32], -v[17:18], v[29:30], 1.0
	s_delay_alu instid0(VALU_DEP_1) | instskip(NEXT) | instid1(VALU_DEP_1)
	v_fma_f64 v[29:30], v[31:32], v[29:30], v[29:30]
	v_mul_f64 v[19:20], v[17:18], v[29:30]
	s_delay_alu instid0(VALU_DEP_1) | instskip(NEXT) | instid1(VALU_DEP_1)
	v_fma_f64 v[31:32], v[29:30], v[17:18], -v[19:20]
	v_fma_f64 v[9:10], v[29:30], v[9:10], v[31:32]
	s_delay_alu instid0(VALU_DEP_1) | instskip(NEXT) | instid1(VALU_DEP_1)
	v_add_f64 v[31:32], v[19:20], v[9:10]
	v_add_f64 v[19:20], v[31:32], -v[19:20]
	s_delay_alu instid0(VALU_DEP_1) | instskip(SKIP_1) | instid1(VALU_DEP_1)
	v_add_f64 v[9:10], v[19:20], -v[9:10]
	v_add_f64 v[19:20], -v[31:32], 1.0
	v_add_f64 v[33:34], -v[19:20], 1.0
	s_delay_alu instid0(VALU_DEP_1) | instskip(NEXT) | instid1(VALU_DEP_1)
	v_add_f64 v[31:32], v[33:34], -v[31:32]
	v_add_f64 v[9:10], v[9:10], v[31:32]
	s_delay_alu instid0(VALU_DEP_1) | instskip(SKIP_1) | instid1(VALU_DEP_1)
	v_add_f64 v[9:10], v[19:20], v[9:10]
	v_and_b32_e32 v19, 1, v22
	v_cmp_eq_u32_e64 s2, 0, v19
	s_delay_alu instid0(VALU_DEP_3) | instskip(NEXT) | instid1(VALU_DEP_1)
	v_mul_f64 v[9:10], v[29:30], v[9:10]
	v_add_f64 v[9:10], v[29:30], v[9:10]
	s_delay_alu instid0(VALU_DEP_1) | instskip(NEXT) | instid1(VALU_DEP_2)
	v_xor_b32_e32 v10, 0x80000000, v10
	v_cndmask_b32_e64 v9, v9, v17, s2
	s_delay_alu instid0(VALU_DEP_2) | instskip(SKIP_2) | instid1(VALU_DEP_3)
	v_cndmask_b32_e64 v10, v10, v18, s2
	v_cndmask_b32_e64 v18, 0, 0xffffff80, vcc_lo
	v_cmp_class_f64_e64 vcc_lo, v[25:26], 0x260
	v_xor_b32_e32 v10, v10, v35
	s_delay_alu instid0(VALU_DEP_3) | instskip(NEXT) | instid1(VALU_DEP_2)
	v_ldexp_f64 v[17:18], v[27:28], v18
	v_fma_f64 v[19:20], v[9:10], v[9:10], 1.0
	s_delay_alu instid0(VALU_DEP_2) | instskip(NEXT) | instid1(VALU_DEP_2)
	v_dual_cndmask_b32 v18, v18, v26 :: v_dual_cndmask_b32 v17, v17, v25
	v_mul_f64 v[25:26], v[11:12], v[19:20]
	s_delay_alu instid0(VALU_DEP_2) | instskip(NEXT) | instid1(VALU_DEP_2)
	v_mul_f64 v[17:18], v[17:18], v[19:20]
	v_fma_f64 v[25:26], v[11:12], v[25:26], 1.0
	s_delay_alu instid0(VALU_DEP_2) | instskip(NEXT) | instid1(VALU_DEP_1)
	v_mul_f64 v[11:12], v[11:12], v[17:18]
	v_div_scale_f64 v[17:18], null, v[25:26], v[25:26], v[11:12]
	s_delay_alu instid0(VALU_DEP_1) | instskip(SKIP_2) | instid1(VALU_DEP_1)
	v_rcp_f64_e32 v[19:20], v[17:18]
	s_waitcnt_depctr 0xfff
	v_fma_f64 v[27:28], -v[17:18], v[19:20], 1.0
	v_fma_f64 v[19:20], v[19:20], v[27:28], v[19:20]
	s_delay_alu instid0(VALU_DEP_1) | instskip(NEXT) | instid1(VALU_DEP_1)
	v_fma_f64 v[27:28], -v[17:18], v[19:20], 1.0
	v_fma_f64 v[19:20], v[19:20], v[27:28], v[19:20]
	v_div_scale_f64 v[27:28], vcc_lo, v[11:12], v[25:26], v[11:12]
	s_delay_alu instid0(VALU_DEP_1) | instskip(NEXT) | instid1(VALU_DEP_1)
	v_mul_f64 v[29:30], v[27:28], v[19:20]
	v_fma_f64 v[17:18], -v[17:18], v[29:30], v[27:28]
	s_delay_alu instid0(VALU_DEP_1) | instskip(SKIP_1) | instid1(VALU_DEP_1)
	v_div_fmas_f64 v[17:18], v[17:18], v[19:20], v[29:30]
	v_div_scale_f64 v[19:20], null, v[25:26], v[25:26], v[9:10]
	v_rcp_f64_e32 v[27:28], v[19:20]
	s_waitcnt_depctr 0xfff
	v_fma_f64 v[29:30], -v[19:20], v[27:28], 1.0
	s_delay_alu instid0(VALU_DEP_1) | instskip(NEXT) | instid1(VALU_DEP_1)
	v_fma_f64 v[27:28], v[27:28], v[29:30], v[27:28]
	v_fma_f64 v[29:30], -v[19:20], v[27:28], 1.0
	s_delay_alu instid0(VALU_DEP_1) | instskip(SKIP_1) | instid1(VALU_DEP_1)
	v_fma_f64 v[27:28], v[27:28], v[29:30], v[27:28]
	v_div_scale_f64 v[29:30], vcc_lo, v[9:10], v[25:26], v[9:10]
	v_mul_f64 v[31:32], v[29:30], v[27:28]
	s_delay_alu instid0(VALU_DEP_1) | instskip(NEXT) | instid1(VALU_DEP_1)
	v_fma_f64 v[19:20], -v[19:20], v[31:32], v[29:30]
	v_div_fmas_f64 v[27:28], v[19:20], v[27:28], v[31:32]
	v_div_fixup_f64 v[19:20], v[17:18], v[25:26], v[11:12]
	s_delay_alu instid0(VALU_DEP_2)
	v_div_fixup_f64 v[17:18], v[27:28], v[25:26], v[9:10]
                                        ; implicit-def: $vgpr9_vgpr10
.LBB94_91:                              ;   in Loop: Header=BB94_7 Depth=1
	s_and_not1_saveexec_b32 s2, s38
	s_cbranch_execz .LBB94_101
; %bb.92:                               ;   in Loop: Header=BB94_7 Depth=1
	v_cmp_ngt_f64_e64 s38, 0x41d00000, |v[9:10]|
                                        ; implicit-def: $vgpr29
                                        ; implicit-def: $vgpr17_vgpr18
                                        ; implicit-def: $vgpr19_vgpr20
	s_delay_alu instid0(VALU_DEP_1) | instskip(NEXT) | instid1(SALU_CYCLE_1)
	s_and_saveexec_b32 s10, s38
	s_xor_b32 s14, exec_lo, s10
	s_cbranch_execz .LBB94_94
; %bb.93:                               ;   in Loop: Header=BB94_7 Depth=1
	v_ldexp_f64 v[17:18], |v[9:10]|, 0xffffff80
	v_cmp_le_f64_e64 vcc_lo, 0x7b000000, |v[9:10]|
	v_trig_preop_f64 v[19:20], |v[9:10]|, 0
	v_and_b32_e32 v22, 0x7fffffff, v10
	v_trig_preop_f64 v[27:28], |v[9:10]|, 1
	v_trig_preop_f64 v[31:32], |v[9:10]|, 2
	s_mov_b32 s10, s12
	s_mov_b32 s17, s15
	v_dual_cndmask_b32 v17, v9, v17 :: v_dual_cndmask_b32 v18, v22, v18
	s_delay_alu instid0(VALU_DEP_1) | instskip(NEXT) | instid1(VALU_DEP_4)
	v_mul_f64 v[25:26], v[19:20], v[17:18]
	v_mul_f64 v[29:30], v[27:28], v[17:18]
	s_delay_alu instid0(VALU_DEP_4) | instskip(NEXT) | instid1(VALU_DEP_3)
	v_mul_f64 v[33:34], v[31:32], v[17:18]
	v_fma_f64 v[19:20], v[19:20], v[17:18], -v[25:26]
	s_delay_alu instid0(VALU_DEP_3) | instskip(NEXT) | instid1(VALU_DEP_3)
	v_fma_f64 v[27:28], v[27:28], v[17:18], -v[29:30]
	v_fma_f64 v[17:18], v[31:32], v[17:18], -v[33:34]
	s_delay_alu instid0(VALU_DEP_3) | instskip(NEXT) | instid1(VALU_DEP_1)
	v_add_f64 v[31:32], v[29:30], v[19:20]
	v_add_f64 v[35:36], v[31:32], -v[29:30]
	s_delay_alu instid0(VALU_DEP_1) | instskip(SKIP_1) | instid1(VALU_DEP_1)
	v_add_f64 v[19:20], v[19:20], -v[35:36]
	v_add_f64 v[35:36], v[31:32], -v[35:36]
	;; [unrolled: 1-line block ×3, first 2 shown]
	v_add_f64 v[35:36], v[25:26], v[31:32]
	s_delay_alu instid0(VALU_DEP_2) | instskip(NEXT) | instid1(VALU_DEP_2)
	v_add_f64 v[19:20], v[19:20], v[29:30]
	v_add_f64 v[25:26], v[35:36], -v[25:26]
	v_add_f64 v[29:30], v[33:34], v[27:28]
	v_ldexp_f64 v[35:36], v[35:36], -2
	s_delay_alu instid0(VALU_DEP_3) | instskip(NEXT) | instid1(VALU_DEP_3)
	v_add_f64 v[25:26], v[31:32], -v[25:26]
	v_add_f64 v[31:32], v[29:30], -v[33:34]
	s_delay_alu instid0(VALU_DEP_3) | instskip(SKIP_1) | instid1(VALU_DEP_3)
	v_cmp_neq_f64_e64 vcc_lo, 0x7ff00000, |v[35:36]|
	v_fract_f64_e32 v[35:36], v[35:36]
	v_add_f64 v[27:28], v[27:28], -v[31:32]
	v_add_f64 v[31:32], v[29:30], -v[31:32]
	s_delay_alu instid0(VALU_DEP_3) | instskip(NEXT) | instid1(VALU_DEP_2)
	v_dual_cndmask_b32 v35, 0, v35 :: v_dual_cndmask_b32 v36, 0, v36
	v_add_f64 v[31:32], v[33:34], -v[31:32]
	v_add_f64 v[33:34], v[29:30], v[19:20]
	s_delay_alu instid0(VALU_DEP_2) | instskip(NEXT) | instid1(VALU_DEP_2)
	v_add_f64 v[27:28], v[27:28], v[31:32]
	v_add_f64 v[38:39], v[33:34], -v[29:30]
	v_add_f64 v[31:32], v[25:26], v[33:34]
	s_delay_alu instid0(VALU_DEP_2) | instskip(SKIP_1) | instid1(VALU_DEP_3)
	v_add_f64 v[19:20], v[19:20], -v[38:39]
	v_add_f64 v[38:39], v[33:34], -v[38:39]
	;; [unrolled: 1-line block ×3, first 2 shown]
	s_delay_alu instid0(VALU_DEP_2) | instskip(NEXT) | instid1(VALU_DEP_2)
	v_add_f64 v[29:30], v[29:30], -v[38:39]
	v_add_f64 v[25:26], v[33:34], -v[25:26]
	s_delay_alu instid0(VALU_DEP_2) | instskip(SKIP_1) | instid1(VALU_DEP_2)
	v_add_f64 v[19:20], v[19:20], v[29:30]
	v_ldexp_f64 v[29:30], v[35:36], 2
	v_add_f64 v[19:20], v[27:28], v[19:20]
	s_delay_alu instid0(VALU_DEP_2) | instskip(NEXT) | instid1(VALU_DEP_2)
	v_add_f64 v[35:36], v[31:32], v[29:30]
	v_add_f64 v[17:18], v[17:18], v[19:20]
	s_delay_alu instid0(VALU_DEP_2) | instskip(NEXT) | instid1(VALU_DEP_2)
	v_cmp_gt_f64_e32 vcc_lo, 0, v[35:36]
	v_add_f64 v[17:18], v[25:26], v[17:18]
	v_cndmask_b32_e64 v22, 0, 0x40100000, vcc_lo
	s_delay_alu instid0(VALU_DEP_1) | instskip(NEXT) | instid1(VALU_DEP_1)
	v_add_f64 v[19:20], v[29:30], v[21:22]
	v_add_f64 v[27:28], v[31:32], v[19:20]
	s_delay_alu instid0(VALU_DEP_1) | instskip(NEXT) | instid1(VALU_DEP_1)
	v_cvt_i32_f64_e32 v29, v[27:28]
	v_cvt_f64_i32_e32 v[27:28], v29
	s_delay_alu instid0(VALU_DEP_1) | instskip(NEXT) | instid1(VALU_DEP_1)
	v_add_f64 v[19:20], v[19:20], -v[27:28]
	v_add_f64 v[25:26], v[31:32], v[19:20]
	s_delay_alu instid0(VALU_DEP_1) | instskip(SKIP_1) | instid1(VALU_DEP_2)
	v_add_f64 v[19:20], v[25:26], -v[19:20]
	v_cmp_le_f64_e32 vcc_lo, 0.5, v[25:26]
	v_add_f64 v[19:20], v[31:32], -v[19:20]
	v_cndmask_b32_e64 v22, 0, 0x3ff00000, vcc_lo
	v_add_co_ci_u32_e32 v29, vcc_lo, 0, v29, vcc_lo
	s_delay_alu instid0(VALU_DEP_2) | instskip(NEXT) | instid1(VALU_DEP_4)
	v_add_f64 v[25:26], v[25:26], -v[21:22]
	v_add_f64 v[17:18], v[17:18], v[19:20]
	s_delay_alu instid0(VALU_DEP_1) | instskip(NEXT) | instid1(VALU_DEP_1)
	v_add_f64 v[19:20], v[25:26], v[17:18]
	v_add_f64 v[25:26], v[19:20], -v[25:26]
	s_delay_alu instid0(VALU_DEP_1) | instskip(SKIP_1) | instid1(VALU_DEP_1)
	v_add_f64 v[17:18], v[17:18], -v[25:26]
	v_mul_f64 v[25:26], v[19:20], s[10:11]
	v_fma_f64 v[27:28], v[19:20], s[10:11], -v[25:26]
	s_delay_alu instid0(VALU_DEP_1) | instskip(NEXT) | instid1(VALU_DEP_1)
	v_fma_f64 v[19:20], v[19:20], s[16:17], v[27:28]
	v_fma_f64 v[19:20], v[17:18], s[10:11], v[19:20]
	s_delay_alu instid0(VALU_DEP_1) | instskip(NEXT) | instid1(VALU_DEP_1)
	v_add_f64 v[17:18], v[25:26], v[19:20]
	v_add_f64 v[25:26], v[17:18], -v[25:26]
	s_delay_alu instid0(VALU_DEP_1)
	v_add_f64 v[19:20], v[19:20], -v[25:26]
	s_and_not1_saveexec_b32 s10, s14
	s_cbranch_execz .LBB94_96
	s_branch .LBB94_95
.LBB94_94:                              ;   in Loop: Header=BB94_7 Depth=1
	s_and_not1_saveexec_b32 s10, s14
	s_cbranch_execz .LBB94_96
.LBB94_95:                              ;   in Loop: Header=BB94_7 Depth=1
	v_mul_f64 v[17:18], |v[9:10]|, s[18:19]
	s_mov_b32 s14, s22
	s_delay_alu instid0(VALU_DEP_1) | instskip(NEXT) | instid1(VALU_DEP_1)
	v_rndne_f64_e32 v[25:26], v[17:18]
	v_fma_f64 v[17:18], v[25:26], s[12:13], |v[9:10]|
	v_mul_f64 v[19:20], v[25:26], s[22:23]
	s_delay_alu instid0(VALU_DEP_2) | instskip(NEXT) | instid1(VALU_DEP_2)
	v_fma_f64 v[29:30], v[25:26], s[22:23], v[17:18]
	v_add_f64 v[27:28], v[17:18], v[19:20]
	s_delay_alu instid0(VALU_DEP_1) | instskip(NEXT) | instid1(VALU_DEP_3)
	v_add_f64 v[17:18], v[17:18], -v[27:28]
	v_add_f64 v[27:28], v[27:28], -v[29:30]
	s_delay_alu instid0(VALU_DEP_2) | instskip(SKIP_1) | instid1(VALU_DEP_2)
	v_add_f64 v[17:18], v[17:18], v[19:20]
	v_fma_f64 v[19:20], v[25:26], s[14:15], v[19:20]
	v_add_f64 v[17:18], v[27:28], v[17:18]
	s_delay_alu instid0(VALU_DEP_1) | instskip(NEXT) | instid1(VALU_DEP_1)
	v_add_f64 v[17:18], v[17:18], -v[19:20]
	v_fma_f64 v[19:20], v[25:26], s[24:25], v[17:18]
	s_delay_alu instid0(VALU_DEP_1) | instskip(NEXT) | instid1(VALU_DEP_1)
	v_add_f64 v[17:18], v[29:30], v[19:20]
	v_add_f64 v[27:28], v[17:18], -v[29:30]
	v_cvt_i32_f64_e32 v29, v[25:26]
	s_delay_alu instid0(VALU_DEP_2)
	v_add_f64 v[19:20], v[19:20], -v[27:28]
.LBB94_96:                              ;   in Loop: Header=BB94_7 Depth=1
	s_or_b32 exec_lo, exec_lo, s10
                                        ; implicit-def: $vgpr22
                                        ; implicit-def: $vgpr25_vgpr26
                                        ; implicit-def: $vgpr27_vgpr28
	s_and_saveexec_b32 s10, s38
	s_delay_alu instid0(SALU_CYCLE_1)
	s_xor_b32 s14, exec_lo, s10
	s_cbranch_execz .LBB94_98
; %bb.97:                               ;   in Loop: Header=BB94_7 Depth=1
	v_ldexp_f64 v[25:26], |v[9:10]|, 0xffffff80
	v_cmp_le_f64_e64 vcc_lo, 0x7b000000, |v[9:10]|
	v_trig_preop_f64 v[27:28], |v[9:10]|, 0
	v_and_b32_e32 v22, 0x7fffffff, v10
	v_trig_preop_f64 v[32:33], |v[9:10]|, 1
	v_trig_preop_f64 v[38:39], |v[9:10]|, 2
	s_mov_b32 s10, s12
	s_mov_b32 s17, s15
	v_dual_cndmask_b32 v25, v9, v25 :: v_dual_cndmask_b32 v26, v22, v26
	s_delay_alu instid0(VALU_DEP_1) | instskip(NEXT) | instid1(VALU_DEP_4)
	v_mul_f64 v[30:31], v[27:28], v[25:26]
	v_mul_f64 v[34:35], v[32:33], v[25:26]
	s_delay_alu instid0(VALU_DEP_4) | instskip(NEXT) | instid1(VALU_DEP_3)
	v_mul_f64 v[40:41], v[38:39], v[25:26]
	v_fma_f64 v[27:28], v[27:28], v[25:26], -v[30:31]
	s_delay_alu instid0(VALU_DEP_3) | instskip(NEXT) | instid1(VALU_DEP_3)
	v_fma_f64 v[32:33], v[32:33], v[25:26], -v[34:35]
	v_fma_f64 v[25:26], v[38:39], v[25:26], -v[40:41]
	s_delay_alu instid0(VALU_DEP_3) | instskip(NEXT) | instid1(VALU_DEP_1)
	v_add_f64 v[38:39], v[34:35], v[27:28]
	v_add_f64 v[42:43], v[38:39], -v[34:35]
	s_delay_alu instid0(VALU_DEP_1) | instskip(SKIP_1) | instid1(VALU_DEP_1)
	v_add_f64 v[27:28], v[27:28], -v[42:43]
	v_add_f64 v[42:43], v[38:39], -v[42:43]
	;; [unrolled: 1-line block ×3, first 2 shown]
	v_add_f64 v[42:43], v[30:31], v[38:39]
	s_delay_alu instid0(VALU_DEP_2) | instskip(NEXT) | instid1(VALU_DEP_2)
	v_add_f64 v[27:28], v[27:28], v[34:35]
	v_add_f64 v[30:31], v[42:43], -v[30:31]
	v_add_f64 v[34:35], v[40:41], v[32:33]
	v_ldexp_f64 v[42:43], v[42:43], -2
	s_delay_alu instid0(VALU_DEP_3) | instskip(NEXT) | instid1(VALU_DEP_3)
	v_add_f64 v[30:31], v[38:39], -v[30:31]
	v_add_f64 v[38:39], v[34:35], -v[40:41]
	s_delay_alu instid0(VALU_DEP_3) | instskip(SKIP_1) | instid1(VALU_DEP_3)
	v_cmp_neq_f64_e64 vcc_lo, 0x7ff00000, |v[42:43]|
	v_fract_f64_e32 v[42:43], v[42:43]
	v_add_f64 v[32:33], v[32:33], -v[38:39]
	v_add_f64 v[38:39], v[34:35], -v[38:39]
	s_delay_alu instid0(VALU_DEP_3) | instskip(NEXT) | instid1(VALU_DEP_2)
	v_dual_cndmask_b32 v43, 0, v43 :: v_dual_cndmask_b32 v42, 0, v42
	v_add_f64 v[38:39], v[40:41], -v[38:39]
	v_add_f64 v[40:41], v[34:35], v[27:28]
	s_delay_alu instid0(VALU_DEP_2) | instskip(NEXT) | instid1(VALU_DEP_2)
	v_add_f64 v[32:33], v[32:33], v[38:39]
	v_add_f64 v[44:45], v[40:41], -v[34:35]
	v_add_f64 v[38:39], v[30:31], v[40:41]
	s_delay_alu instid0(VALU_DEP_2) | instskip(SKIP_1) | instid1(VALU_DEP_3)
	v_add_f64 v[27:28], v[27:28], -v[44:45]
	v_add_f64 v[44:45], v[40:41], -v[44:45]
	;; [unrolled: 1-line block ×3, first 2 shown]
	s_delay_alu instid0(VALU_DEP_2) | instskip(NEXT) | instid1(VALU_DEP_2)
	v_add_f64 v[34:35], v[34:35], -v[44:45]
	v_add_f64 v[30:31], v[40:41], -v[30:31]
	s_delay_alu instid0(VALU_DEP_2) | instskip(SKIP_1) | instid1(VALU_DEP_2)
	v_add_f64 v[27:28], v[27:28], v[34:35]
	v_ldexp_f64 v[34:35], v[42:43], 2
	v_add_f64 v[27:28], v[32:33], v[27:28]
	s_delay_alu instid0(VALU_DEP_2) | instskip(NEXT) | instid1(VALU_DEP_2)
	v_add_f64 v[42:43], v[38:39], v[34:35]
	v_add_f64 v[25:26], v[25:26], v[27:28]
	s_delay_alu instid0(VALU_DEP_2) | instskip(NEXT) | instid1(VALU_DEP_2)
	v_cmp_gt_f64_e32 vcc_lo, 0, v[42:43]
	v_add_f64 v[25:26], v[30:31], v[25:26]
	v_cndmask_b32_e64 v22, 0, 0x40100000, vcc_lo
	s_delay_alu instid0(VALU_DEP_1) | instskip(NEXT) | instid1(VALU_DEP_1)
	v_add_f64 v[27:28], v[34:35], v[21:22]
	v_add_f64 v[32:33], v[38:39], v[27:28]
	s_delay_alu instid0(VALU_DEP_1) | instskip(NEXT) | instid1(VALU_DEP_1)
	v_cvt_i32_f64_e32 v34, v[32:33]
	v_cvt_f64_i32_e32 v[32:33], v34
	s_delay_alu instid0(VALU_DEP_1) | instskip(NEXT) | instid1(VALU_DEP_1)
	v_add_f64 v[27:28], v[27:28], -v[32:33]
	v_add_f64 v[30:31], v[38:39], v[27:28]
	s_delay_alu instid0(VALU_DEP_1) | instskip(SKIP_1) | instid1(VALU_DEP_2)
	v_add_f64 v[27:28], v[30:31], -v[27:28]
	v_cmp_le_f64_e32 vcc_lo, 0.5, v[30:31]
	v_add_f64 v[27:28], v[38:39], -v[27:28]
	v_cndmask_b32_e64 v22, 0, 0x3ff00000, vcc_lo
	s_delay_alu instid0(VALU_DEP_1) | instskip(SKIP_1) | instid1(VALU_DEP_4)
	v_add_f64 v[30:31], v[30:31], -v[21:22]
	v_add_co_ci_u32_e32 v22, vcc_lo, 0, v34, vcc_lo
	v_add_f64 v[25:26], v[25:26], v[27:28]
	s_delay_alu instid0(VALU_DEP_1) | instskip(NEXT) | instid1(VALU_DEP_1)
	v_add_f64 v[27:28], v[30:31], v[25:26]
	v_add_f64 v[30:31], v[27:28], -v[30:31]
	s_delay_alu instid0(VALU_DEP_1) | instskip(SKIP_1) | instid1(VALU_DEP_1)
	v_add_f64 v[25:26], v[25:26], -v[30:31]
	v_mul_f64 v[30:31], v[27:28], s[10:11]
	v_fma_f64 v[32:33], v[27:28], s[10:11], -v[30:31]
	s_delay_alu instid0(VALU_DEP_1) | instskip(NEXT) | instid1(VALU_DEP_1)
	v_fma_f64 v[27:28], v[27:28], s[16:17], v[32:33]
	v_fma_f64 v[27:28], v[25:26], s[10:11], v[27:28]
	s_delay_alu instid0(VALU_DEP_1) | instskip(NEXT) | instid1(VALU_DEP_1)
	v_add_f64 v[25:26], v[30:31], v[27:28]
	v_add_f64 v[30:31], v[25:26], -v[30:31]
	s_delay_alu instid0(VALU_DEP_1)
	v_add_f64 v[27:28], v[27:28], -v[30:31]
	s_and_not1_saveexec_b32 s10, s14
	s_cbranch_execnz .LBB94_99
	s_branch .LBB94_100
.LBB94_98:                              ;   in Loop: Header=BB94_7 Depth=1
	s_and_not1_saveexec_b32 s10, s14
	s_cbranch_execz .LBB94_100
.LBB94_99:                              ;   in Loop: Header=BB94_7 Depth=1
	v_mul_f64 v[25:26], |v[9:10]|, s[18:19]
	s_mov_b32 s14, s22
	s_delay_alu instid0(VALU_DEP_1) | instskip(NEXT) | instid1(VALU_DEP_1)
	v_rndne_f64_e32 v[30:31], v[25:26]
	v_fma_f64 v[25:26], v[30:31], s[12:13], |v[9:10]|
	v_mul_f64 v[27:28], v[30:31], s[22:23]
	v_cvt_i32_f64_e32 v22, v[30:31]
	s_delay_alu instid0(VALU_DEP_3) | instskip(NEXT) | instid1(VALU_DEP_3)
	v_fma_f64 v[34:35], v[30:31], s[22:23], v[25:26]
	v_add_f64 v[32:33], v[25:26], v[27:28]
	s_delay_alu instid0(VALU_DEP_1) | instskip(NEXT) | instid1(VALU_DEP_3)
	v_add_f64 v[25:26], v[25:26], -v[32:33]
	v_add_f64 v[32:33], v[32:33], -v[34:35]
	s_delay_alu instid0(VALU_DEP_2) | instskip(SKIP_1) | instid1(VALU_DEP_2)
	v_add_f64 v[25:26], v[25:26], v[27:28]
	v_fma_f64 v[27:28], v[30:31], s[14:15], v[27:28]
	v_add_f64 v[25:26], v[32:33], v[25:26]
	s_delay_alu instid0(VALU_DEP_1) | instskip(NEXT) | instid1(VALU_DEP_1)
	v_add_f64 v[25:26], v[25:26], -v[27:28]
	v_fma_f64 v[27:28], v[30:31], s[24:25], v[25:26]
	s_delay_alu instid0(VALU_DEP_1) | instskip(NEXT) | instid1(VALU_DEP_1)
	v_add_f64 v[25:26], v[34:35], v[27:28]
	v_add_f64 v[32:33], v[25:26], -v[34:35]
	s_delay_alu instid0(VALU_DEP_1)
	v_add_f64 v[27:28], v[27:28], -v[32:33]
.LBB94_100:                             ;   in Loop: Header=BB94_7 Depth=1
	s_or_b32 exec_lo, exec_lo, s10
	s_delay_alu instid0(VALU_DEP_2) | instskip(NEXT) | instid1(VALU_DEP_2)
	v_mul_f64 v[30:31], v[17:18], v[17:18]
	v_mul_f64 v[40:41], v[19:20], 0.5
	s_delay_alu instid0(VALU_DEP_3) | instskip(SKIP_4) | instid1(VALU_DEP_3)
	v_mul_f64 v[46:47], v[27:28], 0.5
	s_mov_b32 s38, s40
	s_mov_b32 s83, s37
	;; [unrolled: 1-line block ×4, first 2 shown]
	v_mul_f64 v[32:33], v[30:31], 0.5
	v_mul_f64 v[42:43], v[17:18], -v[30:31]
	s_delay_alu instid0(VALU_DEP_2) | instskip(NEXT) | instid1(VALU_DEP_1)
	v_add_f64 v[34:35], -v[32:33], 1.0
	v_add_f64 v[38:39], -v[34:35], 1.0
	s_delay_alu instid0(VALU_DEP_1) | instskip(SKIP_1) | instid1(VALU_DEP_2)
	v_add_f64 v[32:33], v[38:39], -v[32:33]
	v_fma_f64 v[38:39], v[30:31], s[26:27], s[102:103]
	v_fma_f64 v[32:33], v[17:18], -v[19:20], v[32:33]
	s_delay_alu instid0(VALU_DEP_2) | instskip(NEXT) | instid1(VALU_DEP_1)
	v_fma_f64 v[38:39], v[30:31], v[38:39], s[28:29]
	v_fma_f64 v[38:39], v[30:31], v[38:39], s[30:31]
	s_delay_alu instid0(VALU_DEP_1) | instskip(NEXT) | instid1(VALU_DEP_1)
	v_fma_f64 v[38:39], v[30:31], v[38:39], s[36:37]
	v_fma_f64 v[38:39], v[42:43], v[38:39], v[40:41]
	s_delay_alu instid0(VALU_DEP_1) | instskip(SKIP_1) | instid1(VALU_DEP_2)
	v_fma_f64 v[19:20], v[30:31], v[38:39], -v[19:20]
	v_fma_f64 v[38:39], v[30:31], s[94:95], s[92:93]
	v_fma_f64 v[19:20], v[42:43], s[38:39], v[19:20]
	s_delay_alu instid0(VALU_DEP_2) | instskip(NEXT) | instid1(VALU_DEP_2)
	v_fma_f64 v[38:39], v[30:31], v[38:39], s[96:97]
	v_add_f64 v[17:18], v[17:18], -v[19:20]
	s_delay_alu instid0(VALU_DEP_2) | instskip(NEXT) | instid1(VALU_DEP_1)
	v_fma_f64 v[38:39], v[30:31], v[38:39], s[98:99]
	v_fma_f64 v[38:39], v[30:31], v[38:39], s[100:101]
	s_delay_alu instid0(VALU_DEP_1) | instskip(SKIP_1) | instid1(VALU_DEP_1)
	v_fma_f64 v[38:39], v[30:31], v[38:39], s[40:41]
	v_mul_f64 v[30:31], v[30:31], v[30:31]
	v_fma_f64 v[30:31], v[30:31], v[38:39], v[32:33]
	v_mul_f64 v[32:33], v[25:26], v[25:26]
	s_delay_alu instid0(VALU_DEP_2) | instskip(NEXT) | instid1(VALU_DEP_2)
	v_add_f64 v[30:31], v[34:35], v[30:31]
	v_mul_f64 v[38:39], v[32:33], 0.5
	v_mul_f64 v[48:49], v[25:26], -v[32:33]
	v_and_b32_e32 v9, 1, v29
	s_delay_alu instid0(VALU_DEP_1) | instskip(SKIP_3) | instid1(VALU_DEP_2)
	v_cmp_eq_u32_e32 vcc_lo, 0, v9
	v_cndmask_b32_e32 v18, v31, v18, vcc_lo
	v_add_f64 v[40:41], -v[38:39], 1.0
	v_cndmask_b32_e32 v9, v30, v17, vcc_lo
	v_add_f64 v[44:45], -v[40:41], 1.0
	s_delay_alu instid0(VALU_DEP_1) | instskip(SKIP_1) | instid1(VALU_DEP_2)
	v_add_f64 v[38:39], v[44:45], -v[38:39]
	v_fma_f64 v[44:45], v[32:33], s[26:27], s[102:103]
	v_fma_f64 v[38:39], v[25:26], -v[27:28], v[38:39]
	s_delay_alu instid0(VALU_DEP_2) | instskip(NEXT) | instid1(VALU_DEP_1)
	v_fma_f64 v[44:45], v[32:33], v[44:45], s[28:29]
	v_fma_f64 v[44:45], v[32:33], v[44:45], s[30:31]
	s_delay_alu instid0(VALU_DEP_1) | instskip(NEXT) | instid1(VALU_DEP_1)
	v_fma_f64 v[44:45], v[32:33], v[44:45], s[36:37]
	v_fma_f64 v[44:45], v[48:49], v[44:45], v[46:47]
	s_delay_alu instid0(VALU_DEP_1) | instskip(SKIP_1) | instid1(VALU_DEP_2)
	v_fma_f64 v[27:28], v[32:33], v[44:45], -v[27:28]
	v_fma_f64 v[44:45], v[32:33], s[94:95], s[92:93]
	v_fma_f64 v[27:28], v[48:49], s[38:39], v[27:28]
	s_delay_alu instid0(VALU_DEP_2) | instskip(NEXT) | instid1(VALU_DEP_2)
	v_fma_f64 v[44:45], v[32:33], v[44:45], s[96:97]
	v_add_f64 v[19:20], v[25:26], -v[27:28]
	s_delay_alu instid0(VALU_DEP_2) | instskip(NEXT) | instid1(VALU_DEP_1)
	v_fma_f64 v[44:45], v[32:33], v[44:45], s[98:99]
	v_fma_f64 v[44:45], v[32:33], v[44:45], s[100:101]
	s_delay_alu instid0(VALU_DEP_1) | instskip(SKIP_1) | instid1(VALU_DEP_1)
	v_fma_f64 v[44:45], v[32:33], v[44:45], s[40:41]
	v_mul_f64 v[32:33], v[32:33], v[32:33]
	v_fma_f64 v[32:33], v[32:33], v[44:45], v[38:39]
	s_delay_alu instid0(VALU_DEP_1) | instskip(SKIP_1) | instid1(VALU_DEP_1)
	v_add_f64 v[25:26], v[40:41], v[32:33]
	v_lshlrev_b32_e32 v17, 30, v29
	v_xor_b32_e32 v10, v17, v10
	v_and_b32_e32 v17, 1, v22
	s_delay_alu instid0(VALU_DEP_2) | instskip(NEXT) | instid1(VALU_DEP_2)
	v_and_b32_e32 v10, 0x80000000, v10
	v_cmp_eq_u32_e32 vcc_lo, 0, v17
	s_delay_alu instid0(VALU_DEP_2) | instskip(SKIP_1) | instid1(VALU_DEP_2)
	v_xor_b32_e32 v10, v18, v10
	v_xor_b32_e32 v18, 0x80000000, v20
	v_mul_f64 v[9:10], v[9:10], 4.0
	v_cndmask_b32_e32 v17, v19, v25, vcc_lo
	v_lshlrev_b32_e32 v19, 30, v22
	s_delay_alu instid0(VALU_DEP_4) | instskip(SKIP_1) | instid1(VALU_DEP_3)
	v_cndmask_b32_e32 v18, v18, v26, vcc_lo
	v_cmp_nlt_f64_e64 vcc_lo, 0x4090cc00, |v[11:12]|
	v_and_b32_e32 v19, 0x80000000, v19
	s_delay_alu instid0(VALU_DEP_1) | instskip(SKIP_1) | instid1(VALU_DEP_2)
	v_xor_b32_e32 v18, v18, v19
	v_mul_f64 v[19:20], |v[11:12]|, s[64:65]
	v_mul_f64 v[9:10], v[9:10], v[17:18]
	s_delay_alu instid0(VALU_DEP_2) | instskip(NEXT) | instid1(VALU_DEP_1)
	v_rndne_f64_e32 v[19:20], v[19:20]
	v_fma_f64 v[25:26], v[19:20], s[34:35], -|v[11:12]|
	s_delay_alu instid0(VALU_DEP_1) | instskip(SKIP_1) | instid1(VALU_DEP_2)
	v_fma_f64 v[25:26], v[19:20], s[60:61], v[25:26]
	v_cvt_i32_f64_e32 v19, v[19:20]
	v_fma_f64 v[27:28], v[25:26], s[72:73], s[70:71]
	s_delay_alu instid0(VALU_DEP_1) | instskip(NEXT) | instid1(VALU_DEP_1)
	v_fma_f64 v[27:28], v[25:26], v[27:28], s[74:75]
	v_fma_f64 v[27:28], v[25:26], v[27:28], s[76:77]
	s_delay_alu instid0(VALU_DEP_1) | instskip(NEXT) | instid1(VALU_DEP_1)
	v_fma_f64 v[27:28], v[25:26], v[27:28], s[78:79]
	;; [unrolled: 3-line block ×4, first 2 shown]
	v_fma_f64 v[27:28], v[25:26], v[27:28], s[88:89]
	s_delay_alu instid0(VALU_DEP_1) | instskip(NEXT) | instid1(VALU_DEP_1)
	v_fma_f64 v[27:28], v[25:26], v[27:28], 1.0
	v_fma_f64 v[25:26], v[25:26], v[27:28], 1.0
	s_delay_alu instid0(VALU_DEP_1) | instskip(NEXT) | instid1(VALU_DEP_1)
	v_ldexp_f64 v[19:20], v[25:26], v19
	v_dual_cndmask_b32 v18, 0, v20 :: v_dual_cndmask_b32 v17, 0, v19
	s_delay_alu instid0(VALU_DEP_1) | instskip(NEXT) | instid1(VALU_DEP_1)
	v_mul_f64 v[9:10], v[17:18], v[9:10]
	v_mul_f64 v[17:18], v[17:18], v[9:10]
	v_xor_b32_e32 v9, 0x80000000, v12
	s_delay_alu instid0(VALU_DEP_1) | instskip(NEXT) | instid1(VALU_DEP_1)
	v_bfi_b32 v22, 0x7fffffff, s10, v9
	v_dual_mov_b32 v19, v21 :: v_dual_mov_b32 v20, v22
.LBB94_101:                             ;   in Loop: Header=BB94_7 Depth=1
	s_or_b32 exec_lo, exec_lo, s2
                                        ; implicit-def: $vgpr9_vgpr10
.LBB94_102:                             ;   in Loop: Header=BB94_7 Depth=1
	s_and_not1_saveexec_b32 s2, s46
; %bb.103:                              ;   in Loop: Header=BB94_7 Depth=1
	v_add_f64 v[17:18], v[9:10], -v[9:10]
	s_delay_alu instid0(VALU_DEP_1)
	v_dual_mov_b32 v20, v18 :: v_dual_mov_b32 v19, v17
; %bb.104:                              ;   in Loop: Header=BB94_7 Depth=1
	s_or_b32 exec_lo, exec_lo, s2
                                        ; implicit-def: $vgpr9_vgpr10
.LBB94_105:                             ;   in Loop: Header=BB94_7 Depth=1
	s_and_not1_saveexec_b32 s46, s3
	s_cbranch_execz .LBB94_121
; %bb.106:                              ;   in Loop: Header=BB94_7 Depth=1
	s_delay_alu instid0(VALU_DEP_1) | instskip(SKIP_1) | instid1(VALU_DEP_1)
	v_and_or_b32 v17, 0xfffff, v20, v19
	s_mov_b32 s2, exec_lo
	v_cmpx_ne_u32_e32 0, v17
	s_xor_b32 s2, exec_lo, s2
; %bb.107:                              ;   in Loop: Header=BB94_7 Depth=1
	v_mul_f64 v[11:12], v[9:10], -v[11:12]
	v_cmp_eq_f64_e32 vcc_lo, 0, v[9:10]
	s_delay_alu instid0(VALU_DEP_2)
	v_dual_cndmask_b32 v18, v12, v10 :: v_dual_cndmask_b32 v17, v11, v9
                                        ; implicit-def: $vgpr9_vgpr10
; %bb.108:                              ;   in Loop: Header=BB94_7 Depth=1
	s_and_not1_saveexec_b32 s47, s2
	s_cbranch_execz .LBB94_120
; %bb.109:                              ;   in Loop: Header=BB94_7 Depth=1
	s_mov_b32 s57, exec_lo
	v_cmpx_neq_f64_e64 0x7ff00000, |v[9:10]|
	s_cbranch_execz .LBB94_119
; %bb.110:                              ;   in Loop: Header=BB94_7 Depth=1
	v_cmp_ngt_f64_e64 s2, 0x41d00000, |v[9:10]|
	v_trig_preop_f64 v[29:30], |v[9:10]|, 0
	v_trig_preop_f64 v[27:28], |v[9:10]|, 1
	v_ldexp_f64 v[31:32], |v[9:10]|, 0xffffff80
	v_trig_preop_f64 v[25:26], |v[9:10]|, 2
	v_and_b32_e32 v39, 0x7fffffff, v10
                                        ; implicit-def: $vgpr38
                                        ; implicit-def: $vgpr11_vgpr12
                                        ; implicit-def: $vgpr17_vgpr18
	s_and_saveexec_b32 s3, s2
	s_delay_alu instid0(SALU_CYCLE_1)
	s_xor_b32 s3, exec_lo, s3
	s_cbranch_execz .LBB94_112
; %bb.111:                              ;   in Loop: Header=BB94_7 Depth=1
	v_cmp_le_f64_e64 vcc_lo, 0x7b000000, |v[9:10]|
	s_mov_b32 s10, s12
	s_mov_b32 s17, s15
	s_delay_alu instid0(VALU_DEP_4) | instskip(NEXT) | instid1(VALU_DEP_1)
	v_dual_cndmask_b32 v12, v39, v32 :: v_dual_cndmask_b32 v11, v9, v31
	v_mul_f64 v[17:18], v[29:30], v[11:12]
	v_mul_f64 v[33:34], v[27:28], v[11:12]
	s_delay_alu instid0(VALU_DEP_2) | instskip(NEXT) | instid1(VALU_DEP_1)
	v_fma_f64 v[35:36], v[29:30], v[11:12], -v[17:18]
	v_add_f64 v[40:41], v[33:34], v[35:36]
	s_delay_alu instid0(VALU_DEP_1) | instskip(SKIP_1) | instid1(VALU_DEP_2)
	v_add_f64 v[42:43], v[40:41], -v[33:34]
	v_add_f64 v[44:45], v[17:18], v[40:41]
	v_add_f64 v[35:36], v[35:36], -v[42:43]
	s_delay_alu instid0(VALU_DEP_2) | instskip(SKIP_1) | instid1(VALU_DEP_2)
	v_add_f64 v[17:18], v[44:45], -v[17:18]
	v_add_f64 v[42:43], v[40:41], -v[42:43]
	;; [unrolled: 1-line block ×3, first 2 shown]
	s_delay_alu instid0(VALU_DEP_2) | instskip(SKIP_2) | instid1(VALU_DEP_3)
	v_add_f64 v[40:41], v[33:34], -v[42:43]
	v_fma_f64 v[33:34], v[27:28], v[11:12], -v[33:34]
	v_mul_f64 v[42:43], v[25:26], v[11:12]
	v_add_f64 v[35:36], v[35:36], v[40:41]
	v_ldexp_f64 v[40:41], v[44:45], -2
	s_delay_alu instid0(VALU_DEP_3) | instskip(SKIP_1) | instid1(VALU_DEP_3)
	v_add_f64 v[44:45], v[42:43], v[33:34]
	v_fma_f64 v[11:12], v[25:26], v[11:12], -v[42:43]
	v_cmp_neq_f64_e64 vcc_lo, 0x7ff00000, |v[40:41]|
	s_delay_alu instid0(VALU_DEP_3) | instskip(SKIP_2) | instid1(VALU_DEP_3)
	v_add_f64 v[48:49], v[44:45], v[35:36]
	v_add_f64 v[46:47], v[44:45], -v[42:43]
	v_fract_f64_e32 v[40:41], v[40:41]
	v_add_f64 v[50:51], v[48:49], -v[44:45]
	s_delay_alu instid0(VALU_DEP_3) | instskip(SKIP_1) | instid1(VALU_DEP_4)
	v_add_f64 v[33:34], v[33:34], -v[46:47]
	v_add_f64 v[46:47], v[44:45], -v[46:47]
	v_dual_cndmask_b32 v41, 0, v41 :: v_dual_cndmask_b32 v40, 0, v40
	s_delay_alu instid0(VALU_DEP_1) | instskip(SKIP_4) | instid1(VALU_DEP_3)
	v_ldexp_f64 v[40:41], v[40:41], 2
	v_add_f64 v[35:36], v[35:36], -v[50:51]
	v_add_f64 v[50:51], v[48:49], -v[50:51]
	;; [unrolled: 1-line block ×3, first 2 shown]
	v_add_f64 v[42:43], v[17:18], v[48:49]
	v_add_f64 v[44:45], v[44:45], -v[50:51]
	s_delay_alu instid0(VALU_DEP_3) | instskip(NEXT) | instid1(VALU_DEP_3)
	v_add_f64 v[33:34], v[33:34], v[46:47]
	v_add_f64 v[17:18], v[42:43], -v[17:18]
	s_delay_alu instid0(VALU_DEP_3) | instskip(SKIP_1) | instid1(VALU_DEP_3)
	v_add_f64 v[35:36], v[35:36], v[44:45]
	v_add_f64 v[44:45], v[42:43], v[40:41]
	v_add_f64 v[17:18], v[48:49], -v[17:18]
	s_delay_alu instid0(VALU_DEP_3) | instskip(NEXT) | instid1(VALU_DEP_3)
	v_add_f64 v[33:34], v[33:34], v[35:36]
	v_cmp_gt_f64_e32 vcc_lo, 0, v[44:45]
	s_delay_alu instid0(VALU_DEP_2) | instskip(SKIP_1) | instid1(VALU_DEP_1)
	v_add_f64 v[11:12], v[11:12], v[33:34]
	v_cndmask_b32_e64 v22, 0, 0x40100000, vcc_lo
	v_add_f64 v[33:34], v[40:41], v[21:22]
	s_delay_alu instid0(VALU_DEP_3) | instskip(NEXT) | instid1(VALU_DEP_2)
	v_add_f64 v[11:12], v[17:18], v[11:12]
	v_add_f64 v[35:36], v[42:43], v[33:34]
	s_delay_alu instid0(VALU_DEP_1) | instskip(NEXT) | instid1(VALU_DEP_1)
	v_cvt_i32_f64_e32 v38, v[35:36]
	v_cvt_f64_i32_e32 v[35:36], v38
	s_delay_alu instid0(VALU_DEP_1) | instskip(NEXT) | instid1(VALU_DEP_1)
	v_add_f64 v[33:34], v[33:34], -v[35:36]
	v_add_f64 v[17:18], v[42:43], v[33:34]
	s_delay_alu instid0(VALU_DEP_1) | instskip(SKIP_1) | instid1(VALU_DEP_2)
	v_add_f64 v[33:34], v[17:18], -v[33:34]
	v_cmp_le_f64_e32 vcc_lo, 0.5, v[17:18]
	v_add_f64 v[33:34], v[42:43], -v[33:34]
	v_cndmask_b32_e64 v22, 0, 0x3ff00000, vcc_lo
	v_add_co_ci_u32_e32 v38, vcc_lo, 0, v38, vcc_lo
	s_delay_alu instid0(VALU_DEP_2) | instskip(NEXT) | instid1(VALU_DEP_4)
	v_add_f64 v[17:18], v[17:18], -v[21:22]
	v_add_f64 v[11:12], v[11:12], v[33:34]
	s_delay_alu instid0(VALU_DEP_1) | instskip(NEXT) | instid1(VALU_DEP_1)
	v_add_f64 v[33:34], v[17:18], v[11:12]
	v_add_f64 v[17:18], v[33:34], -v[17:18]
	s_delay_alu instid0(VALU_DEP_1) | instskip(SKIP_1) | instid1(VALU_DEP_1)
	v_add_f64 v[11:12], v[11:12], -v[17:18]
	v_mul_f64 v[17:18], v[33:34], s[10:11]
	v_fma_f64 v[35:36], v[33:34], s[10:11], -v[17:18]
	s_delay_alu instid0(VALU_DEP_1) | instskip(NEXT) | instid1(VALU_DEP_1)
	v_fma_f64 v[33:34], v[33:34], s[16:17], v[35:36]
	v_fma_f64 v[33:34], v[11:12], s[10:11], v[33:34]
	s_delay_alu instid0(VALU_DEP_1) | instskip(NEXT) | instid1(VALU_DEP_1)
	v_add_f64 v[11:12], v[17:18], v[33:34]
	v_add_f64 v[17:18], v[11:12], -v[17:18]
	s_delay_alu instid0(VALU_DEP_1)
	v_add_f64 v[17:18], v[33:34], -v[17:18]
	s_and_not1_saveexec_b32 s3, s3
	s_cbranch_execz .LBB94_114
	s_branch .LBB94_113
.LBB94_112:                             ;   in Loop: Header=BB94_7 Depth=1
	s_and_not1_saveexec_b32 s3, s3
	s_cbranch_execz .LBB94_114
.LBB94_113:                             ;   in Loop: Header=BB94_7 Depth=1
	v_mul_f64 v[11:12], |v[9:10]|, s[18:19]
	s_mov_b32 s14, s22
	s_delay_alu instid0(VALU_DEP_1) | instskip(NEXT) | instid1(VALU_DEP_1)
	v_rndne_f64_e32 v[33:34], v[11:12]
	v_fma_f64 v[11:12], v[33:34], s[12:13], |v[9:10]|
	v_mul_f64 v[17:18], v[33:34], s[22:23]
	v_cvt_i32_f64_e32 v38, v[33:34]
	s_delay_alu instid0(VALU_DEP_3) | instskip(NEXT) | instid1(VALU_DEP_3)
	v_fma_f64 v[40:41], v[33:34], s[22:23], v[11:12]
	v_add_f64 v[35:36], v[11:12], v[17:18]
	s_delay_alu instid0(VALU_DEP_1) | instskip(NEXT) | instid1(VALU_DEP_3)
	v_add_f64 v[11:12], v[11:12], -v[35:36]
	v_add_f64 v[35:36], v[35:36], -v[40:41]
	s_delay_alu instid0(VALU_DEP_2) | instskip(SKIP_1) | instid1(VALU_DEP_2)
	v_add_f64 v[11:12], v[11:12], v[17:18]
	v_fma_f64 v[17:18], v[33:34], s[14:15], v[17:18]
	v_add_f64 v[11:12], v[35:36], v[11:12]
	s_delay_alu instid0(VALU_DEP_1) | instskip(NEXT) | instid1(VALU_DEP_1)
	v_add_f64 v[11:12], v[11:12], -v[17:18]
	v_fma_f64 v[17:18], v[33:34], s[24:25], v[11:12]
	s_delay_alu instid0(VALU_DEP_1) | instskip(NEXT) | instid1(VALU_DEP_1)
	v_add_f64 v[11:12], v[40:41], v[17:18]
	v_add_f64 v[35:36], v[11:12], -v[40:41]
	s_delay_alu instid0(VALU_DEP_1)
	v_add_f64 v[17:18], v[17:18], -v[35:36]
.LBB94_114:                             ;   in Loop: Header=BB94_7 Depth=1
	s_or_b32 exec_lo, exec_lo, s3
                                        ; implicit-def: $vgpr22
                                        ; implicit-def: $vgpr33_vgpr34
                                        ; implicit-def: $vgpr35_vgpr36
	s_and_saveexec_b32 s3, s2
	s_delay_alu instid0(SALU_CYCLE_1)
	s_xor_b32 s2, exec_lo, s3
	s_cbranch_execz .LBB94_116
; %bb.115:                              ;   in Loop: Header=BB94_7 Depth=1
	v_cmp_le_f64_e64 vcc_lo, 0x7b000000, |v[9:10]|
	s_mov_b32 s10, s12
	s_mov_b32 s17, s15
	s_delay_alu instid0(VALU_DEP_4) | instskip(NEXT) | instid1(VALU_DEP_1)
	v_dual_cndmask_b32 v32, v39, v32 :: v_dual_cndmask_b32 v31, v9, v31
	v_mul_f64 v[33:34], v[29:30], v[31:32]
	v_mul_f64 v[35:36], v[27:28], v[31:32]
	v_mul_f64 v[39:40], v[25:26], v[31:32]
	s_delay_alu instid0(VALU_DEP_3) | instskip(NEXT) | instid1(VALU_DEP_3)
	v_fma_f64 v[29:30], v[29:30], v[31:32], -v[33:34]
	v_fma_f64 v[27:28], v[27:28], v[31:32], -v[35:36]
	s_delay_alu instid0(VALU_DEP_3) | instskip(NEXT) | instid1(VALU_DEP_3)
	v_fma_f64 v[25:26], v[25:26], v[31:32], -v[39:40]
	v_add_f64 v[31:32], v[35:36], v[29:30]
	s_delay_alu instid0(VALU_DEP_1) | instskip(NEXT) | instid1(VALU_DEP_1)
	v_add_f64 v[41:42], v[31:32], -v[35:36]
	v_add_f64 v[29:30], v[29:30], -v[41:42]
	;; [unrolled: 1-line block ×3, first 2 shown]
	s_delay_alu instid0(VALU_DEP_1) | instskip(SKIP_1) | instid1(VALU_DEP_2)
	v_add_f64 v[35:36], v[35:36], -v[41:42]
	v_add_f64 v[41:42], v[33:34], v[31:32]
	v_add_f64 v[29:30], v[29:30], v[35:36]
	s_delay_alu instid0(VALU_DEP_2) | instskip(SKIP_1) | instid1(VALU_DEP_2)
	v_add_f64 v[33:34], v[41:42], -v[33:34]
	v_ldexp_f64 v[41:42], v[41:42], -2
	v_add_f64 v[31:32], v[31:32], -v[33:34]
	v_add_f64 v[33:34], v[39:40], v[27:28]
	s_delay_alu instid0(VALU_DEP_3) | instskip(SKIP_1) | instid1(VALU_DEP_3)
	v_cmp_neq_f64_e64 vcc_lo, 0x7ff00000, |v[41:42]|
	v_fract_f64_e32 v[41:42], v[41:42]
	v_add_f64 v[35:36], v[33:34], -v[39:40]
	s_delay_alu instid0(VALU_DEP_2) | instskip(NEXT) | instid1(VALU_DEP_2)
	v_dual_cndmask_b32 v42, 0, v42 :: v_dual_cndmask_b32 v41, 0, v41
	v_add_f64 v[27:28], v[27:28], -v[35:36]
	v_add_f64 v[35:36], v[33:34], -v[35:36]
	s_delay_alu instid0(VALU_DEP_1) | instskip(SKIP_1) | instid1(VALU_DEP_2)
	v_add_f64 v[35:36], v[39:40], -v[35:36]
	v_add_f64 v[39:40], v[33:34], v[29:30]
	v_add_f64 v[27:28], v[27:28], v[35:36]
	s_delay_alu instid0(VALU_DEP_2) | instskip(SKIP_1) | instid1(VALU_DEP_2)
	v_add_f64 v[43:44], v[39:40], -v[33:34]
	v_add_f64 v[35:36], v[31:32], v[39:40]
	v_add_f64 v[29:30], v[29:30], -v[43:44]
	v_add_f64 v[43:44], v[39:40], -v[43:44]
	s_delay_alu instid0(VALU_DEP_1) | instskip(NEXT) | instid1(VALU_DEP_1)
	v_add_f64 v[33:34], v[33:34], -v[43:44]
	v_add_f64 v[29:30], v[29:30], v[33:34]
	v_ldexp_f64 v[33:34], v[41:42], 2
	s_delay_alu instid0(VALU_DEP_2) | instskip(NEXT) | instid1(VALU_DEP_2)
	v_add_f64 v[27:28], v[27:28], v[29:30]
	v_add_f64 v[41:42], v[35:36], v[33:34]
	v_add_f64 v[29:30], v[35:36], -v[31:32]
	s_delay_alu instid0(VALU_DEP_3) | instskip(NEXT) | instid1(VALU_DEP_3)
	v_add_f64 v[25:26], v[25:26], v[27:28]
	v_cmp_gt_f64_e32 vcc_lo, 0, v[41:42]
	s_delay_alu instid0(VALU_DEP_3) | instskip(SKIP_1) | instid1(VALU_DEP_2)
	v_add_f64 v[29:30], v[39:40], -v[29:30]
	v_cndmask_b32_e64 v22, 0, 0x40100000, vcc_lo
	v_add_f64 v[25:26], v[29:30], v[25:26]
	s_delay_alu instid0(VALU_DEP_2) | instskip(NEXT) | instid1(VALU_DEP_1)
	v_add_f64 v[27:28], v[33:34], v[21:22]
	v_add_f64 v[31:32], v[35:36], v[27:28]
	s_delay_alu instid0(VALU_DEP_1) | instskip(NEXT) | instid1(VALU_DEP_1)
	v_cvt_i32_f64_e32 v39, v[31:32]
	v_cvt_f64_i32_e32 v[31:32], v39
	s_delay_alu instid0(VALU_DEP_1) | instskip(NEXT) | instid1(VALU_DEP_1)
	v_add_f64 v[27:28], v[27:28], -v[31:32]
	v_add_f64 v[29:30], v[35:36], v[27:28]
	s_delay_alu instid0(VALU_DEP_1) | instskip(SKIP_1) | instid1(VALU_DEP_2)
	v_add_f64 v[27:28], v[29:30], -v[27:28]
	v_cmp_le_f64_e32 vcc_lo, 0.5, v[29:30]
	v_add_f64 v[27:28], v[35:36], -v[27:28]
	v_cndmask_b32_e64 v22, 0, 0x3ff00000, vcc_lo
	s_delay_alu instid0(VALU_DEP_1) | instskip(SKIP_1) | instid1(VALU_DEP_4)
	v_add_f64 v[29:30], v[29:30], -v[21:22]
	v_add_co_ci_u32_e32 v22, vcc_lo, 0, v39, vcc_lo
	v_add_f64 v[25:26], v[25:26], v[27:28]
	s_delay_alu instid0(VALU_DEP_1) | instskip(NEXT) | instid1(VALU_DEP_1)
	v_add_f64 v[27:28], v[29:30], v[25:26]
	v_add_f64 v[29:30], v[27:28], -v[29:30]
	s_delay_alu instid0(VALU_DEP_1) | instskip(SKIP_1) | instid1(VALU_DEP_1)
	v_add_f64 v[25:26], v[25:26], -v[29:30]
	v_mul_f64 v[29:30], v[27:28], s[10:11]
	v_fma_f64 v[31:32], v[27:28], s[10:11], -v[29:30]
	s_delay_alu instid0(VALU_DEP_1) | instskip(NEXT) | instid1(VALU_DEP_1)
	v_fma_f64 v[27:28], v[27:28], s[16:17], v[31:32]
	v_fma_f64 v[25:26], v[25:26], s[10:11], v[27:28]
	s_delay_alu instid0(VALU_DEP_1) | instskip(NEXT) | instid1(VALU_DEP_1)
	v_add_f64 v[33:34], v[29:30], v[25:26]
	v_add_f64 v[27:28], v[33:34], -v[29:30]
	s_delay_alu instid0(VALU_DEP_1)
	v_add_f64 v[35:36], v[25:26], -v[27:28]
	s_and_not1_saveexec_b32 s2, s2
	s_cbranch_execnz .LBB94_117
	s_branch .LBB94_118
.LBB94_116:                             ;   in Loop: Header=BB94_7 Depth=1
	s_and_not1_saveexec_b32 s2, s2
	s_cbranch_execz .LBB94_118
.LBB94_117:                             ;   in Loop: Header=BB94_7 Depth=1
	v_mul_f64 v[25:26], |v[9:10]|, s[18:19]
	s_mov_b32 s14, s22
	s_delay_alu instid0(VALU_DEP_1) | instskip(NEXT) | instid1(VALU_DEP_1)
	v_rndne_f64_e32 v[25:26], v[25:26]
	v_fma_f64 v[27:28], v[25:26], s[12:13], |v[9:10]|
	v_mul_f64 v[29:30], v[25:26], s[22:23]
	v_cvt_i32_f64_e32 v22, v[25:26]
	s_delay_alu instid0(VALU_DEP_3) | instskip(NEXT) | instid1(VALU_DEP_3)
	v_fma_f64 v[35:36], v[25:26], s[22:23], v[27:28]
	v_add_f64 v[31:32], v[27:28], v[29:30]
	s_delay_alu instid0(VALU_DEP_1) | instskip(NEXT) | instid1(VALU_DEP_3)
	v_add_f64 v[27:28], v[27:28], -v[31:32]
	v_add_f64 v[31:32], v[31:32], -v[35:36]
	s_delay_alu instid0(VALU_DEP_2) | instskip(SKIP_1) | instid1(VALU_DEP_2)
	v_add_f64 v[27:28], v[27:28], v[29:30]
	v_fma_f64 v[29:30], v[25:26], s[14:15], v[29:30]
	v_add_f64 v[27:28], v[31:32], v[27:28]
	s_delay_alu instid0(VALU_DEP_1) | instskip(NEXT) | instid1(VALU_DEP_1)
	v_add_f64 v[27:28], v[27:28], -v[29:30]
	v_fma_f64 v[27:28], v[25:26], s[24:25], v[27:28]
	s_delay_alu instid0(VALU_DEP_1) | instskip(NEXT) | instid1(VALU_DEP_1)
	v_add_f64 v[33:34], v[35:36], v[27:28]
	v_add_f64 v[29:30], v[33:34], -v[35:36]
	s_delay_alu instid0(VALU_DEP_1)
	v_add_f64 v[35:36], v[27:28], -v[29:30]
.LBB94_118:                             ;   in Loop: Header=BB94_7 Depth=1
	s_or_b32 exec_lo, exec_lo, s2
	v_cmp_class_f64_e64 vcc_lo, v[9:10], 0x1f8
	v_lshlrev_b32_e32 v9, 30, v38
	s_delay_alu instid0(VALU_DEP_3) | instskip(NEXT) | instid1(VALU_DEP_4)
	v_mul_f64 v[31:32], v[17:18], 0.5
	v_mul_f64 v[43:44], v[35:36], 0.5
	s_mov_b32 s38, s40
	s_delay_alu instid0(VALU_DEP_3) | instskip(SKIP_1) | instid1(VALU_DEP_1)
	v_xor_b32_e32 v47, v9, v10
	v_mul_f64 v[9:10], v[11:12], v[11:12]
	v_mul_f64 v[25:26], v[9:10], 0.5
	v_mul_f64 v[39:40], v[11:12], -v[9:10]
	s_delay_alu instid0(VALU_DEP_2) | instskip(NEXT) | instid1(VALU_DEP_1)
	v_add_f64 v[27:28], -v[25:26], 1.0
	v_add_f64 v[29:30], -v[27:28], 1.0
	s_delay_alu instid0(VALU_DEP_1) | instskip(SKIP_1) | instid1(VALU_DEP_2)
	v_add_f64 v[25:26], v[29:30], -v[25:26]
	v_fma_f64 v[29:30], v[9:10], s[26:27], s[102:103]
	v_fma_f64 v[25:26], v[11:12], -v[17:18], v[25:26]
	s_delay_alu instid0(VALU_DEP_2) | instskip(NEXT) | instid1(VALU_DEP_1)
	v_fma_f64 v[29:30], v[9:10], v[29:30], s[28:29]
	v_fma_f64 v[29:30], v[9:10], v[29:30], s[30:31]
	s_delay_alu instid0(VALU_DEP_1) | instskip(NEXT) | instid1(VALU_DEP_1)
	v_fma_f64 v[29:30], v[9:10], v[29:30], s[36:37]
	v_fma_f64 v[29:30], v[39:40], v[29:30], v[31:32]
	s_delay_alu instid0(VALU_DEP_1) | instskip(SKIP_1) | instid1(VALU_DEP_2)
	v_fma_f64 v[17:18], v[9:10], v[29:30], -v[17:18]
	v_fma_f64 v[29:30], v[9:10], s[94:95], s[92:93]
	v_fma_f64 v[17:18], v[39:40], s[38:39], v[17:18]
	s_delay_alu instid0(VALU_DEP_2) | instskip(NEXT) | instid1(VALU_DEP_2)
	v_fma_f64 v[29:30], v[9:10], v[29:30], s[96:97]
	v_add_f64 v[11:12], v[11:12], -v[17:18]
	s_delay_alu instid0(VALU_DEP_2) | instskip(NEXT) | instid1(VALU_DEP_1)
	v_fma_f64 v[29:30], v[9:10], v[29:30], s[98:99]
	v_fma_f64 v[29:30], v[9:10], v[29:30], s[100:101]
	s_delay_alu instid0(VALU_DEP_1) | instskip(SKIP_1) | instid1(VALU_DEP_1)
	v_fma_f64 v[29:30], v[9:10], v[29:30], s[40:41]
	v_mul_f64 v[9:10], v[9:10], v[9:10]
	v_fma_f64 v[9:10], v[9:10], v[29:30], v[25:26]
	v_mul_f64 v[25:26], v[33:34], v[33:34]
	s_delay_alu instid0(VALU_DEP_2) | instskip(NEXT) | instid1(VALU_DEP_2)
	v_add_f64 v[9:10], v[27:28], v[9:10]
	v_mul_f64 v[29:30], v[25:26], 0.5
	v_mul_f64 v[45:46], v[33:34], -v[25:26]
	s_delay_alu instid0(VALU_DEP_2) | instskip(NEXT) | instid1(VALU_DEP_1)
	v_add_f64 v[31:32], -v[29:30], 1.0
	v_add_f64 v[41:42], -v[31:32], 1.0
	s_delay_alu instid0(VALU_DEP_1) | instskip(SKIP_1) | instid1(VALU_DEP_2)
	v_add_f64 v[29:30], v[41:42], -v[29:30]
	v_fma_f64 v[41:42], v[25:26], s[26:27], s[102:103]
	v_fma_f64 v[29:30], v[33:34], -v[35:36], v[29:30]
	s_delay_alu instid0(VALU_DEP_2) | instskip(NEXT) | instid1(VALU_DEP_1)
	v_fma_f64 v[41:42], v[25:26], v[41:42], s[28:29]
	v_fma_f64 v[41:42], v[25:26], v[41:42], s[30:31]
	s_delay_alu instid0(VALU_DEP_1) | instskip(NEXT) | instid1(VALU_DEP_1)
	v_fma_f64 v[41:42], v[25:26], v[41:42], s[36:37]
	v_fma_f64 v[41:42], v[45:46], v[41:42], v[43:44]
	s_delay_alu instid0(VALU_DEP_1) | instskip(SKIP_1) | instid1(VALU_DEP_1)
	v_fma_f64 v[35:36], v[25:26], v[41:42], -v[35:36]
	v_fma_f64 v[41:42], v[25:26], s[94:95], s[92:93]
	v_fma_f64 v[41:42], v[25:26], v[41:42], s[96:97]
	s_delay_alu instid0(VALU_DEP_1) | instskip(NEXT) | instid1(VALU_DEP_1)
	v_fma_f64 v[41:42], v[25:26], v[41:42], s[98:99]
	v_fma_f64 v[41:42], v[25:26], v[41:42], s[100:101]
	s_delay_alu instid0(VALU_DEP_1) | instskip(SKIP_1) | instid1(VALU_DEP_1)
	v_fma_f64 v[41:42], v[25:26], v[41:42], s[40:41]
	v_mul_f64 v[25:26], v[25:26], v[25:26]
	v_fma_f64 v[25:26], v[25:26], v[41:42], v[29:30]
	v_fma_f64 v[29:30], v[45:46], s[38:39], v[35:36]
	s_delay_alu instid0(VALU_DEP_2) | instskip(NEXT) | instid1(VALU_DEP_2)
	v_add_f64 v[17:18], v[31:32], v[25:26]
	v_add_f64 v[29:30], v[33:34], -v[29:30]
	v_and_b32_e32 v25, 1, v38
	s_delay_alu instid0(VALU_DEP_1) | instskip(NEXT) | instid1(VALU_DEP_1)
	v_cmp_eq_u32_e64 s2, 0, v25
	v_cndmask_b32_e64 v9, v9, v11, s2
	v_and_b32_e32 v26, 1, v22
	v_cndmask_b32_e64 v10, v10, v12, s2
	s_delay_alu instid0(VALU_DEP_3) | instskip(NEXT) | instid1(VALU_DEP_3)
	v_cndmask_b32_e32 v9, 0, v9, vcc_lo
	v_cmp_eq_u32_e64 s3, 0, v26
	v_and_b32_e32 v26, 0x80000000, v47
	s_delay_alu instid0(VALU_DEP_1) | instskip(NEXT) | instid1(VALU_DEP_1)
	v_xor_b32_e32 v10, v10, v26
	v_cndmask_b32_e32 v10, 0x7ff80000, v10, vcc_lo
	v_xor_b32_e32 v25, 0x80000000, v30
	v_cndmask_b32_e64 v11, v29, v17, s3
	v_lshlrev_b32_e32 v22, 30, v22
	s_delay_alu instid0(VALU_DEP_3) | instskip(NEXT) | instid1(VALU_DEP_2)
	v_cndmask_b32_e64 v18, v25, v18, s3
	v_dual_cndmask_b32 v11, 0, v11 :: v_dual_and_b32 v12, 0x80000000, v22
	s_delay_alu instid0(VALU_DEP_1) | instskip(NEXT) | instid1(VALU_DEP_1)
	v_xor_b32_e32 v12, v18, v12
	v_cndmask_b32_e32 v12, 0x7ff80000, v12, vcc_lo
	s_delay_alu instid0(VALU_DEP_1)
	v_mul_f64 v[9:10], v[9:10], v[11:12]
.LBB94_119:                             ;   in Loop: Header=BB94_7 Depth=1
	s_or_b32 exec_lo, exec_lo, s57
	s_delay_alu instid0(VALU_DEP_1) | instskip(SKIP_2) | instid1(VALU_DEP_3)
	v_bfi_b32 v22, 0x7fffffff, 0, v10
	v_add_co_u32 v19, vcc_lo, v19, 0
	v_add_co_ci_u32_e32 v20, vcc_lo, -2.0, v20, vcc_lo
	v_dual_mov_b32 v17, v21 :: v_dual_mov_b32 v18, v22
.LBB94_120:                             ;   in Loop: Header=BB94_7 Depth=1
	s_or_b32 exec_lo, exec_lo, s47
.LBB94_121:                             ;   in Loop: Header=BB94_7 Depth=1
	s_delay_alu instid0(SALU_CYCLE_1) | instskip(SKIP_2) | instid1(VALU_DEP_1)
	s_or_b32 exec_lo, exec_lo, s46
	v_xor_b32_e32 v12, 0x80000000, v4
	s_mov_b32 s2, exec_lo
	v_dual_mov_b32 v11, v3 :: v_dual_and_b32 v22, 0x7fffffff, v12
	s_delay_alu instid0(VALU_DEP_1)
	v_cmpx_gt_u32_e32 0x7ff00000, v22
	s_xor_b32 s3, exec_lo, s2
	s_cbranch_execz .LBB94_143
; %bb.122:                              ;   in Loop: Header=BB94_7 Depth=1
	v_cmp_class_f64_e64 s2, v[1:2], 0x1f8
                                        ; implicit-def: $vgpr9_vgpr10
	s_delay_alu instid0(VALU_DEP_1) | instskip(NEXT) | instid1(SALU_CYCLE_1)
	s_and_saveexec_b32 s10, s2
	s_xor_b32 s46, exec_lo, s10
	s_cbranch_execz .LBB94_140
; %bb.123:                              ;   in Loop: Header=BB94_7 Depth=1
                                        ; implicit-def: $vgpr9_vgpr10
	s_mov_b32 s2, exec_lo
	v_cmpx_gt_u32_e32 0x40360000, v22
	s_xor_b32 s38, exec_lo, s2
	s_cbranch_execz .LBB94_129
; %bb.124:                              ;   in Loop: Header=BB94_7 Depth=1
	v_cmp_ngt_f64_e64 s2, 0x41d00000, |v[1:2]|
                                        ; implicit-def: $vgpr22
                                        ; implicit-def: $vgpr9_vgpr10
                                        ; implicit-def: $vgpr11_vgpr12
	s_delay_alu instid0(VALU_DEP_1) | instskip(NEXT) | instid1(SALU_CYCLE_1)
	s_and_saveexec_b32 s10, s2
	s_xor_b32 s2, exec_lo, s10
	s_cbranch_execz .LBB94_126
; %bb.125:                              ;   in Loop: Header=BB94_7 Depth=1
	v_ldexp_f64 v[9:10], |v[1:2]|, 0xffffff80
	v_cmp_le_f64_e64 vcc_lo, 0x7b000000, |v[1:2]|
	v_trig_preop_f64 v[11:12], |v[1:2]|, 0
	v_and_b32_e32 v22, 0x7fffffff, v2
	v_trig_preop_f64 v[27:28], |v[1:2]|, 1
	v_trig_preop_f64 v[31:32], |v[1:2]|, 2
	s_mov_b32 s10, s12
	s_mov_b32 s17, s15
	v_dual_cndmask_b32 v9, v1, v9 :: v_dual_cndmask_b32 v10, v22, v10
	s_delay_alu instid0(VALU_DEP_1) | instskip(NEXT) | instid1(VALU_DEP_4)
	v_mul_f64 v[25:26], v[11:12], v[9:10]
	v_mul_f64 v[29:30], v[27:28], v[9:10]
	s_delay_alu instid0(VALU_DEP_4) | instskip(NEXT) | instid1(VALU_DEP_3)
	v_mul_f64 v[33:34], v[31:32], v[9:10]
	v_fma_f64 v[11:12], v[11:12], v[9:10], -v[25:26]
	s_delay_alu instid0(VALU_DEP_3) | instskip(NEXT) | instid1(VALU_DEP_3)
	v_fma_f64 v[27:28], v[27:28], v[9:10], -v[29:30]
	v_fma_f64 v[9:10], v[31:32], v[9:10], -v[33:34]
	s_delay_alu instid0(VALU_DEP_3) | instskip(NEXT) | instid1(VALU_DEP_1)
	v_add_f64 v[31:32], v[29:30], v[11:12]
	v_add_f64 v[35:36], v[31:32], -v[29:30]
	s_delay_alu instid0(VALU_DEP_1) | instskip(SKIP_1) | instid1(VALU_DEP_1)
	v_add_f64 v[11:12], v[11:12], -v[35:36]
	v_add_f64 v[35:36], v[31:32], -v[35:36]
	;; [unrolled: 1-line block ×3, first 2 shown]
	v_add_f64 v[35:36], v[25:26], v[31:32]
	s_delay_alu instid0(VALU_DEP_2) | instskip(NEXT) | instid1(VALU_DEP_2)
	v_add_f64 v[11:12], v[11:12], v[29:30]
	v_add_f64 v[25:26], v[35:36], -v[25:26]
	v_add_f64 v[29:30], v[33:34], v[27:28]
	v_ldexp_f64 v[35:36], v[35:36], -2
	s_delay_alu instid0(VALU_DEP_3) | instskip(NEXT) | instid1(VALU_DEP_3)
	v_add_f64 v[25:26], v[31:32], -v[25:26]
	v_add_f64 v[31:32], v[29:30], -v[33:34]
	s_delay_alu instid0(VALU_DEP_3) | instskip(SKIP_1) | instid1(VALU_DEP_3)
	v_cmp_neq_f64_e64 vcc_lo, 0x7ff00000, |v[35:36]|
	v_fract_f64_e32 v[35:36], v[35:36]
	v_add_f64 v[27:28], v[27:28], -v[31:32]
	v_add_f64 v[31:32], v[29:30], -v[31:32]
	s_delay_alu instid0(VALU_DEP_3) | instskip(NEXT) | instid1(VALU_DEP_2)
	v_dual_cndmask_b32 v35, 0, v35 :: v_dual_cndmask_b32 v36, 0, v36
	v_add_f64 v[31:32], v[33:34], -v[31:32]
	v_add_f64 v[33:34], v[29:30], v[11:12]
	s_delay_alu instid0(VALU_DEP_2) | instskip(NEXT) | instid1(VALU_DEP_2)
	v_add_f64 v[27:28], v[27:28], v[31:32]
	v_add_f64 v[38:39], v[33:34], -v[29:30]
	v_add_f64 v[31:32], v[25:26], v[33:34]
	s_delay_alu instid0(VALU_DEP_2) | instskip(SKIP_1) | instid1(VALU_DEP_3)
	v_add_f64 v[11:12], v[11:12], -v[38:39]
	v_add_f64 v[38:39], v[33:34], -v[38:39]
	;; [unrolled: 1-line block ×3, first 2 shown]
	s_delay_alu instid0(VALU_DEP_2) | instskip(NEXT) | instid1(VALU_DEP_2)
	v_add_f64 v[29:30], v[29:30], -v[38:39]
	v_add_f64 v[25:26], v[33:34], -v[25:26]
	s_delay_alu instid0(VALU_DEP_2) | instskip(SKIP_1) | instid1(VALU_DEP_2)
	v_add_f64 v[11:12], v[11:12], v[29:30]
	v_ldexp_f64 v[29:30], v[35:36], 2
	v_add_f64 v[11:12], v[27:28], v[11:12]
	s_delay_alu instid0(VALU_DEP_2) | instskip(NEXT) | instid1(VALU_DEP_2)
	v_add_f64 v[35:36], v[31:32], v[29:30]
	v_add_f64 v[9:10], v[9:10], v[11:12]
	s_delay_alu instid0(VALU_DEP_2) | instskip(NEXT) | instid1(VALU_DEP_2)
	v_cmp_gt_f64_e32 vcc_lo, 0, v[35:36]
	v_add_f64 v[9:10], v[25:26], v[9:10]
	v_cndmask_b32_e64 v22, 0, 0x40100000, vcc_lo
	s_delay_alu instid0(VALU_DEP_1) | instskip(NEXT) | instid1(VALU_DEP_1)
	v_add_f64 v[11:12], v[29:30], v[21:22]
	v_add_f64 v[27:28], v[31:32], v[11:12]
	s_delay_alu instid0(VALU_DEP_1) | instskip(NEXT) | instid1(VALU_DEP_1)
	v_cvt_i32_f64_e32 v29, v[27:28]
	v_cvt_f64_i32_e32 v[27:28], v29
	s_delay_alu instid0(VALU_DEP_1) | instskip(NEXT) | instid1(VALU_DEP_1)
	v_add_f64 v[11:12], v[11:12], -v[27:28]
	v_add_f64 v[25:26], v[31:32], v[11:12]
	s_delay_alu instid0(VALU_DEP_1) | instskip(SKIP_1) | instid1(VALU_DEP_2)
	v_add_f64 v[11:12], v[25:26], -v[11:12]
	v_cmp_le_f64_e32 vcc_lo, 0.5, v[25:26]
	v_add_f64 v[11:12], v[31:32], -v[11:12]
	v_cndmask_b32_e64 v22, 0, 0x3ff00000, vcc_lo
	s_delay_alu instid0(VALU_DEP_1) | instskip(SKIP_1) | instid1(VALU_DEP_4)
	v_add_f64 v[25:26], v[25:26], -v[21:22]
	v_add_co_ci_u32_e32 v22, vcc_lo, 0, v29, vcc_lo
	v_add_f64 v[9:10], v[9:10], v[11:12]
	s_delay_alu instid0(VALU_DEP_1) | instskip(NEXT) | instid1(VALU_DEP_1)
	v_add_f64 v[11:12], v[25:26], v[9:10]
	v_add_f64 v[25:26], v[11:12], -v[25:26]
	s_delay_alu instid0(VALU_DEP_1) | instskip(SKIP_1) | instid1(VALU_DEP_1)
	v_add_f64 v[9:10], v[9:10], -v[25:26]
	v_mul_f64 v[25:26], v[11:12], s[10:11]
	v_fma_f64 v[27:28], v[11:12], s[10:11], -v[25:26]
	s_delay_alu instid0(VALU_DEP_1) | instskip(NEXT) | instid1(VALU_DEP_1)
	v_fma_f64 v[11:12], v[11:12], s[16:17], v[27:28]
	v_fma_f64 v[11:12], v[9:10], s[10:11], v[11:12]
	s_delay_alu instid0(VALU_DEP_1) | instskip(NEXT) | instid1(VALU_DEP_1)
	v_add_f64 v[9:10], v[25:26], v[11:12]
	v_add_f64 v[25:26], v[9:10], -v[25:26]
	s_delay_alu instid0(VALU_DEP_1)
	v_add_f64 v[11:12], v[11:12], -v[25:26]
.LBB94_126:                             ;   in Loop: Header=BB94_7 Depth=1
	s_and_not1_saveexec_b32 s2, s2
	s_cbranch_execz .LBB94_128
; %bb.127:                              ;   in Loop: Header=BB94_7 Depth=1
	v_mul_f64 v[9:10], |v[1:2]|, s[18:19]
	s_mov_b32 s14, s22
	s_delay_alu instid0(VALU_DEP_1) | instskip(NEXT) | instid1(VALU_DEP_1)
	v_rndne_f64_e32 v[25:26], v[9:10]
	v_fma_f64 v[9:10], v[25:26], s[12:13], |v[1:2]|
	v_mul_f64 v[11:12], v[25:26], s[22:23]
	v_cvt_i32_f64_e32 v22, v[25:26]
	s_delay_alu instid0(VALU_DEP_3) | instskip(NEXT) | instid1(VALU_DEP_3)
	v_fma_f64 v[29:30], v[25:26], s[22:23], v[9:10]
	v_add_f64 v[27:28], v[9:10], v[11:12]
	s_delay_alu instid0(VALU_DEP_1) | instskip(NEXT) | instid1(VALU_DEP_3)
	v_add_f64 v[9:10], v[9:10], -v[27:28]
	v_add_f64 v[27:28], v[27:28], -v[29:30]
	s_delay_alu instid0(VALU_DEP_2) | instskip(SKIP_1) | instid1(VALU_DEP_2)
	v_add_f64 v[9:10], v[9:10], v[11:12]
	v_fma_f64 v[11:12], v[25:26], s[14:15], v[11:12]
	v_add_f64 v[9:10], v[27:28], v[9:10]
	s_delay_alu instid0(VALU_DEP_1) | instskip(NEXT) | instid1(VALU_DEP_1)
	v_add_f64 v[9:10], v[9:10], -v[11:12]
	v_fma_f64 v[11:12], v[25:26], s[24:25], v[9:10]
	s_delay_alu instid0(VALU_DEP_1) | instskip(NEXT) | instid1(VALU_DEP_1)
	v_add_f64 v[9:10], v[29:30], v[11:12]
	v_add_f64 v[27:28], v[9:10], -v[29:30]
	s_delay_alu instid0(VALU_DEP_1)
	v_add_f64 v[11:12], v[11:12], -v[27:28]
.LBB94_128:                             ;   in Loop: Header=BB94_7 Depth=1
	s_or_b32 exec_lo, exec_lo, s2
	v_add_f64 v[25:26], |v[3:4]|, s[34:35]
	s_mov_b32 s58, s34
	s_mov_b32 s62, s64
	;; [unrolled: 1-line block ×5, first 2 shown]
	v_cmp_nge_f64_e64 vcc_lo, |v[3:4]|, s[90:91]
	v_cmp_gt_f64_e64 s2, 0x3e400000, |v[3:4]|
	s_mov_b32 s48, 0xa9a29f71
	s_mov_b32 s50, 0xc751c08c
	s_mov_b32 s49, 0xbf078809
	s_mov_b32 s51, 0x3ef5e089
	s_delay_alu instid0(VALU_DEP_3) | instskip(NEXT) | instid1(VALU_DEP_1)
	v_add_f64 v[27:28], v[25:26], -|v[3:4]|
	v_add_f64 v[29:30], v[27:28], -v[25:26]
	v_add_f64 v[27:28], v[27:28], s[58:59]
	s_delay_alu instid0(VALU_DEP_2) | instskip(NEXT) | instid1(VALU_DEP_1)
	v_add_f64 v[29:30], |v[3:4]|, v[29:30]
	v_add_f64 v[27:28], v[29:30], -v[27:28]
	s_delay_alu instid0(VALU_DEP_1) | instskip(NEXT) | instid1(VALU_DEP_1)
	v_add_f64 v[27:28], v[27:28], s[60:61]
	v_add_f64 v[29:30], v[25:26], v[27:28]
	s_delay_alu instid0(VALU_DEP_1) | instskip(NEXT) | instid1(VALU_DEP_1)
	v_add_f64 v[25:26], v[25:26], -v[29:30]
	v_add_f64 v[25:26], v[27:28], v[25:26]
	v_mul_f64 v[27:28], v[29:30], s[62:63]
	s_delay_alu instid0(VALU_DEP_1) | instskip(NEXT) | instid1(VALU_DEP_1)
	v_rndne_f64_e32 v[27:28], v[27:28]
	v_fma_f64 v[29:30], v[27:28], s[56:57], v[29:30]
	v_cvt_i32_f64_e32 v1, v[27:28]
	s_delay_alu instid0(VALU_DEP_2) | instskip(NEXT) | instid1(VALU_DEP_1)
	v_add_f64 v[31:32], v[25:26], v[29:30]
	v_add_f64 v[29:30], v[29:30], -v[31:32]
	s_delay_alu instid0(VALU_DEP_1) | instskip(SKIP_1) | instid1(VALU_DEP_1)
	v_add_f64 v[25:26], v[25:26], v[29:30]
	v_mul_f64 v[29:30], v[27:28], s[66:67]
	v_add_f64 v[33:34], v[31:32], v[29:30]
	s_delay_alu instid0(VALU_DEP_1) | instskip(NEXT) | instid1(VALU_DEP_1)
	v_add_f64 v[31:32], v[31:32], -v[33:34]
	v_add_f64 v[29:30], v[31:32], v[29:30]
	s_delay_alu instid0(VALU_DEP_1) | instskip(NEXT) | instid1(VALU_DEP_1)
	v_add_f64 v[25:26], v[25:26], v[29:30]
	v_add_f64 v[29:30], v[33:34], v[25:26]
	s_delay_alu instid0(VALU_DEP_1) | instskip(NEXT) | instid1(VALU_DEP_1)
	v_add_f64 v[31:32], v[33:34], -v[29:30]
	v_add_f64 v[25:26], v[25:26], v[31:32]
	v_mul_f64 v[31:32], v[27:28], s[68:69]
	s_delay_alu instid0(VALU_DEP_1) | instskip(NEXT) | instid1(VALU_DEP_1)
	v_add_f64 v[33:34], v[29:30], v[31:32]
	v_add_f64 v[29:30], v[29:30], -v[33:34]
	s_delay_alu instid0(VALU_DEP_1) | instskip(NEXT) | instid1(VALU_DEP_1)
	v_add_f64 v[29:30], v[29:30], v[31:32]
	v_add_f64 v[25:26], v[25:26], v[29:30]
	s_delay_alu instid0(VALU_DEP_1) | instskip(NEXT) | instid1(VALU_DEP_1)
	v_add_f64 v[29:30], v[33:34], v[25:26]
	v_add_f64 v[31:32], v[33:34], -v[29:30]
	s_delay_alu instid0(VALU_DEP_1) | instskip(SKIP_1) | instid1(VALU_DEP_2)
	v_add_f64 v[25:26], v[25:26], v[31:32]
	v_mul_f64 v[31:32], v[29:30], v[29:30]
	v_add_f64 v[35:36], v[25:26], v[25:26]
	s_delay_alu instid0(VALU_DEP_2) | instskip(NEXT) | instid1(VALU_DEP_1)
	v_fma_f64 v[33:34], v[29:30], v[29:30], -v[31:32]
	v_fma_f64 v[33:34], v[29:30], v[35:36], v[33:34]
	s_delay_alu instid0(VALU_DEP_1) | instskip(NEXT) | instid1(VALU_DEP_1)
	v_add_f64 v[35:36], v[31:32], v[33:34]
	v_add_f64 v[31:32], v[35:36], -v[31:32]
	s_delay_alu instid0(VALU_DEP_1) | instskip(SKIP_1) | instid1(VALU_DEP_1)
	v_add_f64 v[31:32], v[33:34], -v[31:32]
	v_fma_f64 v[33:34], v[29:30], s[72:73], s[70:71]
	v_fma_f64 v[33:34], v[29:30], v[33:34], s[74:75]
	s_delay_alu instid0(VALU_DEP_1) | instskip(NEXT) | instid1(VALU_DEP_1)
	v_fma_f64 v[33:34], v[29:30], v[33:34], s[76:77]
	v_fma_f64 v[33:34], v[29:30], v[33:34], s[78:79]
	s_delay_alu instid0(VALU_DEP_1) | instskip(NEXT) | instid1(VALU_DEP_1)
	;; [unrolled: 3-line block ×4, first 2 shown]
	v_fma_f64 v[33:34], v[29:30], v[33:34], s[88:89]
	v_mul_f64 v[38:39], v[35:36], v[33:34]
	s_delay_alu instid0(VALU_DEP_1) | instskip(NEXT) | instid1(VALU_DEP_1)
	v_fma_f64 v[35:36], v[35:36], v[33:34], -v[38:39]
	v_fma_f64 v[31:32], v[31:32], v[33:34], v[35:36]
	s_delay_alu instid0(VALU_DEP_1) | instskip(NEXT) | instid1(VALU_DEP_1)
	v_add_f64 v[33:34], v[38:39], v[31:32]
	v_add_f64 v[35:36], v[33:34], -v[38:39]
	s_delay_alu instid0(VALU_DEP_1) | instskip(SKIP_1) | instid1(VALU_DEP_2)
	v_add_f64 v[31:32], v[31:32], -v[35:36]
	v_add_f64 v[35:36], v[29:30], v[33:34]
	v_add_f64 v[25:26], v[25:26], v[31:32]
	s_delay_alu instid0(VALU_DEP_2) | instskip(NEXT) | instid1(VALU_DEP_1)
	v_add_f64 v[29:30], v[35:36], -v[29:30]
	v_add_f64 v[29:30], v[33:34], -v[29:30]
	s_delay_alu instid0(VALU_DEP_1) | instskip(NEXT) | instid1(VALU_DEP_1)
	v_add_f64 v[25:26], v[25:26], v[29:30]
	v_add_f64 v[29:30], v[35:36], v[25:26]
	s_delay_alu instid0(VALU_DEP_1) | instskip(NEXT) | instid1(VALU_DEP_1)
	v_add_f64 v[31:32], v[29:30], -v[35:36]
	v_add_f64 v[25:26], v[25:26], -v[31:32]
	v_add_f64 v[31:32], v[29:30], 1.0
	s_delay_alu instid0(VALU_DEP_1) | instskip(NEXT) | instid1(VALU_DEP_1)
	v_add_f64 v[33:34], v[31:32], -1.0
	v_add_f64 v[29:30], v[29:30], -v[33:34]
	s_delay_alu instid0(VALU_DEP_1) | instskip(NEXT) | instid1(VALU_DEP_1)
	v_add_f64 v[25:26], v[25:26], v[29:30]
	v_add_f64 v[27:28], v[31:32], v[25:26]
	s_delay_alu instid0(VALU_DEP_1) | instskip(SKIP_1) | instid1(VALU_DEP_2)
	v_add_f64 v[29:30], v[27:28], -v[31:32]
	v_ldexp_f64 v[27:28], v[27:28], v1
	v_add_f64 v[25:26], v[25:26], -v[29:30]
	s_delay_alu instid0(VALU_DEP_2) | instskip(NEXT) | instid1(VALU_DEP_1)
	v_rcp_f64_e32 v[31:32], v[27:28]
	v_ldexp_f64 v[25:26], v[25:26], v1
	v_and_b32_e32 v1, 0x7fffffff, v4
	v_xor_b32_e32 v4, 0x80000000, v4
	s_waitcnt_depctr 0xfff
	v_fma_f64 v[33:34], -v[27:28], v[31:32], 1.0
	s_delay_alu instid0(VALU_DEP_1) | instskip(NEXT) | instid1(VALU_DEP_1)
	v_fma_f64 v[31:32], v[33:34], v[31:32], v[31:32]
	v_fma_f64 v[29:30], -v[27:28], v[31:32], 1.0
	s_delay_alu instid0(VALU_DEP_1) | instskip(NEXT) | instid1(VALU_DEP_1)
	v_fma_f64 v[29:30], v[29:30], v[31:32], v[31:32]
	v_mul_f64 v[31:32], v[27:28], v[29:30]
	s_delay_alu instid0(VALU_DEP_1) | instskip(NEXT) | instid1(VALU_DEP_1)
	v_fma_f64 v[33:34], v[29:30], v[27:28], -v[31:32]
	v_fma_f64 v[33:34], v[29:30], v[25:26], v[33:34]
	s_delay_alu instid0(VALU_DEP_1) | instskip(NEXT) | instid1(VALU_DEP_1)
	v_add_f64 v[35:36], v[31:32], v[33:34]
	v_add_f64 v[31:32], v[35:36], -v[31:32]
	s_delay_alu instid0(VALU_DEP_1) | instskip(SKIP_1) | instid1(VALU_DEP_1)
	v_add_f64 v[31:32], v[31:32], -v[33:34]
	v_add_f64 v[33:34], -v[35:36], 1.0
	v_add_f64 v[38:39], -v[33:34], 1.0
	s_delay_alu instid0(VALU_DEP_1) | instskip(NEXT) | instid1(VALU_DEP_1)
	v_add_f64 v[35:36], v[38:39], -v[35:36]
	v_add_f64 v[31:32], v[31:32], v[35:36]
	s_delay_alu instid0(VALU_DEP_1) | instskip(NEXT) | instid1(VALU_DEP_1)
	v_add_f64 v[35:36], v[33:34], v[31:32]
	v_add_f64 v[33:34], v[33:34], -v[35:36]
	s_delay_alu instid0(VALU_DEP_1) | instskip(SKIP_1) | instid1(VALU_DEP_1)
	v_add_f64 v[31:32], v[31:32], v[33:34]
	v_mul_f64 v[33:34], v[29:30], v[35:36]
	v_mul_f64 v[38:39], v[27:28], v[33:34]
	s_delay_alu instid0(VALU_DEP_1) | instskip(NEXT) | instid1(VALU_DEP_1)
	v_fma_f64 v[40:41], v[33:34], v[27:28], -v[38:39]
	v_fma_f64 v[40:41], v[33:34], v[25:26], v[40:41]
	s_delay_alu instid0(VALU_DEP_1) | instskip(NEXT) | instid1(VALU_DEP_1)
	v_add_f64 v[42:43], v[38:39], v[40:41]
	v_add_f64 v[44:45], v[35:36], -v[42:43]
	v_add_f64 v[38:39], v[42:43], -v[38:39]
	s_delay_alu instid0(VALU_DEP_2) | instskip(NEXT) | instid1(VALU_DEP_2)
	v_add_f64 v[35:36], v[35:36], -v[44:45]
	v_add_f64 v[38:39], v[38:39], -v[40:41]
	s_delay_alu instid0(VALU_DEP_2) | instskip(NEXT) | instid1(VALU_DEP_1)
	v_add_f64 v[35:36], v[35:36], -v[42:43]
	v_add_f64 v[31:32], v[31:32], v[35:36]
	v_add_f64 v[35:36], v[29:30], v[33:34]
	s_delay_alu instid0(VALU_DEP_2) | instskip(NEXT) | instid1(VALU_DEP_2)
	v_add_f64 v[31:32], v[38:39], v[31:32]
	v_add_f64 v[38:39], v[35:36], -v[29:30]
	s_delay_alu instid0(VALU_DEP_2) | instskip(NEXT) | instid1(VALU_DEP_2)
	v_add_f64 v[31:32], v[44:45], v[31:32]
	v_add_f64 v[33:34], v[33:34], -v[38:39]
	s_delay_alu instid0(VALU_DEP_2) | instskip(NEXT) | instid1(VALU_DEP_1)
	v_mul_f64 v[29:30], v[29:30], v[31:32]
	v_add_f64 v[29:30], v[33:34], v[29:30]
	s_delay_alu instid0(VALU_DEP_1) | instskip(NEXT) | instid1(VALU_DEP_1)
	v_add_f64 v[31:32], v[35:36], v[29:30]
	v_add_f64 v[33:34], v[31:32], -v[35:36]
	v_ldexp_f64 v[31:32], v[31:32], -2
	s_delay_alu instid0(VALU_DEP_2) | instskip(NEXT) | instid1(VALU_DEP_2)
	v_add_f64 v[29:30], v[29:30], -v[33:34]
	v_add_f64 v[35:36], v[27:28], -v[31:32]
	s_delay_alu instid0(VALU_DEP_1) | instskip(NEXT) | instid1(VALU_DEP_1)
	v_add_f64 v[27:28], v[27:28], -v[35:36]
	v_add_f64 v[27:28], v[27:28], -v[31:32]
	s_delay_alu instid0(VALU_DEP_1) | instskip(SKIP_1) | instid1(VALU_DEP_1)
	v_add_f64 v[25:26], v[25:26], v[27:28]
	v_ldexp_f64 v[27:28], v[29:30], -2
	v_add_f64 v[25:26], v[25:26], -v[27:28]
	s_delay_alu instid0(VALU_DEP_1) | instskip(SKIP_1) | instid1(VALU_DEP_2)
	v_add_f64 v[25:26], v[35:36], v[25:26]
	v_and_b32_e32 v35, 0x80000000, v2
	v_cndmask_b32_e32 v26, 0x7ff00000, v26, vcc_lo
	s_delay_alu instid0(VALU_DEP_3) | instskip(NEXT) | instid1(VALU_DEP_2)
	v_cndmask_b32_e32 v25, 0, v25, vcc_lo
	v_cndmask_b32_e64 v1, v26, v1, s2
	s_delay_alu instid0(VALU_DEP_2) | instskip(NEXT) | instid1(VALU_DEP_2)
	v_cndmask_b32_e64 v3, v25, v3, s2
	v_bfi_b32 v4, 0x7fffffff, v1, v4
	s_delay_alu instid0(VALU_DEP_1) | instskip(NEXT) | instid1(VALU_DEP_1)
	v_fma_f64 v[25:26], v[3:4], v[3:4], 1.0
	v_cmp_gt_f64_e32 vcc_lo, 0x10000000, v[25:26]
	v_cndmask_b32_e64 v1, 0, 1, vcc_lo
	s_delay_alu instid0(VALU_DEP_1) | instskip(NEXT) | instid1(VALU_DEP_1)
	v_lshlrev_b32_e32 v1, 8, v1
	v_ldexp_f64 v[25:26], v[25:26], v1
	v_mul_f64 v[1:2], v[9:10], v[9:10]
	s_delay_alu instid0(VALU_DEP_2) | instskip(SKIP_3) | instid1(VALU_DEP_1)
	v_rsq_f64_e32 v[27:28], v[25:26]
	s_waitcnt_depctr 0xfff
	v_mul_f64 v[29:30], v[25:26], v[27:28]
	v_mul_f64 v[27:28], v[27:28], 0.5
	v_fma_f64 v[31:32], -v[27:28], v[29:30], 0.5
	s_delay_alu instid0(VALU_DEP_1) | instskip(SKIP_1) | instid1(VALU_DEP_2)
	v_fma_f64 v[29:30], v[29:30], v[31:32], v[29:30]
	v_fma_f64 v[27:28], v[27:28], v[31:32], v[27:28]
	v_fma_f64 v[31:32], -v[29:30], v[29:30], v[25:26]
	s_delay_alu instid0(VALU_DEP_1) | instskip(NEXT) | instid1(VALU_DEP_1)
	v_fma_f64 v[29:30], v[31:32], v[27:28], v[29:30]
	v_fma_f64 v[31:32], -v[29:30], v[29:30], v[25:26]
	s_delay_alu instid0(VALU_DEP_1) | instskip(SKIP_2) | instid1(VALU_DEP_1)
	v_fma_f64 v[27:28], v[31:32], v[27:28], v[29:30]
	v_add_f64 v[29:30], v[11:12], v[11:12]
	v_fma_f64 v[31:32], v[9:10], v[9:10], -v[1:2]
	v_fma_f64 v[29:30], v[9:10], v[29:30], v[31:32]
	s_delay_alu instid0(VALU_DEP_1) | instskip(NEXT) | instid1(VALU_DEP_1)
	v_add_f64 v[1:2], v[1:2], v[29:30]
	v_fma_f64 v[29:30], v[1:2], s[50:51], s[48:49]
	s_mov_b32 s48, 0x90a8aae0
	s_mov_b32 s49, 0x3f17746f
	s_delay_alu instid0(VALU_DEP_1) | instid1(SALU_CYCLE_1)
	v_fma_f64 v[29:30], v[1:2], v[29:30], s[48:49]
	s_mov_b32 s48, 0xa6fbf144
	s_mov_b32 s49, 0xbefbb44d
	s_delay_alu instid0(VALU_DEP_1) | instid1(SALU_CYCLE_1)
	;; [unrolled: 4-line block ×10, first 2 shown]
	v_fma_f64 v[29:30], v[1:2], v[29:30], s[48:49]
	s_delay_alu instid0(VALU_DEP_1) | instskip(NEXT) | instid1(VALU_DEP_1)
	v_fma_f64 v[29:30], v[1:2], v[29:30], s[52:53]
	v_fma_f64 v[29:30], v[1:2], v[29:30], s[54:55]
	s_delay_alu instid0(VALU_DEP_1) | instskip(NEXT) | instid1(VALU_DEP_1)
	v_mul_f64 v[1:2], v[1:2], v[29:30]
	v_mul_f64 v[29:30], v[9:10], v[1:2]
	s_delay_alu instid0(VALU_DEP_1) | instskip(NEXT) | instid1(VALU_DEP_1)
	v_fma_f64 v[1:2], v[9:10], v[1:2], -v[29:30]
	v_add_f64 v[1:2], v[11:12], v[1:2]
	v_add_f64 v[11:12], v[9:10], v[29:30]
	s_delay_alu instid0(VALU_DEP_1) | instskip(NEXT) | instid1(VALU_DEP_1)
	v_add_f64 v[9:10], v[11:12], -v[9:10]
	v_add_f64 v[9:10], v[29:30], -v[9:10]
	s_delay_alu instid0(VALU_DEP_1) | instskip(NEXT) | instid1(VALU_DEP_1)
	v_add_f64 v[1:2], v[1:2], v[9:10]
	v_add_f64 v[9:10], v[11:12], v[1:2]
	s_delay_alu instid0(VALU_DEP_1) | instskip(SKIP_1) | instid1(VALU_DEP_1)
	v_rcp_f64_e32 v[29:30], v[9:10]
	v_add_f64 v[11:12], v[9:10], -v[11:12]
	v_add_f64 v[1:2], v[1:2], -v[11:12]
	s_waitcnt_depctr 0xfff
	v_fma_f64 v[31:32], -v[9:10], v[29:30], 1.0
	s_delay_alu instid0(VALU_DEP_1) | instskip(NEXT) | instid1(VALU_DEP_1)
	v_fma_f64 v[29:30], v[31:32], v[29:30], v[29:30]
	v_fma_f64 v[31:32], -v[9:10], v[29:30], 1.0
	s_delay_alu instid0(VALU_DEP_1) | instskip(NEXT) | instid1(VALU_DEP_1)
	v_fma_f64 v[29:30], v[31:32], v[29:30], v[29:30]
	v_mul_f64 v[11:12], v[9:10], v[29:30]
	s_delay_alu instid0(VALU_DEP_1) | instskip(NEXT) | instid1(VALU_DEP_1)
	v_fma_f64 v[31:32], v[29:30], v[9:10], -v[11:12]
	v_fma_f64 v[1:2], v[29:30], v[1:2], v[31:32]
	s_delay_alu instid0(VALU_DEP_1) | instskip(NEXT) | instid1(VALU_DEP_1)
	v_add_f64 v[31:32], v[11:12], v[1:2]
	v_add_f64 v[11:12], v[31:32], -v[11:12]
	s_delay_alu instid0(VALU_DEP_1) | instskip(SKIP_1) | instid1(VALU_DEP_1)
	v_add_f64 v[1:2], v[11:12], -v[1:2]
	v_add_f64 v[11:12], -v[31:32], 1.0
	v_add_f64 v[33:34], -v[11:12], 1.0
	s_delay_alu instid0(VALU_DEP_1) | instskip(NEXT) | instid1(VALU_DEP_1)
	v_add_f64 v[31:32], v[33:34], -v[31:32]
	v_add_f64 v[1:2], v[1:2], v[31:32]
	s_delay_alu instid0(VALU_DEP_1) | instskip(SKIP_1) | instid1(VALU_DEP_1)
	v_add_f64 v[1:2], v[11:12], v[1:2]
	v_and_b32_e32 v11, 1, v22
	v_cmp_eq_u32_e64 s2, 0, v11
	s_delay_alu instid0(VALU_DEP_3) | instskip(NEXT) | instid1(VALU_DEP_1)
	v_mul_f64 v[1:2], v[29:30], v[1:2]
	v_add_f64 v[1:2], v[29:30], v[1:2]
	s_delay_alu instid0(VALU_DEP_1) | instskip(NEXT) | instid1(VALU_DEP_2)
	v_xor_b32_e32 v2, 0x80000000, v2
	v_cndmask_b32_e64 v1, v1, v9, s2
	s_delay_alu instid0(VALU_DEP_2) | instskip(SKIP_2) | instid1(VALU_DEP_3)
	v_cndmask_b32_e64 v2, v2, v10, s2
	v_cndmask_b32_e64 v10, 0, 0xffffff80, vcc_lo
	v_cmp_class_f64_e64 vcc_lo, v[25:26], 0x260
	v_xor_b32_e32 v2, v2, v35
	s_delay_alu instid0(VALU_DEP_3) | instskip(NEXT) | instid1(VALU_DEP_2)
	v_ldexp_f64 v[9:10], v[27:28], v10
	v_fma_f64 v[11:12], v[1:2], v[1:2], 1.0
	s_delay_alu instid0(VALU_DEP_2) | instskip(NEXT) | instid1(VALU_DEP_2)
	v_dual_cndmask_b32 v10, v10, v26 :: v_dual_cndmask_b32 v9, v9, v25
	v_mul_f64 v[25:26], v[3:4], v[11:12]
	s_delay_alu instid0(VALU_DEP_2) | instskip(NEXT) | instid1(VALU_DEP_2)
	v_mul_f64 v[9:10], v[9:10], v[11:12]
	v_fma_f64 v[25:26], v[3:4], v[25:26], 1.0
	s_delay_alu instid0(VALU_DEP_2) | instskip(NEXT) | instid1(VALU_DEP_1)
	v_mul_f64 v[3:4], v[3:4], v[9:10]
	v_div_scale_f64 v[9:10], null, v[25:26], v[25:26], v[3:4]
	s_delay_alu instid0(VALU_DEP_1) | instskip(SKIP_2) | instid1(VALU_DEP_1)
	v_rcp_f64_e32 v[11:12], v[9:10]
	s_waitcnt_depctr 0xfff
	v_fma_f64 v[27:28], -v[9:10], v[11:12], 1.0
	v_fma_f64 v[11:12], v[11:12], v[27:28], v[11:12]
	s_delay_alu instid0(VALU_DEP_1) | instskip(NEXT) | instid1(VALU_DEP_1)
	v_fma_f64 v[27:28], -v[9:10], v[11:12], 1.0
	v_fma_f64 v[11:12], v[11:12], v[27:28], v[11:12]
	v_div_scale_f64 v[27:28], vcc_lo, v[3:4], v[25:26], v[3:4]
	s_delay_alu instid0(VALU_DEP_1) | instskip(NEXT) | instid1(VALU_DEP_1)
	v_mul_f64 v[29:30], v[27:28], v[11:12]
	v_fma_f64 v[9:10], -v[9:10], v[29:30], v[27:28]
	s_delay_alu instid0(VALU_DEP_1) | instskip(SKIP_1) | instid1(VALU_DEP_1)
	v_div_fmas_f64 v[9:10], v[9:10], v[11:12], v[29:30]
	v_div_scale_f64 v[11:12], null, v[25:26], v[25:26], v[1:2]
	v_rcp_f64_e32 v[27:28], v[11:12]
	s_waitcnt_depctr 0xfff
	v_fma_f64 v[29:30], -v[11:12], v[27:28], 1.0
	s_delay_alu instid0(VALU_DEP_1) | instskip(NEXT) | instid1(VALU_DEP_1)
	v_fma_f64 v[27:28], v[27:28], v[29:30], v[27:28]
	v_fma_f64 v[29:30], -v[11:12], v[27:28], 1.0
	s_delay_alu instid0(VALU_DEP_1) | instskip(SKIP_1) | instid1(VALU_DEP_1)
	v_fma_f64 v[27:28], v[27:28], v[29:30], v[27:28]
	v_div_scale_f64 v[29:30], vcc_lo, v[1:2], v[25:26], v[1:2]
	v_mul_f64 v[31:32], v[29:30], v[27:28]
	s_delay_alu instid0(VALU_DEP_1) | instskip(NEXT) | instid1(VALU_DEP_1)
	v_fma_f64 v[11:12], -v[11:12], v[31:32], v[29:30]
	v_div_fmas_f64 v[27:28], v[11:12], v[27:28], v[31:32]
	v_div_fixup_f64 v[11:12], v[9:10], v[25:26], v[3:4]
	s_delay_alu instid0(VALU_DEP_2)
	v_div_fixup_f64 v[9:10], v[27:28], v[25:26], v[1:2]
                                        ; implicit-def: $vgpr1_vgpr2
.LBB94_129:                             ;   in Loop: Header=BB94_7 Depth=1
	s_and_not1_saveexec_b32 s2, s38
	s_cbranch_execz .LBB94_139
; %bb.130:                              ;   in Loop: Header=BB94_7 Depth=1
	v_cmp_ngt_f64_e64 s38, 0x41d00000, |v[1:2]|
                                        ; implicit-def: $vgpr29
                                        ; implicit-def: $vgpr9_vgpr10
                                        ; implicit-def: $vgpr11_vgpr12
	s_delay_alu instid0(VALU_DEP_1) | instskip(NEXT) | instid1(SALU_CYCLE_1)
	s_and_saveexec_b32 s10, s38
	s_xor_b32 s14, exec_lo, s10
	s_cbranch_execz .LBB94_132
; %bb.131:                              ;   in Loop: Header=BB94_7 Depth=1
	v_ldexp_f64 v[9:10], |v[1:2]|, 0xffffff80
	v_cmp_le_f64_e64 vcc_lo, 0x7b000000, |v[1:2]|
	v_trig_preop_f64 v[11:12], |v[1:2]|, 0
	v_and_b32_e32 v22, 0x7fffffff, v2
	v_trig_preop_f64 v[27:28], |v[1:2]|, 1
	v_trig_preop_f64 v[31:32], |v[1:2]|, 2
	s_mov_b32 s10, s12
	s_mov_b32 s17, s15
	v_dual_cndmask_b32 v9, v1, v9 :: v_dual_cndmask_b32 v10, v22, v10
	s_delay_alu instid0(VALU_DEP_1) | instskip(NEXT) | instid1(VALU_DEP_4)
	v_mul_f64 v[25:26], v[11:12], v[9:10]
	v_mul_f64 v[29:30], v[27:28], v[9:10]
	s_delay_alu instid0(VALU_DEP_4) | instskip(NEXT) | instid1(VALU_DEP_3)
	v_mul_f64 v[33:34], v[31:32], v[9:10]
	v_fma_f64 v[11:12], v[11:12], v[9:10], -v[25:26]
	s_delay_alu instid0(VALU_DEP_3) | instskip(NEXT) | instid1(VALU_DEP_3)
	v_fma_f64 v[27:28], v[27:28], v[9:10], -v[29:30]
	v_fma_f64 v[9:10], v[31:32], v[9:10], -v[33:34]
	s_delay_alu instid0(VALU_DEP_3) | instskip(NEXT) | instid1(VALU_DEP_1)
	v_add_f64 v[31:32], v[29:30], v[11:12]
	v_add_f64 v[35:36], v[31:32], -v[29:30]
	s_delay_alu instid0(VALU_DEP_1) | instskip(SKIP_1) | instid1(VALU_DEP_1)
	v_add_f64 v[11:12], v[11:12], -v[35:36]
	v_add_f64 v[35:36], v[31:32], -v[35:36]
	;; [unrolled: 1-line block ×3, first 2 shown]
	v_add_f64 v[35:36], v[25:26], v[31:32]
	s_delay_alu instid0(VALU_DEP_2) | instskip(NEXT) | instid1(VALU_DEP_2)
	v_add_f64 v[11:12], v[11:12], v[29:30]
	v_add_f64 v[25:26], v[35:36], -v[25:26]
	v_add_f64 v[29:30], v[33:34], v[27:28]
	v_ldexp_f64 v[35:36], v[35:36], -2
	s_delay_alu instid0(VALU_DEP_3) | instskip(NEXT) | instid1(VALU_DEP_3)
	v_add_f64 v[25:26], v[31:32], -v[25:26]
	v_add_f64 v[31:32], v[29:30], -v[33:34]
	s_delay_alu instid0(VALU_DEP_3) | instskip(SKIP_1) | instid1(VALU_DEP_3)
	v_cmp_neq_f64_e64 vcc_lo, 0x7ff00000, |v[35:36]|
	v_fract_f64_e32 v[35:36], v[35:36]
	v_add_f64 v[27:28], v[27:28], -v[31:32]
	v_add_f64 v[31:32], v[29:30], -v[31:32]
	s_delay_alu instid0(VALU_DEP_3) | instskip(NEXT) | instid1(VALU_DEP_2)
	v_dual_cndmask_b32 v35, 0, v35 :: v_dual_cndmask_b32 v36, 0, v36
	v_add_f64 v[31:32], v[33:34], -v[31:32]
	v_add_f64 v[33:34], v[29:30], v[11:12]
	s_delay_alu instid0(VALU_DEP_2) | instskip(NEXT) | instid1(VALU_DEP_2)
	v_add_f64 v[27:28], v[27:28], v[31:32]
	v_add_f64 v[38:39], v[33:34], -v[29:30]
	v_add_f64 v[31:32], v[25:26], v[33:34]
	s_delay_alu instid0(VALU_DEP_2) | instskip(SKIP_1) | instid1(VALU_DEP_3)
	v_add_f64 v[11:12], v[11:12], -v[38:39]
	v_add_f64 v[38:39], v[33:34], -v[38:39]
	;; [unrolled: 1-line block ×3, first 2 shown]
	s_delay_alu instid0(VALU_DEP_2) | instskip(NEXT) | instid1(VALU_DEP_2)
	v_add_f64 v[29:30], v[29:30], -v[38:39]
	v_add_f64 v[25:26], v[33:34], -v[25:26]
	s_delay_alu instid0(VALU_DEP_2) | instskip(SKIP_1) | instid1(VALU_DEP_2)
	v_add_f64 v[11:12], v[11:12], v[29:30]
	v_ldexp_f64 v[29:30], v[35:36], 2
	v_add_f64 v[11:12], v[27:28], v[11:12]
	s_delay_alu instid0(VALU_DEP_2) | instskip(NEXT) | instid1(VALU_DEP_2)
	v_add_f64 v[35:36], v[31:32], v[29:30]
	v_add_f64 v[9:10], v[9:10], v[11:12]
	s_delay_alu instid0(VALU_DEP_2) | instskip(NEXT) | instid1(VALU_DEP_2)
	v_cmp_gt_f64_e32 vcc_lo, 0, v[35:36]
	v_add_f64 v[9:10], v[25:26], v[9:10]
	v_cndmask_b32_e64 v22, 0, 0x40100000, vcc_lo
	s_delay_alu instid0(VALU_DEP_1) | instskip(NEXT) | instid1(VALU_DEP_1)
	v_add_f64 v[11:12], v[29:30], v[21:22]
	v_add_f64 v[27:28], v[31:32], v[11:12]
	s_delay_alu instid0(VALU_DEP_1) | instskip(NEXT) | instid1(VALU_DEP_1)
	v_cvt_i32_f64_e32 v29, v[27:28]
	v_cvt_f64_i32_e32 v[27:28], v29
	s_delay_alu instid0(VALU_DEP_1) | instskip(NEXT) | instid1(VALU_DEP_1)
	v_add_f64 v[11:12], v[11:12], -v[27:28]
	v_add_f64 v[25:26], v[31:32], v[11:12]
	s_delay_alu instid0(VALU_DEP_1) | instskip(SKIP_1) | instid1(VALU_DEP_2)
	v_add_f64 v[11:12], v[25:26], -v[11:12]
	v_cmp_le_f64_e32 vcc_lo, 0.5, v[25:26]
	v_add_f64 v[11:12], v[31:32], -v[11:12]
	v_cndmask_b32_e64 v22, 0, 0x3ff00000, vcc_lo
	v_add_co_ci_u32_e32 v29, vcc_lo, 0, v29, vcc_lo
	s_delay_alu instid0(VALU_DEP_2) | instskip(NEXT) | instid1(VALU_DEP_4)
	v_add_f64 v[25:26], v[25:26], -v[21:22]
	v_add_f64 v[9:10], v[9:10], v[11:12]
	s_delay_alu instid0(VALU_DEP_1) | instskip(NEXT) | instid1(VALU_DEP_1)
	v_add_f64 v[11:12], v[25:26], v[9:10]
	v_add_f64 v[25:26], v[11:12], -v[25:26]
	s_delay_alu instid0(VALU_DEP_1) | instskip(SKIP_1) | instid1(VALU_DEP_1)
	v_add_f64 v[9:10], v[9:10], -v[25:26]
	v_mul_f64 v[25:26], v[11:12], s[10:11]
	v_fma_f64 v[27:28], v[11:12], s[10:11], -v[25:26]
	s_delay_alu instid0(VALU_DEP_1) | instskip(NEXT) | instid1(VALU_DEP_1)
	v_fma_f64 v[11:12], v[11:12], s[16:17], v[27:28]
	v_fma_f64 v[11:12], v[9:10], s[10:11], v[11:12]
	s_delay_alu instid0(VALU_DEP_1) | instskip(NEXT) | instid1(VALU_DEP_1)
	v_add_f64 v[9:10], v[25:26], v[11:12]
	v_add_f64 v[25:26], v[9:10], -v[25:26]
	s_delay_alu instid0(VALU_DEP_1)
	v_add_f64 v[11:12], v[11:12], -v[25:26]
	s_and_not1_saveexec_b32 s10, s14
	s_cbranch_execz .LBB94_134
	s_branch .LBB94_133
.LBB94_132:                             ;   in Loop: Header=BB94_7 Depth=1
	s_and_not1_saveexec_b32 s10, s14
	s_cbranch_execz .LBB94_134
.LBB94_133:                             ;   in Loop: Header=BB94_7 Depth=1
	v_mul_f64 v[9:10], |v[1:2]|, s[18:19]
	s_mov_b32 s14, s22
	s_delay_alu instid0(VALU_DEP_1) | instskip(NEXT) | instid1(VALU_DEP_1)
	v_rndne_f64_e32 v[25:26], v[9:10]
	v_fma_f64 v[9:10], v[25:26], s[12:13], |v[1:2]|
	v_mul_f64 v[11:12], v[25:26], s[22:23]
	s_delay_alu instid0(VALU_DEP_2) | instskip(NEXT) | instid1(VALU_DEP_2)
	v_fma_f64 v[29:30], v[25:26], s[22:23], v[9:10]
	v_add_f64 v[27:28], v[9:10], v[11:12]
	s_delay_alu instid0(VALU_DEP_1) | instskip(NEXT) | instid1(VALU_DEP_3)
	v_add_f64 v[9:10], v[9:10], -v[27:28]
	v_add_f64 v[27:28], v[27:28], -v[29:30]
	s_delay_alu instid0(VALU_DEP_2) | instskip(SKIP_1) | instid1(VALU_DEP_2)
	v_add_f64 v[9:10], v[9:10], v[11:12]
	v_fma_f64 v[11:12], v[25:26], s[14:15], v[11:12]
	v_add_f64 v[9:10], v[27:28], v[9:10]
	s_delay_alu instid0(VALU_DEP_1) | instskip(NEXT) | instid1(VALU_DEP_1)
	v_add_f64 v[9:10], v[9:10], -v[11:12]
	v_fma_f64 v[11:12], v[25:26], s[24:25], v[9:10]
	s_delay_alu instid0(VALU_DEP_1) | instskip(NEXT) | instid1(VALU_DEP_1)
	v_add_f64 v[9:10], v[29:30], v[11:12]
	v_add_f64 v[27:28], v[9:10], -v[29:30]
	v_cvt_i32_f64_e32 v29, v[25:26]
	s_delay_alu instid0(VALU_DEP_2)
	v_add_f64 v[11:12], v[11:12], -v[27:28]
.LBB94_134:                             ;   in Loop: Header=BB94_7 Depth=1
	s_or_b32 exec_lo, exec_lo, s10
                                        ; implicit-def: $vgpr22
                                        ; implicit-def: $vgpr25_vgpr26
                                        ; implicit-def: $vgpr27_vgpr28
	s_and_saveexec_b32 s10, s38
	s_delay_alu instid0(SALU_CYCLE_1)
	s_xor_b32 s14, exec_lo, s10
	s_cbranch_execz .LBB94_136
; %bb.135:                              ;   in Loop: Header=BB94_7 Depth=1
	v_ldexp_f64 v[25:26], |v[1:2]|, 0xffffff80
	v_cmp_le_f64_e64 vcc_lo, 0x7b000000, |v[1:2]|
	v_trig_preop_f64 v[27:28], |v[1:2]|, 0
	v_and_b32_e32 v22, 0x7fffffff, v2
	v_trig_preop_f64 v[32:33], |v[1:2]|, 1
	v_trig_preop_f64 v[38:39], |v[1:2]|, 2
	s_mov_b32 s10, s12
	s_mov_b32 s17, s15
	v_dual_cndmask_b32 v25, v1, v25 :: v_dual_cndmask_b32 v26, v22, v26
	s_delay_alu instid0(VALU_DEP_1) | instskip(NEXT) | instid1(VALU_DEP_4)
	v_mul_f64 v[30:31], v[27:28], v[25:26]
	v_mul_f64 v[34:35], v[32:33], v[25:26]
	s_delay_alu instid0(VALU_DEP_4) | instskip(NEXT) | instid1(VALU_DEP_3)
	v_mul_f64 v[40:41], v[38:39], v[25:26]
	v_fma_f64 v[27:28], v[27:28], v[25:26], -v[30:31]
	s_delay_alu instid0(VALU_DEP_3) | instskip(NEXT) | instid1(VALU_DEP_3)
	v_fma_f64 v[32:33], v[32:33], v[25:26], -v[34:35]
	v_fma_f64 v[25:26], v[38:39], v[25:26], -v[40:41]
	s_delay_alu instid0(VALU_DEP_3) | instskip(NEXT) | instid1(VALU_DEP_1)
	v_add_f64 v[38:39], v[34:35], v[27:28]
	v_add_f64 v[42:43], v[38:39], -v[34:35]
	s_delay_alu instid0(VALU_DEP_1) | instskip(SKIP_1) | instid1(VALU_DEP_1)
	v_add_f64 v[27:28], v[27:28], -v[42:43]
	v_add_f64 v[42:43], v[38:39], -v[42:43]
	;; [unrolled: 1-line block ×3, first 2 shown]
	v_add_f64 v[42:43], v[30:31], v[38:39]
	s_delay_alu instid0(VALU_DEP_2) | instskip(NEXT) | instid1(VALU_DEP_2)
	v_add_f64 v[27:28], v[27:28], v[34:35]
	v_add_f64 v[30:31], v[42:43], -v[30:31]
	v_add_f64 v[34:35], v[40:41], v[32:33]
	v_ldexp_f64 v[42:43], v[42:43], -2
	s_delay_alu instid0(VALU_DEP_3) | instskip(NEXT) | instid1(VALU_DEP_3)
	v_add_f64 v[30:31], v[38:39], -v[30:31]
	v_add_f64 v[38:39], v[34:35], -v[40:41]
	s_delay_alu instid0(VALU_DEP_3) | instskip(SKIP_1) | instid1(VALU_DEP_3)
	v_cmp_neq_f64_e64 vcc_lo, 0x7ff00000, |v[42:43]|
	v_fract_f64_e32 v[42:43], v[42:43]
	v_add_f64 v[32:33], v[32:33], -v[38:39]
	v_add_f64 v[38:39], v[34:35], -v[38:39]
	s_delay_alu instid0(VALU_DEP_3) | instskip(NEXT) | instid1(VALU_DEP_2)
	v_dual_cndmask_b32 v43, 0, v43 :: v_dual_cndmask_b32 v42, 0, v42
	v_add_f64 v[38:39], v[40:41], -v[38:39]
	v_add_f64 v[40:41], v[34:35], v[27:28]
	s_delay_alu instid0(VALU_DEP_2) | instskip(NEXT) | instid1(VALU_DEP_2)
	v_add_f64 v[32:33], v[32:33], v[38:39]
	v_add_f64 v[44:45], v[40:41], -v[34:35]
	v_add_f64 v[38:39], v[30:31], v[40:41]
	s_delay_alu instid0(VALU_DEP_2) | instskip(SKIP_1) | instid1(VALU_DEP_3)
	v_add_f64 v[27:28], v[27:28], -v[44:45]
	v_add_f64 v[44:45], v[40:41], -v[44:45]
	;; [unrolled: 1-line block ×3, first 2 shown]
	s_delay_alu instid0(VALU_DEP_2) | instskip(NEXT) | instid1(VALU_DEP_2)
	v_add_f64 v[34:35], v[34:35], -v[44:45]
	v_add_f64 v[30:31], v[40:41], -v[30:31]
	s_delay_alu instid0(VALU_DEP_2) | instskip(SKIP_1) | instid1(VALU_DEP_2)
	v_add_f64 v[27:28], v[27:28], v[34:35]
	v_ldexp_f64 v[34:35], v[42:43], 2
	v_add_f64 v[27:28], v[32:33], v[27:28]
	s_delay_alu instid0(VALU_DEP_2) | instskip(NEXT) | instid1(VALU_DEP_2)
	v_add_f64 v[42:43], v[38:39], v[34:35]
	v_add_f64 v[25:26], v[25:26], v[27:28]
	s_delay_alu instid0(VALU_DEP_2) | instskip(NEXT) | instid1(VALU_DEP_2)
	v_cmp_gt_f64_e32 vcc_lo, 0, v[42:43]
	v_add_f64 v[25:26], v[30:31], v[25:26]
	v_cndmask_b32_e64 v22, 0, 0x40100000, vcc_lo
	s_delay_alu instid0(VALU_DEP_1) | instskip(NEXT) | instid1(VALU_DEP_1)
	v_add_f64 v[27:28], v[34:35], v[21:22]
	v_add_f64 v[32:33], v[38:39], v[27:28]
	s_delay_alu instid0(VALU_DEP_1) | instskip(NEXT) | instid1(VALU_DEP_1)
	v_cvt_i32_f64_e32 v34, v[32:33]
	v_cvt_f64_i32_e32 v[32:33], v34
	s_delay_alu instid0(VALU_DEP_1) | instskip(NEXT) | instid1(VALU_DEP_1)
	v_add_f64 v[27:28], v[27:28], -v[32:33]
	v_add_f64 v[30:31], v[38:39], v[27:28]
	s_delay_alu instid0(VALU_DEP_1) | instskip(SKIP_1) | instid1(VALU_DEP_2)
	v_add_f64 v[27:28], v[30:31], -v[27:28]
	v_cmp_le_f64_e32 vcc_lo, 0.5, v[30:31]
	v_add_f64 v[27:28], v[38:39], -v[27:28]
	v_cndmask_b32_e64 v22, 0, 0x3ff00000, vcc_lo
	s_delay_alu instid0(VALU_DEP_1) | instskip(SKIP_1) | instid1(VALU_DEP_4)
	v_add_f64 v[30:31], v[30:31], -v[21:22]
	v_add_co_ci_u32_e32 v22, vcc_lo, 0, v34, vcc_lo
	v_add_f64 v[25:26], v[25:26], v[27:28]
	s_delay_alu instid0(VALU_DEP_1) | instskip(NEXT) | instid1(VALU_DEP_1)
	v_add_f64 v[27:28], v[30:31], v[25:26]
	v_add_f64 v[30:31], v[27:28], -v[30:31]
	s_delay_alu instid0(VALU_DEP_1) | instskip(SKIP_1) | instid1(VALU_DEP_1)
	v_add_f64 v[25:26], v[25:26], -v[30:31]
	v_mul_f64 v[30:31], v[27:28], s[10:11]
	v_fma_f64 v[32:33], v[27:28], s[10:11], -v[30:31]
	s_delay_alu instid0(VALU_DEP_1) | instskip(NEXT) | instid1(VALU_DEP_1)
	v_fma_f64 v[27:28], v[27:28], s[16:17], v[32:33]
	v_fma_f64 v[27:28], v[25:26], s[10:11], v[27:28]
	s_delay_alu instid0(VALU_DEP_1) | instskip(NEXT) | instid1(VALU_DEP_1)
	v_add_f64 v[25:26], v[30:31], v[27:28]
	v_add_f64 v[30:31], v[25:26], -v[30:31]
	s_delay_alu instid0(VALU_DEP_1)
	v_add_f64 v[27:28], v[27:28], -v[30:31]
	s_and_not1_saveexec_b32 s10, s14
	s_cbranch_execnz .LBB94_137
	s_branch .LBB94_138
.LBB94_136:                             ;   in Loop: Header=BB94_7 Depth=1
	s_and_not1_saveexec_b32 s10, s14
	s_cbranch_execz .LBB94_138
.LBB94_137:                             ;   in Loop: Header=BB94_7 Depth=1
	v_mul_f64 v[25:26], |v[1:2]|, s[18:19]
	s_mov_b32 s14, s22
	s_delay_alu instid0(VALU_DEP_1) | instskip(NEXT) | instid1(VALU_DEP_1)
	v_rndne_f64_e32 v[30:31], v[25:26]
	v_fma_f64 v[25:26], v[30:31], s[12:13], |v[1:2]|
	v_mul_f64 v[27:28], v[30:31], s[22:23]
	v_cvt_i32_f64_e32 v22, v[30:31]
	s_delay_alu instid0(VALU_DEP_3) | instskip(NEXT) | instid1(VALU_DEP_3)
	v_fma_f64 v[34:35], v[30:31], s[22:23], v[25:26]
	v_add_f64 v[32:33], v[25:26], v[27:28]
	s_delay_alu instid0(VALU_DEP_1) | instskip(NEXT) | instid1(VALU_DEP_3)
	v_add_f64 v[25:26], v[25:26], -v[32:33]
	v_add_f64 v[32:33], v[32:33], -v[34:35]
	s_delay_alu instid0(VALU_DEP_2) | instskip(SKIP_1) | instid1(VALU_DEP_2)
	v_add_f64 v[25:26], v[25:26], v[27:28]
	v_fma_f64 v[27:28], v[30:31], s[14:15], v[27:28]
	v_add_f64 v[25:26], v[32:33], v[25:26]
	s_delay_alu instid0(VALU_DEP_1) | instskip(NEXT) | instid1(VALU_DEP_1)
	v_add_f64 v[25:26], v[25:26], -v[27:28]
	v_fma_f64 v[27:28], v[30:31], s[24:25], v[25:26]
	s_delay_alu instid0(VALU_DEP_1) | instskip(NEXT) | instid1(VALU_DEP_1)
	v_add_f64 v[25:26], v[34:35], v[27:28]
	v_add_f64 v[32:33], v[25:26], -v[34:35]
	s_delay_alu instid0(VALU_DEP_1)
	v_add_f64 v[27:28], v[27:28], -v[32:33]
.LBB94_138:                             ;   in Loop: Header=BB94_7 Depth=1
	s_or_b32 exec_lo, exec_lo, s10
	s_delay_alu instid0(VALU_DEP_2) | instskip(NEXT) | instid1(VALU_DEP_2)
	v_mul_f64 v[30:31], v[9:10], v[9:10]
	v_mul_f64 v[40:41], v[11:12], 0.5
	s_delay_alu instid0(VALU_DEP_3) | instskip(SKIP_4) | instid1(VALU_DEP_3)
	v_mul_f64 v[46:47], v[27:28], 0.5
	s_mov_b32 s38, s40
	s_mov_b32 s83, s37
	s_mov_b32 s85, s41
	s_mov_b32 s10, 0x3ff00000
	v_mul_f64 v[32:33], v[30:31], 0.5
	v_mul_f64 v[42:43], v[9:10], -v[30:31]
	s_delay_alu instid0(VALU_DEP_2) | instskip(NEXT) | instid1(VALU_DEP_1)
	v_add_f64 v[34:35], -v[32:33], 1.0
	v_add_f64 v[38:39], -v[34:35], 1.0
	s_delay_alu instid0(VALU_DEP_1) | instskip(SKIP_1) | instid1(VALU_DEP_2)
	v_add_f64 v[32:33], v[38:39], -v[32:33]
	v_fma_f64 v[38:39], v[30:31], s[26:27], s[102:103]
	v_fma_f64 v[32:33], v[9:10], -v[11:12], v[32:33]
	s_delay_alu instid0(VALU_DEP_2) | instskip(NEXT) | instid1(VALU_DEP_1)
	v_fma_f64 v[38:39], v[30:31], v[38:39], s[28:29]
	v_fma_f64 v[38:39], v[30:31], v[38:39], s[30:31]
	s_delay_alu instid0(VALU_DEP_1) | instskip(NEXT) | instid1(VALU_DEP_1)
	v_fma_f64 v[38:39], v[30:31], v[38:39], s[36:37]
	v_fma_f64 v[38:39], v[42:43], v[38:39], v[40:41]
	s_delay_alu instid0(VALU_DEP_1) | instskip(SKIP_1) | instid1(VALU_DEP_2)
	v_fma_f64 v[11:12], v[30:31], v[38:39], -v[11:12]
	v_fma_f64 v[38:39], v[30:31], s[94:95], s[92:93]
	v_fma_f64 v[11:12], v[42:43], s[38:39], v[11:12]
	s_delay_alu instid0(VALU_DEP_2) | instskip(NEXT) | instid1(VALU_DEP_2)
	v_fma_f64 v[38:39], v[30:31], v[38:39], s[96:97]
	v_add_f64 v[9:10], v[9:10], -v[11:12]
	s_delay_alu instid0(VALU_DEP_2) | instskip(NEXT) | instid1(VALU_DEP_1)
	v_fma_f64 v[38:39], v[30:31], v[38:39], s[98:99]
	v_fma_f64 v[38:39], v[30:31], v[38:39], s[100:101]
	s_delay_alu instid0(VALU_DEP_1) | instskip(SKIP_1) | instid1(VALU_DEP_1)
	v_fma_f64 v[38:39], v[30:31], v[38:39], s[40:41]
	v_mul_f64 v[30:31], v[30:31], v[30:31]
	v_fma_f64 v[30:31], v[30:31], v[38:39], v[32:33]
	v_mul_f64 v[32:33], v[25:26], v[25:26]
	s_delay_alu instid0(VALU_DEP_2) | instskip(NEXT) | instid1(VALU_DEP_2)
	v_add_f64 v[30:31], v[34:35], v[30:31]
	v_mul_f64 v[38:39], v[32:33], 0.5
	v_mul_f64 v[48:49], v[25:26], -v[32:33]
	v_and_b32_e32 v1, 1, v29
	s_delay_alu instid0(VALU_DEP_1) | instskip(SKIP_3) | instid1(VALU_DEP_2)
	v_cmp_eq_u32_e32 vcc_lo, 0, v1
	v_cndmask_b32_e32 v10, v31, v10, vcc_lo
	v_add_f64 v[40:41], -v[38:39], 1.0
	v_cndmask_b32_e32 v1, v30, v9, vcc_lo
	v_add_f64 v[44:45], -v[40:41], 1.0
	s_delay_alu instid0(VALU_DEP_1) | instskip(SKIP_1) | instid1(VALU_DEP_2)
	v_add_f64 v[38:39], v[44:45], -v[38:39]
	v_fma_f64 v[44:45], v[32:33], s[26:27], s[102:103]
	v_fma_f64 v[38:39], v[25:26], -v[27:28], v[38:39]
	s_delay_alu instid0(VALU_DEP_2) | instskip(NEXT) | instid1(VALU_DEP_1)
	v_fma_f64 v[44:45], v[32:33], v[44:45], s[28:29]
	v_fma_f64 v[44:45], v[32:33], v[44:45], s[30:31]
	s_delay_alu instid0(VALU_DEP_1) | instskip(NEXT) | instid1(VALU_DEP_1)
	v_fma_f64 v[44:45], v[32:33], v[44:45], s[36:37]
	v_fma_f64 v[44:45], v[48:49], v[44:45], v[46:47]
	s_delay_alu instid0(VALU_DEP_1) | instskip(SKIP_1) | instid1(VALU_DEP_2)
	v_fma_f64 v[27:28], v[32:33], v[44:45], -v[27:28]
	v_fma_f64 v[44:45], v[32:33], s[94:95], s[92:93]
	v_fma_f64 v[27:28], v[48:49], s[38:39], v[27:28]
	s_delay_alu instid0(VALU_DEP_2) | instskip(NEXT) | instid1(VALU_DEP_2)
	v_fma_f64 v[44:45], v[32:33], v[44:45], s[96:97]
	v_add_f64 v[11:12], v[25:26], -v[27:28]
	s_delay_alu instid0(VALU_DEP_2) | instskip(NEXT) | instid1(VALU_DEP_1)
	v_fma_f64 v[44:45], v[32:33], v[44:45], s[98:99]
	v_fma_f64 v[44:45], v[32:33], v[44:45], s[100:101]
	s_delay_alu instid0(VALU_DEP_1) | instskip(SKIP_1) | instid1(VALU_DEP_1)
	v_fma_f64 v[44:45], v[32:33], v[44:45], s[40:41]
	v_mul_f64 v[32:33], v[32:33], v[32:33]
	v_fma_f64 v[32:33], v[32:33], v[44:45], v[38:39]
	s_delay_alu instid0(VALU_DEP_1) | instskip(SKIP_1) | instid1(VALU_DEP_1)
	v_add_f64 v[25:26], v[40:41], v[32:33]
	v_lshlrev_b32_e32 v9, 30, v29
	v_xor_b32_e32 v2, v9, v2
	v_and_b32_e32 v9, 1, v22
	s_delay_alu instid0(VALU_DEP_2) | instskip(NEXT) | instid1(VALU_DEP_2)
	v_and_b32_e32 v2, 0x80000000, v2
	v_cmp_eq_u32_e32 vcc_lo, 0, v9
	s_delay_alu instid0(VALU_DEP_2) | instskip(SKIP_1) | instid1(VALU_DEP_2)
	v_xor_b32_e32 v2, v10, v2
	v_xor_b32_e32 v10, 0x80000000, v12
	v_mul_f64 v[1:2], v[1:2], 4.0
	v_cndmask_b32_e32 v9, v11, v25, vcc_lo
	v_lshlrev_b32_e32 v11, 30, v22
	s_delay_alu instid0(VALU_DEP_4) | instskip(SKIP_1) | instid1(VALU_DEP_3)
	v_cndmask_b32_e32 v10, v10, v26, vcc_lo
	v_cmp_nlt_f64_e64 vcc_lo, 0x4090cc00, |v[3:4]|
	v_and_b32_e32 v11, 0x80000000, v11
	s_delay_alu instid0(VALU_DEP_1) | instskip(SKIP_1) | instid1(VALU_DEP_2)
	v_xor_b32_e32 v10, v10, v11
	v_mul_f64 v[11:12], |v[3:4]|, s[64:65]
	v_mul_f64 v[1:2], v[1:2], v[9:10]
	s_delay_alu instid0(VALU_DEP_2) | instskip(NEXT) | instid1(VALU_DEP_1)
	v_rndne_f64_e32 v[11:12], v[11:12]
	v_fma_f64 v[25:26], v[11:12], s[34:35], -|v[3:4]|
	s_delay_alu instid0(VALU_DEP_1) | instskip(SKIP_1) | instid1(VALU_DEP_2)
	v_fma_f64 v[25:26], v[11:12], s[60:61], v[25:26]
	v_cvt_i32_f64_e32 v11, v[11:12]
	v_fma_f64 v[27:28], v[25:26], s[72:73], s[70:71]
	s_delay_alu instid0(VALU_DEP_1) | instskip(NEXT) | instid1(VALU_DEP_1)
	v_fma_f64 v[27:28], v[25:26], v[27:28], s[74:75]
	v_fma_f64 v[27:28], v[25:26], v[27:28], s[76:77]
	s_delay_alu instid0(VALU_DEP_1) | instskip(NEXT) | instid1(VALU_DEP_1)
	v_fma_f64 v[27:28], v[25:26], v[27:28], s[78:79]
	;; [unrolled: 3-line block ×4, first 2 shown]
	v_fma_f64 v[27:28], v[25:26], v[27:28], s[88:89]
	s_delay_alu instid0(VALU_DEP_1) | instskip(NEXT) | instid1(VALU_DEP_1)
	v_fma_f64 v[27:28], v[25:26], v[27:28], 1.0
	v_fma_f64 v[25:26], v[25:26], v[27:28], 1.0
	s_delay_alu instid0(VALU_DEP_1) | instskip(NEXT) | instid1(VALU_DEP_1)
	v_ldexp_f64 v[11:12], v[25:26], v11
	v_dual_cndmask_b32 v10, 0, v12 :: v_dual_cndmask_b32 v9, 0, v11
	s_delay_alu instid0(VALU_DEP_1) | instskip(NEXT) | instid1(VALU_DEP_1)
	v_mul_f64 v[1:2], v[9:10], v[1:2]
	v_mul_f64 v[9:10], v[9:10], v[1:2]
	v_xor_b32_e32 v1, 0x80000000, v4
	s_delay_alu instid0(VALU_DEP_1) | instskip(NEXT) | instid1(VALU_DEP_1)
	v_bfi_b32 v22, 0x7fffffff, s10, v1
	v_dual_mov_b32 v11, v21 :: v_dual_mov_b32 v12, v22
.LBB94_139:                             ;   in Loop: Header=BB94_7 Depth=1
	s_or_b32 exec_lo, exec_lo, s2
                                        ; implicit-def: $vgpr1_vgpr2
.LBB94_140:                             ;   in Loop: Header=BB94_7 Depth=1
	s_and_not1_saveexec_b32 s2, s46
; %bb.141:                              ;   in Loop: Header=BB94_7 Depth=1
	v_add_f64 v[9:10], v[1:2], -v[1:2]
	s_delay_alu instid0(VALU_DEP_1)
	v_dual_mov_b32 v12, v10 :: v_dual_mov_b32 v11, v9
; %bb.142:                              ;   in Loop: Header=BB94_7 Depth=1
	s_or_b32 exec_lo, exec_lo, s2
                                        ; implicit-def: $vgpr1_vgpr2
.LBB94_143:                             ;   in Loop: Header=BB94_7 Depth=1
	s_and_not1_saveexec_b32 s46, s3
	s_cbranch_execz .LBB94_6
; %bb.144:                              ;   in Loop: Header=BB94_7 Depth=1
	s_delay_alu instid0(VALU_DEP_1) | instskip(SKIP_1) | instid1(VALU_DEP_1)
	v_and_or_b32 v9, 0xfffff, v12, v11
	s_mov_b32 s2, exec_lo
	v_cmpx_ne_u32_e32 0, v9
	s_xor_b32 s2, exec_lo, s2
; %bb.145:                              ;   in Loop: Header=BB94_7 Depth=1
	v_mul_f64 v[3:4], v[1:2], -v[3:4]
	v_cmp_eq_f64_e32 vcc_lo, 0, v[1:2]
	s_delay_alu instid0(VALU_DEP_2)
	v_dual_cndmask_b32 v10, v4, v2 :: v_dual_cndmask_b32 v9, v3, v1
                                        ; implicit-def: $vgpr1_vgpr2
; %bb.146:                              ;   in Loop: Header=BB94_7 Depth=1
	s_and_not1_saveexec_b32 s47, s2
	s_cbranch_execz .LBB94_5
; %bb.147:                              ;   in Loop: Header=BB94_7 Depth=1
	s_mov_b32 s57, exec_lo
	v_cmpx_neq_f64_e64 0x7ff00000, |v[1:2]|
	s_cbranch_execz .LBB94_4
; %bb.148:                              ;   in Loop: Header=BB94_7 Depth=1
	v_cmp_ngt_f64_e64 s2, 0x41d00000, |v[1:2]|
	v_trig_preop_f64 v[29:30], |v[1:2]|, 0
	v_trig_preop_f64 v[27:28], |v[1:2]|, 1
	v_ldexp_f64 v[31:32], |v[1:2]|, 0xffffff80
	v_trig_preop_f64 v[25:26], |v[1:2]|, 2
	v_and_b32_e32 v39, 0x7fffffff, v2
                                        ; implicit-def: $vgpr38
                                        ; implicit-def: $vgpr3_vgpr4
                                        ; implicit-def: $vgpr9_vgpr10
	s_and_saveexec_b32 s3, s2
	s_delay_alu instid0(SALU_CYCLE_1)
	s_xor_b32 s3, exec_lo, s3
	s_cbranch_execz .LBB94_150
; %bb.149:                              ;   in Loop: Header=BB94_7 Depth=1
	v_cmp_le_f64_e64 vcc_lo, 0x7b000000, |v[1:2]|
	s_mov_b32 s10, s12
	s_mov_b32 s17, s15
	s_delay_alu instid0(VALU_DEP_4) | instskip(NEXT) | instid1(VALU_DEP_1)
	v_dual_cndmask_b32 v4, v39, v32 :: v_dual_cndmask_b32 v3, v1, v31
	v_mul_f64 v[9:10], v[29:30], v[3:4]
	v_mul_f64 v[33:34], v[27:28], v[3:4]
	s_delay_alu instid0(VALU_DEP_2) | instskip(NEXT) | instid1(VALU_DEP_1)
	v_fma_f64 v[35:36], v[29:30], v[3:4], -v[9:10]
	v_add_f64 v[40:41], v[33:34], v[35:36]
	s_delay_alu instid0(VALU_DEP_1) | instskip(SKIP_1) | instid1(VALU_DEP_2)
	v_add_f64 v[42:43], v[40:41], -v[33:34]
	v_add_f64 v[44:45], v[9:10], v[40:41]
	v_add_f64 v[35:36], v[35:36], -v[42:43]
	s_delay_alu instid0(VALU_DEP_2) | instskip(SKIP_1) | instid1(VALU_DEP_2)
	v_add_f64 v[9:10], v[44:45], -v[9:10]
	v_add_f64 v[42:43], v[40:41], -v[42:43]
	;; [unrolled: 1-line block ×3, first 2 shown]
	s_delay_alu instid0(VALU_DEP_2) | instskip(SKIP_2) | instid1(VALU_DEP_3)
	v_add_f64 v[40:41], v[33:34], -v[42:43]
	v_fma_f64 v[33:34], v[27:28], v[3:4], -v[33:34]
	v_mul_f64 v[42:43], v[25:26], v[3:4]
	v_add_f64 v[35:36], v[35:36], v[40:41]
	v_ldexp_f64 v[40:41], v[44:45], -2
	s_delay_alu instid0(VALU_DEP_3) | instskip(SKIP_1) | instid1(VALU_DEP_3)
	v_add_f64 v[44:45], v[42:43], v[33:34]
	v_fma_f64 v[3:4], v[25:26], v[3:4], -v[42:43]
	v_cmp_neq_f64_e64 vcc_lo, 0x7ff00000, |v[40:41]|
	s_delay_alu instid0(VALU_DEP_3) | instskip(SKIP_2) | instid1(VALU_DEP_3)
	v_add_f64 v[48:49], v[44:45], v[35:36]
	v_add_f64 v[46:47], v[44:45], -v[42:43]
	v_fract_f64_e32 v[40:41], v[40:41]
	v_add_f64 v[50:51], v[48:49], -v[44:45]
	s_delay_alu instid0(VALU_DEP_3) | instskip(SKIP_1) | instid1(VALU_DEP_4)
	v_add_f64 v[33:34], v[33:34], -v[46:47]
	v_add_f64 v[46:47], v[44:45], -v[46:47]
	v_dual_cndmask_b32 v41, 0, v41 :: v_dual_cndmask_b32 v40, 0, v40
	s_delay_alu instid0(VALU_DEP_1) | instskip(SKIP_4) | instid1(VALU_DEP_3)
	v_ldexp_f64 v[40:41], v[40:41], 2
	v_add_f64 v[35:36], v[35:36], -v[50:51]
	v_add_f64 v[50:51], v[48:49], -v[50:51]
	;; [unrolled: 1-line block ×3, first 2 shown]
	v_add_f64 v[42:43], v[9:10], v[48:49]
	v_add_f64 v[44:45], v[44:45], -v[50:51]
	s_delay_alu instid0(VALU_DEP_3) | instskip(NEXT) | instid1(VALU_DEP_3)
	v_add_f64 v[33:34], v[33:34], v[46:47]
	v_add_f64 v[9:10], v[42:43], -v[9:10]
	s_delay_alu instid0(VALU_DEP_3) | instskip(SKIP_1) | instid1(VALU_DEP_3)
	v_add_f64 v[35:36], v[35:36], v[44:45]
	v_add_f64 v[44:45], v[42:43], v[40:41]
	v_add_f64 v[9:10], v[48:49], -v[9:10]
	s_delay_alu instid0(VALU_DEP_3) | instskip(NEXT) | instid1(VALU_DEP_3)
	v_add_f64 v[33:34], v[33:34], v[35:36]
	v_cmp_gt_f64_e32 vcc_lo, 0, v[44:45]
	s_delay_alu instid0(VALU_DEP_2) | instskip(SKIP_1) | instid1(VALU_DEP_1)
	v_add_f64 v[3:4], v[3:4], v[33:34]
	v_cndmask_b32_e64 v22, 0, 0x40100000, vcc_lo
	v_add_f64 v[33:34], v[40:41], v[21:22]
	s_delay_alu instid0(VALU_DEP_3) | instskip(NEXT) | instid1(VALU_DEP_2)
	v_add_f64 v[3:4], v[9:10], v[3:4]
	v_add_f64 v[35:36], v[42:43], v[33:34]
	s_delay_alu instid0(VALU_DEP_1) | instskip(NEXT) | instid1(VALU_DEP_1)
	v_cvt_i32_f64_e32 v38, v[35:36]
	v_cvt_f64_i32_e32 v[35:36], v38
	s_delay_alu instid0(VALU_DEP_1) | instskip(NEXT) | instid1(VALU_DEP_1)
	v_add_f64 v[33:34], v[33:34], -v[35:36]
	v_add_f64 v[9:10], v[42:43], v[33:34]
	s_delay_alu instid0(VALU_DEP_1) | instskip(SKIP_1) | instid1(VALU_DEP_2)
	v_add_f64 v[33:34], v[9:10], -v[33:34]
	v_cmp_le_f64_e32 vcc_lo, 0.5, v[9:10]
	v_add_f64 v[33:34], v[42:43], -v[33:34]
	v_cndmask_b32_e64 v22, 0, 0x3ff00000, vcc_lo
	v_add_co_ci_u32_e32 v38, vcc_lo, 0, v38, vcc_lo
	s_delay_alu instid0(VALU_DEP_2) | instskip(NEXT) | instid1(VALU_DEP_4)
	v_add_f64 v[9:10], v[9:10], -v[21:22]
	v_add_f64 v[3:4], v[3:4], v[33:34]
	s_delay_alu instid0(VALU_DEP_1) | instskip(NEXT) | instid1(VALU_DEP_1)
	v_add_f64 v[33:34], v[9:10], v[3:4]
	v_add_f64 v[9:10], v[33:34], -v[9:10]
	s_delay_alu instid0(VALU_DEP_1) | instskip(SKIP_1) | instid1(VALU_DEP_1)
	v_add_f64 v[3:4], v[3:4], -v[9:10]
	v_mul_f64 v[9:10], v[33:34], s[10:11]
	v_fma_f64 v[35:36], v[33:34], s[10:11], -v[9:10]
	s_delay_alu instid0(VALU_DEP_1) | instskip(NEXT) | instid1(VALU_DEP_1)
	v_fma_f64 v[33:34], v[33:34], s[16:17], v[35:36]
	v_fma_f64 v[33:34], v[3:4], s[10:11], v[33:34]
	s_delay_alu instid0(VALU_DEP_1) | instskip(NEXT) | instid1(VALU_DEP_1)
	v_add_f64 v[3:4], v[9:10], v[33:34]
	v_add_f64 v[9:10], v[3:4], -v[9:10]
	s_delay_alu instid0(VALU_DEP_1)
	v_add_f64 v[9:10], v[33:34], -v[9:10]
	s_and_not1_saveexec_b32 s3, s3
	s_cbranch_execz .LBB94_152
	s_branch .LBB94_151
.LBB94_150:                             ;   in Loop: Header=BB94_7 Depth=1
	s_and_not1_saveexec_b32 s3, s3
	s_cbranch_execz .LBB94_152
.LBB94_151:                             ;   in Loop: Header=BB94_7 Depth=1
	v_mul_f64 v[3:4], |v[1:2]|, s[18:19]
	s_mov_b32 s14, s22
	s_delay_alu instid0(VALU_DEP_1) | instskip(NEXT) | instid1(VALU_DEP_1)
	v_rndne_f64_e32 v[33:34], v[3:4]
	v_fma_f64 v[3:4], v[33:34], s[12:13], |v[1:2]|
	v_mul_f64 v[9:10], v[33:34], s[22:23]
	v_cvt_i32_f64_e32 v38, v[33:34]
	s_delay_alu instid0(VALU_DEP_3) | instskip(NEXT) | instid1(VALU_DEP_3)
	v_fma_f64 v[40:41], v[33:34], s[22:23], v[3:4]
	v_add_f64 v[35:36], v[3:4], v[9:10]
	s_delay_alu instid0(VALU_DEP_1) | instskip(NEXT) | instid1(VALU_DEP_3)
	v_add_f64 v[3:4], v[3:4], -v[35:36]
	v_add_f64 v[35:36], v[35:36], -v[40:41]
	s_delay_alu instid0(VALU_DEP_2) | instskip(SKIP_1) | instid1(VALU_DEP_2)
	v_add_f64 v[3:4], v[3:4], v[9:10]
	v_fma_f64 v[9:10], v[33:34], s[14:15], v[9:10]
	v_add_f64 v[3:4], v[35:36], v[3:4]
	s_delay_alu instid0(VALU_DEP_1) | instskip(NEXT) | instid1(VALU_DEP_1)
	v_add_f64 v[3:4], v[3:4], -v[9:10]
	v_fma_f64 v[9:10], v[33:34], s[24:25], v[3:4]
	s_delay_alu instid0(VALU_DEP_1) | instskip(NEXT) | instid1(VALU_DEP_1)
	v_add_f64 v[3:4], v[40:41], v[9:10]
	v_add_f64 v[35:36], v[3:4], -v[40:41]
	s_delay_alu instid0(VALU_DEP_1)
	v_add_f64 v[9:10], v[9:10], -v[35:36]
.LBB94_152:                             ;   in Loop: Header=BB94_7 Depth=1
	s_or_b32 exec_lo, exec_lo, s3
                                        ; implicit-def: $vgpr22
                                        ; implicit-def: $vgpr33_vgpr34
                                        ; implicit-def: $vgpr35_vgpr36
	s_and_saveexec_b32 s3, s2
	s_delay_alu instid0(SALU_CYCLE_1)
	s_xor_b32 s2, exec_lo, s3
	s_cbranch_execz .LBB94_154
; %bb.153:                              ;   in Loop: Header=BB94_7 Depth=1
	v_cmp_le_f64_e64 vcc_lo, 0x7b000000, |v[1:2]|
	s_mov_b32 s10, s12
	s_mov_b32 s17, s15
	s_delay_alu instid0(VALU_DEP_4) | instskip(NEXT) | instid1(VALU_DEP_1)
	v_dual_cndmask_b32 v32, v39, v32 :: v_dual_cndmask_b32 v31, v1, v31
	v_mul_f64 v[33:34], v[29:30], v[31:32]
	v_mul_f64 v[35:36], v[27:28], v[31:32]
	;; [unrolled: 1-line block ×3, first 2 shown]
	s_delay_alu instid0(VALU_DEP_3) | instskip(NEXT) | instid1(VALU_DEP_3)
	v_fma_f64 v[29:30], v[29:30], v[31:32], -v[33:34]
	v_fma_f64 v[27:28], v[27:28], v[31:32], -v[35:36]
	s_delay_alu instid0(VALU_DEP_3) | instskip(NEXT) | instid1(VALU_DEP_3)
	v_fma_f64 v[25:26], v[25:26], v[31:32], -v[39:40]
	v_add_f64 v[31:32], v[35:36], v[29:30]
	s_delay_alu instid0(VALU_DEP_1) | instskip(NEXT) | instid1(VALU_DEP_1)
	v_add_f64 v[41:42], v[31:32], -v[35:36]
	v_add_f64 v[29:30], v[29:30], -v[41:42]
	;; [unrolled: 1-line block ×3, first 2 shown]
	s_delay_alu instid0(VALU_DEP_1) | instskip(SKIP_1) | instid1(VALU_DEP_2)
	v_add_f64 v[35:36], v[35:36], -v[41:42]
	v_add_f64 v[41:42], v[33:34], v[31:32]
	v_add_f64 v[29:30], v[29:30], v[35:36]
	s_delay_alu instid0(VALU_DEP_2) | instskip(SKIP_1) | instid1(VALU_DEP_2)
	v_add_f64 v[33:34], v[41:42], -v[33:34]
	v_ldexp_f64 v[41:42], v[41:42], -2
	v_add_f64 v[31:32], v[31:32], -v[33:34]
	v_add_f64 v[33:34], v[39:40], v[27:28]
	s_delay_alu instid0(VALU_DEP_3) | instskip(SKIP_1) | instid1(VALU_DEP_3)
	v_cmp_neq_f64_e64 vcc_lo, 0x7ff00000, |v[41:42]|
	v_fract_f64_e32 v[41:42], v[41:42]
	v_add_f64 v[35:36], v[33:34], -v[39:40]
	s_delay_alu instid0(VALU_DEP_2) | instskip(NEXT) | instid1(VALU_DEP_2)
	v_dual_cndmask_b32 v42, 0, v42 :: v_dual_cndmask_b32 v41, 0, v41
	v_add_f64 v[27:28], v[27:28], -v[35:36]
	v_add_f64 v[35:36], v[33:34], -v[35:36]
	s_delay_alu instid0(VALU_DEP_1) | instskip(SKIP_1) | instid1(VALU_DEP_2)
	v_add_f64 v[35:36], v[39:40], -v[35:36]
	v_add_f64 v[39:40], v[33:34], v[29:30]
	v_add_f64 v[27:28], v[27:28], v[35:36]
	s_delay_alu instid0(VALU_DEP_2) | instskip(SKIP_1) | instid1(VALU_DEP_2)
	v_add_f64 v[43:44], v[39:40], -v[33:34]
	v_add_f64 v[35:36], v[31:32], v[39:40]
	v_add_f64 v[29:30], v[29:30], -v[43:44]
	v_add_f64 v[43:44], v[39:40], -v[43:44]
	s_delay_alu instid0(VALU_DEP_1) | instskip(NEXT) | instid1(VALU_DEP_1)
	v_add_f64 v[33:34], v[33:34], -v[43:44]
	v_add_f64 v[29:30], v[29:30], v[33:34]
	v_ldexp_f64 v[33:34], v[41:42], 2
	s_delay_alu instid0(VALU_DEP_2) | instskip(NEXT) | instid1(VALU_DEP_2)
	v_add_f64 v[27:28], v[27:28], v[29:30]
	v_add_f64 v[41:42], v[35:36], v[33:34]
	v_add_f64 v[29:30], v[35:36], -v[31:32]
	s_delay_alu instid0(VALU_DEP_3) | instskip(NEXT) | instid1(VALU_DEP_3)
	v_add_f64 v[25:26], v[25:26], v[27:28]
	v_cmp_gt_f64_e32 vcc_lo, 0, v[41:42]
	s_delay_alu instid0(VALU_DEP_3) | instskip(SKIP_1) | instid1(VALU_DEP_2)
	v_add_f64 v[29:30], v[39:40], -v[29:30]
	v_cndmask_b32_e64 v22, 0, 0x40100000, vcc_lo
	v_add_f64 v[25:26], v[29:30], v[25:26]
	s_delay_alu instid0(VALU_DEP_2) | instskip(NEXT) | instid1(VALU_DEP_1)
	v_add_f64 v[27:28], v[33:34], v[21:22]
	v_add_f64 v[31:32], v[35:36], v[27:28]
	s_delay_alu instid0(VALU_DEP_1) | instskip(NEXT) | instid1(VALU_DEP_1)
	v_cvt_i32_f64_e32 v39, v[31:32]
	v_cvt_f64_i32_e32 v[31:32], v39
	s_delay_alu instid0(VALU_DEP_1) | instskip(NEXT) | instid1(VALU_DEP_1)
	v_add_f64 v[27:28], v[27:28], -v[31:32]
	v_add_f64 v[29:30], v[35:36], v[27:28]
	s_delay_alu instid0(VALU_DEP_1) | instskip(SKIP_1) | instid1(VALU_DEP_2)
	v_add_f64 v[27:28], v[29:30], -v[27:28]
	v_cmp_le_f64_e32 vcc_lo, 0.5, v[29:30]
	v_add_f64 v[27:28], v[35:36], -v[27:28]
	v_cndmask_b32_e64 v22, 0, 0x3ff00000, vcc_lo
	s_delay_alu instid0(VALU_DEP_1) | instskip(SKIP_1) | instid1(VALU_DEP_4)
	v_add_f64 v[29:30], v[29:30], -v[21:22]
	v_add_co_ci_u32_e32 v22, vcc_lo, 0, v39, vcc_lo
	v_add_f64 v[25:26], v[25:26], v[27:28]
	s_delay_alu instid0(VALU_DEP_1) | instskip(NEXT) | instid1(VALU_DEP_1)
	v_add_f64 v[27:28], v[29:30], v[25:26]
	v_add_f64 v[29:30], v[27:28], -v[29:30]
	s_delay_alu instid0(VALU_DEP_1) | instskip(SKIP_1) | instid1(VALU_DEP_1)
	v_add_f64 v[25:26], v[25:26], -v[29:30]
	v_mul_f64 v[29:30], v[27:28], s[10:11]
	v_fma_f64 v[31:32], v[27:28], s[10:11], -v[29:30]
	s_delay_alu instid0(VALU_DEP_1) | instskip(NEXT) | instid1(VALU_DEP_1)
	v_fma_f64 v[27:28], v[27:28], s[16:17], v[31:32]
	v_fma_f64 v[25:26], v[25:26], s[10:11], v[27:28]
	s_delay_alu instid0(VALU_DEP_1) | instskip(NEXT) | instid1(VALU_DEP_1)
	v_add_f64 v[33:34], v[29:30], v[25:26]
	v_add_f64 v[27:28], v[33:34], -v[29:30]
	s_delay_alu instid0(VALU_DEP_1)
	v_add_f64 v[35:36], v[25:26], -v[27:28]
	s_and_not1_saveexec_b32 s2, s2
	s_cbranch_execz .LBB94_3
	s_branch .LBB94_155
.LBB94_154:                             ;   in Loop: Header=BB94_7 Depth=1
	s_and_not1_saveexec_b32 s2, s2
	s_cbranch_execz .LBB94_3
.LBB94_155:                             ;   in Loop: Header=BB94_7 Depth=1
	v_mul_f64 v[25:26], |v[1:2]|, s[18:19]
	s_mov_b32 s14, s22
	s_delay_alu instid0(VALU_DEP_1) | instskip(NEXT) | instid1(VALU_DEP_1)
	v_rndne_f64_e32 v[25:26], v[25:26]
	v_fma_f64 v[27:28], v[25:26], s[12:13], |v[1:2]|
	v_mul_f64 v[29:30], v[25:26], s[22:23]
	v_cvt_i32_f64_e32 v22, v[25:26]
	s_delay_alu instid0(VALU_DEP_3) | instskip(NEXT) | instid1(VALU_DEP_3)
	v_fma_f64 v[35:36], v[25:26], s[22:23], v[27:28]
	v_add_f64 v[31:32], v[27:28], v[29:30]
	s_delay_alu instid0(VALU_DEP_1) | instskip(NEXT) | instid1(VALU_DEP_3)
	v_add_f64 v[27:28], v[27:28], -v[31:32]
	v_add_f64 v[31:32], v[31:32], -v[35:36]
	s_delay_alu instid0(VALU_DEP_2) | instskip(SKIP_1) | instid1(VALU_DEP_2)
	v_add_f64 v[27:28], v[27:28], v[29:30]
	v_fma_f64 v[29:30], v[25:26], s[14:15], v[29:30]
	v_add_f64 v[27:28], v[31:32], v[27:28]
	s_delay_alu instid0(VALU_DEP_1) | instskip(NEXT) | instid1(VALU_DEP_1)
	v_add_f64 v[27:28], v[27:28], -v[29:30]
	v_fma_f64 v[27:28], v[25:26], s[24:25], v[27:28]
	s_delay_alu instid0(VALU_DEP_1) | instskip(NEXT) | instid1(VALU_DEP_1)
	v_add_f64 v[33:34], v[35:36], v[27:28]
	v_add_f64 v[29:30], v[33:34], -v[35:36]
	s_delay_alu instid0(VALU_DEP_1)
	v_add_f64 v[35:36], v[27:28], -v[29:30]
	s_branch .LBB94_3
.LBB94_156:
	s_delay_alu instid0(VALU_DEP_1) | instskip(NEXT) | instid1(VALU_DEP_1)
	v_readlane_b32 s2, v64, 0
	s_or_b32 exec_lo, exec_lo, s2
	s_mov_b32 s2, 0
.LBB94_157:
	s_delay_alu instid0(SALU_CYCLE_1)
	s_and_not1_b32 vcc_lo, exec_lo, s2
	s_cbranch_vccnz .LBB94_329
; %bb.158:
	v_cmp_lt_i64_e64 s2, s[8:9], 1
	s_delay_alu instid0(VALU_DEP_1)
	s_and_b32 vcc_lo, exec_lo, s2
	s_cbranch_vccnz .LBB94_329
; %bb.159:
	s_load_b32 s0, s[0:1], 0xc5c
	v_mov_b32_e32 v22, 0
	v_lshl_or_b32 v2, v0, 4, 8
	v_cmp_gt_u64_e64 s1, 0x10000, s[8:9]
	s_mov_b32 s47, 0
	s_mov_b32 s16, 0x54442d18
	v_mov_b32_e32 v3, v22
	v_add_co_u32 v30, s2, s4, v2
	v_add_co_u32 v31, s3, s20, v2
	v_mov_b32_e32 v1, v22
	v_add_co_ci_u32_e64 v42, null, s5, 0, s2
	v_add_co_ci_u32_e64 v43, null, s21, 0, s3
	s_mov_b32 s22, 0x6dc9c883
	s_mov_b32 s24, 0x33145c00
	;; [unrolled: 1-line block ×4, first 2 shown]
	s_waitcnt lgkmcnt(0)
	s_and_b32 s33, s0, 0xffff
	s_and_b32 s0, s1, exec_lo
	v_mad_u64_u32 v[4:5], null, s33, 48, v[2:3]
	s_cselect_b32 s13, s9, 0
	s_cselect_b32 s12, s8, 0x10000
	s_lshl_b32 s0, s33, 5
	v_add_lshl_u32 v3, v0, s33, 4
	v_add_co_u32 v2, s1, v2, s0
	s_delay_alu instid0(VALU_DEP_3)
	v_add_co_u32 v32, vcc_lo, s4, v4
	v_add_co_u32 v33, s0, s20, v4
	v_add_co_ci_u32_e32 v34, vcc_lo, s5, v5, vcc_lo
	v_add_co_ci_u32_e64 v35, vcc_lo, s21, v5, s0
	v_add_co_u32 v38, vcc_lo, s4, v2
	v_add_co_u32 v39, s0, s20, v2
	v_add_co_ci_u32_e64 v2, null, 0, 0, s1
	v_add_co_u32 v36, s10, s20, v3
	v_add_co_u32 v37, s11, s4, v3
	s_delay_alu instid0(VALU_DEP_3)
	v_add_co_ci_u32_e32 v40, vcc_lo, s5, v2, vcc_lo
	v_add_co_ci_u32_e64 v41, vcc_lo, s21, v2, s0
	v_add_co_ci_u32_e64 v44, null, s21, 0, s10
	v_add_co_ci_u32_e64 v45, null, s5, 0, s11
	s_lshl_b32 s46, s33, 2
	s_mov_b32 s56, 0x555554ee
	s_mov_b32 s58, 0xfefa39ef
	;; [unrolled: 1-line block ×26, first 2 shown]
	s_lshl_b32 s104, s33, 1
	s_mul_i32 vcc_hi, s33, 3
	s_lshl_b32 s48, s33, 6
	s_mov_b32 s49, 0x3ff00000
	s_mov_b32 s15, 0x3ff921fb
	;; [unrolled: 1-line block ×41, first 2 shown]
	s_mov_b64 s[10:11], s[46:47]
	s_branch .LBB94_161
.LBB94_160:                             ;   in Loop: Header=BB94_161 Depth=1
	s_or_b32 exec_lo, exec_lo, s0
	v_add_co_u32 v0, vcc_lo, v0, s46
	v_add_co_ci_u32_e32 v1, vcc_lo, 0, v1, vcc_lo
	v_add_co_u32 v30, vcc_lo, v30, s48
	v_add_co_ci_u32_e32 v42, vcc_lo, 0, v42, vcc_lo
	;; [unrolled: 2-line block ×7, first 2 shown]
	v_cmp_ge_i64_e64 s0, s[10:11], s[8:9]
	v_cmp_lt_u64_e64 s1, 0xffff, s[10:11]
	v_add_co_u32 v38, vcc_lo, v38, s48
	v_add_co_ci_u32_e32 v40, vcc_lo, 0, v40, vcc_lo
	v_add_co_u32 v39, vcc_lo, v39, s48
	v_add_co_ci_u32_e32 v41, vcc_lo, 0, v41, vcc_lo
	s_or_b32 s0, s0, s1
	s_add_u32 s10, s10, s46
	s_addc_u32 s11, s11, 0
	s_and_b32 vcc_lo, exec_lo, s0
	s_cbranch_vccnz .LBB94_329
.LBB94_161:                             ; =>This Inner Loop Header: Depth=1
	v_mov_b32_e32 v20, 0
	v_mov_b32_e32 v21, 0
	v_cmp_gt_u64_e64 s0, s[12:13], v[0:1]
	s_delay_alu instid0(VALU_DEP_3) | instskip(NEXT) | instid1(VALU_DEP_3)
	v_mov_b32_e32 v12, v20
	v_dual_mov_b32 v10, v20 :: v_dual_mov_b32 v11, v21
	v_mov_b32_e32 v13, v21
	s_delay_alu instid0(VALU_DEP_4)
	s_and_saveexec_b32 s1, s0
	s_cbranch_execz .LBB94_163
; %bb.162:                              ;   in Loop: Header=BB94_161 Depth=1
	v_add_co_u32 v2, vcc_lo, v30, s6
	v_add_co_ci_u32_e32 v3, vcc_lo, s7, v42, vcc_lo
	global_load_b128 v[10:13], v[2:3], off offset:-8
.LBB94_163:                             ;   in Loop: Header=BB94_161 Depth=1
	s_or_b32 exec_lo, exec_lo, s1
	v_add_co_u32 v2, vcc_lo, s33, v0
	v_add_co_ci_u32_e32 v3, vcc_lo, 0, v1, vcc_lo
	v_dual_mov_b32 v18, v20 :: v_dual_mov_b32 v19, v21
	s_delay_alu instid0(VALU_DEP_2) | instskip(NEXT) | instid1(VALU_DEP_1)
	v_cmp_gt_u64_e64 s1, s[12:13], v[2:3]
	s_and_saveexec_b32 s2, s1
	s_cbranch_execz .LBB94_165
; %bb.164:                              ;   in Loop: Header=BB94_161 Depth=1
	v_add_co_u32 v2, vcc_lo, v37, s6
	v_add_co_ci_u32_e32 v3, vcc_lo, s7, v45, vcc_lo
	global_load_b128 v[18:21], v[2:3], off
.LBB94_165:                             ;   in Loop: Header=BB94_161 Depth=1
	s_or_b32 exec_lo, exec_lo, s2
	v_add_co_u32 v2, vcc_lo, s104, v0
	v_mov_b32_e32 v8, 0
	v_add_co_ci_u32_e32 v3, vcc_lo, 0, v1, vcc_lo
	v_mov_b32_e32 v9, 0
	s_delay_alu instid0(VALU_DEP_2) | instskip(NEXT) | instid1(VALU_DEP_2)
	v_cmp_gt_u64_e64 s2, s[12:13], v[2:3]
	v_dual_mov_b32 v17, v9 :: v_dual_mov_b32 v16, v8
	v_dual_mov_b32 v15, v9 :: v_dual_mov_b32 v14, v8
	s_delay_alu instid0(VALU_DEP_3)
	s_and_saveexec_b32 s3, s2
	s_cbranch_execz .LBB94_167
; %bb.166:                              ;   in Loop: Header=BB94_161 Depth=1
	v_add_co_u32 v2, vcc_lo, v38, s6
	v_add_co_ci_u32_e32 v3, vcc_lo, s7, v40, vcc_lo
	global_load_b128 v[14:17], v[2:3], off offset:-8
.LBB94_167:                             ;   in Loop: Header=BB94_161 Depth=1
	s_or_b32 exec_lo, exec_lo, s3
	v_add_co_u32 v2, vcc_lo, vcc_hi, v0
	v_add_co_ci_u32_e32 v3, vcc_lo, 0, v1, vcc_lo
	v_dual_mov_b32 v6, v8 :: v_dual_mov_b32 v7, v9
	s_delay_alu instid0(VALU_DEP_2) | instskip(NEXT) | instid1(VALU_DEP_1)
	v_cmp_gt_u64_e64 s3, s[12:13], v[2:3]
	s_and_saveexec_b32 s4, s3
	s_cbranch_execz .LBB94_169
; %bb.168:                              ;   in Loop: Header=BB94_161 Depth=1
	v_add_co_u32 v2, vcc_lo, v32, s6
	v_add_co_ci_u32_e32 v3, vcc_lo, s7, v34, vcc_lo
	global_load_b128 v[6:9], v[2:3], off offset:-8
.LBB94_169:                             ;   in Loop: Header=BB94_161 Depth=1
	s_or_b32 exec_lo, exec_lo, s4
	s_waitcnt vmcnt(0)
	v_xor_b32_e32 v5, 0x80000000, v13
	v_mov_b32_e32 v4, v12
	s_mov_b32 s4, exec_lo
	s_delay_alu instid0(VALU_DEP_2) | instskip(NEXT) | instid1(VALU_DEP_1)
	v_and_b32_e32 v2, 0x7fffffff, v5
	v_cmpx_gt_u32_e32 0x7ff00000, v2
	s_xor_b32 s5, exec_lo, s4
	s_cbranch_execz .LBB94_190
; %bb.170:                              ;   in Loop: Header=BB94_161 Depth=1
	v_cmp_class_f64_e64 s4, v[10:11], 0x1f8
	s_delay_alu instid0(VALU_DEP_1) | instskip(NEXT) | instid1(SALU_CYCLE_1)
	s_and_saveexec_b32 s14, s4
	s_xor_b32 s47, exec_lo, s14
	s_cbranch_execz .LBB94_187
; %bb.171:                              ;   in Loop: Header=BB94_161 Depth=1
	s_mov_b32 s4, exec_lo
	v_cmpx_gt_u32_e32 0x40360000, v2
	s_xor_b32 s42, exec_lo, s4
	s_cbranch_execz .LBB94_177
; %bb.172:                              ;   in Loop: Header=BB94_161 Depth=1
	v_cmp_ngt_f64_e64 s4, 0x41d00000, |v[10:11]|
                                        ; implicit-def: $vgpr4
                                        ; implicit-def: $vgpr2_vgpr3
                                        ; implicit-def: $vgpr23_vgpr24
	s_delay_alu instid0(VALU_DEP_1) | instskip(NEXT) | instid1(SALU_CYCLE_1)
	s_and_saveexec_b32 s14, s4
	s_xor_b32 s4, exec_lo, s14
	s_cbranch_execz .LBB94_174
; %bb.173:                              ;   in Loop: Header=BB94_161 Depth=1
	v_ldexp_f64 v[2:3], |v[10:11]|, 0xffffff80
	v_cmp_le_f64_e64 vcc_lo, 0x7b000000, |v[10:11]|
	v_trig_preop_f64 v[23:24], |v[10:11]|, 0
	v_and_b32_e32 v4, 0x7fffffff, v11
	v_trig_preop_f64 v[27:28], |v[10:11]|, 1
	v_trig_preop_f64 v[48:49], |v[10:11]|, 2
	s_mov_b32 s14, s16
	s_mov_b32 s21, s19
	v_dual_cndmask_b32 v3, v4, v3 :: v_dual_cndmask_b32 v2, v10, v2
	s_delay_alu instid0(VALU_DEP_1) | instskip(NEXT) | instid1(VALU_DEP_4)
	v_mul_f64 v[25:26], v[23:24], v[2:3]
	v_mul_f64 v[46:47], v[27:28], v[2:3]
	s_delay_alu instid0(VALU_DEP_4) | instskip(NEXT) | instid1(VALU_DEP_3)
	v_mul_f64 v[50:51], v[48:49], v[2:3]
	v_fma_f64 v[23:24], v[23:24], v[2:3], -v[25:26]
	s_delay_alu instid0(VALU_DEP_3) | instskip(NEXT) | instid1(VALU_DEP_3)
	v_fma_f64 v[27:28], v[27:28], v[2:3], -v[46:47]
	v_fma_f64 v[2:3], v[48:49], v[2:3], -v[50:51]
	s_delay_alu instid0(VALU_DEP_3) | instskip(NEXT) | instid1(VALU_DEP_1)
	v_add_f64 v[48:49], v[46:47], v[23:24]
	v_add_f64 v[52:53], v[48:49], -v[46:47]
	s_delay_alu instid0(VALU_DEP_1) | instskip(SKIP_1) | instid1(VALU_DEP_1)
	v_add_f64 v[23:24], v[23:24], -v[52:53]
	v_add_f64 v[52:53], v[48:49], -v[52:53]
	;; [unrolled: 1-line block ×3, first 2 shown]
	v_add_f64 v[52:53], v[25:26], v[48:49]
	s_delay_alu instid0(VALU_DEP_2) | instskip(NEXT) | instid1(VALU_DEP_2)
	v_add_f64 v[23:24], v[23:24], v[46:47]
	v_add_f64 v[25:26], v[52:53], -v[25:26]
	v_add_f64 v[46:47], v[50:51], v[27:28]
	v_ldexp_f64 v[52:53], v[52:53], -2
	s_delay_alu instid0(VALU_DEP_3) | instskip(NEXT) | instid1(VALU_DEP_3)
	v_add_f64 v[25:26], v[48:49], -v[25:26]
	v_add_f64 v[48:49], v[46:47], -v[50:51]
	s_delay_alu instid0(VALU_DEP_3) | instskip(SKIP_1) | instid1(VALU_DEP_3)
	v_cmp_neq_f64_e64 vcc_lo, 0x7ff00000, |v[52:53]|
	v_fract_f64_e32 v[52:53], v[52:53]
	v_add_f64 v[27:28], v[27:28], -v[48:49]
	v_add_f64 v[48:49], v[46:47], -v[48:49]
	s_delay_alu instid0(VALU_DEP_3) | instskip(NEXT) | instid1(VALU_DEP_2)
	v_dual_cndmask_b32 v53, 0, v53 :: v_dual_cndmask_b32 v52, 0, v52
	v_add_f64 v[48:49], v[50:51], -v[48:49]
	v_add_f64 v[50:51], v[46:47], v[23:24]
	s_delay_alu instid0(VALU_DEP_2) | instskip(NEXT) | instid1(VALU_DEP_2)
	v_add_f64 v[27:28], v[27:28], v[48:49]
	v_add_f64 v[54:55], v[50:51], -v[46:47]
	v_add_f64 v[48:49], v[25:26], v[50:51]
	s_delay_alu instid0(VALU_DEP_2) | instskip(SKIP_1) | instid1(VALU_DEP_3)
	v_add_f64 v[23:24], v[23:24], -v[54:55]
	v_add_f64 v[54:55], v[50:51], -v[54:55]
	;; [unrolled: 1-line block ×3, first 2 shown]
	s_delay_alu instid0(VALU_DEP_2) | instskip(NEXT) | instid1(VALU_DEP_2)
	v_add_f64 v[46:47], v[46:47], -v[54:55]
	v_add_f64 v[25:26], v[50:51], -v[25:26]
	s_delay_alu instid0(VALU_DEP_2) | instskip(SKIP_1) | instid1(VALU_DEP_2)
	v_add_f64 v[23:24], v[23:24], v[46:47]
	v_ldexp_f64 v[46:47], v[52:53], 2
	v_add_f64 v[23:24], v[27:28], v[23:24]
	s_delay_alu instid0(VALU_DEP_2) | instskip(NEXT) | instid1(VALU_DEP_2)
	v_add_f64 v[52:53], v[48:49], v[46:47]
	v_add_f64 v[2:3], v[2:3], v[23:24]
	s_delay_alu instid0(VALU_DEP_2) | instskip(NEXT) | instid1(VALU_DEP_2)
	v_cmp_gt_f64_e32 vcc_lo, 0, v[52:53]
	v_add_f64 v[2:3], v[25:26], v[2:3]
	v_cndmask_b32_e64 v23, 0, 0x40100000, vcc_lo
	s_delay_alu instid0(VALU_DEP_1) | instskip(NEXT) | instid1(VALU_DEP_1)
	v_add_f64 v[23:24], v[46:47], v[22:23]
	v_add_f64 v[27:28], v[48:49], v[23:24]
	s_delay_alu instid0(VALU_DEP_1) | instskip(NEXT) | instid1(VALU_DEP_1)
	v_cvt_i32_f64_e32 v4, v[27:28]
	v_cvt_f64_i32_e32 v[27:28], v4
	s_delay_alu instid0(VALU_DEP_1) | instskip(NEXT) | instid1(VALU_DEP_1)
	v_add_f64 v[23:24], v[23:24], -v[27:28]
	v_add_f64 v[25:26], v[48:49], v[23:24]
	s_delay_alu instid0(VALU_DEP_1) | instskip(SKIP_1) | instid1(VALU_DEP_2)
	v_add_f64 v[23:24], v[25:26], -v[23:24]
	v_cmp_le_f64_e32 vcc_lo, 0.5, v[25:26]
	v_add_f64 v[27:28], v[48:49], -v[23:24]
	v_cndmask_b32_e64 v23, 0, 0x3ff00000, vcc_lo
	v_add_co_ci_u32_e32 v4, vcc_lo, 0, v4, vcc_lo
	s_delay_alu instid0(VALU_DEP_2) | instskip(NEXT) | instid1(VALU_DEP_4)
	v_add_f64 v[23:24], v[25:26], -v[22:23]
	v_add_f64 v[2:3], v[2:3], v[27:28]
	s_delay_alu instid0(VALU_DEP_1) | instskip(NEXT) | instid1(VALU_DEP_1)
	v_add_f64 v[25:26], v[23:24], v[2:3]
	v_add_f64 v[23:24], v[25:26], -v[23:24]
	s_delay_alu instid0(VALU_DEP_1) | instskip(SKIP_1) | instid1(VALU_DEP_1)
	v_add_f64 v[2:3], v[2:3], -v[23:24]
	v_mul_f64 v[23:24], v[25:26], s[14:15]
	v_fma_f64 v[27:28], v[25:26], s[14:15], -v[23:24]
	s_delay_alu instid0(VALU_DEP_1) | instskip(NEXT) | instid1(VALU_DEP_1)
	v_fma_f64 v[25:26], v[25:26], s[20:21], v[27:28]
	v_fma_f64 v[25:26], v[2:3], s[14:15], v[25:26]
	s_delay_alu instid0(VALU_DEP_1) | instskip(NEXT) | instid1(VALU_DEP_1)
	v_add_f64 v[2:3], v[23:24], v[25:26]
	v_add_f64 v[23:24], v[2:3], -v[23:24]
	s_delay_alu instid0(VALU_DEP_1)
	v_add_f64 v[23:24], v[25:26], -v[23:24]
.LBB94_174:                             ;   in Loop: Header=BB94_161 Depth=1
	s_and_not1_saveexec_b32 s4, s4
	s_cbranch_execz .LBB94_176
; %bb.175:                              ;   in Loop: Header=BB94_161 Depth=1
	v_mul_f64 v[2:3], |v[10:11]|, s[22:23]
	s_mov_b32 s18, s24
	s_delay_alu instid0(VALU_DEP_1) | instskip(NEXT) | instid1(VALU_DEP_1)
	v_rndne_f64_e32 v[25:26], v[2:3]
	v_fma_f64 v[2:3], v[25:26], s[16:17], |v[10:11]|
	v_mul_f64 v[23:24], v[25:26], s[24:25]
	v_cvt_i32_f64_e32 v4, v[25:26]
	s_delay_alu instid0(VALU_DEP_3) | instskip(NEXT) | instid1(VALU_DEP_3)
	v_fma_f64 v[46:47], v[25:26], s[24:25], v[2:3]
	v_add_f64 v[27:28], v[2:3], v[23:24]
	s_delay_alu instid0(VALU_DEP_1) | instskip(NEXT) | instid1(VALU_DEP_3)
	v_add_f64 v[2:3], v[2:3], -v[27:28]
	v_add_f64 v[27:28], v[27:28], -v[46:47]
	s_delay_alu instid0(VALU_DEP_2) | instskip(SKIP_1) | instid1(VALU_DEP_2)
	v_add_f64 v[2:3], v[2:3], v[23:24]
	v_fma_f64 v[23:24], v[25:26], s[18:19], v[23:24]
	v_add_f64 v[2:3], v[27:28], v[2:3]
	s_delay_alu instid0(VALU_DEP_1) | instskip(NEXT) | instid1(VALU_DEP_1)
	v_add_f64 v[2:3], v[2:3], -v[23:24]
	v_fma_f64 v[23:24], v[25:26], s[26:27], v[2:3]
	s_delay_alu instid0(VALU_DEP_1) | instskip(NEXT) | instid1(VALU_DEP_1)
	v_add_f64 v[2:3], v[46:47], v[23:24]
	v_add_f64 v[27:28], v[2:3], -v[46:47]
	s_delay_alu instid0(VALU_DEP_1)
	v_add_f64 v[23:24], v[23:24], -v[27:28]
.LBB94_176:                             ;   in Loop: Header=BB94_161 Depth=1
	s_or_b32 exec_lo, exec_lo, s4
	v_add_f64 v[25:26], |v[12:13]|, s[58:59]
	s_mov_b32 s60, s58
	s_mov_b32 s64, s66
	;; [unrolled: 1-line block ×5, first 2 shown]
	v_cmp_nge_f64_e64 vcc_lo, |v[12:13]|, s[94:95]
	v_cmp_gt_f64_e64 s4, 0x3e400000, |v[12:13]|
	s_mov_b32 s50, 0xa9a29f71
	s_mov_b32 s52, 0xc751c08c
	;; [unrolled: 1-line block ×4, first 2 shown]
	v_and_b32_e32 v4, 1, v4
	s_delay_alu instid0(VALU_DEP_4) | instskip(NEXT) | instid1(VALU_DEP_1)
	v_add_f64 v[27:28], v[25:26], -|v[12:13]|
	v_add_f64 v[46:47], v[27:28], -v[25:26]
	v_add_f64 v[27:28], v[27:28], s[60:61]
	s_delay_alu instid0(VALU_DEP_2) | instskip(NEXT) | instid1(VALU_DEP_1)
	v_add_f64 v[46:47], |v[12:13]|, v[46:47]
	v_add_f64 v[27:28], v[46:47], -v[27:28]
	s_delay_alu instid0(VALU_DEP_1) | instskip(NEXT) | instid1(VALU_DEP_1)
	v_add_f64 v[27:28], v[27:28], s[62:63]
	v_add_f64 v[46:47], v[25:26], v[27:28]
	s_delay_alu instid0(VALU_DEP_1) | instskip(NEXT) | instid1(VALU_DEP_1)
	v_add_f64 v[25:26], v[25:26], -v[46:47]
	v_add_f64 v[25:26], v[27:28], v[25:26]
	v_mul_f64 v[27:28], v[46:47], s[64:65]
	s_delay_alu instid0(VALU_DEP_1) | instskip(NEXT) | instid1(VALU_DEP_1)
	v_rndne_f64_e32 v[27:28], v[27:28]
	v_fma_f64 v[46:47], v[27:28], s[68:69], v[46:47]
	v_cvt_i32_f64_e32 v10, v[27:28]
	s_delay_alu instid0(VALU_DEP_2) | instskip(NEXT) | instid1(VALU_DEP_1)
	v_add_f64 v[48:49], v[25:26], v[46:47]
	v_add_f64 v[46:47], v[46:47], -v[48:49]
	s_delay_alu instid0(VALU_DEP_1) | instskip(SKIP_1) | instid1(VALU_DEP_1)
	v_add_f64 v[25:26], v[25:26], v[46:47]
	v_mul_f64 v[46:47], v[27:28], s[70:71]
	v_add_f64 v[50:51], v[48:49], v[46:47]
	s_delay_alu instid0(VALU_DEP_1) | instskip(NEXT) | instid1(VALU_DEP_1)
	v_add_f64 v[48:49], v[48:49], -v[50:51]
	v_add_f64 v[46:47], v[48:49], v[46:47]
	s_delay_alu instid0(VALU_DEP_1) | instskip(NEXT) | instid1(VALU_DEP_1)
	v_add_f64 v[25:26], v[25:26], v[46:47]
	v_add_f64 v[46:47], v[50:51], v[25:26]
	s_delay_alu instid0(VALU_DEP_1) | instskip(NEXT) | instid1(VALU_DEP_1)
	v_add_f64 v[48:49], v[50:51], -v[46:47]
	v_add_f64 v[25:26], v[25:26], v[48:49]
	v_mul_f64 v[48:49], v[27:28], s[72:73]
	s_delay_alu instid0(VALU_DEP_1) | instskip(NEXT) | instid1(VALU_DEP_1)
	v_add_f64 v[50:51], v[46:47], v[48:49]
	v_add_f64 v[46:47], v[46:47], -v[50:51]
	s_delay_alu instid0(VALU_DEP_1) | instskip(NEXT) | instid1(VALU_DEP_1)
	v_add_f64 v[46:47], v[46:47], v[48:49]
	v_add_f64 v[25:26], v[25:26], v[46:47]
	s_delay_alu instid0(VALU_DEP_1) | instskip(NEXT) | instid1(VALU_DEP_1)
	v_add_f64 v[46:47], v[50:51], v[25:26]
	v_add_f64 v[48:49], v[50:51], -v[46:47]
	s_delay_alu instid0(VALU_DEP_1) | instskip(SKIP_1) | instid1(VALU_DEP_2)
	v_add_f64 v[25:26], v[25:26], v[48:49]
	v_mul_f64 v[48:49], v[46:47], v[46:47]
	v_add_f64 v[52:53], v[25:26], v[25:26]
	s_delay_alu instid0(VALU_DEP_2) | instskip(NEXT) | instid1(VALU_DEP_1)
	v_fma_f64 v[50:51], v[46:47], v[46:47], -v[48:49]
	v_fma_f64 v[50:51], v[46:47], v[52:53], v[50:51]
	s_delay_alu instid0(VALU_DEP_1) | instskip(NEXT) | instid1(VALU_DEP_1)
	v_add_f64 v[52:53], v[48:49], v[50:51]
	v_add_f64 v[48:49], v[52:53], -v[48:49]
	s_delay_alu instid0(VALU_DEP_1) | instskip(SKIP_1) | instid1(VALU_DEP_1)
	v_add_f64 v[48:49], v[50:51], -v[48:49]
	v_fma_f64 v[50:51], v[46:47], s[76:77], s[74:75]
	v_fma_f64 v[50:51], v[46:47], v[50:51], s[78:79]
	s_delay_alu instid0(VALU_DEP_1) | instskip(NEXT) | instid1(VALU_DEP_1)
	v_fma_f64 v[50:51], v[46:47], v[50:51], s[80:81]
	v_fma_f64 v[50:51], v[46:47], v[50:51], s[82:83]
	s_delay_alu instid0(VALU_DEP_1) | instskip(NEXT) | instid1(VALU_DEP_1)
	;; [unrolled: 3-line block ×4, first 2 shown]
	v_fma_f64 v[50:51], v[46:47], v[50:51], s[92:93]
	v_mul_f64 v[54:55], v[52:53], v[50:51]
	s_delay_alu instid0(VALU_DEP_1) | instskip(NEXT) | instid1(VALU_DEP_1)
	v_fma_f64 v[52:53], v[52:53], v[50:51], -v[54:55]
	v_fma_f64 v[48:49], v[48:49], v[50:51], v[52:53]
	s_delay_alu instid0(VALU_DEP_1) | instskip(NEXT) | instid1(VALU_DEP_1)
	v_add_f64 v[50:51], v[54:55], v[48:49]
	v_add_f64 v[52:53], v[50:51], -v[54:55]
	s_delay_alu instid0(VALU_DEP_1) | instskip(SKIP_1) | instid1(VALU_DEP_2)
	v_add_f64 v[48:49], v[48:49], -v[52:53]
	v_add_f64 v[52:53], v[46:47], v[50:51]
	v_add_f64 v[25:26], v[25:26], v[48:49]
	s_delay_alu instid0(VALU_DEP_2) | instskip(NEXT) | instid1(VALU_DEP_1)
	v_add_f64 v[46:47], v[52:53], -v[46:47]
	v_add_f64 v[46:47], v[50:51], -v[46:47]
	s_delay_alu instid0(VALU_DEP_1) | instskip(NEXT) | instid1(VALU_DEP_1)
	v_add_f64 v[25:26], v[25:26], v[46:47]
	v_add_f64 v[46:47], v[52:53], v[25:26]
	s_delay_alu instid0(VALU_DEP_1) | instskip(NEXT) | instid1(VALU_DEP_1)
	v_add_f64 v[48:49], v[46:47], -v[52:53]
	v_add_f64 v[25:26], v[25:26], -v[48:49]
	v_add_f64 v[48:49], v[46:47], 1.0
	s_delay_alu instid0(VALU_DEP_1) | instskip(NEXT) | instid1(VALU_DEP_1)
	v_add_f64 v[50:51], v[48:49], -1.0
	v_add_f64 v[46:47], v[46:47], -v[50:51]
	s_delay_alu instid0(VALU_DEP_1) | instskip(NEXT) | instid1(VALU_DEP_1)
	v_add_f64 v[25:26], v[25:26], v[46:47]
	v_add_f64 v[27:28], v[48:49], v[25:26]
	s_delay_alu instid0(VALU_DEP_1) | instskip(SKIP_1) | instid1(VALU_DEP_2)
	v_add_f64 v[46:47], v[27:28], -v[48:49]
	v_ldexp_f64 v[27:28], v[27:28], v10
	v_add_f64 v[25:26], v[25:26], -v[46:47]
	s_delay_alu instid0(VALU_DEP_2) | instskip(NEXT) | instid1(VALU_DEP_1)
	v_rcp_f64_e32 v[48:49], v[27:28]
	v_ldexp_f64 v[25:26], v[25:26], v10
	v_and_b32_e32 v10, 0x7fffffff, v13
	s_waitcnt_depctr 0xfff
	v_fma_f64 v[50:51], -v[27:28], v[48:49], 1.0
	s_delay_alu instid0(VALU_DEP_1) | instskip(NEXT) | instid1(VALU_DEP_1)
	v_fma_f64 v[48:49], v[50:51], v[48:49], v[48:49]
	v_fma_f64 v[46:47], -v[27:28], v[48:49], 1.0
	s_delay_alu instid0(VALU_DEP_1) | instskip(NEXT) | instid1(VALU_DEP_1)
	v_fma_f64 v[46:47], v[46:47], v[48:49], v[48:49]
	v_mul_f64 v[48:49], v[27:28], v[46:47]
	s_delay_alu instid0(VALU_DEP_1) | instskip(NEXT) | instid1(VALU_DEP_1)
	v_fma_f64 v[50:51], v[46:47], v[27:28], -v[48:49]
	v_fma_f64 v[50:51], v[46:47], v[25:26], v[50:51]
	s_delay_alu instid0(VALU_DEP_1) | instskip(NEXT) | instid1(VALU_DEP_1)
	v_add_f64 v[52:53], v[48:49], v[50:51]
	v_add_f64 v[48:49], v[52:53], -v[48:49]
	s_delay_alu instid0(VALU_DEP_1) | instskip(SKIP_1) | instid1(VALU_DEP_1)
	v_add_f64 v[48:49], v[48:49], -v[50:51]
	v_add_f64 v[50:51], -v[52:53], 1.0
	v_add_f64 v[54:55], -v[50:51], 1.0
	s_delay_alu instid0(VALU_DEP_1) | instskip(NEXT) | instid1(VALU_DEP_1)
	v_add_f64 v[52:53], v[54:55], -v[52:53]
	v_add_f64 v[48:49], v[48:49], v[52:53]
	s_delay_alu instid0(VALU_DEP_1) | instskip(NEXT) | instid1(VALU_DEP_1)
	v_add_f64 v[52:53], v[50:51], v[48:49]
	v_add_f64 v[50:51], v[50:51], -v[52:53]
	s_delay_alu instid0(VALU_DEP_1) | instskip(SKIP_1) | instid1(VALU_DEP_1)
	v_add_f64 v[48:49], v[48:49], v[50:51]
	v_mul_f64 v[50:51], v[46:47], v[52:53]
	v_mul_f64 v[54:55], v[27:28], v[50:51]
	s_delay_alu instid0(VALU_DEP_1) | instskip(NEXT) | instid1(VALU_DEP_1)
	v_fma_f64 v[56:57], v[50:51], v[27:28], -v[54:55]
	v_fma_f64 v[56:57], v[50:51], v[25:26], v[56:57]
	s_delay_alu instid0(VALU_DEP_1) | instskip(NEXT) | instid1(VALU_DEP_1)
	v_add_f64 v[58:59], v[54:55], v[56:57]
	v_add_f64 v[60:61], v[52:53], -v[58:59]
	v_add_f64 v[54:55], v[58:59], -v[54:55]
	s_delay_alu instid0(VALU_DEP_2) | instskip(NEXT) | instid1(VALU_DEP_2)
	v_add_f64 v[52:53], v[52:53], -v[60:61]
	v_add_f64 v[54:55], v[54:55], -v[56:57]
	s_delay_alu instid0(VALU_DEP_2) | instskip(NEXT) | instid1(VALU_DEP_1)
	v_add_f64 v[52:53], v[52:53], -v[58:59]
	v_add_f64 v[48:49], v[48:49], v[52:53]
	v_add_f64 v[52:53], v[46:47], v[50:51]
	s_delay_alu instid0(VALU_DEP_2) | instskip(NEXT) | instid1(VALU_DEP_2)
	v_add_f64 v[48:49], v[54:55], v[48:49]
	v_add_f64 v[54:55], v[52:53], -v[46:47]
	s_delay_alu instid0(VALU_DEP_2) | instskip(NEXT) | instid1(VALU_DEP_2)
	v_add_f64 v[48:49], v[60:61], v[48:49]
	v_add_f64 v[50:51], v[50:51], -v[54:55]
	s_delay_alu instid0(VALU_DEP_2) | instskip(NEXT) | instid1(VALU_DEP_1)
	v_mul_f64 v[46:47], v[46:47], v[48:49]
	v_add_f64 v[46:47], v[50:51], v[46:47]
	s_delay_alu instid0(VALU_DEP_1) | instskip(NEXT) | instid1(VALU_DEP_1)
	v_add_f64 v[48:49], v[52:53], v[46:47]
	v_add_f64 v[50:51], v[48:49], -v[52:53]
	v_ldexp_f64 v[48:49], v[48:49], -2
	s_delay_alu instid0(VALU_DEP_2) | instskip(NEXT) | instid1(VALU_DEP_2)
	v_add_f64 v[46:47], v[46:47], -v[50:51]
	v_add_f64 v[52:53], v[27:28], -v[48:49]
	s_delay_alu instid0(VALU_DEP_1) | instskip(NEXT) | instid1(VALU_DEP_1)
	v_add_f64 v[27:28], v[27:28], -v[52:53]
	v_add_f64 v[27:28], v[27:28], -v[48:49]
	s_delay_alu instid0(VALU_DEP_1) | instskip(SKIP_1) | instid1(VALU_DEP_1)
	v_add_f64 v[25:26], v[25:26], v[27:28]
	v_ldexp_f64 v[27:28], v[46:47], -2
	v_add_f64 v[25:26], v[25:26], -v[27:28]
	s_delay_alu instid0(VALU_DEP_1) | instskip(NEXT) | instid1(VALU_DEP_1)
	v_add_f64 v[25:26], v[52:53], v[25:26]
	v_cndmask_b32_e32 v13, 0x7ff00000, v26, vcc_lo
	s_delay_alu instid0(VALU_DEP_1) | instskip(NEXT) | instid1(VALU_DEP_1)
	v_cndmask_b32_e64 v10, v13, v10, s4
	v_bfi_b32 v13, 0x7fffffff, v10, v5
	s_delay_alu instid0(VALU_DEP_4) | instskip(NEXT) | instid1(VALU_DEP_1)
	v_cndmask_b32_e32 v5, 0, v25, vcc_lo
	v_cndmask_b32_e64 v12, v5, v12, s4
	v_cmp_eq_u32_e64 s4, 0, v4
	s_delay_alu instid0(VALU_DEP_2) | instskip(NEXT) | instid1(VALU_DEP_1)
	v_fma_f64 v[25:26], v[12:13], v[12:13], 1.0
	v_cmp_gt_f64_e32 vcc_lo, 0x10000000, v[25:26]
	v_cndmask_b32_e64 v5, 0, 1, vcc_lo
	v_cndmask_b32_e64 v4, 0, 0xffffff80, vcc_lo
	s_delay_alu instid0(VALU_DEP_2) | instskip(NEXT) | instid1(VALU_DEP_1)
	v_lshlrev_b32_e32 v5, 8, v5
	v_ldexp_f64 v[25:26], v[25:26], v5
	s_delay_alu instid0(VALU_DEP_1)
	v_rsq_f64_e32 v[27:28], v[25:26]
	v_cmp_class_f64_e64 vcc_lo, v[25:26], 0x260
	v_and_b32_e32 v5, 0x80000000, v11
	v_mul_f64 v[10:11], v[2:3], v[2:3]
	s_waitcnt_depctr 0xfff
	v_mul_f64 v[46:47], v[25:26], v[27:28]
	v_mul_f64 v[27:28], v[27:28], 0.5
	s_delay_alu instid0(VALU_DEP_1) | instskip(NEXT) | instid1(VALU_DEP_1)
	v_fma_f64 v[48:49], -v[27:28], v[46:47], 0.5
	v_fma_f64 v[46:47], v[46:47], v[48:49], v[46:47]
	v_fma_f64 v[27:28], v[27:28], v[48:49], v[27:28]
	s_delay_alu instid0(VALU_DEP_2) | instskip(NEXT) | instid1(VALU_DEP_1)
	v_fma_f64 v[48:49], -v[46:47], v[46:47], v[25:26]
	v_fma_f64 v[46:47], v[48:49], v[27:28], v[46:47]
	s_delay_alu instid0(VALU_DEP_1) | instskip(NEXT) | instid1(VALU_DEP_1)
	v_fma_f64 v[48:49], -v[46:47], v[46:47], v[25:26]
	v_fma_f64 v[27:28], v[48:49], v[27:28], v[46:47]
	v_add_f64 v[46:47], v[23:24], v[23:24]
	v_fma_f64 v[48:49], v[2:3], v[2:3], -v[10:11]
	s_delay_alu instid0(VALU_DEP_1) | instskip(NEXT) | instid1(VALU_DEP_1)
	v_fma_f64 v[46:47], v[2:3], v[46:47], v[48:49]
	v_add_f64 v[10:11], v[10:11], v[46:47]
	s_delay_alu instid0(VALU_DEP_1)
	v_fma_f64 v[46:47], v[10:11], s[52:53], s[50:51]
	s_mov_b32 s50, 0x90a8aae0
	s_mov_b32 s51, 0x3f17746f
	s_delay_alu instid0(VALU_DEP_1) | instid1(SALU_CYCLE_1)
	v_fma_f64 v[46:47], v[10:11], v[46:47], s[50:51]
	s_mov_b32 s50, 0xa6fbf144
	s_mov_b32 s51, 0xbefbb44d
	s_delay_alu instid0(VALU_DEP_1) | instid1(SALU_CYCLE_1)
	;; [unrolled: 4-line block ×10, first 2 shown]
	v_fma_f64 v[46:47], v[10:11], v[46:47], s[50:51]
	s_delay_alu instid0(VALU_DEP_1) | instskip(NEXT) | instid1(VALU_DEP_1)
	v_fma_f64 v[46:47], v[10:11], v[46:47], s[54:55]
	v_fma_f64 v[46:47], v[10:11], v[46:47], s[56:57]
	s_delay_alu instid0(VALU_DEP_1) | instskip(NEXT) | instid1(VALU_DEP_1)
	v_mul_f64 v[10:11], v[10:11], v[46:47]
	v_mul_f64 v[46:47], v[2:3], v[10:11]
	s_delay_alu instid0(VALU_DEP_1) | instskip(NEXT) | instid1(VALU_DEP_1)
	v_fma_f64 v[10:11], v[2:3], v[10:11], -v[46:47]
	v_add_f64 v[10:11], v[23:24], v[10:11]
	v_add_f64 v[23:24], v[2:3], v[46:47]
	s_delay_alu instid0(VALU_DEP_1) | instskip(NEXT) | instid1(VALU_DEP_1)
	v_add_f64 v[2:3], v[23:24], -v[2:3]
	v_add_f64 v[2:3], v[46:47], -v[2:3]
	s_delay_alu instid0(VALU_DEP_1) | instskip(NEXT) | instid1(VALU_DEP_1)
	v_add_f64 v[2:3], v[10:11], v[2:3]
	v_add_f64 v[10:11], v[23:24], v[2:3]
	s_delay_alu instid0(VALU_DEP_1) | instskip(SKIP_1) | instid1(VALU_DEP_1)
	v_rcp_f64_e32 v[46:47], v[10:11]
	v_add_f64 v[23:24], v[10:11], -v[23:24]
	v_add_f64 v[2:3], v[2:3], -v[23:24]
	s_waitcnt_depctr 0xfff
	v_fma_f64 v[48:49], -v[10:11], v[46:47], 1.0
	s_delay_alu instid0(VALU_DEP_1) | instskip(NEXT) | instid1(VALU_DEP_1)
	v_fma_f64 v[46:47], v[48:49], v[46:47], v[46:47]
	v_fma_f64 v[48:49], -v[10:11], v[46:47], 1.0
	s_delay_alu instid0(VALU_DEP_1) | instskip(NEXT) | instid1(VALU_DEP_1)
	v_fma_f64 v[46:47], v[48:49], v[46:47], v[46:47]
	v_mul_f64 v[23:24], v[10:11], v[46:47]
	s_delay_alu instid0(VALU_DEP_1) | instskip(NEXT) | instid1(VALU_DEP_1)
	v_fma_f64 v[48:49], v[46:47], v[10:11], -v[23:24]
	v_fma_f64 v[2:3], v[46:47], v[2:3], v[48:49]
	s_delay_alu instid0(VALU_DEP_1) | instskip(NEXT) | instid1(VALU_DEP_1)
	v_add_f64 v[48:49], v[23:24], v[2:3]
	v_add_f64 v[23:24], v[48:49], -v[23:24]
	s_delay_alu instid0(VALU_DEP_1) | instskip(SKIP_1) | instid1(VALU_DEP_1)
	v_add_f64 v[2:3], v[23:24], -v[2:3]
	v_add_f64 v[23:24], -v[48:49], 1.0
	v_add_f64 v[50:51], -v[23:24], 1.0
	s_delay_alu instid0(VALU_DEP_1) | instskip(NEXT) | instid1(VALU_DEP_1)
	v_add_f64 v[48:49], v[50:51], -v[48:49]
	v_add_f64 v[2:3], v[2:3], v[48:49]
	s_delay_alu instid0(VALU_DEP_1) | instskip(NEXT) | instid1(VALU_DEP_1)
	v_add_f64 v[2:3], v[23:24], v[2:3]
	v_mul_f64 v[2:3], v[46:47], v[2:3]
	s_delay_alu instid0(VALU_DEP_1) | instskip(NEXT) | instid1(VALU_DEP_1)
	v_add_f64 v[2:3], v[46:47], v[2:3]
	v_xor_b32_e32 v3, 0x80000000, v3
	s_delay_alu instid0(VALU_DEP_2) | instskip(NEXT) | instid1(VALU_DEP_2)
	v_cndmask_b32_e64 v2, v2, v10, s4
	v_cndmask_b32_e64 v3, v3, v11, s4
	s_delay_alu instid0(VALU_DEP_1) | instskip(SKIP_1) | instid1(VALU_DEP_2)
	v_xor_b32_e32 v3, v3, v5
	v_ldexp_f64 v[4:5], v[27:28], v4
	v_fma_f64 v[10:11], v[2:3], v[2:3], 1.0
	s_delay_alu instid0(VALU_DEP_2) | instskip(NEXT) | instid1(VALU_DEP_2)
	v_dual_cndmask_b32 v4, v4, v25 :: v_dual_cndmask_b32 v5, v5, v26
	v_mul_f64 v[23:24], v[12:13], v[10:11]
	s_delay_alu instid0(VALU_DEP_2) | instskip(NEXT) | instid1(VALU_DEP_2)
	v_mul_f64 v[4:5], v[4:5], v[10:11]
	v_fma_f64 v[10:11], v[12:13], v[23:24], 1.0
	s_delay_alu instid0(VALU_DEP_2) | instskip(NEXT) | instid1(VALU_DEP_1)
	v_mul_f64 v[4:5], v[12:13], v[4:5]
	v_div_scale_f64 v[12:13], null, v[10:11], v[10:11], v[4:5]
	s_delay_alu instid0(VALU_DEP_1) | instskip(SKIP_2) | instid1(VALU_DEP_1)
	v_rcp_f64_e32 v[23:24], v[12:13]
	s_waitcnt_depctr 0xfff
	v_fma_f64 v[25:26], -v[12:13], v[23:24], 1.0
	v_fma_f64 v[23:24], v[23:24], v[25:26], v[23:24]
	s_delay_alu instid0(VALU_DEP_1) | instskip(NEXT) | instid1(VALU_DEP_1)
	v_fma_f64 v[25:26], -v[12:13], v[23:24], 1.0
	v_fma_f64 v[23:24], v[23:24], v[25:26], v[23:24]
	v_div_scale_f64 v[25:26], vcc_lo, v[4:5], v[10:11], v[4:5]
	s_delay_alu instid0(VALU_DEP_1) | instskip(NEXT) | instid1(VALU_DEP_1)
	v_mul_f64 v[27:28], v[25:26], v[23:24]
	v_fma_f64 v[12:13], -v[12:13], v[27:28], v[25:26]
	s_delay_alu instid0(VALU_DEP_1) | instskip(SKIP_1) | instid1(VALU_DEP_2)
	v_div_fmas_f64 v[12:13], v[12:13], v[23:24], v[27:28]
	v_div_scale_f64 v[23:24], null, v[10:11], v[10:11], v[2:3]
	v_div_fixup_f64 v[4:5], v[12:13], v[10:11], v[4:5]
	s_delay_alu instid0(VALU_DEP_2) | instskip(SKIP_2) | instid1(VALU_DEP_1)
	v_rcp_f64_e32 v[25:26], v[23:24]
	s_waitcnt_depctr 0xfff
	v_fma_f64 v[27:28], -v[23:24], v[25:26], 1.0
	v_fma_f64 v[25:26], v[25:26], v[27:28], v[25:26]
	s_delay_alu instid0(VALU_DEP_1) | instskip(NEXT) | instid1(VALU_DEP_1)
	v_fma_f64 v[27:28], -v[23:24], v[25:26], 1.0
	v_fma_f64 v[25:26], v[25:26], v[27:28], v[25:26]
	v_div_scale_f64 v[27:28], vcc_lo, v[2:3], v[10:11], v[2:3]
	s_delay_alu instid0(VALU_DEP_1) | instskip(NEXT) | instid1(VALU_DEP_1)
	v_mul_f64 v[46:47], v[27:28], v[25:26]
	v_fma_f64 v[23:24], -v[23:24], v[46:47], v[27:28]
	s_delay_alu instid0(VALU_DEP_1) | instskip(NEXT) | instid1(VALU_DEP_1)
	v_div_fmas_f64 v[23:24], v[23:24], v[25:26], v[46:47]
	v_div_fixup_f64 v[2:3], v[23:24], v[10:11], v[2:3]
                                        ; implicit-def: $vgpr10_vgpr11
.LBB94_177:                             ;   in Loop: Header=BB94_161 Depth=1
	s_and_not1_saveexec_b32 s60, s42
	s_cbranch_execz .LBB94_197
; %bb.178:                              ;   in Loop: Header=BB94_161 Depth=1
	v_cmp_ngt_f64_e64 s4, 0x41d00000, |v[10:11]|
                                        ; implicit-def: $vgpr4
                                        ; implicit-def: $vgpr2_vgpr3
                                        ; implicit-def: $vgpr24_vgpr25
	s_delay_alu instid0(VALU_DEP_1) | instskip(NEXT) | instid1(SALU_CYCLE_1)
	s_and_saveexec_b32 s14, s4
	s_xor_b32 s18, exec_lo, s14
	s_cbranch_execz .LBB94_180
; %bb.179:                              ;   in Loop: Header=BB94_161 Depth=1
	v_ldexp_f64 v[2:3], |v[10:11]|, 0xffffff80
	v_cmp_le_f64_e64 vcc_lo, 0x7b000000, |v[10:11]|
	v_trig_preop_f64 v[23:24], |v[10:11]|, 0
	v_and_b32_e32 v4, 0x7fffffff, v11
	v_trig_preop_f64 v[27:28], |v[10:11]|, 1
	v_trig_preop_f64 v[48:49], |v[10:11]|, 2
	s_mov_b32 s14, s16
	s_mov_b32 s21, s19
	v_dual_cndmask_b32 v3, v4, v3 :: v_dual_cndmask_b32 v2, v10, v2
	s_delay_alu instid0(VALU_DEP_1) | instskip(NEXT) | instid1(VALU_DEP_4)
	v_mul_f64 v[25:26], v[23:24], v[2:3]
	v_mul_f64 v[46:47], v[27:28], v[2:3]
	s_delay_alu instid0(VALU_DEP_4) | instskip(NEXT) | instid1(VALU_DEP_3)
	v_mul_f64 v[50:51], v[48:49], v[2:3]
	v_fma_f64 v[23:24], v[23:24], v[2:3], -v[25:26]
	s_delay_alu instid0(VALU_DEP_3) | instskip(NEXT) | instid1(VALU_DEP_3)
	v_fma_f64 v[27:28], v[27:28], v[2:3], -v[46:47]
	v_fma_f64 v[2:3], v[48:49], v[2:3], -v[50:51]
	s_delay_alu instid0(VALU_DEP_3) | instskip(NEXT) | instid1(VALU_DEP_1)
	v_add_f64 v[48:49], v[46:47], v[23:24]
	v_add_f64 v[52:53], v[48:49], -v[46:47]
	s_delay_alu instid0(VALU_DEP_1) | instskip(SKIP_1) | instid1(VALU_DEP_1)
	v_add_f64 v[23:24], v[23:24], -v[52:53]
	v_add_f64 v[52:53], v[48:49], -v[52:53]
	;; [unrolled: 1-line block ×3, first 2 shown]
	v_add_f64 v[52:53], v[25:26], v[48:49]
	s_delay_alu instid0(VALU_DEP_2) | instskip(NEXT) | instid1(VALU_DEP_2)
	v_add_f64 v[23:24], v[23:24], v[46:47]
	v_add_f64 v[25:26], v[52:53], -v[25:26]
	v_add_f64 v[46:47], v[50:51], v[27:28]
	v_ldexp_f64 v[52:53], v[52:53], -2
	s_delay_alu instid0(VALU_DEP_3) | instskip(NEXT) | instid1(VALU_DEP_3)
	v_add_f64 v[25:26], v[48:49], -v[25:26]
	v_add_f64 v[48:49], v[46:47], -v[50:51]
	s_delay_alu instid0(VALU_DEP_3) | instskip(SKIP_1) | instid1(VALU_DEP_3)
	v_cmp_neq_f64_e64 vcc_lo, 0x7ff00000, |v[52:53]|
	v_fract_f64_e32 v[52:53], v[52:53]
	v_add_f64 v[27:28], v[27:28], -v[48:49]
	v_add_f64 v[48:49], v[46:47], -v[48:49]
	s_delay_alu instid0(VALU_DEP_3) | instskip(NEXT) | instid1(VALU_DEP_2)
	v_dual_cndmask_b32 v53, 0, v53 :: v_dual_cndmask_b32 v52, 0, v52
	v_add_f64 v[48:49], v[50:51], -v[48:49]
	v_add_f64 v[50:51], v[46:47], v[23:24]
	s_delay_alu instid0(VALU_DEP_2) | instskip(NEXT) | instid1(VALU_DEP_2)
	v_add_f64 v[27:28], v[27:28], v[48:49]
	v_add_f64 v[54:55], v[50:51], -v[46:47]
	v_add_f64 v[48:49], v[25:26], v[50:51]
	s_delay_alu instid0(VALU_DEP_2) | instskip(SKIP_1) | instid1(VALU_DEP_3)
	v_add_f64 v[23:24], v[23:24], -v[54:55]
	v_add_f64 v[54:55], v[50:51], -v[54:55]
	;; [unrolled: 1-line block ×3, first 2 shown]
	s_delay_alu instid0(VALU_DEP_2) | instskip(NEXT) | instid1(VALU_DEP_2)
	v_add_f64 v[46:47], v[46:47], -v[54:55]
	v_add_f64 v[25:26], v[50:51], -v[25:26]
	s_delay_alu instid0(VALU_DEP_2) | instskip(SKIP_1) | instid1(VALU_DEP_2)
	v_add_f64 v[23:24], v[23:24], v[46:47]
	v_ldexp_f64 v[46:47], v[52:53], 2
	v_add_f64 v[23:24], v[27:28], v[23:24]
	s_delay_alu instid0(VALU_DEP_2) | instskip(NEXT) | instid1(VALU_DEP_2)
	v_add_f64 v[52:53], v[48:49], v[46:47]
	v_add_f64 v[2:3], v[2:3], v[23:24]
	s_delay_alu instid0(VALU_DEP_2) | instskip(NEXT) | instid1(VALU_DEP_2)
	v_cmp_gt_f64_e32 vcc_lo, 0, v[52:53]
	v_add_f64 v[2:3], v[25:26], v[2:3]
	v_cndmask_b32_e64 v23, 0, 0x40100000, vcc_lo
	s_delay_alu instid0(VALU_DEP_1) | instskip(NEXT) | instid1(VALU_DEP_1)
	v_add_f64 v[23:24], v[46:47], v[22:23]
	v_add_f64 v[27:28], v[48:49], v[23:24]
	s_delay_alu instid0(VALU_DEP_1) | instskip(NEXT) | instid1(VALU_DEP_1)
	v_cvt_i32_f64_e32 v4, v[27:28]
	v_cvt_f64_i32_e32 v[27:28], v4
	s_delay_alu instid0(VALU_DEP_1) | instskip(NEXT) | instid1(VALU_DEP_1)
	v_add_f64 v[23:24], v[23:24], -v[27:28]
	v_add_f64 v[25:26], v[48:49], v[23:24]
	s_delay_alu instid0(VALU_DEP_1) | instskip(SKIP_1) | instid1(VALU_DEP_2)
	v_add_f64 v[23:24], v[25:26], -v[23:24]
	v_cmp_le_f64_e32 vcc_lo, 0.5, v[25:26]
	v_add_f64 v[27:28], v[48:49], -v[23:24]
	v_cndmask_b32_e64 v23, 0, 0x3ff00000, vcc_lo
	v_add_co_ci_u32_e32 v4, vcc_lo, 0, v4, vcc_lo
	s_delay_alu instid0(VALU_DEP_2) | instskip(NEXT) | instid1(VALU_DEP_4)
	v_add_f64 v[23:24], v[25:26], -v[22:23]
	v_add_f64 v[2:3], v[2:3], v[27:28]
	s_delay_alu instid0(VALU_DEP_1) | instskip(NEXT) | instid1(VALU_DEP_1)
	v_add_f64 v[25:26], v[23:24], v[2:3]
	v_add_f64 v[23:24], v[25:26], -v[23:24]
	s_delay_alu instid0(VALU_DEP_1) | instskip(SKIP_1) | instid1(VALU_DEP_1)
	v_add_f64 v[2:3], v[2:3], -v[23:24]
	v_mul_f64 v[23:24], v[25:26], s[14:15]
	v_fma_f64 v[27:28], v[25:26], s[14:15], -v[23:24]
	s_delay_alu instid0(VALU_DEP_1) | instskip(NEXT) | instid1(VALU_DEP_1)
	v_fma_f64 v[25:26], v[25:26], s[20:21], v[27:28]
	v_fma_f64 v[25:26], v[2:3], s[14:15], v[25:26]
	s_delay_alu instid0(VALU_DEP_1) | instskip(NEXT) | instid1(VALU_DEP_1)
	v_add_f64 v[2:3], v[23:24], v[25:26]
	v_add_f64 v[23:24], v[2:3], -v[23:24]
	s_delay_alu instid0(VALU_DEP_1)
	v_add_f64 v[24:25], v[25:26], -v[23:24]
	s_and_not1_saveexec_b32 s14, s18
	s_cbranch_execz .LBB94_182
	s_branch .LBB94_181
.LBB94_180:                             ;   in Loop: Header=BB94_161 Depth=1
	s_and_not1_saveexec_b32 s14, s18
	s_cbranch_execz .LBB94_182
.LBB94_181:                             ;   in Loop: Header=BB94_161 Depth=1
	v_mul_f64 v[2:3], |v[10:11]|, s[22:23]
	s_mov_b32 s18, s24
	s_delay_alu instid0(VALU_DEP_1) | instskip(NEXT) | instid1(VALU_DEP_1)
	v_rndne_f64_e32 v[26:27], v[2:3]
	v_fma_f64 v[2:3], v[26:27], s[16:17], |v[10:11]|
	v_mul_f64 v[23:24], v[26:27], s[24:25]
	v_cvt_i32_f64_e32 v4, v[26:27]
	s_delay_alu instid0(VALU_DEP_3) | instskip(NEXT) | instid1(VALU_DEP_3)
	v_fma_f64 v[46:47], v[26:27], s[24:25], v[2:3]
	v_add_f64 v[28:29], v[2:3], v[23:24]
	s_delay_alu instid0(VALU_DEP_1) | instskip(NEXT) | instid1(VALU_DEP_3)
	v_add_f64 v[2:3], v[2:3], -v[28:29]
	v_add_f64 v[28:29], v[28:29], -v[46:47]
	s_delay_alu instid0(VALU_DEP_2) | instskip(SKIP_1) | instid1(VALU_DEP_2)
	v_add_f64 v[2:3], v[2:3], v[23:24]
	v_fma_f64 v[23:24], v[26:27], s[18:19], v[23:24]
	v_add_f64 v[2:3], v[28:29], v[2:3]
	s_delay_alu instid0(VALU_DEP_1) | instskip(NEXT) | instid1(VALU_DEP_1)
	v_add_f64 v[2:3], v[2:3], -v[23:24]
	v_fma_f64 v[23:24], v[26:27], s[26:27], v[2:3]
	s_delay_alu instid0(VALU_DEP_1) | instskip(NEXT) | instid1(VALU_DEP_1)
	v_add_f64 v[2:3], v[46:47], v[23:24]
	v_add_f64 v[28:29], v[2:3], -v[46:47]
	s_delay_alu instid0(VALU_DEP_1)
	v_add_f64 v[24:25], v[23:24], -v[28:29]
.LBB94_182:                             ;   in Loop: Header=BB94_161 Depth=1
	s_or_b32 exec_lo, exec_lo, s14
                                        ; implicit-def: $vgpr23
                                        ; implicit-def: $vgpr26_vgpr27
                                        ; implicit-def: $vgpr28_vgpr29
	s_and_saveexec_b32 s14, s4
	s_delay_alu instid0(SALU_CYCLE_1)
	s_xor_b32 s4, exec_lo, s14
	s_cbranch_execz .LBB94_184
; %bb.183:                              ;   in Loop: Header=BB94_161 Depth=1
	v_ldexp_f64 v[26:27], |v[10:11]|, 0xffffff80
	v_cmp_le_f64_e64 vcc_lo, 0x7b000000, |v[10:11]|
	v_trig_preop_f64 v[28:29], |v[10:11]|, 0
	v_and_b32_e32 v23, 0x7fffffff, v11
	v_trig_preop_f64 v[48:49], |v[10:11]|, 1
	v_trig_preop_f64 v[52:53], |v[10:11]|, 2
	s_mov_b32 s14, s16
	s_mov_b32 s21, s19
	v_dual_cndmask_b32 v26, v10, v26 :: v_dual_cndmask_b32 v27, v23, v27
	s_delay_alu instid0(VALU_DEP_1) | instskip(NEXT) | instid1(VALU_DEP_4)
	v_mul_f64 v[46:47], v[28:29], v[26:27]
	v_mul_f64 v[50:51], v[48:49], v[26:27]
	s_delay_alu instid0(VALU_DEP_4) | instskip(NEXT) | instid1(VALU_DEP_3)
	v_mul_f64 v[54:55], v[52:53], v[26:27]
	v_fma_f64 v[28:29], v[28:29], v[26:27], -v[46:47]
	s_delay_alu instid0(VALU_DEP_3) | instskip(NEXT) | instid1(VALU_DEP_3)
	v_fma_f64 v[48:49], v[48:49], v[26:27], -v[50:51]
	v_fma_f64 v[26:27], v[52:53], v[26:27], -v[54:55]
	s_delay_alu instid0(VALU_DEP_3) | instskip(NEXT) | instid1(VALU_DEP_1)
	v_add_f64 v[52:53], v[50:51], v[28:29]
	v_add_f64 v[56:57], v[52:53], -v[50:51]
	s_delay_alu instid0(VALU_DEP_1) | instskip(SKIP_1) | instid1(VALU_DEP_1)
	v_add_f64 v[28:29], v[28:29], -v[56:57]
	v_add_f64 v[56:57], v[52:53], -v[56:57]
	;; [unrolled: 1-line block ×3, first 2 shown]
	v_add_f64 v[56:57], v[46:47], v[52:53]
	s_delay_alu instid0(VALU_DEP_2) | instskip(NEXT) | instid1(VALU_DEP_2)
	v_add_f64 v[28:29], v[28:29], v[50:51]
	v_add_f64 v[46:47], v[56:57], -v[46:47]
	v_add_f64 v[50:51], v[54:55], v[48:49]
	v_ldexp_f64 v[56:57], v[56:57], -2
	s_delay_alu instid0(VALU_DEP_3) | instskip(NEXT) | instid1(VALU_DEP_3)
	v_add_f64 v[46:47], v[52:53], -v[46:47]
	v_add_f64 v[52:53], v[50:51], -v[54:55]
	s_delay_alu instid0(VALU_DEP_3) | instskip(SKIP_1) | instid1(VALU_DEP_3)
	v_cmp_neq_f64_e64 vcc_lo, 0x7ff00000, |v[56:57]|
	v_fract_f64_e32 v[56:57], v[56:57]
	v_add_f64 v[48:49], v[48:49], -v[52:53]
	v_add_f64 v[52:53], v[50:51], -v[52:53]
	s_delay_alu instid0(VALU_DEP_3) | instskip(NEXT) | instid1(VALU_DEP_2)
	v_dual_cndmask_b32 v56, 0, v56 :: v_dual_cndmask_b32 v57, 0, v57
	v_add_f64 v[52:53], v[54:55], -v[52:53]
	v_add_f64 v[54:55], v[50:51], v[28:29]
	s_delay_alu instid0(VALU_DEP_2) | instskip(NEXT) | instid1(VALU_DEP_2)
	v_add_f64 v[48:49], v[48:49], v[52:53]
	v_add_f64 v[58:59], v[54:55], -v[50:51]
	v_add_f64 v[52:53], v[46:47], v[54:55]
	s_delay_alu instid0(VALU_DEP_2) | instskip(SKIP_1) | instid1(VALU_DEP_3)
	v_add_f64 v[28:29], v[28:29], -v[58:59]
	v_add_f64 v[58:59], v[54:55], -v[58:59]
	;; [unrolled: 1-line block ×3, first 2 shown]
	s_delay_alu instid0(VALU_DEP_2) | instskip(NEXT) | instid1(VALU_DEP_2)
	v_add_f64 v[50:51], v[50:51], -v[58:59]
	v_add_f64 v[46:47], v[54:55], -v[46:47]
	s_delay_alu instid0(VALU_DEP_2) | instskip(SKIP_1) | instid1(VALU_DEP_2)
	v_add_f64 v[28:29], v[28:29], v[50:51]
	v_ldexp_f64 v[50:51], v[56:57], 2
	v_add_f64 v[28:29], v[48:49], v[28:29]
	s_delay_alu instid0(VALU_DEP_2) | instskip(NEXT) | instid1(VALU_DEP_2)
	v_add_f64 v[56:57], v[52:53], v[50:51]
	v_add_f64 v[26:27], v[26:27], v[28:29]
	s_delay_alu instid0(VALU_DEP_2) | instskip(NEXT) | instid1(VALU_DEP_2)
	v_cmp_gt_f64_e32 vcc_lo, 0, v[56:57]
	v_add_f64 v[26:27], v[46:47], v[26:27]
	v_cndmask_b32_e64 v23, 0, 0x40100000, vcc_lo
	s_delay_alu instid0(VALU_DEP_1) | instskip(NEXT) | instid1(VALU_DEP_1)
	v_add_f64 v[28:29], v[50:51], v[22:23]
	v_add_f64 v[48:49], v[52:53], v[28:29]
	s_delay_alu instid0(VALU_DEP_1) | instskip(NEXT) | instid1(VALU_DEP_1)
	v_cvt_i32_f64_e32 v50, v[48:49]
	v_cvt_f64_i32_e32 v[48:49], v50
	s_delay_alu instid0(VALU_DEP_1) | instskip(NEXT) | instid1(VALU_DEP_1)
	v_add_f64 v[28:29], v[28:29], -v[48:49]
	v_add_f64 v[46:47], v[52:53], v[28:29]
	s_delay_alu instid0(VALU_DEP_1) | instskip(SKIP_1) | instid1(VALU_DEP_2)
	v_add_f64 v[28:29], v[46:47], -v[28:29]
	v_cmp_le_f64_e32 vcc_lo, 0.5, v[46:47]
	v_add_f64 v[28:29], v[52:53], -v[28:29]
	v_cndmask_b32_e64 v23, 0, 0x3ff00000, vcc_lo
	s_delay_alu instid0(VALU_DEP_1) | instskip(SKIP_1) | instid1(VALU_DEP_4)
	v_add_f64 v[46:47], v[46:47], -v[22:23]
	v_add_co_ci_u32_e32 v23, vcc_lo, 0, v50, vcc_lo
	v_add_f64 v[26:27], v[26:27], v[28:29]
	s_delay_alu instid0(VALU_DEP_1) | instskip(NEXT) | instid1(VALU_DEP_1)
	v_add_f64 v[28:29], v[46:47], v[26:27]
	v_add_f64 v[46:47], v[28:29], -v[46:47]
	s_delay_alu instid0(VALU_DEP_1) | instskip(SKIP_1) | instid1(VALU_DEP_1)
	v_add_f64 v[26:27], v[26:27], -v[46:47]
	v_mul_f64 v[46:47], v[28:29], s[14:15]
	v_fma_f64 v[48:49], v[28:29], s[14:15], -v[46:47]
	s_delay_alu instid0(VALU_DEP_1) | instskip(NEXT) | instid1(VALU_DEP_1)
	v_fma_f64 v[28:29], v[28:29], s[20:21], v[48:49]
	v_fma_f64 v[28:29], v[26:27], s[14:15], v[28:29]
	s_delay_alu instid0(VALU_DEP_1) | instskip(NEXT) | instid1(VALU_DEP_1)
	v_add_f64 v[26:27], v[46:47], v[28:29]
	v_add_f64 v[46:47], v[26:27], -v[46:47]
	s_delay_alu instid0(VALU_DEP_1)
	v_add_f64 v[28:29], v[28:29], -v[46:47]
	s_and_not1_saveexec_b32 s4, s4
	s_cbranch_execnz .LBB94_185
	s_branch .LBB94_186
.LBB94_184:                             ;   in Loop: Header=BB94_161 Depth=1
	s_and_not1_saveexec_b32 s4, s4
	s_cbranch_execz .LBB94_186
.LBB94_185:                             ;   in Loop: Header=BB94_161 Depth=1
	v_mul_f64 v[26:27], |v[10:11]|, s[22:23]
	s_mov_b32 s18, s24
	s_delay_alu instid0(VALU_DEP_1) | instskip(NEXT) | instid1(VALU_DEP_1)
	v_rndne_f64_e32 v[46:47], v[26:27]
	v_fma_f64 v[26:27], v[46:47], s[16:17], |v[10:11]|
	v_mul_f64 v[28:29], v[46:47], s[24:25]
	v_cvt_i32_f64_e32 v23, v[46:47]
	s_delay_alu instid0(VALU_DEP_3) | instskip(NEXT) | instid1(VALU_DEP_3)
	v_fma_f64 v[50:51], v[46:47], s[24:25], v[26:27]
	v_add_f64 v[48:49], v[26:27], v[28:29]
	s_delay_alu instid0(VALU_DEP_1) | instskip(NEXT) | instid1(VALU_DEP_3)
	v_add_f64 v[26:27], v[26:27], -v[48:49]
	v_add_f64 v[48:49], v[48:49], -v[50:51]
	s_delay_alu instid0(VALU_DEP_2) | instskip(SKIP_1) | instid1(VALU_DEP_2)
	v_add_f64 v[26:27], v[26:27], v[28:29]
	v_fma_f64 v[28:29], v[46:47], s[18:19], v[28:29]
	v_add_f64 v[26:27], v[48:49], v[26:27]
	s_delay_alu instid0(VALU_DEP_1) | instskip(NEXT) | instid1(VALU_DEP_1)
	v_add_f64 v[26:27], v[26:27], -v[28:29]
	v_fma_f64 v[28:29], v[46:47], s[26:27], v[26:27]
	s_delay_alu instid0(VALU_DEP_1) | instskip(NEXT) | instid1(VALU_DEP_1)
	v_add_f64 v[26:27], v[50:51], v[28:29]
	v_add_f64 v[48:49], v[26:27], -v[50:51]
	s_delay_alu instid0(VALU_DEP_1)
	v_add_f64 v[28:29], v[28:29], -v[48:49]
.LBB94_186:                             ;   in Loop: Header=BB94_161 Depth=1
	s_or_b32 exec_lo, exec_lo, s4
	s_delay_alu instid0(VALU_DEP_2) | instskip(NEXT) | instid1(VALU_DEP_2)
	v_mul_f64 v[46:47], v[2:3], v[2:3]
	v_mul_f64 v[54:55], v[24:25], 0.5
	s_delay_alu instid0(VALU_DEP_3)
	v_mul_f64 v[60:61], v[28:29], 0.5
	s_mov_b32 s42, s44
	v_cmp_nlt_f64_e64 vcc_lo, 0x4090cc00, |v[12:13]|
	v_lshlrev_b32_e32 v10, 30, v4
	v_and_b32_e32 v4, 1, v4
	s_mov_b32 s87, s41
	s_mov_b32 s89, s45
	s_delay_alu instid0(VALU_DEP_1) | instskip(SKIP_2) | instid1(VALU_DEP_2)
	v_cmp_eq_u32_e64 s4, 0, v4
	v_mul_f64 v[48:49], v[46:47], 0.5
	v_mul_f64 v[56:57], v[2:3], -v[46:47]
	v_add_f64 v[50:51], -v[48:49], 1.0
	s_delay_alu instid0(VALU_DEP_1) | instskip(NEXT) | instid1(VALU_DEP_1)
	v_add_f64 v[52:53], -v[50:51], 1.0
	v_add_f64 v[48:49], v[52:53], -v[48:49]
	v_fma_f64 v[52:53], v[46:47], s[34:35], s[30:31]
	s_delay_alu instid0(VALU_DEP_2) | instskip(NEXT) | instid1(VALU_DEP_2)
	v_fma_f64 v[48:49], v[2:3], -v[24:25], v[48:49]
	v_fma_f64 v[52:53], v[46:47], v[52:53], s[36:37]
	s_delay_alu instid0(VALU_DEP_1) | instskip(NEXT) | instid1(VALU_DEP_1)
	v_fma_f64 v[52:53], v[46:47], v[52:53], s[38:39]
	v_fma_f64 v[52:53], v[46:47], v[52:53], s[40:41]
	s_delay_alu instid0(VALU_DEP_1) | instskip(NEXT) | instid1(VALU_DEP_1)
	v_fma_f64 v[52:53], v[56:57], v[52:53], v[54:55]
	v_fma_f64 v[24:25], v[46:47], v[52:53], -v[24:25]
	v_fma_f64 v[52:53], v[46:47], s[98:99], s[96:97]
	s_delay_alu instid0(VALU_DEP_2) | instskip(NEXT) | instid1(VALU_DEP_2)
	v_fma_f64 v[24:25], v[56:57], s[42:43], v[24:25]
	v_fma_f64 v[52:53], v[46:47], v[52:53], s[100:101]
	s_delay_alu instid0(VALU_DEP_2) | instskip(NEXT) | instid1(VALU_DEP_2)
	v_add_f64 v[2:3], v[2:3], -v[24:25]
	v_fma_f64 v[52:53], v[46:47], v[52:53], s[102:103]
	s_delay_alu instid0(VALU_DEP_1) | instskip(NEXT) | instid1(VALU_DEP_1)
	v_fma_f64 v[52:53], v[46:47], v[52:53], s[28:29]
	v_fma_f64 v[52:53], v[46:47], v[52:53], s[44:45]
	v_mul_f64 v[46:47], v[46:47], v[46:47]
	s_delay_alu instid0(VALU_DEP_1) | instskip(SKIP_1) | instid1(VALU_DEP_2)
	v_fma_f64 v[46:47], v[46:47], v[52:53], v[48:49]
	v_mul_f64 v[48:49], v[26:27], v[26:27]
	v_add_f64 v[46:47], v[50:51], v[46:47]
	s_delay_alu instid0(VALU_DEP_2) | instskip(SKIP_1) | instid1(VALU_DEP_3)
	v_mul_f64 v[52:53], v[48:49], 0.5
	v_mul_f64 v[62:63], v[26:27], -v[48:49]
	v_cndmask_b32_e64 v3, v47, v3, s4
	s_delay_alu instid0(VALU_DEP_3) | instskip(SKIP_1) | instid1(VALU_DEP_2)
	v_add_f64 v[54:55], -v[52:53], 1.0
	v_cndmask_b32_e64 v2, v46, v2, s4
	v_add_f64 v[58:59], -v[54:55], 1.0
	s_delay_alu instid0(VALU_DEP_1) | instskip(SKIP_1) | instid1(VALU_DEP_2)
	v_add_f64 v[52:53], v[58:59], -v[52:53]
	v_fma_f64 v[58:59], v[48:49], s[34:35], s[30:31]
	v_fma_f64 v[52:53], v[26:27], -v[28:29], v[52:53]
	s_delay_alu instid0(VALU_DEP_2) | instskip(NEXT) | instid1(VALU_DEP_1)
	v_fma_f64 v[58:59], v[48:49], v[58:59], s[36:37]
	v_fma_f64 v[58:59], v[48:49], v[58:59], s[38:39]
	s_delay_alu instid0(VALU_DEP_1) | instskip(NEXT) | instid1(VALU_DEP_1)
	v_fma_f64 v[58:59], v[48:49], v[58:59], s[40:41]
	v_fma_f64 v[58:59], v[62:63], v[58:59], v[60:61]
	s_delay_alu instid0(VALU_DEP_1) | instskip(SKIP_1) | instid1(VALU_DEP_2)
	v_fma_f64 v[28:29], v[48:49], v[58:59], -v[28:29]
	v_fma_f64 v[58:59], v[48:49], s[98:99], s[96:97]
	v_fma_f64 v[28:29], v[62:63], s[42:43], v[28:29]
	s_delay_alu instid0(VALU_DEP_2) | instskip(NEXT) | instid1(VALU_DEP_2)
	v_fma_f64 v[58:59], v[48:49], v[58:59], s[100:101]
	v_add_f64 v[24:25], v[26:27], -v[28:29]
	s_delay_alu instid0(VALU_DEP_2) | instskip(SKIP_2) | instid1(VALU_DEP_1)
	v_fma_f64 v[58:59], v[48:49], v[58:59], s[102:103]
	v_mul_f64 v[26:27], |v[12:13]|, s[66:67]
	v_xor_b32_e32 v28, v10, v11
	v_and_b32_e32 v4, 0x80000000, v28
	s_delay_alu instid0(VALU_DEP_1) | instskip(SKIP_1) | instid1(VALU_DEP_2)
	v_xor_b32_e32 v3, v3, v4
	v_and_b32_e32 v4, 1, v23
	v_mul_f64 v[2:3], v[2:3], 4.0
	s_delay_alu instid0(VALU_DEP_2) | instskip(SKIP_3) | instid1(VALU_DEP_2)
	v_cmp_eq_u32_e64 s4, 0, v4
	v_xor_b32_e32 v4, 0x80000000, v25
	v_fma_f64 v[58:59], v[48:49], v[58:59], s[28:29]
	v_rndne_f64_e32 v[26:27], v[26:27]
	v_fma_f64 v[58:59], v[48:49], v[58:59], s[44:45]
	v_mul_f64 v[48:49], v[48:49], v[48:49]
	s_delay_alu instid0(VALU_DEP_3) | instskip(SKIP_1) | instid1(VALU_DEP_3)
	v_fma_f64 v[10:11], v[26:27], s[58:59], -|v[12:13]|
	v_lshlrev_b32_e32 v13, 30, v23
	v_fma_f64 v[48:49], v[48:49], v[58:59], v[52:53]
	s_delay_alu instid0(VALU_DEP_3) | instskip(NEXT) | instid1(VALU_DEP_2)
	v_fma_f64 v[10:11], v[26:27], s[62:63], v[10:11]
	v_add_f64 v[48:49], v[54:55], v[48:49]
	s_delay_alu instid0(VALU_DEP_1) | instskip(NEXT) | instid1(VALU_DEP_3)
	v_cndmask_b32_e64 v12, v24, v48, s4
	v_fma_f64 v[23:24], v[10:11], s[76:77], s[74:75]
	s_delay_alu instid0(VALU_DEP_3) | instskip(NEXT) | instid1(VALU_DEP_2)
	v_cndmask_b32_e64 v4, v4, v49, s4
	v_fma_f64 v[23:24], v[10:11], v[23:24], s[78:79]
	s_delay_alu instid0(VALU_DEP_1) | instskip(NEXT) | instid1(VALU_DEP_1)
	v_fma_f64 v[23:24], v[10:11], v[23:24], s[80:81]
	v_fma_f64 v[23:24], v[10:11], v[23:24], s[82:83]
	s_delay_alu instid0(VALU_DEP_1) | instskip(NEXT) | instid1(VALU_DEP_1)
	v_fma_f64 v[23:24], v[10:11], v[23:24], s[84:85]
	;; [unrolled: 3-line block ×4, first 2 shown]
	v_fma_f64 v[23:24], v[10:11], v[23:24], 1.0
	s_delay_alu instid0(VALU_DEP_1) | instskip(SKIP_2) | instid1(VALU_DEP_1)
	v_fma_f64 v[10:11], v[10:11], v[23:24], 1.0
	v_bfi_b32 v23, 0x7fffffff, s49, v5
	v_and_b32_e32 v13, 0x80000000, v13
	v_xor_b32_e32 v13, v4, v13
	v_cvt_i32_f64_e32 v4, v[26:27]
	s_delay_alu instid0(VALU_DEP_2) | instskip(NEXT) | instid1(VALU_DEP_2)
	v_mul_f64 v[2:3], v[2:3], v[12:13]
	v_ldexp_f64 v[10:11], v[10:11], v4
	v_dual_mov_b32 v4, v22 :: v_dual_mov_b32 v5, v23
	s_delay_alu instid0(VALU_DEP_2) | instskip(NEXT) | instid1(VALU_DEP_1)
	v_dual_cndmask_b32 v11, 0, v11 :: v_dual_cndmask_b32 v10, 0, v10
	v_mul_f64 v[2:3], v[10:11], v[2:3]
	s_delay_alu instid0(VALU_DEP_1)
	v_mul_f64 v[2:3], v[10:11], v[2:3]
	s_or_b32 exec_lo, exec_lo, s60
                                        ; implicit-def: $vgpr10_vgpr11
.LBB94_187:                             ;   in Loop: Header=BB94_161 Depth=1
	s_and_not1_saveexec_b32 s4, s47
.LBB94_188:                             ;   in Loop: Header=BB94_161 Depth=1
	v_add_f64 v[2:3], v[10:11], -v[10:11]
	s_delay_alu instid0(VALU_DEP_1)
	v_dual_mov_b32 v5, v3 :: v_dual_mov_b32 v4, v2
.LBB94_189:                             ;   in Loop: Header=BB94_161 Depth=1
	s_or_b32 exec_lo, exec_lo, s4
                                        ; implicit-def: $vgpr10_vgpr11
.LBB94_190:                             ;   in Loop: Header=BB94_161 Depth=1
	s_and_not1_saveexec_b32 s47, s5
	s_cbranch_execz .LBB94_207
; %bb.191:                              ;   in Loop: Header=BB94_161 Depth=1
	s_delay_alu instid0(VALU_DEP_1) | instskip(SKIP_1) | instid1(VALU_DEP_1)
	v_and_or_b32 v2, 0xfffff, v5, v4
	s_mov_b32 s4, exec_lo
	v_cmpx_ne_u32_e32 0, v2
	s_xor_b32 s4, exec_lo, s4
; %bb.192:                              ;   in Loop: Header=BB94_161 Depth=1
	v_mul_f64 v[2:3], v[10:11], -v[12:13]
	v_cmp_eq_f64_e32 vcc_lo, 0, v[10:11]
	s_delay_alu instid0(VALU_DEP_2)
	v_dual_cndmask_b32 v3, v3, v11 :: v_dual_cndmask_b32 v2, v2, v10
                                        ; implicit-def: $vgpr10_vgpr11
; %bb.193:                              ;   in Loop: Header=BB94_161 Depth=1
	s_and_not1_saveexec_b32 s60, s4
	s_cbranch_execz .LBB94_206
; %bb.194:                              ;   in Loop: Header=BB94_161 Depth=1
	s_mov_b32 s64, exec_lo
	v_cmpx_neq_f64_e64 0x7ff00000, |v[10:11]|
	s_cbranch_execz .LBB94_205
; %bb.195:                              ;   in Loop: Header=BB94_161 Depth=1
	v_cmp_ngt_f64_e64 s4, 0x41d00000, |v[10:11]|
                                        ; implicit-def: $vgpr27
                                        ; implicit-def: $vgpr2_vgpr3
                                        ; implicit-def: $vgpr12_vgpr13
	s_delay_alu instid0(VALU_DEP_1) | instskip(NEXT) | instid1(SALU_CYCLE_1)
	s_and_saveexec_b32 s5, s4
	s_xor_b32 s5, exec_lo, s5
	s_cbranch_execz .LBB94_198
; %bb.196:                              ;   in Loop: Header=BB94_161 Depth=1
	v_ldexp_f64 v[2:3], |v[10:11]|, 0xffffff80
	v_cmp_le_f64_e64 vcc_lo, 0x7b000000, |v[10:11]|
	v_trig_preop_f64 v[12:13], |v[10:11]|, 0
	v_and_b32_e32 v23, 0x7fffffff, v11
	v_trig_preop_f64 v[25:26], |v[10:11]|, 1
	v_trig_preop_f64 v[46:47], |v[10:11]|, 2
	s_mov_b32 s14, s16
	s_mov_b32 s21, s19
	v_dual_cndmask_b32 v2, v10, v2 :: v_dual_cndmask_b32 v3, v23, v3
	s_delay_alu instid0(VALU_DEP_1) | instskip(NEXT) | instid1(VALU_DEP_4)
	v_mul_f64 v[23:24], v[12:13], v[2:3]
	v_mul_f64 v[27:28], v[25:26], v[2:3]
	s_delay_alu instid0(VALU_DEP_4) | instskip(NEXT) | instid1(VALU_DEP_3)
	v_mul_f64 v[48:49], v[46:47], v[2:3]
	v_fma_f64 v[12:13], v[12:13], v[2:3], -v[23:24]
	s_delay_alu instid0(VALU_DEP_3) | instskip(NEXT) | instid1(VALU_DEP_3)
	v_fma_f64 v[25:26], v[25:26], v[2:3], -v[27:28]
	v_fma_f64 v[2:3], v[46:47], v[2:3], -v[48:49]
	s_delay_alu instid0(VALU_DEP_3) | instskip(NEXT) | instid1(VALU_DEP_1)
	v_add_f64 v[46:47], v[27:28], v[12:13]
	v_add_f64 v[50:51], v[46:47], -v[27:28]
	s_delay_alu instid0(VALU_DEP_1) | instskip(SKIP_1) | instid1(VALU_DEP_1)
	v_add_f64 v[12:13], v[12:13], -v[50:51]
	v_add_f64 v[50:51], v[46:47], -v[50:51]
	;; [unrolled: 1-line block ×3, first 2 shown]
	v_add_f64 v[50:51], v[23:24], v[46:47]
	s_delay_alu instid0(VALU_DEP_2) | instskip(NEXT) | instid1(VALU_DEP_2)
	v_add_f64 v[12:13], v[12:13], v[27:28]
	v_add_f64 v[23:24], v[50:51], -v[23:24]
	v_add_f64 v[27:28], v[48:49], v[25:26]
	v_ldexp_f64 v[50:51], v[50:51], -2
	s_delay_alu instid0(VALU_DEP_3) | instskip(NEXT) | instid1(VALU_DEP_3)
	v_add_f64 v[23:24], v[46:47], -v[23:24]
	v_add_f64 v[46:47], v[27:28], -v[48:49]
	s_delay_alu instid0(VALU_DEP_3) | instskip(SKIP_1) | instid1(VALU_DEP_3)
	v_cmp_neq_f64_e64 vcc_lo, 0x7ff00000, |v[50:51]|
	v_fract_f64_e32 v[50:51], v[50:51]
	v_add_f64 v[25:26], v[25:26], -v[46:47]
	v_add_f64 v[46:47], v[27:28], -v[46:47]
	s_delay_alu instid0(VALU_DEP_3) | instskip(NEXT) | instid1(VALU_DEP_2)
	v_dual_cndmask_b32 v50, 0, v50 :: v_dual_cndmask_b32 v51, 0, v51
	v_add_f64 v[46:47], v[48:49], -v[46:47]
	v_add_f64 v[48:49], v[27:28], v[12:13]
	s_delay_alu instid0(VALU_DEP_2) | instskip(NEXT) | instid1(VALU_DEP_2)
	v_add_f64 v[25:26], v[25:26], v[46:47]
	v_add_f64 v[52:53], v[48:49], -v[27:28]
	v_add_f64 v[46:47], v[23:24], v[48:49]
	s_delay_alu instid0(VALU_DEP_2) | instskip(SKIP_1) | instid1(VALU_DEP_3)
	v_add_f64 v[12:13], v[12:13], -v[52:53]
	v_add_f64 v[52:53], v[48:49], -v[52:53]
	;; [unrolled: 1-line block ×3, first 2 shown]
	s_delay_alu instid0(VALU_DEP_2) | instskip(NEXT) | instid1(VALU_DEP_1)
	v_add_f64 v[27:28], v[27:28], -v[52:53]
	v_add_f64 v[12:13], v[12:13], v[27:28]
	v_ldexp_f64 v[27:28], v[50:51], 2
	s_delay_alu instid0(VALU_DEP_2) | instskip(NEXT) | instid1(VALU_DEP_2)
	v_add_f64 v[12:13], v[25:26], v[12:13]
	v_add_f64 v[50:51], v[46:47], v[27:28]
	v_add_f64 v[24:25], v[48:49], -v[23:24]
	s_delay_alu instid0(VALU_DEP_3) | instskip(NEXT) | instid1(VALU_DEP_3)
	v_add_f64 v[2:3], v[2:3], v[12:13]
	v_cmp_gt_f64_e32 vcc_lo, 0, v[50:51]
	s_delay_alu instid0(VALU_DEP_2) | instskip(SKIP_1) | instid1(VALU_DEP_1)
	v_add_f64 v[2:3], v[24:25], v[2:3]
	v_cndmask_b32_e64 v23, 0, 0x40100000, vcc_lo
	v_add_f64 v[12:13], v[27:28], v[22:23]
	s_delay_alu instid0(VALU_DEP_1) | instskip(NEXT) | instid1(VALU_DEP_1)
	v_add_f64 v[26:27], v[46:47], v[12:13]
	v_cvt_i32_f64_e32 v28, v[26:27]
	s_delay_alu instid0(VALU_DEP_1) | instskip(NEXT) | instid1(VALU_DEP_1)
	v_cvt_f64_i32_e32 v[26:27], v28
	v_add_f64 v[12:13], v[12:13], -v[26:27]
	s_delay_alu instid0(VALU_DEP_1) | instskip(NEXT) | instid1(VALU_DEP_1)
	v_add_f64 v[24:25], v[46:47], v[12:13]
	v_add_f64 v[12:13], v[24:25], -v[12:13]
	v_cmp_le_f64_e32 vcc_lo, 0.5, v[24:25]
	s_delay_alu instid0(VALU_DEP_2) | instskip(SKIP_2) | instid1(VALU_DEP_2)
	v_add_f64 v[12:13], v[46:47], -v[12:13]
	v_cndmask_b32_e64 v23, 0, 0x3ff00000, vcc_lo
	v_add_co_ci_u32_e32 v27, vcc_lo, 0, v28, vcc_lo
	v_add_f64 v[23:24], v[24:25], -v[22:23]
	s_delay_alu instid0(VALU_DEP_4) | instskip(NEXT) | instid1(VALU_DEP_1)
	v_add_f64 v[2:3], v[2:3], v[12:13]
	v_add_f64 v[12:13], v[23:24], v[2:3]
	s_delay_alu instid0(VALU_DEP_1) | instskip(NEXT) | instid1(VALU_DEP_1)
	v_add_f64 v[23:24], v[12:13], -v[23:24]
	v_add_f64 v[2:3], v[2:3], -v[23:24]
	v_mul_f64 v[23:24], v[12:13], s[14:15]
	s_delay_alu instid0(VALU_DEP_1) | instskip(NEXT) | instid1(VALU_DEP_1)
	v_fma_f64 v[25:26], v[12:13], s[14:15], -v[23:24]
	v_fma_f64 v[12:13], v[12:13], s[20:21], v[25:26]
	s_delay_alu instid0(VALU_DEP_1) | instskip(NEXT) | instid1(VALU_DEP_1)
	v_fma_f64 v[12:13], v[2:3], s[14:15], v[12:13]
	v_add_f64 v[2:3], v[23:24], v[12:13]
	s_delay_alu instid0(VALU_DEP_1) | instskip(NEXT) | instid1(VALU_DEP_1)
	v_add_f64 v[23:24], v[2:3], -v[23:24]
	v_add_f64 v[12:13], v[12:13], -v[23:24]
	s_and_not1_saveexec_b32 s5, s5
	s_cbranch_execz .LBB94_200
	s_branch .LBB94_199
.LBB94_197:                             ;   in Loop: Header=BB94_161 Depth=1
	s_or_b32 exec_lo, exec_lo, s60
                                        ; implicit-def: $vgpr10_vgpr11
	s_and_not1_saveexec_b32 s4, s47
	s_cbranch_execnz .LBB94_188
	s_branch .LBB94_189
.LBB94_198:                             ;   in Loop: Header=BB94_161 Depth=1
	s_and_not1_saveexec_b32 s5, s5
	s_cbranch_execz .LBB94_200
.LBB94_199:                             ;   in Loop: Header=BB94_161 Depth=1
	v_mul_f64 v[2:3], |v[10:11]|, s[22:23]
	s_mov_b32 s18, s24
	s_delay_alu instid0(VALU_DEP_1) | instskip(NEXT) | instid1(VALU_DEP_1)
	v_rndne_f64_e32 v[23:24], v[2:3]
	v_fma_f64 v[2:3], v[23:24], s[16:17], |v[10:11]|
	v_mul_f64 v[12:13], v[23:24], s[24:25]
	s_delay_alu instid0(VALU_DEP_2) | instskip(NEXT) | instid1(VALU_DEP_2)
	v_fma_f64 v[27:28], v[23:24], s[24:25], v[2:3]
	v_add_f64 v[25:26], v[2:3], v[12:13]
	s_delay_alu instid0(VALU_DEP_1) | instskip(NEXT) | instid1(VALU_DEP_3)
	v_add_f64 v[2:3], v[2:3], -v[25:26]
	v_add_f64 v[25:26], v[25:26], -v[27:28]
	s_delay_alu instid0(VALU_DEP_2) | instskip(SKIP_1) | instid1(VALU_DEP_2)
	v_add_f64 v[2:3], v[2:3], v[12:13]
	v_fma_f64 v[12:13], v[23:24], s[18:19], v[12:13]
	v_add_f64 v[2:3], v[25:26], v[2:3]
	s_delay_alu instid0(VALU_DEP_1) | instskip(NEXT) | instid1(VALU_DEP_1)
	v_add_f64 v[2:3], v[2:3], -v[12:13]
	v_fma_f64 v[12:13], v[23:24], s[26:27], v[2:3]
	s_delay_alu instid0(VALU_DEP_1) | instskip(NEXT) | instid1(VALU_DEP_1)
	v_add_f64 v[2:3], v[27:28], v[12:13]
	v_add_f64 v[25:26], v[2:3], -v[27:28]
	v_cvt_i32_f64_e32 v27, v[23:24]
	s_delay_alu instid0(VALU_DEP_2)
	v_add_f64 v[12:13], v[12:13], -v[25:26]
.LBB94_200:                             ;   in Loop: Header=BB94_161 Depth=1
	s_or_b32 exec_lo, exec_lo, s5
                                        ; implicit-def: $vgpr28
                                        ; implicit-def: $vgpr23_vgpr24
                                        ; implicit-def: $vgpr25_vgpr26
	s_and_saveexec_b32 s5, s4
	s_delay_alu instid0(SALU_CYCLE_1)
	s_xor_b32 s4, exec_lo, s5
	s_cbranch_execz .LBB94_202
; %bb.201:                              ;   in Loop: Header=BB94_161 Depth=1
	v_ldexp_f64 v[23:24], |v[10:11]|, 0xffffff80
	v_cmp_le_f64_e64 vcc_lo, 0x7b000000, |v[10:11]|
	v_trig_preop_f64 v[25:26], |v[10:11]|, 0
	v_and_b32_e32 v28, 0x7fffffff, v11
	v_trig_preop_f64 v[46:47], |v[10:11]|, 1
	v_trig_preop_f64 v[50:51], |v[10:11]|, 2
	s_mov_b32 s14, s16
	s_mov_b32 s21, s19
	v_dual_cndmask_b32 v24, v28, v24 :: v_dual_cndmask_b32 v23, v10, v23
	s_delay_alu instid0(VALU_DEP_1) | instskip(NEXT) | instid1(VALU_DEP_4)
	v_mul_f64 v[28:29], v[25:26], v[23:24]
	v_mul_f64 v[48:49], v[46:47], v[23:24]
	s_delay_alu instid0(VALU_DEP_4) | instskip(NEXT) | instid1(VALU_DEP_3)
	v_mul_f64 v[52:53], v[50:51], v[23:24]
	v_fma_f64 v[25:26], v[25:26], v[23:24], -v[28:29]
	s_delay_alu instid0(VALU_DEP_3) | instskip(NEXT) | instid1(VALU_DEP_3)
	v_fma_f64 v[46:47], v[46:47], v[23:24], -v[48:49]
	v_fma_f64 v[23:24], v[50:51], v[23:24], -v[52:53]
	s_delay_alu instid0(VALU_DEP_3) | instskip(NEXT) | instid1(VALU_DEP_1)
	v_add_f64 v[50:51], v[48:49], v[25:26]
	v_add_f64 v[54:55], v[50:51], -v[48:49]
	s_delay_alu instid0(VALU_DEP_1) | instskip(SKIP_1) | instid1(VALU_DEP_1)
	v_add_f64 v[25:26], v[25:26], -v[54:55]
	v_add_f64 v[54:55], v[50:51], -v[54:55]
	;; [unrolled: 1-line block ×3, first 2 shown]
	v_add_f64 v[54:55], v[28:29], v[50:51]
	s_delay_alu instid0(VALU_DEP_2) | instskip(NEXT) | instid1(VALU_DEP_2)
	v_add_f64 v[25:26], v[25:26], v[48:49]
	v_add_f64 v[28:29], v[54:55], -v[28:29]
	v_add_f64 v[48:49], v[52:53], v[46:47]
	v_ldexp_f64 v[54:55], v[54:55], -2
	s_delay_alu instid0(VALU_DEP_3) | instskip(NEXT) | instid1(VALU_DEP_3)
	v_add_f64 v[28:29], v[50:51], -v[28:29]
	v_add_f64 v[50:51], v[48:49], -v[52:53]
	s_delay_alu instid0(VALU_DEP_3) | instskip(SKIP_1) | instid1(VALU_DEP_3)
	v_cmp_neq_f64_e64 vcc_lo, 0x7ff00000, |v[54:55]|
	v_fract_f64_e32 v[54:55], v[54:55]
	v_add_f64 v[46:47], v[46:47], -v[50:51]
	v_add_f64 v[50:51], v[48:49], -v[50:51]
	s_delay_alu instid0(VALU_DEP_3) | instskip(NEXT) | instid1(VALU_DEP_2)
	v_dual_cndmask_b32 v55, 0, v55 :: v_dual_cndmask_b32 v54, 0, v54
	v_add_f64 v[50:51], v[52:53], -v[50:51]
	v_add_f64 v[52:53], v[48:49], v[25:26]
	s_delay_alu instid0(VALU_DEP_2) | instskip(NEXT) | instid1(VALU_DEP_2)
	v_add_f64 v[46:47], v[46:47], v[50:51]
	v_add_f64 v[56:57], v[52:53], -v[48:49]
	v_add_f64 v[50:51], v[28:29], v[52:53]
	s_delay_alu instid0(VALU_DEP_2) | instskip(SKIP_1) | instid1(VALU_DEP_3)
	v_add_f64 v[25:26], v[25:26], -v[56:57]
	v_add_f64 v[56:57], v[52:53], -v[56:57]
	;; [unrolled: 1-line block ×3, first 2 shown]
	s_delay_alu instid0(VALU_DEP_2) | instskip(NEXT) | instid1(VALU_DEP_2)
	v_add_f64 v[48:49], v[48:49], -v[56:57]
	v_add_f64 v[28:29], v[52:53], -v[28:29]
	s_delay_alu instid0(VALU_DEP_2) | instskip(SKIP_1) | instid1(VALU_DEP_2)
	v_add_f64 v[25:26], v[25:26], v[48:49]
	v_ldexp_f64 v[48:49], v[54:55], 2
	v_add_f64 v[25:26], v[46:47], v[25:26]
	s_delay_alu instid0(VALU_DEP_2) | instskip(NEXT) | instid1(VALU_DEP_2)
	v_add_f64 v[54:55], v[50:51], v[48:49]
	v_add_f64 v[24:25], v[23:24], v[25:26]
	s_delay_alu instid0(VALU_DEP_2) | instskip(NEXT) | instid1(VALU_DEP_2)
	v_cmp_gt_f64_e32 vcc_lo, 0, v[54:55]
	v_add_f64 v[24:25], v[28:29], v[24:25]
	v_cndmask_b32_e64 v23, 0, 0x40100000, vcc_lo
	s_delay_alu instid0(VALU_DEP_1) | instskip(NEXT) | instid1(VALU_DEP_1)
	v_add_f64 v[46:47], v[48:49], v[22:23]
	v_add_f64 v[48:49], v[50:51], v[46:47]
	s_delay_alu instid0(VALU_DEP_1) | instskip(NEXT) | instid1(VALU_DEP_1)
	v_cvt_i32_f64_e32 v52, v[48:49]
	v_cvt_f64_i32_e32 v[48:49], v52
	s_delay_alu instid0(VALU_DEP_1) | instskip(NEXT) | instid1(VALU_DEP_1)
	v_add_f64 v[46:47], v[46:47], -v[48:49]
	v_add_f64 v[28:29], v[50:51], v[46:47]
	s_delay_alu instid0(VALU_DEP_1) | instskip(SKIP_1) | instid1(VALU_DEP_2)
	v_add_f64 v[46:47], v[28:29], -v[46:47]
	v_cmp_le_f64_e32 vcc_lo, 0.5, v[28:29]
	v_add_f64 v[46:47], v[50:51], -v[46:47]
	v_cndmask_b32_e64 v23, 0, 0x3ff00000, vcc_lo
	s_delay_alu instid0(VALU_DEP_1) | instskip(NEXT) | instid1(VALU_DEP_3)
	v_add_f64 v[28:29], v[28:29], -v[22:23]
	v_add_f64 v[23:24], v[24:25], v[46:47]
	s_delay_alu instid0(VALU_DEP_1) | instskip(NEXT) | instid1(VALU_DEP_1)
	v_add_f64 v[25:26], v[28:29], v[23:24]
	v_add_f64 v[28:29], v[25:26], -v[28:29]
	s_delay_alu instid0(VALU_DEP_1) | instskip(SKIP_1) | instid1(VALU_DEP_1)
	v_add_f64 v[23:24], v[23:24], -v[28:29]
	v_mul_f64 v[28:29], v[25:26], s[14:15]
	v_fma_f64 v[46:47], v[25:26], s[14:15], -v[28:29]
	s_delay_alu instid0(VALU_DEP_1) | instskip(NEXT) | instid1(VALU_DEP_1)
	v_fma_f64 v[25:26], v[25:26], s[20:21], v[46:47]
	v_fma_f64 v[25:26], v[23:24], s[14:15], v[25:26]
	s_delay_alu instid0(VALU_DEP_1) | instskip(NEXT) | instid1(VALU_DEP_1)
	v_add_f64 v[23:24], v[28:29], v[25:26]
	v_add_f64 v[28:29], v[23:24], -v[28:29]
	s_delay_alu instid0(VALU_DEP_1)
	v_add_f64 v[25:26], v[25:26], -v[28:29]
	v_add_co_ci_u32_e32 v28, vcc_lo, 0, v52, vcc_lo
	s_and_not1_saveexec_b32 s4, s4
	s_cbranch_execnz .LBB94_203
	s_branch .LBB94_204
.LBB94_202:                             ;   in Loop: Header=BB94_161 Depth=1
	s_and_not1_saveexec_b32 s4, s4
	s_cbranch_execz .LBB94_204
.LBB94_203:                             ;   in Loop: Header=BB94_161 Depth=1
	v_mul_f64 v[23:24], |v[10:11]|, s[22:23]
	s_mov_b32 s18, s24
	s_delay_alu instid0(VALU_DEP_1) | instskip(NEXT) | instid1(VALU_DEP_1)
	v_rndne_f64_e32 v[28:29], v[23:24]
	v_fma_f64 v[23:24], v[28:29], s[16:17], |v[10:11]|
	v_mul_f64 v[25:26], v[28:29], s[24:25]
	s_delay_alu instid0(VALU_DEP_2) | instskip(NEXT) | instid1(VALU_DEP_2)
	v_fma_f64 v[48:49], v[28:29], s[24:25], v[23:24]
	v_add_f64 v[46:47], v[23:24], v[25:26]
	s_delay_alu instid0(VALU_DEP_1) | instskip(NEXT) | instid1(VALU_DEP_3)
	v_add_f64 v[23:24], v[23:24], -v[46:47]
	v_add_f64 v[46:47], v[46:47], -v[48:49]
	s_delay_alu instid0(VALU_DEP_2) | instskip(SKIP_1) | instid1(VALU_DEP_2)
	v_add_f64 v[23:24], v[23:24], v[25:26]
	v_fma_f64 v[25:26], v[28:29], s[18:19], v[25:26]
	v_add_f64 v[23:24], v[46:47], v[23:24]
	s_delay_alu instid0(VALU_DEP_1) | instskip(NEXT) | instid1(VALU_DEP_1)
	v_add_f64 v[23:24], v[23:24], -v[25:26]
	v_fma_f64 v[25:26], v[28:29], s[26:27], v[23:24]
	v_cvt_i32_f64_e32 v28, v[28:29]
	s_delay_alu instid0(VALU_DEP_2) | instskip(NEXT) | instid1(VALU_DEP_1)
	v_add_f64 v[23:24], v[48:49], v[25:26]
	v_add_f64 v[46:47], v[23:24], -v[48:49]
	s_delay_alu instid0(VALU_DEP_1)
	v_add_f64 v[25:26], v[25:26], -v[46:47]
.LBB94_204:                             ;   in Loop: Header=BB94_161 Depth=1
	s_or_b32 exec_lo, exec_lo, s4
	v_cmp_class_f64_e64 vcc_lo, v[10:11], 0x1f8
	s_delay_alu instid0(VALU_DEP_3) | instskip(NEXT) | instid1(VALU_DEP_3)
	v_lshlrev_b32_e32 v10, 30, v27
	v_mul_f64 v[52:53], v[12:13], 0.5
	s_delay_alu instid0(VALU_DEP_4) | instskip(SKIP_1) | instid1(VALU_DEP_3)
	v_mul_f64 v[58:59], v[25:26], 0.5
	s_mov_b32 s42, s44
	v_xor_b32_e32 v29, v10, v11
	v_mul_f64 v[10:11], v[2:3], v[2:3]
	s_delay_alu instid0(VALU_DEP_1) | instskip(SKIP_1) | instid1(VALU_DEP_2)
	v_mul_f64 v[46:47], v[10:11], 0.5
	v_mul_f64 v[54:55], v[2:3], -v[10:11]
	v_add_f64 v[48:49], -v[46:47], 1.0
	s_delay_alu instid0(VALU_DEP_1) | instskip(NEXT) | instid1(VALU_DEP_1)
	v_add_f64 v[50:51], -v[48:49], 1.0
	v_add_f64 v[46:47], v[50:51], -v[46:47]
	v_fma_f64 v[50:51], v[10:11], s[34:35], s[30:31]
	s_delay_alu instid0(VALU_DEP_2) | instskip(NEXT) | instid1(VALU_DEP_2)
	v_fma_f64 v[46:47], v[2:3], -v[12:13], v[46:47]
	v_fma_f64 v[50:51], v[10:11], v[50:51], s[36:37]
	s_delay_alu instid0(VALU_DEP_1) | instskip(NEXT) | instid1(VALU_DEP_1)
	v_fma_f64 v[50:51], v[10:11], v[50:51], s[38:39]
	v_fma_f64 v[50:51], v[10:11], v[50:51], s[40:41]
	s_delay_alu instid0(VALU_DEP_1) | instskip(NEXT) | instid1(VALU_DEP_1)
	v_fma_f64 v[50:51], v[54:55], v[50:51], v[52:53]
	v_fma_f64 v[12:13], v[10:11], v[50:51], -v[12:13]
	v_fma_f64 v[50:51], v[10:11], s[98:99], s[96:97]
	s_delay_alu instid0(VALU_DEP_2) | instskip(NEXT) | instid1(VALU_DEP_2)
	v_fma_f64 v[12:13], v[54:55], s[42:43], v[12:13]
	v_fma_f64 v[50:51], v[10:11], v[50:51], s[100:101]
	s_delay_alu instid0(VALU_DEP_2) | instskip(NEXT) | instid1(VALU_DEP_2)
	v_add_f64 v[2:3], v[2:3], -v[12:13]
	v_fma_f64 v[50:51], v[10:11], v[50:51], s[102:103]
	s_delay_alu instid0(VALU_DEP_1) | instskip(NEXT) | instid1(VALU_DEP_1)
	v_fma_f64 v[50:51], v[10:11], v[50:51], s[28:29]
	v_fma_f64 v[50:51], v[10:11], v[50:51], s[44:45]
	v_mul_f64 v[10:11], v[10:11], v[10:11]
	s_delay_alu instid0(VALU_DEP_1) | instskip(SKIP_1) | instid1(VALU_DEP_2)
	v_fma_f64 v[10:11], v[10:11], v[50:51], v[46:47]
	v_mul_f64 v[46:47], v[23:24], v[23:24]
	v_add_f64 v[10:11], v[48:49], v[10:11]
	s_delay_alu instid0(VALU_DEP_2) | instskip(SKIP_1) | instid1(VALU_DEP_2)
	v_mul_f64 v[50:51], v[46:47], 0.5
	v_mul_f64 v[60:61], v[23:24], -v[46:47]
	v_add_f64 v[52:53], -v[50:51], 1.0
	s_delay_alu instid0(VALU_DEP_1) | instskip(NEXT) | instid1(VALU_DEP_1)
	v_add_f64 v[56:57], -v[52:53], 1.0
	v_add_f64 v[50:51], v[56:57], -v[50:51]
	v_fma_f64 v[56:57], v[46:47], s[34:35], s[30:31]
	s_delay_alu instid0(VALU_DEP_2) | instskip(NEXT) | instid1(VALU_DEP_2)
	v_fma_f64 v[50:51], v[23:24], -v[25:26], v[50:51]
	v_fma_f64 v[56:57], v[46:47], v[56:57], s[36:37]
	s_delay_alu instid0(VALU_DEP_1) | instskip(NEXT) | instid1(VALU_DEP_1)
	v_fma_f64 v[56:57], v[46:47], v[56:57], s[38:39]
	v_fma_f64 v[56:57], v[46:47], v[56:57], s[40:41]
	s_delay_alu instid0(VALU_DEP_1) | instskip(NEXT) | instid1(VALU_DEP_1)
	v_fma_f64 v[56:57], v[60:61], v[56:57], v[58:59]
	v_fma_f64 v[25:26], v[46:47], v[56:57], -v[25:26]
	v_fma_f64 v[56:57], v[46:47], s[98:99], s[96:97]
	s_delay_alu instid0(VALU_DEP_2) | instskip(NEXT) | instid1(VALU_DEP_2)
	v_fma_f64 v[25:26], v[60:61], s[42:43], v[25:26]
	v_fma_f64 v[56:57], v[46:47], v[56:57], s[100:101]
	s_delay_alu instid0(VALU_DEP_2) | instskip(NEXT) | instid1(VALU_DEP_2)
	v_add_f64 v[23:24], v[23:24], -v[25:26]
	v_fma_f64 v[56:57], v[46:47], v[56:57], s[102:103]
	v_and_b32_e32 v25, 1, v27
	s_delay_alu instid0(VALU_DEP_1) | instskip(SKIP_1) | instid1(VALU_DEP_2)
	v_cmp_eq_u32_e64 s4, 0, v25
	v_and_b32_e32 v25, 0x80000000, v29
	v_cndmask_b32_e64 v3, v11, v3, s4
	v_cndmask_b32_e64 v2, v10, v2, s4
	s_delay_alu instid0(VALU_DEP_2) | instskip(NEXT) | instid1(VALU_DEP_2)
	v_xor_b32_e32 v3, v3, v25
	v_cndmask_b32_e32 v2, 0, v2, vcc_lo
	s_delay_alu instid0(VALU_DEP_2) | instskip(NEXT) | instid1(VALU_DEP_1)
	v_dual_cndmask_b32 v3, 0x7ff80000, v3 :: v_dual_and_b32 v26, 1, v28
	v_cmp_eq_u32_e64 s5, 0, v26
	v_xor_b32_e32 v24, 0x80000000, v24
	v_fma_f64 v[56:57], v[46:47], v[56:57], s[28:29]
	s_delay_alu instid0(VALU_DEP_1) | instskip(SKIP_1) | instid1(VALU_DEP_1)
	v_fma_f64 v[56:57], v[46:47], v[56:57], s[44:45]
	v_mul_f64 v[46:47], v[46:47], v[46:47]
	v_fma_f64 v[46:47], v[46:47], v[56:57], v[50:51]
	s_delay_alu instid0(VALU_DEP_1) | instskip(NEXT) | instid1(VALU_DEP_1)
	v_add_f64 v[12:13], v[52:53], v[46:47]
	v_cndmask_b32_e64 v10, v23, v12, s5
	v_lshlrev_b32_e32 v27, 30, v28
	s_delay_alu instid0(VALU_DEP_3) | instskip(NEXT) | instid1(VALU_DEP_2)
	v_cndmask_b32_e64 v13, v24, v13, s5
	v_dual_cndmask_b32 v10, 0, v10 :: v_dual_and_b32 v11, 0x80000000, v27
	s_delay_alu instid0(VALU_DEP_1) | instskip(NEXT) | instid1(VALU_DEP_1)
	v_xor_b32_e32 v11, v13, v11
	v_cndmask_b32_e32 v11, 0x7ff80000, v11, vcc_lo
	s_delay_alu instid0(VALU_DEP_1)
	v_mul_f64 v[10:11], v[2:3], v[10:11]
.LBB94_205:                             ;   in Loop: Header=BB94_161 Depth=1
	s_or_b32 exec_lo, exec_lo, s64
	s_delay_alu instid0(VALU_DEP_1) | instskip(SKIP_2) | instid1(VALU_DEP_3)
	v_bfi_b32 v23, 0x7fffffff, 0, v11
	v_add_co_u32 v4, vcc_lo, v4, 0
	v_add_co_ci_u32_e32 v5, vcc_lo, -2.0, v5, vcc_lo
	v_dual_mov_b32 v2, v22 :: v_dual_mov_b32 v3, v23
.LBB94_206:                             ;   in Loop: Header=BB94_161 Depth=1
	s_or_b32 exec_lo, exec_lo, s60
.LBB94_207:                             ;   in Loop: Header=BB94_161 Depth=1
	s_delay_alu instid0(SALU_CYCLE_1) | instskip(SKIP_3) | instid1(VALU_DEP_2)
	s_or_b32 exec_lo, exec_lo, s47
	v_xor_b32_e32 v13, 0x80000000, v21
	v_mov_b32_e32 v12, v20
	s_mov_b32 s4, exec_lo
	v_and_b32_e32 v10, 0x7fffffff, v13
	s_delay_alu instid0(VALU_DEP_1)
	v_cmpx_gt_u32_e32 0x7ff00000, v10
	s_xor_b32 s5, exec_lo, s4
	s_cbranch_execz .LBB94_229
; %bb.208:                              ;   in Loop: Header=BB94_161 Depth=1
	v_cmp_class_f64_e64 s4, v[18:19], 0x1f8
	s_delay_alu instid0(VALU_DEP_1) | instskip(NEXT) | instid1(SALU_CYCLE_1)
	s_and_saveexec_b32 s14, s4
	s_xor_b32 s47, exec_lo, s14
	s_cbranch_execz .LBB94_226
; %bb.209:                              ;   in Loop: Header=BB94_161 Depth=1
	s_mov_b32 s4, exec_lo
	v_cmpx_gt_u32_e32 0x40360000, v10
	s_xor_b32 s42, exec_lo, s4
	s_cbranch_execz .LBB94_215
; %bb.210:                              ;   in Loop: Header=BB94_161 Depth=1
	v_cmp_ngt_f64_e64 s4, 0x41d00000, |v[18:19]|
                                        ; implicit-def: $vgpr12
                                        ; implicit-def: $vgpr10_vgpr11
                                        ; implicit-def: $vgpr23_vgpr24
	s_delay_alu instid0(VALU_DEP_1) | instskip(NEXT) | instid1(SALU_CYCLE_1)
	s_and_saveexec_b32 s14, s4
	s_xor_b32 s4, exec_lo, s14
	s_cbranch_execz .LBB94_212
; %bb.211:                              ;   in Loop: Header=BB94_161 Depth=1
	v_ldexp_f64 v[10:11], |v[18:19]|, 0xffffff80
	v_cmp_le_f64_e64 vcc_lo, 0x7b000000, |v[18:19]|
	v_trig_preop_f64 v[23:24], |v[18:19]|, 0
	v_and_b32_e32 v12, 0x7fffffff, v19
	v_trig_preop_f64 v[27:28], |v[18:19]|, 1
	v_trig_preop_f64 v[48:49], |v[18:19]|, 2
	s_mov_b32 s14, s16
	s_mov_b32 s21, s19
	v_dual_cndmask_b32 v11, v12, v11 :: v_dual_cndmask_b32 v10, v18, v10
	s_delay_alu instid0(VALU_DEP_1) | instskip(NEXT) | instid1(VALU_DEP_4)
	v_mul_f64 v[25:26], v[23:24], v[10:11]
	v_mul_f64 v[46:47], v[27:28], v[10:11]
	s_delay_alu instid0(VALU_DEP_4) | instskip(NEXT) | instid1(VALU_DEP_3)
	v_mul_f64 v[50:51], v[48:49], v[10:11]
	v_fma_f64 v[23:24], v[23:24], v[10:11], -v[25:26]
	s_delay_alu instid0(VALU_DEP_3) | instskip(NEXT) | instid1(VALU_DEP_3)
	v_fma_f64 v[27:28], v[27:28], v[10:11], -v[46:47]
	v_fma_f64 v[10:11], v[48:49], v[10:11], -v[50:51]
	s_delay_alu instid0(VALU_DEP_3) | instskip(NEXT) | instid1(VALU_DEP_1)
	v_add_f64 v[48:49], v[46:47], v[23:24]
	v_add_f64 v[52:53], v[48:49], -v[46:47]
	s_delay_alu instid0(VALU_DEP_1) | instskip(SKIP_1) | instid1(VALU_DEP_1)
	v_add_f64 v[23:24], v[23:24], -v[52:53]
	v_add_f64 v[52:53], v[48:49], -v[52:53]
	;; [unrolled: 1-line block ×3, first 2 shown]
	v_add_f64 v[52:53], v[25:26], v[48:49]
	s_delay_alu instid0(VALU_DEP_2) | instskip(NEXT) | instid1(VALU_DEP_2)
	v_add_f64 v[23:24], v[23:24], v[46:47]
	v_add_f64 v[25:26], v[52:53], -v[25:26]
	v_add_f64 v[46:47], v[50:51], v[27:28]
	v_ldexp_f64 v[52:53], v[52:53], -2
	s_delay_alu instid0(VALU_DEP_3) | instskip(NEXT) | instid1(VALU_DEP_3)
	v_add_f64 v[25:26], v[48:49], -v[25:26]
	v_add_f64 v[48:49], v[46:47], -v[50:51]
	s_delay_alu instid0(VALU_DEP_3) | instskip(SKIP_1) | instid1(VALU_DEP_3)
	v_cmp_neq_f64_e64 vcc_lo, 0x7ff00000, |v[52:53]|
	v_fract_f64_e32 v[52:53], v[52:53]
	v_add_f64 v[27:28], v[27:28], -v[48:49]
	v_add_f64 v[48:49], v[46:47], -v[48:49]
	s_delay_alu instid0(VALU_DEP_3) | instskip(NEXT) | instid1(VALU_DEP_2)
	v_dual_cndmask_b32 v53, 0, v53 :: v_dual_cndmask_b32 v52, 0, v52
	v_add_f64 v[48:49], v[50:51], -v[48:49]
	v_add_f64 v[50:51], v[46:47], v[23:24]
	s_delay_alu instid0(VALU_DEP_2) | instskip(NEXT) | instid1(VALU_DEP_2)
	v_add_f64 v[27:28], v[27:28], v[48:49]
	v_add_f64 v[54:55], v[50:51], -v[46:47]
	v_add_f64 v[48:49], v[25:26], v[50:51]
	s_delay_alu instid0(VALU_DEP_2) | instskip(SKIP_1) | instid1(VALU_DEP_3)
	v_add_f64 v[23:24], v[23:24], -v[54:55]
	v_add_f64 v[54:55], v[50:51], -v[54:55]
	;; [unrolled: 1-line block ×3, first 2 shown]
	s_delay_alu instid0(VALU_DEP_2) | instskip(NEXT) | instid1(VALU_DEP_2)
	v_add_f64 v[46:47], v[46:47], -v[54:55]
	v_add_f64 v[25:26], v[50:51], -v[25:26]
	s_delay_alu instid0(VALU_DEP_2) | instskip(SKIP_1) | instid1(VALU_DEP_2)
	v_add_f64 v[23:24], v[23:24], v[46:47]
	v_ldexp_f64 v[46:47], v[52:53], 2
	v_add_f64 v[23:24], v[27:28], v[23:24]
	s_delay_alu instid0(VALU_DEP_2) | instskip(NEXT) | instid1(VALU_DEP_2)
	v_add_f64 v[52:53], v[48:49], v[46:47]
	v_add_f64 v[10:11], v[10:11], v[23:24]
	s_delay_alu instid0(VALU_DEP_2) | instskip(NEXT) | instid1(VALU_DEP_2)
	v_cmp_gt_f64_e32 vcc_lo, 0, v[52:53]
	v_add_f64 v[10:11], v[25:26], v[10:11]
	v_cndmask_b32_e64 v23, 0, 0x40100000, vcc_lo
	s_delay_alu instid0(VALU_DEP_1) | instskip(NEXT) | instid1(VALU_DEP_1)
	v_add_f64 v[23:24], v[46:47], v[22:23]
	v_add_f64 v[27:28], v[48:49], v[23:24]
	s_delay_alu instid0(VALU_DEP_1) | instskip(NEXT) | instid1(VALU_DEP_1)
	v_cvt_i32_f64_e32 v12, v[27:28]
	v_cvt_f64_i32_e32 v[27:28], v12
	s_delay_alu instid0(VALU_DEP_1) | instskip(NEXT) | instid1(VALU_DEP_1)
	v_add_f64 v[23:24], v[23:24], -v[27:28]
	v_add_f64 v[25:26], v[48:49], v[23:24]
	s_delay_alu instid0(VALU_DEP_1) | instskip(SKIP_1) | instid1(VALU_DEP_2)
	v_add_f64 v[23:24], v[25:26], -v[23:24]
	v_cmp_le_f64_e32 vcc_lo, 0.5, v[25:26]
	v_add_f64 v[27:28], v[48:49], -v[23:24]
	v_cndmask_b32_e64 v23, 0, 0x3ff00000, vcc_lo
	v_add_co_ci_u32_e32 v12, vcc_lo, 0, v12, vcc_lo
	s_delay_alu instid0(VALU_DEP_2) | instskip(NEXT) | instid1(VALU_DEP_4)
	v_add_f64 v[23:24], v[25:26], -v[22:23]
	v_add_f64 v[10:11], v[10:11], v[27:28]
	s_delay_alu instid0(VALU_DEP_1) | instskip(NEXT) | instid1(VALU_DEP_1)
	v_add_f64 v[25:26], v[23:24], v[10:11]
	v_add_f64 v[23:24], v[25:26], -v[23:24]
	s_delay_alu instid0(VALU_DEP_1) | instskip(SKIP_1) | instid1(VALU_DEP_1)
	v_add_f64 v[10:11], v[10:11], -v[23:24]
	v_mul_f64 v[23:24], v[25:26], s[14:15]
	v_fma_f64 v[27:28], v[25:26], s[14:15], -v[23:24]
	s_delay_alu instid0(VALU_DEP_1) | instskip(NEXT) | instid1(VALU_DEP_1)
	v_fma_f64 v[25:26], v[25:26], s[20:21], v[27:28]
	v_fma_f64 v[25:26], v[10:11], s[14:15], v[25:26]
	s_delay_alu instid0(VALU_DEP_1) | instskip(NEXT) | instid1(VALU_DEP_1)
	v_add_f64 v[10:11], v[23:24], v[25:26]
	v_add_f64 v[23:24], v[10:11], -v[23:24]
	s_delay_alu instid0(VALU_DEP_1)
	v_add_f64 v[23:24], v[25:26], -v[23:24]
.LBB94_212:                             ;   in Loop: Header=BB94_161 Depth=1
	s_and_not1_saveexec_b32 s4, s4
	s_cbranch_execz .LBB94_214
; %bb.213:                              ;   in Loop: Header=BB94_161 Depth=1
	v_mul_f64 v[10:11], |v[18:19]|, s[22:23]
	s_mov_b32 s18, s24
	s_delay_alu instid0(VALU_DEP_1) | instskip(NEXT) | instid1(VALU_DEP_1)
	v_rndne_f64_e32 v[25:26], v[10:11]
	v_fma_f64 v[10:11], v[25:26], s[16:17], |v[18:19]|
	v_mul_f64 v[23:24], v[25:26], s[24:25]
	v_cvt_i32_f64_e32 v12, v[25:26]
	s_delay_alu instid0(VALU_DEP_3) | instskip(NEXT) | instid1(VALU_DEP_3)
	v_fma_f64 v[46:47], v[25:26], s[24:25], v[10:11]
	v_add_f64 v[27:28], v[10:11], v[23:24]
	s_delay_alu instid0(VALU_DEP_1) | instskip(NEXT) | instid1(VALU_DEP_3)
	v_add_f64 v[10:11], v[10:11], -v[27:28]
	v_add_f64 v[27:28], v[27:28], -v[46:47]
	s_delay_alu instid0(VALU_DEP_2) | instskip(SKIP_1) | instid1(VALU_DEP_2)
	v_add_f64 v[10:11], v[10:11], v[23:24]
	v_fma_f64 v[23:24], v[25:26], s[18:19], v[23:24]
	v_add_f64 v[10:11], v[27:28], v[10:11]
	s_delay_alu instid0(VALU_DEP_1) | instskip(NEXT) | instid1(VALU_DEP_1)
	v_add_f64 v[10:11], v[10:11], -v[23:24]
	v_fma_f64 v[23:24], v[25:26], s[26:27], v[10:11]
	s_delay_alu instid0(VALU_DEP_1) | instskip(NEXT) | instid1(VALU_DEP_1)
	v_add_f64 v[10:11], v[46:47], v[23:24]
	v_add_f64 v[27:28], v[10:11], -v[46:47]
	s_delay_alu instid0(VALU_DEP_1)
	v_add_f64 v[23:24], v[23:24], -v[27:28]
.LBB94_214:                             ;   in Loop: Header=BB94_161 Depth=1
	s_or_b32 exec_lo, exec_lo, s4
	v_add_f64 v[25:26], |v[20:21]|, s[58:59]
	s_mov_b32 s60, s58
	s_mov_b32 s64, s66
	s_mov_b32 s69, s59
	s_mov_b32 s87, s41
	s_mov_b32 s89, s45
	v_cmp_nge_f64_e64 vcc_lo, |v[20:21]|, s[94:95]
	v_cmp_gt_f64_e64 s4, 0x3e400000, |v[20:21]|
	s_mov_b32 s50, 0xa9a29f71
	s_mov_b32 s52, 0xc751c08c
	;; [unrolled: 1-line block ×4, first 2 shown]
	v_and_b32_e32 v12, 1, v12
	s_delay_alu instid0(VALU_DEP_4) | instskip(NEXT) | instid1(VALU_DEP_1)
	v_add_f64 v[27:28], v[25:26], -|v[20:21]|
	v_add_f64 v[46:47], v[27:28], -v[25:26]
	v_add_f64 v[27:28], v[27:28], s[60:61]
	s_delay_alu instid0(VALU_DEP_2) | instskip(NEXT) | instid1(VALU_DEP_1)
	v_add_f64 v[46:47], |v[20:21]|, v[46:47]
	v_add_f64 v[27:28], v[46:47], -v[27:28]
	s_delay_alu instid0(VALU_DEP_1) | instskip(NEXT) | instid1(VALU_DEP_1)
	v_add_f64 v[27:28], v[27:28], s[62:63]
	v_add_f64 v[46:47], v[25:26], v[27:28]
	s_delay_alu instid0(VALU_DEP_1) | instskip(NEXT) | instid1(VALU_DEP_1)
	v_add_f64 v[25:26], v[25:26], -v[46:47]
	v_add_f64 v[25:26], v[27:28], v[25:26]
	v_mul_f64 v[27:28], v[46:47], s[64:65]
	s_delay_alu instid0(VALU_DEP_1) | instskip(NEXT) | instid1(VALU_DEP_1)
	v_rndne_f64_e32 v[27:28], v[27:28]
	v_fma_f64 v[46:47], v[27:28], s[68:69], v[46:47]
	v_cvt_i32_f64_e32 v18, v[27:28]
	s_delay_alu instid0(VALU_DEP_2) | instskip(NEXT) | instid1(VALU_DEP_1)
	v_add_f64 v[48:49], v[25:26], v[46:47]
	v_add_f64 v[46:47], v[46:47], -v[48:49]
	s_delay_alu instid0(VALU_DEP_1) | instskip(SKIP_1) | instid1(VALU_DEP_1)
	v_add_f64 v[25:26], v[25:26], v[46:47]
	v_mul_f64 v[46:47], v[27:28], s[70:71]
	v_add_f64 v[50:51], v[48:49], v[46:47]
	s_delay_alu instid0(VALU_DEP_1) | instskip(NEXT) | instid1(VALU_DEP_1)
	v_add_f64 v[48:49], v[48:49], -v[50:51]
	v_add_f64 v[46:47], v[48:49], v[46:47]
	s_delay_alu instid0(VALU_DEP_1) | instskip(NEXT) | instid1(VALU_DEP_1)
	v_add_f64 v[25:26], v[25:26], v[46:47]
	v_add_f64 v[46:47], v[50:51], v[25:26]
	s_delay_alu instid0(VALU_DEP_1) | instskip(NEXT) | instid1(VALU_DEP_1)
	v_add_f64 v[48:49], v[50:51], -v[46:47]
	v_add_f64 v[25:26], v[25:26], v[48:49]
	v_mul_f64 v[48:49], v[27:28], s[72:73]
	s_delay_alu instid0(VALU_DEP_1) | instskip(NEXT) | instid1(VALU_DEP_1)
	v_add_f64 v[50:51], v[46:47], v[48:49]
	v_add_f64 v[46:47], v[46:47], -v[50:51]
	s_delay_alu instid0(VALU_DEP_1) | instskip(NEXT) | instid1(VALU_DEP_1)
	v_add_f64 v[46:47], v[46:47], v[48:49]
	v_add_f64 v[25:26], v[25:26], v[46:47]
	s_delay_alu instid0(VALU_DEP_1) | instskip(NEXT) | instid1(VALU_DEP_1)
	v_add_f64 v[46:47], v[50:51], v[25:26]
	v_add_f64 v[48:49], v[50:51], -v[46:47]
	s_delay_alu instid0(VALU_DEP_1) | instskip(SKIP_1) | instid1(VALU_DEP_2)
	v_add_f64 v[25:26], v[25:26], v[48:49]
	v_mul_f64 v[48:49], v[46:47], v[46:47]
	v_add_f64 v[52:53], v[25:26], v[25:26]
	s_delay_alu instid0(VALU_DEP_2) | instskip(NEXT) | instid1(VALU_DEP_1)
	v_fma_f64 v[50:51], v[46:47], v[46:47], -v[48:49]
	v_fma_f64 v[50:51], v[46:47], v[52:53], v[50:51]
	s_delay_alu instid0(VALU_DEP_1) | instskip(NEXT) | instid1(VALU_DEP_1)
	v_add_f64 v[52:53], v[48:49], v[50:51]
	v_add_f64 v[48:49], v[52:53], -v[48:49]
	s_delay_alu instid0(VALU_DEP_1) | instskip(SKIP_1) | instid1(VALU_DEP_1)
	v_add_f64 v[48:49], v[50:51], -v[48:49]
	v_fma_f64 v[50:51], v[46:47], s[76:77], s[74:75]
	v_fma_f64 v[50:51], v[46:47], v[50:51], s[78:79]
	s_delay_alu instid0(VALU_DEP_1) | instskip(NEXT) | instid1(VALU_DEP_1)
	v_fma_f64 v[50:51], v[46:47], v[50:51], s[80:81]
	v_fma_f64 v[50:51], v[46:47], v[50:51], s[82:83]
	s_delay_alu instid0(VALU_DEP_1) | instskip(NEXT) | instid1(VALU_DEP_1)
	;; [unrolled: 3-line block ×4, first 2 shown]
	v_fma_f64 v[50:51], v[46:47], v[50:51], s[92:93]
	v_mul_f64 v[54:55], v[52:53], v[50:51]
	s_delay_alu instid0(VALU_DEP_1) | instskip(NEXT) | instid1(VALU_DEP_1)
	v_fma_f64 v[52:53], v[52:53], v[50:51], -v[54:55]
	v_fma_f64 v[48:49], v[48:49], v[50:51], v[52:53]
	s_delay_alu instid0(VALU_DEP_1) | instskip(NEXT) | instid1(VALU_DEP_1)
	v_add_f64 v[50:51], v[54:55], v[48:49]
	v_add_f64 v[52:53], v[50:51], -v[54:55]
	s_delay_alu instid0(VALU_DEP_1) | instskip(SKIP_1) | instid1(VALU_DEP_2)
	v_add_f64 v[48:49], v[48:49], -v[52:53]
	v_add_f64 v[52:53], v[46:47], v[50:51]
	v_add_f64 v[25:26], v[25:26], v[48:49]
	s_delay_alu instid0(VALU_DEP_2) | instskip(NEXT) | instid1(VALU_DEP_1)
	v_add_f64 v[46:47], v[52:53], -v[46:47]
	v_add_f64 v[46:47], v[50:51], -v[46:47]
	s_delay_alu instid0(VALU_DEP_1) | instskip(NEXT) | instid1(VALU_DEP_1)
	v_add_f64 v[25:26], v[25:26], v[46:47]
	v_add_f64 v[46:47], v[52:53], v[25:26]
	s_delay_alu instid0(VALU_DEP_1) | instskip(NEXT) | instid1(VALU_DEP_1)
	v_add_f64 v[48:49], v[46:47], -v[52:53]
	v_add_f64 v[25:26], v[25:26], -v[48:49]
	v_add_f64 v[48:49], v[46:47], 1.0
	s_delay_alu instid0(VALU_DEP_1) | instskip(NEXT) | instid1(VALU_DEP_1)
	v_add_f64 v[50:51], v[48:49], -1.0
	v_add_f64 v[46:47], v[46:47], -v[50:51]
	s_delay_alu instid0(VALU_DEP_1) | instskip(NEXT) | instid1(VALU_DEP_1)
	v_add_f64 v[25:26], v[25:26], v[46:47]
	v_add_f64 v[27:28], v[48:49], v[25:26]
	s_delay_alu instid0(VALU_DEP_1) | instskip(SKIP_1) | instid1(VALU_DEP_2)
	v_add_f64 v[46:47], v[27:28], -v[48:49]
	v_ldexp_f64 v[27:28], v[27:28], v18
	v_add_f64 v[25:26], v[25:26], -v[46:47]
	s_delay_alu instid0(VALU_DEP_2) | instskip(NEXT) | instid1(VALU_DEP_1)
	v_rcp_f64_e32 v[48:49], v[27:28]
	v_ldexp_f64 v[25:26], v[25:26], v18
	v_and_b32_e32 v18, 0x7fffffff, v21
	s_waitcnt_depctr 0xfff
	v_fma_f64 v[50:51], -v[27:28], v[48:49], 1.0
	s_delay_alu instid0(VALU_DEP_1) | instskip(NEXT) | instid1(VALU_DEP_1)
	v_fma_f64 v[48:49], v[50:51], v[48:49], v[48:49]
	v_fma_f64 v[46:47], -v[27:28], v[48:49], 1.0
	s_delay_alu instid0(VALU_DEP_1) | instskip(NEXT) | instid1(VALU_DEP_1)
	v_fma_f64 v[46:47], v[46:47], v[48:49], v[48:49]
	v_mul_f64 v[48:49], v[27:28], v[46:47]
	s_delay_alu instid0(VALU_DEP_1) | instskip(NEXT) | instid1(VALU_DEP_1)
	v_fma_f64 v[50:51], v[46:47], v[27:28], -v[48:49]
	v_fma_f64 v[50:51], v[46:47], v[25:26], v[50:51]
	s_delay_alu instid0(VALU_DEP_1) | instskip(NEXT) | instid1(VALU_DEP_1)
	v_add_f64 v[52:53], v[48:49], v[50:51]
	v_add_f64 v[48:49], v[52:53], -v[48:49]
	s_delay_alu instid0(VALU_DEP_1) | instskip(SKIP_1) | instid1(VALU_DEP_1)
	v_add_f64 v[48:49], v[48:49], -v[50:51]
	v_add_f64 v[50:51], -v[52:53], 1.0
	v_add_f64 v[54:55], -v[50:51], 1.0
	s_delay_alu instid0(VALU_DEP_1) | instskip(NEXT) | instid1(VALU_DEP_1)
	v_add_f64 v[52:53], v[54:55], -v[52:53]
	v_add_f64 v[48:49], v[48:49], v[52:53]
	s_delay_alu instid0(VALU_DEP_1) | instskip(NEXT) | instid1(VALU_DEP_1)
	v_add_f64 v[52:53], v[50:51], v[48:49]
	v_add_f64 v[50:51], v[50:51], -v[52:53]
	s_delay_alu instid0(VALU_DEP_1) | instskip(SKIP_1) | instid1(VALU_DEP_1)
	v_add_f64 v[48:49], v[48:49], v[50:51]
	v_mul_f64 v[50:51], v[46:47], v[52:53]
	v_mul_f64 v[54:55], v[27:28], v[50:51]
	s_delay_alu instid0(VALU_DEP_1) | instskip(NEXT) | instid1(VALU_DEP_1)
	v_fma_f64 v[56:57], v[50:51], v[27:28], -v[54:55]
	v_fma_f64 v[56:57], v[50:51], v[25:26], v[56:57]
	s_delay_alu instid0(VALU_DEP_1) | instskip(NEXT) | instid1(VALU_DEP_1)
	v_add_f64 v[58:59], v[54:55], v[56:57]
	v_add_f64 v[60:61], v[52:53], -v[58:59]
	v_add_f64 v[54:55], v[58:59], -v[54:55]
	s_delay_alu instid0(VALU_DEP_2) | instskip(NEXT) | instid1(VALU_DEP_2)
	v_add_f64 v[52:53], v[52:53], -v[60:61]
	v_add_f64 v[54:55], v[54:55], -v[56:57]
	s_delay_alu instid0(VALU_DEP_2) | instskip(NEXT) | instid1(VALU_DEP_1)
	v_add_f64 v[52:53], v[52:53], -v[58:59]
	v_add_f64 v[48:49], v[48:49], v[52:53]
	v_add_f64 v[52:53], v[46:47], v[50:51]
	s_delay_alu instid0(VALU_DEP_2) | instskip(NEXT) | instid1(VALU_DEP_2)
	v_add_f64 v[48:49], v[54:55], v[48:49]
	v_add_f64 v[54:55], v[52:53], -v[46:47]
	s_delay_alu instid0(VALU_DEP_2) | instskip(NEXT) | instid1(VALU_DEP_2)
	v_add_f64 v[48:49], v[60:61], v[48:49]
	v_add_f64 v[50:51], v[50:51], -v[54:55]
	s_delay_alu instid0(VALU_DEP_2) | instskip(NEXT) | instid1(VALU_DEP_1)
	v_mul_f64 v[46:47], v[46:47], v[48:49]
	v_add_f64 v[46:47], v[50:51], v[46:47]
	s_delay_alu instid0(VALU_DEP_1) | instskip(NEXT) | instid1(VALU_DEP_1)
	v_add_f64 v[48:49], v[52:53], v[46:47]
	v_add_f64 v[50:51], v[48:49], -v[52:53]
	v_ldexp_f64 v[48:49], v[48:49], -2
	s_delay_alu instid0(VALU_DEP_2) | instskip(NEXT) | instid1(VALU_DEP_2)
	v_add_f64 v[46:47], v[46:47], -v[50:51]
	v_add_f64 v[52:53], v[27:28], -v[48:49]
	s_delay_alu instid0(VALU_DEP_1) | instskip(NEXT) | instid1(VALU_DEP_1)
	v_add_f64 v[27:28], v[27:28], -v[52:53]
	v_add_f64 v[27:28], v[27:28], -v[48:49]
	s_delay_alu instid0(VALU_DEP_1) | instskip(SKIP_1) | instid1(VALU_DEP_1)
	v_add_f64 v[25:26], v[25:26], v[27:28]
	v_ldexp_f64 v[27:28], v[46:47], -2
	v_add_f64 v[25:26], v[25:26], -v[27:28]
	s_delay_alu instid0(VALU_DEP_1) | instskip(NEXT) | instid1(VALU_DEP_1)
	v_add_f64 v[25:26], v[52:53], v[25:26]
	v_cndmask_b32_e32 v21, 0x7ff00000, v26, vcc_lo
	s_delay_alu instid0(VALU_DEP_1) | instskip(NEXT) | instid1(VALU_DEP_1)
	v_cndmask_b32_e64 v18, v21, v18, s4
	v_bfi_b32 v21, 0x7fffffff, v18, v13
	s_delay_alu instid0(VALU_DEP_4) | instskip(NEXT) | instid1(VALU_DEP_1)
	v_cndmask_b32_e32 v13, 0, v25, vcc_lo
	v_cndmask_b32_e64 v20, v13, v20, s4
	v_cmp_eq_u32_e64 s4, 0, v12
	s_delay_alu instid0(VALU_DEP_2) | instskip(NEXT) | instid1(VALU_DEP_1)
	v_fma_f64 v[25:26], v[20:21], v[20:21], 1.0
	v_cmp_gt_f64_e32 vcc_lo, 0x10000000, v[25:26]
	v_cndmask_b32_e64 v13, 0, 1, vcc_lo
	v_cndmask_b32_e64 v12, 0, 0xffffff80, vcc_lo
	s_delay_alu instid0(VALU_DEP_2) | instskip(NEXT) | instid1(VALU_DEP_1)
	v_lshlrev_b32_e32 v13, 8, v13
	v_ldexp_f64 v[25:26], v[25:26], v13
	s_delay_alu instid0(VALU_DEP_1)
	v_rsq_f64_e32 v[27:28], v[25:26]
	v_cmp_class_f64_e64 vcc_lo, v[25:26], 0x260
	v_and_b32_e32 v13, 0x80000000, v19
	v_mul_f64 v[18:19], v[10:11], v[10:11]
	s_waitcnt_depctr 0xfff
	v_mul_f64 v[46:47], v[25:26], v[27:28]
	v_mul_f64 v[27:28], v[27:28], 0.5
	s_delay_alu instid0(VALU_DEP_1) | instskip(NEXT) | instid1(VALU_DEP_1)
	v_fma_f64 v[48:49], -v[27:28], v[46:47], 0.5
	v_fma_f64 v[46:47], v[46:47], v[48:49], v[46:47]
	v_fma_f64 v[27:28], v[27:28], v[48:49], v[27:28]
	s_delay_alu instid0(VALU_DEP_2) | instskip(NEXT) | instid1(VALU_DEP_1)
	v_fma_f64 v[48:49], -v[46:47], v[46:47], v[25:26]
	v_fma_f64 v[46:47], v[48:49], v[27:28], v[46:47]
	s_delay_alu instid0(VALU_DEP_1) | instskip(NEXT) | instid1(VALU_DEP_1)
	v_fma_f64 v[48:49], -v[46:47], v[46:47], v[25:26]
	v_fma_f64 v[27:28], v[48:49], v[27:28], v[46:47]
	v_add_f64 v[46:47], v[23:24], v[23:24]
	v_fma_f64 v[48:49], v[10:11], v[10:11], -v[18:19]
	s_delay_alu instid0(VALU_DEP_1) | instskip(NEXT) | instid1(VALU_DEP_1)
	v_fma_f64 v[46:47], v[10:11], v[46:47], v[48:49]
	v_add_f64 v[18:19], v[18:19], v[46:47]
	s_delay_alu instid0(VALU_DEP_1)
	v_fma_f64 v[46:47], v[18:19], s[52:53], s[50:51]
	s_mov_b32 s50, 0x90a8aae0
	s_mov_b32 s51, 0x3f17746f
	s_delay_alu instid0(VALU_DEP_1) | instid1(SALU_CYCLE_1)
	v_fma_f64 v[46:47], v[18:19], v[46:47], s[50:51]
	s_mov_b32 s50, 0xa6fbf144
	s_mov_b32 s51, 0xbefbb44d
	s_delay_alu instid0(VALU_DEP_1) | instid1(SALU_CYCLE_1)
	;; [unrolled: 4-line block ×10, first 2 shown]
	v_fma_f64 v[46:47], v[18:19], v[46:47], s[50:51]
	s_delay_alu instid0(VALU_DEP_1) | instskip(NEXT) | instid1(VALU_DEP_1)
	v_fma_f64 v[46:47], v[18:19], v[46:47], s[54:55]
	v_fma_f64 v[46:47], v[18:19], v[46:47], s[56:57]
	s_delay_alu instid0(VALU_DEP_1) | instskip(NEXT) | instid1(VALU_DEP_1)
	v_mul_f64 v[18:19], v[18:19], v[46:47]
	v_mul_f64 v[46:47], v[10:11], v[18:19]
	s_delay_alu instid0(VALU_DEP_1) | instskip(NEXT) | instid1(VALU_DEP_1)
	v_fma_f64 v[18:19], v[10:11], v[18:19], -v[46:47]
	v_add_f64 v[18:19], v[23:24], v[18:19]
	v_add_f64 v[23:24], v[10:11], v[46:47]
	s_delay_alu instid0(VALU_DEP_1) | instskip(NEXT) | instid1(VALU_DEP_1)
	v_add_f64 v[10:11], v[23:24], -v[10:11]
	v_add_f64 v[10:11], v[46:47], -v[10:11]
	s_delay_alu instid0(VALU_DEP_1) | instskip(NEXT) | instid1(VALU_DEP_1)
	v_add_f64 v[10:11], v[18:19], v[10:11]
	v_add_f64 v[18:19], v[23:24], v[10:11]
	s_delay_alu instid0(VALU_DEP_1) | instskip(SKIP_1) | instid1(VALU_DEP_1)
	v_rcp_f64_e32 v[46:47], v[18:19]
	v_add_f64 v[23:24], v[18:19], -v[23:24]
	v_add_f64 v[10:11], v[10:11], -v[23:24]
	s_waitcnt_depctr 0xfff
	v_fma_f64 v[48:49], -v[18:19], v[46:47], 1.0
	s_delay_alu instid0(VALU_DEP_1) | instskip(NEXT) | instid1(VALU_DEP_1)
	v_fma_f64 v[46:47], v[48:49], v[46:47], v[46:47]
	v_fma_f64 v[48:49], -v[18:19], v[46:47], 1.0
	s_delay_alu instid0(VALU_DEP_1) | instskip(NEXT) | instid1(VALU_DEP_1)
	v_fma_f64 v[46:47], v[48:49], v[46:47], v[46:47]
	v_mul_f64 v[23:24], v[18:19], v[46:47]
	s_delay_alu instid0(VALU_DEP_1) | instskip(NEXT) | instid1(VALU_DEP_1)
	v_fma_f64 v[48:49], v[46:47], v[18:19], -v[23:24]
	v_fma_f64 v[10:11], v[46:47], v[10:11], v[48:49]
	s_delay_alu instid0(VALU_DEP_1) | instskip(NEXT) | instid1(VALU_DEP_1)
	v_add_f64 v[48:49], v[23:24], v[10:11]
	v_add_f64 v[23:24], v[48:49], -v[23:24]
	s_delay_alu instid0(VALU_DEP_1) | instskip(SKIP_1) | instid1(VALU_DEP_1)
	v_add_f64 v[10:11], v[23:24], -v[10:11]
	v_add_f64 v[23:24], -v[48:49], 1.0
	v_add_f64 v[50:51], -v[23:24], 1.0
	s_delay_alu instid0(VALU_DEP_1) | instskip(NEXT) | instid1(VALU_DEP_1)
	v_add_f64 v[48:49], v[50:51], -v[48:49]
	v_add_f64 v[10:11], v[10:11], v[48:49]
	s_delay_alu instid0(VALU_DEP_1) | instskip(NEXT) | instid1(VALU_DEP_1)
	v_add_f64 v[10:11], v[23:24], v[10:11]
	v_mul_f64 v[10:11], v[46:47], v[10:11]
	s_delay_alu instid0(VALU_DEP_1) | instskip(NEXT) | instid1(VALU_DEP_1)
	v_add_f64 v[10:11], v[46:47], v[10:11]
	v_xor_b32_e32 v11, 0x80000000, v11
	s_delay_alu instid0(VALU_DEP_2) | instskip(NEXT) | instid1(VALU_DEP_2)
	v_cndmask_b32_e64 v10, v10, v18, s4
	v_cndmask_b32_e64 v11, v11, v19, s4
	s_delay_alu instid0(VALU_DEP_1) | instskip(SKIP_1) | instid1(VALU_DEP_2)
	v_xor_b32_e32 v11, v11, v13
	v_ldexp_f64 v[12:13], v[27:28], v12
	v_fma_f64 v[18:19], v[10:11], v[10:11], 1.0
	s_delay_alu instid0(VALU_DEP_2) | instskip(NEXT) | instid1(VALU_DEP_2)
	v_dual_cndmask_b32 v12, v12, v25 :: v_dual_cndmask_b32 v13, v13, v26
	v_mul_f64 v[23:24], v[20:21], v[18:19]
	s_delay_alu instid0(VALU_DEP_2) | instskip(NEXT) | instid1(VALU_DEP_2)
	v_mul_f64 v[12:13], v[12:13], v[18:19]
	v_fma_f64 v[18:19], v[20:21], v[23:24], 1.0
	s_delay_alu instid0(VALU_DEP_2) | instskip(NEXT) | instid1(VALU_DEP_1)
	v_mul_f64 v[12:13], v[20:21], v[12:13]
	v_div_scale_f64 v[20:21], null, v[18:19], v[18:19], v[12:13]
	s_delay_alu instid0(VALU_DEP_1) | instskip(SKIP_2) | instid1(VALU_DEP_1)
	v_rcp_f64_e32 v[23:24], v[20:21]
	s_waitcnt_depctr 0xfff
	v_fma_f64 v[25:26], -v[20:21], v[23:24], 1.0
	v_fma_f64 v[23:24], v[23:24], v[25:26], v[23:24]
	s_delay_alu instid0(VALU_DEP_1) | instskip(NEXT) | instid1(VALU_DEP_1)
	v_fma_f64 v[25:26], -v[20:21], v[23:24], 1.0
	v_fma_f64 v[23:24], v[23:24], v[25:26], v[23:24]
	v_div_scale_f64 v[25:26], vcc_lo, v[12:13], v[18:19], v[12:13]
	s_delay_alu instid0(VALU_DEP_1) | instskip(NEXT) | instid1(VALU_DEP_1)
	v_mul_f64 v[27:28], v[25:26], v[23:24]
	v_fma_f64 v[20:21], -v[20:21], v[27:28], v[25:26]
	s_delay_alu instid0(VALU_DEP_1) | instskip(SKIP_1) | instid1(VALU_DEP_2)
	v_div_fmas_f64 v[20:21], v[20:21], v[23:24], v[27:28]
	v_div_scale_f64 v[23:24], null, v[18:19], v[18:19], v[10:11]
	v_div_fixup_f64 v[12:13], v[20:21], v[18:19], v[12:13]
	s_delay_alu instid0(VALU_DEP_2) | instskip(SKIP_2) | instid1(VALU_DEP_1)
	v_rcp_f64_e32 v[25:26], v[23:24]
	s_waitcnt_depctr 0xfff
	v_fma_f64 v[27:28], -v[23:24], v[25:26], 1.0
	v_fma_f64 v[25:26], v[25:26], v[27:28], v[25:26]
	s_delay_alu instid0(VALU_DEP_1) | instskip(NEXT) | instid1(VALU_DEP_1)
	v_fma_f64 v[27:28], -v[23:24], v[25:26], 1.0
	v_fma_f64 v[25:26], v[25:26], v[27:28], v[25:26]
	v_div_scale_f64 v[27:28], vcc_lo, v[10:11], v[18:19], v[10:11]
	s_delay_alu instid0(VALU_DEP_1) | instskip(NEXT) | instid1(VALU_DEP_1)
	v_mul_f64 v[46:47], v[27:28], v[25:26]
	v_fma_f64 v[23:24], -v[23:24], v[46:47], v[27:28]
	s_delay_alu instid0(VALU_DEP_1) | instskip(NEXT) | instid1(VALU_DEP_1)
	v_div_fmas_f64 v[23:24], v[23:24], v[25:26], v[46:47]
	v_div_fixup_f64 v[10:11], v[23:24], v[18:19], v[10:11]
                                        ; implicit-def: $vgpr18_vgpr19
.LBB94_215:                             ;   in Loop: Header=BB94_161 Depth=1
	s_and_not1_saveexec_b32 s60, s42
	s_cbranch_execz .LBB94_225
; %bb.216:                              ;   in Loop: Header=BB94_161 Depth=1
	v_cmp_ngt_f64_e64 s4, 0x41d00000, |v[18:19]|
                                        ; implicit-def: $vgpr12
                                        ; implicit-def: $vgpr10_vgpr11
                                        ; implicit-def: $vgpr24_vgpr25
	s_delay_alu instid0(VALU_DEP_1) | instskip(NEXT) | instid1(SALU_CYCLE_1)
	s_and_saveexec_b32 s14, s4
	s_xor_b32 s18, exec_lo, s14
	s_cbranch_execz .LBB94_218
; %bb.217:                              ;   in Loop: Header=BB94_161 Depth=1
	v_ldexp_f64 v[10:11], |v[18:19]|, 0xffffff80
	v_cmp_le_f64_e64 vcc_lo, 0x7b000000, |v[18:19]|
	v_trig_preop_f64 v[23:24], |v[18:19]|, 0
	v_and_b32_e32 v12, 0x7fffffff, v19
	v_trig_preop_f64 v[27:28], |v[18:19]|, 1
	v_trig_preop_f64 v[48:49], |v[18:19]|, 2
	s_mov_b32 s14, s16
	s_mov_b32 s21, s19
	v_dual_cndmask_b32 v11, v12, v11 :: v_dual_cndmask_b32 v10, v18, v10
	s_delay_alu instid0(VALU_DEP_1) | instskip(NEXT) | instid1(VALU_DEP_4)
	v_mul_f64 v[25:26], v[23:24], v[10:11]
	v_mul_f64 v[46:47], v[27:28], v[10:11]
	s_delay_alu instid0(VALU_DEP_4) | instskip(NEXT) | instid1(VALU_DEP_3)
	v_mul_f64 v[50:51], v[48:49], v[10:11]
	v_fma_f64 v[23:24], v[23:24], v[10:11], -v[25:26]
	s_delay_alu instid0(VALU_DEP_3) | instskip(NEXT) | instid1(VALU_DEP_3)
	v_fma_f64 v[27:28], v[27:28], v[10:11], -v[46:47]
	v_fma_f64 v[10:11], v[48:49], v[10:11], -v[50:51]
	s_delay_alu instid0(VALU_DEP_3) | instskip(NEXT) | instid1(VALU_DEP_1)
	v_add_f64 v[48:49], v[46:47], v[23:24]
	v_add_f64 v[52:53], v[48:49], -v[46:47]
	s_delay_alu instid0(VALU_DEP_1) | instskip(SKIP_1) | instid1(VALU_DEP_1)
	v_add_f64 v[23:24], v[23:24], -v[52:53]
	v_add_f64 v[52:53], v[48:49], -v[52:53]
	;; [unrolled: 1-line block ×3, first 2 shown]
	v_add_f64 v[52:53], v[25:26], v[48:49]
	s_delay_alu instid0(VALU_DEP_2) | instskip(NEXT) | instid1(VALU_DEP_2)
	v_add_f64 v[23:24], v[23:24], v[46:47]
	v_add_f64 v[25:26], v[52:53], -v[25:26]
	v_add_f64 v[46:47], v[50:51], v[27:28]
	v_ldexp_f64 v[52:53], v[52:53], -2
	s_delay_alu instid0(VALU_DEP_3) | instskip(NEXT) | instid1(VALU_DEP_3)
	v_add_f64 v[25:26], v[48:49], -v[25:26]
	v_add_f64 v[48:49], v[46:47], -v[50:51]
	s_delay_alu instid0(VALU_DEP_3) | instskip(SKIP_1) | instid1(VALU_DEP_3)
	v_cmp_neq_f64_e64 vcc_lo, 0x7ff00000, |v[52:53]|
	v_fract_f64_e32 v[52:53], v[52:53]
	v_add_f64 v[27:28], v[27:28], -v[48:49]
	v_add_f64 v[48:49], v[46:47], -v[48:49]
	s_delay_alu instid0(VALU_DEP_3) | instskip(NEXT) | instid1(VALU_DEP_2)
	v_dual_cndmask_b32 v53, 0, v53 :: v_dual_cndmask_b32 v52, 0, v52
	v_add_f64 v[48:49], v[50:51], -v[48:49]
	v_add_f64 v[50:51], v[46:47], v[23:24]
	s_delay_alu instid0(VALU_DEP_2) | instskip(NEXT) | instid1(VALU_DEP_2)
	v_add_f64 v[27:28], v[27:28], v[48:49]
	v_add_f64 v[54:55], v[50:51], -v[46:47]
	v_add_f64 v[48:49], v[25:26], v[50:51]
	s_delay_alu instid0(VALU_DEP_2) | instskip(SKIP_1) | instid1(VALU_DEP_3)
	v_add_f64 v[23:24], v[23:24], -v[54:55]
	v_add_f64 v[54:55], v[50:51], -v[54:55]
	v_add_f64 v[25:26], v[48:49], -v[25:26]
	s_delay_alu instid0(VALU_DEP_2) | instskip(NEXT) | instid1(VALU_DEP_2)
	v_add_f64 v[46:47], v[46:47], -v[54:55]
	v_add_f64 v[25:26], v[50:51], -v[25:26]
	s_delay_alu instid0(VALU_DEP_2) | instskip(SKIP_1) | instid1(VALU_DEP_2)
	v_add_f64 v[23:24], v[23:24], v[46:47]
	v_ldexp_f64 v[46:47], v[52:53], 2
	v_add_f64 v[23:24], v[27:28], v[23:24]
	s_delay_alu instid0(VALU_DEP_2) | instskip(NEXT) | instid1(VALU_DEP_2)
	v_add_f64 v[52:53], v[48:49], v[46:47]
	v_add_f64 v[10:11], v[10:11], v[23:24]
	s_delay_alu instid0(VALU_DEP_2) | instskip(NEXT) | instid1(VALU_DEP_2)
	v_cmp_gt_f64_e32 vcc_lo, 0, v[52:53]
	v_add_f64 v[10:11], v[25:26], v[10:11]
	v_cndmask_b32_e64 v23, 0, 0x40100000, vcc_lo
	s_delay_alu instid0(VALU_DEP_1) | instskip(NEXT) | instid1(VALU_DEP_1)
	v_add_f64 v[23:24], v[46:47], v[22:23]
	v_add_f64 v[27:28], v[48:49], v[23:24]
	s_delay_alu instid0(VALU_DEP_1) | instskip(NEXT) | instid1(VALU_DEP_1)
	v_cvt_i32_f64_e32 v12, v[27:28]
	v_cvt_f64_i32_e32 v[27:28], v12
	s_delay_alu instid0(VALU_DEP_1) | instskip(NEXT) | instid1(VALU_DEP_1)
	v_add_f64 v[23:24], v[23:24], -v[27:28]
	v_add_f64 v[25:26], v[48:49], v[23:24]
	s_delay_alu instid0(VALU_DEP_1) | instskip(SKIP_1) | instid1(VALU_DEP_2)
	v_add_f64 v[23:24], v[25:26], -v[23:24]
	v_cmp_le_f64_e32 vcc_lo, 0.5, v[25:26]
	v_add_f64 v[27:28], v[48:49], -v[23:24]
	v_cndmask_b32_e64 v23, 0, 0x3ff00000, vcc_lo
	v_add_co_ci_u32_e32 v12, vcc_lo, 0, v12, vcc_lo
	s_delay_alu instid0(VALU_DEP_2) | instskip(NEXT) | instid1(VALU_DEP_4)
	v_add_f64 v[23:24], v[25:26], -v[22:23]
	v_add_f64 v[10:11], v[10:11], v[27:28]
	s_delay_alu instid0(VALU_DEP_1) | instskip(NEXT) | instid1(VALU_DEP_1)
	v_add_f64 v[25:26], v[23:24], v[10:11]
	v_add_f64 v[23:24], v[25:26], -v[23:24]
	s_delay_alu instid0(VALU_DEP_1) | instskip(SKIP_1) | instid1(VALU_DEP_1)
	v_add_f64 v[10:11], v[10:11], -v[23:24]
	v_mul_f64 v[23:24], v[25:26], s[14:15]
	v_fma_f64 v[27:28], v[25:26], s[14:15], -v[23:24]
	s_delay_alu instid0(VALU_DEP_1) | instskip(NEXT) | instid1(VALU_DEP_1)
	v_fma_f64 v[25:26], v[25:26], s[20:21], v[27:28]
	v_fma_f64 v[25:26], v[10:11], s[14:15], v[25:26]
	s_delay_alu instid0(VALU_DEP_1) | instskip(NEXT) | instid1(VALU_DEP_1)
	v_add_f64 v[10:11], v[23:24], v[25:26]
	v_add_f64 v[23:24], v[10:11], -v[23:24]
	s_delay_alu instid0(VALU_DEP_1)
	v_add_f64 v[24:25], v[25:26], -v[23:24]
	s_and_not1_saveexec_b32 s14, s18
	s_cbranch_execz .LBB94_220
	s_branch .LBB94_219
.LBB94_218:                             ;   in Loop: Header=BB94_161 Depth=1
	s_and_not1_saveexec_b32 s14, s18
	s_cbranch_execz .LBB94_220
.LBB94_219:                             ;   in Loop: Header=BB94_161 Depth=1
	v_mul_f64 v[10:11], |v[18:19]|, s[22:23]
	s_mov_b32 s18, s24
	s_delay_alu instid0(VALU_DEP_1) | instskip(NEXT) | instid1(VALU_DEP_1)
	v_rndne_f64_e32 v[26:27], v[10:11]
	v_fma_f64 v[10:11], v[26:27], s[16:17], |v[18:19]|
	v_mul_f64 v[23:24], v[26:27], s[24:25]
	v_cvt_i32_f64_e32 v12, v[26:27]
	s_delay_alu instid0(VALU_DEP_3) | instskip(NEXT) | instid1(VALU_DEP_3)
	v_fma_f64 v[46:47], v[26:27], s[24:25], v[10:11]
	v_add_f64 v[28:29], v[10:11], v[23:24]
	s_delay_alu instid0(VALU_DEP_1) | instskip(NEXT) | instid1(VALU_DEP_3)
	v_add_f64 v[10:11], v[10:11], -v[28:29]
	v_add_f64 v[28:29], v[28:29], -v[46:47]
	s_delay_alu instid0(VALU_DEP_2) | instskip(SKIP_1) | instid1(VALU_DEP_2)
	v_add_f64 v[10:11], v[10:11], v[23:24]
	v_fma_f64 v[23:24], v[26:27], s[18:19], v[23:24]
	v_add_f64 v[10:11], v[28:29], v[10:11]
	s_delay_alu instid0(VALU_DEP_1) | instskip(NEXT) | instid1(VALU_DEP_1)
	v_add_f64 v[10:11], v[10:11], -v[23:24]
	v_fma_f64 v[23:24], v[26:27], s[26:27], v[10:11]
	s_delay_alu instid0(VALU_DEP_1) | instskip(NEXT) | instid1(VALU_DEP_1)
	v_add_f64 v[10:11], v[46:47], v[23:24]
	v_add_f64 v[28:29], v[10:11], -v[46:47]
	s_delay_alu instid0(VALU_DEP_1)
	v_add_f64 v[24:25], v[23:24], -v[28:29]
.LBB94_220:                             ;   in Loop: Header=BB94_161 Depth=1
	s_or_b32 exec_lo, exec_lo, s14
                                        ; implicit-def: $vgpr23
                                        ; implicit-def: $vgpr26_vgpr27
                                        ; implicit-def: $vgpr28_vgpr29
	s_and_saveexec_b32 s14, s4
	s_delay_alu instid0(SALU_CYCLE_1)
	s_xor_b32 s4, exec_lo, s14
	s_cbranch_execz .LBB94_222
; %bb.221:                              ;   in Loop: Header=BB94_161 Depth=1
	v_ldexp_f64 v[26:27], |v[18:19]|, 0xffffff80
	v_cmp_le_f64_e64 vcc_lo, 0x7b000000, |v[18:19]|
	v_trig_preop_f64 v[28:29], |v[18:19]|, 0
	v_and_b32_e32 v23, 0x7fffffff, v19
	v_trig_preop_f64 v[48:49], |v[18:19]|, 1
	v_trig_preop_f64 v[52:53], |v[18:19]|, 2
	s_mov_b32 s14, s16
	s_mov_b32 s21, s19
	v_dual_cndmask_b32 v26, v18, v26 :: v_dual_cndmask_b32 v27, v23, v27
	s_delay_alu instid0(VALU_DEP_1) | instskip(NEXT) | instid1(VALU_DEP_4)
	v_mul_f64 v[46:47], v[28:29], v[26:27]
	v_mul_f64 v[50:51], v[48:49], v[26:27]
	s_delay_alu instid0(VALU_DEP_4) | instskip(NEXT) | instid1(VALU_DEP_3)
	v_mul_f64 v[54:55], v[52:53], v[26:27]
	v_fma_f64 v[28:29], v[28:29], v[26:27], -v[46:47]
	s_delay_alu instid0(VALU_DEP_3) | instskip(NEXT) | instid1(VALU_DEP_3)
	v_fma_f64 v[48:49], v[48:49], v[26:27], -v[50:51]
	v_fma_f64 v[26:27], v[52:53], v[26:27], -v[54:55]
	s_delay_alu instid0(VALU_DEP_3) | instskip(NEXT) | instid1(VALU_DEP_1)
	v_add_f64 v[52:53], v[50:51], v[28:29]
	v_add_f64 v[56:57], v[52:53], -v[50:51]
	s_delay_alu instid0(VALU_DEP_1) | instskip(SKIP_1) | instid1(VALU_DEP_1)
	v_add_f64 v[28:29], v[28:29], -v[56:57]
	v_add_f64 v[56:57], v[52:53], -v[56:57]
	;; [unrolled: 1-line block ×3, first 2 shown]
	v_add_f64 v[56:57], v[46:47], v[52:53]
	s_delay_alu instid0(VALU_DEP_2) | instskip(NEXT) | instid1(VALU_DEP_2)
	v_add_f64 v[28:29], v[28:29], v[50:51]
	v_add_f64 v[46:47], v[56:57], -v[46:47]
	v_add_f64 v[50:51], v[54:55], v[48:49]
	v_ldexp_f64 v[56:57], v[56:57], -2
	s_delay_alu instid0(VALU_DEP_3) | instskip(NEXT) | instid1(VALU_DEP_3)
	v_add_f64 v[46:47], v[52:53], -v[46:47]
	v_add_f64 v[52:53], v[50:51], -v[54:55]
	s_delay_alu instid0(VALU_DEP_3) | instskip(SKIP_1) | instid1(VALU_DEP_3)
	v_cmp_neq_f64_e64 vcc_lo, 0x7ff00000, |v[56:57]|
	v_fract_f64_e32 v[56:57], v[56:57]
	v_add_f64 v[48:49], v[48:49], -v[52:53]
	v_add_f64 v[52:53], v[50:51], -v[52:53]
	s_delay_alu instid0(VALU_DEP_3) | instskip(NEXT) | instid1(VALU_DEP_2)
	v_dual_cndmask_b32 v56, 0, v56 :: v_dual_cndmask_b32 v57, 0, v57
	v_add_f64 v[52:53], v[54:55], -v[52:53]
	v_add_f64 v[54:55], v[50:51], v[28:29]
	s_delay_alu instid0(VALU_DEP_2) | instskip(NEXT) | instid1(VALU_DEP_2)
	v_add_f64 v[48:49], v[48:49], v[52:53]
	v_add_f64 v[58:59], v[54:55], -v[50:51]
	v_add_f64 v[52:53], v[46:47], v[54:55]
	s_delay_alu instid0(VALU_DEP_2) | instskip(SKIP_1) | instid1(VALU_DEP_3)
	v_add_f64 v[28:29], v[28:29], -v[58:59]
	v_add_f64 v[58:59], v[54:55], -v[58:59]
	;; [unrolled: 1-line block ×3, first 2 shown]
	s_delay_alu instid0(VALU_DEP_2) | instskip(NEXT) | instid1(VALU_DEP_2)
	v_add_f64 v[50:51], v[50:51], -v[58:59]
	v_add_f64 v[46:47], v[54:55], -v[46:47]
	s_delay_alu instid0(VALU_DEP_2) | instskip(SKIP_1) | instid1(VALU_DEP_2)
	v_add_f64 v[28:29], v[28:29], v[50:51]
	v_ldexp_f64 v[50:51], v[56:57], 2
	v_add_f64 v[28:29], v[48:49], v[28:29]
	s_delay_alu instid0(VALU_DEP_2) | instskip(NEXT) | instid1(VALU_DEP_2)
	v_add_f64 v[56:57], v[52:53], v[50:51]
	v_add_f64 v[26:27], v[26:27], v[28:29]
	s_delay_alu instid0(VALU_DEP_2) | instskip(NEXT) | instid1(VALU_DEP_2)
	v_cmp_gt_f64_e32 vcc_lo, 0, v[56:57]
	v_add_f64 v[26:27], v[46:47], v[26:27]
	v_cndmask_b32_e64 v23, 0, 0x40100000, vcc_lo
	s_delay_alu instid0(VALU_DEP_1) | instskip(NEXT) | instid1(VALU_DEP_1)
	v_add_f64 v[28:29], v[50:51], v[22:23]
	v_add_f64 v[48:49], v[52:53], v[28:29]
	s_delay_alu instid0(VALU_DEP_1) | instskip(NEXT) | instid1(VALU_DEP_1)
	v_cvt_i32_f64_e32 v50, v[48:49]
	v_cvt_f64_i32_e32 v[48:49], v50
	s_delay_alu instid0(VALU_DEP_1) | instskip(NEXT) | instid1(VALU_DEP_1)
	v_add_f64 v[28:29], v[28:29], -v[48:49]
	v_add_f64 v[46:47], v[52:53], v[28:29]
	s_delay_alu instid0(VALU_DEP_1) | instskip(SKIP_1) | instid1(VALU_DEP_2)
	v_add_f64 v[28:29], v[46:47], -v[28:29]
	v_cmp_le_f64_e32 vcc_lo, 0.5, v[46:47]
	v_add_f64 v[28:29], v[52:53], -v[28:29]
	v_cndmask_b32_e64 v23, 0, 0x3ff00000, vcc_lo
	s_delay_alu instid0(VALU_DEP_1) | instskip(SKIP_1) | instid1(VALU_DEP_4)
	v_add_f64 v[46:47], v[46:47], -v[22:23]
	v_add_co_ci_u32_e32 v23, vcc_lo, 0, v50, vcc_lo
	v_add_f64 v[26:27], v[26:27], v[28:29]
	s_delay_alu instid0(VALU_DEP_1) | instskip(NEXT) | instid1(VALU_DEP_1)
	v_add_f64 v[28:29], v[46:47], v[26:27]
	v_add_f64 v[46:47], v[28:29], -v[46:47]
	s_delay_alu instid0(VALU_DEP_1) | instskip(SKIP_1) | instid1(VALU_DEP_1)
	v_add_f64 v[26:27], v[26:27], -v[46:47]
	v_mul_f64 v[46:47], v[28:29], s[14:15]
	v_fma_f64 v[48:49], v[28:29], s[14:15], -v[46:47]
	s_delay_alu instid0(VALU_DEP_1) | instskip(NEXT) | instid1(VALU_DEP_1)
	v_fma_f64 v[28:29], v[28:29], s[20:21], v[48:49]
	v_fma_f64 v[28:29], v[26:27], s[14:15], v[28:29]
	s_delay_alu instid0(VALU_DEP_1) | instskip(NEXT) | instid1(VALU_DEP_1)
	v_add_f64 v[26:27], v[46:47], v[28:29]
	v_add_f64 v[46:47], v[26:27], -v[46:47]
	s_delay_alu instid0(VALU_DEP_1)
	v_add_f64 v[28:29], v[28:29], -v[46:47]
	s_and_not1_saveexec_b32 s4, s4
	s_cbranch_execnz .LBB94_223
	s_branch .LBB94_224
.LBB94_222:                             ;   in Loop: Header=BB94_161 Depth=1
	s_and_not1_saveexec_b32 s4, s4
	s_cbranch_execz .LBB94_224
.LBB94_223:                             ;   in Loop: Header=BB94_161 Depth=1
	v_mul_f64 v[26:27], |v[18:19]|, s[22:23]
	s_mov_b32 s18, s24
	s_delay_alu instid0(VALU_DEP_1) | instskip(NEXT) | instid1(VALU_DEP_1)
	v_rndne_f64_e32 v[46:47], v[26:27]
	v_fma_f64 v[26:27], v[46:47], s[16:17], |v[18:19]|
	v_mul_f64 v[28:29], v[46:47], s[24:25]
	v_cvt_i32_f64_e32 v23, v[46:47]
	s_delay_alu instid0(VALU_DEP_3) | instskip(NEXT) | instid1(VALU_DEP_3)
	v_fma_f64 v[50:51], v[46:47], s[24:25], v[26:27]
	v_add_f64 v[48:49], v[26:27], v[28:29]
	s_delay_alu instid0(VALU_DEP_1) | instskip(NEXT) | instid1(VALU_DEP_3)
	v_add_f64 v[26:27], v[26:27], -v[48:49]
	v_add_f64 v[48:49], v[48:49], -v[50:51]
	s_delay_alu instid0(VALU_DEP_2) | instskip(SKIP_1) | instid1(VALU_DEP_2)
	v_add_f64 v[26:27], v[26:27], v[28:29]
	v_fma_f64 v[28:29], v[46:47], s[18:19], v[28:29]
	v_add_f64 v[26:27], v[48:49], v[26:27]
	s_delay_alu instid0(VALU_DEP_1) | instskip(NEXT) | instid1(VALU_DEP_1)
	v_add_f64 v[26:27], v[26:27], -v[28:29]
	v_fma_f64 v[28:29], v[46:47], s[26:27], v[26:27]
	s_delay_alu instid0(VALU_DEP_1) | instskip(NEXT) | instid1(VALU_DEP_1)
	v_add_f64 v[26:27], v[50:51], v[28:29]
	v_add_f64 v[48:49], v[26:27], -v[50:51]
	s_delay_alu instid0(VALU_DEP_1)
	v_add_f64 v[28:29], v[28:29], -v[48:49]
.LBB94_224:                             ;   in Loop: Header=BB94_161 Depth=1
	s_or_b32 exec_lo, exec_lo, s4
	s_delay_alu instid0(VALU_DEP_2) | instskip(NEXT) | instid1(VALU_DEP_2)
	v_mul_f64 v[46:47], v[10:11], v[10:11]
	v_mul_f64 v[54:55], v[24:25], 0.5
	s_delay_alu instid0(VALU_DEP_3)
	v_mul_f64 v[60:61], v[28:29], 0.5
	s_mov_b32 s42, s44
	v_cmp_nlt_f64_e64 vcc_lo, 0x4090cc00, |v[20:21]|
	v_lshlrev_b32_e32 v18, 30, v12
	v_and_b32_e32 v12, 1, v12
	s_mov_b32 s87, s41
	s_mov_b32 s89, s45
	s_delay_alu instid0(VALU_DEP_1) | instskip(SKIP_2) | instid1(VALU_DEP_2)
	v_cmp_eq_u32_e64 s4, 0, v12
	v_mul_f64 v[48:49], v[46:47], 0.5
	v_mul_f64 v[56:57], v[10:11], -v[46:47]
	v_add_f64 v[50:51], -v[48:49], 1.0
	s_delay_alu instid0(VALU_DEP_1) | instskip(NEXT) | instid1(VALU_DEP_1)
	v_add_f64 v[52:53], -v[50:51], 1.0
	v_add_f64 v[48:49], v[52:53], -v[48:49]
	v_fma_f64 v[52:53], v[46:47], s[34:35], s[30:31]
	s_delay_alu instid0(VALU_DEP_2) | instskip(NEXT) | instid1(VALU_DEP_2)
	v_fma_f64 v[48:49], v[10:11], -v[24:25], v[48:49]
	v_fma_f64 v[52:53], v[46:47], v[52:53], s[36:37]
	s_delay_alu instid0(VALU_DEP_1) | instskip(NEXT) | instid1(VALU_DEP_1)
	v_fma_f64 v[52:53], v[46:47], v[52:53], s[38:39]
	v_fma_f64 v[52:53], v[46:47], v[52:53], s[40:41]
	s_delay_alu instid0(VALU_DEP_1) | instskip(NEXT) | instid1(VALU_DEP_1)
	v_fma_f64 v[52:53], v[56:57], v[52:53], v[54:55]
	v_fma_f64 v[24:25], v[46:47], v[52:53], -v[24:25]
	v_fma_f64 v[52:53], v[46:47], s[98:99], s[96:97]
	s_delay_alu instid0(VALU_DEP_2) | instskip(NEXT) | instid1(VALU_DEP_2)
	v_fma_f64 v[24:25], v[56:57], s[42:43], v[24:25]
	v_fma_f64 v[52:53], v[46:47], v[52:53], s[100:101]
	s_delay_alu instid0(VALU_DEP_2) | instskip(NEXT) | instid1(VALU_DEP_2)
	v_add_f64 v[10:11], v[10:11], -v[24:25]
	v_fma_f64 v[52:53], v[46:47], v[52:53], s[102:103]
	s_delay_alu instid0(VALU_DEP_1) | instskip(NEXT) | instid1(VALU_DEP_1)
	v_fma_f64 v[52:53], v[46:47], v[52:53], s[28:29]
	v_fma_f64 v[52:53], v[46:47], v[52:53], s[44:45]
	v_mul_f64 v[46:47], v[46:47], v[46:47]
	s_delay_alu instid0(VALU_DEP_1) | instskip(SKIP_1) | instid1(VALU_DEP_2)
	v_fma_f64 v[46:47], v[46:47], v[52:53], v[48:49]
	v_mul_f64 v[48:49], v[26:27], v[26:27]
	v_add_f64 v[46:47], v[50:51], v[46:47]
	s_delay_alu instid0(VALU_DEP_2) | instskip(SKIP_1) | instid1(VALU_DEP_3)
	v_mul_f64 v[52:53], v[48:49], 0.5
	v_mul_f64 v[62:63], v[26:27], -v[48:49]
	v_cndmask_b32_e64 v11, v47, v11, s4
	s_delay_alu instid0(VALU_DEP_3) | instskip(SKIP_1) | instid1(VALU_DEP_2)
	v_add_f64 v[54:55], -v[52:53], 1.0
	v_cndmask_b32_e64 v10, v46, v10, s4
	v_add_f64 v[58:59], -v[54:55], 1.0
	s_delay_alu instid0(VALU_DEP_1) | instskip(SKIP_1) | instid1(VALU_DEP_2)
	v_add_f64 v[52:53], v[58:59], -v[52:53]
	v_fma_f64 v[58:59], v[48:49], s[34:35], s[30:31]
	v_fma_f64 v[52:53], v[26:27], -v[28:29], v[52:53]
	s_delay_alu instid0(VALU_DEP_2) | instskip(NEXT) | instid1(VALU_DEP_1)
	v_fma_f64 v[58:59], v[48:49], v[58:59], s[36:37]
	v_fma_f64 v[58:59], v[48:49], v[58:59], s[38:39]
	s_delay_alu instid0(VALU_DEP_1) | instskip(NEXT) | instid1(VALU_DEP_1)
	v_fma_f64 v[58:59], v[48:49], v[58:59], s[40:41]
	v_fma_f64 v[58:59], v[62:63], v[58:59], v[60:61]
	s_delay_alu instid0(VALU_DEP_1) | instskip(SKIP_1) | instid1(VALU_DEP_2)
	v_fma_f64 v[28:29], v[48:49], v[58:59], -v[28:29]
	v_fma_f64 v[58:59], v[48:49], s[98:99], s[96:97]
	v_fma_f64 v[28:29], v[62:63], s[42:43], v[28:29]
	s_delay_alu instid0(VALU_DEP_2) | instskip(NEXT) | instid1(VALU_DEP_2)
	v_fma_f64 v[58:59], v[48:49], v[58:59], s[100:101]
	v_add_f64 v[24:25], v[26:27], -v[28:29]
	s_delay_alu instid0(VALU_DEP_2) | instskip(SKIP_2) | instid1(VALU_DEP_1)
	v_fma_f64 v[58:59], v[48:49], v[58:59], s[102:103]
	v_mul_f64 v[26:27], |v[20:21]|, s[66:67]
	v_xor_b32_e32 v28, v18, v19
	v_and_b32_e32 v12, 0x80000000, v28
	s_delay_alu instid0(VALU_DEP_1) | instskip(SKIP_1) | instid1(VALU_DEP_2)
	v_xor_b32_e32 v11, v11, v12
	v_and_b32_e32 v12, 1, v23
	v_mul_f64 v[10:11], v[10:11], 4.0
	s_delay_alu instid0(VALU_DEP_2) | instskip(SKIP_3) | instid1(VALU_DEP_2)
	v_cmp_eq_u32_e64 s4, 0, v12
	v_xor_b32_e32 v12, 0x80000000, v25
	v_fma_f64 v[58:59], v[48:49], v[58:59], s[28:29]
	v_rndne_f64_e32 v[26:27], v[26:27]
	v_fma_f64 v[58:59], v[48:49], v[58:59], s[44:45]
	v_mul_f64 v[48:49], v[48:49], v[48:49]
	s_delay_alu instid0(VALU_DEP_3) | instskip(SKIP_1) | instid1(VALU_DEP_3)
	v_fma_f64 v[18:19], v[26:27], s[58:59], -|v[20:21]|
	v_lshlrev_b32_e32 v21, 30, v23
	v_fma_f64 v[48:49], v[48:49], v[58:59], v[52:53]
	s_delay_alu instid0(VALU_DEP_3) | instskip(NEXT) | instid1(VALU_DEP_2)
	v_fma_f64 v[18:19], v[26:27], s[62:63], v[18:19]
	v_add_f64 v[48:49], v[54:55], v[48:49]
	s_delay_alu instid0(VALU_DEP_1) | instskip(NEXT) | instid1(VALU_DEP_3)
	v_cndmask_b32_e64 v20, v24, v48, s4
	v_fma_f64 v[23:24], v[18:19], s[76:77], s[74:75]
	s_delay_alu instid0(VALU_DEP_3) | instskip(NEXT) | instid1(VALU_DEP_2)
	v_cndmask_b32_e64 v12, v12, v49, s4
	v_fma_f64 v[23:24], v[18:19], v[23:24], s[78:79]
	s_delay_alu instid0(VALU_DEP_1) | instskip(NEXT) | instid1(VALU_DEP_1)
	v_fma_f64 v[23:24], v[18:19], v[23:24], s[80:81]
	v_fma_f64 v[23:24], v[18:19], v[23:24], s[82:83]
	s_delay_alu instid0(VALU_DEP_1) | instskip(NEXT) | instid1(VALU_DEP_1)
	v_fma_f64 v[23:24], v[18:19], v[23:24], s[84:85]
	;; [unrolled: 3-line block ×4, first 2 shown]
	v_fma_f64 v[23:24], v[18:19], v[23:24], 1.0
	s_delay_alu instid0(VALU_DEP_1) | instskip(SKIP_2) | instid1(VALU_DEP_1)
	v_fma_f64 v[18:19], v[18:19], v[23:24], 1.0
	v_bfi_b32 v23, 0x7fffffff, s49, v13
	v_and_b32_e32 v21, 0x80000000, v21
	v_xor_b32_e32 v21, v12, v21
	v_cvt_i32_f64_e32 v12, v[26:27]
	s_delay_alu instid0(VALU_DEP_2) | instskip(NEXT) | instid1(VALU_DEP_2)
	v_mul_f64 v[10:11], v[10:11], v[20:21]
	v_ldexp_f64 v[18:19], v[18:19], v12
	v_dual_mov_b32 v12, v22 :: v_dual_mov_b32 v13, v23
	s_delay_alu instid0(VALU_DEP_2) | instskip(NEXT) | instid1(VALU_DEP_1)
	v_dual_cndmask_b32 v19, 0, v19 :: v_dual_cndmask_b32 v18, 0, v18
	v_mul_f64 v[10:11], v[18:19], v[10:11]
	s_delay_alu instid0(VALU_DEP_1)
	v_mul_f64 v[10:11], v[18:19], v[10:11]
.LBB94_225:                             ;   in Loop: Header=BB94_161 Depth=1
	s_or_b32 exec_lo, exec_lo, s60
                                        ; implicit-def: $vgpr18_vgpr19
.LBB94_226:                             ;   in Loop: Header=BB94_161 Depth=1
	s_and_not1_saveexec_b32 s4, s47
; %bb.227:                              ;   in Loop: Header=BB94_161 Depth=1
	v_add_f64 v[10:11], v[18:19], -v[18:19]
	s_delay_alu instid0(VALU_DEP_1)
	v_dual_mov_b32 v13, v11 :: v_dual_mov_b32 v12, v10
; %bb.228:                              ;   in Loop: Header=BB94_161 Depth=1
	s_or_b32 exec_lo, exec_lo, s4
                                        ; implicit-def: $vgpr18_vgpr19
.LBB94_229:                             ;   in Loop: Header=BB94_161 Depth=1
	s_and_not1_saveexec_b32 s47, s5
	s_cbranch_execz .LBB94_245
; %bb.230:                              ;   in Loop: Header=BB94_161 Depth=1
	s_delay_alu instid0(VALU_DEP_1) | instskip(SKIP_1) | instid1(VALU_DEP_1)
	v_and_or_b32 v10, 0xfffff, v13, v12
	s_mov_b32 s4, exec_lo
	v_cmpx_ne_u32_e32 0, v10
	s_xor_b32 s4, exec_lo, s4
; %bb.231:                              ;   in Loop: Header=BB94_161 Depth=1
	v_mul_f64 v[10:11], v[18:19], -v[20:21]
	v_cmp_eq_f64_e32 vcc_lo, 0, v[18:19]
	s_delay_alu instid0(VALU_DEP_2)
	v_dual_cndmask_b32 v11, v11, v19 :: v_dual_cndmask_b32 v10, v10, v18
                                        ; implicit-def: $vgpr18_vgpr19
; %bb.232:                              ;   in Loop: Header=BB94_161 Depth=1
	s_and_not1_saveexec_b32 s60, s4
	s_cbranch_execz .LBB94_244
; %bb.233:                              ;   in Loop: Header=BB94_161 Depth=1
	s_mov_b32 s64, exec_lo
	v_cmpx_neq_f64_e64 0x7ff00000, |v[18:19]|
	s_cbranch_execz .LBB94_243
; %bb.234:                              ;   in Loop: Header=BB94_161 Depth=1
	v_cmp_ngt_f64_e64 s4, 0x41d00000, |v[18:19]|
                                        ; implicit-def: $vgpr27
                                        ; implicit-def: $vgpr10_vgpr11
                                        ; implicit-def: $vgpr20_vgpr21
	s_delay_alu instid0(VALU_DEP_1) | instskip(NEXT) | instid1(SALU_CYCLE_1)
	s_and_saveexec_b32 s5, s4
	s_xor_b32 s5, exec_lo, s5
	s_cbranch_execz .LBB94_236
; %bb.235:                              ;   in Loop: Header=BB94_161 Depth=1
	v_ldexp_f64 v[10:11], |v[18:19]|, 0xffffff80
	v_cmp_le_f64_e64 vcc_lo, 0x7b000000, |v[18:19]|
	v_trig_preop_f64 v[20:21], |v[18:19]|, 0
	v_and_b32_e32 v23, 0x7fffffff, v19
	v_trig_preop_f64 v[25:26], |v[18:19]|, 1
	v_trig_preop_f64 v[46:47], |v[18:19]|, 2
	s_mov_b32 s14, s16
	s_mov_b32 s21, s19
	v_dual_cndmask_b32 v10, v18, v10 :: v_dual_cndmask_b32 v11, v23, v11
	s_delay_alu instid0(VALU_DEP_1) | instskip(NEXT) | instid1(VALU_DEP_4)
	v_mul_f64 v[23:24], v[20:21], v[10:11]
	v_mul_f64 v[27:28], v[25:26], v[10:11]
	s_delay_alu instid0(VALU_DEP_4) | instskip(NEXT) | instid1(VALU_DEP_3)
	v_mul_f64 v[48:49], v[46:47], v[10:11]
	v_fma_f64 v[20:21], v[20:21], v[10:11], -v[23:24]
	s_delay_alu instid0(VALU_DEP_3) | instskip(NEXT) | instid1(VALU_DEP_3)
	v_fma_f64 v[25:26], v[25:26], v[10:11], -v[27:28]
	v_fma_f64 v[10:11], v[46:47], v[10:11], -v[48:49]
	s_delay_alu instid0(VALU_DEP_3) | instskip(NEXT) | instid1(VALU_DEP_1)
	v_add_f64 v[46:47], v[27:28], v[20:21]
	v_add_f64 v[50:51], v[46:47], -v[27:28]
	s_delay_alu instid0(VALU_DEP_1) | instskip(SKIP_1) | instid1(VALU_DEP_1)
	v_add_f64 v[20:21], v[20:21], -v[50:51]
	v_add_f64 v[50:51], v[46:47], -v[50:51]
	;; [unrolled: 1-line block ×3, first 2 shown]
	v_add_f64 v[50:51], v[23:24], v[46:47]
	s_delay_alu instid0(VALU_DEP_2) | instskip(NEXT) | instid1(VALU_DEP_2)
	v_add_f64 v[20:21], v[20:21], v[27:28]
	v_add_f64 v[23:24], v[50:51], -v[23:24]
	v_add_f64 v[27:28], v[48:49], v[25:26]
	v_ldexp_f64 v[50:51], v[50:51], -2
	s_delay_alu instid0(VALU_DEP_3) | instskip(NEXT) | instid1(VALU_DEP_3)
	v_add_f64 v[23:24], v[46:47], -v[23:24]
	v_add_f64 v[46:47], v[27:28], -v[48:49]
	s_delay_alu instid0(VALU_DEP_3) | instskip(SKIP_1) | instid1(VALU_DEP_3)
	v_cmp_neq_f64_e64 vcc_lo, 0x7ff00000, |v[50:51]|
	v_fract_f64_e32 v[50:51], v[50:51]
	v_add_f64 v[25:26], v[25:26], -v[46:47]
	v_add_f64 v[46:47], v[27:28], -v[46:47]
	s_delay_alu instid0(VALU_DEP_3) | instskip(NEXT) | instid1(VALU_DEP_2)
	v_dual_cndmask_b32 v50, 0, v50 :: v_dual_cndmask_b32 v51, 0, v51
	v_add_f64 v[46:47], v[48:49], -v[46:47]
	v_add_f64 v[48:49], v[27:28], v[20:21]
	s_delay_alu instid0(VALU_DEP_2) | instskip(NEXT) | instid1(VALU_DEP_2)
	v_add_f64 v[25:26], v[25:26], v[46:47]
	v_add_f64 v[52:53], v[48:49], -v[27:28]
	v_add_f64 v[46:47], v[23:24], v[48:49]
	s_delay_alu instid0(VALU_DEP_2) | instskip(SKIP_1) | instid1(VALU_DEP_3)
	v_add_f64 v[20:21], v[20:21], -v[52:53]
	v_add_f64 v[52:53], v[48:49], -v[52:53]
	;; [unrolled: 1-line block ×3, first 2 shown]
	s_delay_alu instid0(VALU_DEP_2) | instskip(NEXT) | instid1(VALU_DEP_1)
	v_add_f64 v[27:28], v[27:28], -v[52:53]
	v_add_f64 v[20:21], v[20:21], v[27:28]
	v_ldexp_f64 v[27:28], v[50:51], 2
	s_delay_alu instid0(VALU_DEP_2) | instskip(NEXT) | instid1(VALU_DEP_2)
	v_add_f64 v[20:21], v[25:26], v[20:21]
	v_add_f64 v[50:51], v[46:47], v[27:28]
	v_add_f64 v[24:25], v[48:49], -v[23:24]
	s_delay_alu instid0(VALU_DEP_3) | instskip(NEXT) | instid1(VALU_DEP_3)
	v_add_f64 v[10:11], v[10:11], v[20:21]
	v_cmp_gt_f64_e32 vcc_lo, 0, v[50:51]
	s_delay_alu instid0(VALU_DEP_2) | instskip(SKIP_1) | instid1(VALU_DEP_1)
	v_add_f64 v[10:11], v[24:25], v[10:11]
	v_cndmask_b32_e64 v23, 0, 0x40100000, vcc_lo
	v_add_f64 v[20:21], v[27:28], v[22:23]
	s_delay_alu instid0(VALU_DEP_1) | instskip(NEXT) | instid1(VALU_DEP_1)
	v_add_f64 v[26:27], v[46:47], v[20:21]
	v_cvt_i32_f64_e32 v28, v[26:27]
	s_delay_alu instid0(VALU_DEP_1) | instskip(NEXT) | instid1(VALU_DEP_1)
	v_cvt_f64_i32_e32 v[26:27], v28
	v_add_f64 v[20:21], v[20:21], -v[26:27]
	s_delay_alu instid0(VALU_DEP_1) | instskip(NEXT) | instid1(VALU_DEP_1)
	v_add_f64 v[24:25], v[46:47], v[20:21]
	v_add_f64 v[20:21], v[24:25], -v[20:21]
	v_cmp_le_f64_e32 vcc_lo, 0.5, v[24:25]
	s_delay_alu instid0(VALU_DEP_2) | instskip(SKIP_2) | instid1(VALU_DEP_2)
	v_add_f64 v[20:21], v[46:47], -v[20:21]
	v_cndmask_b32_e64 v23, 0, 0x3ff00000, vcc_lo
	v_add_co_ci_u32_e32 v27, vcc_lo, 0, v28, vcc_lo
	v_add_f64 v[23:24], v[24:25], -v[22:23]
	s_delay_alu instid0(VALU_DEP_4) | instskip(NEXT) | instid1(VALU_DEP_1)
	v_add_f64 v[10:11], v[10:11], v[20:21]
	v_add_f64 v[20:21], v[23:24], v[10:11]
	s_delay_alu instid0(VALU_DEP_1) | instskip(NEXT) | instid1(VALU_DEP_1)
	v_add_f64 v[23:24], v[20:21], -v[23:24]
	v_add_f64 v[10:11], v[10:11], -v[23:24]
	v_mul_f64 v[23:24], v[20:21], s[14:15]
	s_delay_alu instid0(VALU_DEP_1) | instskip(NEXT) | instid1(VALU_DEP_1)
	v_fma_f64 v[25:26], v[20:21], s[14:15], -v[23:24]
	v_fma_f64 v[20:21], v[20:21], s[20:21], v[25:26]
	s_delay_alu instid0(VALU_DEP_1) | instskip(NEXT) | instid1(VALU_DEP_1)
	v_fma_f64 v[20:21], v[10:11], s[14:15], v[20:21]
	v_add_f64 v[10:11], v[23:24], v[20:21]
	s_delay_alu instid0(VALU_DEP_1) | instskip(NEXT) | instid1(VALU_DEP_1)
	v_add_f64 v[23:24], v[10:11], -v[23:24]
	v_add_f64 v[20:21], v[20:21], -v[23:24]
	s_and_not1_saveexec_b32 s5, s5
	s_cbranch_execz .LBB94_238
	s_branch .LBB94_237
.LBB94_236:                             ;   in Loop: Header=BB94_161 Depth=1
	s_and_not1_saveexec_b32 s5, s5
	s_cbranch_execz .LBB94_238
.LBB94_237:                             ;   in Loop: Header=BB94_161 Depth=1
	v_mul_f64 v[10:11], |v[18:19]|, s[22:23]
	s_mov_b32 s18, s24
	s_delay_alu instid0(VALU_DEP_1) | instskip(NEXT) | instid1(VALU_DEP_1)
	v_rndne_f64_e32 v[23:24], v[10:11]
	v_fma_f64 v[10:11], v[23:24], s[16:17], |v[18:19]|
	v_mul_f64 v[20:21], v[23:24], s[24:25]
	s_delay_alu instid0(VALU_DEP_2) | instskip(NEXT) | instid1(VALU_DEP_2)
	v_fma_f64 v[27:28], v[23:24], s[24:25], v[10:11]
	v_add_f64 v[25:26], v[10:11], v[20:21]
	s_delay_alu instid0(VALU_DEP_1) | instskip(NEXT) | instid1(VALU_DEP_3)
	v_add_f64 v[10:11], v[10:11], -v[25:26]
	v_add_f64 v[25:26], v[25:26], -v[27:28]
	s_delay_alu instid0(VALU_DEP_2) | instskip(SKIP_1) | instid1(VALU_DEP_2)
	v_add_f64 v[10:11], v[10:11], v[20:21]
	v_fma_f64 v[20:21], v[23:24], s[18:19], v[20:21]
	v_add_f64 v[10:11], v[25:26], v[10:11]
	s_delay_alu instid0(VALU_DEP_1) | instskip(NEXT) | instid1(VALU_DEP_1)
	v_add_f64 v[10:11], v[10:11], -v[20:21]
	v_fma_f64 v[20:21], v[23:24], s[26:27], v[10:11]
	s_delay_alu instid0(VALU_DEP_1) | instskip(NEXT) | instid1(VALU_DEP_1)
	v_add_f64 v[10:11], v[27:28], v[20:21]
	v_add_f64 v[25:26], v[10:11], -v[27:28]
	v_cvt_i32_f64_e32 v27, v[23:24]
	s_delay_alu instid0(VALU_DEP_2)
	v_add_f64 v[20:21], v[20:21], -v[25:26]
.LBB94_238:                             ;   in Loop: Header=BB94_161 Depth=1
	s_or_b32 exec_lo, exec_lo, s5
                                        ; implicit-def: $vgpr28
                                        ; implicit-def: $vgpr23_vgpr24
                                        ; implicit-def: $vgpr25_vgpr26
	s_and_saveexec_b32 s5, s4
	s_delay_alu instid0(SALU_CYCLE_1)
	s_xor_b32 s4, exec_lo, s5
	s_cbranch_execz .LBB94_240
; %bb.239:                              ;   in Loop: Header=BB94_161 Depth=1
	v_ldexp_f64 v[23:24], |v[18:19]|, 0xffffff80
	v_cmp_le_f64_e64 vcc_lo, 0x7b000000, |v[18:19]|
	v_trig_preop_f64 v[25:26], |v[18:19]|, 0
	v_and_b32_e32 v28, 0x7fffffff, v19
	v_trig_preop_f64 v[46:47], |v[18:19]|, 1
	v_trig_preop_f64 v[50:51], |v[18:19]|, 2
	s_mov_b32 s14, s16
	s_mov_b32 s21, s19
	v_dual_cndmask_b32 v24, v28, v24 :: v_dual_cndmask_b32 v23, v18, v23
	s_delay_alu instid0(VALU_DEP_1) | instskip(NEXT) | instid1(VALU_DEP_4)
	v_mul_f64 v[28:29], v[25:26], v[23:24]
	v_mul_f64 v[48:49], v[46:47], v[23:24]
	s_delay_alu instid0(VALU_DEP_4) | instskip(NEXT) | instid1(VALU_DEP_3)
	v_mul_f64 v[52:53], v[50:51], v[23:24]
	v_fma_f64 v[25:26], v[25:26], v[23:24], -v[28:29]
	s_delay_alu instid0(VALU_DEP_3) | instskip(NEXT) | instid1(VALU_DEP_3)
	v_fma_f64 v[46:47], v[46:47], v[23:24], -v[48:49]
	v_fma_f64 v[23:24], v[50:51], v[23:24], -v[52:53]
	s_delay_alu instid0(VALU_DEP_3) | instskip(NEXT) | instid1(VALU_DEP_1)
	v_add_f64 v[50:51], v[48:49], v[25:26]
	v_add_f64 v[54:55], v[50:51], -v[48:49]
	s_delay_alu instid0(VALU_DEP_1) | instskip(SKIP_1) | instid1(VALU_DEP_1)
	v_add_f64 v[25:26], v[25:26], -v[54:55]
	v_add_f64 v[54:55], v[50:51], -v[54:55]
	;; [unrolled: 1-line block ×3, first 2 shown]
	v_add_f64 v[54:55], v[28:29], v[50:51]
	s_delay_alu instid0(VALU_DEP_2) | instskip(NEXT) | instid1(VALU_DEP_2)
	v_add_f64 v[25:26], v[25:26], v[48:49]
	v_add_f64 v[28:29], v[54:55], -v[28:29]
	v_add_f64 v[48:49], v[52:53], v[46:47]
	v_ldexp_f64 v[54:55], v[54:55], -2
	s_delay_alu instid0(VALU_DEP_3) | instskip(NEXT) | instid1(VALU_DEP_3)
	v_add_f64 v[28:29], v[50:51], -v[28:29]
	v_add_f64 v[50:51], v[48:49], -v[52:53]
	s_delay_alu instid0(VALU_DEP_3) | instskip(SKIP_1) | instid1(VALU_DEP_3)
	v_cmp_neq_f64_e64 vcc_lo, 0x7ff00000, |v[54:55]|
	v_fract_f64_e32 v[54:55], v[54:55]
	v_add_f64 v[46:47], v[46:47], -v[50:51]
	v_add_f64 v[50:51], v[48:49], -v[50:51]
	s_delay_alu instid0(VALU_DEP_3) | instskip(NEXT) | instid1(VALU_DEP_2)
	v_dual_cndmask_b32 v55, 0, v55 :: v_dual_cndmask_b32 v54, 0, v54
	v_add_f64 v[50:51], v[52:53], -v[50:51]
	v_add_f64 v[52:53], v[48:49], v[25:26]
	s_delay_alu instid0(VALU_DEP_2) | instskip(NEXT) | instid1(VALU_DEP_2)
	v_add_f64 v[46:47], v[46:47], v[50:51]
	v_add_f64 v[56:57], v[52:53], -v[48:49]
	v_add_f64 v[50:51], v[28:29], v[52:53]
	s_delay_alu instid0(VALU_DEP_2) | instskip(SKIP_1) | instid1(VALU_DEP_3)
	v_add_f64 v[25:26], v[25:26], -v[56:57]
	v_add_f64 v[56:57], v[52:53], -v[56:57]
	;; [unrolled: 1-line block ×3, first 2 shown]
	s_delay_alu instid0(VALU_DEP_2) | instskip(NEXT) | instid1(VALU_DEP_2)
	v_add_f64 v[48:49], v[48:49], -v[56:57]
	v_add_f64 v[28:29], v[52:53], -v[28:29]
	s_delay_alu instid0(VALU_DEP_2) | instskip(SKIP_1) | instid1(VALU_DEP_2)
	v_add_f64 v[25:26], v[25:26], v[48:49]
	v_ldexp_f64 v[48:49], v[54:55], 2
	v_add_f64 v[25:26], v[46:47], v[25:26]
	s_delay_alu instid0(VALU_DEP_2) | instskip(NEXT) | instid1(VALU_DEP_2)
	v_add_f64 v[54:55], v[50:51], v[48:49]
	v_add_f64 v[24:25], v[23:24], v[25:26]
	s_delay_alu instid0(VALU_DEP_2) | instskip(NEXT) | instid1(VALU_DEP_2)
	v_cmp_gt_f64_e32 vcc_lo, 0, v[54:55]
	v_add_f64 v[24:25], v[28:29], v[24:25]
	v_cndmask_b32_e64 v23, 0, 0x40100000, vcc_lo
	s_delay_alu instid0(VALU_DEP_1) | instskip(NEXT) | instid1(VALU_DEP_1)
	v_add_f64 v[46:47], v[48:49], v[22:23]
	v_add_f64 v[48:49], v[50:51], v[46:47]
	s_delay_alu instid0(VALU_DEP_1) | instskip(NEXT) | instid1(VALU_DEP_1)
	v_cvt_i32_f64_e32 v52, v[48:49]
	v_cvt_f64_i32_e32 v[48:49], v52
	s_delay_alu instid0(VALU_DEP_1) | instskip(NEXT) | instid1(VALU_DEP_1)
	v_add_f64 v[46:47], v[46:47], -v[48:49]
	v_add_f64 v[28:29], v[50:51], v[46:47]
	s_delay_alu instid0(VALU_DEP_1) | instskip(SKIP_1) | instid1(VALU_DEP_2)
	v_add_f64 v[46:47], v[28:29], -v[46:47]
	v_cmp_le_f64_e32 vcc_lo, 0.5, v[28:29]
	v_add_f64 v[46:47], v[50:51], -v[46:47]
	v_cndmask_b32_e64 v23, 0, 0x3ff00000, vcc_lo
	s_delay_alu instid0(VALU_DEP_1) | instskip(NEXT) | instid1(VALU_DEP_3)
	v_add_f64 v[28:29], v[28:29], -v[22:23]
	v_add_f64 v[23:24], v[24:25], v[46:47]
	s_delay_alu instid0(VALU_DEP_1) | instskip(NEXT) | instid1(VALU_DEP_1)
	v_add_f64 v[25:26], v[28:29], v[23:24]
	v_add_f64 v[28:29], v[25:26], -v[28:29]
	s_delay_alu instid0(VALU_DEP_1) | instskip(SKIP_1) | instid1(VALU_DEP_1)
	v_add_f64 v[23:24], v[23:24], -v[28:29]
	v_mul_f64 v[28:29], v[25:26], s[14:15]
	v_fma_f64 v[46:47], v[25:26], s[14:15], -v[28:29]
	s_delay_alu instid0(VALU_DEP_1) | instskip(NEXT) | instid1(VALU_DEP_1)
	v_fma_f64 v[25:26], v[25:26], s[20:21], v[46:47]
	v_fma_f64 v[25:26], v[23:24], s[14:15], v[25:26]
	s_delay_alu instid0(VALU_DEP_1) | instskip(NEXT) | instid1(VALU_DEP_1)
	v_add_f64 v[23:24], v[28:29], v[25:26]
	v_add_f64 v[28:29], v[23:24], -v[28:29]
	s_delay_alu instid0(VALU_DEP_1)
	v_add_f64 v[25:26], v[25:26], -v[28:29]
	v_add_co_ci_u32_e32 v28, vcc_lo, 0, v52, vcc_lo
	s_and_not1_saveexec_b32 s4, s4
	s_cbranch_execnz .LBB94_241
	s_branch .LBB94_242
.LBB94_240:                             ;   in Loop: Header=BB94_161 Depth=1
	s_and_not1_saveexec_b32 s4, s4
	s_cbranch_execz .LBB94_242
.LBB94_241:                             ;   in Loop: Header=BB94_161 Depth=1
	v_mul_f64 v[23:24], |v[18:19]|, s[22:23]
	s_mov_b32 s18, s24
	s_delay_alu instid0(VALU_DEP_1) | instskip(NEXT) | instid1(VALU_DEP_1)
	v_rndne_f64_e32 v[28:29], v[23:24]
	v_fma_f64 v[23:24], v[28:29], s[16:17], |v[18:19]|
	v_mul_f64 v[25:26], v[28:29], s[24:25]
	s_delay_alu instid0(VALU_DEP_2) | instskip(NEXT) | instid1(VALU_DEP_2)
	v_fma_f64 v[48:49], v[28:29], s[24:25], v[23:24]
	v_add_f64 v[46:47], v[23:24], v[25:26]
	s_delay_alu instid0(VALU_DEP_1) | instskip(NEXT) | instid1(VALU_DEP_3)
	v_add_f64 v[23:24], v[23:24], -v[46:47]
	v_add_f64 v[46:47], v[46:47], -v[48:49]
	s_delay_alu instid0(VALU_DEP_2) | instskip(SKIP_1) | instid1(VALU_DEP_2)
	v_add_f64 v[23:24], v[23:24], v[25:26]
	v_fma_f64 v[25:26], v[28:29], s[18:19], v[25:26]
	v_add_f64 v[23:24], v[46:47], v[23:24]
	s_delay_alu instid0(VALU_DEP_1) | instskip(NEXT) | instid1(VALU_DEP_1)
	v_add_f64 v[23:24], v[23:24], -v[25:26]
	v_fma_f64 v[25:26], v[28:29], s[26:27], v[23:24]
	v_cvt_i32_f64_e32 v28, v[28:29]
	s_delay_alu instid0(VALU_DEP_2) | instskip(NEXT) | instid1(VALU_DEP_1)
	v_add_f64 v[23:24], v[48:49], v[25:26]
	v_add_f64 v[46:47], v[23:24], -v[48:49]
	s_delay_alu instid0(VALU_DEP_1)
	v_add_f64 v[25:26], v[25:26], -v[46:47]
.LBB94_242:                             ;   in Loop: Header=BB94_161 Depth=1
	s_or_b32 exec_lo, exec_lo, s4
	v_cmp_class_f64_e64 vcc_lo, v[18:19], 0x1f8
	s_delay_alu instid0(VALU_DEP_3) | instskip(NEXT) | instid1(VALU_DEP_3)
	v_lshlrev_b32_e32 v18, 30, v27
	v_mul_f64 v[52:53], v[20:21], 0.5
	s_delay_alu instid0(VALU_DEP_4) | instskip(SKIP_1) | instid1(VALU_DEP_3)
	v_mul_f64 v[58:59], v[25:26], 0.5
	s_mov_b32 s42, s44
	v_xor_b32_e32 v29, v18, v19
	v_mul_f64 v[18:19], v[10:11], v[10:11]
	s_delay_alu instid0(VALU_DEP_1) | instskip(SKIP_1) | instid1(VALU_DEP_2)
	v_mul_f64 v[46:47], v[18:19], 0.5
	v_mul_f64 v[54:55], v[10:11], -v[18:19]
	v_add_f64 v[48:49], -v[46:47], 1.0
	s_delay_alu instid0(VALU_DEP_1) | instskip(NEXT) | instid1(VALU_DEP_1)
	v_add_f64 v[50:51], -v[48:49], 1.0
	v_add_f64 v[46:47], v[50:51], -v[46:47]
	v_fma_f64 v[50:51], v[18:19], s[34:35], s[30:31]
	s_delay_alu instid0(VALU_DEP_2) | instskip(NEXT) | instid1(VALU_DEP_2)
	v_fma_f64 v[46:47], v[10:11], -v[20:21], v[46:47]
	v_fma_f64 v[50:51], v[18:19], v[50:51], s[36:37]
	s_delay_alu instid0(VALU_DEP_1) | instskip(NEXT) | instid1(VALU_DEP_1)
	v_fma_f64 v[50:51], v[18:19], v[50:51], s[38:39]
	v_fma_f64 v[50:51], v[18:19], v[50:51], s[40:41]
	s_delay_alu instid0(VALU_DEP_1) | instskip(NEXT) | instid1(VALU_DEP_1)
	v_fma_f64 v[50:51], v[54:55], v[50:51], v[52:53]
	v_fma_f64 v[20:21], v[18:19], v[50:51], -v[20:21]
	v_fma_f64 v[50:51], v[18:19], s[98:99], s[96:97]
	s_delay_alu instid0(VALU_DEP_2) | instskip(NEXT) | instid1(VALU_DEP_2)
	v_fma_f64 v[20:21], v[54:55], s[42:43], v[20:21]
	v_fma_f64 v[50:51], v[18:19], v[50:51], s[100:101]
	s_delay_alu instid0(VALU_DEP_2) | instskip(NEXT) | instid1(VALU_DEP_2)
	v_add_f64 v[10:11], v[10:11], -v[20:21]
	v_fma_f64 v[50:51], v[18:19], v[50:51], s[102:103]
	s_delay_alu instid0(VALU_DEP_1) | instskip(NEXT) | instid1(VALU_DEP_1)
	v_fma_f64 v[50:51], v[18:19], v[50:51], s[28:29]
	v_fma_f64 v[50:51], v[18:19], v[50:51], s[44:45]
	v_mul_f64 v[18:19], v[18:19], v[18:19]
	s_delay_alu instid0(VALU_DEP_1) | instskip(SKIP_1) | instid1(VALU_DEP_2)
	v_fma_f64 v[18:19], v[18:19], v[50:51], v[46:47]
	v_mul_f64 v[46:47], v[23:24], v[23:24]
	v_add_f64 v[18:19], v[48:49], v[18:19]
	s_delay_alu instid0(VALU_DEP_2) | instskip(SKIP_1) | instid1(VALU_DEP_2)
	v_mul_f64 v[50:51], v[46:47], 0.5
	v_mul_f64 v[60:61], v[23:24], -v[46:47]
	v_add_f64 v[52:53], -v[50:51], 1.0
	s_delay_alu instid0(VALU_DEP_1) | instskip(NEXT) | instid1(VALU_DEP_1)
	v_add_f64 v[56:57], -v[52:53], 1.0
	v_add_f64 v[50:51], v[56:57], -v[50:51]
	v_fma_f64 v[56:57], v[46:47], s[34:35], s[30:31]
	s_delay_alu instid0(VALU_DEP_2) | instskip(NEXT) | instid1(VALU_DEP_2)
	v_fma_f64 v[50:51], v[23:24], -v[25:26], v[50:51]
	v_fma_f64 v[56:57], v[46:47], v[56:57], s[36:37]
	s_delay_alu instid0(VALU_DEP_1) | instskip(NEXT) | instid1(VALU_DEP_1)
	v_fma_f64 v[56:57], v[46:47], v[56:57], s[38:39]
	v_fma_f64 v[56:57], v[46:47], v[56:57], s[40:41]
	s_delay_alu instid0(VALU_DEP_1) | instskip(NEXT) | instid1(VALU_DEP_1)
	v_fma_f64 v[56:57], v[60:61], v[56:57], v[58:59]
	v_fma_f64 v[25:26], v[46:47], v[56:57], -v[25:26]
	v_fma_f64 v[56:57], v[46:47], s[98:99], s[96:97]
	s_delay_alu instid0(VALU_DEP_2) | instskip(NEXT) | instid1(VALU_DEP_2)
	v_fma_f64 v[25:26], v[60:61], s[42:43], v[25:26]
	v_fma_f64 v[56:57], v[46:47], v[56:57], s[100:101]
	s_delay_alu instid0(VALU_DEP_2) | instskip(NEXT) | instid1(VALU_DEP_2)
	v_add_f64 v[23:24], v[23:24], -v[25:26]
	v_fma_f64 v[56:57], v[46:47], v[56:57], s[102:103]
	v_and_b32_e32 v25, 1, v27
	s_delay_alu instid0(VALU_DEP_1) | instskip(SKIP_1) | instid1(VALU_DEP_2)
	v_cmp_eq_u32_e64 s4, 0, v25
	v_and_b32_e32 v25, 0x80000000, v29
	v_cndmask_b32_e64 v11, v19, v11, s4
	v_cndmask_b32_e64 v10, v18, v10, s4
	s_delay_alu instid0(VALU_DEP_2) | instskip(NEXT) | instid1(VALU_DEP_2)
	v_xor_b32_e32 v11, v11, v25
	v_cndmask_b32_e32 v10, 0, v10, vcc_lo
	s_delay_alu instid0(VALU_DEP_2) | instskip(NEXT) | instid1(VALU_DEP_1)
	v_dual_cndmask_b32 v11, 0x7ff80000, v11 :: v_dual_and_b32 v26, 1, v28
	v_cmp_eq_u32_e64 s5, 0, v26
	v_xor_b32_e32 v24, 0x80000000, v24
	v_fma_f64 v[56:57], v[46:47], v[56:57], s[28:29]
	s_delay_alu instid0(VALU_DEP_1) | instskip(SKIP_1) | instid1(VALU_DEP_1)
	v_fma_f64 v[56:57], v[46:47], v[56:57], s[44:45]
	v_mul_f64 v[46:47], v[46:47], v[46:47]
	v_fma_f64 v[46:47], v[46:47], v[56:57], v[50:51]
	s_delay_alu instid0(VALU_DEP_1) | instskip(NEXT) | instid1(VALU_DEP_1)
	v_add_f64 v[20:21], v[52:53], v[46:47]
	v_cndmask_b32_e64 v18, v23, v20, s5
	v_lshlrev_b32_e32 v27, 30, v28
	s_delay_alu instid0(VALU_DEP_3) | instskip(NEXT) | instid1(VALU_DEP_2)
	v_cndmask_b32_e64 v21, v24, v21, s5
	v_dual_cndmask_b32 v18, 0, v18 :: v_dual_and_b32 v19, 0x80000000, v27
	s_delay_alu instid0(VALU_DEP_1) | instskip(NEXT) | instid1(VALU_DEP_1)
	v_xor_b32_e32 v19, v21, v19
	v_cndmask_b32_e32 v19, 0x7ff80000, v19, vcc_lo
	s_delay_alu instid0(VALU_DEP_1)
	v_mul_f64 v[18:19], v[10:11], v[18:19]
.LBB94_243:                             ;   in Loop: Header=BB94_161 Depth=1
	s_or_b32 exec_lo, exec_lo, s64
	s_delay_alu instid0(VALU_DEP_1) | instskip(SKIP_2) | instid1(VALU_DEP_3)
	v_bfi_b32 v23, 0x7fffffff, 0, v19
	v_add_co_u32 v12, vcc_lo, v12, 0
	v_add_co_ci_u32_e32 v13, vcc_lo, -2.0, v13, vcc_lo
	v_dual_mov_b32 v10, v22 :: v_dual_mov_b32 v11, v23
.LBB94_244:                             ;   in Loop: Header=BB94_161 Depth=1
	s_or_b32 exec_lo, exec_lo, s60
.LBB94_245:                             ;   in Loop: Header=BB94_161 Depth=1
	s_delay_alu instid0(SALU_CYCLE_1) | instskip(SKIP_3) | instid1(VALU_DEP_2)
	s_or_b32 exec_lo, exec_lo, s47
	v_xor_b32_e32 v21, 0x80000000, v17
	v_mov_b32_e32 v20, v16
	s_mov_b32 s4, exec_lo
	v_and_b32_e32 v18, 0x7fffffff, v21
	s_delay_alu instid0(VALU_DEP_1)
	v_cmpx_gt_u32_e32 0x7ff00000, v18
	s_xor_b32 s5, exec_lo, s4
	s_cbranch_execz .LBB94_267
; %bb.246:                              ;   in Loop: Header=BB94_161 Depth=1
	v_cmp_class_f64_e64 s4, v[14:15], 0x1f8
	s_delay_alu instid0(VALU_DEP_1) | instskip(NEXT) | instid1(SALU_CYCLE_1)
	s_and_saveexec_b32 s14, s4
	s_xor_b32 s47, exec_lo, s14
	s_cbranch_execz .LBB94_264
; %bb.247:                              ;   in Loop: Header=BB94_161 Depth=1
	s_mov_b32 s4, exec_lo
	v_cmpx_gt_u32_e32 0x40360000, v18
	s_xor_b32 s42, exec_lo, s4
	s_cbranch_execz .LBB94_253
; %bb.248:                              ;   in Loop: Header=BB94_161 Depth=1
	v_cmp_ngt_f64_e64 s4, 0x41d00000, |v[14:15]|
                                        ; implicit-def: $vgpr20
                                        ; implicit-def: $vgpr18_vgpr19
                                        ; implicit-def: $vgpr23_vgpr24
	s_delay_alu instid0(VALU_DEP_1) | instskip(NEXT) | instid1(SALU_CYCLE_1)
	s_and_saveexec_b32 s14, s4
	s_xor_b32 s4, exec_lo, s14
	s_cbranch_execz .LBB94_250
; %bb.249:                              ;   in Loop: Header=BB94_161 Depth=1
	v_ldexp_f64 v[18:19], |v[14:15]|, 0xffffff80
	v_cmp_le_f64_e64 vcc_lo, 0x7b000000, |v[14:15]|
	v_trig_preop_f64 v[23:24], |v[14:15]|, 0
	v_and_b32_e32 v20, 0x7fffffff, v15
	v_trig_preop_f64 v[27:28], |v[14:15]|, 1
	v_trig_preop_f64 v[48:49], |v[14:15]|, 2
	s_mov_b32 s14, s16
	s_mov_b32 s21, s19
	v_dual_cndmask_b32 v19, v20, v19 :: v_dual_cndmask_b32 v18, v14, v18
	s_delay_alu instid0(VALU_DEP_1) | instskip(NEXT) | instid1(VALU_DEP_4)
	v_mul_f64 v[25:26], v[23:24], v[18:19]
	v_mul_f64 v[46:47], v[27:28], v[18:19]
	s_delay_alu instid0(VALU_DEP_4) | instskip(NEXT) | instid1(VALU_DEP_3)
	v_mul_f64 v[50:51], v[48:49], v[18:19]
	v_fma_f64 v[23:24], v[23:24], v[18:19], -v[25:26]
	s_delay_alu instid0(VALU_DEP_3) | instskip(NEXT) | instid1(VALU_DEP_3)
	v_fma_f64 v[27:28], v[27:28], v[18:19], -v[46:47]
	v_fma_f64 v[18:19], v[48:49], v[18:19], -v[50:51]
	s_delay_alu instid0(VALU_DEP_3) | instskip(NEXT) | instid1(VALU_DEP_1)
	v_add_f64 v[48:49], v[46:47], v[23:24]
	v_add_f64 v[52:53], v[48:49], -v[46:47]
	s_delay_alu instid0(VALU_DEP_1) | instskip(SKIP_1) | instid1(VALU_DEP_1)
	v_add_f64 v[23:24], v[23:24], -v[52:53]
	v_add_f64 v[52:53], v[48:49], -v[52:53]
	;; [unrolled: 1-line block ×3, first 2 shown]
	v_add_f64 v[52:53], v[25:26], v[48:49]
	s_delay_alu instid0(VALU_DEP_2) | instskip(NEXT) | instid1(VALU_DEP_2)
	v_add_f64 v[23:24], v[23:24], v[46:47]
	v_add_f64 v[25:26], v[52:53], -v[25:26]
	v_add_f64 v[46:47], v[50:51], v[27:28]
	v_ldexp_f64 v[52:53], v[52:53], -2
	s_delay_alu instid0(VALU_DEP_3) | instskip(NEXT) | instid1(VALU_DEP_3)
	v_add_f64 v[25:26], v[48:49], -v[25:26]
	v_add_f64 v[48:49], v[46:47], -v[50:51]
	s_delay_alu instid0(VALU_DEP_3) | instskip(SKIP_1) | instid1(VALU_DEP_3)
	v_cmp_neq_f64_e64 vcc_lo, 0x7ff00000, |v[52:53]|
	v_fract_f64_e32 v[52:53], v[52:53]
	v_add_f64 v[27:28], v[27:28], -v[48:49]
	v_add_f64 v[48:49], v[46:47], -v[48:49]
	s_delay_alu instid0(VALU_DEP_3) | instskip(NEXT) | instid1(VALU_DEP_2)
	v_dual_cndmask_b32 v53, 0, v53 :: v_dual_cndmask_b32 v52, 0, v52
	v_add_f64 v[48:49], v[50:51], -v[48:49]
	v_add_f64 v[50:51], v[46:47], v[23:24]
	s_delay_alu instid0(VALU_DEP_2) | instskip(NEXT) | instid1(VALU_DEP_2)
	v_add_f64 v[27:28], v[27:28], v[48:49]
	v_add_f64 v[54:55], v[50:51], -v[46:47]
	v_add_f64 v[48:49], v[25:26], v[50:51]
	s_delay_alu instid0(VALU_DEP_2) | instskip(SKIP_1) | instid1(VALU_DEP_3)
	v_add_f64 v[23:24], v[23:24], -v[54:55]
	v_add_f64 v[54:55], v[50:51], -v[54:55]
	;; [unrolled: 1-line block ×3, first 2 shown]
	s_delay_alu instid0(VALU_DEP_2) | instskip(NEXT) | instid1(VALU_DEP_2)
	v_add_f64 v[46:47], v[46:47], -v[54:55]
	v_add_f64 v[25:26], v[50:51], -v[25:26]
	s_delay_alu instid0(VALU_DEP_2) | instskip(SKIP_1) | instid1(VALU_DEP_2)
	v_add_f64 v[23:24], v[23:24], v[46:47]
	v_ldexp_f64 v[46:47], v[52:53], 2
	v_add_f64 v[23:24], v[27:28], v[23:24]
	s_delay_alu instid0(VALU_DEP_2) | instskip(NEXT) | instid1(VALU_DEP_2)
	v_add_f64 v[52:53], v[48:49], v[46:47]
	v_add_f64 v[18:19], v[18:19], v[23:24]
	s_delay_alu instid0(VALU_DEP_2) | instskip(NEXT) | instid1(VALU_DEP_2)
	v_cmp_gt_f64_e32 vcc_lo, 0, v[52:53]
	v_add_f64 v[18:19], v[25:26], v[18:19]
	v_cndmask_b32_e64 v23, 0, 0x40100000, vcc_lo
	s_delay_alu instid0(VALU_DEP_1) | instskip(NEXT) | instid1(VALU_DEP_1)
	v_add_f64 v[23:24], v[46:47], v[22:23]
	v_add_f64 v[27:28], v[48:49], v[23:24]
	s_delay_alu instid0(VALU_DEP_1) | instskip(NEXT) | instid1(VALU_DEP_1)
	v_cvt_i32_f64_e32 v20, v[27:28]
	v_cvt_f64_i32_e32 v[27:28], v20
	s_delay_alu instid0(VALU_DEP_1) | instskip(NEXT) | instid1(VALU_DEP_1)
	v_add_f64 v[23:24], v[23:24], -v[27:28]
	v_add_f64 v[25:26], v[48:49], v[23:24]
	s_delay_alu instid0(VALU_DEP_1) | instskip(SKIP_1) | instid1(VALU_DEP_2)
	v_add_f64 v[23:24], v[25:26], -v[23:24]
	v_cmp_le_f64_e32 vcc_lo, 0.5, v[25:26]
	v_add_f64 v[27:28], v[48:49], -v[23:24]
	v_cndmask_b32_e64 v23, 0, 0x3ff00000, vcc_lo
	v_add_co_ci_u32_e32 v20, vcc_lo, 0, v20, vcc_lo
	s_delay_alu instid0(VALU_DEP_2) | instskip(NEXT) | instid1(VALU_DEP_4)
	v_add_f64 v[23:24], v[25:26], -v[22:23]
	v_add_f64 v[18:19], v[18:19], v[27:28]
	s_delay_alu instid0(VALU_DEP_1) | instskip(NEXT) | instid1(VALU_DEP_1)
	v_add_f64 v[25:26], v[23:24], v[18:19]
	v_add_f64 v[23:24], v[25:26], -v[23:24]
	s_delay_alu instid0(VALU_DEP_1) | instskip(SKIP_1) | instid1(VALU_DEP_1)
	v_add_f64 v[18:19], v[18:19], -v[23:24]
	v_mul_f64 v[23:24], v[25:26], s[14:15]
	v_fma_f64 v[27:28], v[25:26], s[14:15], -v[23:24]
	s_delay_alu instid0(VALU_DEP_1) | instskip(NEXT) | instid1(VALU_DEP_1)
	v_fma_f64 v[25:26], v[25:26], s[20:21], v[27:28]
	v_fma_f64 v[25:26], v[18:19], s[14:15], v[25:26]
	s_delay_alu instid0(VALU_DEP_1) | instskip(NEXT) | instid1(VALU_DEP_1)
	v_add_f64 v[18:19], v[23:24], v[25:26]
	v_add_f64 v[23:24], v[18:19], -v[23:24]
	s_delay_alu instid0(VALU_DEP_1)
	v_add_f64 v[23:24], v[25:26], -v[23:24]
.LBB94_250:                             ;   in Loop: Header=BB94_161 Depth=1
	s_and_not1_saveexec_b32 s4, s4
	s_cbranch_execz .LBB94_252
; %bb.251:                              ;   in Loop: Header=BB94_161 Depth=1
	v_mul_f64 v[18:19], |v[14:15]|, s[22:23]
	s_mov_b32 s18, s24
	s_delay_alu instid0(VALU_DEP_1) | instskip(NEXT) | instid1(VALU_DEP_1)
	v_rndne_f64_e32 v[25:26], v[18:19]
	v_fma_f64 v[18:19], v[25:26], s[16:17], |v[14:15]|
	v_mul_f64 v[23:24], v[25:26], s[24:25]
	v_cvt_i32_f64_e32 v20, v[25:26]
	s_delay_alu instid0(VALU_DEP_3) | instskip(NEXT) | instid1(VALU_DEP_3)
	v_fma_f64 v[46:47], v[25:26], s[24:25], v[18:19]
	v_add_f64 v[27:28], v[18:19], v[23:24]
	s_delay_alu instid0(VALU_DEP_1) | instskip(NEXT) | instid1(VALU_DEP_3)
	v_add_f64 v[18:19], v[18:19], -v[27:28]
	v_add_f64 v[27:28], v[27:28], -v[46:47]
	s_delay_alu instid0(VALU_DEP_2) | instskip(SKIP_1) | instid1(VALU_DEP_2)
	v_add_f64 v[18:19], v[18:19], v[23:24]
	v_fma_f64 v[23:24], v[25:26], s[18:19], v[23:24]
	v_add_f64 v[18:19], v[27:28], v[18:19]
	s_delay_alu instid0(VALU_DEP_1) | instskip(NEXT) | instid1(VALU_DEP_1)
	v_add_f64 v[18:19], v[18:19], -v[23:24]
	v_fma_f64 v[23:24], v[25:26], s[26:27], v[18:19]
	s_delay_alu instid0(VALU_DEP_1) | instskip(NEXT) | instid1(VALU_DEP_1)
	v_add_f64 v[18:19], v[46:47], v[23:24]
	v_add_f64 v[27:28], v[18:19], -v[46:47]
	s_delay_alu instid0(VALU_DEP_1)
	v_add_f64 v[23:24], v[23:24], -v[27:28]
.LBB94_252:                             ;   in Loop: Header=BB94_161 Depth=1
	s_or_b32 exec_lo, exec_lo, s4
	v_add_f64 v[25:26], |v[16:17]|, s[58:59]
	s_mov_b32 s60, s58
	s_mov_b32 s64, s66
	s_mov_b32 s69, s59
	s_mov_b32 s87, s41
	s_mov_b32 s89, s45
	v_cmp_nge_f64_e64 vcc_lo, |v[16:17]|, s[94:95]
	v_cmp_gt_f64_e64 s4, 0x3e400000, |v[16:17]|
	s_mov_b32 s50, 0xa9a29f71
	s_mov_b32 s52, 0xc751c08c
	;; [unrolled: 1-line block ×4, first 2 shown]
	v_and_b32_e32 v20, 1, v20
	s_delay_alu instid0(VALU_DEP_4) | instskip(NEXT) | instid1(VALU_DEP_1)
	v_add_f64 v[27:28], v[25:26], -|v[16:17]|
	v_add_f64 v[46:47], v[27:28], -v[25:26]
	v_add_f64 v[27:28], v[27:28], s[60:61]
	s_delay_alu instid0(VALU_DEP_2) | instskip(NEXT) | instid1(VALU_DEP_1)
	v_add_f64 v[46:47], |v[16:17]|, v[46:47]
	v_add_f64 v[27:28], v[46:47], -v[27:28]
	s_delay_alu instid0(VALU_DEP_1) | instskip(NEXT) | instid1(VALU_DEP_1)
	v_add_f64 v[27:28], v[27:28], s[62:63]
	v_add_f64 v[46:47], v[25:26], v[27:28]
	s_delay_alu instid0(VALU_DEP_1) | instskip(NEXT) | instid1(VALU_DEP_1)
	v_add_f64 v[25:26], v[25:26], -v[46:47]
	v_add_f64 v[25:26], v[27:28], v[25:26]
	v_mul_f64 v[27:28], v[46:47], s[64:65]
	s_delay_alu instid0(VALU_DEP_1) | instskip(NEXT) | instid1(VALU_DEP_1)
	v_rndne_f64_e32 v[27:28], v[27:28]
	v_fma_f64 v[46:47], v[27:28], s[68:69], v[46:47]
	v_cvt_i32_f64_e32 v14, v[27:28]
	s_delay_alu instid0(VALU_DEP_2) | instskip(NEXT) | instid1(VALU_DEP_1)
	v_add_f64 v[48:49], v[25:26], v[46:47]
	v_add_f64 v[46:47], v[46:47], -v[48:49]
	s_delay_alu instid0(VALU_DEP_1) | instskip(SKIP_1) | instid1(VALU_DEP_1)
	v_add_f64 v[25:26], v[25:26], v[46:47]
	v_mul_f64 v[46:47], v[27:28], s[70:71]
	v_add_f64 v[50:51], v[48:49], v[46:47]
	s_delay_alu instid0(VALU_DEP_1) | instskip(NEXT) | instid1(VALU_DEP_1)
	v_add_f64 v[48:49], v[48:49], -v[50:51]
	v_add_f64 v[46:47], v[48:49], v[46:47]
	s_delay_alu instid0(VALU_DEP_1) | instskip(NEXT) | instid1(VALU_DEP_1)
	v_add_f64 v[25:26], v[25:26], v[46:47]
	v_add_f64 v[46:47], v[50:51], v[25:26]
	s_delay_alu instid0(VALU_DEP_1) | instskip(NEXT) | instid1(VALU_DEP_1)
	v_add_f64 v[48:49], v[50:51], -v[46:47]
	v_add_f64 v[25:26], v[25:26], v[48:49]
	v_mul_f64 v[48:49], v[27:28], s[72:73]
	s_delay_alu instid0(VALU_DEP_1) | instskip(NEXT) | instid1(VALU_DEP_1)
	v_add_f64 v[50:51], v[46:47], v[48:49]
	v_add_f64 v[46:47], v[46:47], -v[50:51]
	s_delay_alu instid0(VALU_DEP_1) | instskip(NEXT) | instid1(VALU_DEP_1)
	v_add_f64 v[46:47], v[46:47], v[48:49]
	v_add_f64 v[25:26], v[25:26], v[46:47]
	s_delay_alu instid0(VALU_DEP_1) | instskip(NEXT) | instid1(VALU_DEP_1)
	v_add_f64 v[46:47], v[50:51], v[25:26]
	v_add_f64 v[48:49], v[50:51], -v[46:47]
	s_delay_alu instid0(VALU_DEP_1) | instskip(SKIP_1) | instid1(VALU_DEP_2)
	v_add_f64 v[25:26], v[25:26], v[48:49]
	v_mul_f64 v[48:49], v[46:47], v[46:47]
	v_add_f64 v[52:53], v[25:26], v[25:26]
	s_delay_alu instid0(VALU_DEP_2) | instskip(NEXT) | instid1(VALU_DEP_1)
	v_fma_f64 v[50:51], v[46:47], v[46:47], -v[48:49]
	v_fma_f64 v[50:51], v[46:47], v[52:53], v[50:51]
	s_delay_alu instid0(VALU_DEP_1) | instskip(NEXT) | instid1(VALU_DEP_1)
	v_add_f64 v[52:53], v[48:49], v[50:51]
	v_add_f64 v[48:49], v[52:53], -v[48:49]
	s_delay_alu instid0(VALU_DEP_1) | instskip(SKIP_1) | instid1(VALU_DEP_1)
	v_add_f64 v[48:49], v[50:51], -v[48:49]
	v_fma_f64 v[50:51], v[46:47], s[76:77], s[74:75]
	v_fma_f64 v[50:51], v[46:47], v[50:51], s[78:79]
	s_delay_alu instid0(VALU_DEP_1) | instskip(NEXT) | instid1(VALU_DEP_1)
	v_fma_f64 v[50:51], v[46:47], v[50:51], s[80:81]
	v_fma_f64 v[50:51], v[46:47], v[50:51], s[82:83]
	s_delay_alu instid0(VALU_DEP_1) | instskip(NEXT) | instid1(VALU_DEP_1)
	;; [unrolled: 3-line block ×4, first 2 shown]
	v_fma_f64 v[50:51], v[46:47], v[50:51], s[92:93]
	v_mul_f64 v[54:55], v[52:53], v[50:51]
	s_delay_alu instid0(VALU_DEP_1) | instskip(NEXT) | instid1(VALU_DEP_1)
	v_fma_f64 v[52:53], v[52:53], v[50:51], -v[54:55]
	v_fma_f64 v[48:49], v[48:49], v[50:51], v[52:53]
	s_delay_alu instid0(VALU_DEP_1) | instskip(NEXT) | instid1(VALU_DEP_1)
	v_add_f64 v[50:51], v[54:55], v[48:49]
	v_add_f64 v[52:53], v[50:51], -v[54:55]
	s_delay_alu instid0(VALU_DEP_1) | instskip(SKIP_1) | instid1(VALU_DEP_2)
	v_add_f64 v[48:49], v[48:49], -v[52:53]
	v_add_f64 v[52:53], v[46:47], v[50:51]
	v_add_f64 v[25:26], v[25:26], v[48:49]
	s_delay_alu instid0(VALU_DEP_2) | instskip(NEXT) | instid1(VALU_DEP_1)
	v_add_f64 v[46:47], v[52:53], -v[46:47]
	v_add_f64 v[46:47], v[50:51], -v[46:47]
	s_delay_alu instid0(VALU_DEP_1) | instskip(NEXT) | instid1(VALU_DEP_1)
	v_add_f64 v[25:26], v[25:26], v[46:47]
	v_add_f64 v[46:47], v[52:53], v[25:26]
	s_delay_alu instid0(VALU_DEP_1) | instskip(NEXT) | instid1(VALU_DEP_1)
	v_add_f64 v[48:49], v[46:47], -v[52:53]
	v_add_f64 v[25:26], v[25:26], -v[48:49]
	v_add_f64 v[48:49], v[46:47], 1.0
	s_delay_alu instid0(VALU_DEP_1) | instskip(NEXT) | instid1(VALU_DEP_1)
	v_add_f64 v[50:51], v[48:49], -1.0
	v_add_f64 v[46:47], v[46:47], -v[50:51]
	s_delay_alu instid0(VALU_DEP_1) | instskip(NEXT) | instid1(VALU_DEP_1)
	v_add_f64 v[25:26], v[25:26], v[46:47]
	v_add_f64 v[27:28], v[48:49], v[25:26]
	s_delay_alu instid0(VALU_DEP_1) | instskip(SKIP_1) | instid1(VALU_DEP_2)
	v_add_f64 v[46:47], v[27:28], -v[48:49]
	v_ldexp_f64 v[27:28], v[27:28], v14
	v_add_f64 v[25:26], v[25:26], -v[46:47]
	s_delay_alu instid0(VALU_DEP_2) | instskip(NEXT) | instid1(VALU_DEP_1)
	v_rcp_f64_e32 v[48:49], v[27:28]
	v_ldexp_f64 v[25:26], v[25:26], v14
	v_and_b32_e32 v14, 0x7fffffff, v17
	s_waitcnt_depctr 0xfff
	v_fma_f64 v[50:51], -v[27:28], v[48:49], 1.0
	s_delay_alu instid0(VALU_DEP_1) | instskip(NEXT) | instid1(VALU_DEP_1)
	v_fma_f64 v[48:49], v[50:51], v[48:49], v[48:49]
	v_fma_f64 v[46:47], -v[27:28], v[48:49], 1.0
	s_delay_alu instid0(VALU_DEP_1) | instskip(NEXT) | instid1(VALU_DEP_1)
	v_fma_f64 v[46:47], v[46:47], v[48:49], v[48:49]
	v_mul_f64 v[48:49], v[27:28], v[46:47]
	s_delay_alu instid0(VALU_DEP_1) | instskip(NEXT) | instid1(VALU_DEP_1)
	v_fma_f64 v[50:51], v[46:47], v[27:28], -v[48:49]
	v_fma_f64 v[50:51], v[46:47], v[25:26], v[50:51]
	s_delay_alu instid0(VALU_DEP_1) | instskip(NEXT) | instid1(VALU_DEP_1)
	v_add_f64 v[52:53], v[48:49], v[50:51]
	v_add_f64 v[48:49], v[52:53], -v[48:49]
	s_delay_alu instid0(VALU_DEP_1) | instskip(SKIP_1) | instid1(VALU_DEP_1)
	v_add_f64 v[48:49], v[48:49], -v[50:51]
	v_add_f64 v[50:51], -v[52:53], 1.0
	v_add_f64 v[54:55], -v[50:51], 1.0
	s_delay_alu instid0(VALU_DEP_1) | instskip(NEXT) | instid1(VALU_DEP_1)
	v_add_f64 v[52:53], v[54:55], -v[52:53]
	v_add_f64 v[48:49], v[48:49], v[52:53]
	s_delay_alu instid0(VALU_DEP_1) | instskip(NEXT) | instid1(VALU_DEP_1)
	v_add_f64 v[52:53], v[50:51], v[48:49]
	v_add_f64 v[50:51], v[50:51], -v[52:53]
	s_delay_alu instid0(VALU_DEP_1) | instskip(SKIP_1) | instid1(VALU_DEP_1)
	v_add_f64 v[48:49], v[48:49], v[50:51]
	v_mul_f64 v[50:51], v[46:47], v[52:53]
	v_mul_f64 v[54:55], v[27:28], v[50:51]
	s_delay_alu instid0(VALU_DEP_1) | instskip(NEXT) | instid1(VALU_DEP_1)
	v_fma_f64 v[56:57], v[50:51], v[27:28], -v[54:55]
	v_fma_f64 v[56:57], v[50:51], v[25:26], v[56:57]
	s_delay_alu instid0(VALU_DEP_1) | instskip(NEXT) | instid1(VALU_DEP_1)
	v_add_f64 v[58:59], v[54:55], v[56:57]
	v_add_f64 v[60:61], v[52:53], -v[58:59]
	v_add_f64 v[54:55], v[58:59], -v[54:55]
	s_delay_alu instid0(VALU_DEP_2) | instskip(NEXT) | instid1(VALU_DEP_2)
	v_add_f64 v[52:53], v[52:53], -v[60:61]
	v_add_f64 v[54:55], v[54:55], -v[56:57]
	s_delay_alu instid0(VALU_DEP_2) | instskip(NEXT) | instid1(VALU_DEP_1)
	v_add_f64 v[52:53], v[52:53], -v[58:59]
	v_add_f64 v[48:49], v[48:49], v[52:53]
	v_add_f64 v[52:53], v[46:47], v[50:51]
	s_delay_alu instid0(VALU_DEP_2) | instskip(NEXT) | instid1(VALU_DEP_2)
	v_add_f64 v[48:49], v[54:55], v[48:49]
	v_add_f64 v[54:55], v[52:53], -v[46:47]
	s_delay_alu instid0(VALU_DEP_2) | instskip(NEXT) | instid1(VALU_DEP_2)
	v_add_f64 v[48:49], v[60:61], v[48:49]
	v_add_f64 v[50:51], v[50:51], -v[54:55]
	s_delay_alu instid0(VALU_DEP_2) | instskip(NEXT) | instid1(VALU_DEP_1)
	v_mul_f64 v[46:47], v[46:47], v[48:49]
	v_add_f64 v[46:47], v[50:51], v[46:47]
	s_delay_alu instid0(VALU_DEP_1) | instskip(NEXT) | instid1(VALU_DEP_1)
	v_add_f64 v[48:49], v[52:53], v[46:47]
	v_add_f64 v[50:51], v[48:49], -v[52:53]
	v_ldexp_f64 v[48:49], v[48:49], -2
	s_delay_alu instid0(VALU_DEP_2) | instskip(NEXT) | instid1(VALU_DEP_2)
	v_add_f64 v[46:47], v[46:47], -v[50:51]
	v_add_f64 v[52:53], v[27:28], -v[48:49]
	s_delay_alu instid0(VALU_DEP_1) | instskip(NEXT) | instid1(VALU_DEP_1)
	v_add_f64 v[27:28], v[27:28], -v[52:53]
	v_add_f64 v[27:28], v[27:28], -v[48:49]
	s_delay_alu instid0(VALU_DEP_1) | instskip(SKIP_1) | instid1(VALU_DEP_1)
	v_add_f64 v[25:26], v[25:26], v[27:28]
	v_ldexp_f64 v[27:28], v[46:47], -2
	v_add_f64 v[25:26], v[25:26], -v[27:28]
	s_delay_alu instid0(VALU_DEP_1) | instskip(NEXT) | instid1(VALU_DEP_1)
	v_add_f64 v[25:26], v[52:53], v[25:26]
	v_cndmask_b32_e32 v17, 0x7ff00000, v26, vcc_lo
	s_delay_alu instid0(VALU_DEP_1) | instskip(NEXT) | instid1(VALU_DEP_1)
	v_cndmask_b32_e64 v14, v17, v14, s4
	v_bfi_b32 v17, 0x7fffffff, v14, v21
	s_delay_alu instid0(VALU_DEP_4) | instskip(NEXT) | instid1(VALU_DEP_1)
	v_dual_cndmask_b32 v14, 0, v25 :: v_dual_and_b32 v21, 0x80000000, v15
	v_cndmask_b32_e64 v16, v14, v16, s4
	v_cmp_eq_u32_e64 s4, 0, v20
	s_delay_alu instid0(VALU_DEP_2) | instskip(NEXT) | instid1(VALU_DEP_1)
	v_fma_f64 v[25:26], v[16:17], v[16:17], 1.0
	v_cmp_gt_f64_e32 vcc_lo, 0x10000000, v[25:26]
	v_cndmask_b32_e64 v14, 0, 1, vcc_lo
	s_delay_alu instid0(VALU_DEP_1) | instskip(NEXT) | instid1(VALU_DEP_1)
	v_lshlrev_b32_e32 v14, 8, v14
	v_ldexp_f64 v[25:26], v[25:26], v14
	v_mul_f64 v[14:15], v[18:19], v[18:19]
	s_delay_alu instid0(VALU_DEP_2) | instskip(SKIP_3) | instid1(VALU_DEP_1)
	v_rsq_f64_e32 v[27:28], v[25:26]
	s_waitcnt_depctr 0xfff
	v_mul_f64 v[46:47], v[25:26], v[27:28]
	v_mul_f64 v[27:28], v[27:28], 0.5
	v_fma_f64 v[48:49], -v[27:28], v[46:47], 0.5
	s_delay_alu instid0(VALU_DEP_1) | instskip(SKIP_1) | instid1(VALU_DEP_2)
	v_fma_f64 v[46:47], v[46:47], v[48:49], v[46:47]
	v_fma_f64 v[27:28], v[27:28], v[48:49], v[27:28]
	v_fma_f64 v[48:49], -v[46:47], v[46:47], v[25:26]
	s_delay_alu instid0(VALU_DEP_1) | instskip(NEXT) | instid1(VALU_DEP_1)
	v_fma_f64 v[46:47], v[48:49], v[27:28], v[46:47]
	v_fma_f64 v[48:49], -v[46:47], v[46:47], v[25:26]
	s_delay_alu instid0(VALU_DEP_1) | instskip(SKIP_2) | instid1(VALU_DEP_1)
	v_fma_f64 v[27:28], v[48:49], v[27:28], v[46:47]
	v_add_f64 v[46:47], v[23:24], v[23:24]
	v_fma_f64 v[48:49], v[18:19], v[18:19], -v[14:15]
	v_fma_f64 v[46:47], v[18:19], v[46:47], v[48:49]
	s_delay_alu instid0(VALU_DEP_1) | instskip(NEXT) | instid1(VALU_DEP_1)
	v_add_f64 v[14:15], v[14:15], v[46:47]
	v_fma_f64 v[46:47], v[14:15], s[52:53], s[50:51]
	s_mov_b32 s50, 0x90a8aae0
	s_mov_b32 s51, 0x3f17746f
	s_delay_alu instid0(VALU_DEP_1) | instid1(SALU_CYCLE_1)
	v_fma_f64 v[46:47], v[14:15], v[46:47], s[50:51]
	s_mov_b32 s50, 0xa6fbf144
	s_mov_b32 s51, 0xbefbb44d
	s_delay_alu instid0(VALU_DEP_1) | instid1(SALU_CYCLE_1)
	;; [unrolled: 4-line block ×10, first 2 shown]
	v_fma_f64 v[46:47], v[14:15], v[46:47], s[50:51]
	s_delay_alu instid0(VALU_DEP_1) | instskip(NEXT) | instid1(VALU_DEP_1)
	v_fma_f64 v[46:47], v[14:15], v[46:47], s[54:55]
	v_fma_f64 v[46:47], v[14:15], v[46:47], s[56:57]
	s_delay_alu instid0(VALU_DEP_1) | instskip(NEXT) | instid1(VALU_DEP_1)
	v_mul_f64 v[14:15], v[14:15], v[46:47]
	v_mul_f64 v[46:47], v[18:19], v[14:15]
	s_delay_alu instid0(VALU_DEP_1) | instskip(NEXT) | instid1(VALU_DEP_1)
	v_fma_f64 v[14:15], v[18:19], v[14:15], -v[46:47]
	v_add_f64 v[14:15], v[23:24], v[14:15]
	v_add_f64 v[23:24], v[18:19], v[46:47]
	s_delay_alu instid0(VALU_DEP_1) | instskip(NEXT) | instid1(VALU_DEP_1)
	v_add_f64 v[18:19], v[23:24], -v[18:19]
	v_add_f64 v[18:19], v[46:47], -v[18:19]
	s_delay_alu instid0(VALU_DEP_1) | instskip(NEXT) | instid1(VALU_DEP_1)
	v_add_f64 v[14:15], v[14:15], v[18:19]
	v_add_f64 v[18:19], v[23:24], v[14:15]
	s_delay_alu instid0(VALU_DEP_1) | instskip(SKIP_1) | instid1(VALU_DEP_1)
	v_rcp_f64_e32 v[46:47], v[18:19]
	v_add_f64 v[23:24], v[18:19], -v[23:24]
	v_add_f64 v[14:15], v[14:15], -v[23:24]
	s_waitcnt_depctr 0xfff
	v_fma_f64 v[48:49], -v[18:19], v[46:47], 1.0
	s_delay_alu instid0(VALU_DEP_1) | instskip(NEXT) | instid1(VALU_DEP_1)
	v_fma_f64 v[46:47], v[48:49], v[46:47], v[46:47]
	v_fma_f64 v[48:49], -v[18:19], v[46:47], 1.0
	s_delay_alu instid0(VALU_DEP_1) | instskip(NEXT) | instid1(VALU_DEP_1)
	v_fma_f64 v[46:47], v[48:49], v[46:47], v[46:47]
	v_mul_f64 v[23:24], v[18:19], v[46:47]
	s_delay_alu instid0(VALU_DEP_1) | instskip(NEXT) | instid1(VALU_DEP_1)
	v_fma_f64 v[48:49], v[46:47], v[18:19], -v[23:24]
	v_fma_f64 v[14:15], v[46:47], v[14:15], v[48:49]
	s_delay_alu instid0(VALU_DEP_1) | instskip(NEXT) | instid1(VALU_DEP_1)
	v_add_f64 v[48:49], v[23:24], v[14:15]
	v_add_f64 v[23:24], v[48:49], -v[23:24]
	s_delay_alu instid0(VALU_DEP_1) | instskip(SKIP_1) | instid1(VALU_DEP_1)
	v_add_f64 v[14:15], v[23:24], -v[14:15]
	v_add_f64 v[23:24], -v[48:49], 1.0
	v_add_f64 v[50:51], -v[23:24], 1.0
	s_delay_alu instid0(VALU_DEP_1) | instskip(NEXT) | instid1(VALU_DEP_1)
	v_add_f64 v[48:49], v[50:51], -v[48:49]
	v_add_f64 v[14:15], v[14:15], v[48:49]
	s_delay_alu instid0(VALU_DEP_1) | instskip(NEXT) | instid1(VALU_DEP_1)
	v_add_f64 v[14:15], v[23:24], v[14:15]
	v_mul_f64 v[14:15], v[46:47], v[14:15]
	s_delay_alu instid0(VALU_DEP_1) | instskip(NEXT) | instid1(VALU_DEP_1)
	v_add_f64 v[14:15], v[46:47], v[14:15]
	v_xor_b32_e32 v15, 0x80000000, v15
	s_delay_alu instid0(VALU_DEP_2) | instskip(NEXT) | instid1(VALU_DEP_2)
	v_cndmask_b32_e64 v14, v14, v18, s4
	v_cndmask_b32_e64 v15, v15, v19, s4
	v_cndmask_b32_e64 v19, 0, 0xffffff80, vcc_lo
	v_cmp_class_f64_e64 vcc_lo, v[25:26], 0x260
	s_delay_alu instid0(VALU_DEP_3) | instskip(NEXT) | instid1(VALU_DEP_3)
	v_xor_b32_e32 v15, v15, v21
	v_ldexp_f64 v[18:19], v[27:28], v19
	s_delay_alu instid0(VALU_DEP_2) | instskip(NEXT) | instid1(VALU_DEP_2)
	v_fma_f64 v[20:21], v[14:15], v[14:15], 1.0
	v_dual_cndmask_b32 v19, v19, v26 :: v_dual_cndmask_b32 v18, v18, v25
	s_delay_alu instid0(VALU_DEP_2) | instskip(NEXT) | instid1(VALU_DEP_2)
	v_mul_f64 v[23:24], v[16:17], v[20:21]
	v_mul_f64 v[18:19], v[18:19], v[20:21]
	s_delay_alu instid0(VALU_DEP_2) | instskip(NEXT) | instid1(VALU_DEP_2)
	v_fma_f64 v[23:24], v[16:17], v[23:24], 1.0
	v_mul_f64 v[16:17], v[16:17], v[18:19]
	s_delay_alu instid0(VALU_DEP_1) | instskip(NEXT) | instid1(VALU_DEP_1)
	v_div_scale_f64 v[18:19], null, v[23:24], v[23:24], v[16:17]
	v_rcp_f64_e32 v[20:21], v[18:19]
	s_waitcnt_depctr 0xfff
	v_fma_f64 v[25:26], -v[18:19], v[20:21], 1.0
	s_delay_alu instid0(VALU_DEP_1) | instskip(NEXT) | instid1(VALU_DEP_1)
	v_fma_f64 v[20:21], v[20:21], v[25:26], v[20:21]
	v_fma_f64 v[25:26], -v[18:19], v[20:21], 1.0
	s_delay_alu instid0(VALU_DEP_1) | instskip(SKIP_1) | instid1(VALU_DEP_1)
	v_fma_f64 v[20:21], v[20:21], v[25:26], v[20:21]
	v_div_scale_f64 v[25:26], vcc_lo, v[16:17], v[23:24], v[16:17]
	v_mul_f64 v[27:28], v[25:26], v[20:21]
	s_delay_alu instid0(VALU_DEP_1) | instskip(NEXT) | instid1(VALU_DEP_1)
	v_fma_f64 v[18:19], -v[18:19], v[27:28], v[25:26]
	v_div_fmas_f64 v[18:19], v[18:19], v[20:21], v[27:28]
	v_div_scale_f64 v[20:21], null, v[23:24], v[23:24], v[14:15]
	s_delay_alu instid0(VALU_DEP_1) | instskip(SKIP_2) | instid1(VALU_DEP_1)
	v_rcp_f64_e32 v[25:26], v[20:21]
	s_waitcnt_depctr 0xfff
	v_fma_f64 v[27:28], -v[20:21], v[25:26], 1.0
	v_fma_f64 v[25:26], v[25:26], v[27:28], v[25:26]
	s_delay_alu instid0(VALU_DEP_1) | instskip(NEXT) | instid1(VALU_DEP_1)
	v_fma_f64 v[27:28], -v[20:21], v[25:26], 1.0
	v_fma_f64 v[25:26], v[25:26], v[27:28], v[25:26]
	v_div_scale_f64 v[27:28], vcc_lo, v[14:15], v[23:24], v[14:15]
	s_delay_alu instid0(VALU_DEP_1) | instskip(NEXT) | instid1(VALU_DEP_1)
	v_mul_f64 v[46:47], v[27:28], v[25:26]
	v_fma_f64 v[20:21], -v[20:21], v[46:47], v[27:28]
	s_delay_alu instid0(VALU_DEP_1) | instskip(SKIP_1) | instid1(VALU_DEP_2)
	v_div_fmas_f64 v[25:26], v[20:21], v[25:26], v[46:47]
	v_div_fixup_f64 v[20:21], v[18:19], v[23:24], v[16:17]
	v_div_fixup_f64 v[18:19], v[25:26], v[23:24], v[14:15]
                                        ; implicit-def: $vgpr14_vgpr15
.LBB94_253:                             ;   in Loop: Header=BB94_161 Depth=1
	s_and_not1_saveexec_b32 s60, s42
	s_cbranch_execz .LBB94_263
; %bb.254:                              ;   in Loop: Header=BB94_161 Depth=1
	v_cmp_ngt_f64_e64 s4, 0x41d00000, |v[14:15]|
                                        ; implicit-def: $vgpr20
                                        ; implicit-def: $vgpr18_vgpr19
                                        ; implicit-def: $vgpr24_vgpr25
	s_delay_alu instid0(VALU_DEP_1) | instskip(NEXT) | instid1(SALU_CYCLE_1)
	s_and_saveexec_b32 s14, s4
	s_xor_b32 s18, exec_lo, s14
	s_cbranch_execz .LBB94_256
; %bb.255:                              ;   in Loop: Header=BB94_161 Depth=1
	v_ldexp_f64 v[18:19], |v[14:15]|, 0xffffff80
	v_cmp_le_f64_e64 vcc_lo, 0x7b000000, |v[14:15]|
	v_trig_preop_f64 v[23:24], |v[14:15]|, 0
	v_and_b32_e32 v20, 0x7fffffff, v15
	v_trig_preop_f64 v[27:28], |v[14:15]|, 1
	v_trig_preop_f64 v[48:49], |v[14:15]|, 2
	s_mov_b32 s14, s16
	s_mov_b32 s21, s19
	v_dual_cndmask_b32 v19, v20, v19 :: v_dual_cndmask_b32 v18, v14, v18
	s_delay_alu instid0(VALU_DEP_1) | instskip(NEXT) | instid1(VALU_DEP_4)
	v_mul_f64 v[25:26], v[23:24], v[18:19]
	v_mul_f64 v[46:47], v[27:28], v[18:19]
	s_delay_alu instid0(VALU_DEP_4) | instskip(NEXT) | instid1(VALU_DEP_3)
	v_mul_f64 v[50:51], v[48:49], v[18:19]
	v_fma_f64 v[23:24], v[23:24], v[18:19], -v[25:26]
	s_delay_alu instid0(VALU_DEP_3) | instskip(NEXT) | instid1(VALU_DEP_3)
	v_fma_f64 v[27:28], v[27:28], v[18:19], -v[46:47]
	v_fma_f64 v[18:19], v[48:49], v[18:19], -v[50:51]
	s_delay_alu instid0(VALU_DEP_3) | instskip(NEXT) | instid1(VALU_DEP_1)
	v_add_f64 v[48:49], v[46:47], v[23:24]
	v_add_f64 v[52:53], v[48:49], -v[46:47]
	s_delay_alu instid0(VALU_DEP_1) | instskip(SKIP_1) | instid1(VALU_DEP_1)
	v_add_f64 v[23:24], v[23:24], -v[52:53]
	v_add_f64 v[52:53], v[48:49], -v[52:53]
	v_add_f64 v[46:47], v[46:47], -v[52:53]
	v_add_f64 v[52:53], v[25:26], v[48:49]
	s_delay_alu instid0(VALU_DEP_2) | instskip(NEXT) | instid1(VALU_DEP_2)
	v_add_f64 v[23:24], v[23:24], v[46:47]
	v_add_f64 v[25:26], v[52:53], -v[25:26]
	v_add_f64 v[46:47], v[50:51], v[27:28]
	v_ldexp_f64 v[52:53], v[52:53], -2
	s_delay_alu instid0(VALU_DEP_3) | instskip(NEXT) | instid1(VALU_DEP_3)
	v_add_f64 v[25:26], v[48:49], -v[25:26]
	v_add_f64 v[48:49], v[46:47], -v[50:51]
	s_delay_alu instid0(VALU_DEP_3) | instskip(SKIP_1) | instid1(VALU_DEP_3)
	v_cmp_neq_f64_e64 vcc_lo, 0x7ff00000, |v[52:53]|
	v_fract_f64_e32 v[52:53], v[52:53]
	v_add_f64 v[27:28], v[27:28], -v[48:49]
	v_add_f64 v[48:49], v[46:47], -v[48:49]
	s_delay_alu instid0(VALU_DEP_3) | instskip(NEXT) | instid1(VALU_DEP_2)
	v_dual_cndmask_b32 v53, 0, v53 :: v_dual_cndmask_b32 v52, 0, v52
	v_add_f64 v[48:49], v[50:51], -v[48:49]
	v_add_f64 v[50:51], v[46:47], v[23:24]
	s_delay_alu instid0(VALU_DEP_2) | instskip(NEXT) | instid1(VALU_DEP_2)
	v_add_f64 v[27:28], v[27:28], v[48:49]
	v_add_f64 v[54:55], v[50:51], -v[46:47]
	v_add_f64 v[48:49], v[25:26], v[50:51]
	s_delay_alu instid0(VALU_DEP_2) | instskip(SKIP_1) | instid1(VALU_DEP_3)
	v_add_f64 v[23:24], v[23:24], -v[54:55]
	v_add_f64 v[54:55], v[50:51], -v[54:55]
	v_add_f64 v[25:26], v[48:49], -v[25:26]
	s_delay_alu instid0(VALU_DEP_2) | instskip(NEXT) | instid1(VALU_DEP_2)
	v_add_f64 v[46:47], v[46:47], -v[54:55]
	v_add_f64 v[25:26], v[50:51], -v[25:26]
	s_delay_alu instid0(VALU_DEP_2) | instskip(SKIP_1) | instid1(VALU_DEP_2)
	v_add_f64 v[23:24], v[23:24], v[46:47]
	v_ldexp_f64 v[46:47], v[52:53], 2
	v_add_f64 v[23:24], v[27:28], v[23:24]
	s_delay_alu instid0(VALU_DEP_2) | instskip(NEXT) | instid1(VALU_DEP_2)
	v_add_f64 v[52:53], v[48:49], v[46:47]
	v_add_f64 v[18:19], v[18:19], v[23:24]
	s_delay_alu instid0(VALU_DEP_2) | instskip(NEXT) | instid1(VALU_DEP_2)
	v_cmp_gt_f64_e32 vcc_lo, 0, v[52:53]
	v_add_f64 v[18:19], v[25:26], v[18:19]
	v_cndmask_b32_e64 v23, 0, 0x40100000, vcc_lo
	s_delay_alu instid0(VALU_DEP_1) | instskip(NEXT) | instid1(VALU_DEP_1)
	v_add_f64 v[23:24], v[46:47], v[22:23]
	v_add_f64 v[27:28], v[48:49], v[23:24]
	s_delay_alu instid0(VALU_DEP_1) | instskip(NEXT) | instid1(VALU_DEP_1)
	v_cvt_i32_f64_e32 v20, v[27:28]
	v_cvt_f64_i32_e32 v[27:28], v20
	s_delay_alu instid0(VALU_DEP_1) | instskip(NEXT) | instid1(VALU_DEP_1)
	v_add_f64 v[23:24], v[23:24], -v[27:28]
	v_add_f64 v[25:26], v[48:49], v[23:24]
	s_delay_alu instid0(VALU_DEP_1) | instskip(SKIP_1) | instid1(VALU_DEP_2)
	v_add_f64 v[23:24], v[25:26], -v[23:24]
	v_cmp_le_f64_e32 vcc_lo, 0.5, v[25:26]
	v_add_f64 v[27:28], v[48:49], -v[23:24]
	v_cndmask_b32_e64 v23, 0, 0x3ff00000, vcc_lo
	v_add_co_ci_u32_e32 v20, vcc_lo, 0, v20, vcc_lo
	s_delay_alu instid0(VALU_DEP_2) | instskip(NEXT) | instid1(VALU_DEP_4)
	v_add_f64 v[23:24], v[25:26], -v[22:23]
	v_add_f64 v[18:19], v[18:19], v[27:28]
	s_delay_alu instid0(VALU_DEP_1) | instskip(NEXT) | instid1(VALU_DEP_1)
	v_add_f64 v[25:26], v[23:24], v[18:19]
	v_add_f64 v[23:24], v[25:26], -v[23:24]
	s_delay_alu instid0(VALU_DEP_1) | instskip(SKIP_1) | instid1(VALU_DEP_1)
	v_add_f64 v[18:19], v[18:19], -v[23:24]
	v_mul_f64 v[23:24], v[25:26], s[14:15]
	v_fma_f64 v[27:28], v[25:26], s[14:15], -v[23:24]
	s_delay_alu instid0(VALU_DEP_1) | instskip(NEXT) | instid1(VALU_DEP_1)
	v_fma_f64 v[25:26], v[25:26], s[20:21], v[27:28]
	v_fma_f64 v[25:26], v[18:19], s[14:15], v[25:26]
	s_delay_alu instid0(VALU_DEP_1) | instskip(NEXT) | instid1(VALU_DEP_1)
	v_add_f64 v[18:19], v[23:24], v[25:26]
	v_add_f64 v[23:24], v[18:19], -v[23:24]
	s_delay_alu instid0(VALU_DEP_1)
	v_add_f64 v[24:25], v[25:26], -v[23:24]
	s_and_not1_saveexec_b32 s14, s18
	s_cbranch_execz .LBB94_258
	s_branch .LBB94_257
.LBB94_256:                             ;   in Loop: Header=BB94_161 Depth=1
	s_and_not1_saveexec_b32 s14, s18
	s_cbranch_execz .LBB94_258
.LBB94_257:                             ;   in Loop: Header=BB94_161 Depth=1
	v_mul_f64 v[18:19], |v[14:15]|, s[22:23]
	s_mov_b32 s18, s24
	s_delay_alu instid0(VALU_DEP_1) | instskip(NEXT) | instid1(VALU_DEP_1)
	v_rndne_f64_e32 v[26:27], v[18:19]
	v_fma_f64 v[18:19], v[26:27], s[16:17], |v[14:15]|
	v_mul_f64 v[23:24], v[26:27], s[24:25]
	v_cvt_i32_f64_e32 v20, v[26:27]
	s_delay_alu instid0(VALU_DEP_3) | instskip(NEXT) | instid1(VALU_DEP_3)
	v_fma_f64 v[46:47], v[26:27], s[24:25], v[18:19]
	v_add_f64 v[28:29], v[18:19], v[23:24]
	s_delay_alu instid0(VALU_DEP_1) | instskip(NEXT) | instid1(VALU_DEP_3)
	v_add_f64 v[18:19], v[18:19], -v[28:29]
	v_add_f64 v[28:29], v[28:29], -v[46:47]
	s_delay_alu instid0(VALU_DEP_2) | instskip(SKIP_1) | instid1(VALU_DEP_2)
	v_add_f64 v[18:19], v[18:19], v[23:24]
	v_fma_f64 v[23:24], v[26:27], s[18:19], v[23:24]
	v_add_f64 v[18:19], v[28:29], v[18:19]
	s_delay_alu instid0(VALU_DEP_1) | instskip(NEXT) | instid1(VALU_DEP_1)
	v_add_f64 v[18:19], v[18:19], -v[23:24]
	v_fma_f64 v[23:24], v[26:27], s[26:27], v[18:19]
	s_delay_alu instid0(VALU_DEP_1) | instskip(NEXT) | instid1(VALU_DEP_1)
	v_add_f64 v[18:19], v[46:47], v[23:24]
	v_add_f64 v[28:29], v[18:19], -v[46:47]
	s_delay_alu instid0(VALU_DEP_1)
	v_add_f64 v[24:25], v[23:24], -v[28:29]
.LBB94_258:                             ;   in Loop: Header=BB94_161 Depth=1
	s_or_b32 exec_lo, exec_lo, s14
                                        ; implicit-def: $vgpr23
                                        ; implicit-def: $vgpr26_vgpr27
                                        ; implicit-def: $vgpr28_vgpr29
	s_and_saveexec_b32 s14, s4
	s_delay_alu instid0(SALU_CYCLE_1)
	s_xor_b32 s4, exec_lo, s14
	s_cbranch_execz .LBB94_260
; %bb.259:                              ;   in Loop: Header=BB94_161 Depth=1
	v_ldexp_f64 v[26:27], |v[14:15]|, 0xffffff80
	v_cmp_le_f64_e64 vcc_lo, 0x7b000000, |v[14:15]|
	v_trig_preop_f64 v[28:29], |v[14:15]|, 0
	v_and_b32_e32 v23, 0x7fffffff, v15
	v_trig_preop_f64 v[48:49], |v[14:15]|, 1
	v_trig_preop_f64 v[52:53], |v[14:15]|, 2
	s_mov_b32 s14, s16
	s_mov_b32 s21, s19
	v_dual_cndmask_b32 v26, v14, v26 :: v_dual_cndmask_b32 v27, v23, v27
	s_delay_alu instid0(VALU_DEP_1) | instskip(NEXT) | instid1(VALU_DEP_4)
	v_mul_f64 v[46:47], v[28:29], v[26:27]
	v_mul_f64 v[50:51], v[48:49], v[26:27]
	s_delay_alu instid0(VALU_DEP_4) | instskip(NEXT) | instid1(VALU_DEP_3)
	v_mul_f64 v[54:55], v[52:53], v[26:27]
	v_fma_f64 v[28:29], v[28:29], v[26:27], -v[46:47]
	s_delay_alu instid0(VALU_DEP_3) | instskip(NEXT) | instid1(VALU_DEP_3)
	v_fma_f64 v[48:49], v[48:49], v[26:27], -v[50:51]
	v_fma_f64 v[26:27], v[52:53], v[26:27], -v[54:55]
	s_delay_alu instid0(VALU_DEP_3) | instskip(NEXT) | instid1(VALU_DEP_1)
	v_add_f64 v[52:53], v[50:51], v[28:29]
	v_add_f64 v[56:57], v[52:53], -v[50:51]
	s_delay_alu instid0(VALU_DEP_1) | instskip(SKIP_1) | instid1(VALU_DEP_1)
	v_add_f64 v[28:29], v[28:29], -v[56:57]
	v_add_f64 v[56:57], v[52:53], -v[56:57]
	;; [unrolled: 1-line block ×3, first 2 shown]
	v_add_f64 v[56:57], v[46:47], v[52:53]
	s_delay_alu instid0(VALU_DEP_2) | instskip(NEXT) | instid1(VALU_DEP_2)
	v_add_f64 v[28:29], v[28:29], v[50:51]
	v_add_f64 v[46:47], v[56:57], -v[46:47]
	v_add_f64 v[50:51], v[54:55], v[48:49]
	v_ldexp_f64 v[56:57], v[56:57], -2
	s_delay_alu instid0(VALU_DEP_3) | instskip(NEXT) | instid1(VALU_DEP_3)
	v_add_f64 v[46:47], v[52:53], -v[46:47]
	v_add_f64 v[52:53], v[50:51], -v[54:55]
	s_delay_alu instid0(VALU_DEP_3) | instskip(SKIP_1) | instid1(VALU_DEP_3)
	v_cmp_neq_f64_e64 vcc_lo, 0x7ff00000, |v[56:57]|
	v_fract_f64_e32 v[56:57], v[56:57]
	v_add_f64 v[48:49], v[48:49], -v[52:53]
	v_add_f64 v[52:53], v[50:51], -v[52:53]
	s_delay_alu instid0(VALU_DEP_3) | instskip(NEXT) | instid1(VALU_DEP_2)
	v_dual_cndmask_b32 v56, 0, v56 :: v_dual_cndmask_b32 v57, 0, v57
	v_add_f64 v[52:53], v[54:55], -v[52:53]
	v_add_f64 v[54:55], v[50:51], v[28:29]
	s_delay_alu instid0(VALU_DEP_2) | instskip(NEXT) | instid1(VALU_DEP_2)
	v_add_f64 v[48:49], v[48:49], v[52:53]
	v_add_f64 v[58:59], v[54:55], -v[50:51]
	v_add_f64 v[52:53], v[46:47], v[54:55]
	s_delay_alu instid0(VALU_DEP_2) | instskip(SKIP_1) | instid1(VALU_DEP_3)
	v_add_f64 v[28:29], v[28:29], -v[58:59]
	v_add_f64 v[58:59], v[54:55], -v[58:59]
	;; [unrolled: 1-line block ×3, first 2 shown]
	s_delay_alu instid0(VALU_DEP_2) | instskip(NEXT) | instid1(VALU_DEP_2)
	v_add_f64 v[50:51], v[50:51], -v[58:59]
	v_add_f64 v[46:47], v[54:55], -v[46:47]
	s_delay_alu instid0(VALU_DEP_2) | instskip(SKIP_1) | instid1(VALU_DEP_2)
	v_add_f64 v[28:29], v[28:29], v[50:51]
	v_ldexp_f64 v[50:51], v[56:57], 2
	v_add_f64 v[28:29], v[48:49], v[28:29]
	s_delay_alu instid0(VALU_DEP_2) | instskip(NEXT) | instid1(VALU_DEP_2)
	v_add_f64 v[56:57], v[52:53], v[50:51]
	v_add_f64 v[26:27], v[26:27], v[28:29]
	s_delay_alu instid0(VALU_DEP_2) | instskip(NEXT) | instid1(VALU_DEP_2)
	v_cmp_gt_f64_e32 vcc_lo, 0, v[56:57]
	v_add_f64 v[26:27], v[46:47], v[26:27]
	v_cndmask_b32_e64 v23, 0, 0x40100000, vcc_lo
	s_delay_alu instid0(VALU_DEP_1) | instskip(NEXT) | instid1(VALU_DEP_1)
	v_add_f64 v[28:29], v[50:51], v[22:23]
	v_add_f64 v[48:49], v[52:53], v[28:29]
	s_delay_alu instid0(VALU_DEP_1) | instskip(NEXT) | instid1(VALU_DEP_1)
	v_cvt_i32_f64_e32 v50, v[48:49]
	v_cvt_f64_i32_e32 v[48:49], v50
	s_delay_alu instid0(VALU_DEP_1) | instskip(NEXT) | instid1(VALU_DEP_1)
	v_add_f64 v[28:29], v[28:29], -v[48:49]
	v_add_f64 v[46:47], v[52:53], v[28:29]
	s_delay_alu instid0(VALU_DEP_1) | instskip(SKIP_1) | instid1(VALU_DEP_2)
	v_add_f64 v[28:29], v[46:47], -v[28:29]
	v_cmp_le_f64_e32 vcc_lo, 0.5, v[46:47]
	v_add_f64 v[28:29], v[52:53], -v[28:29]
	v_cndmask_b32_e64 v23, 0, 0x3ff00000, vcc_lo
	s_delay_alu instid0(VALU_DEP_1) | instskip(SKIP_1) | instid1(VALU_DEP_4)
	v_add_f64 v[46:47], v[46:47], -v[22:23]
	v_add_co_ci_u32_e32 v23, vcc_lo, 0, v50, vcc_lo
	v_add_f64 v[26:27], v[26:27], v[28:29]
	s_delay_alu instid0(VALU_DEP_1) | instskip(NEXT) | instid1(VALU_DEP_1)
	v_add_f64 v[28:29], v[46:47], v[26:27]
	v_add_f64 v[46:47], v[28:29], -v[46:47]
	s_delay_alu instid0(VALU_DEP_1) | instskip(SKIP_1) | instid1(VALU_DEP_1)
	v_add_f64 v[26:27], v[26:27], -v[46:47]
	v_mul_f64 v[46:47], v[28:29], s[14:15]
	v_fma_f64 v[48:49], v[28:29], s[14:15], -v[46:47]
	s_delay_alu instid0(VALU_DEP_1) | instskip(NEXT) | instid1(VALU_DEP_1)
	v_fma_f64 v[28:29], v[28:29], s[20:21], v[48:49]
	v_fma_f64 v[28:29], v[26:27], s[14:15], v[28:29]
	s_delay_alu instid0(VALU_DEP_1) | instskip(NEXT) | instid1(VALU_DEP_1)
	v_add_f64 v[26:27], v[46:47], v[28:29]
	v_add_f64 v[46:47], v[26:27], -v[46:47]
	s_delay_alu instid0(VALU_DEP_1)
	v_add_f64 v[28:29], v[28:29], -v[46:47]
	s_and_not1_saveexec_b32 s4, s4
	s_cbranch_execnz .LBB94_261
	s_branch .LBB94_262
.LBB94_260:                             ;   in Loop: Header=BB94_161 Depth=1
	s_and_not1_saveexec_b32 s4, s4
	s_cbranch_execz .LBB94_262
.LBB94_261:                             ;   in Loop: Header=BB94_161 Depth=1
	v_mul_f64 v[26:27], |v[14:15]|, s[22:23]
	s_mov_b32 s18, s24
	s_delay_alu instid0(VALU_DEP_1) | instskip(NEXT) | instid1(VALU_DEP_1)
	v_rndne_f64_e32 v[46:47], v[26:27]
	v_fma_f64 v[26:27], v[46:47], s[16:17], |v[14:15]|
	v_mul_f64 v[28:29], v[46:47], s[24:25]
	v_cvt_i32_f64_e32 v23, v[46:47]
	s_delay_alu instid0(VALU_DEP_3) | instskip(NEXT) | instid1(VALU_DEP_3)
	v_fma_f64 v[50:51], v[46:47], s[24:25], v[26:27]
	v_add_f64 v[48:49], v[26:27], v[28:29]
	s_delay_alu instid0(VALU_DEP_1) | instskip(NEXT) | instid1(VALU_DEP_3)
	v_add_f64 v[26:27], v[26:27], -v[48:49]
	v_add_f64 v[48:49], v[48:49], -v[50:51]
	s_delay_alu instid0(VALU_DEP_2) | instskip(SKIP_1) | instid1(VALU_DEP_2)
	v_add_f64 v[26:27], v[26:27], v[28:29]
	v_fma_f64 v[28:29], v[46:47], s[18:19], v[28:29]
	v_add_f64 v[26:27], v[48:49], v[26:27]
	s_delay_alu instid0(VALU_DEP_1) | instskip(NEXT) | instid1(VALU_DEP_1)
	v_add_f64 v[26:27], v[26:27], -v[28:29]
	v_fma_f64 v[28:29], v[46:47], s[26:27], v[26:27]
	s_delay_alu instid0(VALU_DEP_1) | instskip(NEXT) | instid1(VALU_DEP_1)
	v_add_f64 v[26:27], v[50:51], v[28:29]
	v_add_f64 v[48:49], v[26:27], -v[50:51]
	s_delay_alu instid0(VALU_DEP_1)
	v_add_f64 v[28:29], v[28:29], -v[48:49]
.LBB94_262:                             ;   in Loop: Header=BB94_161 Depth=1
	s_or_b32 exec_lo, exec_lo, s4
	s_delay_alu instid0(VALU_DEP_2) | instskip(NEXT) | instid1(VALU_DEP_2)
	v_mul_f64 v[46:47], v[18:19], v[18:19]
	v_mul_f64 v[54:55], v[24:25], 0.5
	s_delay_alu instid0(VALU_DEP_3)
	v_mul_f64 v[60:61], v[28:29], 0.5
	s_mov_b32 s42, s44
	v_cmp_nlt_f64_e64 vcc_lo, 0x4090cc00, |v[16:17]|
	v_lshlrev_b32_e32 v14, 30, v20
	s_mov_b32 s87, s41
	s_mov_b32 s89, s45
	v_mul_f64 v[48:49], v[46:47], 0.5
	v_mul_f64 v[56:57], v[18:19], -v[46:47]
	s_delay_alu instid0(VALU_DEP_2) | instskip(NEXT) | instid1(VALU_DEP_1)
	v_add_f64 v[50:51], -v[48:49], 1.0
	v_add_f64 v[52:53], -v[50:51], 1.0
	s_delay_alu instid0(VALU_DEP_1) | instskip(SKIP_1) | instid1(VALU_DEP_2)
	v_add_f64 v[48:49], v[52:53], -v[48:49]
	v_fma_f64 v[52:53], v[46:47], s[34:35], s[30:31]
	v_fma_f64 v[48:49], v[18:19], -v[24:25], v[48:49]
	s_delay_alu instid0(VALU_DEP_2) | instskip(NEXT) | instid1(VALU_DEP_1)
	v_fma_f64 v[52:53], v[46:47], v[52:53], s[36:37]
	v_fma_f64 v[52:53], v[46:47], v[52:53], s[38:39]
	s_delay_alu instid0(VALU_DEP_1) | instskip(NEXT) | instid1(VALU_DEP_1)
	v_fma_f64 v[52:53], v[46:47], v[52:53], s[40:41]
	v_fma_f64 v[52:53], v[56:57], v[52:53], v[54:55]
	s_delay_alu instid0(VALU_DEP_1) | instskip(SKIP_1) | instid1(VALU_DEP_2)
	v_fma_f64 v[24:25], v[46:47], v[52:53], -v[24:25]
	v_fma_f64 v[52:53], v[46:47], s[98:99], s[96:97]
	v_fma_f64 v[24:25], v[56:57], s[42:43], v[24:25]
	s_delay_alu instid0(VALU_DEP_2) | instskip(NEXT) | instid1(VALU_DEP_2)
	v_fma_f64 v[52:53], v[46:47], v[52:53], s[100:101]
	v_add_f64 v[18:19], v[18:19], -v[24:25]
	s_delay_alu instid0(VALU_DEP_2) | instskip(NEXT) | instid1(VALU_DEP_1)
	v_fma_f64 v[52:53], v[46:47], v[52:53], s[102:103]
	v_fma_f64 v[52:53], v[46:47], v[52:53], s[28:29]
	s_delay_alu instid0(VALU_DEP_1) | instskip(SKIP_1) | instid1(VALU_DEP_1)
	v_fma_f64 v[52:53], v[46:47], v[52:53], s[44:45]
	v_mul_f64 v[46:47], v[46:47], v[46:47]
	v_fma_f64 v[46:47], v[46:47], v[52:53], v[48:49]
	v_mul_f64 v[48:49], v[26:27], v[26:27]
	s_delay_alu instid0(VALU_DEP_2) | instskip(NEXT) | instid1(VALU_DEP_2)
	v_add_f64 v[46:47], v[50:51], v[46:47]
	v_mul_f64 v[52:53], v[48:49], 0.5
	v_mul_f64 v[62:63], v[26:27], -v[48:49]
	s_delay_alu instid0(VALU_DEP_2) | instskip(NEXT) | instid1(VALU_DEP_1)
	v_add_f64 v[54:55], -v[52:53], 1.0
	v_add_f64 v[58:59], -v[54:55], 1.0
	s_delay_alu instid0(VALU_DEP_1) | instskip(SKIP_1) | instid1(VALU_DEP_2)
	v_add_f64 v[52:53], v[58:59], -v[52:53]
	v_fma_f64 v[58:59], v[48:49], s[34:35], s[30:31]
	v_fma_f64 v[52:53], v[26:27], -v[28:29], v[52:53]
	s_delay_alu instid0(VALU_DEP_2) | instskip(NEXT) | instid1(VALU_DEP_1)
	v_fma_f64 v[58:59], v[48:49], v[58:59], s[36:37]
	v_fma_f64 v[58:59], v[48:49], v[58:59], s[38:39]
	s_delay_alu instid0(VALU_DEP_1) | instskip(NEXT) | instid1(VALU_DEP_1)
	v_fma_f64 v[58:59], v[48:49], v[58:59], s[40:41]
	v_fma_f64 v[58:59], v[62:63], v[58:59], v[60:61]
	s_delay_alu instid0(VALU_DEP_1) | instskip(SKIP_1) | instid1(VALU_DEP_2)
	v_fma_f64 v[28:29], v[48:49], v[58:59], -v[28:29]
	v_fma_f64 v[58:59], v[48:49], s[98:99], s[96:97]
	v_fma_f64 v[28:29], v[62:63], s[42:43], v[28:29]
	s_delay_alu instid0(VALU_DEP_2) | instskip(NEXT) | instid1(VALU_DEP_2)
	v_fma_f64 v[58:59], v[48:49], v[58:59], s[100:101]
	v_add_f64 v[24:25], v[26:27], -v[28:29]
	s_delay_alu instid0(VALU_DEP_2) | instskip(SKIP_2) | instid1(VALU_DEP_3)
	v_fma_f64 v[58:59], v[48:49], v[58:59], s[102:103]
	v_mul_f64 v[26:27], |v[16:17]|, s[66:67]
	v_xor_b32_e32 v28, v14, v15
	v_fma_f64 v[58:59], v[48:49], v[58:59], s[28:29]
	s_delay_alu instid0(VALU_DEP_3) | instskip(NEXT) | instid1(VALU_DEP_2)
	v_rndne_f64_e32 v[26:27], v[26:27]
	v_fma_f64 v[58:59], v[48:49], v[58:59], s[44:45]
	v_mul_f64 v[48:49], v[48:49], v[48:49]
	s_delay_alu instid0(VALU_DEP_3) | instskip(SKIP_2) | instid1(VALU_DEP_2)
	v_fma_f64 v[14:15], v[26:27], s[58:59], -|v[16:17]|
	v_and_b32_e32 v16, 1, v20
	v_lshlrev_b32_e32 v20, 30, v23
	v_cmp_eq_u32_e64 s4, 0, v16
	s_delay_alu instid0(VALU_DEP_2) | instskip(NEXT) | instid1(VALU_DEP_2)
	v_and_b32_e32 v20, 0x80000000, v20
	v_cndmask_b32_e64 v17, v47, v19, s4
	v_cndmask_b32_e64 v16, v46, v18, s4
	v_and_b32_e32 v18, 0x80000000, v28
	v_xor_b32_e32 v19, 0x80000000, v25
	s_delay_alu instid0(VALU_DEP_2) | instskip(SKIP_1) | instid1(VALU_DEP_2)
	v_xor_b32_e32 v17, v17, v18
	v_and_b32_e32 v18, 1, v23
	v_mul_f64 v[16:17], v[16:17], 4.0
	s_delay_alu instid0(VALU_DEP_2) | instskip(SKIP_2) | instid1(VALU_DEP_2)
	v_cmp_eq_u32_e64 s4, 0, v18
	v_fma_f64 v[48:49], v[48:49], v[58:59], v[52:53]
	v_fma_f64 v[14:15], v[26:27], s[62:63], v[14:15]
	v_add_f64 v[48:49], v[54:55], v[48:49]
	s_delay_alu instid0(VALU_DEP_1) | instskip(NEXT) | instid1(VALU_DEP_3)
	v_cndmask_b32_e64 v18, v24, v48, s4
	v_fma_f64 v[23:24], v[14:15], s[76:77], s[74:75]
	s_delay_alu instid0(VALU_DEP_3) | instskip(NEXT) | instid1(VALU_DEP_1)
	v_cndmask_b32_e64 v19, v19, v49, s4
	v_xor_b32_e32 v19, v19, v20
	v_cvt_i32_f64_e32 v20, v[26:27]
	s_delay_alu instid0(VALU_DEP_2) | instskip(SKIP_1) | instid1(VALU_DEP_1)
	v_mul_f64 v[16:17], v[16:17], v[18:19]
	v_fma_f64 v[23:24], v[14:15], v[23:24], s[78:79]
	v_fma_f64 v[23:24], v[14:15], v[23:24], s[80:81]
	s_delay_alu instid0(VALU_DEP_1) | instskip(NEXT) | instid1(VALU_DEP_1)
	v_fma_f64 v[23:24], v[14:15], v[23:24], s[82:83]
	v_fma_f64 v[23:24], v[14:15], v[23:24], s[84:85]
	s_delay_alu instid0(VALU_DEP_1) | instskip(NEXT) | instid1(VALU_DEP_1)
	;; [unrolled: 3-line block ×4, first 2 shown]
	v_fma_f64 v[23:24], v[14:15], v[23:24], 1.0
	v_fma_f64 v[14:15], v[14:15], v[23:24], 1.0
	v_bfi_b32 v23, 0x7fffffff, s49, v21
	s_delay_alu instid0(VALU_DEP_2) | instskip(NEXT) | instid1(VALU_DEP_2)
	v_ldexp_f64 v[14:15], v[14:15], v20
	v_dual_mov_b32 v20, v22 :: v_dual_mov_b32 v21, v23
	s_delay_alu instid0(VALU_DEP_2) | instskip(NEXT) | instid1(VALU_DEP_1)
	v_dual_cndmask_b32 v15, 0, v15 :: v_dual_cndmask_b32 v14, 0, v14
	v_mul_f64 v[16:17], v[14:15], v[16:17]
	s_delay_alu instid0(VALU_DEP_1)
	v_mul_f64 v[18:19], v[14:15], v[16:17]
.LBB94_263:                             ;   in Loop: Header=BB94_161 Depth=1
	s_or_b32 exec_lo, exec_lo, s60
                                        ; implicit-def: $vgpr14_vgpr15
.LBB94_264:                             ;   in Loop: Header=BB94_161 Depth=1
	s_and_not1_saveexec_b32 s4, s47
; %bb.265:                              ;   in Loop: Header=BB94_161 Depth=1
	v_add_f64 v[18:19], v[14:15], -v[14:15]
	s_delay_alu instid0(VALU_DEP_1)
	v_dual_mov_b32 v21, v19 :: v_dual_mov_b32 v20, v18
; %bb.266:                              ;   in Loop: Header=BB94_161 Depth=1
	s_or_b32 exec_lo, exec_lo, s4
                                        ; implicit-def: $vgpr14_vgpr15
.LBB94_267:                             ;   in Loop: Header=BB94_161 Depth=1
	s_and_not1_saveexec_b32 s47, s5
	s_cbranch_execz .LBB94_283
; %bb.268:                              ;   in Loop: Header=BB94_161 Depth=1
	s_delay_alu instid0(VALU_DEP_1) | instskip(SKIP_1) | instid1(VALU_DEP_1)
	v_and_or_b32 v18, 0xfffff, v21, v20
	s_mov_b32 s4, exec_lo
	v_cmpx_ne_u32_e32 0, v18
	s_xor_b32 s4, exec_lo, s4
; %bb.269:                              ;   in Loop: Header=BB94_161 Depth=1
	v_mul_f64 v[16:17], v[14:15], -v[16:17]
	v_cmp_eq_f64_e32 vcc_lo, 0, v[14:15]
	s_delay_alu instid0(VALU_DEP_2)
	v_dual_cndmask_b32 v19, v17, v15 :: v_dual_cndmask_b32 v18, v16, v14
                                        ; implicit-def: $vgpr14_vgpr15
; %bb.270:                              ;   in Loop: Header=BB94_161 Depth=1
	s_and_not1_saveexec_b32 s60, s4
	s_cbranch_execz .LBB94_282
; %bb.271:                              ;   in Loop: Header=BB94_161 Depth=1
	s_mov_b32 s64, exec_lo
	v_cmpx_neq_f64_e64 0x7ff00000, |v[14:15]|
	s_cbranch_execz .LBB94_281
; %bb.272:                              ;   in Loop: Header=BB94_161 Depth=1
	v_cmp_ngt_f64_e64 s4, 0x41d00000, |v[14:15]|
                                        ; implicit-def: $vgpr27
                                        ; implicit-def: $vgpr16_vgpr17
                                        ; implicit-def: $vgpr18_vgpr19
	s_delay_alu instid0(VALU_DEP_1) | instskip(NEXT) | instid1(SALU_CYCLE_1)
	s_and_saveexec_b32 s5, s4
	s_xor_b32 s5, exec_lo, s5
	s_cbranch_execz .LBB94_274
; %bb.273:                              ;   in Loop: Header=BB94_161 Depth=1
	v_ldexp_f64 v[16:17], |v[14:15]|, 0xffffff80
	v_cmp_le_f64_e64 vcc_lo, 0x7b000000, |v[14:15]|
	v_trig_preop_f64 v[18:19], |v[14:15]|, 0
	v_and_b32_e32 v23, 0x7fffffff, v15
	v_trig_preop_f64 v[25:26], |v[14:15]|, 1
	v_trig_preop_f64 v[46:47], |v[14:15]|, 2
	s_mov_b32 s14, s16
	s_mov_b32 s21, s19
	v_dual_cndmask_b32 v16, v14, v16 :: v_dual_cndmask_b32 v17, v23, v17
	s_delay_alu instid0(VALU_DEP_1) | instskip(NEXT) | instid1(VALU_DEP_4)
	v_mul_f64 v[23:24], v[18:19], v[16:17]
	v_mul_f64 v[27:28], v[25:26], v[16:17]
	s_delay_alu instid0(VALU_DEP_4) | instskip(NEXT) | instid1(VALU_DEP_3)
	v_mul_f64 v[48:49], v[46:47], v[16:17]
	v_fma_f64 v[18:19], v[18:19], v[16:17], -v[23:24]
	s_delay_alu instid0(VALU_DEP_3) | instskip(NEXT) | instid1(VALU_DEP_3)
	v_fma_f64 v[25:26], v[25:26], v[16:17], -v[27:28]
	v_fma_f64 v[16:17], v[46:47], v[16:17], -v[48:49]
	s_delay_alu instid0(VALU_DEP_3) | instskip(NEXT) | instid1(VALU_DEP_1)
	v_add_f64 v[46:47], v[27:28], v[18:19]
	v_add_f64 v[50:51], v[46:47], -v[27:28]
	s_delay_alu instid0(VALU_DEP_1) | instskip(SKIP_1) | instid1(VALU_DEP_1)
	v_add_f64 v[18:19], v[18:19], -v[50:51]
	v_add_f64 v[50:51], v[46:47], -v[50:51]
	;; [unrolled: 1-line block ×3, first 2 shown]
	v_add_f64 v[50:51], v[23:24], v[46:47]
	s_delay_alu instid0(VALU_DEP_2) | instskip(NEXT) | instid1(VALU_DEP_2)
	v_add_f64 v[18:19], v[18:19], v[27:28]
	v_add_f64 v[23:24], v[50:51], -v[23:24]
	v_add_f64 v[27:28], v[48:49], v[25:26]
	v_ldexp_f64 v[50:51], v[50:51], -2
	s_delay_alu instid0(VALU_DEP_3) | instskip(NEXT) | instid1(VALU_DEP_3)
	v_add_f64 v[23:24], v[46:47], -v[23:24]
	v_add_f64 v[46:47], v[27:28], -v[48:49]
	s_delay_alu instid0(VALU_DEP_3) | instskip(SKIP_1) | instid1(VALU_DEP_3)
	v_cmp_neq_f64_e64 vcc_lo, 0x7ff00000, |v[50:51]|
	v_fract_f64_e32 v[50:51], v[50:51]
	v_add_f64 v[25:26], v[25:26], -v[46:47]
	v_add_f64 v[46:47], v[27:28], -v[46:47]
	s_delay_alu instid0(VALU_DEP_3) | instskip(NEXT) | instid1(VALU_DEP_2)
	v_dual_cndmask_b32 v50, 0, v50 :: v_dual_cndmask_b32 v51, 0, v51
	v_add_f64 v[46:47], v[48:49], -v[46:47]
	v_add_f64 v[48:49], v[27:28], v[18:19]
	s_delay_alu instid0(VALU_DEP_2) | instskip(NEXT) | instid1(VALU_DEP_2)
	v_add_f64 v[25:26], v[25:26], v[46:47]
	v_add_f64 v[52:53], v[48:49], -v[27:28]
	v_add_f64 v[46:47], v[23:24], v[48:49]
	s_delay_alu instid0(VALU_DEP_2) | instskip(SKIP_1) | instid1(VALU_DEP_3)
	v_add_f64 v[18:19], v[18:19], -v[52:53]
	v_add_f64 v[52:53], v[48:49], -v[52:53]
	;; [unrolled: 1-line block ×3, first 2 shown]
	s_delay_alu instid0(VALU_DEP_2) | instskip(NEXT) | instid1(VALU_DEP_1)
	v_add_f64 v[27:28], v[27:28], -v[52:53]
	v_add_f64 v[18:19], v[18:19], v[27:28]
	v_ldexp_f64 v[27:28], v[50:51], 2
	s_delay_alu instid0(VALU_DEP_2) | instskip(NEXT) | instid1(VALU_DEP_2)
	v_add_f64 v[18:19], v[25:26], v[18:19]
	v_add_f64 v[50:51], v[46:47], v[27:28]
	v_add_f64 v[24:25], v[48:49], -v[23:24]
	s_delay_alu instid0(VALU_DEP_3) | instskip(NEXT) | instid1(VALU_DEP_3)
	v_add_f64 v[16:17], v[16:17], v[18:19]
	v_cmp_gt_f64_e32 vcc_lo, 0, v[50:51]
	s_delay_alu instid0(VALU_DEP_2) | instskip(SKIP_1) | instid1(VALU_DEP_1)
	v_add_f64 v[16:17], v[24:25], v[16:17]
	v_cndmask_b32_e64 v23, 0, 0x40100000, vcc_lo
	v_add_f64 v[18:19], v[27:28], v[22:23]
	s_delay_alu instid0(VALU_DEP_1) | instskip(NEXT) | instid1(VALU_DEP_1)
	v_add_f64 v[26:27], v[46:47], v[18:19]
	v_cvt_i32_f64_e32 v28, v[26:27]
	s_delay_alu instid0(VALU_DEP_1) | instskip(NEXT) | instid1(VALU_DEP_1)
	v_cvt_f64_i32_e32 v[26:27], v28
	v_add_f64 v[18:19], v[18:19], -v[26:27]
	s_delay_alu instid0(VALU_DEP_1) | instskip(NEXT) | instid1(VALU_DEP_1)
	v_add_f64 v[24:25], v[46:47], v[18:19]
	v_add_f64 v[18:19], v[24:25], -v[18:19]
	v_cmp_le_f64_e32 vcc_lo, 0.5, v[24:25]
	s_delay_alu instid0(VALU_DEP_2) | instskip(SKIP_2) | instid1(VALU_DEP_2)
	v_add_f64 v[18:19], v[46:47], -v[18:19]
	v_cndmask_b32_e64 v23, 0, 0x3ff00000, vcc_lo
	v_add_co_ci_u32_e32 v27, vcc_lo, 0, v28, vcc_lo
	v_add_f64 v[23:24], v[24:25], -v[22:23]
	s_delay_alu instid0(VALU_DEP_4) | instskip(NEXT) | instid1(VALU_DEP_1)
	v_add_f64 v[16:17], v[16:17], v[18:19]
	v_add_f64 v[18:19], v[23:24], v[16:17]
	s_delay_alu instid0(VALU_DEP_1) | instskip(NEXT) | instid1(VALU_DEP_1)
	v_add_f64 v[23:24], v[18:19], -v[23:24]
	v_add_f64 v[16:17], v[16:17], -v[23:24]
	v_mul_f64 v[23:24], v[18:19], s[14:15]
	s_delay_alu instid0(VALU_DEP_1) | instskip(NEXT) | instid1(VALU_DEP_1)
	v_fma_f64 v[25:26], v[18:19], s[14:15], -v[23:24]
	v_fma_f64 v[18:19], v[18:19], s[20:21], v[25:26]
	s_delay_alu instid0(VALU_DEP_1) | instskip(NEXT) | instid1(VALU_DEP_1)
	v_fma_f64 v[18:19], v[16:17], s[14:15], v[18:19]
	v_add_f64 v[16:17], v[23:24], v[18:19]
	s_delay_alu instid0(VALU_DEP_1) | instskip(NEXT) | instid1(VALU_DEP_1)
	v_add_f64 v[23:24], v[16:17], -v[23:24]
	v_add_f64 v[18:19], v[18:19], -v[23:24]
	s_and_not1_saveexec_b32 s5, s5
	s_cbranch_execz .LBB94_276
	s_branch .LBB94_275
.LBB94_274:                             ;   in Loop: Header=BB94_161 Depth=1
	s_and_not1_saveexec_b32 s5, s5
	s_cbranch_execz .LBB94_276
.LBB94_275:                             ;   in Loop: Header=BB94_161 Depth=1
	v_mul_f64 v[16:17], |v[14:15]|, s[22:23]
	s_mov_b32 s18, s24
	s_delay_alu instid0(VALU_DEP_1) | instskip(NEXT) | instid1(VALU_DEP_1)
	v_rndne_f64_e32 v[23:24], v[16:17]
	v_fma_f64 v[16:17], v[23:24], s[16:17], |v[14:15]|
	v_mul_f64 v[18:19], v[23:24], s[24:25]
	s_delay_alu instid0(VALU_DEP_2) | instskip(NEXT) | instid1(VALU_DEP_2)
	v_fma_f64 v[27:28], v[23:24], s[24:25], v[16:17]
	v_add_f64 v[25:26], v[16:17], v[18:19]
	s_delay_alu instid0(VALU_DEP_1) | instskip(NEXT) | instid1(VALU_DEP_3)
	v_add_f64 v[16:17], v[16:17], -v[25:26]
	v_add_f64 v[25:26], v[25:26], -v[27:28]
	s_delay_alu instid0(VALU_DEP_2) | instskip(SKIP_1) | instid1(VALU_DEP_2)
	v_add_f64 v[16:17], v[16:17], v[18:19]
	v_fma_f64 v[18:19], v[23:24], s[18:19], v[18:19]
	v_add_f64 v[16:17], v[25:26], v[16:17]
	s_delay_alu instid0(VALU_DEP_1) | instskip(NEXT) | instid1(VALU_DEP_1)
	v_add_f64 v[16:17], v[16:17], -v[18:19]
	v_fma_f64 v[18:19], v[23:24], s[26:27], v[16:17]
	s_delay_alu instid0(VALU_DEP_1) | instskip(NEXT) | instid1(VALU_DEP_1)
	v_add_f64 v[16:17], v[27:28], v[18:19]
	v_add_f64 v[25:26], v[16:17], -v[27:28]
	v_cvt_i32_f64_e32 v27, v[23:24]
	s_delay_alu instid0(VALU_DEP_2)
	v_add_f64 v[18:19], v[18:19], -v[25:26]
.LBB94_276:                             ;   in Loop: Header=BB94_161 Depth=1
	s_or_b32 exec_lo, exec_lo, s5
                                        ; implicit-def: $vgpr28
                                        ; implicit-def: $vgpr23_vgpr24
                                        ; implicit-def: $vgpr25_vgpr26
	s_and_saveexec_b32 s5, s4
	s_delay_alu instid0(SALU_CYCLE_1)
	s_xor_b32 s4, exec_lo, s5
	s_cbranch_execz .LBB94_278
; %bb.277:                              ;   in Loop: Header=BB94_161 Depth=1
	v_ldexp_f64 v[23:24], |v[14:15]|, 0xffffff80
	v_cmp_le_f64_e64 vcc_lo, 0x7b000000, |v[14:15]|
	v_trig_preop_f64 v[25:26], |v[14:15]|, 0
	v_and_b32_e32 v28, 0x7fffffff, v15
	v_trig_preop_f64 v[46:47], |v[14:15]|, 1
	v_trig_preop_f64 v[50:51], |v[14:15]|, 2
	s_mov_b32 s14, s16
	s_mov_b32 s21, s19
	v_dual_cndmask_b32 v24, v28, v24 :: v_dual_cndmask_b32 v23, v14, v23
	s_delay_alu instid0(VALU_DEP_1) | instskip(NEXT) | instid1(VALU_DEP_4)
	v_mul_f64 v[28:29], v[25:26], v[23:24]
	v_mul_f64 v[48:49], v[46:47], v[23:24]
	s_delay_alu instid0(VALU_DEP_4) | instskip(NEXT) | instid1(VALU_DEP_3)
	v_mul_f64 v[52:53], v[50:51], v[23:24]
	v_fma_f64 v[25:26], v[25:26], v[23:24], -v[28:29]
	s_delay_alu instid0(VALU_DEP_3) | instskip(NEXT) | instid1(VALU_DEP_3)
	v_fma_f64 v[46:47], v[46:47], v[23:24], -v[48:49]
	v_fma_f64 v[23:24], v[50:51], v[23:24], -v[52:53]
	s_delay_alu instid0(VALU_DEP_3) | instskip(NEXT) | instid1(VALU_DEP_1)
	v_add_f64 v[50:51], v[48:49], v[25:26]
	v_add_f64 v[54:55], v[50:51], -v[48:49]
	s_delay_alu instid0(VALU_DEP_1) | instskip(SKIP_1) | instid1(VALU_DEP_1)
	v_add_f64 v[25:26], v[25:26], -v[54:55]
	v_add_f64 v[54:55], v[50:51], -v[54:55]
	v_add_f64 v[48:49], v[48:49], -v[54:55]
	v_add_f64 v[54:55], v[28:29], v[50:51]
	s_delay_alu instid0(VALU_DEP_2) | instskip(NEXT) | instid1(VALU_DEP_2)
	v_add_f64 v[25:26], v[25:26], v[48:49]
	v_add_f64 v[28:29], v[54:55], -v[28:29]
	v_add_f64 v[48:49], v[52:53], v[46:47]
	v_ldexp_f64 v[54:55], v[54:55], -2
	s_delay_alu instid0(VALU_DEP_3) | instskip(NEXT) | instid1(VALU_DEP_3)
	v_add_f64 v[28:29], v[50:51], -v[28:29]
	v_add_f64 v[50:51], v[48:49], -v[52:53]
	s_delay_alu instid0(VALU_DEP_3) | instskip(SKIP_1) | instid1(VALU_DEP_3)
	v_cmp_neq_f64_e64 vcc_lo, 0x7ff00000, |v[54:55]|
	v_fract_f64_e32 v[54:55], v[54:55]
	v_add_f64 v[46:47], v[46:47], -v[50:51]
	v_add_f64 v[50:51], v[48:49], -v[50:51]
	s_delay_alu instid0(VALU_DEP_3) | instskip(NEXT) | instid1(VALU_DEP_2)
	v_dual_cndmask_b32 v55, 0, v55 :: v_dual_cndmask_b32 v54, 0, v54
	v_add_f64 v[50:51], v[52:53], -v[50:51]
	v_add_f64 v[52:53], v[48:49], v[25:26]
	s_delay_alu instid0(VALU_DEP_2) | instskip(NEXT) | instid1(VALU_DEP_2)
	v_add_f64 v[46:47], v[46:47], v[50:51]
	v_add_f64 v[56:57], v[52:53], -v[48:49]
	v_add_f64 v[50:51], v[28:29], v[52:53]
	s_delay_alu instid0(VALU_DEP_2) | instskip(SKIP_1) | instid1(VALU_DEP_3)
	v_add_f64 v[25:26], v[25:26], -v[56:57]
	v_add_f64 v[56:57], v[52:53], -v[56:57]
	;; [unrolled: 1-line block ×3, first 2 shown]
	s_delay_alu instid0(VALU_DEP_2) | instskip(NEXT) | instid1(VALU_DEP_2)
	v_add_f64 v[48:49], v[48:49], -v[56:57]
	v_add_f64 v[28:29], v[52:53], -v[28:29]
	s_delay_alu instid0(VALU_DEP_2) | instskip(SKIP_1) | instid1(VALU_DEP_2)
	v_add_f64 v[25:26], v[25:26], v[48:49]
	v_ldexp_f64 v[48:49], v[54:55], 2
	v_add_f64 v[25:26], v[46:47], v[25:26]
	s_delay_alu instid0(VALU_DEP_2) | instskip(NEXT) | instid1(VALU_DEP_2)
	v_add_f64 v[54:55], v[50:51], v[48:49]
	v_add_f64 v[24:25], v[23:24], v[25:26]
	s_delay_alu instid0(VALU_DEP_2) | instskip(NEXT) | instid1(VALU_DEP_2)
	v_cmp_gt_f64_e32 vcc_lo, 0, v[54:55]
	v_add_f64 v[24:25], v[28:29], v[24:25]
	v_cndmask_b32_e64 v23, 0, 0x40100000, vcc_lo
	s_delay_alu instid0(VALU_DEP_1) | instskip(NEXT) | instid1(VALU_DEP_1)
	v_add_f64 v[46:47], v[48:49], v[22:23]
	v_add_f64 v[48:49], v[50:51], v[46:47]
	s_delay_alu instid0(VALU_DEP_1) | instskip(NEXT) | instid1(VALU_DEP_1)
	v_cvt_i32_f64_e32 v52, v[48:49]
	v_cvt_f64_i32_e32 v[48:49], v52
	s_delay_alu instid0(VALU_DEP_1) | instskip(NEXT) | instid1(VALU_DEP_1)
	v_add_f64 v[46:47], v[46:47], -v[48:49]
	v_add_f64 v[28:29], v[50:51], v[46:47]
	s_delay_alu instid0(VALU_DEP_1) | instskip(SKIP_1) | instid1(VALU_DEP_2)
	v_add_f64 v[46:47], v[28:29], -v[46:47]
	v_cmp_le_f64_e32 vcc_lo, 0.5, v[28:29]
	v_add_f64 v[46:47], v[50:51], -v[46:47]
	v_cndmask_b32_e64 v23, 0, 0x3ff00000, vcc_lo
	s_delay_alu instid0(VALU_DEP_1) | instskip(NEXT) | instid1(VALU_DEP_3)
	v_add_f64 v[28:29], v[28:29], -v[22:23]
	v_add_f64 v[23:24], v[24:25], v[46:47]
	s_delay_alu instid0(VALU_DEP_1) | instskip(NEXT) | instid1(VALU_DEP_1)
	v_add_f64 v[25:26], v[28:29], v[23:24]
	v_add_f64 v[28:29], v[25:26], -v[28:29]
	s_delay_alu instid0(VALU_DEP_1) | instskip(SKIP_1) | instid1(VALU_DEP_1)
	v_add_f64 v[23:24], v[23:24], -v[28:29]
	v_mul_f64 v[28:29], v[25:26], s[14:15]
	v_fma_f64 v[46:47], v[25:26], s[14:15], -v[28:29]
	s_delay_alu instid0(VALU_DEP_1) | instskip(NEXT) | instid1(VALU_DEP_1)
	v_fma_f64 v[25:26], v[25:26], s[20:21], v[46:47]
	v_fma_f64 v[25:26], v[23:24], s[14:15], v[25:26]
	s_delay_alu instid0(VALU_DEP_1) | instskip(NEXT) | instid1(VALU_DEP_1)
	v_add_f64 v[23:24], v[28:29], v[25:26]
	v_add_f64 v[28:29], v[23:24], -v[28:29]
	s_delay_alu instid0(VALU_DEP_1)
	v_add_f64 v[25:26], v[25:26], -v[28:29]
	v_add_co_ci_u32_e32 v28, vcc_lo, 0, v52, vcc_lo
	s_and_not1_saveexec_b32 s4, s4
	s_cbranch_execnz .LBB94_279
	s_branch .LBB94_280
.LBB94_278:                             ;   in Loop: Header=BB94_161 Depth=1
	s_and_not1_saveexec_b32 s4, s4
	s_cbranch_execz .LBB94_280
.LBB94_279:                             ;   in Loop: Header=BB94_161 Depth=1
	v_mul_f64 v[23:24], |v[14:15]|, s[22:23]
	s_mov_b32 s18, s24
	s_delay_alu instid0(VALU_DEP_1) | instskip(NEXT) | instid1(VALU_DEP_1)
	v_rndne_f64_e32 v[28:29], v[23:24]
	v_fma_f64 v[23:24], v[28:29], s[16:17], |v[14:15]|
	v_mul_f64 v[25:26], v[28:29], s[24:25]
	s_delay_alu instid0(VALU_DEP_2) | instskip(NEXT) | instid1(VALU_DEP_2)
	v_fma_f64 v[48:49], v[28:29], s[24:25], v[23:24]
	v_add_f64 v[46:47], v[23:24], v[25:26]
	s_delay_alu instid0(VALU_DEP_1) | instskip(NEXT) | instid1(VALU_DEP_3)
	v_add_f64 v[23:24], v[23:24], -v[46:47]
	v_add_f64 v[46:47], v[46:47], -v[48:49]
	s_delay_alu instid0(VALU_DEP_2) | instskip(SKIP_1) | instid1(VALU_DEP_2)
	v_add_f64 v[23:24], v[23:24], v[25:26]
	v_fma_f64 v[25:26], v[28:29], s[18:19], v[25:26]
	v_add_f64 v[23:24], v[46:47], v[23:24]
	s_delay_alu instid0(VALU_DEP_1) | instskip(NEXT) | instid1(VALU_DEP_1)
	v_add_f64 v[23:24], v[23:24], -v[25:26]
	v_fma_f64 v[25:26], v[28:29], s[26:27], v[23:24]
	v_cvt_i32_f64_e32 v28, v[28:29]
	s_delay_alu instid0(VALU_DEP_2) | instskip(NEXT) | instid1(VALU_DEP_1)
	v_add_f64 v[23:24], v[48:49], v[25:26]
	v_add_f64 v[46:47], v[23:24], -v[48:49]
	s_delay_alu instid0(VALU_DEP_1)
	v_add_f64 v[25:26], v[25:26], -v[46:47]
.LBB94_280:                             ;   in Loop: Header=BB94_161 Depth=1
	s_or_b32 exec_lo, exec_lo, s4
	v_cmp_class_f64_e64 vcc_lo, v[14:15], 0x1f8
	s_delay_alu instid0(VALU_DEP_3) | instskip(NEXT) | instid1(VALU_DEP_3)
	v_lshlrev_b32_e32 v14, 30, v27
	v_mul_f64 v[52:53], v[18:19], 0.5
	s_delay_alu instid0(VALU_DEP_4) | instskip(SKIP_1) | instid1(VALU_DEP_3)
	v_mul_f64 v[58:59], v[25:26], 0.5
	s_mov_b32 s42, s44
	v_xor_b32_e32 v29, v14, v15
	v_mul_f64 v[14:15], v[16:17], v[16:17]
	s_delay_alu instid0(VALU_DEP_1) | instskip(SKIP_1) | instid1(VALU_DEP_2)
	v_mul_f64 v[46:47], v[14:15], 0.5
	v_mul_f64 v[54:55], v[16:17], -v[14:15]
	v_add_f64 v[48:49], -v[46:47], 1.0
	s_delay_alu instid0(VALU_DEP_1) | instskip(NEXT) | instid1(VALU_DEP_1)
	v_add_f64 v[50:51], -v[48:49], 1.0
	v_add_f64 v[46:47], v[50:51], -v[46:47]
	v_fma_f64 v[50:51], v[14:15], s[34:35], s[30:31]
	s_delay_alu instid0(VALU_DEP_2) | instskip(NEXT) | instid1(VALU_DEP_2)
	v_fma_f64 v[46:47], v[16:17], -v[18:19], v[46:47]
	v_fma_f64 v[50:51], v[14:15], v[50:51], s[36:37]
	s_delay_alu instid0(VALU_DEP_1) | instskip(NEXT) | instid1(VALU_DEP_1)
	v_fma_f64 v[50:51], v[14:15], v[50:51], s[38:39]
	v_fma_f64 v[50:51], v[14:15], v[50:51], s[40:41]
	s_delay_alu instid0(VALU_DEP_1) | instskip(NEXT) | instid1(VALU_DEP_1)
	v_fma_f64 v[50:51], v[54:55], v[50:51], v[52:53]
	v_fma_f64 v[18:19], v[14:15], v[50:51], -v[18:19]
	v_fma_f64 v[50:51], v[14:15], s[98:99], s[96:97]
	s_delay_alu instid0(VALU_DEP_2) | instskip(NEXT) | instid1(VALU_DEP_2)
	v_fma_f64 v[18:19], v[54:55], s[42:43], v[18:19]
	v_fma_f64 v[50:51], v[14:15], v[50:51], s[100:101]
	s_delay_alu instid0(VALU_DEP_2) | instskip(NEXT) | instid1(VALU_DEP_2)
	v_add_f64 v[16:17], v[16:17], -v[18:19]
	v_fma_f64 v[50:51], v[14:15], v[50:51], s[102:103]
	s_delay_alu instid0(VALU_DEP_1) | instskip(NEXT) | instid1(VALU_DEP_1)
	v_fma_f64 v[50:51], v[14:15], v[50:51], s[28:29]
	v_fma_f64 v[50:51], v[14:15], v[50:51], s[44:45]
	v_mul_f64 v[14:15], v[14:15], v[14:15]
	s_delay_alu instid0(VALU_DEP_1) | instskip(SKIP_1) | instid1(VALU_DEP_2)
	v_fma_f64 v[14:15], v[14:15], v[50:51], v[46:47]
	v_mul_f64 v[46:47], v[23:24], v[23:24]
	v_add_f64 v[14:15], v[48:49], v[14:15]
	s_delay_alu instid0(VALU_DEP_2) | instskip(SKIP_1) | instid1(VALU_DEP_2)
	v_mul_f64 v[50:51], v[46:47], 0.5
	v_mul_f64 v[60:61], v[23:24], -v[46:47]
	v_add_f64 v[52:53], -v[50:51], 1.0
	s_delay_alu instid0(VALU_DEP_1) | instskip(NEXT) | instid1(VALU_DEP_1)
	v_add_f64 v[56:57], -v[52:53], 1.0
	v_add_f64 v[50:51], v[56:57], -v[50:51]
	v_fma_f64 v[56:57], v[46:47], s[34:35], s[30:31]
	s_delay_alu instid0(VALU_DEP_2) | instskip(NEXT) | instid1(VALU_DEP_2)
	v_fma_f64 v[50:51], v[23:24], -v[25:26], v[50:51]
	v_fma_f64 v[56:57], v[46:47], v[56:57], s[36:37]
	s_delay_alu instid0(VALU_DEP_1) | instskip(NEXT) | instid1(VALU_DEP_1)
	v_fma_f64 v[56:57], v[46:47], v[56:57], s[38:39]
	v_fma_f64 v[56:57], v[46:47], v[56:57], s[40:41]
	s_delay_alu instid0(VALU_DEP_1) | instskip(NEXT) | instid1(VALU_DEP_1)
	v_fma_f64 v[56:57], v[60:61], v[56:57], v[58:59]
	v_fma_f64 v[25:26], v[46:47], v[56:57], -v[25:26]
	v_fma_f64 v[56:57], v[46:47], s[98:99], s[96:97]
	s_delay_alu instid0(VALU_DEP_2) | instskip(NEXT) | instid1(VALU_DEP_2)
	v_fma_f64 v[25:26], v[60:61], s[42:43], v[25:26]
	v_fma_f64 v[56:57], v[46:47], v[56:57], s[100:101]
	s_delay_alu instid0(VALU_DEP_2) | instskip(NEXT) | instid1(VALU_DEP_2)
	v_add_f64 v[23:24], v[23:24], -v[25:26]
	v_fma_f64 v[56:57], v[46:47], v[56:57], s[102:103]
	v_and_b32_e32 v25, 1, v27
	v_lshlrev_b32_e32 v27, 30, v28
	s_delay_alu instid0(VALU_DEP_2) | instskip(SKIP_1) | instid1(VALU_DEP_2)
	v_cmp_eq_u32_e64 s4, 0, v25
	v_and_b32_e32 v25, 0x80000000, v29
	v_cndmask_b32_e64 v15, v15, v17, s4
	s_delay_alu instid0(VALU_DEP_4) | instskip(SKIP_1) | instid1(VALU_DEP_3)
	v_and_b32_e32 v17, 0x80000000, v27
	v_cndmask_b32_e64 v14, v14, v16, s4
	v_xor_b32_e32 v15, v15, v25
	v_and_b32_e32 v26, 1, v28
	s_delay_alu instid0(VALU_DEP_3) | instskip(NEXT) | instid1(VALU_DEP_3)
	v_cndmask_b32_e32 v14, 0, v14, vcc_lo
	v_cndmask_b32_e32 v15, 0x7ff80000, v15, vcc_lo
	s_delay_alu instid0(VALU_DEP_3) | instskip(SKIP_2) | instid1(VALU_DEP_1)
	v_cmp_eq_u32_e64 s5, 0, v26
	v_xor_b32_e32 v24, 0x80000000, v24
	v_fma_f64 v[56:57], v[46:47], v[56:57], s[28:29]
	v_fma_f64 v[56:57], v[46:47], v[56:57], s[44:45]
	v_mul_f64 v[46:47], v[46:47], v[46:47]
	s_delay_alu instid0(VALU_DEP_1) | instskip(NEXT) | instid1(VALU_DEP_1)
	v_fma_f64 v[46:47], v[46:47], v[56:57], v[50:51]
	v_add_f64 v[18:19], v[52:53], v[46:47]
	s_delay_alu instid0(VALU_DEP_1) | instskip(NEXT) | instid1(VALU_DEP_2)
	v_cndmask_b32_e64 v19, v24, v19, s5
	v_cndmask_b32_e64 v16, v23, v18, s5
	s_delay_alu instid0(VALU_DEP_2) | instskip(NEXT) | instid1(VALU_DEP_2)
	v_xor_b32_e32 v17, v19, v17
	v_cndmask_b32_e32 v16, 0, v16, vcc_lo
	s_delay_alu instid0(VALU_DEP_2) | instskip(NEXT) | instid1(VALU_DEP_1)
	v_cndmask_b32_e32 v17, 0x7ff80000, v17, vcc_lo
	v_mul_f64 v[14:15], v[14:15], v[16:17]
.LBB94_281:                             ;   in Loop: Header=BB94_161 Depth=1
	s_or_b32 exec_lo, exec_lo, s64
	s_delay_alu instid0(VALU_DEP_1) | instskip(SKIP_2) | instid1(VALU_DEP_3)
	v_bfi_b32 v23, 0x7fffffff, 0, v15
	v_add_co_u32 v20, vcc_lo, v20, 0
	v_add_co_ci_u32_e32 v21, vcc_lo, -2.0, v21, vcc_lo
	v_dual_mov_b32 v18, v22 :: v_dual_mov_b32 v19, v23
.LBB94_282:                             ;   in Loop: Header=BB94_161 Depth=1
	s_or_b32 exec_lo, exec_lo, s60
.LBB94_283:                             ;   in Loop: Header=BB94_161 Depth=1
	s_delay_alu instid0(SALU_CYCLE_1) | instskip(SKIP_3) | instid1(VALU_DEP_2)
	s_or_b32 exec_lo, exec_lo, s47
	v_xor_b32_e32 v17, 0x80000000, v9
	v_mov_b32_e32 v16, v8
	s_mov_b32 s4, exec_lo
	v_and_b32_e32 v14, 0x7fffffff, v17
	s_delay_alu instid0(VALU_DEP_1)
	v_cmpx_gt_u32_e32 0x7ff00000, v14
	s_xor_b32 s5, exec_lo, s4
	s_cbranch_execz .LBB94_294
; %bb.284:                              ;   in Loop: Header=BB94_161 Depth=1
	v_cmp_class_f64_e64 s4, v[6:7], 0x1f8
	s_delay_alu instid0(VALU_DEP_1) | instskip(NEXT) | instid1(SALU_CYCLE_1)
	s_and_saveexec_b32 s14, s4
	s_xor_b32 s47, exec_lo, s14
	s_cbranch_execz .LBB94_313
; %bb.285:                              ;   in Loop: Header=BB94_161 Depth=1
	s_mov_b32 s4, exec_lo
	v_cmpx_gt_u32_e32 0x40360000, v14
	s_xor_b32 s42, exec_lo, s4
	s_cbranch_execz .LBB94_291
; %bb.286:                              ;   in Loop: Header=BB94_161 Depth=1
	v_cmp_ngt_f64_e64 s4, 0x41d00000, |v[6:7]|
                                        ; implicit-def: $vgpr16
                                        ; implicit-def: $vgpr14_vgpr15
                                        ; implicit-def: $vgpr23_vgpr24
	s_delay_alu instid0(VALU_DEP_1) | instskip(NEXT) | instid1(SALU_CYCLE_1)
	s_and_saveexec_b32 s14, s4
	s_xor_b32 s4, exec_lo, s14
	s_cbranch_execz .LBB94_288
; %bb.287:                              ;   in Loop: Header=BB94_161 Depth=1
	v_ldexp_f64 v[14:15], |v[6:7]|, 0xffffff80
	v_cmp_le_f64_e64 vcc_lo, 0x7b000000, |v[6:7]|
	v_trig_preop_f64 v[23:24], |v[6:7]|, 0
	v_and_b32_e32 v16, 0x7fffffff, v7
	v_trig_preop_f64 v[27:28], |v[6:7]|, 1
	v_trig_preop_f64 v[48:49], |v[6:7]|, 2
	s_mov_b32 s14, s16
	s_mov_b32 s21, s19
	v_dual_cndmask_b32 v15, v16, v15 :: v_dual_cndmask_b32 v14, v6, v14
	s_delay_alu instid0(VALU_DEP_1) | instskip(NEXT) | instid1(VALU_DEP_4)
	v_mul_f64 v[25:26], v[23:24], v[14:15]
	v_mul_f64 v[46:47], v[27:28], v[14:15]
	s_delay_alu instid0(VALU_DEP_4) | instskip(NEXT) | instid1(VALU_DEP_3)
	v_mul_f64 v[50:51], v[48:49], v[14:15]
	v_fma_f64 v[23:24], v[23:24], v[14:15], -v[25:26]
	s_delay_alu instid0(VALU_DEP_3) | instskip(NEXT) | instid1(VALU_DEP_3)
	v_fma_f64 v[27:28], v[27:28], v[14:15], -v[46:47]
	v_fma_f64 v[14:15], v[48:49], v[14:15], -v[50:51]
	s_delay_alu instid0(VALU_DEP_3) | instskip(NEXT) | instid1(VALU_DEP_1)
	v_add_f64 v[48:49], v[46:47], v[23:24]
	v_add_f64 v[52:53], v[48:49], -v[46:47]
	s_delay_alu instid0(VALU_DEP_1) | instskip(SKIP_1) | instid1(VALU_DEP_1)
	v_add_f64 v[23:24], v[23:24], -v[52:53]
	v_add_f64 v[52:53], v[48:49], -v[52:53]
	;; [unrolled: 1-line block ×3, first 2 shown]
	v_add_f64 v[52:53], v[25:26], v[48:49]
	s_delay_alu instid0(VALU_DEP_2) | instskip(NEXT) | instid1(VALU_DEP_2)
	v_add_f64 v[23:24], v[23:24], v[46:47]
	v_add_f64 v[25:26], v[52:53], -v[25:26]
	v_add_f64 v[46:47], v[50:51], v[27:28]
	v_ldexp_f64 v[52:53], v[52:53], -2
	s_delay_alu instid0(VALU_DEP_3) | instskip(NEXT) | instid1(VALU_DEP_3)
	v_add_f64 v[25:26], v[48:49], -v[25:26]
	v_add_f64 v[48:49], v[46:47], -v[50:51]
	s_delay_alu instid0(VALU_DEP_3) | instskip(SKIP_1) | instid1(VALU_DEP_3)
	v_cmp_neq_f64_e64 vcc_lo, 0x7ff00000, |v[52:53]|
	v_fract_f64_e32 v[52:53], v[52:53]
	v_add_f64 v[27:28], v[27:28], -v[48:49]
	v_add_f64 v[48:49], v[46:47], -v[48:49]
	s_delay_alu instid0(VALU_DEP_3) | instskip(NEXT) | instid1(VALU_DEP_2)
	v_dual_cndmask_b32 v53, 0, v53 :: v_dual_cndmask_b32 v52, 0, v52
	v_add_f64 v[48:49], v[50:51], -v[48:49]
	v_add_f64 v[50:51], v[46:47], v[23:24]
	s_delay_alu instid0(VALU_DEP_2) | instskip(NEXT) | instid1(VALU_DEP_2)
	v_add_f64 v[27:28], v[27:28], v[48:49]
	v_add_f64 v[54:55], v[50:51], -v[46:47]
	v_add_f64 v[48:49], v[25:26], v[50:51]
	s_delay_alu instid0(VALU_DEP_2) | instskip(SKIP_1) | instid1(VALU_DEP_3)
	v_add_f64 v[23:24], v[23:24], -v[54:55]
	v_add_f64 v[54:55], v[50:51], -v[54:55]
	;; [unrolled: 1-line block ×3, first 2 shown]
	s_delay_alu instid0(VALU_DEP_2) | instskip(NEXT) | instid1(VALU_DEP_2)
	v_add_f64 v[46:47], v[46:47], -v[54:55]
	v_add_f64 v[25:26], v[50:51], -v[25:26]
	s_delay_alu instid0(VALU_DEP_2) | instskip(SKIP_1) | instid1(VALU_DEP_2)
	v_add_f64 v[23:24], v[23:24], v[46:47]
	v_ldexp_f64 v[46:47], v[52:53], 2
	v_add_f64 v[23:24], v[27:28], v[23:24]
	s_delay_alu instid0(VALU_DEP_2) | instskip(NEXT) | instid1(VALU_DEP_2)
	v_add_f64 v[52:53], v[48:49], v[46:47]
	v_add_f64 v[14:15], v[14:15], v[23:24]
	s_delay_alu instid0(VALU_DEP_2) | instskip(NEXT) | instid1(VALU_DEP_2)
	v_cmp_gt_f64_e32 vcc_lo, 0, v[52:53]
	v_add_f64 v[14:15], v[25:26], v[14:15]
	v_cndmask_b32_e64 v23, 0, 0x40100000, vcc_lo
	s_delay_alu instid0(VALU_DEP_1) | instskip(NEXT) | instid1(VALU_DEP_1)
	v_add_f64 v[23:24], v[46:47], v[22:23]
	v_add_f64 v[27:28], v[48:49], v[23:24]
	s_delay_alu instid0(VALU_DEP_1) | instskip(NEXT) | instid1(VALU_DEP_1)
	v_cvt_i32_f64_e32 v16, v[27:28]
	v_cvt_f64_i32_e32 v[27:28], v16
	s_delay_alu instid0(VALU_DEP_1) | instskip(NEXT) | instid1(VALU_DEP_1)
	v_add_f64 v[23:24], v[23:24], -v[27:28]
	v_add_f64 v[25:26], v[48:49], v[23:24]
	s_delay_alu instid0(VALU_DEP_1) | instskip(SKIP_1) | instid1(VALU_DEP_2)
	v_add_f64 v[23:24], v[25:26], -v[23:24]
	v_cmp_le_f64_e32 vcc_lo, 0.5, v[25:26]
	v_add_f64 v[27:28], v[48:49], -v[23:24]
	v_cndmask_b32_e64 v23, 0, 0x3ff00000, vcc_lo
	v_add_co_ci_u32_e32 v16, vcc_lo, 0, v16, vcc_lo
	s_delay_alu instid0(VALU_DEP_2) | instskip(NEXT) | instid1(VALU_DEP_4)
	v_add_f64 v[23:24], v[25:26], -v[22:23]
	v_add_f64 v[14:15], v[14:15], v[27:28]
	s_delay_alu instid0(VALU_DEP_1) | instskip(NEXT) | instid1(VALU_DEP_1)
	v_add_f64 v[25:26], v[23:24], v[14:15]
	v_add_f64 v[23:24], v[25:26], -v[23:24]
	s_delay_alu instid0(VALU_DEP_1) | instskip(SKIP_1) | instid1(VALU_DEP_1)
	v_add_f64 v[14:15], v[14:15], -v[23:24]
	v_mul_f64 v[23:24], v[25:26], s[14:15]
	v_fma_f64 v[27:28], v[25:26], s[14:15], -v[23:24]
	s_delay_alu instid0(VALU_DEP_1) | instskip(NEXT) | instid1(VALU_DEP_1)
	v_fma_f64 v[25:26], v[25:26], s[20:21], v[27:28]
	v_fma_f64 v[25:26], v[14:15], s[14:15], v[25:26]
	s_delay_alu instid0(VALU_DEP_1) | instskip(NEXT) | instid1(VALU_DEP_1)
	v_add_f64 v[14:15], v[23:24], v[25:26]
	v_add_f64 v[23:24], v[14:15], -v[23:24]
	s_delay_alu instid0(VALU_DEP_1)
	v_add_f64 v[23:24], v[25:26], -v[23:24]
.LBB94_288:                             ;   in Loop: Header=BB94_161 Depth=1
	s_and_not1_saveexec_b32 s4, s4
	s_cbranch_execz .LBB94_290
; %bb.289:                              ;   in Loop: Header=BB94_161 Depth=1
	v_mul_f64 v[14:15], |v[6:7]|, s[22:23]
	s_mov_b32 s18, s24
	s_delay_alu instid0(VALU_DEP_1) | instskip(NEXT) | instid1(VALU_DEP_1)
	v_rndne_f64_e32 v[25:26], v[14:15]
	v_fma_f64 v[14:15], v[25:26], s[16:17], |v[6:7]|
	v_mul_f64 v[23:24], v[25:26], s[24:25]
	v_cvt_i32_f64_e32 v16, v[25:26]
	s_delay_alu instid0(VALU_DEP_3) | instskip(NEXT) | instid1(VALU_DEP_3)
	v_fma_f64 v[46:47], v[25:26], s[24:25], v[14:15]
	v_add_f64 v[27:28], v[14:15], v[23:24]
	s_delay_alu instid0(VALU_DEP_1) | instskip(NEXT) | instid1(VALU_DEP_3)
	v_add_f64 v[14:15], v[14:15], -v[27:28]
	v_add_f64 v[27:28], v[27:28], -v[46:47]
	s_delay_alu instid0(VALU_DEP_2) | instskip(SKIP_1) | instid1(VALU_DEP_2)
	v_add_f64 v[14:15], v[14:15], v[23:24]
	v_fma_f64 v[23:24], v[25:26], s[18:19], v[23:24]
	v_add_f64 v[14:15], v[27:28], v[14:15]
	s_delay_alu instid0(VALU_DEP_1) | instskip(NEXT) | instid1(VALU_DEP_1)
	v_add_f64 v[14:15], v[14:15], -v[23:24]
	v_fma_f64 v[23:24], v[25:26], s[26:27], v[14:15]
	s_delay_alu instid0(VALU_DEP_1) | instskip(NEXT) | instid1(VALU_DEP_1)
	v_add_f64 v[14:15], v[46:47], v[23:24]
	v_add_f64 v[27:28], v[14:15], -v[46:47]
	s_delay_alu instid0(VALU_DEP_1)
	v_add_f64 v[23:24], v[23:24], -v[27:28]
.LBB94_290:                             ;   in Loop: Header=BB94_161 Depth=1
	s_or_b32 exec_lo, exec_lo, s4
	v_add_f64 v[25:26], |v[8:9]|, s[58:59]
	s_mov_b32 s60, s58
	s_mov_b32 s64, s66
	;; [unrolled: 1-line block ×5, first 2 shown]
	v_cmp_nge_f64_e64 vcc_lo, |v[8:9]|, s[94:95]
	v_cmp_gt_f64_e64 s4, 0x3e400000, |v[8:9]|
	s_mov_b32 s50, 0xa9a29f71
	s_mov_b32 s52, 0xc751c08c
	;; [unrolled: 1-line block ×4, first 2 shown]
	v_and_b32_e32 v16, 1, v16
	s_delay_alu instid0(VALU_DEP_4) | instskip(NEXT) | instid1(VALU_DEP_1)
	v_add_f64 v[27:28], v[25:26], -|v[8:9]|
	v_add_f64 v[46:47], v[27:28], -v[25:26]
	v_add_f64 v[27:28], v[27:28], s[60:61]
	s_delay_alu instid0(VALU_DEP_2) | instskip(NEXT) | instid1(VALU_DEP_1)
	v_add_f64 v[46:47], |v[8:9]|, v[46:47]
	v_add_f64 v[27:28], v[46:47], -v[27:28]
	s_delay_alu instid0(VALU_DEP_1) | instskip(NEXT) | instid1(VALU_DEP_1)
	v_add_f64 v[27:28], v[27:28], s[62:63]
	v_add_f64 v[46:47], v[25:26], v[27:28]
	s_delay_alu instid0(VALU_DEP_1) | instskip(NEXT) | instid1(VALU_DEP_1)
	v_add_f64 v[25:26], v[25:26], -v[46:47]
	v_add_f64 v[25:26], v[27:28], v[25:26]
	v_mul_f64 v[27:28], v[46:47], s[64:65]
	s_delay_alu instid0(VALU_DEP_1) | instskip(NEXT) | instid1(VALU_DEP_1)
	v_rndne_f64_e32 v[27:28], v[27:28]
	v_fma_f64 v[46:47], v[27:28], s[68:69], v[46:47]
	v_cvt_i32_f64_e32 v6, v[27:28]
	s_delay_alu instid0(VALU_DEP_2) | instskip(NEXT) | instid1(VALU_DEP_1)
	v_add_f64 v[48:49], v[25:26], v[46:47]
	v_add_f64 v[46:47], v[46:47], -v[48:49]
	s_delay_alu instid0(VALU_DEP_1) | instskip(SKIP_1) | instid1(VALU_DEP_1)
	v_add_f64 v[25:26], v[25:26], v[46:47]
	v_mul_f64 v[46:47], v[27:28], s[70:71]
	v_add_f64 v[50:51], v[48:49], v[46:47]
	s_delay_alu instid0(VALU_DEP_1) | instskip(NEXT) | instid1(VALU_DEP_1)
	v_add_f64 v[48:49], v[48:49], -v[50:51]
	v_add_f64 v[46:47], v[48:49], v[46:47]
	s_delay_alu instid0(VALU_DEP_1) | instskip(NEXT) | instid1(VALU_DEP_1)
	v_add_f64 v[25:26], v[25:26], v[46:47]
	v_add_f64 v[46:47], v[50:51], v[25:26]
	s_delay_alu instid0(VALU_DEP_1) | instskip(NEXT) | instid1(VALU_DEP_1)
	v_add_f64 v[48:49], v[50:51], -v[46:47]
	v_add_f64 v[25:26], v[25:26], v[48:49]
	v_mul_f64 v[48:49], v[27:28], s[72:73]
	s_delay_alu instid0(VALU_DEP_1) | instskip(NEXT) | instid1(VALU_DEP_1)
	v_add_f64 v[50:51], v[46:47], v[48:49]
	v_add_f64 v[46:47], v[46:47], -v[50:51]
	s_delay_alu instid0(VALU_DEP_1) | instskip(NEXT) | instid1(VALU_DEP_1)
	v_add_f64 v[46:47], v[46:47], v[48:49]
	v_add_f64 v[25:26], v[25:26], v[46:47]
	s_delay_alu instid0(VALU_DEP_1) | instskip(NEXT) | instid1(VALU_DEP_1)
	v_add_f64 v[46:47], v[50:51], v[25:26]
	v_add_f64 v[48:49], v[50:51], -v[46:47]
	s_delay_alu instid0(VALU_DEP_1) | instskip(SKIP_1) | instid1(VALU_DEP_2)
	v_add_f64 v[25:26], v[25:26], v[48:49]
	v_mul_f64 v[48:49], v[46:47], v[46:47]
	v_add_f64 v[52:53], v[25:26], v[25:26]
	s_delay_alu instid0(VALU_DEP_2) | instskip(NEXT) | instid1(VALU_DEP_1)
	v_fma_f64 v[50:51], v[46:47], v[46:47], -v[48:49]
	v_fma_f64 v[50:51], v[46:47], v[52:53], v[50:51]
	s_delay_alu instid0(VALU_DEP_1) | instskip(NEXT) | instid1(VALU_DEP_1)
	v_add_f64 v[52:53], v[48:49], v[50:51]
	v_add_f64 v[48:49], v[52:53], -v[48:49]
	s_delay_alu instid0(VALU_DEP_1) | instskip(SKIP_1) | instid1(VALU_DEP_1)
	v_add_f64 v[48:49], v[50:51], -v[48:49]
	v_fma_f64 v[50:51], v[46:47], s[76:77], s[74:75]
	v_fma_f64 v[50:51], v[46:47], v[50:51], s[78:79]
	s_delay_alu instid0(VALU_DEP_1) | instskip(NEXT) | instid1(VALU_DEP_1)
	v_fma_f64 v[50:51], v[46:47], v[50:51], s[80:81]
	v_fma_f64 v[50:51], v[46:47], v[50:51], s[82:83]
	s_delay_alu instid0(VALU_DEP_1) | instskip(NEXT) | instid1(VALU_DEP_1)
	;; [unrolled: 3-line block ×4, first 2 shown]
	v_fma_f64 v[50:51], v[46:47], v[50:51], s[92:93]
	v_mul_f64 v[54:55], v[52:53], v[50:51]
	s_delay_alu instid0(VALU_DEP_1) | instskip(NEXT) | instid1(VALU_DEP_1)
	v_fma_f64 v[52:53], v[52:53], v[50:51], -v[54:55]
	v_fma_f64 v[48:49], v[48:49], v[50:51], v[52:53]
	s_delay_alu instid0(VALU_DEP_1) | instskip(NEXT) | instid1(VALU_DEP_1)
	v_add_f64 v[50:51], v[54:55], v[48:49]
	v_add_f64 v[52:53], v[50:51], -v[54:55]
	s_delay_alu instid0(VALU_DEP_1) | instskip(SKIP_1) | instid1(VALU_DEP_2)
	v_add_f64 v[48:49], v[48:49], -v[52:53]
	v_add_f64 v[52:53], v[46:47], v[50:51]
	v_add_f64 v[25:26], v[25:26], v[48:49]
	s_delay_alu instid0(VALU_DEP_2) | instskip(NEXT) | instid1(VALU_DEP_1)
	v_add_f64 v[46:47], v[52:53], -v[46:47]
	v_add_f64 v[46:47], v[50:51], -v[46:47]
	s_delay_alu instid0(VALU_DEP_1) | instskip(NEXT) | instid1(VALU_DEP_1)
	v_add_f64 v[25:26], v[25:26], v[46:47]
	v_add_f64 v[46:47], v[52:53], v[25:26]
	s_delay_alu instid0(VALU_DEP_1) | instskip(NEXT) | instid1(VALU_DEP_1)
	v_add_f64 v[48:49], v[46:47], -v[52:53]
	v_add_f64 v[25:26], v[25:26], -v[48:49]
	v_add_f64 v[48:49], v[46:47], 1.0
	s_delay_alu instid0(VALU_DEP_1) | instskip(NEXT) | instid1(VALU_DEP_1)
	v_add_f64 v[50:51], v[48:49], -1.0
	v_add_f64 v[46:47], v[46:47], -v[50:51]
	s_delay_alu instid0(VALU_DEP_1) | instskip(NEXT) | instid1(VALU_DEP_1)
	v_add_f64 v[25:26], v[25:26], v[46:47]
	v_add_f64 v[27:28], v[48:49], v[25:26]
	s_delay_alu instid0(VALU_DEP_1) | instskip(SKIP_1) | instid1(VALU_DEP_2)
	v_add_f64 v[46:47], v[27:28], -v[48:49]
	v_ldexp_f64 v[27:28], v[27:28], v6
	v_add_f64 v[25:26], v[25:26], -v[46:47]
	s_delay_alu instid0(VALU_DEP_2) | instskip(NEXT) | instid1(VALU_DEP_1)
	v_rcp_f64_e32 v[48:49], v[27:28]
	v_ldexp_f64 v[25:26], v[25:26], v6
	v_and_b32_e32 v6, 0x7fffffff, v9
	s_waitcnt_depctr 0xfff
	v_fma_f64 v[50:51], -v[27:28], v[48:49], 1.0
	s_delay_alu instid0(VALU_DEP_1) | instskip(NEXT) | instid1(VALU_DEP_1)
	v_fma_f64 v[48:49], v[50:51], v[48:49], v[48:49]
	v_fma_f64 v[46:47], -v[27:28], v[48:49], 1.0
	s_delay_alu instid0(VALU_DEP_1) | instskip(NEXT) | instid1(VALU_DEP_1)
	v_fma_f64 v[46:47], v[46:47], v[48:49], v[48:49]
	v_mul_f64 v[48:49], v[27:28], v[46:47]
	s_delay_alu instid0(VALU_DEP_1) | instskip(NEXT) | instid1(VALU_DEP_1)
	v_fma_f64 v[50:51], v[46:47], v[27:28], -v[48:49]
	v_fma_f64 v[50:51], v[46:47], v[25:26], v[50:51]
	s_delay_alu instid0(VALU_DEP_1) | instskip(NEXT) | instid1(VALU_DEP_1)
	v_add_f64 v[52:53], v[48:49], v[50:51]
	v_add_f64 v[48:49], v[52:53], -v[48:49]
	s_delay_alu instid0(VALU_DEP_1) | instskip(SKIP_1) | instid1(VALU_DEP_1)
	v_add_f64 v[48:49], v[48:49], -v[50:51]
	v_add_f64 v[50:51], -v[52:53], 1.0
	v_add_f64 v[54:55], -v[50:51], 1.0
	s_delay_alu instid0(VALU_DEP_1) | instskip(NEXT) | instid1(VALU_DEP_1)
	v_add_f64 v[52:53], v[54:55], -v[52:53]
	v_add_f64 v[48:49], v[48:49], v[52:53]
	s_delay_alu instid0(VALU_DEP_1) | instskip(NEXT) | instid1(VALU_DEP_1)
	v_add_f64 v[52:53], v[50:51], v[48:49]
	v_add_f64 v[50:51], v[50:51], -v[52:53]
	s_delay_alu instid0(VALU_DEP_1) | instskip(SKIP_1) | instid1(VALU_DEP_1)
	v_add_f64 v[48:49], v[48:49], v[50:51]
	v_mul_f64 v[50:51], v[46:47], v[52:53]
	v_mul_f64 v[54:55], v[27:28], v[50:51]
	s_delay_alu instid0(VALU_DEP_1) | instskip(NEXT) | instid1(VALU_DEP_1)
	v_fma_f64 v[56:57], v[50:51], v[27:28], -v[54:55]
	v_fma_f64 v[56:57], v[50:51], v[25:26], v[56:57]
	s_delay_alu instid0(VALU_DEP_1) | instskip(NEXT) | instid1(VALU_DEP_1)
	v_add_f64 v[58:59], v[54:55], v[56:57]
	v_add_f64 v[60:61], v[52:53], -v[58:59]
	v_add_f64 v[54:55], v[58:59], -v[54:55]
	s_delay_alu instid0(VALU_DEP_2) | instskip(NEXT) | instid1(VALU_DEP_2)
	v_add_f64 v[52:53], v[52:53], -v[60:61]
	v_add_f64 v[54:55], v[54:55], -v[56:57]
	s_delay_alu instid0(VALU_DEP_2) | instskip(NEXT) | instid1(VALU_DEP_1)
	v_add_f64 v[52:53], v[52:53], -v[58:59]
	v_add_f64 v[48:49], v[48:49], v[52:53]
	v_add_f64 v[52:53], v[46:47], v[50:51]
	s_delay_alu instid0(VALU_DEP_2) | instskip(NEXT) | instid1(VALU_DEP_2)
	v_add_f64 v[48:49], v[54:55], v[48:49]
	v_add_f64 v[54:55], v[52:53], -v[46:47]
	s_delay_alu instid0(VALU_DEP_2) | instskip(NEXT) | instid1(VALU_DEP_2)
	v_add_f64 v[48:49], v[60:61], v[48:49]
	v_add_f64 v[50:51], v[50:51], -v[54:55]
	s_delay_alu instid0(VALU_DEP_2) | instskip(NEXT) | instid1(VALU_DEP_1)
	v_mul_f64 v[46:47], v[46:47], v[48:49]
	v_add_f64 v[46:47], v[50:51], v[46:47]
	s_delay_alu instid0(VALU_DEP_1) | instskip(NEXT) | instid1(VALU_DEP_1)
	v_add_f64 v[48:49], v[52:53], v[46:47]
	v_add_f64 v[50:51], v[48:49], -v[52:53]
	v_ldexp_f64 v[48:49], v[48:49], -2
	s_delay_alu instid0(VALU_DEP_2) | instskip(NEXT) | instid1(VALU_DEP_2)
	v_add_f64 v[46:47], v[46:47], -v[50:51]
	v_add_f64 v[52:53], v[27:28], -v[48:49]
	s_delay_alu instid0(VALU_DEP_1) | instskip(NEXT) | instid1(VALU_DEP_1)
	v_add_f64 v[27:28], v[27:28], -v[52:53]
	v_add_f64 v[27:28], v[27:28], -v[48:49]
	s_delay_alu instid0(VALU_DEP_1) | instskip(SKIP_1) | instid1(VALU_DEP_1)
	v_add_f64 v[25:26], v[25:26], v[27:28]
	v_ldexp_f64 v[27:28], v[46:47], -2
	v_add_f64 v[25:26], v[25:26], -v[27:28]
	s_delay_alu instid0(VALU_DEP_1) | instskip(NEXT) | instid1(VALU_DEP_1)
	v_add_f64 v[25:26], v[52:53], v[25:26]
	v_cndmask_b32_e32 v9, 0x7ff00000, v26, vcc_lo
	s_delay_alu instid0(VALU_DEP_1) | instskip(NEXT) | instid1(VALU_DEP_1)
	v_cndmask_b32_e64 v6, v9, v6, s4
	v_bfi_b32 v9, 0x7fffffff, v6, v17
	s_delay_alu instid0(VALU_DEP_4) | instskip(NEXT) | instid1(VALU_DEP_1)
	v_dual_cndmask_b32 v6, 0, v25 :: v_dual_and_b32 v17, 0x80000000, v7
	v_cndmask_b32_e64 v8, v6, v8, s4
	v_cmp_eq_u32_e64 s4, 0, v16
	s_delay_alu instid0(VALU_DEP_2) | instskip(NEXT) | instid1(VALU_DEP_1)
	v_fma_f64 v[25:26], v[8:9], v[8:9], 1.0
	v_cmp_gt_f64_e32 vcc_lo, 0x10000000, v[25:26]
	v_cndmask_b32_e64 v6, 0, 1, vcc_lo
	s_delay_alu instid0(VALU_DEP_1) | instskip(NEXT) | instid1(VALU_DEP_1)
	v_lshlrev_b32_e32 v6, 8, v6
	v_ldexp_f64 v[25:26], v[25:26], v6
	v_mul_f64 v[6:7], v[14:15], v[14:15]
	s_delay_alu instid0(VALU_DEP_2) | instskip(SKIP_3) | instid1(VALU_DEP_1)
	v_rsq_f64_e32 v[27:28], v[25:26]
	s_waitcnt_depctr 0xfff
	v_mul_f64 v[46:47], v[25:26], v[27:28]
	v_mul_f64 v[27:28], v[27:28], 0.5
	v_fma_f64 v[48:49], -v[27:28], v[46:47], 0.5
	s_delay_alu instid0(VALU_DEP_1) | instskip(SKIP_1) | instid1(VALU_DEP_2)
	v_fma_f64 v[46:47], v[46:47], v[48:49], v[46:47]
	v_fma_f64 v[27:28], v[27:28], v[48:49], v[27:28]
	v_fma_f64 v[48:49], -v[46:47], v[46:47], v[25:26]
	s_delay_alu instid0(VALU_DEP_1) | instskip(NEXT) | instid1(VALU_DEP_1)
	v_fma_f64 v[46:47], v[48:49], v[27:28], v[46:47]
	v_fma_f64 v[48:49], -v[46:47], v[46:47], v[25:26]
	s_delay_alu instid0(VALU_DEP_1) | instskip(SKIP_2) | instid1(VALU_DEP_1)
	v_fma_f64 v[27:28], v[48:49], v[27:28], v[46:47]
	v_add_f64 v[46:47], v[23:24], v[23:24]
	v_fma_f64 v[48:49], v[14:15], v[14:15], -v[6:7]
	v_fma_f64 v[46:47], v[14:15], v[46:47], v[48:49]
	s_delay_alu instid0(VALU_DEP_1) | instskip(NEXT) | instid1(VALU_DEP_1)
	v_add_f64 v[6:7], v[6:7], v[46:47]
	v_fma_f64 v[46:47], v[6:7], s[52:53], s[50:51]
	s_mov_b32 s50, 0x90a8aae0
	s_mov_b32 s51, 0x3f17746f
	s_delay_alu instid0(VALU_DEP_1) | instid1(SALU_CYCLE_1)
	v_fma_f64 v[46:47], v[6:7], v[46:47], s[50:51]
	s_mov_b32 s50, 0xa6fbf144
	s_mov_b32 s51, 0xbefbb44d
	s_delay_alu instid0(VALU_DEP_1) | instid1(SALU_CYCLE_1)
	;; [unrolled: 4-line block ×10, first 2 shown]
	v_fma_f64 v[46:47], v[6:7], v[46:47], s[50:51]
	s_delay_alu instid0(VALU_DEP_1) | instskip(NEXT) | instid1(VALU_DEP_1)
	v_fma_f64 v[46:47], v[6:7], v[46:47], s[54:55]
	v_fma_f64 v[46:47], v[6:7], v[46:47], s[56:57]
	s_delay_alu instid0(VALU_DEP_1) | instskip(NEXT) | instid1(VALU_DEP_1)
	v_mul_f64 v[6:7], v[6:7], v[46:47]
	v_mul_f64 v[46:47], v[14:15], v[6:7]
	s_delay_alu instid0(VALU_DEP_1) | instskip(NEXT) | instid1(VALU_DEP_1)
	v_fma_f64 v[6:7], v[14:15], v[6:7], -v[46:47]
	v_add_f64 v[6:7], v[23:24], v[6:7]
	v_add_f64 v[23:24], v[14:15], v[46:47]
	s_delay_alu instid0(VALU_DEP_1) | instskip(NEXT) | instid1(VALU_DEP_1)
	v_add_f64 v[14:15], v[23:24], -v[14:15]
	v_add_f64 v[14:15], v[46:47], -v[14:15]
	s_delay_alu instid0(VALU_DEP_1) | instskip(NEXT) | instid1(VALU_DEP_1)
	v_add_f64 v[6:7], v[6:7], v[14:15]
	v_add_f64 v[14:15], v[23:24], v[6:7]
	s_delay_alu instid0(VALU_DEP_1) | instskip(SKIP_1) | instid1(VALU_DEP_1)
	v_rcp_f64_e32 v[46:47], v[14:15]
	v_add_f64 v[23:24], v[14:15], -v[23:24]
	v_add_f64 v[6:7], v[6:7], -v[23:24]
	s_waitcnt_depctr 0xfff
	v_fma_f64 v[48:49], -v[14:15], v[46:47], 1.0
	s_delay_alu instid0(VALU_DEP_1) | instskip(NEXT) | instid1(VALU_DEP_1)
	v_fma_f64 v[46:47], v[48:49], v[46:47], v[46:47]
	v_fma_f64 v[48:49], -v[14:15], v[46:47], 1.0
	s_delay_alu instid0(VALU_DEP_1) | instskip(NEXT) | instid1(VALU_DEP_1)
	v_fma_f64 v[46:47], v[48:49], v[46:47], v[46:47]
	v_mul_f64 v[23:24], v[14:15], v[46:47]
	s_delay_alu instid0(VALU_DEP_1) | instskip(NEXT) | instid1(VALU_DEP_1)
	v_fma_f64 v[48:49], v[46:47], v[14:15], -v[23:24]
	v_fma_f64 v[6:7], v[46:47], v[6:7], v[48:49]
	s_delay_alu instid0(VALU_DEP_1) | instskip(NEXT) | instid1(VALU_DEP_1)
	v_add_f64 v[48:49], v[23:24], v[6:7]
	v_add_f64 v[23:24], v[48:49], -v[23:24]
	s_delay_alu instid0(VALU_DEP_1) | instskip(SKIP_1) | instid1(VALU_DEP_1)
	v_add_f64 v[6:7], v[23:24], -v[6:7]
	v_add_f64 v[23:24], -v[48:49], 1.0
	v_add_f64 v[50:51], -v[23:24], 1.0
	s_delay_alu instid0(VALU_DEP_1) | instskip(NEXT) | instid1(VALU_DEP_1)
	v_add_f64 v[48:49], v[50:51], -v[48:49]
	v_add_f64 v[6:7], v[6:7], v[48:49]
	s_delay_alu instid0(VALU_DEP_1) | instskip(NEXT) | instid1(VALU_DEP_1)
	v_add_f64 v[6:7], v[23:24], v[6:7]
	v_mul_f64 v[6:7], v[46:47], v[6:7]
	s_delay_alu instid0(VALU_DEP_1) | instskip(NEXT) | instid1(VALU_DEP_1)
	v_add_f64 v[6:7], v[46:47], v[6:7]
	v_xor_b32_e32 v7, 0x80000000, v7
	s_delay_alu instid0(VALU_DEP_2) | instskip(NEXT) | instid1(VALU_DEP_2)
	v_cndmask_b32_e64 v6, v6, v14, s4
	v_cndmask_b32_e64 v7, v7, v15, s4
	v_cndmask_b32_e64 v15, 0, 0xffffff80, vcc_lo
	v_cmp_class_f64_e64 vcc_lo, v[25:26], 0x260
	s_delay_alu instid0(VALU_DEP_3) | instskip(NEXT) | instid1(VALU_DEP_3)
	v_xor_b32_e32 v7, v7, v17
	v_ldexp_f64 v[14:15], v[27:28], v15
	s_delay_alu instid0(VALU_DEP_2) | instskip(NEXT) | instid1(VALU_DEP_2)
	v_fma_f64 v[16:17], v[6:7], v[6:7], 1.0
	v_dual_cndmask_b32 v15, v15, v26 :: v_dual_cndmask_b32 v14, v14, v25
	s_delay_alu instid0(VALU_DEP_2) | instskip(NEXT) | instid1(VALU_DEP_2)
	v_mul_f64 v[23:24], v[8:9], v[16:17]
	v_mul_f64 v[14:15], v[14:15], v[16:17]
	s_delay_alu instid0(VALU_DEP_2) | instskip(NEXT) | instid1(VALU_DEP_2)
	v_fma_f64 v[23:24], v[8:9], v[23:24], 1.0
	v_mul_f64 v[8:9], v[8:9], v[14:15]
	s_delay_alu instid0(VALU_DEP_1) | instskip(NEXT) | instid1(VALU_DEP_1)
	v_div_scale_f64 v[14:15], null, v[23:24], v[23:24], v[8:9]
	v_rcp_f64_e32 v[16:17], v[14:15]
	s_waitcnt_depctr 0xfff
	v_fma_f64 v[25:26], -v[14:15], v[16:17], 1.0
	s_delay_alu instid0(VALU_DEP_1) | instskip(NEXT) | instid1(VALU_DEP_1)
	v_fma_f64 v[16:17], v[16:17], v[25:26], v[16:17]
	v_fma_f64 v[25:26], -v[14:15], v[16:17], 1.0
	s_delay_alu instid0(VALU_DEP_1) | instskip(SKIP_1) | instid1(VALU_DEP_1)
	v_fma_f64 v[16:17], v[16:17], v[25:26], v[16:17]
	v_div_scale_f64 v[25:26], vcc_lo, v[8:9], v[23:24], v[8:9]
	v_mul_f64 v[27:28], v[25:26], v[16:17]
	s_delay_alu instid0(VALU_DEP_1) | instskip(NEXT) | instid1(VALU_DEP_1)
	v_fma_f64 v[14:15], -v[14:15], v[27:28], v[25:26]
	v_div_fmas_f64 v[14:15], v[14:15], v[16:17], v[27:28]
	v_div_scale_f64 v[16:17], null, v[23:24], v[23:24], v[6:7]
	s_delay_alu instid0(VALU_DEP_1) | instskip(SKIP_2) | instid1(VALU_DEP_1)
	v_rcp_f64_e32 v[25:26], v[16:17]
	s_waitcnt_depctr 0xfff
	v_fma_f64 v[27:28], -v[16:17], v[25:26], 1.0
	v_fma_f64 v[25:26], v[25:26], v[27:28], v[25:26]
	s_delay_alu instid0(VALU_DEP_1) | instskip(NEXT) | instid1(VALU_DEP_1)
	v_fma_f64 v[27:28], -v[16:17], v[25:26], 1.0
	v_fma_f64 v[25:26], v[25:26], v[27:28], v[25:26]
	v_div_scale_f64 v[27:28], vcc_lo, v[6:7], v[23:24], v[6:7]
	s_delay_alu instid0(VALU_DEP_1) | instskip(NEXT) | instid1(VALU_DEP_1)
	v_mul_f64 v[46:47], v[27:28], v[25:26]
	v_fma_f64 v[16:17], -v[16:17], v[46:47], v[27:28]
	s_delay_alu instid0(VALU_DEP_1) | instskip(SKIP_1) | instid1(VALU_DEP_2)
	v_div_fmas_f64 v[25:26], v[16:17], v[25:26], v[46:47]
	v_div_fixup_f64 v[16:17], v[14:15], v[23:24], v[8:9]
	v_div_fixup_f64 v[14:15], v[25:26], v[23:24], v[6:7]
                                        ; implicit-def: $vgpr6_vgpr7
.LBB94_291:                             ;   in Loop: Header=BB94_161 Depth=1
	s_and_not1_saveexec_b32 s60, s42
	s_cbranch_execz .LBB94_312
; %bb.292:                              ;   in Loop: Header=BB94_161 Depth=1
	v_cmp_ngt_f64_e64 s4, 0x41d00000, |v[6:7]|
                                        ; implicit-def: $vgpr16
                                        ; implicit-def: $vgpr14_vgpr15
                                        ; implicit-def: $vgpr24_vgpr25
	s_delay_alu instid0(VALU_DEP_1) | instskip(NEXT) | instid1(SALU_CYCLE_1)
	s_and_saveexec_b32 s14, s4
	s_xor_b32 s18, exec_lo, s14
	s_cbranch_execz .LBB94_301
; %bb.293:                              ;   in Loop: Header=BB94_161 Depth=1
	v_ldexp_f64 v[14:15], |v[6:7]|, 0xffffff80
	v_cmp_le_f64_e64 vcc_lo, 0x7b000000, |v[6:7]|
	v_trig_preop_f64 v[23:24], |v[6:7]|, 0
	v_and_b32_e32 v16, 0x7fffffff, v7
	v_trig_preop_f64 v[27:28], |v[6:7]|, 1
	v_trig_preop_f64 v[48:49], |v[6:7]|, 2
	s_mov_b32 s14, s16
	s_mov_b32 s21, s19
	v_dual_cndmask_b32 v15, v16, v15 :: v_dual_cndmask_b32 v14, v6, v14
	s_delay_alu instid0(VALU_DEP_1) | instskip(NEXT) | instid1(VALU_DEP_4)
	v_mul_f64 v[25:26], v[23:24], v[14:15]
	v_mul_f64 v[46:47], v[27:28], v[14:15]
	s_delay_alu instid0(VALU_DEP_4) | instskip(NEXT) | instid1(VALU_DEP_3)
	v_mul_f64 v[50:51], v[48:49], v[14:15]
	v_fma_f64 v[23:24], v[23:24], v[14:15], -v[25:26]
	s_delay_alu instid0(VALU_DEP_3) | instskip(NEXT) | instid1(VALU_DEP_3)
	v_fma_f64 v[27:28], v[27:28], v[14:15], -v[46:47]
	v_fma_f64 v[14:15], v[48:49], v[14:15], -v[50:51]
	s_delay_alu instid0(VALU_DEP_3) | instskip(NEXT) | instid1(VALU_DEP_1)
	v_add_f64 v[48:49], v[46:47], v[23:24]
	v_add_f64 v[52:53], v[48:49], -v[46:47]
	s_delay_alu instid0(VALU_DEP_1) | instskip(SKIP_1) | instid1(VALU_DEP_1)
	v_add_f64 v[23:24], v[23:24], -v[52:53]
	v_add_f64 v[52:53], v[48:49], -v[52:53]
	;; [unrolled: 1-line block ×3, first 2 shown]
	v_add_f64 v[52:53], v[25:26], v[48:49]
	s_delay_alu instid0(VALU_DEP_2) | instskip(NEXT) | instid1(VALU_DEP_2)
	v_add_f64 v[23:24], v[23:24], v[46:47]
	v_add_f64 v[25:26], v[52:53], -v[25:26]
	v_add_f64 v[46:47], v[50:51], v[27:28]
	v_ldexp_f64 v[52:53], v[52:53], -2
	s_delay_alu instid0(VALU_DEP_3) | instskip(NEXT) | instid1(VALU_DEP_3)
	v_add_f64 v[25:26], v[48:49], -v[25:26]
	v_add_f64 v[48:49], v[46:47], -v[50:51]
	s_delay_alu instid0(VALU_DEP_3) | instskip(SKIP_1) | instid1(VALU_DEP_3)
	v_cmp_neq_f64_e64 vcc_lo, 0x7ff00000, |v[52:53]|
	v_fract_f64_e32 v[52:53], v[52:53]
	v_add_f64 v[27:28], v[27:28], -v[48:49]
	v_add_f64 v[48:49], v[46:47], -v[48:49]
	s_delay_alu instid0(VALU_DEP_3) | instskip(NEXT) | instid1(VALU_DEP_2)
	v_dual_cndmask_b32 v53, 0, v53 :: v_dual_cndmask_b32 v52, 0, v52
	v_add_f64 v[48:49], v[50:51], -v[48:49]
	v_add_f64 v[50:51], v[46:47], v[23:24]
	s_delay_alu instid0(VALU_DEP_2) | instskip(NEXT) | instid1(VALU_DEP_2)
	v_add_f64 v[27:28], v[27:28], v[48:49]
	v_add_f64 v[54:55], v[50:51], -v[46:47]
	v_add_f64 v[48:49], v[25:26], v[50:51]
	s_delay_alu instid0(VALU_DEP_2) | instskip(SKIP_1) | instid1(VALU_DEP_3)
	v_add_f64 v[23:24], v[23:24], -v[54:55]
	v_add_f64 v[54:55], v[50:51], -v[54:55]
	;; [unrolled: 1-line block ×3, first 2 shown]
	s_delay_alu instid0(VALU_DEP_2) | instskip(NEXT) | instid1(VALU_DEP_2)
	v_add_f64 v[46:47], v[46:47], -v[54:55]
	v_add_f64 v[25:26], v[50:51], -v[25:26]
	s_delay_alu instid0(VALU_DEP_2) | instskip(SKIP_1) | instid1(VALU_DEP_2)
	v_add_f64 v[23:24], v[23:24], v[46:47]
	v_ldexp_f64 v[46:47], v[52:53], 2
	v_add_f64 v[23:24], v[27:28], v[23:24]
	s_delay_alu instid0(VALU_DEP_2) | instskip(NEXT) | instid1(VALU_DEP_2)
	v_add_f64 v[52:53], v[48:49], v[46:47]
	v_add_f64 v[14:15], v[14:15], v[23:24]
	s_delay_alu instid0(VALU_DEP_2) | instskip(NEXT) | instid1(VALU_DEP_2)
	v_cmp_gt_f64_e32 vcc_lo, 0, v[52:53]
	v_add_f64 v[14:15], v[25:26], v[14:15]
	v_cndmask_b32_e64 v23, 0, 0x40100000, vcc_lo
	s_delay_alu instid0(VALU_DEP_1) | instskip(NEXT) | instid1(VALU_DEP_1)
	v_add_f64 v[23:24], v[46:47], v[22:23]
	v_add_f64 v[27:28], v[48:49], v[23:24]
	s_delay_alu instid0(VALU_DEP_1) | instskip(NEXT) | instid1(VALU_DEP_1)
	v_cvt_i32_f64_e32 v16, v[27:28]
	v_cvt_f64_i32_e32 v[27:28], v16
	s_delay_alu instid0(VALU_DEP_1) | instskip(NEXT) | instid1(VALU_DEP_1)
	v_add_f64 v[23:24], v[23:24], -v[27:28]
	v_add_f64 v[25:26], v[48:49], v[23:24]
	s_delay_alu instid0(VALU_DEP_1) | instskip(SKIP_1) | instid1(VALU_DEP_2)
	v_add_f64 v[23:24], v[25:26], -v[23:24]
	v_cmp_le_f64_e32 vcc_lo, 0.5, v[25:26]
	v_add_f64 v[27:28], v[48:49], -v[23:24]
	v_cndmask_b32_e64 v23, 0, 0x3ff00000, vcc_lo
	v_add_co_ci_u32_e32 v16, vcc_lo, 0, v16, vcc_lo
	s_delay_alu instid0(VALU_DEP_2) | instskip(NEXT) | instid1(VALU_DEP_4)
	v_add_f64 v[23:24], v[25:26], -v[22:23]
	v_add_f64 v[14:15], v[14:15], v[27:28]
	s_delay_alu instid0(VALU_DEP_1) | instskip(NEXT) | instid1(VALU_DEP_1)
	v_add_f64 v[25:26], v[23:24], v[14:15]
	v_add_f64 v[23:24], v[25:26], -v[23:24]
	s_delay_alu instid0(VALU_DEP_1) | instskip(SKIP_1) | instid1(VALU_DEP_1)
	v_add_f64 v[14:15], v[14:15], -v[23:24]
	v_mul_f64 v[23:24], v[25:26], s[14:15]
	v_fma_f64 v[27:28], v[25:26], s[14:15], -v[23:24]
	s_delay_alu instid0(VALU_DEP_1) | instskip(NEXT) | instid1(VALU_DEP_1)
	v_fma_f64 v[25:26], v[25:26], s[20:21], v[27:28]
	v_fma_f64 v[25:26], v[14:15], s[14:15], v[25:26]
	s_delay_alu instid0(VALU_DEP_1) | instskip(NEXT) | instid1(VALU_DEP_1)
	v_add_f64 v[14:15], v[23:24], v[25:26]
	v_add_f64 v[23:24], v[14:15], -v[23:24]
	s_delay_alu instid0(VALU_DEP_1)
	v_add_f64 v[24:25], v[25:26], -v[23:24]
	s_and_not1_saveexec_b32 s14, s18
	s_cbranch_execz .LBB94_303
	s_branch .LBB94_302
.LBB94_294:                             ;   in Loop: Header=BB94_161 Depth=1
	s_and_not1_saveexec_b32 s47, s5
	s_cbranch_execz .LBB94_316
.LBB94_295:                             ;   in Loop: Header=BB94_161 Depth=1
	s_delay_alu instid0(VALU_DEP_1) | instskip(SKIP_1) | instid1(VALU_DEP_1)
	v_and_or_b32 v14, 0xfffff, v17, v16
	s_mov_b32 s4, exec_lo
	v_cmpx_ne_u32_e32 0, v14
	s_xor_b32 s4, exec_lo, s4
; %bb.296:                              ;   in Loop: Header=BB94_161 Depth=1
	v_mul_f64 v[8:9], v[6:7], -v[8:9]
	v_cmp_eq_f64_e32 vcc_lo, 0, v[6:7]
	s_delay_alu instid0(VALU_DEP_2)
	v_dual_cndmask_b32 v15, v9, v7 :: v_dual_cndmask_b32 v14, v8, v6
                                        ; implicit-def: $vgpr6_vgpr7
; %bb.297:                              ;   in Loop: Header=BB94_161 Depth=1
	s_and_not1_saveexec_b32 s60, s4
	s_cbranch_execz .LBB94_324
; %bb.298:                              ;   in Loop: Header=BB94_161 Depth=1
	s_mov_b32 s64, exec_lo
	v_cmpx_neq_f64_e64 0x7ff00000, |v[6:7]|
	s_cbranch_execz .LBB94_323
; %bb.299:                              ;   in Loop: Header=BB94_161 Depth=1
	v_cmp_ngt_f64_e64 s4, 0x41d00000, |v[6:7]|
                                        ; implicit-def: $vgpr27
                                        ; implicit-def: $vgpr8_vgpr9
                                        ; implicit-def: $vgpr14_vgpr15
	s_delay_alu instid0(VALU_DEP_1) | instskip(NEXT) | instid1(SALU_CYCLE_1)
	s_and_saveexec_b32 s5, s4
	s_xor_b32 s5, exec_lo, s5
	s_cbranch_execz .LBB94_305
; %bb.300:                              ;   in Loop: Header=BB94_161 Depth=1
	v_ldexp_f64 v[8:9], |v[6:7]|, 0xffffff80
	v_cmp_le_f64_e64 vcc_lo, 0x7b000000, |v[6:7]|
	v_trig_preop_f64 v[14:15], |v[6:7]|, 0
	v_and_b32_e32 v23, 0x7fffffff, v7
	v_trig_preop_f64 v[25:26], |v[6:7]|, 1
	v_trig_preop_f64 v[46:47], |v[6:7]|, 2
	s_mov_b32 s14, s16
	s_mov_b32 s21, s19
	v_dual_cndmask_b32 v8, v6, v8 :: v_dual_cndmask_b32 v9, v23, v9
	s_delay_alu instid0(VALU_DEP_1) | instskip(NEXT) | instid1(VALU_DEP_4)
	v_mul_f64 v[23:24], v[14:15], v[8:9]
	v_mul_f64 v[27:28], v[25:26], v[8:9]
	s_delay_alu instid0(VALU_DEP_4) | instskip(NEXT) | instid1(VALU_DEP_3)
	v_mul_f64 v[48:49], v[46:47], v[8:9]
	v_fma_f64 v[14:15], v[14:15], v[8:9], -v[23:24]
	s_delay_alu instid0(VALU_DEP_3) | instskip(NEXT) | instid1(VALU_DEP_3)
	v_fma_f64 v[25:26], v[25:26], v[8:9], -v[27:28]
	v_fma_f64 v[8:9], v[46:47], v[8:9], -v[48:49]
	s_delay_alu instid0(VALU_DEP_3) | instskip(NEXT) | instid1(VALU_DEP_1)
	v_add_f64 v[46:47], v[27:28], v[14:15]
	v_add_f64 v[50:51], v[46:47], -v[27:28]
	s_delay_alu instid0(VALU_DEP_1) | instskip(SKIP_1) | instid1(VALU_DEP_1)
	v_add_f64 v[14:15], v[14:15], -v[50:51]
	v_add_f64 v[50:51], v[46:47], -v[50:51]
	;; [unrolled: 1-line block ×3, first 2 shown]
	v_add_f64 v[50:51], v[23:24], v[46:47]
	s_delay_alu instid0(VALU_DEP_2) | instskip(NEXT) | instid1(VALU_DEP_2)
	v_add_f64 v[14:15], v[14:15], v[27:28]
	v_add_f64 v[23:24], v[50:51], -v[23:24]
	v_add_f64 v[27:28], v[48:49], v[25:26]
	v_ldexp_f64 v[50:51], v[50:51], -2
	s_delay_alu instid0(VALU_DEP_3) | instskip(NEXT) | instid1(VALU_DEP_3)
	v_add_f64 v[23:24], v[46:47], -v[23:24]
	v_add_f64 v[46:47], v[27:28], -v[48:49]
	s_delay_alu instid0(VALU_DEP_3) | instskip(SKIP_1) | instid1(VALU_DEP_3)
	v_cmp_neq_f64_e64 vcc_lo, 0x7ff00000, |v[50:51]|
	v_fract_f64_e32 v[50:51], v[50:51]
	v_add_f64 v[25:26], v[25:26], -v[46:47]
	v_add_f64 v[46:47], v[27:28], -v[46:47]
	s_delay_alu instid0(VALU_DEP_3) | instskip(NEXT) | instid1(VALU_DEP_2)
	v_dual_cndmask_b32 v50, 0, v50 :: v_dual_cndmask_b32 v51, 0, v51
	v_add_f64 v[46:47], v[48:49], -v[46:47]
	v_add_f64 v[48:49], v[27:28], v[14:15]
	s_delay_alu instid0(VALU_DEP_2) | instskip(NEXT) | instid1(VALU_DEP_2)
	v_add_f64 v[25:26], v[25:26], v[46:47]
	v_add_f64 v[52:53], v[48:49], -v[27:28]
	v_add_f64 v[46:47], v[23:24], v[48:49]
	s_delay_alu instid0(VALU_DEP_2) | instskip(SKIP_1) | instid1(VALU_DEP_3)
	v_add_f64 v[14:15], v[14:15], -v[52:53]
	v_add_f64 v[52:53], v[48:49], -v[52:53]
	;; [unrolled: 1-line block ×3, first 2 shown]
	s_delay_alu instid0(VALU_DEP_2) | instskip(NEXT) | instid1(VALU_DEP_1)
	v_add_f64 v[27:28], v[27:28], -v[52:53]
	v_add_f64 v[14:15], v[14:15], v[27:28]
	v_ldexp_f64 v[27:28], v[50:51], 2
	s_delay_alu instid0(VALU_DEP_2) | instskip(NEXT) | instid1(VALU_DEP_2)
	v_add_f64 v[14:15], v[25:26], v[14:15]
	v_add_f64 v[50:51], v[46:47], v[27:28]
	v_add_f64 v[24:25], v[48:49], -v[23:24]
	s_delay_alu instid0(VALU_DEP_3) | instskip(NEXT) | instid1(VALU_DEP_3)
	v_add_f64 v[8:9], v[8:9], v[14:15]
	v_cmp_gt_f64_e32 vcc_lo, 0, v[50:51]
	s_delay_alu instid0(VALU_DEP_2) | instskip(SKIP_1) | instid1(VALU_DEP_1)
	v_add_f64 v[8:9], v[24:25], v[8:9]
	v_cndmask_b32_e64 v23, 0, 0x40100000, vcc_lo
	v_add_f64 v[14:15], v[27:28], v[22:23]
	s_delay_alu instid0(VALU_DEP_1) | instskip(NEXT) | instid1(VALU_DEP_1)
	v_add_f64 v[26:27], v[46:47], v[14:15]
	v_cvt_i32_f64_e32 v28, v[26:27]
	s_delay_alu instid0(VALU_DEP_1) | instskip(NEXT) | instid1(VALU_DEP_1)
	v_cvt_f64_i32_e32 v[26:27], v28
	v_add_f64 v[14:15], v[14:15], -v[26:27]
	s_delay_alu instid0(VALU_DEP_1) | instskip(NEXT) | instid1(VALU_DEP_1)
	v_add_f64 v[24:25], v[46:47], v[14:15]
	v_add_f64 v[14:15], v[24:25], -v[14:15]
	v_cmp_le_f64_e32 vcc_lo, 0.5, v[24:25]
	s_delay_alu instid0(VALU_DEP_2) | instskip(SKIP_2) | instid1(VALU_DEP_2)
	v_add_f64 v[14:15], v[46:47], -v[14:15]
	v_cndmask_b32_e64 v23, 0, 0x3ff00000, vcc_lo
	v_add_co_ci_u32_e32 v27, vcc_lo, 0, v28, vcc_lo
	v_add_f64 v[23:24], v[24:25], -v[22:23]
	s_delay_alu instid0(VALU_DEP_4) | instskip(NEXT) | instid1(VALU_DEP_1)
	v_add_f64 v[8:9], v[8:9], v[14:15]
	v_add_f64 v[14:15], v[23:24], v[8:9]
	s_delay_alu instid0(VALU_DEP_1) | instskip(NEXT) | instid1(VALU_DEP_1)
	v_add_f64 v[23:24], v[14:15], -v[23:24]
	v_add_f64 v[8:9], v[8:9], -v[23:24]
	v_mul_f64 v[23:24], v[14:15], s[14:15]
	s_delay_alu instid0(VALU_DEP_1) | instskip(NEXT) | instid1(VALU_DEP_1)
	v_fma_f64 v[25:26], v[14:15], s[14:15], -v[23:24]
	v_fma_f64 v[14:15], v[14:15], s[20:21], v[25:26]
	s_delay_alu instid0(VALU_DEP_1) | instskip(NEXT) | instid1(VALU_DEP_1)
	v_fma_f64 v[14:15], v[8:9], s[14:15], v[14:15]
	v_add_f64 v[8:9], v[23:24], v[14:15]
	s_delay_alu instid0(VALU_DEP_1) | instskip(NEXT) | instid1(VALU_DEP_1)
	v_add_f64 v[23:24], v[8:9], -v[23:24]
	v_add_f64 v[14:15], v[14:15], -v[23:24]
	s_and_not1_saveexec_b32 s5, s5
	s_cbranch_execz .LBB94_307
	s_branch .LBB94_306
.LBB94_301:                             ;   in Loop: Header=BB94_161 Depth=1
	s_and_not1_saveexec_b32 s14, s18
	s_cbranch_execz .LBB94_303
.LBB94_302:                             ;   in Loop: Header=BB94_161 Depth=1
	v_mul_f64 v[14:15], |v[6:7]|, s[22:23]
	s_mov_b32 s18, s24
	s_delay_alu instid0(VALU_DEP_1) | instskip(NEXT) | instid1(VALU_DEP_1)
	v_rndne_f64_e32 v[26:27], v[14:15]
	v_fma_f64 v[14:15], v[26:27], s[16:17], |v[6:7]|
	v_mul_f64 v[23:24], v[26:27], s[24:25]
	v_cvt_i32_f64_e32 v16, v[26:27]
	s_delay_alu instid0(VALU_DEP_3) | instskip(NEXT) | instid1(VALU_DEP_3)
	v_fma_f64 v[46:47], v[26:27], s[24:25], v[14:15]
	v_add_f64 v[28:29], v[14:15], v[23:24]
	s_delay_alu instid0(VALU_DEP_1) | instskip(NEXT) | instid1(VALU_DEP_3)
	v_add_f64 v[14:15], v[14:15], -v[28:29]
	v_add_f64 v[28:29], v[28:29], -v[46:47]
	s_delay_alu instid0(VALU_DEP_2) | instskip(SKIP_1) | instid1(VALU_DEP_2)
	v_add_f64 v[14:15], v[14:15], v[23:24]
	v_fma_f64 v[23:24], v[26:27], s[18:19], v[23:24]
	v_add_f64 v[14:15], v[28:29], v[14:15]
	s_delay_alu instid0(VALU_DEP_1) | instskip(NEXT) | instid1(VALU_DEP_1)
	v_add_f64 v[14:15], v[14:15], -v[23:24]
	v_fma_f64 v[23:24], v[26:27], s[26:27], v[14:15]
	s_delay_alu instid0(VALU_DEP_1) | instskip(NEXT) | instid1(VALU_DEP_1)
	v_add_f64 v[14:15], v[46:47], v[23:24]
	v_add_f64 v[28:29], v[14:15], -v[46:47]
	s_delay_alu instid0(VALU_DEP_1)
	v_add_f64 v[24:25], v[23:24], -v[28:29]
.LBB94_303:                             ;   in Loop: Header=BB94_161 Depth=1
	s_or_b32 exec_lo, exec_lo, s14
                                        ; implicit-def: $vgpr23
                                        ; implicit-def: $vgpr26_vgpr27
                                        ; implicit-def: $vgpr28_vgpr29
	s_and_saveexec_b32 s14, s4
	s_delay_alu instid0(SALU_CYCLE_1)
	s_xor_b32 s4, exec_lo, s14
	s_cbranch_execz .LBB94_309
; %bb.304:                              ;   in Loop: Header=BB94_161 Depth=1
	v_ldexp_f64 v[26:27], |v[6:7]|, 0xffffff80
	v_cmp_le_f64_e64 vcc_lo, 0x7b000000, |v[6:7]|
	v_trig_preop_f64 v[28:29], |v[6:7]|, 0
	v_and_b32_e32 v23, 0x7fffffff, v7
	v_trig_preop_f64 v[48:49], |v[6:7]|, 1
	v_trig_preop_f64 v[52:53], |v[6:7]|, 2
	s_mov_b32 s14, s16
	s_mov_b32 s21, s19
	v_dual_cndmask_b32 v26, v6, v26 :: v_dual_cndmask_b32 v27, v23, v27
	s_delay_alu instid0(VALU_DEP_1) | instskip(NEXT) | instid1(VALU_DEP_4)
	v_mul_f64 v[46:47], v[28:29], v[26:27]
	v_mul_f64 v[50:51], v[48:49], v[26:27]
	s_delay_alu instid0(VALU_DEP_4) | instskip(NEXT) | instid1(VALU_DEP_3)
	v_mul_f64 v[54:55], v[52:53], v[26:27]
	v_fma_f64 v[28:29], v[28:29], v[26:27], -v[46:47]
	s_delay_alu instid0(VALU_DEP_3) | instskip(NEXT) | instid1(VALU_DEP_3)
	v_fma_f64 v[48:49], v[48:49], v[26:27], -v[50:51]
	v_fma_f64 v[26:27], v[52:53], v[26:27], -v[54:55]
	s_delay_alu instid0(VALU_DEP_3) | instskip(NEXT) | instid1(VALU_DEP_1)
	v_add_f64 v[52:53], v[50:51], v[28:29]
	v_add_f64 v[56:57], v[52:53], -v[50:51]
	s_delay_alu instid0(VALU_DEP_1) | instskip(SKIP_1) | instid1(VALU_DEP_1)
	v_add_f64 v[28:29], v[28:29], -v[56:57]
	v_add_f64 v[56:57], v[52:53], -v[56:57]
	;; [unrolled: 1-line block ×3, first 2 shown]
	v_add_f64 v[56:57], v[46:47], v[52:53]
	s_delay_alu instid0(VALU_DEP_2) | instskip(NEXT) | instid1(VALU_DEP_2)
	v_add_f64 v[28:29], v[28:29], v[50:51]
	v_add_f64 v[46:47], v[56:57], -v[46:47]
	v_add_f64 v[50:51], v[54:55], v[48:49]
	v_ldexp_f64 v[56:57], v[56:57], -2
	s_delay_alu instid0(VALU_DEP_3) | instskip(NEXT) | instid1(VALU_DEP_3)
	v_add_f64 v[46:47], v[52:53], -v[46:47]
	v_add_f64 v[52:53], v[50:51], -v[54:55]
	s_delay_alu instid0(VALU_DEP_3) | instskip(SKIP_1) | instid1(VALU_DEP_3)
	v_cmp_neq_f64_e64 vcc_lo, 0x7ff00000, |v[56:57]|
	v_fract_f64_e32 v[56:57], v[56:57]
	v_add_f64 v[48:49], v[48:49], -v[52:53]
	v_add_f64 v[52:53], v[50:51], -v[52:53]
	s_delay_alu instid0(VALU_DEP_3) | instskip(NEXT) | instid1(VALU_DEP_2)
	v_dual_cndmask_b32 v56, 0, v56 :: v_dual_cndmask_b32 v57, 0, v57
	v_add_f64 v[52:53], v[54:55], -v[52:53]
	v_add_f64 v[54:55], v[50:51], v[28:29]
	s_delay_alu instid0(VALU_DEP_2) | instskip(NEXT) | instid1(VALU_DEP_2)
	v_add_f64 v[48:49], v[48:49], v[52:53]
	v_add_f64 v[58:59], v[54:55], -v[50:51]
	v_add_f64 v[52:53], v[46:47], v[54:55]
	s_delay_alu instid0(VALU_DEP_2) | instskip(SKIP_1) | instid1(VALU_DEP_3)
	v_add_f64 v[28:29], v[28:29], -v[58:59]
	v_add_f64 v[58:59], v[54:55], -v[58:59]
	;; [unrolled: 1-line block ×3, first 2 shown]
	s_delay_alu instid0(VALU_DEP_2) | instskip(NEXT) | instid1(VALU_DEP_2)
	v_add_f64 v[50:51], v[50:51], -v[58:59]
	v_add_f64 v[46:47], v[54:55], -v[46:47]
	s_delay_alu instid0(VALU_DEP_2) | instskip(SKIP_1) | instid1(VALU_DEP_2)
	v_add_f64 v[28:29], v[28:29], v[50:51]
	v_ldexp_f64 v[50:51], v[56:57], 2
	v_add_f64 v[28:29], v[48:49], v[28:29]
	s_delay_alu instid0(VALU_DEP_2) | instskip(NEXT) | instid1(VALU_DEP_2)
	v_add_f64 v[56:57], v[52:53], v[50:51]
	v_add_f64 v[26:27], v[26:27], v[28:29]
	s_delay_alu instid0(VALU_DEP_2) | instskip(NEXT) | instid1(VALU_DEP_2)
	v_cmp_gt_f64_e32 vcc_lo, 0, v[56:57]
	v_add_f64 v[26:27], v[46:47], v[26:27]
	v_cndmask_b32_e64 v23, 0, 0x40100000, vcc_lo
	s_delay_alu instid0(VALU_DEP_1) | instskip(NEXT) | instid1(VALU_DEP_1)
	v_add_f64 v[28:29], v[50:51], v[22:23]
	v_add_f64 v[48:49], v[52:53], v[28:29]
	s_delay_alu instid0(VALU_DEP_1) | instskip(NEXT) | instid1(VALU_DEP_1)
	v_cvt_i32_f64_e32 v50, v[48:49]
	v_cvt_f64_i32_e32 v[48:49], v50
	s_delay_alu instid0(VALU_DEP_1) | instskip(NEXT) | instid1(VALU_DEP_1)
	v_add_f64 v[28:29], v[28:29], -v[48:49]
	v_add_f64 v[46:47], v[52:53], v[28:29]
	s_delay_alu instid0(VALU_DEP_1) | instskip(SKIP_1) | instid1(VALU_DEP_2)
	v_add_f64 v[28:29], v[46:47], -v[28:29]
	v_cmp_le_f64_e32 vcc_lo, 0.5, v[46:47]
	v_add_f64 v[28:29], v[52:53], -v[28:29]
	v_cndmask_b32_e64 v23, 0, 0x3ff00000, vcc_lo
	s_delay_alu instid0(VALU_DEP_1) | instskip(SKIP_1) | instid1(VALU_DEP_4)
	v_add_f64 v[46:47], v[46:47], -v[22:23]
	v_add_co_ci_u32_e32 v23, vcc_lo, 0, v50, vcc_lo
	v_add_f64 v[26:27], v[26:27], v[28:29]
	s_delay_alu instid0(VALU_DEP_1) | instskip(NEXT) | instid1(VALU_DEP_1)
	v_add_f64 v[28:29], v[46:47], v[26:27]
	v_add_f64 v[46:47], v[28:29], -v[46:47]
	s_delay_alu instid0(VALU_DEP_1) | instskip(SKIP_1) | instid1(VALU_DEP_1)
	v_add_f64 v[26:27], v[26:27], -v[46:47]
	v_mul_f64 v[46:47], v[28:29], s[14:15]
	v_fma_f64 v[48:49], v[28:29], s[14:15], -v[46:47]
	s_delay_alu instid0(VALU_DEP_1) | instskip(NEXT) | instid1(VALU_DEP_1)
	v_fma_f64 v[28:29], v[28:29], s[20:21], v[48:49]
	v_fma_f64 v[28:29], v[26:27], s[14:15], v[28:29]
	s_delay_alu instid0(VALU_DEP_1) | instskip(NEXT) | instid1(VALU_DEP_1)
	v_add_f64 v[26:27], v[46:47], v[28:29]
	v_add_f64 v[46:47], v[26:27], -v[46:47]
	s_delay_alu instid0(VALU_DEP_1)
	v_add_f64 v[28:29], v[28:29], -v[46:47]
	s_and_not1_saveexec_b32 s4, s4
	s_cbranch_execnz .LBB94_310
	s_branch .LBB94_311
.LBB94_305:                             ;   in Loop: Header=BB94_161 Depth=1
	s_and_not1_saveexec_b32 s5, s5
	s_cbranch_execz .LBB94_307
.LBB94_306:                             ;   in Loop: Header=BB94_161 Depth=1
	v_mul_f64 v[8:9], |v[6:7]|, s[22:23]
	s_mov_b32 s18, s24
	s_delay_alu instid0(VALU_DEP_1) | instskip(NEXT) | instid1(VALU_DEP_1)
	v_rndne_f64_e32 v[23:24], v[8:9]
	v_fma_f64 v[8:9], v[23:24], s[16:17], |v[6:7]|
	v_mul_f64 v[14:15], v[23:24], s[24:25]
	s_delay_alu instid0(VALU_DEP_2) | instskip(NEXT) | instid1(VALU_DEP_2)
	v_fma_f64 v[27:28], v[23:24], s[24:25], v[8:9]
	v_add_f64 v[25:26], v[8:9], v[14:15]
	s_delay_alu instid0(VALU_DEP_1) | instskip(NEXT) | instid1(VALU_DEP_3)
	v_add_f64 v[8:9], v[8:9], -v[25:26]
	v_add_f64 v[25:26], v[25:26], -v[27:28]
	s_delay_alu instid0(VALU_DEP_2) | instskip(SKIP_1) | instid1(VALU_DEP_2)
	v_add_f64 v[8:9], v[8:9], v[14:15]
	v_fma_f64 v[14:15], v[23:24], s[18:19], v[14:15]
	v_add_f64 v[8:9], v[25:26], v[8:9]
	s_delay_alu instid0(VALU_DEP_1) | instskip(NEXT) | instid1(VALU_DEP_1)
	v_add_f64 v[8:9], v[8:9], -v[14:15]
	v_fma_f64 v[14:15], v[23:24], s[26:27], v[8:9]
	s_delay_alu instid0(VALU_DEP_1) | instskip(NEXT) | instid1(VALU_DEP_1)
	v_add_f64 v[8:9], v[27:28], v[14:15]
	v_add_f64 v[25:26], v[8:9], -v[27:28]
	v_cvt_i32_f64_e32 v27, v[23:24]
	s_delay_alu instid0(VALU_DEP_2)
	v_add_f64 v[14:15], v[14:15], -v[25:26]
.LBB94_307:                             ;   in Loop: Header=BB94_161 Depth=1
	s_or_b32 exec_lo, exec_lo, s5
                                        ; implicit-def: $vgpr28
                                        ; implicit-def: $vgpr23_vgpr24
                                        ; implicit-def: $vgpr25_vgpr26
	s_and_saveexec_b32 s5, s4
	s_delay_alu instid0(SALU_CYCLE_1)
	s_xor_b32 s4, exec_lo, s5
	s_cbranch_execz .LBB94_320
; %bb.308:                              ;   in Loop: Header=BB94_161 Depth=1
	v_ldexp_f64 v[23:24], |v[6:7]|, 0xffffff80
	v_cmp_le_f64_e64 vcc_lo, 0x7b000000, |v[6:7]|
	v_trig_preop_f64 v[25:26], |v[6:7]|, 0
	v_and_b32_e32 v28, 0x7fffffff, v7
	v_trig_preop_f64 v[46:47], |v[6:7]|, 1
	v_trig_preop_f64 v[50:51], |v[6:7]|, 2
	s_mov_b32 s14, s16
	s_mov_b32 s21, s19
	v_dual_cndmask_b32 v24, v28, v24 :: v_dual_cndmask_b32 v23, v6, v23
	s_delay_alu instid0(VALU_DEP_1) | instskip(NEXT) | instid1(VALU_DEP_4)
	v_mul_f64 v[28:29], v[25:26], v[23:24]
	v_mul_f64 v[48:49], v[46:47], v[23:24]
	s_delay_alu instid0(VALU_DEP_4) | instskip(NEXT) | instid1(VALU_DEP_3)
	v_mul_f64 v[52:53], v[50:51], v[23:24]
	v_fma_f64 v[25:26], v[25:26], v[23:24], -v[28:29]
	s_delay_alu instid0(VALU_DEP_3) | instskip(NEXT) | instid1(VALU_DEP_3)
	v_fma_f64 v[46:47], v[46:47], v[23:24], -v[48:49]
	v_fma_f64 v[23:24], v[50:51], v[23:24], -v[52:53]
	s_delay_alu instid0(VALU_DEP_3) | instskip(NEXT) | instid1(VALU_DEP_1)
	v_add_f64 v[50:51], v[48:49], v[25:26]
	v_add_f64 v[54:55], v[50:51], -v[48:49]
	s_delay_alu instid0(VALU_DEP_1) | instskip(SKIP_1) | instid1(VALU_DEP_1)
	v_add_f64 v[25:26], v[25:26], -v[54:55]
	v_add_f64 v[54:55], v[50:51], -v[54:55]
	;; [unrolled: 1-line block ×3, first 2 shown]
	v_add_f64 v[54:55], v[28:29], v[50:51]
	s_delay_alu instid0(VALU_DEP_2) | instskip(NEXT) | instid1(VALU_DEP_2)
	v_add_f64 v[25:26], v[25:26], v[48:49]
	v_add_f64 v[28:29], v[54:55], -v[28:29]
	v_add_f64 v[48:49], v[52:53], v[46:47]
	v_ldexp_f64 v[54:55], v[54:55], -2
	s_delay_alu instid0(VALU_DEP_3) | instskip(NEXT) | instid1(VALU_DEP_3)
	v_add_f64 v[28:29], v[50:51], -v[28:29]
	v_add_f64 v[50:51], v[48:49], -v[52:53]
	s_delay_alu instid0(VALU_DEP_3) | instskip(SKIP_1) | instid1(VALU_DEP_3)
	v_cmp_neq_f64_e64 vcc_lo, 0x7ff00000, |v[54:55]|
	v_fract_f64_e32 v[54:55], v[54:55]
	v_add_f64 v[46:47], v[46:47], -v[50:51]
	v_add_f64 v[50:51], v[48:49], -v[50:51]
	s_delay_alu instid0(VALU_DEP_3) | instskip(NEXT) | instid1(VALU_DEP_2)
	v_dual_cndmask_b32 v55, 0, v55 :: v_dual_cndmask_b32 v54, 0, v54
	v_add_f64 v[50:51], v[52:53], -v[50:51]
	v_add_f64 v[52:53], v[48:49], v[25:26]
	s_delay_alu instid0(VALU_DEP_2) | instskip(NEXT) | instid1(VALU_DEP_2)
	v_add_f64 v[46:47], v[46:47], v[50:51]
	v_add_f64 v[56:57], v[52:53], -v[48:49]
	v_add_f64 v[50:51], v[28:29], v[52:53]
	s_delay_alu instid0(VALU_DEP_2) | instskip(SKIP_1) | instid1(VALU_DEP_3)
	v_add_f64 v[25:26], v[25:26], -v[56:57]
	v_add_f64 v[56:57], v[52:53], -v[56:57]
	v_add_f64 v[28:29], v[50:51], -v[28:29]
	s_delay_alu instid0(VALU_DEP_2) | instskip(NEXT) | instid1(VALU_DEP_2)
	v_add_f64 v[48:49], v[48:49], -v[56:57]
	v_add_f64 v[28:29], v[52:53], -v[28:29]
	s_delay_alu instid0(VALU_DEP_2) | instskip(SKIP_1) | instid1(VALU_DEP_2)
	v_add_f64 v[25:26], v[25:26], v[48:49]
	v_ldexp_f64 v[48:49], v[54:55], 2
	v_add_f64 v[25:26], v[46:47], v[25:26]
	s_delay_alu instid0(VALU_DEP_2) | instskip(NEXT) | instid1(VALU_DEP_2)
	v_add_f64 v[54:55], v[50:51], v[48:49]
	v_add_f64 v[24:25], v[23:24], v[25:26]
	s_delay_alu instid0(VALU_DEP_2) | instskip(NEXT) | instid1(VALU_DEP_2)
	v_cmp_gt_f64_e32 vcc_lo, 0, v[54:55]
	v_add_f64 v[24:25], v[28:29], v[24:25]
	v_cndmask_b32_e64 v23, 0, 0x40100000, vcc_lo
	s_delay_alu instid0(VALU_DEP_1) | instskip(NEXT) | instid1(VALU_DEP_1)
	v_add_f64 v[46:47], v[48:49], v[22:23]
	v_add_f64 v[48:49], v[50:51], v[46:47]
	s_delay_alu instid0(VALU_DEP_1) | instskip(NEXT) | instid1(VALU_DEP_1)
	v_cvt_i32_f64_e32 v52, v[48:49]
	v_cvt_f64_i32_e32 v[48:49], v52
	s_delay_alu instid0(VALU_DEP_1) | instskip(NEXT) | instid1(VALU_DEP_1)
	v_add_f64 v[46:47], v[46:47], -v[48:49]
	v_add_f64 v[28:29], v[50:51], v[46:47]
	s_delay_alu instid0(VALU_DEP_1) | instskip(SKIP_1) | instid1(VALU_DEP_2)
	v_add_f64 v[46:47], v[28:29], -v[46:47]
	v_cmp_le_f64_e32 vcc_lo, 0.5, v[28:29]
	v_add_f64 v[46:47], v[50:51], -v[46:47]
	v_cndmask_b32_e64 v23, 0, 0x3ff00000, vcc_lo
	s_delay_alu instid0(VALU_DEP_1) | instskip(NEXT) | instid1(VALU_DEP_3)
	v_add_f64 v[28:29], v[28:29], -v[22:23]
	v_add_f64 v[23:24], v[24:25], v[46:47]
	s_delay_alu instid0(VALU_DEP_1) | instskip(NEXT) | instid1(VALU_DEP_1)
	v_add_f64 v[25:26], v[28:29], v[23:24]
	v_add_f64 v[28:29], v[25:26], -v[28:29]
	s_delay_alu instid0(VALU_DEP_1) | instskip(SKIP_1) | instid1(VALU_DEP_1)
	v_add_f64 v[23:24], v[23:24], -v[28:29]
	v_mul_f64 v[28:29], v[25:26], s[14:15]
	v_fma_f64 v[46:47], v[25:26], s[14:15], -v[28:29]
	s_delay_alu instid0(VALU_DEP_1) | instskip(NEXT) | instid1(VALU_DEP_1)
	v_fma_f64 v[25:26], v[25:26], s[20:21], v[46:47]
	v_fma_f64 v[25:26], v[23:24], s[14:15], v[25:26]
	s_delay_alu instid0(VALU_DEP_1) | instskip(NEXT) | instid1(VALU_DEP_1)
	v_add_f64 v[23:24], v[28:29], v[25:26]
	v_add_f64 v[28:29], v[23:24], -v[28:29]
	s_delay_alu instid0(VALU_DEP_1)
	v_add_f64 v[25:26], v[25:26], -v[28:29]
	v_add_co_ci_u32_e32 v28, vcc_lo, 0, v52, vcc_lo
	s_and_not1_saveexec_b32 s4, s4
	s_cbranch_execnz .LBB94_321
	s_branch .LBB94_322
.LBB94_309:                             ;   in Loop: Header=BB94_161 Depth=1
	s_and_not1_saveexec_b32 s4, s4
	s_cbranch_execz .LBB94_311
.LBB94_310:                             ;   in Loop: Header=BB94_161 Depth=1
	v_mul_f64 v[26:27], |v[6:7]|, s[22:23]
	s_mov_b32 s18, s24
	s_delay_alu instid0(VALU_DEP_1) | instskip(NEXT) | instid1(VALU_DEP_1)
	v_rndne_f64_e32 v[46:47], v[26:27]
	v_fma_f64 v[26:27], v[46:47], s[16:17], |v[6:7]|
	v_mul_f64 v[28:29], v[46:47], s[24:25]
	v_cvt_i32_f64_e32 v23, v[46:47]
	s_delay_alu instid0(VALU_DEP_3) | instskip(NEXT) | instid1(VALU_DEP_3)
	v_fma_f64 v[50:51], v[46:47], s[24:25], v[26:27]
	v_add_f64 v[48:49], v[26:27], v[28:29]
	s_delay_alu instid0(VALU_DEP_1) | instskip(NEXT) | instid1(VALU_DEP_3)
	v_add_f64 v[26:27], v[26:27], -v[48:49]
	v_add_f64 v[48:49], v[48:49], -v[50:51]
	s_delay_alu instid0(VALU_DEP_2) | instskip(SKIP_1) | instid1(VALU_DEP_2)
	v_add_f64 v[26:27], v[26:27], v[28:29]
	v_fma_f64 v[28:29], v[46:47], s[18:19], v[28:29]
	v_add_f64 v[26:27], v[48:49], v[26:27]
	s_delay_alu instid0(VALU_DEP_1) | instskip(NEXT) | instid1(VALU_DEP_1)
	v_add_f64 v[26:27], v[26:27], -v[28:29]
	v_fma_f64 v[28:29], v[46:47], s[26:27], v[26:27]
	s_delay_alu instid0(VALU_DEP_1) | instskip(NEXT) | instid1(VALU_DEP_1)
	v_add_f64 v[26:27], v[50:51], v[28:29]
	v_add_f64 v[48:49], v[26:27], -v[50:51]
	s_delay_alu instid0(VALU_DEP_1)
	v_add_f64 v[28:29], v[28:29], -v[48:49]
.LBB94_311:                             ;   in Loop: Header=BB94_161 Depth=1
	s_or_b32 exec_lo, exec_lo, s4
	s_delay_alu instid0(VALU_DEP_2) | instskip(NEXT) | instid1(VALU_DEP_2)
	v_mul_f64 v[46:47], v[14:15], v[14:15]
	v_mul_f64 v[54:55], v[24:25], 0.5
	s_delay_alu instid0(VALU_DEP_3)
	v_mul_f64 v[60:61], v[28:29], 0.5
	s_mov_b32 s42, s44
	v_cmp_nlt_f64_e64 vcc_lo, 0x4090cc00, |v[8:9]|
	v_lshlrev_b32_e32 v6, 30, v16
	s_mov_b32 s87, s41
	s_mov_b32 s89, s45
	v_mul_f64 v[48:49], v[46:47], 0.5
	v_mul_f64 v[56:57], v[14:15], -v[46:47]
	s_delay_alu instid0(VALU_DEP_2) | instskip(NEXT) | instid1(VALU_DEP_1)
	v_add_f64 v[50:51], -v[48:49], 1.0
	v_add_f64 v[52:53], -v[50:51], 1.0
	s_delay_alu instid0(VALU_DEP_1) | instskip(SKIP_1) | instid1(VALU_DEP_2)
	v_add_f64 v[48:49], v[52:53], -v[48:49]
	v_fma_f64 v[52:53], v[46:47], s[34:35], s[30:31]
	v_fma_f64 v[48:49], v[14:15], -v[24:25], v[48:49]
	s_delay_alu instid0(VALU_DEP_2) | instskip(NEXT) | instid1(VALU_DEP_1)
	v_fma_f64 v[52:53], v[46:47], v[52:53], s[36:37]
	v_fma_f64 v[52:53], v[46:47], v[52:53], s[38:39]
	s_delay_alu instid0(VALU_DEP_1) | instskip(NEXT) | instid1(VALU_DEP_1)
	v_fma_f64 v[52:53], v[46:47], v[52:53], s[40:41]
	v_fma_f64 v[52:53], v[56:57], v[52:53], v[54:55]
	s_delay_alu instid0(VALU_DEP_1) | instskip(SKIP_1) | instid1(VALU_DEP_2)
	v_fma_f64 v[24:25], v[46:47], v[52:53], -v[24:25]
	v_fma_f64 v[52:53], v[46:47], s[98:99], s[96:97]
	v_fma_f64 v[24:25], v[56:57], s[42:43], v[24:25]
	s_delay_alu instid0(VALU_DEP_2) | instskip(NEXT) | instid1(VALU_DEP_2)
	v_fma_f64 v[52:53], v[46:47], v[52:53], s[100:101]
	v_add_f64 v[14:15], v[14:15], -v[24:25]
	s_delay_alu instid0(VALU_DEP_2) | instskip(NEXT) | instid1(VALU_DEP_1)
	v_fma_f64 v[52:53], v[46:47], v[52:53], s[102:103]
	v_fma_f64 v[52:53], v[46:47], v[52:53], s[28:29]
	s_delay_alu instid0(VALU_DEP_1) | instskip(SKIP_1) | instid1(VALU_DEP_1)
	v_fma_f64 v[52:53], v[46:47], v[52:53], s[44:45]
	v_mul_f64 v[46:47], v[46:47], v[46:47]
	v_fma_f64 v[46:47], v[46:47], v[52:53], v[48:49]
	v_mul_f64 v[48:49], v[26:27], v[26:27]
	s_delay_alu instid0(VALU_DEP_2) | instskip(NEXT) | instid1(VALU_DEP_2)
	v_add_f64 v[46:47], v[50:51], v[46:47]
	v_mul_f64 v[52:53], v[48:49], 0.5
	v_mul_f64 v[62:63], v[26:27], -v[48:49]
	s_delay_alu instid0(VALU_DEP_2) | instskip(NEXT) | instid1(VALU_DEP_1)
	v_add_f64 v[54:55], -v[52:53], 1.0
	v_add_f64 v[58:59], -v[54:55], 1.0
	s_delay_alu instid0(VALU_DEP_1) | instskip(SKIP_1) | instid1(VALU_DEP_2)
	v_add_f64 v[52:53], v[58:59], -v[52:53]
	v_fma_f64 v[58:59], v[48:49], s[34:35], s[30:31]
	v_fma_f64 v[52:53], v[26:27], -v[28:29], v[52:53]
	s_delay_alu instid0(VALU_DEP_2) | instskip(NEXT) | instid1(VALU_DEP_1)
	v_fma_f64 v[58:59], v[48:49], v[58:59], s[36:37]
	v_fma_f64 v[58:59], v[48:49], v[58:59], s[38:39]
	s_delay_alu instid0(VALU_DEP_1) | instskip(NEXT) | instid1(VALU_DEP_1)
	v_fma_f64 v[58:59], v[48:49], v[58:59], s[40:41]
	v_fma_f64 v[58:59], v[62:63], v[58:59], v[60:61]
	s_delay_alu instid0(VALU_DEP_1) | instskip(SKIP_1) | instid1(VALU_DEP_2)
	v_fma_f64 v[28:29], v[48:49], v[58:59], -v[28:29]
	v_fma_f64 v[58:59], v[48:49], s[98:99], s[96:97]
	v_fma_f64 v[28:29], v[62:63], s[42:43], v[28:29]
	s_delay_alu instid0(VALU_DEP_2) | instskip(NEXT) | instid1(VALU_DEP_2)
	v_fma_f64 v[58:59], v[48:49], v[58:59], s[100:101]
	v_add_f64 v[24:25], v[26:27], -v[28:29]
	s_delay_alu instid0(VALU_DEP_2) | instskip(SKIP_2) | instid1(VALU_DEP_3)
	v_fma_f64 v[58:59], v[48:49], v[58:59], s[102:103]
	v_mul_f64 v[26:27], |v[8:9]|, s[66:67]
	v_xor_b32_e32 v28, v6, v7
	v_fma_f64 v[58:59], v[48:49], v[58:59], s[28:29]
	s_delay_alu instid0(VALU_DEP_3) | instskip(NEXT) | instid1(VALU_DEP_2)
	v_rndne_f64_e32 v[26:27], v[26:27]
	v_fma_f64 v[58:59], v[48:49], v[58:59], s[44:45]
	v_mul_f64 v[48:49], v[48:49], v[48:49]
	s_delay_alu instid0(VALU_DEP_3) | instskip(SKIP_2) | instid1(VALU_DEP_2)
	v_fma_f64 v[6:7], v[26:27], s[58:59], -|v[8:9]|
	v_and_b32_e32 v8, 1, v16
	v_lshlrev_b32_e32 v16, 30, v23
	v_cmp_eq_u32_e64 s4, 0, v8
	s_delay_alu instid0(VALU_DEP_2) | instskip(NEXT) | instid1(VALU_DEP_2)
	v_and_b32_e32 v16, 0x80000000, v16
	v_cndmask_b32_e64 v9, v47, v15, s4
	v_cndmask_b32_e64 v8, v46, v14, s4
	v_and_b32_e32 v14, 0x80000000, v28
	v_xor_b32_e32 v15, 0x80000000, v25
	s_delay_alu instid0(VALU_DEP_2) | instskip(SKIP_1) | instid1(VALU_DEP_2)
	v_xor_b32_e32 v9, v9, v14
	v_and_b32_e32 v14, 1, v23
	v_mul_f64 v[8:9], v[8:9], 4.0
	s_delay_alu instid0(VALU_DEP_2) | instskip(SKIP_2) | instid1(VALU_DEP_2)
	v_cmp_eq_u32_e64 s4, 0, v14
	v_fma_f64 v[48:49], v[48:49], v[58:59], v[52:53]
	v_fma_f64 v[6:7], v[26:27], s[62:63], v[6:7]
	v_add_f64 v[48:49], v[54:55], v[48:49]
	s_delay_alu instid0(VALU_DEP_1) | instskip(NEXT) | instid1(VALU_DEP_3)
	v_cndmask_b32_e64 v14, v24, v48, s4
	v_fma_f64 v[23:24], v[6:7], s[76:77], s[74:75]
	s_delay_alu instid0(VALU_DEP_3) | instskip(NEXT) | instid1(VALU_DEP_1)
	v_cndmask_b32_e64 v15, v15, v49, s4
	v_xor_b32_e32 v15, v15, v16
	v_cvt_i32_f64_e32 v16, v[26:27]
	s_delay_alu instid0(VALU_DEP_2) | instskip(SKIP_1) | instid1(VALU_DEP_1)
	v_mul_f64 v[8:9], v[8:9], v[14:15]
	v_fma_f64 v[23:24], v[6:7], v[23:24], s[78:79]
	v_fma_f64 v[23:24], v[6:7], v[23:24], s[80:81]
	s_delay_alu instid0(VALU_DEP_1) | instskip(NEXT) | instid1(VALU_DEP_1)
	v_fma_f64 v[23:24], v[6:7], v[23:24], s[82:83]
	v_fma_f64 v[23:24], v[6:7], v[23:24], s[84:85]
	s_delay_alu instid0(VALU_DEP_1) | instskip(NEXT) | instid1(VALU_DEP_1)
	;; [unrolled: 3-line block ×4, first 2 shown]
	v_fma_f64 v[23:24], v[6:7], v[23:24], 1.0
	v_fma_f64 v[6:7], v[6:7], v[23:24], 1.0
	v_bfi_b32 v23, 0x7fffffff, s49, v17
	s_delay_alu instid0(VALU_DEP_2) | instskip(NEXT) | instid1(VALU_DEP_2)
	v_ldexp_f64 v[6:7], v[6:7], v16
	v_dual_mov_b32 v16, v22 :: v_dual_mov_b32 v17, v23
	s_delay_alu instid0(VALU_DEP_2) | instskip(NEXT) | instid1(VALU_DEP_1)
	v_dual_cndmask_b32 v7, 0, v7 :: v_dual_cndmask_b32 v6, 0, v6
	v_mul_f64 v[8:9], v[6:7], v[8:9]
	s_delay_alu instid0(VALU_DEP_1)
	v_mul_f64 v[14:15], v[6:7], v[8:9]
.LBB94_312:                             ;   in Loop: Header=BB94_161 Depth=1
	s_or_b32 exec_lo, exec_lo, s60
                                        ; implicit-def: $vgpr6_vgpr7
.LBB94_313:                             ;   in Loop: Header=BB94_161 Depth=1
	s_and_not1_saveexec_b32 s4, s47
; %bb.314:                              ;   in Loop: Header=BB94_161 Depth=1
	v_add_f64 v[14:15], v[6:7], -v[6:7]
	s_delay_alu instid0(VALU_DEP_1)
	v_dual_mov_b32 v17, v15 :: v_dual_mov_b32 v16, v14
; %bb.315:                              ;   in Loop: Header=BB94_161 Depth=1
	s_or_b32 exec_lo, exec_lo, s4
                                        ; implicit-def: $vgpr6_vgpr7
	s_and_not1_saveexec_b32 s47, s5
	s_cbranch_execnz .LBB94_295
.LBB94_316:                             ;   in Loop: Header=BB94_161 Depth=1
	s_or_b32 exec_lo, exec_lo, s47
	s_and_saveexec_b32 s4, s0
	s_delay_alu instid0(SALU_CYCLE_1)
	s_xor_b32 s0, exec_lo, s4
	s_cbranch_execz .LBB94_325
.LBB94_317:                             ;   in Loop: Header=BB94_161 Depth=1
	v_add_co_u32 v6, vcc_lo, v31, s6
	v_xor_b32_e32 v5, 0x80000000, v5
	v_add_co_ci_u32_e32 v7, vcc_lo, s7, v43, vcc_lo
	global_store_b128 v[6:7], v[2:5], off offset:-8
	s_or_b32 exec_lo, exec_lo, s0
	s_and_saveexec_b32 s0, s1
	s_cbranch_execnz .LBB94_326
.LBB94_318:                             ;   in Loop: Header=BB94_161 Depth=1
	s_or_b32 exec_lo, exec_lo, s0
	s_and_saveexec_b32 s0, s2
	s_cbranch_execz .LBB94_327
.LBB94_319:                             ;   in Loop: Header=BB94_161 Depth=1
	v_add_co_u32 v2, vcc_lo, v39, s6
	v_xor_b32_e32 v21, 0x80000000, v21
	v_add_co_ci_u32_e32 v3, vcc_lo, s7, v41, vcc_lo
	global_store_b128 v[2:3], v[18:21], off offset:-8
	s_or_b32 exec_lo, exec_lo, s0
	s_and_saveexec_b32 s0, s3
	s_cbranch_execz .LBB94_160
	s_branch .LBB94_328
.LBB94_320:                             ;   in Loop: Header=BB94_161 Depth=1
	s_and_not1_saveexec_b32 s4, s4
	s_cbranch_execz .LBB94_322
.LBB94_321:                             ;   in Loop: Header=BB94_161 Depth=1
	v_mul_f64 v[23:24], |v[6:7]|, s[22:23]
	s_mov_b32 s18, s24
	s_delay_alu instid0(VALU_DEP_1) | instskip(NEXT) | instid1(VALU_DEP_1)
	v_rndne_f64_e32 v[28:29], v[23:24]
	v_fma_f64 v[23:24], v[28:29], s[16:17], |v[6:7]|
	v_mul_f64 v[25:26], v[28:29], s[24:25]
	s_delay_alu instid0(VALU_DEP_2) | instskip(NEXT) | instid1(VALU_DEP_2)
	v_fma_f64 v[48:49], v[28:29], s[24:25], v[23:24]
	v_add_f64 v[46:47], v[23:24], v[25:26]
	s_delay_alu instid0(VALU_DEP_1) | instskip(NEXT) | instid1(VALU_DEP_3)
	v_add_f64 v[23:24], v[23:24], -v[46:47]
	v_add_f64 v[46:47], v[46:47], -v[48:49]
	s_delay_alu instid0(VALU_DEP_2) | instskip(SKIP_1) | instid1(VALU_DEP_2)
	v_add_f64 v[23:24], v[23:24], v[25:26]
	v_fma_f64 v[25:26], v[28:29], s[18:19], v[25:26]
	v_add_f64 v[23:24], v[46:47], v[23:24]
	s_delay_alu instid0(VALU_DEP_1) | instskip(NEXT) | instid1(VALU_DEP_1)
	v_add_f64 v[23:24], v[23:24], -v[25:26]
	v_fma_f64 v[25:26], v[28:29], s[26:27], v[23:24]
	v_cvt_i32_f64_e32 v28, v[28:29]
	s_delay_alu instid0(VALU_DEP_2) | instskip(NEXT) | instid1(VALU_DEP_1)
	v_add_f64 v[23:24], v[48:49], v[25:26]
	v_add_f64 v[46:47], v[23:24], -v[48:49]
	s_delay_alu instid0(VALU_DEP_1)
	v_add_f64 v[25:26], v[25:26], -v[46:47]
.LBB94_322:                             ;   in Loop: Header=BB94_161 Depth=1
	s_or_b32 exec_lo, exec_lo, s4
	v_cmp_class_f64_e64 vcc_lo, v[6:7], 0x1f8
	s_delay_alu instid0(VALU_DEP_3) | instskip(NEXT) | instid1(VALU_DEP_3)
	v_lshlrev_b32_e32 v6, 30, v27
	v_mul_f64 v[52:53], v[14:15], 0.5
	s_delay_alu instid0(VALU_DEP_4) | instskip(SKIP_1) | instid1(VALU_DEP_3)
	v_mul_f64 v[58:59], v[25:26], 0.5
	s_mov_b32 s42, s44
	v_xor_b32_e32 v29, v6, v7
	v_mul_f64 v[6:7], v[8:9], v[8:9]
	s_delay_alu instid0(VALU_DEP_1) | instskip(SKIP_1) | instid1(VALU_DEP_2)
	v_mul_f64 v[46:47], v[6:7], 0.5
	v_mul_f64 v[54:55], v[8:9], -v[6:7]
	v_add_f64 v[48:49], -v[46:47], 1.0
	s_delay_alu instid0(VALU_DEP_1) | instskip(NEXT) | instid1(VALU_DEP_1)
	v_add_f64 v[50:51], -v[48:49], 1.0
	v_add_f64 v[46:47], v[50:51], -v[46:47]
	v_fma_f64 v[50:51], v[6:7], s[34:35], s[30:31]
	s_delay_alu instid0(VALU_DEP_2) | instskip(NEXT) | instid1(VALU_DEP_2)
	v_fma_f64 v[46:47], v[8:9], -v[14:15], v[46:47]
	v_fma_f64 v[50:51], v[6:7], v[50:51], s[36:37]
	s_delay_alu instid0(VALU_DEP_1) | instskip(NEXT) | instid1(VALU_DEP_1)
	v_fma_f64 v[50:51], v[6:7], v[50:51], s[38:39]
	v_fma_f64 v[50:51], v[6:7], v[50:51], s[40:41]
	s_delay_alu instid0(VALU_DEP_1) | instskip(NEXT) | instid1(VALU_DEP_1)
	v_fma_f64 v[50:51], v[54:55], v[50:51], v[52:53]
	v_fma_f64 v[14:15], v[6:7], v[50:51], -v[14:15]
	v_fma_f64 v[50:51], v[6:7], s[98:99], s[96:97]
	s_delay_alu instid0(VALU_DEP_2) | instskip(NEXT) | instid1(VALU_DEP_2)
	v_fma_f64 v[14:15], v[54:55], s[42:43], v[14:15]
	v_fma_f64 v[50:51], v[6:7], v[50:51], s[100:101]
	s_delay_alu instid0(VALU_DEP_2) | instskip(NEXT) | instid1(VALU_DEP_2)
	v_add_f64 v[8:9], v[8:9], -v[14:15]
	v_fma_f64 v[50:51], v[6:7], v[50:51], s[102:103]
	s_delay_alu instid0(VALU_DEP_1) | instskip(NEXT) | instid1(VALU_DEP_1)
	v_fma_f64 v[50:51], v[6:7], v[50:51], s[28:29]
	v_fma_f64 v[50:51], v[6:7], v[50:51], s[44:45]
	v_mul_f64 v[6:7], v[6:7], v[6:7]
	s_delay_alu instid0(VALU_DEP_1) | instskip(SKIP_1) | instid1(VALU_DEP_2)
	v_fma_f64 v[6:7], v[6:7], v[50:51], v[46:47]
	v_mul_f64 v[46:47], v[23:24], v[23:24]
	v_add_f64 v[6:7], v[48:49], v[6:7]
	s_delay_alu instid0(VALU_DEP_2) | instskip(SKIP_1) | instid1(VALU_DEP_2)
	v_mul_f64 v[50:51], v[46:47], 0.5
	v_mul_f64 v[60:61], v[23:24], -v[46:47]
	v_add_f64 v[52:53], -v[50:51], 1.0
	s_delay_alu instid0(VALU_DEP_1) | instskip(NEXT) | instid1(VALU_DEP_1)
	v_add_f64 v[56:57], -v[52:53], 1.0
	v_add_f64 v[50:51], v[56:57], -v[50:51]
	v_fma_f64 v[56:57], v[46:47], s[34:35], s[30:31]
	s_delay_alu instid0(VALU_DEP_2) | instskip(NEXT) | instid1(VALU_DEP_2)
	v_fma_f64 v[50:51], v[23:24], -v[25:26], v[50:51]
	v_fma_f64 v[56:57], v[46:47], v[56:57], s[36:37]
	s_delay_alu instid0(VALU_DEP_1) | instskip(NEXT) | instid1(VALU_DEP_1)
	v_fma_f64 v[56:57], v[46:47], v[56:57], s[38:39]
	v_fma_f64 v[56:57], v[46:47], v[56:57], s[40:41]
	s_delay_alu instid0(VALU_DEP_1) | instskip(NEXT) | instid1(VALU_DEP_1)
	v_fma_f64 v[56:57], v[60:61], v[56:57], v[58:59]
	v_fma_f64 v[25:26], v[46:47], v[56:57], -v[25:26]
	v_fma_f64 v[56:57], v[46:47], s[98:99], s[96:97]
	s_delay_alu instid0(VALU_DEP_2) | instskip(NEXT) | instid1(VALU_DEP_2)
	v_fma_f64 v[25:26], v[60:61], s[42:43], v[25:26]
	v_fma_f64 v[56:57], v[46:47], v[56:57], s[100:101]
	s_delay_alu instid0(VALU_DEP_2) | instskip(NEXT) | instid1(VALU_DEP_2)
	v_add_f64 v[23:24], v[23:24], -v[25:26]
	v_fma_f64 v[56:57], v[46:47], v[56:57], s[102:103]
	v_and_b32_e32 v25, 1, v27
	v_lshlrev_b32_e32 v27, 30, v28
	s_delay_alu instid0(VALU_DEP_2) | instskip(SKIP_1) | instid1(VALU_DEP_2)
	v_cmp_eq_u32_e64 s4, 0, v25
	v_and_b32_e32 v25, 0x80000000, v29
	v_cndmask_b32_e64 v7, v7, v9, s4
	s_delay_alu instid0(VALU_DEP_4) | instskip(SKIP_1) | instid1(VALU_DEP_3)
	v_and_b32_e32 v9, 0x80000000, v27
	v_cndmask_b32_e64 v6, v6, v8, s4
	v_xor_b32_e32 v7, v7, v25
	v_and_b32_e32 v26, 1, v28
	s_delay_alu instid0(VALU_DEP_3) | instskip(NEXT) | instid1(VALU_DEP_3)
	v_cndmask_b32_e32 v6, 0, v6, vcc_lo
	v_cndmask_b32_e32 v7, 0x7ff80000, v7, vcc_lo
	s_delay_alu instid0(VALU_DEP_3) | instskip(SKIP_2) | instid1(VALU_DEP_1)
	v_cmp_eq_u32_e64 s5, 0, v26
	v_xor_b32_e32 v24, 0x80000000, v24
	v_fma_f64 v[56:57], v[46:47], v[56:57], s[28:29]
	v_fma_f64 v[56:57], v[46:47], v[56:57], s[44:45]
	v_mul_f64 v[46:47], v[46:47], v[46:47]
	s_delay_alu instid0(VALU_DEP_1) | instskip(NEXT) | instid1(VALU_DEP_1)
	v_fma_f64 v[46:47], v[46:47], v[56:57], v[50:51]
	v_add_f64 v[14:15], v[52:53], v[46:47]
	s_delay_alu instid0(VALU_DEP_1) | instskip(NEXT) | instid1(VALU_DEP_2)
	v_cndmask_b32_e64 v15, v24, v15, s5
	v_cndmask_b32_e64 v8, v23, v14, s5
	s_delay_alu instid0(VALU_DEP_2) | instskip(NEXT) | instid1(VALU_DEP_2)
	v_xor_b32_e32 v9, v15, v9
	v_cndmask_b32_e32 v8, 0, v8, vcc_lo
	s_delay_alu instid0(VALU_DEP_2) | instskip(NEXT) | instid1(VALU_DEP_1)
	v_cndmask_b32_e32 v9, 0x7ff80000, v9, vcc_lo
	v_mul_f64 v[6:7], v[6:7], v[8:9]
.LBB94_323:                             ;   in Loop: Header=BB94_161 Depth=1
	s_or_b32 exec_lo, exec_lo, s64
	s_delay_alu instid0(VALU_DEP_1) | instskip(SKIP_2) | instid1(VALU_DEP_3)
	v_bfi_b32 v23, 0x7fffffff, 0, v7
	v_add_co_u32 v16, vcc_lo, v16, 0
	v_add_co_ci_u32_e32 v17, vcc_lo, -2.0, v17, vcc_lo
	v_dual_mov_b32 v14, v22 :: v_dual_mov_b32 v15, v23
.LBB94_324:                             ;   in Loop: Header=BB94_161 Depth=1
	s_or_b32 exec_lo, exec_lo, s60
	s_delay_alu instid0(SALU_CYCLE_1) | instskip(SKIP_1) | instid1(SALU_CYCLE_1)
	s_or_b32 exec_lo, exec_lo, s47
	s_and_saveexec_b32 s4, s0
	s_xor_b32 s0, exec_lo, s4
	s_cbranch_execnz .LBB94_317
.LBB94_325:                             ;   in Loop: Header=BB94_161 Depth=1
	s_or_b32 exec_lo, exec_lo, s0
	s_and_saveexec_b32 s0, s1
	s_cbranch_execz .LBB94_318
.LBB94_326:                             ;   in Loop: Header=BB94_161 Depth=1
	v_add_co_u32 v2, vcc_lo, v36, s6
	v_xor_b32_e32 v13, 0x80000000, v13
	v_add_co_ci_u32_e32 v3, vcc_lo, s7, v44, vcc_lo
	global_store_b128 v[2:3], v[10:13], off
	s_or_b32 exec_lo, exec_lo, s0
	s_and_saveexec_b32 s0, s2
	s_cbranch_execnz .LBB94_319
.LBB94_327:                             ;   in Loop: Header=BB94_161 Depth=1
	s_or_b32 exec_lo, exec_lo, s0
	s_and_saveexec_b32 s0, s3
	s_cbranch_execz .LBB94_160
.LBB94_328:                             ;   in Loop: Header=BB94_161 Depth=1
	v_add_co_u32 v2, vcc_lo, v33, s6
	v_xor_b32_e32 v17, 0x80000000, v17
	v_add_co_ci_u32_e32 v3, vcc_lo, s7, v35, vcc_lo
	global_store_b128 v[2:3], v[14:17], off offset:-8
	s_branch .LBB94_160
.LBB94_329:
	s_nop 0
	s_sendmsg sendmsg(MSG_DEALLOC_VGPRS)
	s_endpgm
	.section	.rodata,"a",@progbits
	.p2align	6, 0x0
	.amdhsa_kernel _ZN2at6native12_GLOBAL__N_125multi_tensor_apply_kernelINS1_18TensorListMetadataILi2EEENS1_14UnaryOpFunctorIN3c107complexIdEELi2ELi1ELi1EEEJNS0_3TanIS8_EEEEEvT_T0_DpT1_
		.amdhsa_group_segment_fixed_size 0
		.amdhsa_private_segment_fixed_size 0
		.amdhsa_kernarg_size 3408
		.amdhsa_user_sgpr_count 15
		.amdhsa_user_sgpr_dispatch_ptr 0
		.amdhsa_user_sgpr_queue_ptr 0
		.amdhsa_user_sgpr_kernarg_segment_ptr 1
		.amdhsa_user_sgpr_dispatch_id 0
		.amdhsa_user_sgpr_private_segment_size 0
		.amdhsa_wavefront_size32 1
		.amdhsa_uses_dynamic_stack 0
		.amdhsa_enable_private_segment 0
		.amdhsa_system_sgpr_workgroup_id_x 1
		.amdhsa_system_sgpr_workgroup_id_y 0
		.amdhsa_system_sgpr_workgroup_id_z 0
		.amdhsa_system_sgpr_workgroup_info 0
		.amdhsa_system_vgpr_workitem_id 0
		.amdhsa_next_free_vgpr 65
		.amdhsa_next_free_sgpr 105
		.amdhsa_reserve_vcc 1
		.amdhsa_float_round_mode_32 0
		.amdhsa_float_round_mode_16_64 0
		.amdhsa_float_denorm_mode_32 3
		.amdhsa_float_denorm_mode_16_64 3
		.amdhsa_dx10_clamp 1
		.amdhsa_ieee_mode 1
		.amdhsa_fp16_overflow 0
		.amdhsa_workgroup_processor_mode 1
		.amdhsa_memory_ordered 1
		.amdhsa_forward_progress 0
		.amdhsa_shared_vgpr_count 0
		.amdhsa_exception_fp_ieee_invalid_op 0
		.amdhsa_exception_fp_denorm_src 0
		.amdhsa_exception_fp_ieee_div_zero 0
		.amdhsa_exception_fp_ieee_overflow 0
		.amdhsa_exception_fp_ieee_underflow 0
		.amdhsa_exception_fp_ieee_inexact 0
		.amdhsa_exception_int_div_zero 0
	.end_amdhsa_kernel
	.section	.text._ZN2at6native12_GLOBAL__N_125multi_tensor_apply_kernelINS1_18TensorListMetadataILi2EEENS1_14UnaryOpFunctorIN3c107complexIdEELi2ELi1ELi1EEEJNS0_3TanIS8_EEEEEvT_T0_DpT1_,"axG",@progbits,_ZN2at6native12_GLOBAL__N_125multi_tensor_apply_kernelINS1_18TensorListMetadataILi2EEENS1_14UnaryOpFunctorIN3c107complexIdEELi2ELi1ELi1EEEJNS0_3TanIS8_EEEEEvT_T0_DpT1_,comdat
.Lfunc_end94:
	.size	_ZN2at6native12_GLOBAL__N_125multi_tensor_apply_kernelINS1_18TensorListMetadataILi2EEENS1_14UnaryOpFunctorIN3c107complexIdEELi2ELi1ELi1EEEJNS0_3TanIS8_EEEEEvT_T0_DpT1_, .Lfunc_end94-_ZN2at6native12_GLOBAL__N_125multi_tensor_apply_kernelINS1_18TensorListMetadataILi2EEENS1_14UnaryOpFunctorIN3c107complexIdEELi2ELi1ELi1EEEJNS0_3TanIS8_EEEEEvT_T0_DpT1_
                                        ; -- End function
	.section	.AMDGPU.csdata,"",@progbits
; Kernel info:
; codeLenInByte = 70664
; NumSgprs: 107
; NumVgprs: 65
; ScratchSize: 0
; MemoryBound: 1
; FloatMode: 240
; IeeeMode: 1
; LDSByteSize: 0 bytes/workgroup (compile time only)
; SGPRBlocks: 13
; VGPRBlocks: 8
; NumSGPRsForWavesPerEU: 107
; NumVGPRsForWavesPerEU: 65
; Occupancy: 16
; WaveLimiterHint : 0
; COMPUTE_PGM_RSRC2:SCRATCH_EN: 0
; COMPUTE_PGM_RSRC2:USER_SGPR: 15
; COMPUTE_PGM_RSRC2:TRAP_HANDLER: 0
; COMPUTE_PGM_RSRC2:TGID_X_EN: 1
; COMPUTE_PGM_RSRC2:TGID_Y_EN: 0
; COMPUTE_PGM_RSRC2:TGID_Z_EN: 0
; COMPUTE_PGM_RSRC2:TIDIG_COMP_CNT: 0
	.section	.text._ZN2at6native12_GLOBAL__N_125multi_tensor_apply_kernelINS1_18TensorListMetadataILi2EEENS1_14UnaryOpFunctorIN3c107complexIfEELi2ELi1ELi1EEEJNS0_3TanIS8_EEEEEvT_T0_DpT1_,"axG",@progbits,_ZN2at6native12_GLOBAL__N_125multi_tensor_apply_kernelINS1_18TensorListMetadataILi2EEENS1_14UnaryOpFunctorIN3c107complexIfEELi2ELi1ELi1EEEJNS0_3TanIS8_EEEEEvT_T0_DpT1_,comdat
	.globl	_ZN2at6native12_GLOBAL__N_125multi_tensor_apply_kernelINS1_18TensorListMetadataILi2EEENS1_14UnaryOpFunctorIN3c107complexIfEELi2ELi1ELi1EEEJNS0_3TanIS8_EEEEEvT_T0_DpT1_ ; -- Begin function _ZN2at6native12_GLOBAL__N_125multi_tensor_apply_kernelINS1_18TensorListMetadataILi2EEENS1_14UnaryOpFunctorIN3c107complexIfEELi2ELi1ELi1EEEJNS0_3TanIS8_EEEEEvT_T0_DpT1_
	.p2align	8
	.type	_ZN2at6native12_GLOBAL__N_125multi_tensor_apply_kernelINS1_18TensorListMetadataILi2EEENS1_14UnaryOpFunctorIN3c107complexIfEELi2ELi1ELi1EEEJNS0_3TanIS8_EEEEEvT_T0_DpT1_,@function
_ZN2at6native12_GLOBAL__N_125multi_tensor_apply_kernelINS1_18TensorListMetadataILi2EEENS1_14UnaryOpFunctorIN3c107complexIfEELi2ELi1ELi1EEEJNS0_3TanIS8_EEEEEvT_T0_DpT1_: ; @_ZN2at6native12_GLOBAL__N_125multi_tensor_apply_kernelINS1_18TensorListMetadataILi2EEENS1_14UnaryOpFunctorIN3c107complexIfEELi2ELi1ELi1EEEJNS0_3TanIS8_EEEEEvT_T0_DpT1_
; %bb.0:
	v_mov_b32_e32 v1, s15
	s_add_u32 s2, s0, s15
	s_mul_hi_u32 s3, s15, 3
	s_mul_i32 s15, s15, 3
	s_addc_u32 s4, s1, 0
	global_load_u8 v1, v1, s[0:1] offset:1536
	s_add_u32 s2, s2, s15
	s_addc_u32 s3, s4, s3
	s_mov_b32 s19, 0
	s_load_b32 s2, s[2:3], 0x740
	s_mov_b32 s21, s19
	s_mov_b32 s23, s19
	s_waitcnt vmcnt(0)
	v_readfirstlane_b32 s5, v1
	s_delay_alu instid0(VALU_DEP_1)
	s_lshl_b32 s3, s5, 3
	s_clause 0x2
	s_load_b64 s[6:7], s[0:1], s3 offset:0x0
	s_load_b64 s[16:17], s[0:1], s3 offset:0x200
	;; [unrolled: 1-line block ×3, first 2 shown]
	s_waitcnt lgkmcnt(0)
	s_ashr_i32 s3, s2, 31
	s_delay_alu instid0(SALU_CYCLE_1) | instskip(NEXT) | instid1(SALU_CYCLE_1)
	s_lshl_b64 s[8:9], s[2:3], 19
	s_add_u32 s5, s6, s8
	s_addc_u32 s12, s7, s9
	s_add_u32 s13, s16, s8
	s_addc_u32 s14, s17, s9
	s_and_b32 s20, s5, 31
	s_and_b32 s22, s10, 3
	;; [unrolled: 1-line block ×3, first 2 shown]
	s_or_b64 s[20:21], s[20:21], s[22:23]
	s_lshl_b64 s[2:3], s[2:3], 16
	s_or_b64 s[18:19], s[18:19], s[20:21]
	s_sub_u32 s10, s10, s2
	s_subb_u32 s11, s11, s3
	s_cmp_eq_u64 s[18:19], 0
	s_mov_b32 s2, -1
	s_cbranch_scc0 .LBB95_157
; %bb.1:
	v_dual_mov_b32 v13, 0 :: v_dual_lshlrev_b32 v12, 2, v0
	s_mov_b32 s15, exec_lo
	s_delay_alu instid0(VALU_DEP_1)
	v_cmpx_gt_i64_e64 s[10:11], v[12:13]
	s_cbranch_execz .LBB95_156
; %bb.2:
	s_load_b32 s2, s[0:1], 0xc5c
	s_mov_b32 s18, 0
	s_mov_b32 s21, 0x7fffff
	;; [unrolled: 1-line block ×7, first 2 shown]
	s_waitcnt lgkmcnt(0)
	s_and_b32 s2, s2, 0xffff
	s_delay_alu instid0(SALU_CYCLE_1) | instskip(SKIP_3) | instid1(VALU_DEP_2)
	v_add_lshl_u32 v12, v0, s2, 2
	v_dual_mov_b32 v15, v13 :: v_dual_lshlrev_b32 v16, 5, v0
	s_lshl_b32 s19, s2, 2
	s_lshl_b32 s20, s2, 5
	v_mov_b32_e32 v14, v12
	s_branch .LBB95_7
.LBB95_3:                               ;   in Loop: Header=BB95_7 Depth=1
	s_or_b32 exec_lo, exec_lo, s2
	v_dual_mul_f32 v10, v2, v2 :: v_dual_and_b32 v11, 1, v4
	s_delay_alu instid0(VALU_DEP_2) | instskip(SKIP_1) | instid1(VALU_DEP_3)
	v_dual_mul_f32 v20, v12, v12 :: v_dual_and_b32 v23, 1, v19
	v_lshlrev_b32_e32 v19, 30, v19
	v_dual_fmaak_f32 v21, s25, v10, 0x3c0881c4 :: v_dual_lshlrev_b32 v4, 30, v4
	s_delay_alu instid0(VALU_DEP_3) | instskip(SKIP_2) | instid1(VALU_DEP_4)
	v_fmaak_f32 v24, s25, v20, 0x3c0881c4
	v_fmaak_f32 v22, s26, v10, 0xbab64f3b
	v_cmp_eq_u32_e32 vcc_lo, 0, v11
	v_fmaak_f32 v21, v10, v21, 0xbe2aaa9d
	v_and_b32_e32 v4, 0x80000000, v4
	s_delay_alu instid0(VALU_DEP_2) | instskip(SKIP_1) | instid1(VALU_DEP_2)
	v_dual_fmaak_f32 v24, v20, v24, 0xbe2aaa9d :: v_dual_mul_f32 v21, v10, v21
	v_fmaak_f32 v25, s26, v20, 0xbab64f3b
	v_mul_f32_e32 v24, v20, v24
	s_delay_alu instid0(VALU_DEP_4) | instskip(NEXT) | instid1(VALU_DEP_4)
	v_xor_b32_e32 v1, v1, v4
	v_fmac_f32_e32 v2, v2, v21
	s_delay_alu instid0(VALU_DEP_4) | instskip(NEXT) | instid1(VALU_DEP_4)
	v_dual_fmaak_f32 v22, v10, v22, 0x3d2aabf7 :: v_dual_fmaak_f32 v25, v20, v25, 0x3d2aabf7
	v_fmac_f32_e32 v12, v12, v24
	s_delay_alu instid0(VALU_DEP_2) | instskip(NEXT) | instid1(VALU_DEP_1)
	v_dual_fmaak_f32 v22, v10, v22, 0xbf000004 :: v_dual_fmaak_f32 v25, v20, v25, 0xbf000004
	v_fma_f32 v10, v10, v22, 1.0
	s_delay_alu instid0(VALU_DEP_2) | instskip(NEXT) | instid1(VALU_DEP_2)
	v_fma_f32 v4, v20, v25, 1.0
	v_cndmask_b32_e32 v2, v10, v2, vcc_lo
	v_cmp_eq_u32_e32 vcc_lo, 0, v23
	v_and_b32_e32 v10, 0x80000000, v19
	s_delay_alu instid0(VALU_DEP_3) | instskip(SKIP_2) | instid1(VALU_DEP_2)
	v_xor3_b32 v1, v1, v2, v3
	v_cndmask_b32_e64 v4, -v12, v4, vcc_lo
	v_cmp_class_f32_e64 vcc_lo, v3, 0x1f8
	v_xor_b32_e32 v2, v10, v4
	s_delay_alu instid0(VALU_DEP_1) | instskip(NEXT) | instid1(VALU_DEP_1)
	v_mul_f32_e32 v1, v1, v2
	v_cndmask_b32_e32 v3, 0x7fc00000, v1, vcc_lo
.LBB95_4:                               ;   in Loop: Header=BB95_7 Depth=1
	s_or_b32 exec_lo, exec_lo, s29
	v_add_nc_u32_e32 v18, -2.0, v18
	s_delay_alu instid0(VALU_DEP_2)
	v_bfi_b32 v11, 0x7fffffff, 0, v3
.LBB95_5:                               ;   in Loop: Header=BB95_7 Depth=1
	s_or_b32 exec_lo, exec_lo, s28
.LBB95_6:                               ;   in Loop: Header=BB95_7 Depth=1
	s_delay_alu instid0(SALU_CYCLE_1)
	s_or_b32 exec_lo, exec_lo, s27
	v_cmp_le_i64_e32 vcc_lo, s[10:11], v[14:15]
	v_cmp_lt_u64_e64 s2, 0xffff, v[14:15]
	v_add_co_u32 v1, s3, s13, v16
	v_xor_b32_e32 v10, 0x80000000, v8
	v_xor_b32_e32 v8, 0x80000000, v17
	;; [unrolled: 1-line block ×3, first 2 shown]
	s_or_b32 s2, vcc_lo, s2
	s_add_u32 s5, s5, s20
	v_add_co_u32 v14, vcc_lo, v14, s19
	s_addc_u32 s12, s12, 0
	s_add_u32 s13, s13, s20
	v_add_co_ci_u32_e64 v2, null, s14, 0, s3
	v_add_co_ci_u32_e32 v15, vcc_lo, 0, v15, vcc_lo
	s_addc_u32 s14, s14, 0
	v_xor_b32_e32 v12, 0x80000000, v18
	s_and_b32 s2, exec_lo, s2
	s_clause 0x1
	global_store_b128 v[1:2], v[5:8], off
	global_store_b128 v[1:2], v[9:12], off offset:16
	s_or_b32 s18, s2, s18
	s_delay_alu instid0(SALU_CYCLE_1)
	s_and_not1_b32 exec_lo, exec_lo, s18
	s_cbranch_execz .LBB95_156
.LBB95_7:                               ; =>This Inner Loop Header: Depth=1
	v_add_co_u32 v1, s2, s5, v16
	s_delay_alu instid0(VALU_DEP_1)
	v_add_co_ci_u32_e64 v2, null, s12, 0, s2
                                        ; implicit-def: $vgpr5
                                        ; implicit-def: $vgpr6
	s_mov_b32 s2, exec_lo
	s_clause 0x1
	global_load_b128 v[8:11], v[1:2], off
	global_load_b128 v[1:4], v[1:2], off offset:16
	s_waitcnt vmcnt(1)
	v_and_b32_e32 v12, 0x7fffffff, v9
	s_delay_alu instid0(VALU_DEP_1)
	v_cmpx_gt_u32_e32 0x7f800000, v12
	s_xor_b32 s27, exec_lo, s2
	s_cbranch_execz .LBB95_29
; %bb.8:                                ;   in Loop: Header=BB95_7 Depth=1
	v_cmp_class_f32_e64 s2, v8, 0x1f8
                                        ; implicit-def: $vgpr5
                                        ; implicit-def: $vgpr6
	s_delay_alu instid0(VALU_DEP_1) | instskip(NEXT) | instid1(SALU_CYCLE_1)
	s_and_saveexec_b32 s3, s2
	s_xor_b32 s28, exec_lo, s3
	s_cbranch_execz .LBB95_26
; %bb.9:                                ;   in Loop: Header=BB95_7 Depth=1
	v_and_b32_e32 v7, 0x7fffffff, v8
                                        ; implicit-def: $vgpr5
                                        ; implicit-def: $vgpr6
	s_mov_b32 s2, exec_lo
	v_cmpx_gt_u32_e32 0x41300000, v12
	s_xor_b32 s29, exec_lo, s2
	s_cbranch_execz .LBB95_15
; %bb.10:                               ;   in Loop: Header=BB95_7 Depth=1
                                        ; implicit-def: $vgpr5
                                        ; implicit-def: $vgpr6
	s_mov_b32 s3, exec_lo
	v_cmpx_ngt_f32_e64 0x48000000, |v8|
	s_xor_b32 s30, exec_lo, s3
	s_cbranch_execz .LBB95_12
; %bb.11:                               ;   in Loop: Header=BB95_7 Depth=1
	v_and_or_b32 v24, v7, s21, 0x800000
	s_delay_alu instid0(VALU_DEP_1) | instskip(NEXT) | instid1(VALU_DEP_1)
	v_mad_u64_u32 v[5:6], null, 0xfe5163ab, v24, 0
	v_mov_b32_e32 v12, v6
	v_lshrrev_b32_e32 v6, 23, v7
	s_delay_alu instid0(VALU_DEP_2) | instskip(NEXT) | instid1(VALU_DEP_2)
	v_mad_u64_u32 v[17:18], null, 0x3c439041, v24, v[12:13]
	v_add_nc_u32_e32 v6, 0xffffff88, v6
	s_delay_alu instid0(VALU_DEP_1) | instskip(NEXT) | instid1(VALU_DEP_3)
	v_cmp_lt_u32_e32 vcc_lo, 63, v6
	v_mov_b32_e32 v12, v18
	v_cndmask_b32_e64 v22, 0, 0xffffffc0, vcc_lo
	s_delay_alu instid0(VALU_DEP_2) | instskip(NEXT) | instid1(VALU_DEP_2)
	v_mad_u64_u32 v[18:19], null, 0xdb629599, v24, v[12:13]
	v_add_nc_u32_e32 v6, v22, v6
	s_delay_alu instid0(VALU_DEP_2) | instskip(NEXT) | instid1(VALU_DEP_2)
	v_dual_mov_b32 v12, v19 :: v_dual_cndmask_b32 v5, v18, v5
	v_cmp_lt_u32_e64 s2, 31, v6
	s_delay_alu instid0(VALU_DEP_2) | instskip(NEXT) | instid1(VALU_DEP_2)
	v_mad_u64_u32 v[19:20], null, 0xf534ddc0, v24, v[12:13]
	v_cndmask_b32_e64 v23, 0, 0xffffffe0, s2
	s_delay_alu instid0(VALU_DEP_1) | instskip(NEXT) | instid1(VALU_DEP_3)
	v_add_nc_u32_e32 v6, v23, v6
	v_mov_b32_e32 v12, v20
	s_delay_alu instid0(VALU_DEP_2) | instskip(NEXT) | instid1(VALU_DEP_2)
	v_cmp_lt_u32_e64 s3, 31, v6
	v_mad_u64_u32 v[20:21], null, 0xfc2757d1, v24, v[12:13]
	s_delay_alu instid0(VALU_DEP_1) | instskip(NEXT) | instid1(VALU_DEP_1)
	v_mov_b32_e32 v12, v21
	v_mad_u64_u32 v[21:22], null, 0x4e441529, v24, v[12:13]
	s_delay_alu instid0(VALU_DEP_1) | instskip(NEXT) | instid1(VALU_DEP_1)
	v_mov_b32_e32 v12, v22
	v_mad_u64_u32 v[22:23], null, 0xa2f9836e, v24, v[12:13]
	v_cndmask_b32_e64 v12, 0, 0xffffffe0, s3
	s_delay_alu instid0(VALU_DEP_4) | instskip(NEXT) | instid1(VALU_DEP_2)
	v_cndmask_b32_e32 v24, v21, v19, vcc_lo
	v_add_nc_u32_e32 v6, v12, v6
	s_delay_alu instid0(VALU_DEP_4) | instskip(SKIP_2) | instid1(VALU_DEP_4)
	v_dual_cndmask_b32 v22, v22, v20 :: v_dual_cndmask_b32 v21, v23, v21
	v_cndmask_b32_e32 v20, v20, v18, vcc_lo
	v_cndmask_b32_e32 v12, v19, v17, vcc_lo
	v_cmp_eq_u32_e64 s4, 0, v6
	s_delay_alu instid0(VALU_DEP_4)
	v_cndmask_b32_e64 v17, v22, v24, s2
	v_cndmask_b32_e64 v19, v21, v22, s2
	v_cndmask_b32_e64 v21, v24, v20, s2
	v_sub_nc_u32_e32 v22, 32, v6
	v_cndmask_b32_e64 v20, v20, v12, s2
	v_cndmask_b32_e64 v5, v12, v5, s2
	v_cndmask_b32_e64 v19, v19, v17, s3
	v_cndmask_b32_e64 v17, v17, v21, s3
	s_delay_alu instid0(VALU_DEP_4) | instskip(NEXT) | instid1(VALU_DEP_4)
	v_cndmask_b32_e64 v21, v21, v20, s3
	v_cndmask_b32_e64 v5, v20, v5, s3
	s_delay_alu instid0(VALU_DEP_3) | instskip(NEXT) | instid1(VALU_DEP_3)
	v_alignbit_b32 v23, v19, v17, v22
	v_alignbit_b32 v24, v17, v21, v22
	s_delay_alu instid0(VALU_DEP_3) | instskip(NEXT) | instid1(VALU_DEP_3)
	v_alignbit_b32 v22, v21, v5, v22
	v_cndmask_b32_e64 v6, v23, v19, s4
	s_delay_alu instid0(VALU_DEP_3) | instskip(NEXT) | instid1(VALU_DEP_3)
	v_cndmask_b32_e64 v17, v24, v17, s4
	v_cndmask_b32_e64 v21, v22, v21, s4
	s_delay_alu instid0(VALU_DEP_3) | instskip(NEXT) | instid1(VALU_DEP_3)
	v_bfe_u32 v18, v6, 29, 1
	v_alignbit_b32 v12, v6, v17, 30
	s_delay_alu instid0(VALU_DEP_3) | instskip(SKIP_1) | instid1(VALU_DEP_4)
	v_alignbit_b32 v17, v17, v21, 30
	v_alignbit_b32 v5, v21, v5, 30
	v_sub_nc_u32_e32 v19, 0, v18
	s_delay_alu instid0(VALU_DEP_1) | instskip(SKIP_3) | instid1(VALU_DEP_4)
	v_xor_b32_e32 v20, v12, v19
	v_cmp_ne_u32_e32 vcc_lo, v12, v19
	v_xor_b32_e32 v17, v17, v19
	v_xor_b32_e32 v5, v5, v19
	v_clz_i32_u32_e32 v23, v20
	s_delay_alu instid0(VALU_DEP_1) | instskip(NEXT) | instid1(VALU_DEP_1)
	v_add_nc_u32_e32 v22, 1, v23
	v_cndmask_b32_e32 v12, 33, v22, vcc_lo
	s_delay_alu instid0(VALU_DEP_1) | instskip(NEXT) | instid1(VALU_DEP_1)
	v_sub_nc_u32_e32 v21, 32, v12
	v_alignbit_b32 v19, v20, v17, v21
	v_alignbit_b32 v5, v17, v5, v21
	v_lshrrev_b32_e32 v17, 29, v6
	s_delay_alu instid0(VALU_DEP_2) | instskip(NEXT) | instid1(VALU_DEP_2)
	v_alignbit_b32 v20, v19, v5, 9
	v_lshlrev_b32_e32 v17, 31, v17
	v_alignbit_b32 v19, v12, v19, 9
	s_delay_alu instid0(VALU_DEP_3) | instskip(NEXT) | instid1(VALU_DEP_2)
	v_clz_i32_u32_e32 v21, v20
	v_or_b32_e32 v19, v19, v17
	v_or_b32_e32 v17, 0x33800000, v17
	s_delay_alu instid0(VALU_DEP_3) | instskip(NEXT) | instid1(VALU_DEP_3)
	v_min_u32_e32 v21, 32, v21
	v_xor_b32_e32 v19, 1.0, v19
	s_delay_alu instid0(VALU_DEP_2) | instskip(SKIP_1) | instid1(VALU_DEP_3)
	v_sub_nc_u32_e32 v22, 31, v21
	v_add_lshl_u32 v12, v21, v12, 23
	v_mul_f32_e32 v21, 0x3fc90fda, v19
	s_delay_alu instid0(VALU_DEP_3) | instskip(NEXT) | instid1(VALU_DEP_3)
	v_alignbit_b32 v5, v20, v5, v22
	v_sub_nc_u32_e32 v12, v17, v12
	s_delay_alu instid0(VALU_DEP_3) | instskip(NEXT) | instid1(VALU_DEP_3)
	v_fma_f32 v17, 0x3fc90fda, v19, -v21
	v_lshrrev_b32_e32 v5, 9, v5
	s_delay_alu instid0(VALU_DEP_2) | instskip(NEXT) | instid1(VALU_DEP_2)
	v_fmac_f32_e32 v17, 0x33a22168, v19
	v_or_b32_e32 v5, v12, v5
	s_delay_alu instid0(VALU_DEP_1) | instskip(SKIP_1) | instid1(VALU_DEP_2)
	v_fmac_f32_e32 v17, 0x3fc90fda, v5
	v_lshrrev_b32_e32 v5, 30, v6
	v_add_f32_e32 v6, v21, v17
	s_delay_alu instid0(VALU_DEP_2)
	v_add_nc_u32_e32 v5, v18, v5
.LBB95_12:                              ;   in Loop: Header=BB95_7 Depth=1
	s_and_not1_saveexec_b32 s2, s30
; %bb.13:                               ;   in Loop: Header=BB95_7 Depth=1
	v_mul_f32_e64 v5, 0x3f22f983, |v8|
	s_delay_alu instid0(VALU_DEP_1) | instskip(NEXT) | instid1(VALU_DEP_1)
	v_rndne_f32_e32 v5, v5
	v_fma_f32 v6, 0xbfc90fda, v5, |v8|
	s_delay_alu instid0(VALU_DEP_1) | instskip(NEXT) | instid1(VALU_DEP_1)
	v_fmac_f32_e32 v6, 0xb3a22168, v5
	v_fmac_f32_e32 v6, 0xa7c234c4, v5
	v_cvt_i32_f32_e32 v5, v5
; %bb.14:                               ;   in Loop: Header=BB95_7 Depth=1
	s_or_b32 exec_lo, exec_lo, s2
	v_add_f32_e64 v12, 0xbf317218, |v9|
	v_cmp_nlt_f32_e64 vcc_lo, 0x42b2d4fc, |v9|
	v_cmp_gt_f32_e64 s2, 0x39800000, |v9|
	v_and_b32_e32 v5, 1, v5
	s_delay_alu instid0(VALU_DEP_4) | instskip(NEXT) | instid1(VALU_DEP_1)
	v_sub_f32_e64 v17, v12, |v9|
	v_dual_sub_f32 v18, v17, v12 :: v_dual_add_f32 v17, 0x3f317218, v17
	s_delay_alu instid0(VALU_DEP_1) | instskip(NEXT) | instid1(VALU_DEP_1)
	v_add_f32_e64 v18, |v9|, v18
	v_sub_f32_e32 v17, v18, v17
	s_delay_alu instid0(VALU_DEP_1) | instskip(NEXT) | instid1(VALU_DEP_1)
	v_add_f32_e32 v17, 0x3102e308, v17
	v_add_f32_e32 v18, v12, v17
	s_delay_alu instid0(VALU_DEP_1) | instskip(NEXT) | instid1(VALU_DEP_1)
	v_sub_f32_e32 v12, v12, v18
	v_dual_mul_f32 v19, 0x3fb8aa3b, v18 :: v_dual_add_f32 v12, v17, v12
	s_delay_alu instid0(VALU_DEP_1) | instskip(NEXT) | instid1(VALU_DEP_1)
	v_rndne_f32_e32 v19, v19
	v_mul_f32_e32 v17, 0x35bfbc00, v19
	v_fmac_f32_e32 v18, 0xbf317200, v19
	s_delay_alu instid0(VALU_DEP_1) | instskip(NEXT) | instid1(VALU_DEP_1)
	v_add_f32_e32 v20, v12, v18
	v_dual_sub_f32 v21, v20, v17 :: v_dual_sub_f32 v18, v18, v20
	s_delay_alu instid0(VALU_DEP_1) | instskip(NEXT) | instid1(VALU_DEP_1)
	v_sub_f32_e32 v20, v20, v21
	v_sub_f32_e32 v17, v20, v17
	s_delay_alu instid0(VALU_DEP_3) | instskip(NEXT) | instid1(VALU_DEP_1)
	v_add_f32_e32 v12, v12, v18
	v_dual_add_f32 v12, v12, v17 :: v_dual_mul_f32 v17, 0x2ea39ef3, v19
	s_delay_alu instid0(VALU_DEP_1) | instskip(NEXT) | instid1(VALU_DEP_1)
	v_add_f32_e32 v18, v21, v12
	v_dual_sub_f32 v20, v18, v17 :: v_dual_sub_f32 v21, v21, v18
	s_delay_alu instid0(VALU_DEP_1) | instskip(NEXT) | instid1(VALU_DEP_2)
	v_sub_f32_e32 v18, v18, v20
	v_add_f32_e32 v12, v12, v21
	s_delay_alu instid0(VALU_DEP_2) | instskip(NEXT) | instid1(VALU_DEP_1)
	v_sub_f32_e32 v17, v18, v17
	v_add_f32_e32 v12, v12, v17
	s_delay_alu instid0(VALU_DEP_1) | instskip(NEXT) | instid1(VALU_DEP_1)
	v_add_f32_e32 v17, v20, v12
	v_sub_f32_e32 v18, v20, v17
	v_mul_f32_e32 v20, v17, v17
	s_delay_alu instid0(VALU_DEP_2) | instskip(SKIP_1) | instid1(VALU_DEP_3)
	v_add_f32_e32 v12, v12, v18
	v_fmaak_f32 v18, s24, v17, 0x3c091de6
	v_fma_f32 v21, v17, v17, -v20
	s_delay_alu instid0(VALU_DEP_3) | instskip(NEXT) | instid1(VALU_DEP_3)
	v_add_f32_e32 v22, v12, v12
	v_fmaak_f32 v18, v17, v18, 0x3d2aadcc
	s_delay_alu instid0(VALU_DEP_2) | instskip(NEXT) | instid1(VALU_DEP_2)
	v_fmac_f32_e32 v21, v17, v22
	v_fmaak_f32 v18, v17, v18, 0x3e2aaa47
	s_delay_alu instid0(VALU_DEP_2) | instskip(NEXT) | instid1(VALU_DEP_2)
	v_add_f32_e32 v22, v20, v21
	v_fmaak_f32 v18, v17, v18, 0x3efffffc
	s_delay_alu instid0(VALU_DEP_2) | instskip(NEXT) | instid1(VALU_DEP_1)
	v_sub_f32_e32 v20, v22, v20
	v_dual_mul_f32 v23, v18, v22 :: v_dual_sub_f32 v20, v21, v20
	s_delay_alu instid0(VALU_DEP_1) | instskip(NEXT) | instid1(VALU_DEP_1)
	v_fma_f32 v21, v22, v18, -v23
	v_fmac_f32_e32 v21, v20, v18
	s_delay_alu instid0(VALU_DEP_1) | instskip(NEXT) | instid1(VALU_DEP_1)
	v_add_f32_e32 v18, v23, v21
	v_sub_f32_e32 v22, v18, v23
	v_add_f32_e32 v20, v17, v18
	s_delay_alu instid0(VALU_DEP_2) | instskip(NEXT) | instid1(VALU_DEP_2)
	v_sub_f32_e32 v21, v21, v22
	v_sub_f32_e32 v17, v20, v17
	s_delay_alu instid0(VALU_DEP_1) | instskip(NEXT) | instid1(VALU_DEP_3)
	v_sub_f32_e32 v17, v18, v17
	v_add_f32_e32 v12, v12, v21
	s_delay_alu instid0(VALU_DEP_1) | instskip(NEXT) | instid1(VALU_DEP_1)
	v_add_f32_e32 v12, v12, v17
	v_add_f32_e32 v17, v20, v12
	s_delay_alu instid0(VALU_DEP_1) | instskip(NEXT) | instid1(VALU_DEP_1)
	v_add_f32_e32 v18, 1.0, v17
	v_dual_sub_f32 v20, v17, v20 :: v_dual_add_f32 v21, -1.0, v18
	s_delay_alu instid0(VALU_DEP_1) | instskip(NEXT) | instid1(VALU_DEP_1)
	v_dual_sub_f32 v12, v12, v20 :: v_dual_sub_f32 v17, v17, v21
	v_add_f32_e32 v12, v12, v17
	v_cvt_i32_f32_e32 v17, v19
	s_delay_alu instid0(VALU_DEP_2) | instskip(NEXT) | instid1(VALU_DEP_1)
	v_add_f32_e32 v19, v18, v12
	v_ldexp_f32 v20, v19, v17
	s_delay_alu instid0(VALU_DEP_1) | instskip(SKIP_1) | instid1(VALU_DEP_1)
	v_rcp_f32_e32 v21, v20
	v_sub_f32_e32 v18, v19, v18
	v_sub_f32_e32 v12, v12, v18
	s_waitcnt_depctr 0xfff
	v_mul_f32_e32 v18, v20, v21
	v_ldexp_f32 v12, v12, v17
	s_delay_alu instid0(VALU_DEP_2) | instskip(NEXT) | instid1(VALU_DEP_1)
	v_fma_f32 v17, v21, v20, -v18
	v_fmac_f32_e32 v17, v21, v12
	s_delay_alu instid0(VALU_DEP_1) | instskip(NEXT) | instid1(VALU_DEP_1)
	v_add_f32_e32 v19, v18, v17
	v_sub_f32_e32 v22, 1.0, v19
	v_sub_f32_e32 v18, v19, v18
	s_delay_alu instid0(VALU_DEP_2) | instskip(NEXT) | instid1(VALU_DEP_1)
	v_sub_f32_e32 v23, 1.0, v22
	v_dual_sub_f32 v17, v18, v17 :: v_dual_sub_f32 v18, v23, v19
	s_delay_alu instid0(VALU_DEP_1) | instskip(NEXT) | instid1(VALU_DEP_1)
	v_add_f32_e32 v17, v17, v18
	v_add_f32_e32 v18, v22, v17
	s_delay_alu instid0(VALU_DEP_1) | instskip(NEXT) | instid1(VALU_DEP_1)
	v_mul_f32_e32 v19, v21, v18
	v_dual_sub_f32 v22, v22, v18 :: v_dual_mul_f32 v23, v20, v19
	s_delay_alu instid0(VALU_DEP_1) | instskip(NEXT) | instid1(VALU_DEP_2)
	v_add_f32_e32 v17, v17, v22
	v_fma_f32 v24, v19, v20, -v23
	s_delay_alu instid0(VALU_DEP_1) | instskip(NEXT) | instid1(VALU_DEP_1)
	v_fmac_f32_e32 v24, v19, v12
	v_add_f32_e32 v25, v23, v24
	s_delay_alu instid0(VALU_DEP_1) | instskip(SKIP_1) | instid1(VALU_DEP_2)
	v_sub_f32_e32 v26, v18, v25
	v_sub_f32_e32 v22, v25, v23
	;; [unrolled: 1-line block ×3, first 2 shown]
	s_delay_alu instid0(VALU_DEP_2) | instskip(NEXT) | instid1(VALU_DEP_2)
	v_sub_f32_e32 v22, v22, v24
	v_sub_f32_e32 v18, v18, v25
	s_delay_alu instid0(VALU_DEP_1) | instskip(NEXT) | instid1(VALU_DEP_1)
	v_add_f32_e32 v17, v17, v18
	v_dual_add_f32 v18, v21, v19 :: v_dual_add_f32 v17, v22, v17
	s_delay_alu instid0(VALU_DEP_1) | instskip(NEXT) | instid1(VALU_DEP_2)
	v_sub_f32_e32 v22, v18, v21
	v_add_f32_e32 v17, v26, v17
	s_delay_alu instid0(VALU_DEP_2) | instskip(NEXT) | instid1(VALU_DEP_2)
	v_sub_f32_e32 v19, v19, v22
	v_mul_f32_e32 v17, v21, v17
	s_delay_alu instid0(VALU_DEP_1) | instskip(NEXT) | instid1(VALU_DEP_1)
	v_add_f32_e32 v17, v19, v17
	v_add_f32_e32 v19, v18, v17
	s_delay_alu instid0(VALU_DEP_1) | instskip(SKIP_1) | instid1(VALU_DEP_1)
	v_ldexp_f32 v21, v19, -2
	v_sub_f32_e32 v18, v19, v18
	v_dual_sub_f32 v22, v20, v21 :: v_dual_sub_f32 v17, v17, v18
	s_delay_alu instid0(VALU_DEP_1) | instskip(NEXT) | instid1(VALU_DEP_2)
	v_sub_f32_e32 v19, v20, v22
	v_ldexp_f32 v17, v17, -2
	s_delay_alu instid0(VALU_DEP_2) | instskip(SKIP_1) | instid1(VALU_DEP_2)
	v_sub_f32_e32 v18, v19, v21
	v_xor_b32_e32 v19, 0x80000000, v9
	v_add_f32_e32 v12, v12, v18
	s_delay_alu instid0(VALU_DEP_1) | instskip(NEXT) | instid1(VALU_DEP_1)
	v_dual_sub_f32 v12, v12, v17 :: v_dual_mul_f32 v17, v6, v6
	v_add_f32_e32 v12, v22, v12
	s_delay_alu instid0(VALU_DEP_2) | instskip(NEXT) | instid1(VALU_DEP_2)
	v_fmaak_f32 v18, s23, v17, 0xbf039337
	v_cndmask_b32_e32 v12, 0x7f800000, v12, vcc_lo
	s_delay_alu instid0(VALU_DEP_2) | instskip(NEXT) | instid1(VALU_DEP_2)
	v_fmaak_f32 v18, v17, v18, 0x3f93f425
	v_cndmask_b32_e64 v12, v12, |v9|, s2
	s_delay_alu instid0(VALU_DEP_2) | instskip(NEXT) | instid1(VALU_DEP_1)
	v_rcp_f32_e32 v18, v18
	v_bfi_b32 v12, 0x7fffffff, v12, v19
	v_fmaak_f32 v19, s22, v17, 0x3ec54587
	s_delay_alu instid0(VALU_DEP_2) | instskip(SKIP_3) | instid1(VALU_DEP_2)
	v_fma_f32 v20, v12, v12, 1.0
	s_waitcnt_depctr 0xfff
	v_dual_mul_f32 v18, v19, v18 :: v_dual_mul_f32 v19, 0x4f800000, v20
	v_cmp_gt_f32_e32 vcc_lo, 0xf800000, v20
	v_dual_mul_f32 v17, v17, v18 :: v_dual_cndmask_b32 v18, v20, v19
	s_delay_alu instid0(VALU_DEP_1) | instskip(NEXT) | instid1(VALU_DEP_2)
	v_fma_f32 v19, v17, v6, v6
	v_sqrt_f32_e32 v20, v18
	s_delay_alu instid0(VALU_DEP_1) | instskip(SKIP_1) | instid1(VALU_DEP_1)
	v_rcp_f32_e32 v21, v19
	v_sub_f32_e32 v22, v19, v6
	v_fma_f32 v6, v17, v6, -v22
	s_waitcnt_depctr 0xfff
	v_add_nc_u32_e32 v23, -1, v20
	v_fma_f32 v17, v19, -v21, 1.0
	v_add_nc_u32_e32 v22, 1, v20
	s_delay_alu instid0(VALU_DEP_3) | instskip(NEXT) | instid1(VALU_DEP_3)
	v_fma_f32 v24, -v23, v20, v18
	v_fma_f32 v6, v6, -v21, v17
	s_delay_alu instid0(VALU_DEP_3) | instskip(NEXT) | instid1(VALU_DEP_3)
	v_fma_f32 v17, -v22, v20, v18
	v_cmp_ge_f32_e64 s2, 0, v24
	s_delay_alu instid0(VALU_DEP_3) | instskip(NEXT) | instid1(VALU_DEP_2)
	v_fma_f32 v6, v6, -v21, -v21
	v_cndmask_b32_e64 v20, v20, v23, s2
	s_delay_alu instid0(VALU_DEP_4) | instskip(NEXT) | instid1(VALU_DEP_1)
	v_cmp_lt_f32_e64 s2, 0, v17
	v_cndmask_b32_e64 v17, v20, v22, s2
	v_cmp_eq_u32_e64 s2, 0, v5
	s_delay_alu instid0(VALU_DEP_1) | instskip(NEXT) | instid1(VALU_DEP_3)
	v_cndmask_b32_e64 v5, v6, v19, s2
	v_mul_f32_e32 v6, 0x37800000, v17
	s_delay_alu instid0(VALU_DEP_2) | instskip(NEXT) | instid1(VALU_DEP_2)
	v_xor3_b32 v5, v7, v5, v8
	v_cndmask_b32_e32 v6, v17, v6, vcc_lo
	v_cmp_class_f32_e64 vcc_lo, v18, 0x260
	s_delay_alu instid0(VALU_DEP_3) | instskip(NEXT) | instid1(VALU_DEP_1)
	v_fma_f32 v7, v5, v5, 1.0
	v_dual_cndmask_b32 v6, v6, v18 :: v_dual_mul_f32 v17, v12, v7
	s_delay_alu instid0(VALU_DEP_1) | instskip(NEXT) | instid1(VALU_DEP_2)
	v_mul_f32_e32 v6, v6, v7
	v_fma_f32 v7, v12, v17, 1.0
	s_delay_alu instid0(VALU_DEP_2) | instskip(NEXT) | instid1(VALU_DEP_2)
	v_mul_f32_e32 v6, v12, v6
	v_div_scale_f32 v17, null, v7, v7, v5
	s_delay_alu instid0(VALU_DEP_2) | instskip(SKIP_1) | instid1(VALU_DEP_3)
	v_div_scale_f32 v12, null, v7, v7, v6
	v_div_scale_f32 v22, vcc_lo, v6, v7, v6
	v_rcp_f32_e32 v19, v17
	s_delay_alu instid0(VALU_DEP_2) | instskip(SKIP_3) | instid1(VALU_DEP_1)
	v_rcp_f32_e32 v18, v12
	s_waitcnt_depctr 0xfff
	v_fma_f32 v21, -v17, v19, 1.0
	v_fma_f32 v20, -v12, v18, 1.0
	v_dual_fmac_f32 v19, v21, v19 :: v_dual_fmac_f32 v18, v20, v18
	v_div_scale_f32 v20, s2, v5, v7, v5
	s_delay_alu instid0(VALU_DEP_2) | instskip(NEXT) | instid1(VALU_DEP_2)
	v_mul_f32_e32 v21, v22, v18
	v_mul_f32_e32 v23, v20, v19
	s_delay_alu instid0(VALU_DEP_2) | instskip(NEXT) | instid1(VALU_DEP_2)
	v_fma_f32 v24, -v12, v21, v22
	v_fma_f32 v25, -v17, v23, v20
	s_delay_alu instid0(VALU_DEP_2) | instskip(NEXT) | instid1(VALU_DEP_2)
	v_fmac_f32_e32 v21, v24, v18
	v_fmac_f32_e32 v23, v25, v19
	s_delay_alu instid0(VALU_DEP_2) | instskip(NEXT) | instid1(VALU_DEP_2)
	v_fma_f32 v12, -v12, v21, v22
	v_fma_f32 v17, -v17, v23, v20
	s_delay_alu instid0(VALU_DEP_2) | instskip(SKIP_1) | instid1(VALU_DEP_2)
	v_div_fmas_f32 v12, v12, v18, v21
	s_mov_b32 vcc_lo, s2
	v_div_fmas_f32 v17, v17, v19, v23
	s_delay_alu instid0(VALU_DEP_2) | instskip(NEXT) | instid1(VALU_DEP_2)
	v_div_fixup_f32 v6, v12, v7, v6
	v_div_fixup_f32 v5, v17, v7, v5
                                        ; implicit-def: $vgpr7
.LBB95_15:                              ;   in Loop: Header=BB95_7 Depth=1
	s_and_not1_saveexec_b32 s29, s29
	s_cbranch_execz .LBB95_18
; %bb.16:                               ;   in Loop: Header=BB95_7 Depth=1
	v_lshrrev_b32_e32 v5, 23, v7
	v_cmp_ngt_f32_e64 s30, 0x48000000, |v8|
	v_and_or_b32 v17, v7, s21, 0x800000
                                        ; implicit-def: $vgpr6
	s_delay_alu instid0(VALU_DEP_3) | instskip(NEXT) | instid1(VALU_DEP_3)
	v_add_nc_u32_e32 v18, 0xffffff88, v5
                                        ; implicit-def: $vgpr5
	s_and_saveexec_b32 s2, s30
	s_delay_alu instid0(SALU_CYCLE_1)
	s_xor_b32 s31, exec_lo, s2
	s_cbranch_execz .LBB95_19
; %bb.17:                               ;   in Loop: Header=BB95_7 Depth=1
	v_mad_u64_u32 v[5:6], null, 0xfe5163ab, v17, 0
	v_cmp_lt_u32_e32 vcc_lo, 63, v18
	s_delay_alu instid0(VALU_DEP_2) | instskip(SKIP_1) | instid1(VALU_DEP_2)
	v_mov_b32_e32 v12, v6
	v_cndmask_b32_e64 v6, 0, 0xffffffc0, vcc_lo
	v_mad_u64_u32 v[19:20], null, 0x3c439041, v17, v[12:13]
	s_delay_alu instid0(VALU_DEP_2) | instskip(NEXT) | instid1(VALU_DEP_1)
	v_add_nc_u32_e32 v6, v6, v18
	v_cmp_lt_u32_e64 s2, 31, v6
	s_delay_alu instid0(VALU_DEP_3) | instskip(NEXT) | instid1(VALU_DEP_2)
	v_mov_b32_e32 v12, v20
	v_cndmask_b32_e64 v25, 0, 0xffffffe0, s2
	s_delay_alu instid0(VALU_DEP_2) | instskip(NEXT) | instid1(VALU_DEP_2)
	v_mad_u64_u32 v[20:21], null, 0xdb629599, v17, v[12:13]
	v_add_nc_u32_e32 v6, v25, v6
	s_delay_alu instid0(VALU_DEP_2) | instskip(NEXT) | instid1(VALU_DEP_2)
	v_dual_mov_b32 v12, v21 :: v_dual_cndmask_b32 v5, v20, v5
	v_cmp_lt_u32_e64 s3, 31, v6
	s_delay_alu instid0(VALU_DEP_2) | instskip(NEXT) | instid1(VALU_DEP_1)
	v_mad_u64_u32 v[21:22], null, 0xf534ddc0, v17, v[12:13]
	v_mov_b32_e32 v12, v22
	s_delay_alu instid0(VALU_DEP_1) | instskip(NEXT) | instid1(VALU_DEP_1)
	v_mad_u64_u32 v[22:23], null, 0xfc2757d1, v17, v[12:13]
	v_mov_b32_e32 v12, v23
	s_delay_alu instid0(VALU_DEP_1) | instskip(NEXT) | instid1(VALU_DEP_1)
	v_mad_u64_u32 v[23:24], null, 0x4e441529, v17, v[12:13]
	v_mov_b32_e32 v12, v24
	s_delay_alu instid0(VALU_DEP_2) | instskip(NEXT) | instid1(VALU_DEP_2)
	v_cndmask_b32_e32 v26, v23, v21, vcc_lo
	v_mad_u64_u32 v[24:25], null, 0xa2f9836e, v17, v[12:13]
	v_cndmask_b32_e64 v12, 0, 0xffffffe0, s3
	s_delay_alu instid0(VALU_DEP_1) | instskip(NEXT) | instid1(VALU_DEP_3)
	v_add_nc_u32_e32 v6, v12, v6
	v_dual_cndmask_b32 v24, v24, v22 :: v_dual_cndmask_b32 v23, v25, v23
	v_cndmask_b32_e32 v22, v22, v20, vcc_lo
	v_cndmask_b32_e32 v12, v21, v19, vcc_lo
	s_delay_alu instid0(VALU_DEP_4) | instskip(NEXT) | instid1(VALU_DEP_4)
	v_cmp_eq_u32_e64 s4, 0, v6
	v_cndmask_b32_e64 v19, v24, v26, s2
	v_cndmask_b32_e64 v21, v23, v24, s2
	;; [unrolled: 1-line block ×3, first 2 shown]
	v_sub_nc_u32_e32 v24, 32, v6
	v_cndmask_b32_e64 v22, v22, v12, s2
	v_cndmask_b32_e64 v5, v12, v5, s2
	;; [unrolled: 1-line block ×4, first 2 shown]
	s_delay_alu instid0(VALU_DEP_4) | instskip(NEXT) | instid1(VALU_DEP_4)
	v_cndmask_b32_e64 v23, v23, v22, s3
	v_cndmask_b32_e64 v5, v22, v5, s3
	s_delay_alu instid0(VALU_DEP_3) | instskip(NEXT) | instid1(VALU_DEP_3)
	v_alignbit_b32 v25, v21, v19, v24
	v_alignbit_b32 v26, v19, v23, v24
	s_delay_alu instid0(VALU_DEP_3) | instskip(NEXT) | instid1(VALU_DEP_3)
	v_alignbit_b32 v24, v23, v5, v24
	v_cndmask_b32_e64 v6, v25, v21, s4
	s_delay_alu instid0(VALU_DEP_3) | instskip(NEXT) | instid1(VALU_DEP_3)
	v_cndmask_b32_e64 v19, v26, v19, s4
	v_cndmask_b32_e64 v23, v24, v23, s4
	s_delay_alu instid0(VALU_DEP_3) | instskip(NEXT) | instid1(VALU_DEP_3)
	v_bfe_u32 v20, v6, 29, 1
	v_alignbit_b32 v12, v6, v19, 30
	s_delay_alu instid0(VALU_DEP_3) | instskip(SKIP_1) | instid1(VALU_DEP_4)
	v_alignbit_b32 v19, v19, v23, 30
	v_alignbit_b32 v5, v23, v5, 30
	v_sub_nc_u32_e32 v21, 0, v20
	s_delay_alu instid0(VALU_DEP_1) | instskip(SKIP_3) | instid1(VALU_DEP_4)
	v_xor_b32_e32 v22, v12, v21
	v_cmp_ne_u32_e32 vcc_lo, v12, v21
	v_xor_b32_e32 v19, v19, v21
	v_xor_b32_e32 v5, v5, v21
	v_clz_i32_u32_e32 v25, v22
	s_delay_alu instid0(VALU_DEP_1) | instskip(NEXT) | instid1(VALU_DEP_1)
	v_add_nc_u32_e32 v24, 1, v25
	v_cndmask_b32_e32 v12, 33, v24, vcc_lo
	s_delay_alu instid0(VALU_DEP_1) | instskip(NEXT) | instid1(VALU_DEP_1)
	v_sub_nc_u32_e32 v23, 32, v12
	v_alignbit_b32 v21, v22, v19, v23
	v_alignbit_b32 v5, v19, v5, v23
	v_lshrrev_b32_e32 v19, 29, v6
	v_lshrrev_b32_e32 v6, 30, v6
	s_delay_alu instid0(VALU_DEP_3) | instskip(NEXT) | instid1(VALU_DEP_3)
	v_alignbit_b32 v22, v21, v5, 9
	v_lshlrev_b32_e32 v19, 31, v19
	v_alignbit_b32 v21, v12, v21, 9
	s_delay_alu instid0(VALU_DEP_4) | instskip(NEXT) | instid1(VALU_DEP_4)
	v_add_nc_u32_e32 v6, v20, v6
	v_clz_i32_u32_e32 v23, v22
	s_delay_alu instid0(VALU_DEP_3) | instskip(SKIP_1) | instid1(VALU_DEP_3)
	v_or_b32_e32 v21, v21, v19
	v_or_b32_e32 v19, 0x33800000, v19
	v_min_u32_e32 v23, 32, v23
	s_delay_alu instid0(VALU_DEP_3) | instskip(NEXT) | instid1(VALU_DEP_2)
	v_xor_b32_e32 v21, 1.0, v21
	v_sub_nc_u32_e32 v24, 31, v23
	v_add_lshl_u32 v12, v23, v12, 23
	s_delay_alu instid0(VALU_DEP_3) | instskip(NEXT) | instid1(VALU_DEP_3)
	v_mul_f32_e32 v23, 0x3fc90fda, v21
	v_alignbit_b32 v5, v22, v5, v24
	s_delay_alu instid0(VALU_DEP_3) | instskip(NEXT) | instid1(VALU_DEP_3)
	v_sub_nc_u32_e32 v12, v19, v12
	v_fma_f32 v19, 0x3fc90fda, v21, -v23
	s_delay_alu instid0(VALU_DEP_3) | instskip(NEXT) | instid1(VALU_DEP_2)
	v_lshrrev_b32_e32 v5, 9, v5
	v_fmac_f32_e32 v19, 0x33a22168, v21
	s_delay_alu instid0(VALU_DEP_2) | instskip(NEXT) | instid1(VALU_DEP_1)
	v_or_b32_e32 v5, v12, v5
	v_fmac_f32_e32 v19, 0x3fc90fda, v5
	s_delay_alu instid0(VALU_DEP_1)
	v_add_f32_e32 v5, v23, v19
	s_and_not1_saveexec_b32 s2, s31
	s_branch .LBB95_20
.LBB95_18:                              ;   in Loop: Header=BB95_7 Depth=1
	s_or_b32 exec_lo, exec_lo, s29
	s_and_not1_saveexec_b32 s2, s28
	s_cbranch_execnz .LBB95_27
	s_branch .LBB95_28
.LBB95_19:                              ;   in Loop: Header=BB95_7 Depth=1
	s_and_not1_saveexec_b32 s2, s31
.LBB95_20:                              ;   in Loop: Header=BB95_7 Depth=1
	v_mul_f32_e64 v5, 0x3f22f983, |v8|
	s_delay_alu instid0(VALU_DEP_1) | instskip(NEXT) | instid1(VALU_DEP_1)
	v_rndne_f32_e32 v6, v5
	v_fma_f32 v5, 0xbfc90fda, v6, |v8|
	s_delay_alu instid0(VALU_DEP_1) | instskip(NEXT) | instid1(VALU_DEP_1)
	v_fmac_f32_e32 v5, 0xb3a22168, v6
	v_fmac_f32_e32 v5, 0xa7c234c4, v6
	v_cvt_i32_f32_e32 v6, v6
; %bb.21:                               ;   in Loop: Header=BB95_7 Depth=1
	s_or_b32 exec_lo, exec_lo, s2
                                        ; implicit-def: $vgpr19
                                        ; implicit-def: $vgpr12
	s_and_saveexec_b32 s2, s30
	s_delay_alu instid0(SALU_CYCLE_1)
	s_xor_b32 s30, exec_lo, s2
	s_cbranch_execz .LBB95_23
; %bb.22:                               ;   in Loop: Header=BB95_7 Depth=1
	v_mad_u64_u32 v[19:20], null, 0xfe5163ab, v17, 0
	v_cmp_lt_u32_e32 vcc_lo, 63, v18
	v_cndmask_b32_e64 v25, 0, 0xffffffc0, vcc_lo
	s_delay_alu instid0(VALU_DEP_3) | instskip(NEXT) | instid1(VALU_DEP_2)
	v_mov_b32_e32 v12, v20
	v_add_nc_u32_e32 v18, v25, v18
	s_delay_alu instid0(VALU_DEP_2) | instskip(NEXT) | instid1(VALU_DEP_2)
	v_mad_u64_u32 v[20:21], null, 0x3c439041, v17, v[12:13]
	v_cmp_lt_u32_e64 s2, 31, v18
	s_delay_alu instid0(VALU_DEP_2) | instskip(NEXT) | instid1(VALU_DEP_2)
	v_mov_b32_e32 v12, v21
	v_cndmask_b32_e64 v26, 0, 0xffffffe0, s2
	s_delay_alu instid0(VALU_DEP_2) | instskip(NEXT) | instid1(VALU_DEP_2)
	v_mad_u64_u32 v[21:22], null, 0xdb629599, v17, v[12:13]
	v_add_nc_u32_e32 v18, v26, v18
	s_delay_alu instid0(VALU_DEP_1) | instskip(NEXT) | instid1(VALU_DEP_3)
	v_cmp_lt_u32_e64 s3, 31, v18
	v_dual_mov_b32 v12, v22 :: v_dual_cndmask_b32 v19, v21, v19
	s_delay_alu instid0(VALU_DEP_1) | instskip(NEXT) | instid1(VALU_DEP_1)
	v_mad_u64_u32 v[22:23], null, 0xf534ddc0, v17, v[12:13]
	v_mov_b32_e32 v12, v23
	s_delay_alu instid0(VALU_DEP_1) | instskip(NEXT) | instid1(VALU_DEP_1)
	v_mad_u64_u32 v[23:24], null, 0xfc2757d1, v17, v[12:13]
	v_mov_b32_e32 v12, v24
	;; [unrolled: 3-line block ×3, first 2 shown]
	s_delay_alu instid0(VALU_DEP_1) | instskip(SKIP_1) | instid1(VALU_DEP_4)
	v_mad_u64_u32 v[25:26], null, 0xa2f9836e, v17, v[12:13]
	v_cndmask_b32_e64 v12, 0, 0xffffffe0, s3
	v_cndmask_b32_e32 v17, v24, v22, vcc_lo
	s_delay_alu instid0(VALU_DEP_2) | instskip(NEXT) | instid1(VALU_DEP_4)
	v_dual_cndmask_b32 v25, v25, v23 :: v_dual_add_nc_u32 v12, v12, v18
	v_dual_cndmask_b32 v24, v26, v24 :: v_dual_cndmask_b32 v23, v23, v21
	v_cndmask_b32_e32 v18, v22, v20, vcc_lo
	s_delay_alu instid0(VALU_DEP_3) | instskip(NEXT) | instid1(VALU_DEP_4)
	v_cmp_eq_u32_e64 s4, 0, v12
	v_cndmask_b32_e64 v20, v25, v17, s2
	s_delay_alu instid0(VALU_DEP_4)
	v_cndmask_b32_e64 v22, v24, v25, s2
	v_cndmask_b32_e64 v17, v17, v23, s2
	v_sub_nc_u32_e32 v24, 32, v12
	v_cndmask_b32_e64 v23, v23, v18, s2
	v_cndmask_b32_e64 v18, v18, v19, s2
	;; [unrolled: 1-line block ×4, first 2 shown]
	s_delay_alu instid0(VALU_DEP_4) | instskip(NEXT) | instid1(VALU_DEP_4)
	v_cndmask_b32_e64 v17, v17, v23, s3
	v_cndmask_b32_e64 v18, v23, v18, s3
	s_delay_alu instid0(VALU_DEP_3) | instskip(NEXT) | instid1(VALU_DEP_3)
	v_alignbit_b32 v25, v22, v20, v24
	v_alignbit_b32 v26, v20, v17, v24
	s_delay_alu instid0(VALU_DEP_3) | instskip(NEXT) | instid1(VALU_DEP_3)
	v_alignbit_b32 v24, v17, v18, v24
	v_cndmask_b32_e64 v12, v25, v22, s4
	s_delay_alu instid0(VALU_DEP_3) | instskip(NEXT) | instid1(VALU_DEP_3)
	v_cndmask_b32_e64 v20, v26, v20, s4
	v_cndmask_b32_e64 v17, v24, v17, s4
	s_delay_alu instid0(VALU_DEP_3) | instskip(NEXT) | instid1(VALU_DEP_3)
	v_bfe_u32 v21, v12, 29, 1
	v_alignbit_b32 v19, v12, v20, 30
	s_delay_alu instid0(VALU_DEP_3) | instskip(SKIP_1) | instid1(VALU_DEP_4)
	v_alignbit_b32 v20, v20, v17, 30
	v_alignbit_b32 v17, v17, v18, 30
	v_sub_nc_u32_e32 v22, 0, v21
	s_delay_alu instid0(VALU_DEP_1) | instskip(SKIP_3) | instid1(VALU_DEP_4)
	v_xor_b32_e32 v23, v19, v22
	v_cmp_ne_u32_e32 vcc_lo, v19, v22
	v_xor_b32_e32 v18, v20, v22
	v_xor_b32_e32 v17, v17, v22
	v_clz_i32_u32_e32 v25, v23
	s_delay_alu instid0(VALU_DEP_1) | instskip(NEXT) | instid1(VALU_DEP_1)
	v_add_nc_u32_e32 v24, 1, v25
	v_cndmask_b32_e32 v19, 33, v24, vcc_lo
	s_delay_alu instid0(VALU_DEP_1) | instskip(NEXT) | instid1(VALU_DEP_1)
	v_sub_nc_u32_e32 v20, 32, v19
	v_alignbit_b32 v22, v23, v18, v20
	v_alignbit_b32 v17, v18, v17, v20
	v_lshrrev_b32_e32 v18, 29, v12
	s_delay_alu instid0(VALU_DEP_2) | instskip(NEXT) | instid1(VALU_DEP_2)
	v_alignbit_b32 v20, v22, v17, 9
	v_lshlrev_b32_e32 v18, 31, v18
	v_alignbit_b32 v22, v19, v22, 9
	s_delay_alu instid0(VALU_DEP_3) | instskip(NEXT) | instid1(VALU_DEP_2)
	v_clz_i32_u32_e32 v23, v20
	v_or_b32_e32 v22, v22, v18
	v_or_b32_e32 v18, 0x33800000, v18
	s_delay_alu instid0(VALU_DEP_3) | instskip(NEXT) | instid1(VALU_DEP_3)
	v_min_u32_e32 v23, 32, v23
	v_xor_b32_e32 v22, 1.0, v22
	s_delay_alu instid0(VALU_DEP_2) | instskip(SKIP_1) | instid1(VALU_DEP_3)
	v_sub_nc_u32_e32 v24, 31, v23
	v_add_lshl_u32 v19, v23, v19, 23
	v_mul_f32_e32 v23, 0x3fc90fda, v22
	s_delay_alu instid0(VALU_DEP_3) | instskip(NEXT) | instid1(VALU_DEP_3)
	v_alignbit_b32 v17, v20, v17, v24
	v_sub_nc_u32_e32 v18, v18, v19
	s_delay_alu instid0(VALU_DEP_3) | instskip(NEXT) | instid1(VALU_DEP_3)
	v_fma_f32 v19, 0x3fc90fda, v22, -v23
	v_lshrrev_b32_e32 v17, 9, v17
	s_delay_alu instid0(VALU_DEP_2) | instskip(NEXT) | instid1(VALU_DEP_2)
	v_fmac_f32_e32 v19, 0x33a22168, v22
	v_or_b32_e32 v17, v18, v17
	s_delay_alu instid0(VALU_DEP_1) | instskip(SKIP_1) | instid1(VALU_DEP_1)
	v_fmac_f32_e32 v19, 0x3fc90fda, v17
	v_lshrrev_b32_e32 v17, 30, v12
	v_dual_add_f32 v12, v23, v19 :: v_dual_add_nc_u32 v19, v21, v17
	s_and_not1_saveexec_b32 s2, s30
	s_cbranch_execnz .LBB95_24
	s_branch .LBB95_25
.LBB95_23:                              ;   in Loop: Header=BB95_7 Depth=1
	s_and_not1_saveexec_b32 s2, s30
.LBB95_24:                              ;   in Loop: Header=BB95_7 Depth=1
	v_mul_f32_e64 v12, 0x3f22f983, |v8|
	s_delay_alu instid0(VALU_DEP_1) | instskip(NEXT) | instid1(VALU_DEP_1)
	v_rndne_f32_e32 v17, v12
	v_fma_f32 v12, 0xbfc90fda, v17, |v8|
	v_cvt_i32_f32_e32 v19, v17
	s_delay_alu instid0(VALU_DEP_2) | instskip(NEXT) | instid1(VALU_DEP_1)
	v_fmac_f32_e32 v12, 0xb3a22168, v17
	v_fmac_f32_e32 v12, 0xa7c234c4, v17
.LBB95_25:                              ;   in Loop: Header=BB95_7 Depth=1
	s_or_b32 exec_lo, exec_lo, s2
	v_dual_mul_f32 v17, v5, v5 :: v_dual_and_b32 v18, 1, v6
	v_mul_f32_e64 v20, 0xbfb8aa3b, |v9|
	s_delay_alu instid0(VALU_DEP_3) | instskip(NEXT) | instid1(VALU_DEP_3)
	v_dual_mul_f32 v23, v12, v12 :: v_dual_lshlrev_b32 v6, 30, v6
	v_fmaak_f32 v21, s25, v17, 0x3c0881c4
	v_fmaak_f32 v22, s26, v17, 0xbab64f3b
	s_delay_alu instid0(VALU_DEP_4) | instskip(SKIP_3) | instid1(VALU_DEP_4)
	v_rndne_f32_e32 v24, v20
	v_fma_f32 v25, 0xbfb8aa3b, |v9|, -v20
	v_cmp_eq_u32_e32 vcc_lo, 0, v18
	v_dual_fmaak_f32 v21, v17, v21, 0xbe2aaa9d :: v_dual_and_b32 v18, 1, v19
	v_sub_f32_e32 v20, v20, v24
	s_delay_alu instid0(VALU_DEP_4) | instskip(NEXT) | instid1(VALU_DEP_3)
	v_fma_f32 v25, 0xb2a5705f, |v9|, v25
	v_dual_fmaak_f32 v26, s25, v23, 0x3c0881c4 :: v_dual_mul_f32 v21, v17, v21
	v_fmaak_f32 v27, s26, v23, 0xbab64f3b
	s_delay_alu instid0(VALU_DEP_3) | instskip(SKIP_1) | instid1(VALU_DEP_4)
	v_dual_add_f32 v20, v20, v25 :: v_dual_lshlrev_b32 v19, 30, v19
	v_fmaak_f32 v22, v17, v22, 0x3d2aabf7
	v_dual_fmaak_f32 v26, v23, v26, 0xbe2aaa9d :: v_dual_fmac_f32 v5, v5, v21
	s_delay_alu instid0(VALU_DEP_4) | instskip(NEXT) | instid1(VALU_DEP_4)
	v_fmaak_f32 v21, v23, v27, 0x3d2aabf7
	v_exp_f32_e32 v20, v20
	s_delay_alu instid0(VALU_DEP_3) | instskip(NEXT) | instid1(VALU_DEP_1)
	v_fmaak_f32 v22, v17, v22, 0xbf000004
	v_fma_f32 v17, v17, v22, 1.0
	v_and_b32_e32 v6, 0x80000000, v6
	s_delay_alu instid0(VALU_DEP_2) | instskip(SKIP_1) | instid1(VALU_DEP_3)
	v_dual_mul_f32 v22, v23, v26 :: v_dual_cndmask_b32 v5, v17, v5
	v_fmaak_f32 v17, v23, v21, 0xbf000004
	v_xor_b32_e32 v6, v7, v6
	v_cvt_i32_f32_e32 v7, v24
	v_cmp_eq_u32_e32 vcc_lo, 0, v18
	s_delay_alu instid0(VALU_DEP_4) | instskip(NEXT) | instid1(VALU_DEP_4)
	v_fma_f32 v17, v23, v17, 1.0
	v_xor3_b32 v5, v6, v5, v8
	v_fmac_f32_e32 v12, v12, v22
	v_ldexp_f32 v6, v20, v7
	s_delay_alu instid0(VALU_DEP_3) | instskip(NEXT) | instid1(VALU_DEP_3)
	v_mul_f32_e32 v5, 4.0, v5
	v_cndmask_b32_e64 v7, -v12, v17, vcc_lo
	v_and_b32_e32 v12, 0x80000000, v19
	v_cmp_nlt_f32_e64 vcc_lo, 0x42ce8ed0, |v9|
	s_delay_alu instid0(VALU_DEP_2) | instskip(SKIP_2) | instid1(VALU_DEP_2)
	v_xor_b32_e32 v7, v12, v7
	v_cndmask_b32_e32 v6, 0, v6, vcc_lo
	v_cmp_ngt_f32_e64 vcc_lo, 0xc2b17218, |v9|
	v_dual_mul_f32 v5, v5, v7 :: v_dual_cndmask_b32 v12, 0x7f800000, v6
	v_xor_b32_e32 v6, 0x80000000, v9
	s_delay_alu instid0(VALU_DEP_2) | instskip(NEXT) | instid1(VALU_DEP_2)
	v_mul_f32_e32 v5, v12, v5
	v_bfi_b32 v6, 0x7fffffff, 1.0, v6
	s_delay_alu instid0(VALU_DEP_2)
	v_mul_f32_e32 v5, v12, v5
	s_or_b32 exec_lo, exec_lo, s29
.LBB95_26:                              ;   in Loop: Header=BB95_7 Depth=1
	s_and_not1_saveexec_b32 s2, s28
.LBB95_27:                              ;   in Loop: Header=BB95_7 Depth=1
	v_sub_f32_e32 v5, v8, v8
	s_delay_alu instid0(VALU_DEP_1)
	v_mov_b32_e32 v6, v5
.LBB95_28:                              ;   in Loop: Header=BB95_7 Depth=1
	s_or_b32 exec_lo, exec_lo, s2
.LBB95_29:                              ;   in Loop: Header=BB95_7 Depth=1
	s_and_not1_saveexec_b32 s27, s27
	s_cbranch_execz .LBB95_45
; %bb.30:                               ;   in Loop: Header=BB95_7 Depth=1
	v_xor_b32_e32 v6, 0x80000000, v9
	s_delay_alu instid0(VALU_DEP_1) | instskip(NEXT) | instid1(VALU_DEP_1)
	v_and_b32_e32 v5, 0x7fffff, v6
	v_cmp_ne_u32_e32 vcc_lo, 0, v5
                                        ; implicit-def: $vgpr5
	s_and_saveexec_b32 s2, vcc_lo
	s_delay_alu instid0(SALU_CYCLE_1)
	s_xor_b32 s2, exec_lo, s2
; %bb.31:                               ;   in Loop: Header=BB95_7 Depth=1
	v_mul_f32_e64 v5, v8, -v9
	v_cmp_eq_f32_e32 vcc_lo, 0, v8
	s_delay_alu instid0(VALU_DEP_2)
	v_cndmask_b32_e32 v5, v5, v8, vcc_lo
; %bb.32:                               ;   in Loop: Header=BB95_7 Depth=1
	s_and_not1_saveexec_b32 s28, s2
	s_cbranch_execz .LBB95_44
; %bb.33:                               ;   in Loop: Header=BB95_7 Depth=1
	s_mov_b32 s29, exec_lo
	v_cmpx_neq_f32_e64 0x7f800000, |v8|
	s_cbranch_execz .LBB95_43
; %bb.34:                               ;   in Loop: Header=BB95_7 Depth=1
	v_and_b32_e32 v5, 0x7fffffff, v8
	v_cmp_ngt_f32_e64 s30, 0x48000000, |v8|
                                        ; implicit-def: $vgpr9
	s_delay_alu instid0(VALU_DEP_2) | instskip(SKIP_1) | instid1(VALU_DEP_2)
	v_lshrrev_b32_e32 v7, 23, v5
	v_and_or_b32 v17, v5, s21, 0x800000
	v_add_nc_u32_e32 v18, 0xffffff88, v7
                                        ; implicit-def: $vgpr7
	s_delay_alu instid0(VALU_DEP_4) | instskip(NEXT) | instid1(SALU_CYCLE_1)
	s_and_saveexec_b32 s2, s30
	s_xor_b32 s31, exec_lo, s2
	s_cbranch_execz .LBB95_36
; %bb.35:                               ;   in Loop: Header=BB95_7 Depth=1
	v_mad_u64_u32 v[19:20], null, 0xfe5163ab, v17, 0
	v_cmp_lt_u32_e32 vcc_lo, 63, v18
	v_cndmask_b32_e64 v7, 0, 0xffffffc0, vcc_lo
	s_delay_alu instid0(VALU_DEP_1) | instskip(NEXT) | instid1(VALU_DEP_1)
	v_dual_mov_b32 v12, v20 :: v_dual_add_nc_u32 v7, v7, v18
	v_mad_u64_u32 v[20:21], null, 0x3c439041, v17, v[12:13]
	s_delay_alu instid0(VALU_DEP_2) | instskip(NEXT) | instid1(VALU_DEP_2)
	v_cmp_lt_u32_e64 s2, 31, v7
	v_mov_b32_e32 v12, v21
	s_delay_alu instid0(VALU_DEP_2) | instskip(NEXT) | instid1(VALU_DEP_2)
	v_cndmask_b32_e64 v9, 0, 0xffffffe0, s2
	v_mad_u64_u32 v[21:22], null, 0xdb629599, v17, v[12:13]
	s_delay_alu instid0(VALU_DEP_2) | instskip(NEXT) | instid1(VALU_DEP_1)
	v_add_nc_u32_e32 v7, v9, v7
	v_cmp_lt_u32_e64 s3, 31, v7
	s_delay_alu instid0(VALU_DEP_3) | instskip(NEXT) | instid1(VALU_DEP_2)
	v_dual_mov_b32 v12, v22 :: v_dual_cndmask_b32 v19, v21, v19
	v_cndmask_b32_e64 v9, 0, 0xffffffe0, s3
	s_delay_alu instid0(VALU_DEP_2) | instskip(NEXT) | instid1(VALU_DEP_1)
	v_mad_u64_u32 v[22:23], null, 0xf534ddc0, v17, v[12:13]
	v_dual_mov_b32 v12, v23 :: v_dual_add_nc_u32 v7, v9, v7
	s_delay_alu instid0(VALU_DEP_2) | instskip(NEXT) | instid1(VALU_DEP_2)
	v_cndmask_b32_e32 v9, v22, v20, vcc_lo
	v_cmp_eq_u32_e64 s4, 0, v7
	s_delay_alu instid0(VALU_DEP_3) | instskip(NEXT) | instid1(VALU_DEP_1)
	v_mad_u64_u32 v[23:24], null, 0xfc2757d1, v17, v[12:13]
	v_mov_b32_e32 v12, v24
	s_delay_alu instid0(VALU_DEP_1) | instskip(NEXT) | instid1(VALU_DEP_1)
	v_mad_u64_u32 v[24:25], null, 0x4e441529, v17, v[12:13]
	v_mov_b32_e32 v12, v25
	s_delay_alu instid0(VALU_DEP_1) | instskip(NEXT) | instid1(VALU_DEP_1)
	v_mad_u64_u32 v[25:26], null, 0xa2f9836e, v17, v[12:13]
	v_dual_cndmask_b32 v12, v24, v22 :: v_dual_cndmask_b32 v25, v25, v23
	s_delay_alu instid0(VALU_DEP_2) | instskip(NEXT) | instid1(VALU_DEP_2)
	v_dual_cndmask_b32 v24, v26, v24 :: v_dual_cndmask_b32 v23, v23, v21
	v_cndmask_b32_e64 v20, v25, v12, s2
	s_delay_alu instid0(VALU_DEP_2) | instskip(NEXT) | instid1(VALU_DEP_3)
	v_cndmask_b32_e64 v22, v24, v25, s2
	v_cndmask_b32_e64 v12, v12, v23, s2
	v_sub_nc_u32_e32 v24, 32, v7
	v_cndmask_b32_e64 v23, v23, v9, s2
	v_cndmask_b32_e64 v9, v9, v19, s2
	;; [unrolled: 1-line block ×4, first 2 shown]
	s_delay_alu instid0(VALU_DEP_4) | instskip(NEXT) | instid1(VALU_DEP_4)
	v_cndmask_b32_e64 v12, v12, v23, s3
	v_cndmask_b32_e64 v9, v23, v9, s3
	s_delay_alu instid0(VALU_DEP_3) | instskip(NEXT) | instid1(VALU_DEP_3)
	v_alignbit_b32 v25, v22, v20, v24
	v_alignbit_b32 v26, v20, v12, v24
	s_delay_alu instid0(VALU_DEP_3) | instskip(NEXT) | instid1(VALU_DEP_3)
	v_alignbit_b32 v24, v12, v9, v24
	v_cndmask_b32_e64 v7, v25, v22, s4
	s_delay_alu instid0(VALU_DEP_3) | instskip(NEXT) | instid1(VALU_DEP_3)
	v_cndmask_b32_e64 v20, v26, v20, s4
	v_cndmask_b32_e64 v12, v24, v12, s4
	s_delay_alu instid0(VALU_DEP_3) | instskip(NEXT) | instid1(VALU_DEP_3)
	v_bfe_u32 v21, v7, 29, 1
	v_alignbit_b32 v19, v7, v20, 30
	s_delay_alu instid0(VALU_DEP_3) | instskip(SKIP_1) | instid1(VALU_DEP_4)
	v_alignbit_b32 v20, v20, v12, 30
	v_alignbit_b32 v9, v12, v9, 30
	v_sub_nc_u32_e32 v22, 0, v21
	s_delay_alu instid0(VALU_DEP_1) | instskip(SKIP_3) | instid1(VALU_DEP_4)
	v_xor_b32_e32 v23, v19, v22
	v_cmp_ne_u32_e32 vcc_lo, v19, v22
	v_xor_b32_e32 v12, v20, v22
	v_xor_b32_e32 v9, v9, v22
	v_clz_i32_u32_e32 v25, v23
	s_delay_alu instid0(VALU_DEP_1) | instskip(NEXT) | instid1(VALU_DEP_1)
	v_add_nc_u32_e32 v24, 1, v25
	v_cndmask_b32_e32 v19, 33, v24, vcc_lo
	s_delay_alu instid0(VALU_DEP_1) | instskip(NEXT) | instid1(VALU_DEP_1)
	v_sub_nc_u32_e32 v20, 32, v19
	v_alignbit_b32 v22, v23, v12, v20
	v_alignbit_b32 v9, v12, v9, v20
	v_lshrrev_b32_e32 v12, 29, v7
	s_delay_alu instid0(VALU_DEP_2) | instskip(NEXT) | instid1(VALU_DEP_2)
	v_alignbit_b32 v20, v22, v9, 9
	v_lshlrev_b32_e32 v12, 31, v12
	v_alignbit_b32 v22, v19, v22, 9
	s_delay_alu instid0(VALU_DEP_3) | instskip(NEXT) | instid1(VALU_DEP_2)
	v_clz_i32_u32_e32 v23, v20
	v_or_b32_e32 v22, v22, v12
	v_or_b32_e32 v12, 0x33800000, v12
	s_delay_alu instid0(VALU_DEP_3) | instskip(NEXT) | instid1(VALU_DEP_3)
	v_min_u32_e32 v23, 32, v23
	v_xor_b32_e32 v22, 1.0, v22
	s_delay_alu instid0(VALU_DEP_2) | instskip(SKIP_1) | instid1(VALU_DEP_3)
	v_sub_nc_u32_e32 v24, 31, v23
	v_add_lshl_u32 v19, v23, v19, 23
	v_mul_f32_e32 v23, 0x3fc90fda, v22
	s_delay_alu instid0(VALU_DEP_3) | instskip(NEXT) | instid1(VALU_DEP_3)
	v_alignbit_b32 v9, v20, v9, v24
	v_sub_nc_u32_e32 v12, v12, v19
	s_delay_alu instid0(VALU_DEP_3) | instskip(NEXT) | instid1(VALU_DEP_3)
	v_fma_f32 v19, 0x3fc90fda, v22, -v23
	v_lshrrev_b32_e32 v9, 9, v9
	s_delay_alu instid0(VALU_DEP_2) | instskip(NEXT) | instid1(VALU_DEP_2)
	v_fmac_f32_e32 v19, 0x33a22168, v22
	v_or_b32_e32 v9, v12, v9
	s_delay_alu instid0(VALU_DEP_1) | instskip(SKIP_1) | instid1(VALU_DEP_2)
	v_fmac_f32_e32 v19, 0x3fc90fda, v9
	v_lshrrev_b32_e32 v9, 30, v7
	v_add_f32_e32 v7, v23, v19
	s_delay_alu instid0(VALU_DEP_2)
	v_add_nc_u32_e32 v9, v21, v9
.LBB95_36:                              ;   in Loop: Header=BB95_7 Depth=1
	s_or_saveexec_b32 s2, s31
	v_mul_f32_e64 v12, 0x3f22f983, |v8|
	s_delay_alu instid0(VALU_DEP_1)
	v_rndne_f32_e32 v20, v12
	s_xor_b32 exec_lo, exec_lo, s2
; %bb.37:                               ;   in Loop: Header=BB95_7 Depth=1
	s_delay_alu instid0(VALU_DEP_1) | instskip(SKIP_1) | instid1(VALU_DEP_2)
	v_fma_f32 v7, 0xbfc90fda, v20, |v8|
	v_cvt_i32_f32_e32 v9, v20
	v_fmac_f32_e32 v7, 0xb3a22168, v20
	s_delay_alu instid0(VALU_DEP_1)
	v_fmac_f32_e32 v7, 0xa7c234c4, v20
; %bb.38:                               ;   in Loop: Header=BB95_7 Depth=1
	s_or_b32 exec_lo, exec_lo, s2
                                        ; implicit-def: $vgpr19
                                        ; implicit-def: $vgpr12
	s_and_saveexec_b32 s2, s30
	s_delay_alu instid0(SALU_CYCLE_1)
	s_xor_b32 s30, exec_lo, s2
	s_cbranch_execz .LBB95_40
; %bb.39:                               ;   in Loop: Header=BB95_7 Depth=1
	v_mad_u64_u32 v[19:20], null, 0xfe5163ab, v17, 0
	v_cmp_lt_u32_e32 vcc_lo, 63, v18
	v_cndmask_b32_e64 v25, 0, 0xffffffc0, vcc_lo
	s_delay_alu instid0(VALU_DEP_3) | instskip(NEXT) | instid1(VALU_DEP_2)
	v_mov_b32_e32 v12, v20
	v_add_nc_u32_e32 v18, v25, v18
	s_delay_alu instid0(VALU_DEP_2) | instskip(NEXT) | instid1(VALU_DEP_2)
	v_mad_u64_u32 v[20:21], null, 0x3c439041, v17, v[12:13]
	v_cmp_lt_u32_e64 s2, 31, v18
	s_delay_alu instid0(VALU_DEP_2) | instskip(NEXT) | instid1(VALU_DEP_2)
	v_mov_b32_e32 v12, v21
	v_cndmask_b32_e64 v26, 0, 0xffffffe0, s2
	s_delay_alu instid0(VALU_DEP_2) | instskip(NEXT) | instid1(VALU_DEP_2)
	v_mad_u64_u32 v[21:22], null, 0xdb629599, v17, v[12:13]
	v_add_nc_u32_e32 v18, v26, v18
	s_delay_alu instid0(VALU_DEP_1) | instskip(NEXT) | instid1(VALU_DEP_3)
	v_cmp_lt_u32_e64 s3, 31, v18
	v_dual_mov_b32 v12, v22 :: v_dual_cndmask_b32 v19, v21, v19
	s_delay_alu instid0(VALU_DEP_1) | instskip(NEXT) | instid1(VALU_DEP_1)
	v_mad_u64_u32 v[22:23], null, 0xf534ddc0, v17, v[12:13]
	v_mov_b32_e32 v12, v23
	s_delay_alu instid0(VALU_DEP_1) | instskip(NEXT) | instid1(VALU_DEP_1)
	v_mad_u64_u32 v[23:24], null, 0xfc2757d1, v17, v[12:13]
	v_mov_b32_e32 v12, v24
	;; [unrolled: 3-line block ×3, first 2 shown]
	s_delay_alu instid0(VALU_DEP_1) | instskip(SKIP_1) | instid1(VALU_DEP_4)
	v_mad_u64_u32 v[25:26], null, 0xa2f9836e, v17, v[12:13]
	v_cndmask_b32_e64 v12, 0, 0xffffffe0, s3
	v_cndmask_b32_e32 v17, v24, v22, vcc_lo
	s_delay_alu instid0(VALU_DEP_2) | instskip(NEXT) | instid1(VALU_DEP_4)
	v_dual_cndmask_b32 v25, v25, v23 :: v_dual_add_nc_u32 v12, v12, v18
	v_dual_cndmask_b32 v24, v26, v24 :: v_dual_cndmask_b32 v23, v23, v21
	v_cndmask_b32_e32 v18, v22, v20, vcc_lo
	s_delay_alu instid0(VALU_DEP_3) | instskip(NEXT) | instid1(VALU_DEP_4)
	v_cmp_eq_u32_e64 s4, 0, v12
	v_cndmask_b32_e64 v20, v25, v17, s2
	s_delay_alu instid0(VALU_DEP_4)
	v_cndmask_b32_e64 v22, v24, v25, s2
	v_cndmask_b32_e64 v17, v17, v23, s2
	v_sub_nc_u32_e32 v24, 32, v12
	v_cndmask_b32_e64 v23, v23, v18, s2
	v_cndmask_b32_e64 v18, v18, v19, s2
	;; [unrolled: 1-line block ×4, first 2 shown]
	s_delay_alu instid0(VALU_DEP_4) | instskip(NEXT) | instid1(VALU_DEP_4)
	v_cndmask_b32_e64 v17, v17, v23, s3
	v_cndmask_b32_e64 v18, v23, v18, s3
	s_delay_alu instid0(VALU_DEP_3) | instskip(NEXT) | instid1(VALU_DEP_3)
	v_alignbit_b32 v25, v22, v20, v24
	v_alignbit_b32 v26, v20, v17, v24
	s_delay_alu instid0(VALU_DEP_3) | instskip(NEXT) | instid1(VALU_DEP_3)
	v_alignbit_b32 v24, v17, v18, v24
	v_cndmask_b32_e64 v12, v25, v22, s4
	s_delay_alu instid0(VALU_DEP_3) | instskip(NEXT) | instid1(VALU_DEP_3)
	v_cndmask_b32_e64 v20, v26, v20, s4
	v_cndmask_b32_e64 v17, v24, v17, s4
	s_delay_alu instid0(VALU_DEP_3) | instskip(NEXT) | instid1(VALU_DEP_3)
	v_bfe_u32 v21, v12, 29, 1
	v_alignbit_b32 v19, v12, v20, 30
	s_delay_alu instid0(VALU_DEP_3) | instskip(SKIP_1) | instid1(VALU_DEP_4)
	v_alignbit_b32 v20, v20, v17, 30
	v_alignbit_b32 v17, v17, v18, 30
	v_sub_nc_u32_e32 v22, 0, v21
	s_delay_alu instid0(VALU_DEP_1) | instskip(SKIP_3) | instid1(VALU_DEP_4)
	v_xor_b32_e32 v23, v19, v22
	v_cmp_ne_u32_e32 vcc_lo, v19, v22
	v_xor_b32_e32 v18, v20, v22
	v_xor_b32_e32 v17, v17, v22
	v_clz_i32_u32_e32 v25, v23
	s_delay_alu instid0(VALU_DEP_1) | instskip(NEXT) | instid1(VALU_DEP_1)
	v_add_nc_u32_e32 v24, 1, v25
	v_cndmask_b32_e32 v19, 33, v24, vcc_lo
	s_delay_alu instid0(VALU_DEP_1) | instskip(NEXT) | instid1(VALU_DEP_1)
	v_sub_nc_u32_e32 v20, 32, v19
	v_alignbit_b32 v22, v23, v18, v20
	v_alignbit_b32 v17, v18, v17, v20
	v_lshrrev_b32_e32 v18, 29, v12
	s_delay_alu instid0(VALU_DEP_2) | instskip(NEXT) | instid1(VALU_DEP_2)
	v_alignbit_b32 v20, v22, v17, 9
	v_lshlrev_b32_e32 v18, 31, v18
	v_alignbit_b32 v22, v19, v22, 9
	s_delay_alu instid0(VALU_DEP_3) | instskip(NEXT) | instid1(VALU_DEP_2)
	v_clz_i32_u32_e32 v23, v20
	v_or_b32_e32 v22, v22, v18
	v_or_b32_e32 v18, 0x33800000, v18
	s_delay_alu instid0(VALU_DEP_3) | instskip(NEXT) | instid1(VALU_DEP_3)
	v_min_u32_e32 v23, 32, v23
	v_xor_b32_e32 v22, 1.0, v22
	s_delay_alu instid0(VALU_DEP_2) | instskip(SKIP_1) | instid1(VALU_DEP_3)
	v_sub_nc_u32_e32 v24, 31, v23
	v_add_lshl_u32 v19, v23, v19, 23
	v_mul_f32_e32 v23, 0x3fc90fda, v22
	s_delay_alu instid0(VALU_DEP_3) | instskip(NEXT) | instid1(VALU_DEP_3)
	v_alignbit_b32 v17, v20, v17, v24
	v_sub_nc_u32_e32 v18, v18, v19
	s_delay_alu instid0(VALU_DEP_3) | instskip(NEXT) | instid1(VALU_DEP_3)
	v_fma_f32 v19, 0x3fc90fda, v22, -v23
                                        ; implicit-def: $vgpr20
	v_lshrrev_b32_e32 v17, 9, v17
	s_delay_alu instid0(VALU_DEP_2) | instskip(NEXT) | instid1(VALU_DEP_2)
	v_fmac_f32_e32 v19, 0x33a22168, v22
	v_or_b32_e32 v17, v18, v17
	s_delay_alu instid0(VALU_DEP_1) | instskip(SKIP_1) | instid1(VALU_DEP_1)
	v_fmac_f32_e32 v19, 0x3fc90fda, v17
	v_lshrrev_b32_e32 v17, 30, v12
	v_dual_add_f32 v12, v23, v19 :: v_dual_add_nc_u32 v19, v21, v17
	s_and_not1_saveexec_b32 s2, s30
	s_cbranch_execnz .LBB95_41
	s_branch .LBB95_42
.LBB95_40:                              ;   in Loop: Header=BB95_7 Depth=1
	s_and_not1_saveexec_b32 s2, s30
.LBB95_41:                              ;   in Loop: Header=BB95_7 Depth=1
	v_fma_f32 v12, 0xbfc90fda, v20, |v8|
	v_cvt_i32_f32_e32 v19, v20
	s_delay_alu instid0(VALU_DEP_2) | instskip(NEXT) | instid1(VALU_DEP_1)
	v_fmac_f32_e32 v12, 0xb3a22168, v20
	v_fmac_f32_e32 v12, 0xa7c234c4, v20
.LBB95_42:                              ;   in Loop: Header=BB95_7 Depth=1
	s_or_b32 exec_lo, exec_lo, s2
	v_dual_mul_f32 v17, v7, v7 :: v_dual_and_b32 v18, 1, v9
	s_delay_alu instid0(VALU_DEP_2) | instskip(SKIP_1) | instid1(VALU_DEP_3)
	v_dual_mul_f32 v20, v12, v12 :: v_dual_lshlrev_b32 v9, 30, v9
	v_and_b32_e32 v23, 1, v19
	v_fmaak_f32 v21, s25, v17, 0x3c0881c4
	v_fmaak_f32 v22, s26, v17, 0xbab64f3b
	s_delay_alu instid0(VALU_DEP_4)
	v_fmaak_f32 v24, s25, v20, 0x3c0881c4
	v_fmaak_f32 v25, s26, v20, 0xbab64f3b
	v_cmp_eq_u32_e32 vcc_lo, 0, v18
	v_fmaak_f32 v21, v17, v21, 0xbe2aaa9d
	v_dual_fmaak_f32 v22, v17, v22, 0x3d2aabf7 :: v_dual_lshlrev_b32 v19, 30, v19
	v_fmaak_f32 v24, v20, v24, 0xbe2aaa9d
	v_fmaak_f32 v25, v20, v25, 0x3d2aabf7
	s_delay_alu instid0(VALU_DEP_4) | instskip(NEXT) | instid1(VALU_DEP_4)
	v_mul_f32_e32 v21, v17, v21
	v_fmaak_f32 v22, v17, v22, 0xbf000004
	s_delay_alu instid0(VALU_DEP_4) | instskip(NEXT) | instid1(VALU_DEP_4)
	v_mul_f32_e32 v24, v20, v24
	v_fmaak_f32 v25, v20, v25, 0xbf000004
	v_and_b32_e32 v9, 0x80000000, v9
	v_fmac_f32_e32 v7, v7, v21
	v_fma_f32 v17, v17, v22, 1.0
	v_fmac_f32_e32 v12, v12, v24
	s_delay_alu instid0(VALU_DEP_4) | instskip(SKIP_1) | instid1(VALU_DEP_4)
	v_xor_b32_e32 v5, v5, v9
	v_fma_f32 v9, v20, v25, 1.0
	v_cndmask_b32_e32 v7, v17, v7, vcc_lo
	v_cmp_eq_u32_e32 vcc_lo, 0, v23
	v_and_b32_e32 v17, 0x80000000, v19
	s_delay_alu instid0(VALU_DEP_3) | instskip(SKIP_2) | instid1(VALU_DEP_2)
	v_xor3_b32 v5, v5, v7, v8
	v_cndmask_b32_e64 v9, -v12, v9, vcc_lo
	v_cmp_class_f32_e64 vcc_lo, v8, 0x1f8
	v_xor_b32_e32 v7, v17, v9
	s_delay_alu instid0(VALU_DEP_1) | instskip(NEXT) | instid1(VALU_DEP_1)
	v_mul_f32_e32 v5, v5, v7
	v_cndmask_b32_e32 v8, 0x7fc00000, v5, vcc_lo
.LBB95_43:                              ;   in Loop: Header=BB95_7 Depth=1
	s_or_b32 exec_lo, exec_lo, s29
	v_add_nc_u32_e32 v6, -2.0, v6
	s_delay_alu instid0(VALU_DEP_2)
	v_bfi_b32 v5, 0x7fffffff, 0, v8
.LBB95_44:                              ;   in Loop: Header=BB95_7 Depth=1
	s_or_b32 exec_lo, exec_lo, s28
.LBB95_45:                              ;   in Loop: Header=BB95_7 Depth=1
	s_delay_alu instid0(SALU_CYCLE_1) | instskip(SKIP_2) | instid1(VALU_DEP_1)
	s_or_b32 exec_lo, exec_lo, s27
	v_and_b32_e32 v7, 0x7fffffff, v11
                                        ; implicit-def: $vgpr17
	s_mov_b32 s2, exec_lo
	v_cmpx_gt_u32_e32 0x7f800000, v7
	s_xor_b32 s27, exec_lo, s2
	s_cbranch_execz .LBB95_67
; %bb.46:                               ;   in Loop: Header=BB95_7 Depth=1
	v_cmp_class_f32_e64 s2, v10, 0x1f8
                                        ; implicit-def: $vgpr17
	s_delay_alu instid0(VALU_DEP_1) | instskip(NEXT) | instid1(SALU_CYCLE_1)
	s_and_saveexec_b32 s3, s2
	s_xor_b32 s28, exec_lo, s3
	s_cbranch_execz .LBB95_64
; %bb.47:                               ;   in Loop: Header=BB95_7 Depth=1
	v_and_b32_e32 v8, 0x7fffffff, v10
                                        ; implicit-def: $vgpr17
	s_mov_b32 s2, exec_lo
	v_cmpx_gt_u32_e32 0x41300000, v7
	s_xor_b32 s29, exec_lo, s2
	s_cbranch_execz .LBB95_53
; %bb.48:                               ;   in Loop: Header=BB95_7 Depth=1
                                        ; implicit-def: $vgpr7
                                        ; implicit-def: $vgpr9
	s_mov_b32 s3, exec_lo
	v_cmpx_ngt_f32_e64 0x48000000, |v10|
	s_xor_b32 s30, exec_lo, s3
	s_cbranch_execz .LBB95_50
; %bb.49:                               ;   in Loop: Header=BB95_7 Depth=1
	v_and_or_b32 v7, v8, s21, 0x800000
	v_lshrrev_b32_e32 v9, 23, v8
	s_delay_alu instid0(VALU_DEP_2) | instskip(NEXT) | instid1(VALU_DEP_2)
	v_mad_u64_u32 v[17:18], null, 0xfe5163ab, v7, 0
	v_add_nc_u32_e32 v9, 0xffffff88, v9
	s_delay_alu instid0(VALU_DEP_1) | instskip(NEXT) | instid1(VALU_DEP_3)
	v_cmp_lt_u32_e32 vcc_lo, 63, v9
	v_mov_b32_e32 v12, v18
	v_cndmask_b32_e64 v23, 0, 0xffffffc0, vcc_lo
	s_delay_alu instid0(VALU_DEP_2) | instskip(NEXT) | instid1(VALU_DEP_2)
	v_mad_u64_u32 v[18:19], null, 0x3c439041, v7, v[12:13]
	v_add_nc_u32_e32 v9, v23, v9
	s_delay_alu instid0(VALU_DEP_1) | instskip(NEXT) | instid1(VALU_DEP_1)
	v_cmp_lt_u32_e64 s2, 31, v9
	v_cndmask_b32_e64 v24, 0, 0xffffffe0, s2
	s_delay_alu instid0(VALU_DEP_1) | instskip(NEXT) | instid1(VALU_DEP_1)
	v_dual_mov_b32 v12, v19 :: v_dual_add_nc_u32 v9, v24, v9
	v_mad_u64_u32 v[19:20], null, 0xdb629599, v7, v[12:13]
	s_delay_alu instid0(VALU_DEP_2) | instskip(NEXT) | instid1(VALU_DEP_2)
	v_cmp_lt_u32_e64 s3, 31, v9
	v_dual_mov_b32 v12, v20 :: v_dual_cndmask_b32 v17, v19, v17
	s_delay_alu instid0(VALU_DEP_1) | instskip(NEXT) | instid1(VALU_DEP_1)
	v_mad_u64_u32 v[20:21], null, 0xf534ddc0, v7, v[12:13]
	v_mov_b32_e32 v12, v21
	s_delay_alu instid0(VALU_DEP_1) | instskip(NEXT) | instid1(VALU_DEP_1)
	v_mad_u64_u32 v[21:22], null, 0xfc2757d1, v7, v[12:13]
	v_mov_b32_e32 v12, v22
	s_delay_alu instid0(VALU_DEP_1) | instskip(NEXT) | instid1(VALU_DEP_1)
	v_mad_u64_u32 v[22:23], null, 0x4e441529, v7, v[12:13]
	v_mov_b32_e32 v12, v23
	s_delay_alu instid0(VALU_DEP_1) | instskip(SKIP_1) | instid1(VALU_DEP_1)
	v_mad_u64_u32 v[23:24], null, 0xa2f9836e, v7, v[12:13]
	v_cndmask_b32_e64 v7, 0, 0xffffffe0, s3
	v_dual_cndmask_b32 v12, v22, v20 :: v_dual_add_nc_u32 v7, v7, v9
	v_cndmask_b32_e32 v9, v20, v18, vcc_lo
	s_delay_alu instid0(VALU_DEP_4) | instskip(SKIP_1) | instid1(VALU_DEP_4)
	v_dual_cndmask_b32 v23, v23, v21 :: v_dual_cndmask_b32 v22, v24, v22
	v_cndmask_b32_e32 v21, v21, v19, vcc_lo
	v_cmp_eq_u32_e64 s4, 0, v7
	s_delay_alu instid0(VALU_DEP_3) | instskip(NEXT) | instid1(VALU_DEP_4)
	v_cndmask_b32_e64 v18, v23, v12, s2
	v_cndmask_b32_e64 v20, v22, v23, s2
	s_delay_alu instid0(VALU_DEP_4)
	v_cndmask_b32_e64 v12, v12, v21, s2
	v_sub_nc_u32_e32 v22, 32, v7
	v_cndmask_b32_e64 v21, v21, v9, s2
	v_cndmask_b32_e64 v9, v9, v17, s2
	;; [unrolled: 1-line block ×4, first 2 shown]
	s_delay_alu instid0(VALU_DEP_4) | instskip(NEXT) | instid1(VALU_DEP_4)
	v_cndmask_b32_e64 v12, v12, v21, s3
	v_cndmask_b32_e64 v9, v21, v9, s3
	s_delay_alu instid0(VALU_DEP_3) | instskip(NEXT) | instid1(VALU_DEP_3)
	v_alignbit_b32 v23, v20, v18, v22
	v_alignbit_b32 v24, v18, v12, v22
	s_delay_alu instid0(VALU_DEP_3) | instskip(NEXT) | instid1(VALU_DEP_3)
	v_alignbit_b32 v22, v12, v9, v22
	v_cndmask_b32_e64 v7, v23, v20, s4
	s_delay_alu instid0(VALU_DEP_3) | instskip(NEXT) | instid1(VALU_DEP_3)
	v_cndmask_b32_e64 v18, v24, v18, s4
	v_cndmask_b32_e64 v12, v22, v12, s4
	s_delay_alu instid0(VALU_DEP_3) | instskip(NEXT) | instid1(VALU_DEP_3)
	v_bfe_u32 v19, v7, 29, 1
	v_alignbit_b32 v17, v7, v18, 30
	s_delay_alu instid0(VALU_DEP_3) | instskip(SKIP_1) | instid1(VALU_DEP_4)
	v_alignbit_b32 v18, v18, v12, 30
	v_alignbit_b32 v9, v12, v9, 30
	v_sub_nc_u32_e32 v20, 0, v19
	s_delay_alu instid0(VALU_DEP_1) | instskip(SKIP_3) | instid1(VALU_DEP_4)
	v_xor_b32_e32 v21, v17, v20
	v_cmp_ne_u32_e32 vcc_lo, v17, v20
	v_xor_b32_e32 v12, v18, v20
	v_xor_b32_e32 v9, v9, v20
	v_clz_i32_u32_e32 v23, v21
	s_delay_alu instid0(VALU_DEP_1) | instskip(NEXT) | instid1(VALU_DEP_1)
	v_add_nc_u32_e32 v22, 1, v23
	v_cndmask_b32_e32 v17, 33, v22, vcc_lo
	s_delay_alu instid0(VALU_DEP_1) | instskip(NEXT) | instid1(VALU_DEP_1)
	v_sub_nc_u32_e32 v18, 32, v17
	v_alignbit_b32 v20, v21, v12, v18
	v_alignbit_b32 v9, v12, v9, v18
	v_lshrrev_b32_e32 v12, 29, v7
	v_lshrrev_b32_e32 v7, 30, v7
	s_delay_alu instid0(VALU_DEP_3) | instskip(NEXT) | instid1(VALU_DEP_3)
	v_alignbit_b32 v18, v20, v9, 9
	v_lshlrev_b32_e32 v12, 31, v12
	v_alignbit_b32 v20, v17, v20, 9
	s_delay_alu instid0(VALU_DEP_4) | instskip(NEXT) | instid1(VALU_DEP_4)
	v_add_nc_u32_e32 v7, v19, v7
	v_clz_i32_u32_e32 v21, v18
	s_delay_alu instid0(VALU_DEP_3) | instskip(SKIP_1) | instid1(VALU_DEP_3)
	v_or_b32_e32 v20, v20, v12
	v_or_b32_e32 v12, 0x33800000, v12
	v_min_u32_e32 v21, 32, v21
	s_delay_alu instid0(VALU_DEP_3) | instskip(NEXT) | instid1(VALU_DEP_2)
	v_xor_b32_e32 v20, 1.0, v20
	v_sub_nc_u32_e32 v22, 31, v21
	v_add_lshl_u32 v17, v21, v17, 23
	s_delay_alu instid0(VALU_DEP_3) | instskip(NEXT) | instid1(VALU_DEP_3)
	v_mul_f32_e32 v21, 0x3fc90fda, v20
	v_alignbit_b32 v9, v18, v9, v22
	s_delay_alu instid0(VALU_DEP_3) | instskip(NEXT) | instid1(VALU_DEP_3)
	v_sub_nc_u32_e32 v12, v12, v17
	v_fma_f32 v17, 0x3fc90fda, v20, -v21
	s_delay_alu instid0(VALU_DEP_3) | instskip(NEXT) | instid1(VALU_DEP_2)
	v_lshrrev_b32_e32 v9, 9, v9
	v_fmac_f32_e32 v17, 0x33a22168, v20
	s_delay_alu instid0(VALU_DEP_2) | instskip(NEXT) | instid1(VALU_DEP_1)
	v_or_b32_e32 v9, v12, v9
	v_fmac_f32_e32 v17, 0x3fc90fda, v9
	s_delay_alu instid0(VALU_DEP_1)
	v_add_f32_e32 v9, v21, v17
.LBB95_50:                              ;   in Loop: Header=BB95_7 Depth=1
	s_and_not1_saveexec_b32 s2, s30
; %bb.51:                               ;   in Loop: Header=BB95_7 Depth=1
	v_mul_f32_e64 v7, 0x3f22f983, |v10|
	s_delay_alu instid0(VALU_DEP_1) | instskip(NEXT) | instid1(VALU_DEP_1)
	v_rndne_f32_e32 v7, v7
	v_fma_f32 v9, 0xbfc90fda, v7, |v10|
	s_delay_alu instid0(VALU_DEP_1) | instskip(NEXT) | instid1(VALU_DEP_1)
	v_fmac_f32_e32 v9, 0xb3a22168, v7
	v_fmac_f32_e32 v9, 0xa7c234c4, v7
	v_cvt_i32_f32_e32 v7, v7
; %bb.52:                               ;   in Loop: Header=BB95_7 Depth=1
	s_or_b32 exec_lo, exec_lo, s2
	v_add_f32_e64 v12, 0xbf317218, |v11|
	v_cmp_nlt_f32_e64 vcc_lo, 0x42b2d4fc, |v11|
	v_cmp_gt_f32_e64 s2, 0x39800000, |v11|
	v_and_b32_e32 v7, 1, v7
	s_delay_alu instid0(VALU_DEP_4) | instskip(NEXT) | instid1(VALU_DEP_1)
	v_sub_f32_e64 v17, v12, |v11|
	v_dual_sub_f32 v18, v17, v12 :: v_dual_add_f32 v17, 0x3f317218, v17
	s_delay_alu instid0(VALU_DEP_1) | instskip(NEXT) | instid1(VALU_DEP_1)
	v_add_f32_e64 v18, |v11|, v18
	v_sub_f32_e32 v17, v18, v17
	s_delay_alu instid0(VALU_DEP_1) | instskip(NEXT) | instid1(VALU_DEP_1)
	v_add_f32_e32 v17, 0x3102e308, v17
	v_add_f32_e32 v18, v12, v17
	s_delay_alu instid0(VALU_DEP_1) | instskip(NEXT) | instid1(VALU_DEP_1)
	v_sub_f32_e32 v12, v12, v18
	v_dual_mul_f32 v19, 0x3fb8aa3b, v18 :: v_dual_add_f32 v12, v17, v12
	s_delay_alu instid0(VALU_DEP_1) | instskip(NEXT) | instid1(VALU_DEP_1)
	v_rndne_f32_e32 v19, v19
	v_mul_f32_e32 v17, 0x35bfbc00, v19
	v_fmac_f32_e32 v18, 0xbf317200, v19
	s_delay_alu instid0(VALU_DEP_1) | instskip(NEXT) | instid1(VALU_DEP_1)
	v_add_f32_e32 v20, v12, v18
	v_dual_sub_f32 v21, v20, v17 :: v_dual_sub_f32 v18, v18, v20
	s_delay_alu instid0(VALU_DEP_1) | instskip(NEXT) | instid1(VALU_DEP_1)
	v_sub_f32_e32 v20, v20, v21
	v_sub_f32_e32 v17, v20, v17
	s_delay_alu instid0(VALU_DEP_3) | instskip(NEXT) | instid1(VALU_DEP_1)
	v_add_f32_e32 v12, v12, v18
	v_dual_add_f32 v12, v12, v17 :: v_dual_mul_f32 v17, 0x2ea39ef3, v19
	s_delay_alu instid0(VALU_DEP_1) | instskip(NEXT) | instid1(VALU_DEP_1)
	v_add_f32_e32 v18, v21, v12
	v_dual_sub_f32 v20, v18, v17 :: v_dual_sub_f32 v21, v21, v18
	s_delay_alu instid0(VALU_DEP_1) | instskip(NEXT) | instid1(VALU_DEP_2)
	v_sub_f32_e32 v18, v18, v20
	v_add_f32_e32 v12, v12, v21
	s_delay_alu instid0(VALU_DEP_2) | instskip(NEXT) | instid1(VALU_DEP_1)
	v_sub_f32_e32 v17, v18, v17
	v_add_f32_e32 v12, v12, v17
	s_delay_alu instid0(VALU_DEP_1) | instskip(NEXT) | instid1(VALU_DEP_1)
	v_add_f32_e32 v17, v20, v12
	v_sub_f32_e32 v18, v20, v17
	v_mul_f32_e32 v20, v17, v17
	s_delay_alu instid0(VALU_DEP_2) | instskip(SKIP_1) | instid1(VALU_DEP_3)
	v_add_f32_e32 v12, v12, v18
	v_fmaak_f32 v18, s24, v17, 0x3c091de6
	v_fma_f32 v21, v17, v17, -v20
	s_delay_alu instid0(VALU_DEP_3) | instskip(NEXT) | instid1(VALU_DEP_3)
	v_add_f32_e32 v22, v12, v12
	v_fmaak_f32 v18, v17, v18, 0x3d2aadcc
	s_delay_alu instid0(VALU_DEP_2) | instskip(NEXT) | instid1(VALU_DEP_2)
	v_fmac_f32_e32 v21, v17, v22
	v_fmaak_f32 v18, v17, v18, 0x3e2aaa47
	s_delay_alu instid0(VALU_DEP_2) | instskip(NEXT) | instid1(VALU_DEP_2)
	v_add_f32_e32 v22, v20, v21
	v_fmaak_f32 v18, v17, v18, 0x3efffffc
	s_delay_alu instid0(VALU_DEP_2) | instskip(NEXT) | instid1(VALU_DEP_1)
	v_sub_f32_e32 v20, v22, v20
	v_dual_mul_f32 v23, v18, v22 :: v_dual_sub_f32 v20, v21, v20
	s_delay_alu instid0(VALU_DEP_1) | instskip(NEXT) | instid1(VALU_DEP_1)
	v_fma_f32 v21, v22, v18, -v23
	v_fmac_f32_e32 v21, v20, v18
	s_delay_alu instid0(VALU_DEP_1) | instskip(NEXT) | instid1(VALU_DEP_1)
	v_add_f32_e32 v18, v23, v21
	v_sub_f32_e32 v22, v18, v23
	v_add_f32_e32 v20, v17, v18
	s_delay_alu instid0(VALU_DEP_2) | instskip(NEXT) | instid1(VALU_DEP_2)
	v_sub_f32_e32 v21, v21, v22
	v_sub_f32_e32 v17, v20, v17
	s_delay_alu instid0(VALU_DEP_1) | instskip(NEXT) | instid1(VALU_DEP_3)
	v_sub_f32_e32 v17, v18, v17
	v_add_f32_e32 v12, v12, v21
	s_delay_alu instid0(VALU_DEP_1) | instskip(NEXT) | instid1(VALU_DEP_1)
	v_add_f32_e32 v12, v12, v17
	v_add_f32_e32 v17, v20, v12
	s_delay_alu instid0(VALU_DEP_1) | instskip(NEXT) | instid1(VALU_DEP_1)
	v_add_f32_e32 v18, 1.0, v17
	v_dual_sub_f32 v20, v17, v20 :: v_dual_add_f32 v21, -1.0, v18
	s_delay_alu instid0(VALU_DEP_1) | instskip(NEXT) | instid1(VALU_DEP_1)
	v_dual_sub_f32 v12, v12, v20 :: v_dual_sub_f32 v17, v17, v21
	v_add_f32_e32 v12, v12, v17
	v_cvt_i32_f32_e32 v17, v19
	s_delay_alu instid0(VALU_DEP_2) | instskip(NEXT) | instid1(VALU_DEP_1)
	v_add_f32_e32 v19, v18, v12
	v_ldexp_f32 v20, v19, v17
	s_delay_alu instid0(VALU_DEP_1) | instskip(SKIP_1) | instid1(VALU_DEP_1)
	v_rcp_f32_e32 v21, v20
	v_sub_f32_e32 v18, v19, v18
	v_sub_f32_e32 v12, v12, v18
	s_waitcnt_depctr 0xfff
	v_mul_f32_e32 v18, v20, v21
	v_ldexp_f32 v12, v12, v17
	s_delay_alu instid0(VALU_DEP_2) | instskip(NEXT) | instid1(VALU_DEP_1)
	v_fma_f32 v17, v21, v20, -v18
	v_fmac_f32_e32 v17, v21, v12
	s_delay_alu instid0(VALU_DEP_1) | instskip(NEXT) | instid1(VALU_DEP_1)
	v_add_f32_e32 v19, v18, v17
	v_sub_f32_e32 v22, 1.0, v19
	v_sub_f32_e32 v18, v19, v18
	s_delay_alu instid0(VALU_DEP_2) | instskip(NEXT) | instid1(VALU_DEP_1)
	v_sub_f32_e32 v23, 1.0, v22
	v_dual_sub_f32 v17, v18, v17 :: v_dual_sub_f32 v18, v23, v19
	s_delay_alu instid0(VALU_DEP_1) | instskip(NEXT) | instid1(VALU_DEP_1)
	v_add_f32_e32 v17, v17, v18
	v_add_f32_e32 v18, v22, v17
	s_delay_alu instid0(VALU_DEP_1) | instskip(NEXT) | instid1(VALU_DEP_1)
	v_mul_f32_e32 v19, v21, v18
	v_dual_sub_f32 v22, v22, v18 :: v_dual_mul_f32 v23, v20, v19
	s_delay_alu instid0(VALU_DEP_1) | instskip(NEXT) | instid1(VALU_DEP_2)
	v_add_f32_e32 v17, v17, v22
	v_fma_f32 v24, v19, v20, -v23
	s_delay_alu instid0(VALU_DEP_1) | instskip(NEXT) | instid1(VALU_DEP_1)
	v_fmac_f32_e32 v24, v19, v12
	v_add_f32_e32 v25, v23, v24
	s_delay_alu instid0(VALU_DEP_1) | instskip(SKIP_1) | instid1(VALU_DEP_2)
	v_sub_f32_e32 v26, v18, v25
	v_sub_f32_e32 v22, v25, v23
	v_sub_f32_e32 v18, v18, v26
	s_delay_alu instid0(VALU_DEP_2) | instskip(NEXT) | instid1(VALU_DEP_2)
	v_sub_f32_e32 v22, v22, v24
	v_sub_f32_e32 v18, v18, v25
	s_delay_alu instid0(VALU_DEP_1) | instskip(NEXT) | instid1(VALU_DEP_1)
	v_add_f32_e32 v17, v17, v18
	v_dual_add_f32 v18, v21, v19 :: v_dual_add_f32 v17, v22, v17
	s_delay_alu instid0(VALU_DEP_1) | instskip(NEXT) | instid1(VALU_DEP_2)
	v_sub_f32_e32 v22, v18, v21
	v_add_f32_e32 v17, v26, v17
	s_delay_alu instid0(VALU_DEP_2) | instskip(NEXT) | instid1(VALU_DEP_2)
	v_sub_f32_e32 v19, v19, v22
	v_mul_f32_e32 v17, v21, v17
	s_delay_alu instid0(VALU_DEP_1) | instskip(NEXT) | instid1(VALU_DEP_1)
	v_add_f32_e32 v17, v19, v17
	v_add_f32_e32 v19, v18, v17
	s_delay_alu instid0(VALU_DEP_1) | instskip(SKIP_1) | instid1(VALU_DEP_1)
	v_ldexp_f32 v21, v19, -2
	v_sub_f32_e32 v18, v19, v18
	v_dual_sub_f32 v22, v20, v21 :: v_dual_sub_f32 v17, v17, v18
	s_delay_alu instid0(VALU_DEP_1) | instskip(NEXT) | instid1(VALU_DEP_2)
	v_sub_f32_e32 v19, v20, v22
	v_ldexp_f32 v17, v17, -2
	s_delay_alu instid0(VALU_DEP_2) | instskip(SKIP_1) | instid1(VALU_DEP_2)
	v_sub_f32_e32 v18, v19, v21
	v_xor_b32_e32 v19, 0x80000000, v11
	v_add_f32_e32 v12, v12, v18
	s_delay_alu instid0(VALU_DEP_1) | instskip(NEXT) | instid1(VALU_DEP_1)
	v_sub_f32_e32 v12, v12, v17
	v_dual_mul_f32 v17, v9, v9 :: v_dual_add_f32 v12, v22, v12
	s_delay_alu instid0(VALU_DEP_1) | instskip(NEXT) | instid1(VALU_DEP_2)
	v_fmaak_f32 v18, s23, v17, 0xbf039337
	v_cndmask_b32_e32 v12, 0x7f800000, v12, vcc_lo
	s_delay_alu instid0(VALU_DEP_2) | instskip(NEXT) | instid1(VALU_DEP_2)
	v_fmaak_f32 v18, v17, v18, 0x3f93f425
	v_cndmask_b32_e64 v11, v12, |v11|, s2
	s_delay_alu instid0(VALU_DEP_2) | instskip(SKIP_1) | instid1(VALU_DEP_2)
	v_rcp_f32_e32 v12, v18
	v_fmaak_f32 v18, s22, v17, 0x3ec54587
	v_bfi_b32 v11, 0x7fffffff, v11, v19
	s_delay_alu instid0(VALU_DEP_1) | instskip(SKIP_4) | instid1(VALU_DEP_2)
	v_fma_f32 v19, v11, v11, 1.0
	s_waitcnt_depctr 0xfff
	v_mul_f32_e32 v12, v18, v12
	v_mul_f32_e32 v18, 0x4f800000, v19
	v_cmp_gt_f32_e32 vcc_lo, 0xf800000, v19
	v_dual_mul_f32 v12, v17, v12 :: v_dual_cndmask_b32 v17, v19, v18
	s_delay_alu instid0(VALU_DEP_1) | instskip(NEXT) | instid1(VALU_DEP_2)
	v_fma_f32 v18, v12, v9, v9
	v_sqrt_f32_e32 v19, v17
	s_delay_alu instid0(VALU_DEP_1) | instskip(SKIP_1) | instid1(VALU_DEP_1)
	v_rcp_f32_e32 v20, v18
	v_sub_f32_e32 v21, v18, v9
	v_fma_f32 v9, v12, v9, -v21
	s_waitcnt_depctr 0xfff
	v_add_nc_u32_e32 v22, -1, v19
	v_fma_f32 v12, v18, -v20, 1.0
	v_add_nc_u32_e32 v21, 1, v19
	s_delay_alu instid0(VALU_DEP_3) | instskip(NEXT) | instid1(VALU_DEP_3)
	v_fma_f32 v23, -v22, v19, v17
	v_fma_f32 v9, v9, -v20, v12
	s_delay_alu instid0(VALU_DEP_3) | instskip(NEXT) | instid1(VALU_DEP_3)
	v_fma_f32 v12, -v21, v19, v17
	v_cmp_ge_f32_e64 s2, 0, v23
	s_delay_alu instid0(VALU_DEP_3) | instskip(NEXT) | instid1(VALU_DEP_2)
	v_fma_f32 v9, v9, -v20, -v20
	v_cndmask_b32_e64 v19, v19, v22, s2
	s_delay_alu instid0(VALU_DEP_4) | instskip(NEXT) | instid1(VALU_DEP_1)
	v_cmp_lt_f32_e64 s2, 0, v12
	v_cndmask_b32_e64 v12, v19, v21, s2
	v_cmp_eq_u32_e64 s2, 0, v7
	s_delay_alu instid0(VALU_DEP_1) | instskip(NEXT) | instid1(VALU_DEP_3)
	v_cndmask_b32_e64 v7, v9, v18, s2
	v_mul_f32_e32 v9, 0x37800000, v12
	s_delay_alu instid0(VALU_DEP_2) | instskip(NEXT) | instid1(VALU_DEP_2)
	v_xor3_b32 v7, v8, v7, v10
	v_cndmask_b32_e32 v8, v12, v9, vcc_lo
	v_cmp_class_f32_e64 vcc_lo, v17, 0x260
	s_delay_alu instid0(VALU_DEP_3) | instskip(NEXT) | instid1(VALU_DEP_3)
	v_fma_f32 v9, v7, v7, 1.0
	v_cndmask_b32_e32 v8, v8, v17, vcc_lo
	s_delay_alu instid0(VALU_DEP_2) | instskip(NEXT) | instid1(VALU_DEP_2)
	v_mul_f32_e32 v10, v11, v9
	v_mul_f32_e32 v8, v8, v9
	s_delay_alu instid0(VALU_DEP_2) | instskip(NEXT) | instid1(VALU_DEP_2)
	v_fma_f32 v9, v11, v10, 1.0
	v_mul_f32_e32 v8, v11, v8
	s_delay_alu instid0(VALU_DEP_2) | instskip(NEXT) | instid1(VALU_DEP_2)
	v_div_scale_f32 v11, null, v9, v9, v7
	v_div_scale_f32 v10, null, v9, v9, v8
	v_div_scale_f32 v20, vcc_lo, v8, v9, v8
	s_delay_alu instid0(VALU_DEP_3) | instskip(NEXT) | instid1(VALU_DEP_2)
	v_rcp_f32_e32 v17, v11
	v_rcp_f32_e32 v12, v10
	s_waitcnt_depctr 0xfff
	v_fma_f32 v19, -v11, v17, 1.0
	v_fma_f32 v18, -v10, v12, 1.0
	s_delay_alu instid0(VALU_DEP_1) | instskip(SKIP_1) | instid1(VALU_DEP_2)
	v_dual_fmac_f32 v17, v19, v17 :: v_dual_fmac_f32 v12, v18, v12
	v_div_scale_f32 v18, s2, v7, v9, v7
	v_mul_f32_e32 v19, v20, v12
	s_delay_alu instid0(VALU_DEP_2) | instskip(NEXT) | instid1(VALU_DEP_2)
	v_mul_f32_e32 v21, v18, v17
	v_fma_f32 v22, -v10, v19, v20
	s_delay_alu instid0(VALU_DEP_2) | instskip(NEXT) | instid1(VALU_DEP_2)
	v_fma_f32 v23, -v11, v21, v18
	v_fmac_f32_e32 v19, v22, v12
	s_delay_alu instid0(VALU_DEP_2) | instskip(NEXT) | instid1(VALU_DEP_2)
	v_fmac_f32_e32 v21, v23, v17
	v_fma_f32 v10, -v10, v19, v20
	s_delay_alu instid0(VALU_DEP_2) | instskip(NEXT) | instid1(VALU_DEP_2)
	v_fma_f32 v11, -v11, v21, v18
	v_div_fmas_f32 v10, v10, v12, v19
	s_mov_b32 vcc_lo, s2
	s_delay_alu instid0(VALU_DEP_2) | instskip(NEXT) | instid1(VALU_DEP_2)
	v_div_fmas_f32 v11, v11, v17, v21
	v_div_fixup_f32 v17, v10, v9, v8
	s_delay_alu instid0(VALU_DEP_2)
	v_div_fixup_f32 v7, v11, v9, v7
                                        ; implicit-def: $vgpr8_vgpr9_vgpr10_vgpr11
                                        ; implicit-def: $vgpr8
.LBB95_53:                              ;   in Loop: Header=BB95_7 Depth=1
	s_and_not1_saveexec_b32 s29, s29
	s_cbranch_execz .LBB95_63
; %bb.54:                               ;   in Loop: Header=BB95_7 Depth=1
	v_lshrrev_b32_e32 v7, 23, v8
	v_cmp_ngt_f32_e64 s30, 0x48000000, |v10|
	v_and_or_b32 v9, v8, s21, 0x800000
                                        ; implicit-def: $vgpr17
	s_delay_alu instid0(VALU_DEP_3) | instskip(NEXT) | instid1(VALU_DEP_3)
	v_add_nc_u32_e32 v18, 0xffffff88, v7
                                        ; implicit-def: $vgpr7
	s_and_saveexec_b32 s2, s30
	s_delay_alu instid0(SALU_CYCLE_1)
	s_xor_b32 s31, exec_lo, s2
	s_cbranch_execz .LBB95_56
; %bb.55:                               ;   in Loop: Header=BB95_7 Depth=1
	v_mad_u64_u32 v[19:20], null, 0xfe5163ab, v9, 0
	v_cmp_lt_u32_e32 vcc_lo, 63, v18
	v_cndmask_b32_e64 v7, 0, 0xffffffc0, vcc_lo
	s_delay_alu instid0(VALU_DEP_1) | instskip(NEXT) | instid1(VALU_DEP_1)
	v_dual_mov_b32 v12, v20 :: v_dual_add_nc_u32 v7, v7, v18
	v_mad_u64_u32 v[20:21], null, 0x3c439041, v9, v[12:13]
	s_delay_alu instid0(VALU_DEP_2) | instskip(NEXT) | instid1(VALU_DEP_2)
	v_cmp_lt_u32_e64 s2, 31, v7
	v_mov_b32_e32 v12, v21
	s_delay_alu instid0(VALU_DEP_2) | instskip(NEXT) | instid1(VALU_DEP_2)
	v_cndmask_b32_e64 v17, 0, 0xffffffe0, s2
	v_mad_u64_u32 v[21:22], null, 0xdb629599, v9, v[12:13]
	s_delay_alu instid0(VALU_DEP_2) | instskip(NEXT) | instid1(VALU_DEP_1)
	v_add_nc_u32_e32 v7, v17, v7
	v_cmp_lt_u32_e64 s3, 31, v7
	s_delay_alu instid0(VALU_DEP_3) | instskip(NEXT) | instid1(VALU_DEP_1)
	v_dual_mov_b32 v12, v22 :: v_dual_cndmask_b32 v19, v21, v19
	v_mad_u64_u32 v[22:23], null, 0xf534ddc0, v9, v[12:13]
	s_delay_alu instid0(VALU_DEP_1) | instskip(NEXT) | instid1(VALU_DEP_1)
	v_mov_b32_e32 v12, v23
	v_mad_u64_u32 v[23:24], null, 0xfc2757d1, v9, v[12:13]
	s_delay_alu instid0(VALU_DEP_1) | instskip(NEXT) | instid1(VALU_DEP_1)
	v_mov_b32_e32 v12, v24
	v_mad_u64_u32 v[24:25], null, 0x4e441529, v9, v[12:13]
	s_delay_alu instid0(VALU_DEP_1) | instskip(NEXT) | instid1(VALU_DEP_1)
	v_dual_mov_b32 v12, v25 :: v_dual_cndmask_b32 v17, v24, v22
	v_mad_u64_u32 v[25:26], null, 0xa2f9836e, v9, v[12:13]
	v_cndmask_b32_e64 v12, 0, 0xffffffe0, s3
	s_delay_alu instid0(VALU_DEP_1) | instskip(NEXT) | instid1(VALU_DEP_3)
	v_add_nc_u32_e32 v7, v12, v7
	v_dual_cndmask_b32 v25, v25, v23 :: v_dual_cndmask_b32 v24, v26, v24
	v_dual_cndmask_b32 v23, v23, v21 :: v_dual_cndmask_b32 v12, v22, v20
	s_delay_alu instid0(VALU_DEP_3) | instskip(NEXT) | instid1(VALU_DEP_3)
	v_cmp_eq_u32_e64 s4, 0, v7
	v_cndmask_b32_e64 v20, v25, v17, s2
	s_delay_alu instid0(VALU_DEP_4) | instskip(NEXT) | instid1(VALU_DEP_4)
	v_cndmask_b32_e64 v22, v24, v25, s2
	v_cndmask_b32_e64 v17, v17, v23, s2
	v_sub_nc_u32_e32 v24, 32, v7
	v_cndmask_b32_e64 v23, v23, v12, s2
	v_cndmask_b32_e64 v12, v12, v19, s2
	;; [unrolled: 1-line block ×4, first 2 shown]
	s_delay_alu instid0(VALU_DEP_4) | instskip(NEXT) | instid1(VALU_DEP_4)
	v_cndmask_b32_e64 v17, v17, v23, s3
	v_cndmask_b32_e64 v12, v23, v12, s3
	s_delay_alu instid0(VALU_DEP_3) | instskip(NEXT) | instid1(VALU_DEP_3)
	v_alignbit_b32 v25, v22, v20, v24
	v_alignbit_b32 v26, v20, v17, v24
	s_delay_alu instid0(VALU_DEP_3) | instskip(NEXT) | instid1(VALU_DEP_3)
	v_alignbit_b32 v24, v17, v12, v24
	v_cndmask_b32_e64 v7, v25, v22, s4
	s_delay_alu instid0(VALU_DEP_3) | instskip(NEXT) | instid1(VALU_DEP_3)
	v_cndmask_b32_e64 v20, v26, v20, s4
	v_cndmask_b32_e64 v17, v24, v17, s4
	s_delay_alu instid0(VALU_DEP_3) | instskip(NEXT) | instid1(VALU_DEP_3)
	v_bfe_u32 v21, v7, 29, 1
	v_alignbit_b32 v19, v7, v20, 30
	s_delay_alu instid0(VALU_DEP_3) | instskip(SKIP_1) | instid1(VALU_DEP_4)
	v_alignbit_b32 v20, v20, v17, 30
	v_alignbit_b32 v12, v17, v12, 30
	v_sub_nc_u32_e32 v22, 0, v21
	s_delay_alu instid0(VALU_DEP_1) | instskip(SKIP_3) | instid1(VALU_DEP_4)
	v_xor_b32_e32 v23, v19, v22
	v_cmp_ne_u32_e32 vcc_lo, v19, v22
	v_xor_b32_e32 v17, v20, v22
	v_xor_b32_e32 v12, v12, v22
	v_clz_i32_u32_e32 v25, v23
	s_delay_alu instid0(VALU_DEP_1) | instskip(NEXT) | instid1(VALU_DEP_1)
	v_add_nc_u32_e32 v24, 1, v25
	v_cndmask_b32_e32 v19, 33, v24, vcc_lo
	s_delay_alu instid0(VALU_DEP_1) | instskip(NEXT) | instid1(VALU_DEP_1)
	v_sub_nc_u32_e32 v20, 32, v19
	v_alignbit_b32 v22, v23, v17, v20
	v_alignbit_b32 v12, v17, v12, v20
	v_lshrrev_b32_e32 v17, 29, v7
	s_delay_alu instid0(VALU_DEP_2) | instskip(NEXT) | instid1(VALU_DEP_2)
	v_alignbit_b32 v20, v22, v12, 9
	v_lshlrev_b32_e32 v17, 31, v17
	v_alignbit_b32 v22, v19, v22, 9
	s_delay_alu instid0(VALU_DEP_3) | instskip(NEXT) | instid1(VALU_DEP_2)
	v_clz_i32_u32_e32 v23, v20
	v_or_b32_e32 v22, v22, v17
	v_or_b32_e32 v17, 0x33800000, v17
	s_delay_alu instid0(VALU_DEP_3) | instskip(NEXT) | instid1(VALU_DEP_3)
	v_min_u32_e32 v23, 32, v23
	v_xor_b32_e32 v22, 1.0, v22
	s_delay_alu instid0(VALU_DEP_2) | instskip(SKIP_1) | instid1(VALU_DEP_3)
	v_sub_nc_u32_e32 v24, 31, v23
	v_add_lshl_u32 v19, v23, v19, 23
	v_mul_f32_e32 v23, 0x3fc90fda, v22
	s_delay_alu instid0(VALU_DEP_3) | instskip(NEXT) | instid1(VALU_DEP_3)
	v_alignbit_b32 v12, v20, v12, v24
	v_sub_nc_u32_e32 v17, v17, v19
	s_delay_alu instid0(VALU_DEP_3) | instskip(NEXT) | instid1(VALU_DEP_3)
	v_fma_f32 v19, 0x3fc90fda, v22, -v23
	v_lshrrev_b32_e32 v12, 9, v12
	s_delay_alu instid0(VALU_DEP_2) | instskip(NEXT) | instid1(VALU_DEP_2)
	v_fmac_f32_e32 v19, 0x33a22168, v22
	v_or_b32_e32 v12, v17, v12
	s_delay_alu instid0(VALU_DEP_1) | instskip(SKIP_1) | instid1(VALU_DEP_2)
	v_fmac_f32_e32 v19, 0x3fc90fda, v12
	v_lshrrev_b32_e32 v12, 30, v7
	v_add_f32_e32 v7, v23, v19
	s_delay_alu instid0(VALU_DEP_2)
	v_add_nc_u32_e32 v17, v21, v12
	s_and_not1_saveexec_b32 s2, s31
	s_branch .LBB95_57
.LBB95_56:                              ;   in Loop: Header=BB95_7 Depth=1
	s_and_not1_saveexec_b32 s2, s31
.LBB95_57:                              ;   in Loop: Header=BB95_7 Depth=1
	v_mul_f32_e64 v7, 0x3f22f983, |v10|
	s_delay_alu instid0(VALU_DEP_1) | instskip(NEXT) | instid1(VALU_DEP_1)
	v_rndne_f32_e32 v12, v7
	v_fma_f32 v7, 0xbfc90fda, v12, |v10|
	v_cvt_i32_f32_e32 v17, v12
	s_delay_alu instid0(VALU_DEP_2) | instskip(NEXT) | instid1(VALU_DEP_1)
	v_fmac_f32_e32 v7, 0xb3a22168, v12
	v_fmac_f32_e32 v7, 0xa7c234c4, v12
; %bb.58:                               ;   in Loop: Header=BB95_7 Depth=1
	s_or_b32 exec_lo, exec_lo, s2
                                        ; implicit-def: $vgpr19
                                        ; implicit-def: $vgpr12
	s_and_saveexec_b32 s2, s30
	s_delay_alu instid0(SALU_CYCLE_1)
	s_xor_b32 s30, exec_lo, s2
	s_cbranch_execz .LBB95_60
; %bb.59:                               ;   in Loop: Header=BB95_7 Depth=1
	v_mad_u64_u32 v[19:20], null, 0xfe5163ab, v9, 0
	v_cmp_lt_u32_e32 vcc_lo, 63, v18
	v_cndmask_b32_e64 v25, 0, 0xffffffc0, vcc_lo
	s_delay_alu instid0(VALU_DEP_3) | instskip(NEXT) | instid1(VALU_DEP_2)
	v_mov_b32_e32 v12, v20
	v_add_nc_u32_e32 v18, v25, v18
	s_delay_alu instid0(VALU_DEP_2) | instskip(NEXT) | instid1(VALU_DEP_2)
	v_mad_u64_u32 v[20:21], null, 0x3c439041, v9, v[12:13]
	v_cmp_lt_u32_e64 s2, 31, v18
	s_delay_alu instid0(VALU_DEP_2) | instskip(NEXT) | instid1(VALU_DEP_2)
	v_mov_b32_e32 v12, v21
	v_cndmask_b32_e64 v26, 0, 0xffffffe0, s2
	s_delay_alu instid0(VALU_DEP_2) | instskip(NEXT) | instid1(VALU_DEP_2)
	v_mad_u64_u32 v[21:22], null, 0xdb629599, v9, v[12:13]
	v_add_nc_u32_e32 v18, v26, v18
	s_delay_alu instid0(VALU_DEP_1) | instskip(NEXT) | instid1(VALU_DEP_3)
	v_cmp_lt_u32_e64 s3, 31, v18
	v_dual_mov_b32 v12, v22 :: v_dual_cndmask_b32 v19, v21, v19
	s_delay_alu instid0(VALU_DEP_1) | instskip(NEXT) | instid1(VALU_DEP_1)
	v_mad_u64_u32 v[22:23], null, 0xf534ddc0, v9, v[12:13]
	v_mov_b32_e32 v12, v23
	s_delay_alu instid0(VALU_DEP_1) | instskip(NEXT) | instid1(VALU_DEP_1)
	v_mad_u64_u32 v[23:24], null, 0xfc2757d1, v9, v[12:13]
	v_mov_b32_e32 v12, v24
	;; [unrolled: 3-line block ×3, first 2 shown]
	s_delay_alu instid0(VALU_DEP_1) | instskip(SKIP_1) | instid1(VALU_DEP_4)
	v_mad_u64_u32 v[25:26], null, 0xa2f9836e, v9, v[12:13]
	v_cndmask_b32_e64 v9, 0, 0xffffffe0, s3
	v_cndmask_b32_e32 v12, v24, v22, vcc_lo
	s_delay_alu instid0(VALU_DEP_2) | instskip(NEXT) | instid1(VALU_DEP_4)
	v_add_nc_u32_e32 v9, v9, v18
	v_dual_cndmask_b32 v25, v25, v23 :: v_dual_cndmask_b32 v24, v26, v24
	v_dual_cndmask_b32 v23, v23, v21 :: v_dual_cndmask_b32 v18, v22, v20
	s_delay_alu instid0(VALU_DEP_3) | instskip(NEXT) | instid1(VALU_DEP_3)
	v_cmp_eq_u32_e64 s4, 0, v9
	v_cndmask_b32_e64 v20, v25, v12, s2
	s_delay_alu instid0(VALU_DEP_4) | instskip(NEXT) | instid1(VALU_DEP_4)
	v_cndmask_b32_e64 v22, v24, v25, s2
	v_cndmask_b32_e64 v12, v12, v23, s2
	v_sub_nc_u32_e32 v24, 32, v9
	v_cndmask_b32_e64 v23, v23, v18, s2
	v_cndmask_b32_e64 v18, v18, v19, s2
	;; [unrolled: 1-line block ×4, first 2 shown]
	s_delay_alu instid0(VALU_DEP_4) | instskip(NEXT) | instid1(VALU_DEP_4)
	v_cndmask_b32_e64 v12, v12, v23, s3
	v_cndmask_b32_e64 v18, v23, v18, s3
	s_delay_alu instid0(VALU_DEP_3) | instskip(NEXT) | instid1(VALU_DEP_3)
	v_alignbit_b32 v25, v22, v20, v24
	v_alignbit_b32 v26, v20, v12, v24
	s_delay_alu instid0(VALU_DEP_3) | instskip(NEXT) | instid1(VALU_DEP_3)
	v_alignbit_b32 v24, v12, v18, v24
	v_cndmask_b32_e64 v9, v25, v22, s4
	s_delay_alu instid0(VALU_DEP_3) | instskip(NEXT) | instid1(VALU_DEP_3)
	v_cndmask_b32_e64 v20, v26, v20, s4
	v_cndmask_b32_e64 v12, v24, v12, s4
	s_delay_alu instid0(VALU_DEP_3) | instskip(NEXT) | instid1(VALU_DEP_3)
	v_bfe_u32 v21, v9, 29, 1
	v_alignbit_b32 v19, v9, v20, 30
	s_delay_alu instid0(VALU_DEP_3) | instskip(SKIP_1) | instid1(VALU_DEP_4)
	v_alignbit_b32 v20, v20, v12, 30
	v_alignbit_b32 v12, v12, v18, 30
	v_sub_nc_u32_e32 v22, 0, v21
	s_delay_alu instid0(VALU_DEP_1) | instskip(SKIP_3) | instid1(VALU_DEP_4)
	v_xor_b32_e32 v23, v19, v22
	v_cmp_ne_u32_e32 vcc_lo, v19, v22
	v_xor_b32_e32 v18, v20, v22
	v_xor_b32_e32 v12, v12, v22
	v_clz_i32_u32_e32 v25, v23
	s_delay_alu instid0(VALU_DEP_1) | instskip(NEXT) | instid1(VALU_DEP_1)
	v_add_nc_u32_e32 v24, 1, v25
	v_cndmask_b32_e32 v19, 33, v24, vcc_lo
	s_delay_alu instid0(VALU_DEP_1) | instskip(NEXT) | instid1(VALU_DEP_1)
	v_sub_nc_u32_e32 v20, 32, v19
	v_alignbit_b32 v22, v23, v18, v20
	v_alignbit_b32 v12, v18, v12, v20
	v_lshrrev_b32_e32 v18, 29, v9
	v_lshrrev_b32_e32 v9, 30, v9
	s_delay_alu instid0(VALU_DEP_3) | instskip(NEXT) | instid1(VALU_DEP_3)
	v_alignbit_b32 v20, v22, v12, 9
	v_lshlrev_b32_e32 v18, 31, v18
	v_alignbit_b32 v22, v19, v22, 9
	s_delay_alu instid0(VALU_DEP_3) | instskip(NEXT) | instid1(VALU_DEP_2)
	v_clz_i32_u32_e32 v23, v20
	v_or_b32_e32 v22, v22, v18
	v_or_b32_e32 v18, 0x33800000, v18
	s_delay_alu instid0(VALU_DEP_3) | instskip(NEXT) | instid1(VALU_DEP_3)
	v_min_u32_e32 v23, 32, v23
	v_xor_b32_e32 v22, 1.0, v22
	s_delay_alu instid0(VALU_DEP_2) | instskip(SKIP_1) | instid1(VALU_DEP_3)
	v_sub_nc_u32_e32 v24, 31, v23
	v_add_lshl_u32 v19, v23, v19, 23
	v_mul_f32_e32 v23, 0x3fc90fda, v22
	s_delay_alu instid0(VALU_DEP_3) | instskip(NEXT) | instid1(VALU_DEP_3)
	v_alignbit_b32 v12, v20, v12, v24
	v_sub_nc_u32_e32 v18, v18, v19
	s_delay_alu instid0(VALU_DEP_3) | instskip(NEXT) | instid1(VALU_DEP_3)
	v_fma_f32 v19, 0x3fc90fda, v22, -v23
	v_lshrrev_b32_e32 v12, 9, v12
	s_delay_alu instid0(VALU_DEP_2) | instskip(NEXT) | instid1(VALU_DEP_2)
	v_fmac_f32_e32 v19, 0x33a22168, v22
	v_or_b32_e32 v12, v18, v12
	s_delay_alu instid0(VALU_DEP_1) | instskip(NEXT) | instid1(VALU_DEP_1)
	v_fmac_f32_e32 v19, 0x3fc90fda, v12
	v_dual_add_f32 v12, v23, v19 :: v_dual_add_nc_u32 v19, v21, v9
	s_and_not1_saveexec_b32 s2, s30
	s_cbranch_execnz .LBB95_61
	s_branch .LBB95_62
.LBB95_60:                              ;   in Loop: Header=BB95_7 Depth=1
	s_and_not1_saveexec_b32 s2, s30
.LBB95_61:                              ;   in Loop: Header=BB95_7 Depth=1
	v_mul_f32_e64 v9, 0x3f22f983, |v10|
	s_delay_alu instid0(VALU_DEP_1) | instskip(NEXT) | instid1(VALU_DEP_1)
	v_rndne_f32_e32 v9, v9
	v_fma_f32 v12, 0xbfc90fda, v9, |v10|
	v_cvt_i32_f32_e32 v19, v9
	s_delay_alu instid0(VALU_DEP_2) | instskip(NEXT) | instid1(VALU_DEP_1)
	v_fmac_f32_e32 v12, 0xb3a22168, v9
	v_fmac_f32_e32 v12, 0xa7c234c4, v9
.LBB95_62:                              ;   in Loop: Header=BB95_7 Depth=1
	s_or_b32 exec_lo, exec_lo, s2
	v_dual_mul_f32 v9, v7, v7 :: v_dual_and_b32 v18, 1, v17
	v_mul_f32_e64 v20, 0xbfb8aa3b, |v11|
	s_delay_alu instid0(VALU_DEP_3) | instskip(NEXT) | instid1(VALU_DEP_3)
	v_mul_f32_e32 v23, v12, v12
	v_fmaak_f32 v21, s25, v9, 0x3c0881c4
	v_fmaak_f32 v22, s26, v9, 0xbab64f3b
	v_lshlrev_b32_e32 v17, 30, v17
	v_rndne_f32_e32 v24, v20
	v_fma_f32 v25, 0xbfb8aa3b, |v11|, -v20
	v_fmaak_f32 v26, s25, v23, 0x3c0881c4
	v_fmaak_f32 v22, v9, v22, 0x3d2aabf7
	s_delay_alu instid0(VALU_DEP_4) | instskip(NEXT) | instid1(VALU_DEP_4)
	v_dual_fmaak_f32 v21, v9, v21, 0xbe2aaa9d :: v_dual_sub_f32 v20, v20, v24
	v_fma_f32 v25, 0xb2a5705f, |v11|, v25
	v_fmaak_f32 v27, s26, v23, 0xbab64f3b
	s_delay_alu instid0(VALU_DEP_3) | instskip(SKIP_1) | instid1(VALU_DEP_4)
	v_dual_fmaak_f32 v26, v23, v26, 0xbe2aaa9d :: v_dual_mul_f32 v21, v9, v21
	v_fmaak_f32 v22, v9, v22, 0xbf000004
	v_add_f32_e32 v20, v20, v25
	v_and_b32_e32 v17, 0x80000000, v17
	v_cmp_eq_u32_e32 vcc_lo, 0, v18
	v_fmac_f32_e32 v7, v7, v21
	v_fma_f32 v9, v9, v22, 1.0
	v_mul_f32_e32 v22, v23, v26
	v_fmaak_f32 v21, v23, v27, 0x3d2aabf7
	v_exp_f32_e32 v20, v20
	v_and_b32_e32 v18, 1, v19
	s_delay_alu instid0(VALU_DEP_3) | instskip(NEXT) | instid1(VALU_DEP_3)
	v_dual_cndmask_b32 v7, v9, v7 :: v_dual_fmac_f32 v12, v12, v22
	v_fmaak_f32 v9, v23, v21, 0xbf000004
	v_xor_b32_e32 v8, v8, v17
	v_cvt_i32_f32_e32 v17, v24
	v_cmp_eq_u32_e32 vcc_lo, 0, v18
	s_delay_alu instid0(VALU_DEP_4) | instskip(NEXT) | instid1(VALU_DEP_4)
	v_fma_f32 v9, v23, v9, 1.0
	v_xor3_b32 v7, v8, v7, v10
	s_delay_alu instid0(TRANS32_DEP_1) | instid1(VALU_DEP_4)
	v_ldexp_f32 v8, v20, v17
	s_delay_alu instid0(VALU_DEP_3) | instskip(SKIP_1) | instid1(VALU_DEP_3)
	v_cndmask_b32_e64 v9, -v12, v9, vcc_lo
	v_cmp_nlt_f32_e64 vcc_lo, 0x42ce8ed0, |v11|
	v_dual_mul_f32 v7, 4.0, v7 :: v_dual_cndmask_b32 v8, 0, v8
	v_cmp_ngt_f32_e64 vcc_lo, 0xc2b17218, |v11|
	s_delay_alu instid0(VALU_DEP_2) | instskip(NEXT) | instid1(VALU_DEP_1)
	v_dual_cndmask_b32 v8, 0x7f800000, v8 :: v_dual_lshlrev_b32 v19, 30, v19
	v_and_b32_e32 v10, 0x80000000, v19
	s_delay_alu instid0(VALU_DEP_1) | instskip(NEXT) | instid1(VALU_DEP_1)
	v_xor_b32_e32 v9, v10, v9
	v_mul_f32_e32 v7, v7, v9
	v_xor_b32_e32 v9, 0x80000000, v11
	s_delay_alu instid0(VALU_DEP_2) | instskip(NEXT) | instid1(VALU_DEP_2)
	v_mul_f32_e32 v7, v8, v7
	v_bfi_b32 v17, 0x7fffffff, 1.0, v9
	s_delay_alu instid0(VALU_DEP_2)
	v_mul_f32_e32 v7, v8, v7
.LBB95_63:                              ;   in Loop: Header=BB95_7 Depth=1
	s_or_b32 exec_lo, exec_lo, s29
                                        ; implicit-def: $vgpr8_vgpr9_vgpr10_vgpr11
.LBB95_64:                              ;   in Loop: Header=BB95_7 Depth=1
	s_and_not1_saveexec_b32 s2, s28
; %bb.65:                               ;   in Loop: Header=BB95_7 Depth=1
	v_sub_f32_e32 v7, v10, v10
	s_delay_alu instid0(VALU_DEP_1)
	v_mov_b32_e32 v17, v7
; %bb.66:                               ;   in Loop: Header=BB95_7 Depth=1
	s_or_b32 exec_lo, exec_lo, s2
                                        ; implicit-def: $vgpr8_vgpr9_vgpr10_vgpr11
.LBB95_67:                              ;   in Loop: Header=BB95_7 Depth=1
	s_and_not1_saveexec_b32 s27, s27
	s_cbranch_execz .LBB95_83
; %bb.68:                               ;   in Loop: Header=BB95_7 Depth=1
	v_xor_b32_e32 v17, 0x80000000, v11
	s_mov_b32 s2, exec_lo
	s_delay_alu instid0(VALU_DEP_1) | instskip(NEXT) | instid1(VALU_DEP_1)
	v_and_b32_e32 v7, 0x7fffff, v17
	v_cmpx_ne_u32_e32 0, v7
	s_xor_b32 s2, exec_lo, s2
; %bb.69:                               ;   in Loop: Header=BB95_7 Depth=1
	v_mul_f32_e64 v7, v10, -v11
	v_cmp_eq_f32_e32 vcc_lo, 0, v10
	s_delay_alu instid0(VALU_DEP_2)
	v_cndmask_b32_e32 v7, v7, v10, vcc_lo
                                        ; implicit-def: $vgpr8_vgpr9_vgpr10_vgpr11
; %bb.70:                               ;   in Loop: Header=BB95_7 Depth=1
	s_and_not1_saveexec_b32 s28, s2
	s_cbranch_execz .LBB95_82
; %bb.71:                               ;   in Loop: Header=BB95_7 Depth=1
	s_mov_b32 s29, exec_lo
	v_cmpx_neq_f32_e64 0x7f800000, |v10|
	s_cbranch_execz .LBB95_81
; %bb.72:                               ;   in Loop: Header=BB95_7 Depth=1
	v_and_b32_e32 v7, 0x7fffffff, v10
	v_cmp_ngt_f32_e64 s30, 0x48000000, |v10|
                                        ; implicit-def: $vgpr9
	s_delay_alu instid0(VALU_DEP_2) | instskip(SKIP_1) | instid1(VALU_DEP_2)
	v_lshrrev_b32_e32 v8, 23, v7
	v_and_or_b32 v11, v7, s21, 0x800000
	v_add_nc_u32_e32 v18, 0xffffff88, v8
                                        ; implicit-def: $vgpr8
	s_delay_alu instid0(VALU_DEP_4) | instskip(NEXT) | instid1(SALU_CYCLE_1)
	s_and_saveexec_b32 s2, s30
	s_xor_b32 s31, exec_lo, s2
	s_cbranch_execz .LBB95_74
; %bb.73:                               ;   in Loop: Header=BB95_7 Depth=1
	v_mad_u64_u32 v[8:9], null, 0xfe5163ab, v11, 0
	v_cmp_lt_u32_e32 vcc_lo, 63, v18
	s_delay_alu instid0(VALU_DEP_2) | instskip(SKIP_1) | instid1(VALU_DEP_2)
	v_mov_b32_e32 v12, v9
	v_cndmask_b32_e64 v9, 0, 0xffffffc0, vcc_lo
	v_mad_u64_u32 v[19:20], null, 0x3c439041, v11, v[12:13]
	s_delay_alu instid0(VALU_DEP_2) | instskip(NEXT) | instid1(VALU_DEP_1)
	v_add_nc_u32_e32 v9, v9, v18
	v_cmp_lt_u32_e64 s2, 31, v9
	s_delay_alu instid0(VALU_DEP_3) | instskip(NEXT) | instid1(VALU_DEP_2)
	v_mov_b32_e32 v12, v20
	v_cndmask_b32_e64 v25, 0, 0xffffffe0, s2
	s_delay_alu instid0(VALU_DEP_2) | instskip(NEXT) | instid1(VALU_DEP_2)
	v_mad_u64_u32 v[20:21], null, 0xdb629599, v11, v[12:13]
	v_add_nc_u32_e32 v9, v25, v9
	s_delay_alu instid0(VALU_DEP_2) | instskip(NEXT) | instid1(VALU_DEP_3)
	v_mov_b32_e32 v12, v21
	v_cndmask_b32_e32 v8, v20, v8, vcc_lo
	s_delay_alu instid0(VALU_DEP_3) | instskip(NEXT) | instid1(VALU_DEP_3)
	v_cmp_lt_u32_e64 s3, 31, v9
	v_mad_u64_u32 v[21:22], null, 0xf534ddc0, v11, v[12:13]
	s_delay_alu instid0(VALU_DEP_1) | instskip(NEXT) | instid1(VALU_DEP_1)
	v_mov_b32_e32 v12, v22
	v_mad_u64_u32 v[22:23], null, 0xfc2757d1, v11, v[12:13]
	s_delay_alu instid0(VALU_DEP_1) | instskip(NEXT) | instid1(VALU_DEP_1)
	v_mov_b32_e32 v12, v23
	v_mad_u64_u32 v[23:24], null, 0x4e441529, v11, v[12:13]
	s_delay_alu instid0(VALU_DEP_1) | instskip(NEXT) | instid1(VALU_DEP_2)
	v_mov_b32_e32 v12, v24
	v_cndmask_b32_e32 v26, v23, v21, vcc_lo
	s_delay_alu instid0(VALU_DEP_2) | instskip(SKIP_1) | instid1(VALU_DEP_1)
	v_mad_u64_u32 v[24:25], null, 0xa2f9836e, v11, v[12:13]
	v_cndmask_b32_e64 v12, 0, 0xffffffe0, s3
	v_add_nc_u32_e32 v9, v12, v9
	s_delay_alu instid0(VALU_DEP_3) | instskip(SKIP_2) | instid1(VALU_DEP_4)
	v_dual_cndmask_b32 v24, v24, v22 :: v_dual_cndmask_b32 v23, v25, v23
	v_cndmask_b32_e32 v22, v22, v20, vcc_lo
	v_cndmask_b32_e32 v12, v21, v19, vcc_lo
	v_cmp_eq_u32_e64 s4, 0, v9
	s_delay_alu instid0(VALU_DEP_4)
	v_cndmask_b32_e64 v19, v24, v26, s2
	v_cndmask_b32_e64 v21, v23, v24, s2
	;; [unrolled: 1-line block ×3, first 2 shown]
	v_sub_nc_u32_e32 v24, 32, v9
	v_cndmask_b32_e64 v22, v22, v12, s2
	v_cndmask_b32_e64 v8, v12, v8, s2
	;; [unrolled: 1-line block ×4, first 2 shown]
	s_delay_alu instid0(VALU_DEP_4) | instskip(NEXT) | instid1(VALU_DEP_4)
	v_cndmask_b32_e64 v23, v23, v22, s3
	v_cndmask_b32_e64 v8, v22, v8, s3
	s_delay_alu instid0(VALU_DEP_3) | instskip(NEXT) | instid1(VALU_DEP_3)
	v_alignbit_b32 v25, v21, v19, v24
	v_alignbit_b32 v26, v19, v23, v24
	s_delay_alu instid0(VALU_DEP_3) | instskip(NEXT) | instid1(VALU_DEP_3)
	v_alignbit_b32 v24, v23, v8, v24
	v_cndmask_b32_e64 v9, v25, v21, s4
	s_delay_alu instid0(VALU_DEP_3) | instskip(NEXT) | instid1(VALU_DEP_3)
	v_cndmask_b32_e64 v19, v26, v19, s4
	v_cndmask_b32_e64 v23, v24, v23, s4
	s_delay_alu instid0(VALU_DEP_3) | instskip(NEXT) | instid1(VALU_DEP_3)
	v_bfe_u32 v20, v9, 29, 1
	v_alignbit_b32 v12, v9, v19, 30
	s_delay_alu instid0(VALU_DEP_3) | instskip(SKIP_1) | instid1(VALU_DEP_4)
	v_alignbit_b32 v19, v19, v23, 30
	v_alignbit_b32 v8, v23, v8, 30
	v_sub_nc_u32_e32 v21, 0, v20
	s_delay_alu instid0(VALU_DEP_1) | instskip(SKIP_3) | instid1(VALU_DEP_4)
	v_xor_b32_e32 v22, v12, v21
	v_cmp_ne_u32_e32 vcc_lo, v12, v21
	v_xor_b32_e32 v19, v19, v21
	v_xor_b32_e32 v8, v8, v21
	v_clz_i32_u32_e32 v25, v22
	s_delay_alu instid0(VALU_DEP_1) | instskip(NEXT) | instid1(VALU_DEP_1)
	v_add_nc_u32_e32 v24, 1, v25
	v_cndmask_b32_e32 v12, 33, v24, vcc_lo
	s_delay_alu instid0(VALU_DEP_1) | instskip(NEXT) | instid1(VALU_DEP_1)
	v_sub_nc_u32_e32 v23, 32, v12
	v_alignbit_b32 v21, v22, v19, v23
	v_alignbit_b32 v8, v19, v8, v23
	v_lshrrev_b32_e32 v19, 29, v9
	v_lshrrev_b32_e32 v9, 30, v9
	s_delay_alu instid0(VALU_DEP_3) | instskip(NEXT) | instid1(VALU_DEP_3)
	v_alignbit_b32 v22, v21, v8, 9
	v_lshlrev_b32_e32 v19, 31, v19
	s_delay_alu instid0(VALU_DEP_3) | instskip(SKIP_1) | instid1(VALU_DEP_4)
	v_add_nc_u32_e32 v9, v20, v9
	v_alignbit_b32 v21, v12, v21, 9
	v_clz_i32_u32_e32 v23, v22
	s_delay_alu instid0(VALU_DEP_2) | instskip(SKIP_1) | instid1(VALU_DEP_3)
	v_or_b32_e32 v21, v21, v19
	v_or_b32_e32 v19, 0x33800000, v19
	v_min_u32_e32 v23, 32, v23
	s_delay_alu instid0(VALU_DEP_3) | instskip(NEXT) | instid1(VALU_DEP_2)
	v_xor_b32_e32 v21, 1.0, v21
	v_sub_nc_u32_e32 v24, 31, v23
	v_add_lshl_u32 v12, v23, v12, 23
	s_delay_alu instid0(VALU_DEP_3) | instskip(NEXT) | instid1(VALU_DEP_3)
	v_mul_f32_e32 v23, 0x3fc90fda, v21
	v_alignbit_b32 v8, v22, v8, v24
	s_delay_alu instid0(VALU_DEP_3) | instskip(NEXT) | instid1(VALU_DEP_3)
	v_sub_nc_u32_e32 v12, v19, v12
	v_fma_f32 v19, 0x3fc90fda, v21, -v23
	s_delay_alu instid0(VALU_DEP_3) | instskip(NEXT) | instid1(VALU_DEP_2)
	v_lshrrev_b32_e32 v8, 9, v8
	v_fmac_f32_e32 v19, 0x33a22168, v21
	s_delay_alu instid0(VALU_DEP_2) | instskip(NEXT) | instid1(VALU_DEP_1)
	v_or_b32_e32 v8, v12, v8
	v_fmac_f32_e32 v19, 0x3fc90fda, v8
	s_delay_alu instid0(VALU_DEP_1)
	v_add_f32_e32 v8, v23, v19
.LBB95_74:                              ;   in Loop: Header=BB95_7 Depth=1
	s_or_saveexec_b32 s2, s31
	v_mul_f32_e64 v12, 0x3f22f983, |v10|
	s_delay_alu instid0(VALU_DEP_1)
	v_rndne_f32_e32 v20, v12
	s_xor_b32 exec_lo, exec_lo, s2
; %bb.75:                               ;   in Loop: Header=BB95_7 Depth=1
	s_delay_alu instid0(VALU_DEP_1) | instskip(SKIP_1) | instid1(VALU_DEP_2)
	v_fma_f32 v8, 0xbfc90fda, v20, |v10|
	v_cvt_i32_f32_e32 v9, v20
	v_fmac_f32_e32 v8, 0xb3a22168, v20
	s_delay_alu instid0(VALU_DEP_1)
	v_fmac_f32_e32 v8, 0xa7c234c4, v20
; %bb.76:                               ;   in Loop: Header=BB95_7 Depth=1
	s_or_b32 exec_lo, exec_lo, s2
                                        ; implicit-def: $vgpr19
                                        ; implicit-def: $vgpr12
	s_and_saveexec_b32 s2, s30
	s_delay_alu instid0(SALU_CYCLE_1)
	s_xor_b32 s30, exec_lo, s2
	s_cbranch_execz .LBB95_78
; %bb.77:                               ;   in Loop: Header=BB95_7 Depth=1
	v_mad_u64_u32 v[19:20], null, 0xfe5163ab, v11, 0
	v_cmp_lt_u32_e32 vcc_lo, 63, v18
	v_cndmask_b32_e64 v25, 0, 0xffffffc0, vcc_lo
	s_delay_alu instid0(VALU_DEP_3) | instskip(NEXT) | instid1(VALU_DEP_2)
	v_mov_b32_e32 v12, v20
	v_add_nc_u32_e32 v18, v25, v18
	s_delay_alu instid0(VALU_DEP_2) | instskip(NEXT) | instid1(VALU_DEP_2)
	v_mad_u64_u32 v[20:21], null, 0x3c439041, v11, v[12:13]
	v_cmp_lt_u32_e64 s2, 31, v18
	s_delay_alu instid0(VALU_DEP_2) | instskip(NEXT) | instid1(VALU_DEP_2)
	v_mov_b32_e32 v12, v21
	v_cndmask_b32_e64 v26, 0, 0xffffffe0, s2
	s_delay_alu instid0(VALU_DEP_2) | instskip(NEXT) | instid1(VALU_DEP_2)
	v_mad_u64_u32 v[21:22], null, 0xdb629599, v11, v[12:13]
	v_add_nc_u32_e32 v18, v26, v18
	s_delay_alu instid0(VALU_DEP_1) | instskip(NEXT) | instid1(VALU_DEP_3)
	v_cmp_lt_u32_e64 s3, 31, v18
	v_dual_mov_b32 v12, v22 :: v_dual_cndmask_b32 v19, v21, v19
	s_delay_alu instid0(VALU_DEP_1) | instskip(NEXT) | instid1(VALU_DEP_1)
	v_mad_u64_u32 v[22:23], null, 0xf534ddc0, v11, v[12:13]
	v_mov_b32_e32 v12, v23
	s_delay_alu instid0(VALU_DEP_1) | instskip(NEXT) | instid1(VALU_DEP_1)
	v_mad_u64_u32 v[23:24], null, 0xfc2757d1, v11, v[12:13]
	v_mov_b32_e32 v12, v24
	;; [unrolled: 3-line block ×3, first 2 shown]
	s_delay_alu instid0(VALU_DEP_1) | instskip(SKIP_1) | instid1(VALU_DEP_4)
	v_mad_u64_u32 v[25:26], null, 0xa2f9836e, v11, v[12:13]
	v_cndmask_b32_e64 v11, 0, 0xffffffe0, s3
	v_cndmask_b32_e32 v12, v24, v22, vcc_lo
	s_delay_alu instid0(VALU_DEP_2) | instskip(NEXT) | instid1(VALU_DEP_4)
	v_add_nc_u32_e32 v11, v11, v18
	v_dual_cndmask_b32 v25, v25, v23 :: v_dual_cndmask_b32 v24, v26, v24
	v_dual_cndmask_b32 v23, v23, v21 :: v_dual_cndmask_b32 v18, v22, v20
	s_delay_alu instid0(VALU_DEP_3) | instskip(NEXT) | instid1(VALU_DEP_3)
	v_cmp_eq_u32_e64 s4, 0, v11
	v_cndmask_b32_e64 v20, v25, v12, s2
	s_delay_alu instid0(VALU_DEP_4) | instskip(NEXT) | instid1(VALU_DEP_4)
	v_cndmask_b32_e64 v22, v24, v25, s2
	v_cndmask_b32_e64 v12, v12, v23, s2
	v_sub_nc_u32_e32 v24, 32, v11
	v_cndmask_b32_e64 v23, v23, v18, s2
	v_cndmask_b32_e64 v18, v18, v19, s2
	;; [unrolled: 1-line block ×4, first 2 shown]
	s_delay_alu instid0(VALU_DEP_4) | instskip(NEXT) | instid1(VALU_DEP_4)
	v_cndmask_b32_e64 v12, v12, v23, s3
	v_cndmask_b32_e64 v18, v23, v18, s3
	s_delay_alu instid0(VALU_DEP_3) | instskip(NEXT) | instid1(VALU_DEP_3)
	v_alignbit_b32 v25, v22, v20, v24
	v_alignbit_b32 v26, v20, v12, v24
	s_delay_alu instid0(VALU_DEP_3) | instskip(NEXT) | instid1(VALU_DEP_3)
	v_alignbit_b32 v24, v12, v18, v24
	v_cndmask_b32_e64 v11, v25, v22, s4
	s_delay_alu instid0(VALU_DEP_3) | instskip(NEXT) | instid1(VALU_DEP_3)
	v_cndmask_b32_e64 v20, v26, v20, s4
	v_cndmask_b32_e64 v12, v24, v12, s4
	s_delay_alu instid0(VALU_DEP_3) | instskip(NEXT) | instid1(VALU_DEP_3)
	v_bfe_u32 v21, v11, 29, 1
	v_alignbit_b32 v19, v11, v20, 30
	s_delay_alu instid0(VALU_DEP_3) | instskip(SKIP_1) | instid1(VALU_DEP_4)
	v_alignbit_b32 v20, v20, v12, 30
	v_alignbit_b32 v12, v12, v18, 30
	v_sub_nc_u32_e32 v22, 0, v21
	s_delay_alu instid0(VALU_DEP_1) | instskip(SKIP_3) | instid1(VALU_DEP_4)
	v_xor_b32_e32 v23, v19, v22
	v_cmp_ne_u32_e32 vcc_lo, v19, v22
	v_xor_b32_e32 v18, v20, v22
	v_xor_b32_e32 v12, v12, v22
	v_clz_i32_u32_e32 v25, v23
	s_delay_alu instid0(VALU_DEP_1) | instskip(NEXT) | instid1(VALU_DEP_1)
	v_add_nc_u32_e32 v24, 1, v25
	v_cndmask_b32_e32 v19, 33, v24, vcc_lo
	s_delay_alu instid0(VALU_DEP_1) | instskip(NEXT) | instid1(VALU_DEP_1)
	v_sub_nc_u32_e32 v20, 32, v19
	v_alignbit_b32 v22, v23, v18, v20
	v_alignbit_b32 v12, v18, v12, v20
	v_lshrrev_b32_e32 v18, 29, v11
	v_lshrrev_b32_e32 v11, 30, v11
	s_delay_alu instid0(VALU_DEP_3) | instskip(NEXT) | instid1(VALU_DEP_3)
	v_alignbit_b32 v20, v22, v12, 9
	v_lshlrev_b32_e32 v18, 31, v18
	v_alignbit_b32 v22, v19, v22, 9
	s_delay_alu instid0(VALU_DEP_3) | instskip(NEXT) | instid1(VALU_DEP_2)
	v_clz_i32_u32_e32 v23, v20
	v_or_b32_e32 v22, v22, v18
	v_or_b32_e32 v18, 0x33800000, v18
	s_delay_alu instid0(VALU_DEP_3) | instskip(NEXT) | instid1(VALU_DEP_3)
	v_min_u32_e32 v23, 32, v23
	v_xor_b32_e32 v22, 1.0, v22
	s_delay_alu instid0(VALU_DEP_2) | instskip(SKIP_1) | instid1(VALU_DEP_3)
	v_sub_nc_u32_e32 v24, 31, v23
	v_add_lshl_u32 v19, v23, v19, 23
	v_mul_f32_e32 v23, 0x3fc90fda, v22
	s_delay_alu instid0(VALU_DEP_3) | instskip(NEXT) | instid1(VALU_DEP_3)
	v_alignbit_b32 v12, v20, v12, v24
	v_sub_nc_u32_e32 v18, v18, v19
	s_delay_alu instid0(VALU_DEP_3) | instskip(NEXT) | instid1(VALU_DEP_3)
	v_fma_f32 v19, 0x3fc90fda, v22, -v23
                                        ; implicit-def: $vgpr20
	v_lshrrev_b32_e32 v12, 9, v12
	s_delay_alu instid0(VALU_DEP_2) | instskip(NEXT) | instid1(VALU_DEP_2)
	v_fmac_f32_e32 v19, 0x33a22168, v22
	v_or_b32_e32 v12, v18, v12
	s_delay_alu instid0(VALU_DEP_1) | instskip(NEXT) | instid1(VALU_DEP_1)
	v_fmac_f32_e32 v19, 0x3fc90fda, v12
	v_add_f32_e32 v12, v23, v19
	v_add_nc_u32_e32 v19, v21, v11
	s_and_not1_saveexec_b32 s2, s30
	s_cbranch_execnz .LBB95_79
	s_branch .LBB95_80
.LBB95_78:                              ;   in Loop: Header=BB95_7 Depth=1
	s_and_not1_saveexec_b32 s2, s30
.LBB95_79:                              ;   in Loop: Header=BB95_7 Depth=1
	v_fma_f32 v12, 0xbfc90fda, v20, |v10|
	v_cvt_i32_f32_e32 v19, v20
	s_delay_alu instid0(VALU_DEP_2) | instskip(NEXT) | instid1(VALU_DEP_1)
	v_fmac_f32_e32 v12, 0xb3a22168, v20
	v_fmac_f32_e32 v12, 0xa7c234c4, v20
.LBB95_80:                              ;   in Loop: Header=BB95_7 Depth=1
	s_or_b32 exec_lo, exec_lo, s2
	v_dual_mul_f32 v11, v8, v8 :: v_dual_and_b32 v18, 1, v9
	s_delay_alu instid0(VALU_DEP_2) | instskip(NEXT) | instid1(VALU_DEP_2)
	v_dual_mul_f32 v20, v12, v12 :: v_dual_lshlrev_b32 v9, 30, v9
	v_fmaak_f32 v21, s25, v11, 0x3c0881c4
	s_delay_alu instid0(VALU_DEP_2) | instskip(SKIP_1) | instid1(VALU_DEP_3)
	v_dual_fmaak_f32 v22, s26, v11, 0xbab64f3b :: v_dual_fmaak_f32 v25, s26, v20, 0xbab64f3b
	v_dual_fmaak_f32 v24, s25, v20, 0x3c0881c4 :: v_dual_and_b32 v23, 1, v19
	v_fmaak_f32 v21, v11, v21, 0xbe2aaa9d
	s_delay_alu instid0(VALU_DEP_3) | instskip(SKIP_1) | instid1(VALU_DEP_3)
	v_dual_fmaak_f32 v22, v11, v22, 0x3d2aabf7 :: v_dual_lshlrev_b32 v19, 30, v19
	v_cmp_eq_u32_e32 vcc_lo, 0, v18
	v_dual_fmaak_f32 v24, v20, v24, 0xbe2aaa9d :: v_dual_mul_f32 v21, v11, v21
	s_delay_alu instid0(VALU_DEP_3) | instskip(NEXT) | instid1(VALU_DEP_2)
	v_fmaak_f32 v22, v11, v22, 0xbf000004
	v_mul_f32_e32 v24, v20, v24
	s_delay_alu instid0(VALU_DEP_3) | instskip(NEXT) | instid1(VALU_DEP_3)
	v_fmac_f32_e32 v8, v8, v21
	v_fma_f32 v11, v11, v22, 1.0
	v_fmaak_f32 v25, v20, v25, 0x3d2aabf7
	s_delay_alu instid0(VALU_DEP_4) | instskip(NEXT) | instid1(VALU_DEP_2)
	v_dual_fmac_f32 v12, v12, v24 :: v_dual_and_b32 v9, 0x80000000, v9
	v_dual_cndmask_b32 v8, v11, v8 :: v_dual_fmaak_f32 v25, v20, v25, 0xbf000004
	s_delay_alu instid0(VALU_DEP_2) | instskip(SKIP_2) | instid1(VALU_DEP_4)
	v_xor_b32_e32 v7, v7, v9
	v_cmp_eq_u32_e32 vcc_lo, 0, v23
	v_and_b32_e32 v11, 0x80000000, v19
	v_fma_f32 v9, v20, v25, 1.0
	s_delay_alu instid0(VALU_DEP_4) | instskip(NEXT) | instid1(VALU_DEP_2)
	v_xor3_b32 v7, v7, v8, v10
	v_cndmask_b32_e64 v9, -v12, v9, vcc_lo
	v_cmp_class_f32_e64 vcc_lo, v10, 0x1f8
	s_delay_alu instid0(VALU_DEP_2) | instskip(NEXT) | instid1(VALU_DEP_1)
	v_xor_b32_e32 v8, v11, v9
	v_mul_f32_e32 v7, v7, v8
	s_delay_alu instid0(VALU_DEP_1)
	v_cndmask_b32_e32 v10, 0x7fc00000, v7, vcc_lo
.LBB95_81:                              ;   in Loop: Header=BB95_7 Depth=1
	s_or_b32 exec_lo, exec_lo, s29
	v_add_nc_u32_e32 v17, -2.0, v17
	s_delay_alu instid0(VALU_DEP_2)
	v_bfi_b32 v7, 0x7fffffff, 0, v10
.LBB95_82:                              ;   in Loop: Header=BB95_7 Depth=1
	s_or_b32 exec_lo, exec_lo, s28
.LBB95_83:                              ;   in Loop: Header=BB95_7 Depth=1
	s_delay_alu instid0(SALU_CYCLE_1) | instskip(SKIP_3) | instid1(VALU_DEP_1)
	s_or_b32 exec_lo, exec_lo, s27
	s_waitcnt vmcnt(0)
	v_and_b32_e32 v11, 0x7fffffff, v2
                                        ; implicit-def: $vgpr9
                                        ; implicit-def: $vgpr8
	s_mov_b32 s2, exec_lo
	v_cmpx_gt_u32_e32 0x7f800000, v11
	s_xor_b32 s27, exec_lo, s2
	s_cbranch_execz .LBB95_105
; %bb.84:                               ;   in Loop: Header=BB95_7 Depth=1
	v_cmp_class_f32_e64 s2, v1, 0x1f8
                                        ; implicit-def: $vgpr9
                                        ; implicit-def: $vgpr8
	s_delay_alu instid0(VALU_DEP_1) | instskip(NEXT) | instid1(SALU_CYCLE_1)
	s_and_saveexec_b32 s3, s2
	s_xor_b32 s28, exec_lo, s3
	s_cbranch_execz .LBB95_102
; %bb.85:                               ;   in Loop: Header=BB95_7 Depth=1
	v_and_b32_e32 v10, 0x7fffffff, v1
                                        ; implicit-def: $vgpr9
                                        ; implicit-def: $vgpr8
	s_mov_b32 s2, exec_lo
	v_cmpx_gt_u32_e32 0x41300000, v11
	s_xor_b32 s29, exec_lo, s2
	s_cbranch_execz .LBB95_91
; %bb.86:                               ;   in Loop: Header=BB95_7 Depth=1
                                        ; implicit-def: $vgpr8
                                        ; implicit-def: $vgpr9
	s_mov_b32 s3, exec_lo
	v_cmpx_ngt_f32_e64 0x48000000, |v1|
	s_xor_b32 s30, exec_lo, s3
	s_cbranch_execz .LBB95_88
; %bb.87:                               ;   in Loop: Header=BB95_7 Depth=1
	v_and_or_b32 v11, v10, s21, 0x800000
	s_delay_alu instid0(VALU_DEP_1) | instskip(NEXT) | instid1(VALU_DEP_1)
	v_mad_u64_u32 v[8:9], null, 0xfe5163ab, v11, 0
	v_mov_b32_e32 v12, v9
	v_lshrrev_b32_e32 v9, 23, v10
	s_delay_alu instid0(VALU_DEP_1) | instskip(NEXT) | instid1(VALU_DEP_3)
	v_add_nc_u32_e32 v9, 0xffffff88, v9
	v_mad_u64_u32 v[18:19], null, 0x3c439041, v11, v[12:13]
	s_delay_alu instid0(VALU_DEP_2) | instskip(SKIP_1) | instid1(VALU_DEP_1)
	v_cmp_lt_u32_e32 vcc_lo, 63, v9
	v_cndmask_b32_e64 v23, 0, 0xffffffc0, vcc_lo
	v_add_nc_u32_e32 v9, v23, v9
	s_delay_alu instid0(VALU_DEP_1) | instskip(NEXT) | instid1(VALU_DEP_1)
	v_cmp_lt_u32_e64 s2, 31, v9
	v_cndmask_b32_e64 v24, 0, 0xffffffe0, s2
	s_delay_alu instid0(VALU_DEP_1) | instskip(NEXT) | instid1(VALU_DEP_1)
	v_dual_mov_b32 v12, v19 :: v_dual_add_nc_u32 v9, v24, v9
	v_mad_u64_u32 v[19:20], null, 0xdb629599, v11, v[12:13]
	s_delay_alu instid0(VALU_DEP_2) | instskip(NEXT) | instid1(VALU_DEP_2)
	v_cmp_lt_u32_e64 s3, 31, v9
	v_mov_b32_e32 v12, v20
	s_delay_alu instid0(VALU_DEP_3) | instskip(NEXT) | instid1(VALU_DEP_2)
	v_cndmask_b32_e32 v8, v19, v8, vcc_lo
	v_mad_u64_u32 v[20:21], null, 0xf534ddc0, v11, v[12:13]
	s_delay_alu instid0(VALU_DEP_1) | instskip(NEXT) | instid1(VALU_DEP_1)
	v_mov_b32_e32 v12, v21
	v_mad_u64_u32 v[21:22], null, 0xfc2757d1, v11, v[12:13]
	s_delay_alu instid0(VALU_DEP_1) | instskip(NEXT) | instid1(VALU_DEP_1)
	v_mov_b32_e32 v12, v22
	v_mad_u64_u32 v[22:23], null, 0x4e441529, v11, v[12:13]
	s_delay_alu instid0(VALU_DEP_1) | instskip(NEXT) | instid1(VALU_DEP_1)
	v_mov_b32_e32 v12, v23
	v_mad_u64_u32 v[23:24], null, 0xa2f9836e, v11, v[12:13]
	v_cndmask_b32_e64 v11, 0, 0xffffffe0, s3
	s_delay_alu instid0(VALU_DEP_1) | instskip(SKIP_1) | instid1(VALU_DEP_4)
	v_dual_cndmask_b32 v12, v22, v20 :: v_dual_add_nc_u32 v9, v11, v9
	v_cndmask_b32_e32 v11, v20, v18, vcc_lo
	v_dual_cndmask_b32 v23, v23, v21 :: v_dual_cndmask_b32 v22, v24, v22
	v_cndmask_b32_e32 v21, v21, v19, vcc_lo
	s_delay_alu instid0(VALU_DEP_4) | instskip(NEXT) | instid1(VALU_DEP_4)
	v_cmp_eq_u32_e64 s4, 0, v9
	v_cndmask_b32_e64 v8, v11, v8, s2
	s_delay_alu instid0(VALU_DEP_4) | instskip(SKIP_4) | instid1(VALU_DEP_4)
	v_cndmask_b32_e64 v18, v23, v12, s2
	v_cndmask_b32_e64 v20, v22, v23, s2
	;; [unrolled: 1-line block ×3, first 2 shown]
	v_sub_nc_u32_e32 v22, 32, v9
	v_cndmask_b32_e64 v21, v21, v11, s2
	v_cndmask_b32_e64 v20, v20, v18, s3
	s_delay_alu instid0(VALU_DEP_4) | instskip(NEXT) | instid1(VALU_DEP_3)
	v_cndmask_b32_e64 v18, v18, v12, s3
	v_cndmask_b32_e64 v12, v12, v21, s3
	;; [unrolled: 1-line block ×3, first 2 shown]
	s_delay_alu instid0(VALU_DEP_3) | instskip(NEXT) | instid1(VALU_DEP_3)
	v_alignbit_b32 v23, v20, v18, v22
	v_alignbit_b32 v24, v18, v12, v22
	s_delay_alu instid0(VALU_DEP_3) | instskip(NEXT) | instid1(VALU_DEP_3)
	v_alignbit_b32 v22, v12, v8, v22
	v_cndmask_b32_e64 v9, v23, v20, s4
	s_delay_alu instid0(VALU_DEP_3) | instskip(NEXT) | instid1(VALU_DEP_3)
	v_cndmask_b32_e64 v18, v24, v18, s4
	v_cndmask_b32_e64 v12, v22, v12, s4
	s_delay_alu instid0(VALU_DEP_3) | instskip(NEXT) | instid1(VALU_DEP_3)
	v_bfe_u32 v19, v9, 29, 1
	v_alignbit_b32 v11, v9, v18, 30
	s_delay_alu instid0(VALU_DEP_3) | instskip(SKIP_1) | instid1(VALU_DEP_4)
	v_alignbit_b32 v18, v18, v12, 30
	v_alignbit_b32 v8, v12, v8, 30
	v_sub_nc_u32_e32 v20, 0, v19
	s_delay_alu instid0(VALU_DEP_1) | instskip(SKIP_3) | instid1(VALU_DEP_4)
	v_xor_b32_e32 v21, v11, v20
	v_cmp_ne_u32_e32 vcc_lo, v11, v20
	v_xor_b32_e32 v12, v18, v20
	v_xor_b32_e32 v8, v8, v20
	v_clz_i32_u32_e32 v23, v21
	s_delay_alu instid0(VALU_DEP_1) | instskip(NEXT) | instid1(VALU_DEP_1)
	v_add_nc_u32_e32 v22, 1, v23
	v_cndmask_b32_e32 v11, 33, v22, vcc_lo
	s_delay_alu instid0(VALU_DEP_1) | instskip(NEXT) | instid1(VALU_DEP_1)
	v_sub_nc_u32_e32 v18, 32, v11
	v_alignbit_b32 v20, v21, v12, v18
	v_alignbit_b32 v8, v12, v8, v18
	v_lshrrev_b32_e32 v12, 29, v9
	s_delay_alu instid0(VALU_DEP_2) | instskip(NEXT) | instid1(VALU_DEP_2)
	v_alignbit_b32 v18, v20, v8, 9
	v_lshlrev_b32_e32 v12, 31, v12
	v_alignbit_b32 v20, v11, v20, 9
	s_delay_alu instid0(VALU_DEP_3) | instskip(NEXT) | instid1(VALU_DEP_2)
	v_clz_i32_u32_e32 v21, v18
	v_or_b32_e32 v20, v20, v12
	v_or_b32_e32 v12, 0x33800000, v12
	s_delay_alu instid0(VALU_DEP_3) | instskip(NEXT) | instid1(VALU_DEP_3)
	v_min_u32_e32 v21, 32, v21
	v_xor_b32_e32 v20, 1.0, v20
	s_delay_alu instid0(VALU_DEP_2) | instskip(SKIP_1) | instid1(VALU_DEP_3)
	v_sub_nc_u32_e32 v22, 31, v21
	v_add_lshl_u32 v11, v21, v11, 23
	v_mul_f32_e32 v21, 0x3fc90fda, v20
	s_delay_alu instid0(VALU_DEP_3) | instskip(NEXT) | instid1(VALU_DEP_3)
	v_alignbit_b32 v8, v18, v8, v22
	v_sub_nc_u32_e32 v11, v12, v11
	s_delay_alu instid0(VALU_DEP_3) | instskip(NEXT) | instid1(VALU_DEP_3)
	v_fma_f32 v12, 0x3fc90fda, v20, -v21
	v_lshrrev_b32_e32 v8, 9, v8
	s_delay_alu instid0(VALU_DEP_2) | instskip(NEXT) | instid1(VALU_DEP_2)
	v_fmac_f32_e32 v12, 0x33a22168, v20
	v_or_b32_e32 v8, v11, v8
	s_delay_alu instid0(VALU_DEP_1) | instskip(SKIP_1) | instid1(VALU_DEP_2)
	v_fmac_f32_e32 v12, 0x3fc90fda, v8
	v_lshrrev_b32_e32 v8, 30, v9
	v_add_f32_e32 v9, v21, v12
	s_delay_alu instid0(VALU_DEP_2)
	v_add_nc_u32_e32 v8, v19, v8
.LBB95_88:                              ;   in Loop: Header=BB95_7 Depth=1
	s_and_not1_saveexec_b32 s2, s30
; %bb.89:                               ;   in Loop: Header=BB95_7 Depth=1
	v_mul_f32_e64 v8, 0x3f22f983, |v1|
	s_delay_alu instid0(VALU_DEP_1) | instskip(NEXT) | instid1(VALU_DEP_1)
	v_rndne_f32_e32 v8, v8
	v_fma_f32 v9, 0xbfc90fda, v8, |v1|
	s_delay_alu instid0(VALU_DEP_1) | instskip(NEXT) | instid1(VALU_DEP_1)
	v_fmac_f32_e32 v9, 0xb3a22168, v8
	v_fmac_f32_e32 v9, 0xa7c234c4, v8
	v_cvt_i32_f32_e32 v8, v8
; %bb.90:                               ;   in Loop: Header=BB95_7 Depth=1
	s_or_b32 exec_lo, exec_lo, s2
	v_add_f32_e64 v11, 0xbf317218, |v2|
	v_cmp_nlt_f32_e64 vcc_lo, 0x42b2d4fc, |v2|
	v_cmp_gt_f32_e64 s2, 0x39800000, |v2|
	v_and_b32_e32 v8, 1, v8
	s_delay_alu instid0(VALU_DEP_4) | instskip(NEXT) | instid1(VALU_DEP_1)
	v_sub_f32_e64 v12, v11, |v2|
	v_sub_f32_e32 v18, v12, v11
	v_add_f32_e32 v12, 0x3f317218, v12
	s_delay_alu instid0(VALU_DEP_2) | instskip(NEXT) | instid1(VALU_DEP_1)
	v_add_f32_e64 v18, |v2|, v18
	v_sub_f32_e32 v12, v18, v12
	s_delay_alu instid0(VALU_DEP_1) | instskip(NEXT) | instid1(VALU_DEP_1)
	v_add_f32_e32 v12, 0x3102e308, v12
	v_add_f32_e32 v18, v11, v12
	s_delay_alu instid0(VALU_DEP_1) | instskip(NEXT) | instid1(VALU_DEP_1)
	v_sub_f32_e32 v11, v11, v18
	v_add_f32_e32 v11, v12, v11
	v_mul_f32_e32 v19, 0x3fb8aa3b, v18
	s_delay_alu instid0(VALU_DEP_1) | instskip(NEXT) | instid1(VALU_DEP_1)
	v_rndne_f32_e32 v19, v19
	v_mul_f32_e32 v12, 0x35bfbc00, v19
	v_fmac_f32_e32 v18, 0xbf317200, v19
	s_delay_alu instid0(VALU_DEP_1) | instskip(NEXT) | instid1(VALU_DEP_1)
	v_add_f32_e32 v20, v11, v18
	v_sub_f32_e32 v21, v20, v12
	v_sub_f32_e32 v18, v18, v20
	s_delay_alu instid0(VALU_DEP_1) | instskip(NEXT) | instid1(VALU_DEP_1)
	v_dual_sub_f32 v20, v20, v21 :: v_dual_add_f32 v11, v11, v18
	v_sub_f32_e32 v12, v20, v12
	s_delay_alu instid0(VALU_DEP_1) | instskip(NEXT) | instid1(VALU_DEP_1)
	v_dual_add_f32 v11, v11, v12 :: v_dual_mul_f32 v12, 0x2ea39ef3, v19
	v_add_f32_e32 v18, v21, v11
	s_delay_alu instid0(VALU_DEP_1) | instskip(NEXT) | instid1(VALU_DEP_1)
	v_dual_sub_f32 v20, v18, v12 :: v_dual_sub_f32 v21, v21, v18
	v_dual_sub_f32 v18, v18, v20 :: v_dual_add_f32 v11, v11, v21
	s_delay_alu instid0(VALU_DEP_1) | instskip(NEXT) | instid1(VALU_DEP_1)
	v_sub_f32_e32 v12, v18, v12
	v_add_f32_e32 v11, v11, v12
	s_delay_alu instid0(VALU_DEP_1) | instskip(NEXT) | instid1(VALU_DEP_1)
	v_add_f32_e32 v12, v20, v11
	v_sub_f32_e32 v18, v20, v12
	s_delay_alu instid0(VALU_DEP_1) | instskip(SKIP_1) | instid1(VALU_DEP_2)
	v_dual_mul_f32 v20, v12, v12 :: v_dual_add_f32 v11, v11, v18
	v_fmaak_f32 v18, s24, v12, 0x3c091de6
	v_fma_f32 v21, v12, v12, -v20
	s_delay_alu instid0(VALU_DEP_3) | instskip(NEXT) | instid1(VALU_DEP_3)
	v_add_f32_e32 v22, v11, v11
	v_fmaak_f32 v18, v12, v18, 0x3d2aadcc
	s_delay_alu instid0(VALU_DEP_2) | instskip(NEXT) | instid1(VALU_DEP_2)
	v_fmac_f32_e32 v21, v12, v22
	v_fmaak_f32 v18, v12, v18, 0x3e2aaa47
	s_delay_alu instid0(VALU_DEP_2) | instskip(NEXT) | instid1(VALU_DEP_2)
	v_add_f32_e32 v22, v20, v21
	v_fmaak_f32 v18, v12, v18, 0x3efffffc
	s_delay_alu instid0(VALU_DEP_2) | instskip(NEXT) | instid1(VALU_DEP_1)
	v_sub_f32_e32 v20, v22, v20
	v_dual_mul_f32 v23, v18, v22 :: v_dual_sub_f32 v20, v21, v20
	s_delay_alu instid0(VALU_DEP_1) | instskip(NEXT) | instid1(VALU_DEP_1)
	v_fma_f32 v21, v22, v18, -v23
	v_fmac_f32_e32 v21, v20, v18
	s_delay_alu instid0(VALU_DEP_1) | instskip(NEXT) | instid1(VALU_DEP_1)
	v_add_f32_e32 v18, v23, v21
	v_add_f32_e32 v20, v12, v18
	v_sub_f32_e32 v22, v18, v23
	s_delay_alu instid0(VALU_DEP_1) | instskip(NEXT) | instid1(VALU_DEP_1)
	v_dual_sub_f32 v12, v20, v12 :: v_dual_sub_f32 v21, v21, v22
	v_dual_sub_f32 v12, v18, v12 :: v_dual_add_f32 v11, v11, v21
	s_delay_alu instid0(VALU_DEP_1) | instskip(NEXT) | instid1(VALU_DEP_1)
	v_add_f32_e32 v11, v11, v12
	v_add_f32_e32 v12, v20, v11
	s_delay_alu instid0(VALU_DEP_1) | instskip(NEXT) | instid1(VALU_DEP_1)
	v_add_f32_e32 v18, 1.0, v12
	v_dual_sub_f32 v20, v12, v20 :: v_dual_add_f32 v21, -1.0, v18
	s_delay_alu instid0(VALU_DEP_1) | instskip(NEXT) | instid1(VALU_DEP_1)
	v_dual_sub_f32 v11, v11, v20 :: v_dual_sub_f32 v12, v12, v21
	v_add_f32_e32 v11, v11, v12
	v_cvt_i32_f32_e32 v12, v19
	s_delay_alu instid0(VALU_DEP_2) | instskip(NEXT) | instid1(VALU_DEP_1)
	v_add_f32_e32 v19, v18, v11
	v_ldexp_f32 v20, v19, v12
	v_sub_f32_e32 v18, v19, v18
	s_delay_alu instid0(VALU_DEP_2) | instskip(NEXT) | instid1(VALU_DEP_1)
	v_rcp_f32_e32 v21, v20
	v_sub_f32_e32 v11, v11, v18
	s_delay_alu instid0(VALU_DEP_1) | instskip(SKIP_2) | instid1(VALU_DEP_1)
	v_ldexp_f32 v11, v11, v12
	s_waitcnt_depctr 0xfff
	v_mul_f32_e32 v18, v20, v21
	v_fma_f32 v12, v21, v20, -v18
	s_delay_alu instid0(VALU_DEP_1) | instskip(NEXT) | instid1(VALU_DEP_1)
	v_fmac_f32_e32 v12, v21, v11
	v_add_f32_e32 v19, v18, v12
	s_delay_alu instid0(VALU_DEP_1) | instskip(SKIP_1) | instid1(VALU_DEP_1)
	v_sub_f32_e32 v22, 1.0, v19
	v_sub_f32_e32 v18, v19, v18
	v_dual_sub_f32 v23, 1.0, v22 :: v_dual_sub_f32 v12, v18, v12
	s_delay_alu instid0(VALU_DEP_1) | instskip(NEXT) | instid1(VALU_DEP_1)
	v_sub_f32_e32 v18, v23, v19
	v_add_f32_e32 v12, v12, v18
	s_delay_alu instid0(VALU_DEP_1) | instskip(NEXT) | instid1(VALU_DEP_1)
	v_add_f32_e32 v18, v22, v12
	v_mul_f32_e32 v19, v21, v18
	s_delay_alu instid0(VALU_DEP_1) | instskip(NEXT) | instid1(VALU_DEP_1)
	v_dual_sub_f32 v22, v22, v18 :: v_dual_mul_f32 v23, v20, v19
	v_add_f32_e32 v12, v12, v22
	s_delay_alu instid0(VALU_DEP_2) | instskip(NEXT) | instid1(VALU_DEP_1)
	v_fma_f32 v24, v19, v20, -v23
	v_fmac_f32_e32 v24, v19, v11
	s_delay_alu instid0(VALU_DEP_1) | instskip(NEXT) | instid1(VALU_DEP_1)
	v_add_f32_e32 v25, v23, v24
	v_sub_f32_e32 v26, v18, v25
	v_sub_f32_e32 v22, v25, v23
	s_delay_alu instid0(VALU_DEP_2) | instskip(NEXT) | instid1(VALU_DEP_2)
	v_sub_f32_e32 v18, v18, v26
	v_sub_f32_e32 v22, v22, v24
	s_delay_alu instid0(VALU_DEP_2) | instskip(NEXT) | instid1(VALU_DEP_1)
	v_sub_f32_e32 v18, v18, v25
	v_add_f32_e32 v12, v12, v18
	v_add_f32_e32 v18, v21, v19
	s_delay_alu instid0(VALU_DEP_2) | instskip(NEXT) | instid1(VALU_DEP_2)
	v_add_f32_e32 v12, v22, v12
	v_sub_f32_e32 v22, v18, v21
	s_delay_alu instid0(VALU_DEP_1) | instskip(NEXT) | instid1(VALU_DEP_1)
	v_dual_add_f32 v12, v26, v12 :: v_dual_sub_f32 v19, v19, v22
	v_mul_f32_e32 v12, v21, v12
	s_delay_alu instid0(VALU_DEP_1) | instskip(NEXT) | instid1(VALU_DEP_1)
	v_add_f32_e32 v12, v19, v12
	v_add_f32_e32 v19, v18, v12
	s_delay_alu instid0(VALU_DEP_1) | instskip(SKIP_1) | instid1(VALU_DEP_2)
	v_ldexp_f32 v21, v19, -2
	v_sub_f32_e32 v18, v19, v18
	v_sub_f32_e32 v22, v20, v21
	s_delay_alu instid0(VALU_DEP_2) | instskip(NEXT) | instid1(VALU_DEP_2)
	v_sub_f32_e32 v12, v12, v18
	v_sub_f32_e32 v19, v20, v22
	s_delay_alu instid0(VALU_DEP_2) | instskip(NEXT) | instid1(VALU_DEP_2)
	v_ldexp_f32 v12, v12, -2
	v_sub_f32_e32 v18, v19, v21
	v_xor_b32_e32 v19, 0x80000000, v2
	s_delay_alu instid0(VALU_DEP_2) | instskip(NEXT) | instid1(VALU_DEP_1)
	v_add_f32_e32 v11, v11, v18
	v_dual_sub_f32 v11, v11, v12 :: v_dual_mul_f32 v12, v9, v9
	s_delay_alu instid0(VALU_DEP_1) | instskip(NEXT) | instid1(VALU_DEP_1)
	v_dual_add_f32 v11, v22, v11 :: v_dual_fmaak_f32 v18, s23, v12, 0xbf039337
	v_cndmask_b32_e32 v11, 0x7f800000, v11, vcc_lo
	s_delay_alu instid0(VALU_DEP_2) | instskip(NEXT) | instid1(VALU_DEP_2)
	v_fmaak_f32 v18, v12, v18, 0x3f93f425
	v_cndmask_b32_e64 v11, v11, |v2|, s2
	s_delay_alu instid0(VALU_DEP_2) | instskip(NEXT) | instid1(VALU_DEP_1)
	v_rcp_f32_e32 v18, v18
	v_bfi_b32 v11, 0x7fffffff, v11, v19
	v_fmaak_f32 v19, s22, v12, 0x3ec54587
	s_delay_alu instid0(VALU_DEP_2) | instskip(SKIP_3) | instid1(VALU_DEP_2)
	v_fma_f32 v20, v11, v11, 1.0
	s_waitcnt_depctr 0xfff
	v_dual_mul_f32 v18, v19, v18 :: v_dual_mul_f32 v19, 0x4f800000, v20
	v_cmp_gt_f32_e32 vcc_lo, 0xf800000, v20
	v_mul_f32_e32 v12, v12, v18
	s_delay_alu instid0(VALU_DEP_3) | instskip(NEXT) | instid1(VALU_DEP_2)
	v_cndmask_b32_e32 v18, v20, v19, vcc_lo
	v_fma_f32 v19, v12, v9, v9
	s_delay_alu instid0(VALU_DEP_2) | instskip(NEXT) | instid1(VALU_DEP_1)
	v_sqrt_f32_e32 v20, v18
	v_rcp_f32_e32 v21, v19
	v_sub_f32_e32 v22, v19, v9
	s_delay_alu instid0(VALU_DEP_1) | instskip(SKIP_4) | instid1(VALU_DEP_3)
	v_fma_f32 v9, v12, v9, -v22
	s_waitcnt_depctr 0xfff
	v_add_nc_u32_e32 v23, -1, v20
	v_fma_f32 v12, v19, -v21, 1.0
	v_add_nc_u32_e32 v22, 1, v20
	v_fma_f32 v24, -v23, v20, v18
	s_delay_alu instid0(VALU_DEP_3) | instskip(NEXT) | instid1(VALU_DEP_3)
	v_fma_f32 v9, v9, -v21, v12
	v_fma_f32 v12, -v22, v20, v18
	s_delay_alu instid0(VALU_DEP_3) | instskip(NEXT) | instid1(VALU_DEP_3)
	v_cmp_ge_f32_e64 s2, 0, v24
	v_fma_f32 v9, v9, -v21, -v21
	s_delay_alu instid0(VALU_DEP_2) | instskip(NEXT) | instid1(VALU_DEP_4)
	v_cndmask_b32_e64 v20, v20, v23, s2
	v_cmp_lt_f32_e64 s2, 0, v12
	s_delay_alu instid0(VALU_DEP_1) | instskip(SKIP_1) | instid1(VALU_DEP_1)
	v_cndmask_b32_e64 v12, v20, v22, s2
	v_cmp_eq_u32_e64 s2, 0, v8
	v_cndmask_b32_e64 v8, v9, v19, s2
	s_delay_alu instid0(VALU_DEP_3) | instskip(NEXT) | instid1(VALU_DEP_2)
	v_mul_f32_e32 v9, 0x37800000, v12
	v_xor3_b32 v10, v10, v8, v1
	s_delay_alu instid0(VALU_DEP_2) | instskip(SKIP_1) | instid1(VALU_DEP_3)
	v_cndmask_b32_e32 v8, v12, v9, vcc_lo
	v_cmp_class_f32_e64 vcc_lo, v18, 0x260
	v_fma_f32 v9, v10, v10, 1.0
	s_delay_alu instid0(VALU_DEP_3) | instskip(NEXT) | instid1(VALU_DEP_2)
	v_cndmask_b32_e32 v8, v8, v18, vcc_lo
	v_mul_f32_e32 v12, v11, v9
	s_delay_alu instid0(VALU_DEP_2) | instskip(NEXT) | instid1(VALU_DEP_2)
	v_mul_f32_e32 v8, v8, v9
	v_fma_f32 v9, v11, v12, 1.0
	s_delay_alu instid0(VALU_DEP_2) | instskip(NEXT) | instid1(VALU_DEP_2)
	v_mul_f32_e32 v8, v11, v8
	v_div_scale_f32 v12, null, v9, v9, v10
	s_delay_alu instid0(VALU_DEP_2) | instskip(SKIP_1) | instid1(VALU_DEP_3)
	v_div_scale_f32 v11, null, v9, v9, v8
	v_div_scale_f32 v22, vcc_lo, v8, v9, v8
	v_rcp_f32_e32 v19, v12
	s_delay_alu instid0(VALU_DEP_2) | instskip(SKIP_3) | instid1(VALU_DEP_1)
	v_rcp_f32_e32 v18, v11
	s_waitcnt_depctr 0xfff
	v_fma_f32 v21, -v12, v19, 1.0
	v_fma_f32 v20, -v11, v18, 1.0
	v_dual_fmac_f32 v19, v21, v19 :: v_dual_fmac_f32 v18, v20, v18
	v_div_scale_f32 v20, s2, v10, v9, v10
	s_delay_alu instid0(VALU_DEP_2) | instskip(NEXT) | instid1(VALU_DEP_2)
	v_mul_f32_e32 v21, v22, v18
	v_mul_f32_e32 v23, v20, v19
	s_delay_alu instid0(VALU_DEP_2) | instskip(NEXT) | instid1(VALU_DEP_2)
	v_fma_f32 v24, -v11, v21, v22
	v_fma_f32 v25, -v12, v23, v20
	s_delay_alu instid0(VALU_DEP_2) | instskip(NEXT) | instid1(VALU_DEP_2)
	v_fmac_f32_e32 v21, v24, v18
	v_fmac_f32_e32 v23, v25, v19
	s_delay_alu instid0(VALU_DEP_2) | instskip(NEXT) | instid1(VALU_DEP_2)
	v_fma_f32 v11, -v11, v21, v22
	v_fma_f32 v12, -v12, v23, v20
	s_delay_alu instid0(VALU_DEP_2) | instskip(SKIP_1) | instid1(VALU_DEP_2)
	v_div_fmas_f32 v11, v11, v18, v21
	s_mov_b32 vcc_lo, s2
	v_div_fmas_f32 v12, v12, v19, v23
	s_delay_alu instid0(VALU_DEP_2) | instskip(NEXT) | instid1(VALU_DEP_2)
	v_div_fixup_f32 v8, v11, v9, v8
	v_div_fixup_f32 v9, v12, v9, v10
                                        ; implicit-def: $vgpr10
.LBB95_91:                              ;   in Loop: Header=BB95_7 Depth=1
	s_and_not1_saveexec_b32 s29, s29
	s_cbranch_execz .LBB95_101
; %bb.92:                               ;   in Loop: Header=BB95_7 Depth=1
	v_lshrrev_b32_e32 v8, 23, v10
	v_cmp_ngt_f32_e64 s30, 0x48000000, |v1|
	v_and_or_b32 v9, v10, s21, 0x800000
                                        ; implicit-def: $vgpr11
	s_delay_alu instid0(VALU_DEP_3) | instskip(NEXT) | instid1(VALU_DEP_3)
	v_add_nc_u32_e32 v18, 0xffffff88, v8
                                        ; implicit-def: $vgpr8
	s_and_saveexec_b32 s2, s30
	s_delay_alu instid0(SALU_CYCLE_1)
	s_xor_b32 s31, exec_lo, s2
	s_cbranch_execz .LBB95_94
; %bb.93:                               ;   in Loop: Header=BB95_7 Depth=1
	v_mad_u64_u32 v[11:12], null, 0xfe5163ab, v9, 0
	v_cmp_lt_u32_e32 vcc_lo, 63, v18
	v_cndmask_b32_e64 v8, 0, 0xffffffc0, vcc_lo
	s_delay_alu instid0(VALU_DEP_3) | instskip(NEXT) | instid1(VALU_DEP_2)
	v_mad_u64_u32 v[19:20], null, 0x3c439041, v9, v[12:13]
	v_add_nc_u32_e32 v8, v8, v18
	s_delay_alu instid0(VALU_DEP_2) | instskip(NEXT) | instid1(VALU_DEP_2)
	v_mov_b32_e32 v12, v20
	v_cmp_lt_u32_e64 s2, 31, v8
	s_delay_alu instid0(VALU_DEP_2) | instskip(NEXT) | instid1(VALU_DEP_2)
	v_mad_u64_u32 v[20:21], null, 0xdb629599, v9, v[12:13]
	v_cndmask_b32_e64 v25, 0, 0xffffffe0, s2
	s_delay_alu instid0(VALU_DEP_1) | instskip(NEXT) | instid1(VALU_DEP_3)
	v_add_nc_u32_e32 v8, v25, v8
	v_dual_mov_b32 v12, v21 :: v_dual_cndmask_b32 v11, v20, v11
	s_delay_alu instid0(VALU_DEP_2) | instskip(NEXT) | instid1(VALU_DEP_2)
	v_cmp_lt_u32_e64 s3, 31, v8
	v_mad_u64_u32 v[21:22], null, 0xf534ddc0, v9, v[12:13]
	s_delay_alu instid0(VALU_DEP_1) | instskip(NEXT) | instid1(VALU_DEP_1)
	v_mov_b32_e32 v12, v22
	v_mad_u64_u32 v[22:23], null, 0xfc2757d1, v9, v[12:13]
	s_delay_alu instid0(VALU_DEP_1) | instskip(NEXT) | instid1(VALU_DEP_1)
	v_mov_b32_e32 v12, v23
	v_mad_u64_u32 v[23:24], null, 0x4e441529, v9, v[12:13]
	s_delay_alu instid0(VALU_DEP_1) | instskip(NEXT) | instid1(VALU_DEP_2)
	v_mov_b32_e32 v12, v24
	v_cndmask_b32_e32 v26, v23, v21, vcc_lo
	s_delay_alu instid0(VALU_DEP_2) | instskip(SKIP_1) | instid1(VALU_DEP_1)
	v_mad_u64_u32 v[24:25], null, 0xa2f9836e, v9, v[12:13]
	v_cndmask_b32_e64 v12, 0, 0xffffffe0, s3
	v_add_nc_u32_e32 v8, v12, v8
	s_delay_alu instid0(VALU_DEP_3) | instskip(SKIP_2) | instid1(VALU_DEP_4)
	v_dual_cndmask_b32 v24, v24, v22 :: v_dual_cndmask_b32 v23, v25, v23
	v_cndmask_b32_e32 v22, v22, v20, vcc_lo
	v_cndmask_b32_e32 v12, v21, v19, vcc_lo
	v_cmp_eq_u32_e64 s4, 0, v8
	s_delay_alu instid0(VALU_DEP_4)
	v_cndmask_b32_e64 v19, v24, v26, s2
	v_cndmask_b32_e64 v21, v23, v24, s2
	;; [unrolled: 1-line block ×3, first 2 shown]
	v_sub_nc_u32_e32 v24, 32, v8
	v_cndmask_b32_e64 v22, v22, v12, s2
	v_cndmask_b32_e64 v11, v12, v11, s2
	;; [unrolled: 1-line block ×4, first 2 shown]
	s_delay_alu instid0(VALU_DEP_4) | instskip(NEXT) | instid1(VALU_DEP_4)
	v_cndmask_b32_e64 v23, v23, v22, s3
	v_cndmask_b32_e64 v11, v22, v11, s3
	s_delay_alu instid0(VALU_DEP_3) | instskip(NEXT) | instid1(VALU_DEP_3)
	v_alignbit_b32 v25, v21, v19, v24
	v_alignbit_b32 v26, v19, v23, v24
	s_delay_alu instid0(VALU_DEP_3) | instskip(NEXT) | instid1(VALU_DEP_3)
	v_alignbit_b32 v24, v23, v11, v24
	v_cndmask_b32_e64 v8, v25, v21, s4
	s_delay_alu instid0(VALU_DEP_3) | instskip(NEXT) | instid1(VALU_DEP_3)
	v_cndmask_b32_e64 v19, v26, v19, s4
	v_cndmask_b32_e64 v23, v24, v23, s4
	s_delay_alu instid0(VALU_DEP_3) | instskip(NEXT) | instid1(VALU_DEP_3)
	v_bfe_u32 v20, v8, 29, 1
	v_alignbit_b32 v12, v8, v19, 30
	s_delay_alu instid0(VALU_DEP_3) | instskip(SKIP_1) | instid1(VALU_DEP_4)
	v_alignbit_b32 v19, v19, v23, 30
	v_alignbit_b32 v11, v23, v11, 30
	v_sub_nc_u32_e32 v21, 0, v20
	s_delay_alu instid0(VALU_DEP_1) | instskip(SKIP_3) | instid1(VALU_DEP_4)
	v_xor_b32_e32 v22, v12, v21
	v_cmp_ne_u32_e32 vcc_lo, v12, v21
	v_xor_b32_e32 v19, v19, v21
	v_xor_b32_e32 v11, v11, v21
	v_clz_i32_u32_e32 v25, v22
	s_delay_alu instid0(VALU_DEP_1) | instskip(NEXT) | instid1(VALU_DEP_1)
	v_add_nc_u32_e32 v24, 1, v25
	v_cndmask_b32_e32 v12, 33, v24, vcc_lo
	s_delay_alu instid0(VALU_DEP_1) | instskip(NEXT) | instid1(VALU_DEP_1)
	v_sub_nc_u32_e32 v23, 32, v12
	v_alignbit_b32 v21, v22, v19, v23
	v_alignbit_b32 v11, v19, v11, v23
	v_lshrrev_b32_e32 v19, 29, v8
	s_delay_alu instid0(VALU_DEP_2) | instskip(NEXT) | instid1(VALU_DEP_2)
	v_alignbit_b32 v22, v21, v11, 9
	v_lshlrev_b32_e32 v19, 31, v19
	v_alignbit_b32 v21, v12, v21, 9
	s_delay_alu instid0(VALU_DEP_3) | instskip(NEXT) | instid1(VALU_DEP_2)
	v_clz_i32_u32_e32 v23, v22
	v_or_b32_e32 v21, v21, v19
	v_or_b32_e32 v19, 0x33800000, v19
	s_delay_alu instid0(VALU_DEP_3) | instskip(NEXT) | instid1(VALU_DEP_3)
	v_min_u32_e32 v23, 32, v23
	v_xor_b32_e32 v21, 1.0, v21
	s_delay_alu instid0(VALU_DEP_2) | instskip(SKIP_1) | instid1(VALU_DEP_3)
	v_sub_nc_u32_e32 v24, 31, v23
	v_add_lshl_u32 v12, v23, v12, 23
	v_mul_f32_e32 v23, 0x3fc90fda, v21
	s_delay_alu instid0(VALU_DEP_3) | instskip(NEXT) | instid1(VALU_DEP_3)
	v_alignbit_b32 v11, v22, v11, v24
	v_sub_nc_u32_e32 v12, v19, v12
	s_delay_alu instid0(VALU_DEP_3) | instskip(NEXT) | instid1(VALU_DEP_3)
	v_fma_f32 v19, 0x3fc90fda, v21, -v23
	v_lshrrev_b32_e32 v11, 9, v11
	s_delay_alu instid0(VALU_DEP_2) | instskip(NEXT) | instid1(VALU_DEP_2)
	v_fmac_f32_e32 v19, 0x33a22168, v21
	v_or_b32_e32 v11, v12, v11
	s_delay_alu instid0(VALU_DEP_1) | instskip(SKIP_1) | instid1(VALU_DEP_2)
	v_fmac_f32_e32 v19, 0x3fc90fda, v11
	v_lshrrev_b32_e32 v11, 30, v8
	v_add_f32_e32 v8, v23, v19
	s_delay_alu instid0(VALU_DEP_2)
	v_add_nc_u32_e32 v11, v20, v11
	s_and_not1_saveexec_b32 s2, s31
	s_branch .LBB95_95
.LBB95_94:                              ;   in Loop: Header=BB95_7 Depth=1
	s_and_not1_saveexec_b32 s2, s31
.LBB95_95:                              ;   in Loop: Header=BB95_7 Depth=1
	v_mul_f32_e64 v8, 0x3f22f983, |v1|
	s_delay_alu instid0(VALU_DEP_1) | instskip(NEXT) | instid1(VALU_DEP_1)
	v_rndne_f32_e32 v11, v8
	v_fma_f32 v8, 0xbfc90fda, v11, |v1|
	s_delay_alu instid0(VALU_DEP_1) | instskip(NEXT) | instid1(VALU_DEP_1)
	v_fmac_f32_e32 v8, 0xb3a22168, v11
	v_fmac_f32_e32 v8, 0xa7c234c4, v11
	v_cvt_i32_f32_e32 v11, v11
; %bb.96:                               ;   in Loop: Header=BB95_7 Depth=1
	s_or_b32 exec_lo, exec_lo, s2
                                        ; implicit-def: $vgpr19
                                        ; implicit-def: $vgpr12
	s_and_saveexec_b32 s2, s30
	s_delay_alu instid0(SALU_CYCLE_1)
	s_xor_b32 s30, exec_lo, s2
	s_cbranch_execz .LBB95_98
; %bb.97:                               ;   in Loop: Header=BB95_7 Depth=1
	v_mad_u64_u32 v[19:20], null, 0xfe5163ab, v9, 0
	v_cmp_lt_u32_e32 vcc_lo, 63, v18
	v_cndmask_b32_e64 v25, 0, 0xffffffc0, vcc_lo
	s_delay_alu instid0(VALU_DEP_3) | instskip(NEXT) | instid1(VALU_DEP_2)
	v_mov_b32_e32 v12, v20
	v_add_nc_u32_e32 v18, v25, v18
	s_delay_alu instid0(VALU_DEP_2) | instskip(NEXT) | instid1(VALU_DEP_2)
	v_mad_u64_u32 v[20:21], null, 0x3c439041, v9, v[12:13]
	v_cmp_lt_u32_e64 s2, 31, v18
	s_delay_alu instid0(VALU_DEP_2) | instskip(NEXT) | instid1(VALU_DEP_2)
	v_mov_b32_e32 v12, v21
	v_cndmask_b32_e64 v26, 0, 0xffffffe0, s2
	s_delay_alu instid0(VALU_DEP_2) | instskip(NEXT) | instid1(VALU_DEP_2)
	v_mad_u64_u32 v[21:22], null, 0xdb629599, v9, v[12:13]
	v_add_nc_u32_e32 v18, v26, v18
	s_delay_alu instid0(VALU_DEP_1) | instskip(NEXT) | instid1(VALU_DEP_3)
	v_cmp_lt_u32_e64 s3, 31, v18
	v_dual_mov_b32 v12, v22 :: v_dual_cndmask_b32 v19, v21, v19
	s_delay_alu instid0(VALU_DEP_1) | instskip(NEXT) | instid1(VALU_DEP_1)
	v_mad_u64_u32 v[22:23], null, 0xf534ddc0, v9, v[12:13]
	v_mov_b32_e32 v12, v23
	s_delay_alu instid0(VALU_DEP_1) | instskip(NEXT) | instid1(VALU_DEP_1)
	v_mad_u64_u32 v[23:24], null, 0xfc2757d1, v9, v[12:13]
	v_mov_b32_e32 v12, v24
	;; [unrolled: 3-line block ×3, first 2 shown]
	s_delay_alu instid0(VALU_DEP_1) | instskip(SKIP_1) | instid1(VALU_DEP_4)
	v_mad_u64_u32 v[25:26], null, 0xa2f9836e, v9, v[12:13]
	v_cndmask_b32_e64 v9, 0, 0xffffffe0, s3
	v_cndmask_b32_e32 v12, v24, v22, vcc_lo
	s_delay_alu instid0(VALU_DEP_2) | instskip(NEXT) | instid1(VALU_DEP_4)
	v_add_nc_u32_e32 v9, v9, v18
	v_dual_cndmask_b32 v25, v25, v23 :: v_dual_cndmask_b32 v24, v26, v24
	v_dual_cndmask_b32 v23, v23, v21 :: v_dual_cndmask_b32 v18, v22, v20
	s_delay_alu instid0(VALU_DEP_3) | instskip(NEXT) | instid1(VALU_DEP_3)
	v_cmp_eq_u32_e64 s4, 0, v9
	v_cndmask_b32_e64 v20, v25, v12, s2
	s_delay_alu instid0(VALU_DEP_4) | instskip(NEXT) | instid1(VALU_DEP_4)
	v_cndmask_b32_e64 v22, v24, v25, s2
	v_cndmask_b32_e64 v12, v12, v23, s2
	v_sub_nc_u32_e32 v24, 32, v9
	v_cndmask_b32_e64 v23, v23, v18, s2
	v_cndmask_b32_e64 v18, v18, v19, s2
	;; [unrolled: 1-line block ×4, first 2 shown]
	s_delay_alu instid0(VALU_DEP_4) | instskip(NEXT) | instid1(VALU_DEP_4)
	v_cndmask_b32_e64 v12, v12, v23, s3
	v_cndmask_b32_e64 v18, v23, v18, s3
	s_delay_alu instid0(VALU_DEP_3) | instskip(NEXT) | instid1(VALU_DEP_3)
	v_alignbit_b32 v25, v22, v20, v24
	v_alignbit_b32 v26, v20, v12, v24
	s_delay_alu instid0(VALU_DEP_3) | instskip(NEXT) | instid1(VALU_DEP_3)
	v_alignbit_b32 v24, v12, v18, v24
	v_cndmask_b32_e64 v9, v25, v22, s4
	s_delay_alu instid0(VALU_DEP_3) | instskip(NEXT) | instid1(VALU_DEP_3)
	v_cndmask_b32_e64 v20, v26, v20, s4
	v_cndmask_b32_e64 v12, v24, v12, s4
	s_delay_alu instid0(VALU_DEP_3) | instskip(NEXT) | instid1(VALU_DEP_3)
	v_bfe_u32 v21, v9, 29, 1
	v_alignbit_b32 v19, v9, v20, 30
	s_delay_alu instid0(VALU_DEP_3) | instskip(SKIP_1) | instid1(VALU_DEP_4)
	v_alignbit_b32 v20, v20, v12, 30
	v_alignbit_b32 v12, v12, v18, 30
	v_sub_nc_u32_e32 v22, 0, v21
	s_delay_alu instid0(VALU_DEP_1) | instskip(SKIP_3) | instid1(VALU_DEP_4)
	v_xor_b32_e32 v23, v19, v22
	v_cmp_ne_u32_e32 vcc_lo, v19, v22
	v_xor_b32_e32 v18, v20, v22
	v_xor_b32_e32 v12, v12, v22
	v_clz_i32_u32_e32 v25, v23
	s_delay_alu instid0(VALU_DEP_1) | instskip(NEXT) | instid1(VALU_DEP_1)
	v_add_nc_u32_e32 v24, 1, v25
	v_cndmask_b32_e32 v19, 33, v24, vcc_lo
	s_delay_alu instid0(VALU_DEP_1) | instskip(NEXT) | instid1(VALU_DEP_1)
	v_sub_nc_u32_e32 v20, 32, v19
	v_alignbit_b32 v22, v23, v18, v20
	v_alignbit_b32 v12, v18, v12, v20
	v_lshrrev_b32_e32 v18, 29, v9
	v_lshrrev_b32_e32 v9, 30, v9
	s_delay_alu instid0(VALU_DEP_3) | instskip(NEXT) | instid1(VALU_DEP_3)
	v_alignbit_b32 v20, v22, v12, 9
	v_lshlrev_b32_e32 v18, 31, v18
	v_alignbit_b32 v22, v19, v22, 9
	s_delay_alu instid0(VALU_DEP_3) | instskip(NEXT) | instid1(VALU_DEP_2)
	v_clz_i32_u32_e32 v23, v20
	v_or_b32_e32 v22, v22, v18
	v_or_b32_e32 v18, 0x33800000, v18
	s_delay_alu instid0(VALU_DEP_3) | instskip(NEXT) | instid1(VALU_DEP_3)
	v_min_u32_e32 v23, 32, v23
	v_xor_b32_e32 v22, 1.0, v22
	s_delay_alu instid0(VALU_DEP_2) | instskip(SKIP_1) | instid1(VALU_DEP_3)
	v_sub_nc_u32_e32 v24, 31, v23
	v_add_lshl_u32 v19, v23, v19, 23
	v_mul_f32_e32 v23, 0x3fc90fda, v22
	s_delay_alu instid0(VALU_DEP_3) | instskip(NEXT) | instid1(VALU_DEP_3)
	v_alignbit_b32 v12, v20, v12, v24
	v_sub_nc_u32_e32 v18, v18, v19
	s_delay_alu instid0(VALU_DEP_3) | instskip(NEXT) | instid1(VALU_DEP_3)
	v_fma_f32 v19, 0x3fc90fda, v22, -v23
	v_lshrrev_b32_e32 v12, 9, v12
	s_delay_alu instid0(VALU_DEP_2) | instskip(NEXT) | instid1(VALU_DEP_2)
	v_fmac_f32_e32 v19, 0x33a22168, v22
	v_or_b32_e32 v12, v18, v12
	s_delay_alu instid0(VALU_DEP_1) | instskip(NEXT) | instid1(VALU_DEP_1)
	v_fmac_f32_e32 v19, 0x3fc90fda, v12
	v_dual_add_f32 v12, v23, v19 :: v_dual_add_nc_u32 v19, v21, v9
	s_and_not1_saveexec_b32 s2, s30
	s_cbranch_execnz .LBB95_99
	s_branch .LBB95_100
.LBB95_98:                              ;   in Loop: Header=BB95_7 Depth=1
	s_and_not1_saveexec_b32 s2, s30
.LBB95_99:                              ;   in Loop: Header=BB95_7 Depth=1
	v_mul_f32_e64 v9, 0x3f22f983, |v1|
	s_delay_alu instid0(VALU_DEP_1) | instskip(NEXT) | instid1(VALU_DEP_1)
	v_rndne_f32_e32 v9, v9
	v_fma_f32 v12, 0xbfc90fda, v9, |v1|
	v_cvt_i32_f32_e32 v19, v9
	s_delay_alu instid0(VALU_DEP_2) | instskip(NEXT) | instid1(VALU_DEP_1)
	v_fmac_f32_e32 v12, 0xb3a22168, v9
	v_fmac_f32_e32 v12, 0xa7c234c4, v9
.LBB95_100:                             ;   in Loop: Header=BB95_7 Depth=1
	s_or_b32 exec_lo, exec_lo, s2
	v_dual_mul_f32 v9, v8, v8 :: v_dual_and_b32 v18, 1, v11
	v_lshlrev_b32_e32 v11, 30, v11
	v_mul_f32_e64 v20, 0xbfb8aa3b, |v2|
	s_delay_alu instid0(VALU_DEP_3) | instskip(NEXT) | instid1(VALU_DEP_4)
	v_dual_fmaak_f32 v22, s26, v9, 0xbab64f3b :: v_dual_mul_f32 v23, v12, v12
	v_cmp_eq_u32_e32 vcc_lo, 0, v18
	s_delay_alu instid0(VALU_DEP_3) | instskip(SKIP_1) | instid1(VALU_DEP_4)
	v_rndne_f32_e32 v24, v20
	v_fma_f32 v25, 0xbfb8aa3b, |v2|, -v20
	v_fmaak_f32 v22, v9, v22, 0x3d2aabf7
	v_dual_fmaak_f32 v21, s25, v9, 0x3c0881c4 :: v_dual_fmaak_f32 v26, s25, v23, 0x3c0881c4
	v_and_b32_e32 v18, 1, v19
	s_delay_alu instid0(VALU_DEP_4) | instskip(NEXT) | instid1(VALU_DEP_3)
	v_fma_f32 v25, 0xb2a5705f, |v2|, v25
	v_dual_sub_f32 v20, v20, v24 :: v_dual_fmaak_f32 v21, v9, v21, 0xbe2aaa9d
	v_fmaak_f32 v27, s26, v23, 0xbab64f3b
	v_fmaak_f32 v26, v23, v26, 0xbe2aaa9d
	s_delay_alu instid0(VALU_DEP_3) | instskip(NEXT) | instid1(VALU_DEP_4)
	v_dual_add_f32 v20, v20, v25 :: v_dual_and_b32 v11, 0x80000000, v11
	v_mul_f32_e32 v21, v9, v21
	v_lshlrev_b32_e32 v19, 30, v19
	s_delay_alu instid0(VALU_DEP_3) | instskip(NEXT) | instid1(VALU_DEP_4)
	v_xor_b32_e32 v10, v10, v11
	v_exp_f32_e32 v20, v20
	s_delay_alu instid0(VALU_DEP_3) | instskip(SKIP_2) | instid1(VALU_DEP_2)
	v_dual_fmac_f32 v8, v8, v21 :: v_dual_fmaak_f32 v21, v23, v27, 0x3d2aabf7
	v_fmaak_f32 v22, v9, v22, 0xbf000004
	v_cvt_i32_f32_e32 v11, v24
	v_fma_f32 v9, v9, v22, 1.0
	v_mul_f32_e32 v22, v23, v26
	s_delay_alu instid0(VALU_DEP_2) | instskip(NEXT) | instid1(VALU_DEP_2)
	v_dual_cndmask_b32 v8, v9, v8 :: v_dual_fmaak_f32 v9, v23, v21, 0xbf000004
	v_fmac_f32_e32 v12, v12, v22
	v_cmp_eq_u32_e32 vcc_lo, 0, v18
	s_delay_alu instid0(VALU_DEP_3) | instskip(NEXT) | instid1(VALU_DEP_4)
	v_xor3_b32 v8, v10, v8, v1
	v_fma_f32 v9, v23, v9, 1.0
	v_ldexp_f32 v10, v20, v11
	v_and_b32_e32 v11, 0x80000000, v19
	s_delay_alu instid0(VALU_DEP_3) | instskip(SKIP_1) | instid1(VALU_DEP_2)
	v_cndmask_b32_e64 v9, -v12, v9, vcc_lo
	v_cmp_nlt_f32_e64 vcc_lo, 0x42ce8ed0, |v2|
	v_xor_b32_e32 v9, v11, v9
	v_cndmask_b32_e32 v10, 0, v10, vcc_lo
	v_cmp_ngt_f32_e64 vcc_lo, 0xc2b17218, |v2|
	s_delay_alu instid0(VALU_DEP_2) | instskip(SKIP_1) | instid1(VALU_DEP_1)
	v_cndmask_b32_e32 v10, 0x7f800000, v10, vcc_lo
	v_mul_f32_e32 v8, 4.0, v8
	v_mul_f32_e32 v8, v8, v9
	v_xor_b32_e32 v9, 0x80000000, v2
	s_delay_alu instid0(VALU_DEP_2) | instskip(NEXT) | instid1(VALU_DEP_2)
	v_mul_f32_e32 v11, v10, v8
	v_bfi_b32 v8, 0x7fffffff, 1.0, v9
	s_delay_alu instid0(VALU_DEP_2)
	v_mul_f32_e32 v9, v10, v11
.LBB95_101:                             ;   in Loop: Header=BB95_7 Depth=1
	s_or_b32 exec_lo, exec_lo, s29
.LBB95_102:                             ;   in Loop: Header=BB95_7 Depth=1
	s_and_not1_saveexec_b32 s2, s28
; %bb.103:                              ;   in Loop: Header=BB95_7 Depth=1
	v_sub_f32_e32 v9, v1, v1
	s_delay_alu instid0(VALU_DEP_1)
	v_mov_b32_e32 v8, v9
; %bb.104:                              ;   in Loop: Header=BB95_7 Depth=1
	s_or_b32 exec_lo, exec_lo, s2
.LBB95_105:                             ;   in Loop: Header=BB95_7 Depth=1
	s_and_not1_saveexec_b32 s27, s27
	s_cbranch_execz .LBB95_121
; %bb.106:                              ;   in Loop: Header=BB95_7 Depth=1
	v_xor_b32_e32 v8, 0x80000000, v2
	s_delay_alu instid0(VALU_DEP_1) | instskip(NEXT) | instid1(VALU_DEP_1)
	v_and_b32_e32 v9, 0x7fffff, v8
	v_cmp_ne_u32_e32 vcc_lo, 0, v9
                                        ; implicit-def: $vgpr9
	s_and_saveexec_b32 s2, vcc_lo
	s_delay_alu instid0(SALU_CYCLE_1)
	s_xor_b32 s2, exec_lo, s2
; %bb.107:                              ;   in Loop: Header=BB95_7 Depth=1
	v_mul_f32_e64 v2, v1, -v2
	v_cmp_eq_f32_e32 vcc_lo, 0, v1
	s_delay_alu instid0(VALU_DEP_2)
	v_cndmask_b32_e32 v9, v2, v1, vcc_lo
; %bb.108:                              ;   in Loop: Header=BB95_7 Depth=1
	s_and_not1_saveexec_b32 s28, s2
	s_cbranch_execz .LBB95_120
; %bb.109:                              ;   in Loop: Header=BB95_7 Depth=1
	s_mov_b32 s29, exec_lo
	v_cmpx_neq_f32_e64 0x7f800000, |v1|
	s_cbranch_execz .LBB95_119
; %bb.110:                              ;   in Loop: Header=BB95_7 Depth=1
	v_and_b32_e32 v2, 0x7fffffff, v1
	v_cmp_ngt_f32_e64 s30, 0x48000000, |v1|
                                        ; implicit-def: $vgpr10
	s_delay_alu instid0(VALU_DEP_2) | instskip(SKIP_1) | instid1(VALU_DEP_2)
	v_lshrrev_b32_e32 v9, 23, v2
	v_and_or_b32 v11, v2, s21, 0x800000
	v_add_nc_u32_e32 v18, 0xffffff88, v9
                                        ; implicit-def: $vgpr9
	s_delay_alu instid0(VALU_DEP_4) | instskip(NEXT) | instid1(SALU_CYCLE_1)
	s_and_saveexec_b32 s2, s30
	s_xor_b32 s31, exec_lo, s2
	s_cbranch_execz .LBB95_112
; %bb.111:                              ;   in Loop: Header=BB95_7 Depth=1
	v_mad_u64_u32 v[9:10], null, 0xfe5163ab, v11, 0
	v_cmp_lt_u32_e32 vcc_lo, 63, v18
	s_delay_alu instid0(VALU_DEP_2) | instskip(SKIP_1) | instid1(VALU_DEP_2)
	v_mov_b32_e32 v12, v10
	v_cndmask_b32_e64 v10, 0, 0xffffffc0, vcc_lo
	v_mad_u64_u32 v[19:20], null, 0x3c439041, v11, v[12:13]
	s_delay_alu instid0(VALU_DEP_2) | instskip(NEXT) | instid1(VALU_DEP_1)
	v_add_nc_u32_e32 v10, v10, v18
	v_cmp_lt_u32_e64 s2, 31, v10
	s_delay_alu instid0(VALU_DEP_3) | instskip(NEXT) | instid1(VALU_DEP_2)
	v_mov_b32_e32 v12, v20
	v_cndmask_b32_e64 v25, 0, 0xffffffe0, s2
	s_delay_alu instid0(VALU_DEP_2) | instskip(NEXT) | instid1(VALU_DEP_2)
	v_mad_u64_u32 v[20:21], null, 0xdb629599, v11, v[12:13]
	v_add_nc_u32_e32 v10, v25, v10
	s_delay_alu instid0(VALU_DEP_2) | instskip(NEXT) | instid1(VALU_DEP_2)
	v_dual_mov_b32 v12, v21 :: v_dual_cndmask_b32 v9, v20, v9
	v_cmp_lt_u32_e64 s3, 31, v10
	s_delay_alu instid0(VALU_DEP_2) | instskip(NEXT) | instid1(VALU_DEP_1)
	v_mad_u64_u32 v[21:22], null, 0xf534ddc0, v11, v[12:13]
	v_mov_b32_e32 v12, v22
	s_delay_alu instid0(VALU_DEP_1) | instskip(NEXT) | instid1(VALU_DEP_1)
	v_mad_u64_u32 v[22:23], null, 0xfc2757d1, v11, v[12:13]
	v_mov_b32_e32 v12, v23
	s_delay_alu instid0(VALU_DEP_1) | instskip(NEXT) | instid1(VALU_DEP_1)
	v_mad_u64_u32 v[23:24], null, 0x4e441529, v11, v[12:13]
	v_mov_b32_e32 v12, v24
	s_delay_alu instid0(VALU_DEP_2) | instskip(NEXT) | instid1(VALU_DEP_2)
	v_cndmask_b32_e32 v26, v23, v21, vcc_lo
	v_mad_u64_u32 v[24:25], null, 0xa2f9836e, v11, v[12:13]
	v_cndmask_b32_e64 v12, 0, 0xffffffe0, s3
	s_delay_alu instid0(VALU_DEP_1) | instskip(NEXT) | instid1(VALU_DEP_3)
	v_add_nc_u32_e32 v10, v12, v10
	v_dual_cndmask_b32 v24, v24, v22 :: v_dual_cndmask_b32 v23, v25, v23
	v_cndmask_b32_e32 v22, v22, v20, vcc_lo
	v_cndmask_b32_e32 v12, v21, v19, vcc_lo
	s_delay_alu instid0(VALU_DEP_4) | instskip(NEXT) | instid1(VALU_DEP_4)
	v_cmp_eq_u32_e64 s4, 0, v10
	v_cndmask_b32_e64 v19, v24, v26, s2
	v_cndmask_b32_e64 v21, v23, v24, s2
	;; [unrolled: 1-line block ×3, first 2 shown]
	v_sub_nc_u32_e32 v24, 32, v10
	v_cndmask_b32_e64 v22, v22, v12, s2
	v_cndmask_b32_e64 v9, v12, v9, s2
	;; [unrolled: 1-line block ×4, first 2 shown]
	s_delay_alu instid0(VALU_DEP_4) | instskip(NEXT) | instid1(VALU_DEP_4)
	v_cndmask_b32_e64 v23, v23, v22, s3
	v_cndmask_b32_e64 v9, v22, v9, s3
	s_delay_alu instid0(VALU_DEP_3) | instskip(NEXT) | instid1(VALU_DEP_3)
	v_alignbit_b32 v25, v21, v19, v24
	v_alignbit_b32 v26, v19, v23, v24
	s_delay_alu instid0(VALU_DEP_3) | instskip(NEXT) | instid1(VALU_DEP_3)
	v_alignbit_b32 v24, v23, v9, v24
	v_cndmask_b32_e64 v10, v25, v21, s4
	s_delay_alu instid0(VALU_DEP_3) | instskip(NEXT) | instid1(VALU_DEP_3)
	v_cndmask_b32_e64 v19, v26, v19, s4
	v_cndmask_b32_e64 v23, v24, v23, s4
	s_delay_alu instid0(VALU_DEP_3) | instskip(NEXT) | instid1(VALU_DEP_3)
	v_bfe_u32 v20, v10, 29, 1
	v_alignbit_b32 v12, v10, v19, 30
	s_delay_alu instid0(VALU_DEP_3) | instskip(SKIP_1) | instid1(VALU_DEP_4)
	v_alignbit_b32 v19, v19, v23, 30
	v_alignbit_b32 v9, v23, v9, 30
	v_sub_nc_u32_e32 v21, 0, v20
	s_delay_alu instid0(VALU_DEP_1) | instskip(SKIP_3) | instid1(VALU_DEP_4)
	v_xor_b32_e32 v22, v12, v21
	v_cmp_ne_u32_e32 vcc_lo, v12, v21
	v_xor_b32_e32 v19, v19, v21
	v_xor_b32_e32 v9, v9, v21
	v_clz_i32_u32_e32 v25, v22
	s_delay_alu instid0(VALU_DEP_1) | instskip(NEXT) | instid1(VALU_DEP_1)
	v_add_nc_u32_e32 v24, 1, v25
	v_cndmask_b32_e32 v12, 33, v24, vcc_lo
	s_delay_alu instid0(VALU_DEP_1) | instskip(NEXT) | instid1(VALU_DEP_1)
	v_sub_nc_u32_e32 v23, 32, v12
	v_alignbit_b32 v21, v22, v19, v23
	v_alignbit_b32 v9, v19, v9, v23
	v_lshrrev_b32_e32 v19, 29, v10
	v_lshrrev_b32_e32 v10, 30, v10
	s_delay_alu instid0(VALU_DEP_3) | instskip(NEXT) | instid1(VALU_DEP_3)
	v_alignbit_b32 v22, v21, v9, 9
	v_lshlrev_b32_e32 v19, 31, v19
	v_alignbit_b32 v21, v12, v21, 9
	s_delay_alu instid0(VALU_DEP_4) | instskip(NEXT) | instid1(VALU_DEP_4)
	v_add_nc_u32_e32 v10, v20, v10
	v_clz_i32_u32_e32 v23, v22
	s_delay_alu instid0(VALU_DEP_3) | instskip(SKIP_1) | instid1(VALU_DEP_3)
	v_or_b32_e32 v21, v21, v19
	v_or_b32_e32 v19, 0x33800000, v19
	v_min_u32_e32 v23, 32, v23
	s_delay_alu instid0(VALU_DEP_3) | instskip(NEXT) | instid1(VALU_DEP_2)
	v_xor_b32_e32 v21, 1.0, v21
	v_sub_nc_u32_e32 v24, 31, v23
	v_add_lshl_u32 v12, v23, v12, 23
	s_delay_alu instid0(VALU_DEP_3) | instskip(NEXT) | instid1(VALU_DEP_3)
	v_mul_f32_e32 v23, 0x3fc90fda, v21
	v_alignbit_b32 v9, v22, v9, v24
	s_delay_alu instid0(VALU_DEP_3) | instskip(NEXT) | instid1(VALU_DEP_3)
	v_sub_nc_u32_e32 v12, v19, v12
	v_fma_f32 v19, 0x3fc90fda, v21, -v23
	s_delay_alu instid0(VALU_DEP_3) | instskip(NEXT) | instid1(VALU_DEP_2)
	v_lshrrev_b32_e32 v9, 9, v9
	v_fmac_f32_e32 v19, 0x33a22168, v21
	s_delay_alu instid0(VALU_DEP_2) | instskip(NEXT) | instid1(VALU_DEP_1)
	v_or_b32_e32 v9, v12, v9
	v_fmac_f32_e32 v19, 0x3fc90fda, v9
	s_delay_alu instid0(VALU_DEP_1)
	v_add_f32_e32 v9, v23, v19
.LBB95_112:                             ;   in Loop: Header=BB95_7 Depth=1
	s_or_saveexec_b32 s2, s31
	v_mul_f32_e64 v12, 0x3f22f983, |v1|
	s_delay_alu instid0(VALU_DEP_1)
	v_rndne_f32_e32 v20, v12
	s_xor_b32 exec_lo, exec_lo, s2
; %bb.113:                              ;   in Loop: Header=BB95_7 Depth=1
	s_delay_alu instid0(VALU_DEP_1) | instskip(SKIP_1) | instid1(VALU_DEP_2)
	v_fma_f32 v9, 0xbfc90fda, v20, |v1|
	v_cvt_i32_f32_e32 v10, v20
	v_fmac_f32_e32 v9, 0xb3a22168, v20
	s_delay_alu instid0(VALU_DEP_1)
	v_fmac_f32_e32 v9, 0xa7c234c4, v20
; %bb.114:                              ;   in Loop: Header=BB95_7 Depth=1
	s_or_b32 exec_lo, exec_lo, s2
                                        ; implicit-def: $vgpr19
                                        ; implicit-def: $vgpr12
	s_and_saveexec_b32 s2, s30
	s_delay_alu instid0(SALU_CYCLE_1)
	s_xor_b32 s30, exec_lo, s2
	s_cbranch_execz .LBB95_116
; %bb.115:                              ;   in Loop: Header=BB95_7 Depth=1
	v_mad_u64_u32 v[19:20], null, 0xfe5163ab, v11, 0
	v_cmp_lt_u32_e32 vcc_lo, 63, v18
	v_cndmask_b32_e64 v25, 0, 0xffffffc0, vcc_lo
	s_delay_alu instid0(VALU_DEP_3) | instskip(NEXT) | instid1(VALU_DEP_2)
	v_mov_b32_e32 v12, v20
	v_add_nc_u32_e32 v18, v25, v18
	s_delay_alu instid0(VALU_DEP_2) | instskip(NEXT) | instid1(VALU_DEP_2)
	v_mad_u64_u32 v[20:21], null, 0x3c439041, v11, v[12:13]
	v_cmp_lt_u32_e64 s2, 31, v18
	s_delay_alu instid0(VALU_DEP_2) | instskip(NEXT) | instid1(VALU_DEP_2)
	v_mov_b32_e32 v12, v21
	v_cndmask_b32_e64 v26, 0, 0xffffffe0, s2
	s_delay_alu instid0(VALU_DEP_2) | instskip(NEXT) | instid1(VALU_DEP_2)
	v_mad_u64_u32 v[21:22], null, 0xdb629599, v11, v[12:13]
	v_add_nc_u32_e32 v18, v26, v18
	s_delay_alu instid0(VALU_DEP_1) | instskip(NEXT) | instid1(VALU_DEP_3)
	v_cmp_lt_u32_e64 s3, 31, v18
	v_dual_mov_b32 v12, v22 :: v_dual_cndmask_b32 v19, v21, v19
	s_delay_alu instid0(VALU_DEP_1) | instskip(NEXT) | instid1(VALU_DEP_1)
	v_mad_u64_u32 v[22:23], null, 0xf534ddc0, v11, v[12:13]
	v_mov_b32_e32 v12, v23
	s_delay_alu instid0(VALU_DEP_1) | instskip(NEXT) | instid1(VALU_DEP_1)
	v_mad_u64_u32 v[23:24], null, 0xfc2757d1, v11, v[12:13]
	v_mov_b32_e32 v12, v24
	;; [unrolled: 3-line block ×3, first 2 shown]
	s_delay_alu instid0(VALU_DEP_1) | instskip(SKIP_1) | instid1(VALU_DEP_4)
	v_mad_u64_u32 v[25:26], null, 0xa2f9836e, v11, v[12:13]
	v_cndmask_b32_e64 v11, 0, 0xffffffe0, s3
	v_cndmask_b32_e32 v12, v24, v22, vcc_lo
	s_delay_alu instid0(VALU_DEP_2) | instskip(NEXT) | instid1(VALU_DEP_4)
	v_add_nc_u32_e32 v11, v11, v18
	v_dual_cndmask_b32 v25, v25, v23 :: v_dual_cndmask_b32 v24, v26, v24
	v_dual_cndmask_b32 v23, v23, v21 :: v_dual_cndmask_b32 v18, v22, v20
	s_delay_alu instid0(VALU_DEP_3) | instskip(NEXT) | instid1(VALU_DEP_3)
	v_cmp_eq_u32_e64 s4, 0, v11
	v_cndmask_b32_e64 v20, v25, v12, s2
	s_delay_alu instid0(VALU_DEP_4) | instskip(NEXT) | instid1(VALU_DEP_4)
	v_cndmask_b32_e64 v22, v24, v25, s2
	v_cndmask_b32_e64 v12, v12, v23, s2
	v_sub_nc_u32_e32 v24, 32, v11
	v_cndmask_b32_e64 v23, v23, v18, s2
	v_cndmask_b32_e64 v18, v18, v19, s2
	;; [unrolled: 1-line block ×4, first 2 shown]
	s_delay_alu instid0(VALU_DEP_4) | instskip(NEXT) | instid1(VALU_DEP_4)
	v_cndmask_b32_e64 v12, v12, v23, s3
	v_cndmask_b32_e64 v18, v23, v18, s3
	s_delay_alu instid0(VALU_DEP_3) | instskip(NEXT) | instid1(VALU_DEP_3)
	v_alignbit_b32 v25, v22, v20, v24
	v_alignbit_b32 v26, v20, v12, v24
	s_delay_alu instid0(VALU_DEP_3) | instskip(NEXT) | instid1(VALU_DEP_3)
	v_alignbit_b32 v24, v12, v18, v24
	v_cndmask_b32_e64 v11, v25, v22, s4
	s_delay_alu instid0(VALU_DEP_3) | instskip(NEXT) | instid1(VALU_DEP_3)
	v_cndmask_b32_e64 v20, v26, v20, s4
	v_cndmask_b32_e64 v12, v24, v12, s4
	s_delay_alu instid0(VALU_DEP_3) | instskip(NEXT) | instid1(VALU_DEP_3)
	v_bfe_u32 v21, v11, 29, 1
	v_alignbit_b32 v19, v11, v20, 30
	s_delay_alu instid0(VALU_DEP_3) | instskip(SKIP_1) | instid1(VALU_DEP_4)
	v_alignbit_b32 v20, v20, v12, 30
	v_alignbit_b32 v12, v12, v18, 30
	v_sub_nc_u32_e32 v22, 0, v21
	s_delay_alu instid0(VALU_DEP_1) | instskip(SKIP_3) | instid1(VALU_DEP_4)
	v_xor_b32_e32 v23, v19, v22
	v_cmp_ne_u32_e32 vcc_lo, v19, v22
	v_xor_b32_e32 v18, v20, v22
	v_xor_b32_e32 v12, v12, v22
	v_clz_i32_u32_e32 v25, v23
	s_delay_alu instid0(VALU_DEP_1) | instskip(NEXT) | instid1(VALU_DEP_1)
	v_add_nc_u32_e32 v24, 1, v25
	v_cndmask_b32_e32 v19, 33, v24, vcc_lo
	s_delay_alu instid0(VALU_DEP_1) | instskip(NEXT) | instid1(VALU_DEP_1)
	v_sub_nc_u32_e32 v20, 32, v19
	v_alignbit_b32 v22, v23, v18, v20
	v_alignbit_b32 v12, v18, v12, v20
	v_lshrrev_b32_e32 v18, 29, v11
	v_lshrrev_b32_e32 v11, 30, v11
	s_delay_alu instid0(VALU_DEP_3) | instskip(NEXT) | instid1(VALU_DEP_3)
	v_alignbit_b32 v20, v22, v12, 9
	v_lshlrev_b32_e32 v18, 31, v18
	v_alignbit_b32 v22, v19, v22, 9
	s_delay_alu instid0(VALU_DEP_3) | instskip(NEXT) | instid1(VALU_DEP_2)
	v_clz_i32_u32_e32 v23, v20
	v_or_b32_e32 v22, v22, v18
	v_or_b32_e32 v18, 0x33800000, v18
	s_delay_alu instid0(VALU_DEP_3) | instskip(NEXT) | instid1(VALU_DEP_3)
	v_min_u32_e32 v23, 32, v23
	v_xor_b32_e32 v22, 1.0, v22
	s_delay_alu instid0(VALU_DEP_2) | instskip(SKIP_1) | instid1(VALU_DEP_3)
	v_sub_nc_u32_e32 v24, 31, v23
	v_add_lshl_u32 v19, v23, v19, 23
	v_mul_f32_e32 v23, 0x3fc90fda, v22
	s_delay_alu instid0(VALU_DEP_3) | instskip(NEXT) | instid1(VALU_DEP_3)
	v_alignbit_b32 v12, v20, v12, v24
	v_sub_nc_u32_e32 v18, v18, v19
	s_delay_alu instid0(VALU_DEP_3) | instskip(NEXT) | instid1(VALU_DEP_3)
	v_fma_f32 v19, 0x3fc90fda, v22, -v23
                                        ; implicit-def: $vgpr20
	v_lshrrev_b32_e32 v12, 9, v12
	s_delay_alu instid0(VALU_DEP_2) | instskip(NEXT) | instid1(VALU_DEP_2)
	v_fmac_f32_e32 v19, 0x33a22168, v22
	v_or_b32_e32 v12, v18, v12
	s_delay_alu instid0(VALU_DEP_1) | instskip(NEXT) | instid1(VALU_DEP_1)
	v_fmac_f32_e32 v19, 0x3fc90fda, v12
	v_add_f32_e32 v12, v23, v19
	v_add_nc_u32_e32 v19, v21, v11
	s_and_not1_saveexec_b32 s2, s30
	s_cbranch_execnz .LBB95_117
	s_branch .LBB95_118
.LBB95_116:                             ;   in Loop: Header=BB95_7 Depth=1
	s_and_not1_saveexec_b32 s2, s30
.LBB95_117:                             ;   in Loop: Header=BB95_7 Depth=1
	v_fma_f32 v12, 0xbfc90fda, v20, |v1|
	v_cvt_i32_f32_e32 v19, v20
	s_delay_alu instid0(VALU_DEP_2) | instskip(NEXT) | instid1(VALU_DEP_1)
	v_fmac_f32_e32 v12, 0xb3a22168, v20
	v_fmac_f32_e32 v12, 0xa7c234c4, v20
.LBB95_118:                             ;   in Loop: Header=BB95_7 Depth=1
	s_or_b32 exec_lo, exec_lo, s2
	v_dual_mul_f32 v11, v9, v9 :: v_dual_and_b32 v18, 1, v10
	s_delay_alu instid0(VALU_DEP_1) | instskip(NEXT) | instid1(VALU_DEP_1)
	v_dual_mul_f32 v20, v12, v12 :: v_dual_fmaak_f32 v21, s25, v11, 0x3c0881c4
	v_dual_fmaak_f32 v24, s25, v20, 0x3c0881c4 :: v_dual_and_b32 v23, 1, v19
	v_dual_fmaak_f32 v25, s26, v20, 0xbab64f3b :: v_dual_lshlrev_b32 v10, 30, v10
	s_delay_alu instid0(VALU_DEP_3) | instskip(SKIP_1) | instid1(VALU_DEP_4)
	v_fmaak_f32 v21, v11, v21, 0xbe2aaa9d
	v_cmp_eq_u32_e32 vcc_lo, 0, v18
	v_fmaak_f32 v24, v20, v24, 0xbe2aaa9d
	v_fmaak_f32 v22, s26, v11, 0xbab64f3b
	;; [unrolled: 1-line block ×3, first 2 shown]
	v_mul_f32_e32 v21, v11, v21
	v_lshlrev_b32_e32 v19, 30, v19
	v_and_b32_e32 v10, 0x80000000, v10
	v_fmaak_f32 v22, v11, v22, 0x3d2aabf7
	v_fmaak_f32 v25, v20, v25, 0xbf000004
	v_fmac_f32_e32 v9, v9, v21
	s_delay_alu instid0(VALU_DEP_4) | instskip(NEXT) | instid1(VALU_DEP_4)
	v_xor_b32_e32 v2, v2, v10
	v_fmaak_f32 v22, v11, v22, 0xbf000004
	s_delay_alu instid0(VALU_DEP_4) | instskip(NEXT) | instid1(VALU_DEP_2)
	v_fma_f32 v10, v20, v25, 1.0
	v_fma_f32 v11, v11, v22, 1.0
	s_delay_alu instid0(VALU_DEP_1) | instskip(NEXT) | instid1(VALU_DEP_1)
	v_dual_mul_f32 v24, v20, v24 :: v_dual_cndmask_b32 v9, v11, v9
	v_dual_fmac_f32 v12, v12, v24 :: v_dual_and_b32 v11, 0x80000000, v19
	v_cmp_eq_u32_e32 vcc_lo, 0, v23
	s_delay_alu instid0(VALU_DEP_3) | instskip(NEXT) | instid1(VALU_DEP_3)
	v_xor3_b32 v2, v2, v9, v1
	v_cndmask_b32_e64 v10, -v12, v10, vcc_lo
	v_cmp_class_f32_e64 vcc_lo, v1, 0x1f8
	s_delay_alu instid0(VALU_DEP_2) | instskip(NEXT) | instid1(VALU_DEP_1)
	v_xor_b32_e32 v9, v11, v10
	v_mul_f32_e32 v2, v2, v9
	s_delay_alu instid0(VALU_DEP_1)
	v_cndmask_b32_e32 v1, 0x7fc00000, v2, vcc_lo
.LBB95_119:                             ;   in Loop: Header=BB95_7 Depth=1
	s_or_b32 exec_lo, exec_lo, s29
	v_add_nc_u32_e32 v8, -2.0, v8
	s_delay_alu instid0(VALU_DEP_2)
	v_bfi_b32 v9, 0x7fffffff, 0, v1
.LBB95_120:                             ;   in Loop: Header=BB95_7 Depth=1
	s_or_b32 exec_lo, exec_lo, s28
.LBB95_121:                             ;   in Loop: Header=BB95_7 Depth=1
	s_delay_alu instid0(SALU_CYCLE_1) | instskip(SKIP_2) | instid1(VALU_DEP_1)
	s_or_b32 exec_lo, exec_lo, s27
	v_and_b32_e32 v2, 0x7fffffff, v4
                                        ; implicit-def: $vgpr18
	s_mov_b32 s2, exec_lo
	v_cmpx_gt_u32_e32 0x7f800000, v2
	s_xor_b32 s27, exec_lo, s2
	s_cbranch_execz .LBB95_143
; %bb.122:                              ;   in Loop: Header=BB95_7 Depth=1
	v_cmp_class_f32_e64 s2, v3, 0x1f8
                                        ; implicit-def: $vgpr18
	s_delay_alu instid0(VALU_DEP_1) | instskip(NEXT) | instid1(SALU_CYCLE_1)
	s_and_saveexec_b32 s3, s2
	s_xor_b32 s28, exec_lo, s3
	s_cbranch_execz .LBB95_140
; %bb.123:                              ;   in Loop: Header=BB95_7 Depth=1
	v_and_b32_e32 v1, 0x7fffffff, v3
                                        ; implicit-def: $vgpr18
	s_mov_b32 s2, exec_lo
	v_cmpx_gt_u32_e32 0x41300000, v2
	s_xor_b32 s29, exec_lo, s2
	s_cbranch_execz .LBB95_129
; %bb.124:                              ;   in Loop: Header=BB95_7 Depth=1
                                        ; implicit-def: $vgpr2
                                        ; implicit-def: $vgpr10
	s_mov_b32 s3, exec_lo
	v_cmpx_ngt_f32_e64 0x48000000, |v3|
	s_xor_b32 s30, exec_lo, s3
	s_cbranch_execz .LBB95_126
; %bb.125:                              ;   in Loop: Header=BB95_7 Depth=1
	v_and_or_b32 v2, v1, s21, 0x800000
	s_delay_alu instid0(VALU_DEP_1) | instskip(NEXT) | instid1(VALU_DEP_1)
	v_mad_u64_u32 v[10:11], null, 0xfe5163ab, v2, 0
	v_mov_b32_e32 v12, v11
	v_lshrrev_b32_e32 v11, 23, v1
	s_delay_alu instid0(VALU_DEP_1) | instskip(NEXT) | instid1(VALU_DEP_3)
	v_add_nc_u32_e32 v11, 0xffffff88, v11
	v_mad_u64_u32 v[18:19], null, 0x3c439041, v2, v[12:13]
	s_delay_alu instid0(VALU_DEP_2) | instskip(SKIP_1) | instid1(VALU_DEP_1)
	v_cmp_lt_u32_e32 vcc_lo, 63, v11
	v_cndmask_b32_e64 v23, 0, 0xffffffc0, vcc_lo
	v_add_nc_u32_e32 v11, v23, v11
	s_delay_alu instid0(VALU_DEP_1) | instskip(NEXT) | instid1(VALU_DEP_1)
	v_cmp_lt_u32_e64 s2, 31, v11
	v_cndmask_b32_e64 v24, 0, 0xffffffe0, s2
	s_delay_alu instid0(VALU_DEP_1) | instskip(NEXT) | instid1(VALU_DEP_1)
	v_dual_mov_b32 v12, v19 :: v_dual_add_nc_u32 v11, v24, v11
	v_mad_u64_u32 v[19:20], null, 0xdb629599, v2, v[12:13]
	s_delay_alu instid0(VALU_DEP_2) | instskip(NEXT) | instid1(VALU_DEP_2)
	v_cmp_lt_u32_e64 s3, 31, v11
	v_mov_b32_e32 v12, v20
	s_delay_alu instid0(VALU_DEP_3) | instskip(NEXT) | instid1(VALU_DEP_2)
	v_cndmask_b32_e32 v10, v19, v10, vcc_lo
	v_mad_u64_u32 v[20:21], null, 0xf534ddc0, v2, v[12:13]
	s_delay_alu instid0(VALU_DEP_1) | instskip(NEXT) | instid1(VALU_DEP_1)
	v_mov_b32_e32 v12, v21
	v_mad_u64_u32 v[21:22], null, 0xfc2757d1, v2, v[12:13]
	s_delay_alu instid0(VALU_DEP_1) | instskip(NEXT) | instid1(VALU_DEP_1)
	v_mov_b32_e32 v12, v22
	;; [unrolled: 3-line block ×3, first 2 shown]
	v_mad_u64_u32 v[23:24], null, 0xa2f9836e, v2, v[12:13]
	v_cndmask_b32_e64 v2, 0, 0xffffffe0, s3
	s_delay_alu instid0(VALU_DEP_4) | instskip(NEXT) | instid1(VALU_DEP_2)
	v_cndmask_b32_e32 v12, v22, v20, vcc_lo
	v_dual_cndmask_b32 v23, v23, v21 :: v_dual_add_nc_u32 v2, v2, v11
	s_delay_alu instid0(VALU_DEP_4) | instskip(SKIP_1) | instid1(VALU_DEP_3)
	v_dual_cndmask_b32 v22, v24, v22 :: v_dual_cndmask_b32 v21, v21, v19
	v_cndmask_b32_e32 v11, v20, v18, vcc_lo
	v_cmp_eq_u32_e64 s4, 0, v2
	s_delay_alu instid0(VALU_DEP_4) | instskip(NEXT) | instid1(VALU_DEP_4)
	v_cndmask_b32_e64 v18, v23, v12, s2
	v_cndmask_b32_e64 v20, v22, v23, s2
	;; [unrolled: 1-line block ×3, first 2 shown]
	v_sub_nc_u32_e32 v22, 32, v2
	v_cndmask_b32_e64 v21, v21, v11, s2
	v_cndmask_b32_e64 v10, v11, v10, s2
	;; [unrolled: 1-line block ×4, first 2 shown]
	s_delay_alu instid0(VALU_DEP_4) | instskip(NEXT) | instid1(VALU_DEP_4)
	v_cndmask_b32_e64 v12, v12, v21, s3
	v_cndmask_b32_e64 v10, v21, v10, s3
	s_delay_alu instid0(VALU_DEP_3) | instskip(NEXT) | instid1(VALU_DEP_3)
	v_alignbit_b32 v23, v20, v18, v22
	v_alignbit_b32 v24, v18, v12, v22
	s_delay_alu instid0(VALU_DEP_3) | instskip(NEXT) | instid1(VALU_DEP_3)
	v_alignbit_b32 v22, v12, v10, v22
	v_cndmask_b32_e64 v2, v23, v20, s4
	s_delay_alu instid0(VALU_DEP_3) | instskip(NEXT) | instid1(VALU_DEP_3)
	v_cndmask_b32_e64 v18, v24, v18, s4
	v_cndmask_b32_e64 v12, v22, v12, s4
	s_delay_alu instid0(VALU_DEP_3) | instskip(NEXT) | instid1(VALU_DEP_3)
	v_bfe_u32 v19, v2, 29, 1
	v_alignbit_b32 v11, v2, v18, 30
	s_delay_alu instid0(VALU_DEP_3) | instskip(SKIP_1) | instid1(VALU_DEP_4)
	v_alignbit_b32 v18, v18, v12, 30
	v_alignbit_b32 v10, v12, v10, 30
	v_sub_nc_u32_e32 v20, 0, v19
	s_delay_alu instid0(VALU_DEP_1) | instskip(SKIP_3) | instid1(VALU_DEP_4)
	v_xor_b32_e32 v21, v11, v20
	v_cmp_ne_u32_e32 vcc_lo, v11, v20
	v_xor_b32_e32 v12, v18, v20
	v_xor_b32_e32 v10, v10, v20
	v_clz_i32_u32_e32 v23, v21
	s_delay_alu instid0(VALU_DEP_1) | instskip(NEXT) | instid1(VALU_DEP_1)
	v_add_nc_u32_e32 v22, 1, v23
	v_cndmask_b32_e32 v11, 33, v22, vcc_lo
	s_delay_alu instid0(VALU_DEP_1) | instskip(NEXT) | instid1(VALU_DEP_1)
	v_sub_nc_u32_e32 v18, 32, v11
	v_alignbit_b32 v20, v21, v12, v18
	v_alignbit_b32 v10, v12, v10, v18
	v_lshrrev_b32_e32 v12, 29, v2
	v_lshrrev_b32_e32 v2, 30, v2
	s_delay_alu instid0(VALU_DEP_3) | instskip(NEXT) | instid1(VALU_DEP_3)
	v_alignbit_b32 v18, v20, v10, 9
	v_lshlrev_b32_e32 v12, 31, v12
	v_alignbit_b32 v20, v11, v20, 9
	s_delay_alu instid0(VALU_DEP_4) | instskip(NEXT) | instid1(VALU_DEP_4)
	v_add_nc_u32_e32 v2, v19, v2
	v_clz_i32_u32_e32 v21, v18
	s_delay_alu instid0(VALU_DEP_3) | instskip(SKIP_1) | instid1(VALU_DEP_3)
	v_or_b32_e32 v20, v20, v12
	v_or_b32_e32 v12, 0x33800000, v12
	v_min_u32_e32 v21, 32, v21
	s_delay_alu instid0(VALU_DEP_3) | instskip(NEXT) | instid1(VALU_DEP_2)
	v_xor_b32_e32 v20, 1.0, v20
	v_sub_nc_u32_e32 v22, 31, v21
	v_add_lshl_u32 v11, v21, v11, 23
	s_delay_alu instid0(VALU_DEP_3) | instskip(NEXT) | instid1(VALU_DEP_3)
	v_mul_f32_e32 v21, 0x3fc90fda, v20
	v_alignbit_b32 v10, v18, v10, v22
	s_delay_alu instid0(VALU_DEP_3) | instskip(NEXT) | instid1(VALU_DEP_3)
	v_sub_nc_u32_e32 v11, v12, v11
	v_fma_f32 v12, 0x3fc90fda, v20, -v21
	s_delay_alu instid0(VALU_DEP_3) | instskip(NEXT) | instid1(VALU_DEP_2)
	v_lshrrev_b32_e32 v10, 9, v10
	v_fmac_f32_e32 v12, 0x33a22168, v20
	s_delay_alu instid0(VALU_DEP_2) | instskip(NEXT) | instid1(VALU_DEP_1)
	v_or_b32_e32 v10, v11, v10
	v_fmac_f32_e32 v12, 0x3fc90fda, v10
	s_delay_alu instid0(VALU_DEP_1)
	v_add_f32_e32 v10, v21, v12
.LBB95_126:                             ;   in Loop: Header=BB95_7 Depth=1
	s_and_not1_saveexec_b32 s2, s30
; %bb.127:                              ;   in Loop: Header=BB95_7 Depth=1
	v_mul_f32_e64 v2, 0x3f22f983, |v3|
	s_delay_alu instid0(VALU_DEP_1) | instskip(NEXT) | instid1(VALU_DEP_1)
	v_rndne_f32_e32 v2, v2
	v_fma_f32 v10, 0xbfc90fda, v2, |v3|
	s_delay_alu instid0(VALU_DEP_1) | instskip(NEXT) | instid1(VALU_DEP_1)
	v_fmac_f32_e32 v10, 0xb3a22168, v2
	v_fmac_f32_e32 v10, 0xa7c234c4, v2
	v_cvt_i32_f32_e32 v2, v2
; %bb.128:                              ;   in Loop: Header=BB95_7 Depth=1
	s_or_b32 exec_lo, exec_lo, s2
	v_add_f32_e64 v11, 0xbf317218, |v4|
	v_cmp_nlt_f32_e64 vcc_lo, 0x42b2d4fc, |v4|
	v_cmp_gt_f32_e64 s2, 0x39800000, |v4|
	v_and_b32_e32 v2, 1, v2
	s_delay_alu instid0(VALU_DEP_4) | instskip(NEXT) | instid1(VALU_DEP_1)
	v_sub_f32_e64 v12, v11, |v4|
	v_sub_f32_e32 v18, v12, v11
	v_add_f32_e32 v12, 0x3f317218, v12
	s_delay_alu instid0(VALU_DEP_2) | instskip(NEXT) | instid1(VALU_DEP_1)
	v_add_f32_e64 v18, |v4|, v18
	v_sub_f32_e32 v12, v18, v12
	s_delay_alu instid0(VALU_DEP_1) | instskip(NEXT) | instid1(VALU_DEP_1)
	v_add_f32_e32 v12, 0x3102e308, v12
	v_add_f32_e32 v18, v11, v12
	s_delay_alu instid0(VALU_DEP_1) | instskip(NEXT) | instid1(VALU_DEP_1)
	v_sub_f32_e32 v11, v11, v18
	v_add_f32_e32 v11, v12, v11
	v_mul_f32_e32 v19, 0x3fb8aa3b, v18
	s_delay_alu instid0(VALU_DEP_1) | instskip(NEXT) | instid1(VALU_DEP_1)
	v_rndne_f32_e32 v19, v19
	v_mul_f32_e32 v12, 0x35bfbc00, v19
	v_fmac_f32_e32 v18, 0xbf317200, v19
	s_delay_alu instid0(VALU_DEP_1) | instskip(NEXT) | instid1(VALU_DEP_1)
	v_add_f32_e32 v20, v11, v18
	v_sub_f32_e32 v21, v20, v12
	v_sub_f32_e32 v18, v18, v20
	s_delay_alu instid0(VALU_DEP_1) | instskip(NEXT) | instid1(VALU_DEP_1)
	v_dual_sub_f32 v20, v20, v21 :: v_dual_add_f32 v11, v11, v18
	v_sub_f32_e32 v12, v20, v12
	s_delay_alu instid0(VALU_DEP_1) | instskip(NEXT) | instid1(VALU_DEP_1)
	v_dual_add_f32 v11, v11, v12 :: v_dual_mul_f32 v12, 0x2ea39ef3, v19
	v_add_f32_e32 v18, v21, v11
	s_delay_alu instid0(VALU_DEP_1) | instskip(NEXT) | instid1(VALU_DEP_1)
	v_dual_sub_f32 v20, v18, v12 :: v_dual_sub_f32 v21, v21, v18
	v_dual_sub_f32 v18, v18, v20 :: v_dual_add_f32 v11, v11, v21
	s_delay_alu instid0(VALU_DEP_1) | instskip(NEXT) | instid1(VALU_DEP_1)
	v_sub_f32_e32 v12, v18, v12
	v_add_f32_e32 v11, v11, v12
	s_delay_alu instid0(VALU_DEP_1) | instskip(NEXT) | instid1(VALU_DEP_1)
	v_add_f32_e32 v12, v20, v11
	v_sub_f32_e32 v18, v20, v12
	s_delay_alu instid0(VALU_DEP_1) | instskip(SKIP_1) | instid1(VALU_DEP_2)
	v_dual_mul_f32 v20, v12, v12 :: v_dual_add_f32 v11, v11, v18
	v_fmaak_f32 v18, s24, v12, 0x3c091de6
	v_fma_f32 v21, v12, v12, -v20
	s_delay_alu instid0(VALU_DEP_3) | instskip(NEXT) | instid1(VALU_DEP_3)
	v_add_f32_e32 v22, v11, v11
	v_fmaak_f32 v18, v12, v18, 0x3d2aadcc
	s_delay_alu instid0(VALU_DEP_2) | instskip(NEXT) | instid1(VALU_DEP_2)
	v_fmac_f32_e32 v21, v12, v22
	v_fmaak_f32 v18, v12, v18, 0x3e2aaa47
	s_delay_alu instid0(VALU_DEP_2) | instskip(NEXT) | instid1(VALU_DEP_2)
	v_add_f32_e32 v22, v20, v21
	v_fmaak_f32 v18, v12, v18, 0x3efffffc
	s_delay_alu instid0(VALU_DEP_2) | instskip(NEXT) | instid1(VALU_DEP_1)
	v_sub_f32_e32 v20, v22, v20
	v_dual_mul_f32 v23, v18, v22 :: v_dual_sub_f32 v20, v21, v20
	s_delay_alu instid0(VALU_DEP_1) | instskip(NEXT) | instid1(VALU_DEP_1)
	v_fma_f32 v21, v22, v18, -v23
	v_fmac_f32_e32 v21, v20, v18
	s_delay_alu instid0(VALU_DEP_1) | instskip(NEXT) | instid1(VALU_DEP_1)
	v_add_f32_e32 v18, v23, v21
	v_add_f32_e32 v20, v12, v18
	v_sub_f32_e32 v22, v18, v23
	s_delay_alu instid0(VALU_DEP_1) | instskip(NEXT) | instid1(VALU_DEP_1)
	v_dual_sub_f32 v12, v20, v12 :: v_dual_sub_f32 v21, v21, v22
	v_dual_sub_f32 v12, v18, v12 :: v_dual_add_f32 v11, v11, v21
	s_delay_alu instid0(VALU_DEP_1) | instskip(NEXT) | instid1(VALU_DEP_1)
	v_add_f32_e32 v11, v11, v12
	v_add_f32_e32 v12, v20, v11
	s_delay_alu instid0(VALU_DEP_1) | instskip(NEXT) | instid1(VALU_DEP_1)
	v_add_f32_e32 v18, 1.0, v12
	v_dual_sub_f32 v20, v12, v20 :: v_dual_add_f32 v21, -1.0, v18
	s_delay_alu instid0(VALU_DEP_1) | instskip(NEXT) | instid1(VALU_DEP_1)
	v_dual_sub_f32 v11, v11, v20 :: v_dual_sub_f32 v12, v12, v21
	v_add_f32_e32 v11, v11, v12
	v_cvt_i32_f32_e32 v12, v19
	s_delay_alu instid0(VALU_DEP_2) | instskip(NEXT) | instid1(VALU_DEP_1)
	v_add_f32_e32 v19, v18, v11
	v_ldexp_f32 v20, v19, v12
	v_sub_f32_e32 v18, v19, v18
	s_delay_alu instid0(VALU_DEP_2) | instskip(NEXT) | instid1(VALU_DEP_1)
	v_rcp_f32_e32 v21, v20
	v_sub_f32_e32 v11, v11, v18
	s_delay_alu instid0(VALU_DEP_1) | instskip(SKIP_2) | instid1(VALU_DEP_1)
	v_ldexp_f32 v11, v11, v12
	s_waitcnt_depctr 0xfff
	v_mul_f32_e32 v18, v20, v21
	v_fma_f32 v12, v21, v20, -v18
	s_delay_alu instid0(VALU_DEP_1) | instskip(NEXT) | instid1(VALU_DEP_1)
	v_fmac_f32_e32 v12, v21, v11
	v_add_f32_e32 v19, v18, v12
	s_delay_alu instid0(VALU_DEP_1) | instskip(SKIP_1) | instid1(VALU_DEP_1)
	v_sub_f32_e32 v22, 1.0, v19
	v_sub_f32_e32 v18, v19, v18
	v_dual_sub_f32 v23, 1.0, v22 :: v_dual_sub_f32 v12, v18, v12
	s_delay_alu instid0(VALU_DEP_1) | instskip(NEXT) | instid1(VALU_DEP_1)
	v_sub_f32_e32 v18, v23, v19
	v_add_f32_e32 v12, v12, v18
	s_delay_alu instid0(VALU_DEP_1) | instskip(NEXT) | instid1(VALU_DEP_1)
	v_add_f32_e32 v18, v22, v12
	v_mul_f32_e32 v19, v21, v18
	s_delay_alu instid0(VALU_DEP_1) | instskip(NEXT) | instid1(VALU_DEP_1)
	v_dual_sub_f32 v22, v22, v18 :: v_dual_mul_f32 v23, v20, v19
	v_add_f32_e32 v12, v12, v22
	s_delay_alu instid0(VALU_DEP_2) | instskip(NEXT) | instid1(VALU_DEP_1)
	v_fma_f32 v24, v19, v20, -v23
	v_fmac_f32_e32 v24, v19, v11
	s_delay_alu instid0(VALU_DEP_1) | instskip(NEXT) | instid1(VALU_DEP_1)
	v_add_f32_e32 v25, v23, v24
	v_sub_f32_e32 v26, v18, v25
	v_sub_f32_e32 v22, v25, v23
	s_delay_alu instid0(VALU_DEP_2) | instskip(NEXT) | instid1(VALU_DEP_2)
	v_sub_f32_e32 v18, v18, v26
	v_sub_f32_e32 v22, v22, v24
	s_delay_alu instid0(VALU_DEP_2) | instskip(NEXT) | instid1(VALU_DEP_1)
	v_sub_f32_e32 v18, v18, v25
	v_add_f32_e32 v12, v12, v18
	v_add_f32_e32 v18, v21, v19
	s_delay_alu instid0(VALU_DEP_2) | instskip(NEXT) | instid1(VALU_DEP_2)
	v_add_f32_e32 v12, v22, v12
	v_sub_f32_e32 v22, v18, v21
	s_delay_alu instid0(VALU_DEP_1) | instskip(NEXT) | instid1(VALU_DEP_1)
	v_dual_add_f32 v12, v26, v12 :: v_dual_sub_f32 v19, v19, v22
	v_mul_f32_e32 v12, v21, v12
	s_delay_alu instid0(VALU_DEP_1) | instskip(NEXT) | instid1(VALU_DEP_1)
	v_add_f32_e32 v12, v19, v12
	v_add_f32_e32 v19, v18, v12
	s_delay_alu instid0(VALU_DEP_1) | instskip(SKIP_1) | instid1(VALU_DEP_2)
	v_ldexp_f32 v21, v19, -2
	v_sub_f32_e32 v18, v19, v18
	v_sub_f32_e32 v22, v20, v21
	s_delay_alu instid0(VALU_DEP_2) | instskip(NEXT) | instid1(VALU_DEP_2)
	v_sub_f32_e32 v12, v12, v18
	v_sub_f32_e32 v19, v20, v22
	s_delay_alu instid0(VALU_DEP_2) | instskip(NEXT) | instid1(VALU_DEP_2)
	v_ldexp_f32 v12, v12, -2
	v_sub_f32_e32 v18, v19, v21
	v_xor_b32_e32 v19, 0x80000000, v4
	s_delay_alu instid0(VALU_DEP_2) | instskip(NEXT) | instid1(VALU_DEP_1)
	v_add_f32_e32 v11, v11, v18
	v_dual_sub_f32 v11, v11, v12 :: v_dual_mul_f32 v12, v10, v10
	s_delay_alu instid0(VALU_DEP_1) | instskip(NEXT) | instid1(VALU_DEP_1)
	v_dual_add_f32 v11, v22, v11 :: v_dual_fmaak_f32 v18, s23, v12, 0xbf039337
	v_cndmask_b32_e32 v11, 0x7f800000, v11, vcc_lo
	s_delay_alu instid0(VALU_DEP_2) | instskip(NEXT) | instid1(VALU_DEP_2)
	v_fmaak_f32 v18, v12, v18, 0x3f93f425
	v_cndmask_b32_e64 v4, v11, |v4|, s2
	s_delay_alu instid0(VALU_DEP_2) | instskip(SKIP_1) | instid1(VALU_DEP_2)
	v_rcp_f32_e32 v11, v18
	v_fmaak_f32 v18, s22, v12, 0x3ec54587
	v_bfi_b32 v4, 0x7fffffff, v4, v19
	s_delay_alu instid0(VALU_DEP_1) | instskip(SKIP_4) | instid1(VALU_DEP_2)
	v_fma_f32 v19, v4, v4, 1.0
	s_waitcnt_depctr 0xfff
	v_mul_f32_e32 v11, v18, v11
	v_mul_f32_e32 v18, 0x4f800000, v19
	v_cmp_gt_f32_e32 vcc_lo, 0xf800000, v19
	v_dual_mul_f32 v11, v12, v11 :: v_dual_cndmask_b32 v12, v19, v18
	s_delay_alu instid0(VALU_DEP_1) | instskip(NEXT) | instid1(VALU_DEP_2)
	v_fma_f32 v18, v11, v10, v10
	v_sqrt_f32_e32 v19, v12
	s_delay_alu instid0(VALU_DEP_1) | instskip(SKIP_1) | instid1(VALU_DEP_1)
	v_rcp_f32_e32 v20, v18
	v_sub_f32_e32 v21, v18, v10
	v_fma_f32 v10, v11, v10, -v21
	s_waitcnt_depctr 0xfff
	v_add_nc_u32_e32 v22, -1, v19
	v_fma_f32 v11, v18, -v20, 1.0
	v_add_nc_u32_e32 v21, 1, v19
	s_delay_alu instid0(VALU_DEP_3) | instskip(NEXT) | instid1(VALU_DEP_3)
	v_fma_f32 v23, -v22, v19, v12
	v_fma_f32 v10, v10, -v20, v11
	s_delay_alu instid0(VALU_DEP_3) | instskip(NEXT) | instid1(VALU_DEP_3)
	v_fma_f32 v11, -v21, v19, v12
	v_cmp_ge_f32_e64 s2, 0, v23
	s_delay_alu instid0(VALU_DEP_3) | instskip(NEXT) | instid1(VALU_DEP_2)
	v_fma_f32 v10, v10, -v20, -v20
	v_cndmask_b32_e64 v19, v19, v22, s2
	s_delay_alu instid0(VALU_DEP_4) | instskip(NEXT) | instid1(VALU_DEP_1)
	v_cmp_lt_f32_e64 s2, 0, v11
	v_cndmask_b32_e64 v11, v19, v21, s2
	v_cmp_eq_u32_e64 s2, 0, v2
	s_delay_alu instid0(VALU_DEP_1) | instskip(NEXT) | instid1(VALU_DEP_3)
	v_cndmask_b32_e64 v2, v10, v18, s2
	v_mul_f32_e32 v10, 0x37800000, v11
	s_delay_alu instid0(VALU_DEP_2) | instskip(NEXT) | instid1(VALU_DEP_2)
	v_xor3_b32 v1, v1, v2, v3
	v_cndmask_b32_e32 v2, v11, v10, vcc_lo
	v_cmp_class_f32_e64 vcc_lo, v12, 0x260
	s_delay_alu instid0(VALU_DEP_3) | instskip(NEXT) | instid1(VALU_DEP_3)
	v_fma_f32 v3, v1, v1, 1.0
	v_cndmask_b32_e32 v2, v2, v12, vcc_lo
	s_delay_alu instid0(VALU_DEP_2) | instskip(NEXT) | instid1(VALU_DEP_2)
	v_mul_f32_e32 v10, v4, v3
	v_mul_f32_e32 v2, v2, v3
	s_delay_alu instid0(VALU_DEP_2) | instskip(NEXT) | instid1(VALU_DEP_2)
	v_fma_f32 v3, v4, v10, 1.0
	v_mul_f32_e32 v2, v4, v2
	s_delay_alu instid0(VALU_DEP_2) | instskip(NEXT) | instid1(VALU_DEP_2)
	v_div_scale_f32 v10, null, v3, v3, v1
	v_div_scale_f32 v4, null, v3, v3, v2
	v_div_scale_f32 v20, vcc_lo, v2, v3, v2
	s_delay_alu instid0(VALU_DEP_3) | instskip(NEXT) | instid1(VALU_DEP_2)
	v_rcp_f32_e32 v12, v10
	v_rcp_f32_e32 v11, v4
	s_waitcnt_depctr 0xfff
	v_fma_f32 v19, -v10, v12, 1.0
	v_fma_f32 v18, -v4, v11, 1.0
	s_delay_alu instid0(VALU_DEP_1) | instskip(SKIP_1) | instid1(VALU_DEP_2)
	v_dual_fmac_f32 v12, v19, v12 :: v_dual_fmac_f32 v11, v18, v11
	v_div_scale_f32 v18, s2, v1, v3, v1
	v_mul_f32_e32 v19, v20, v11
	s_delay_alu instid0(VALU_DEP_2) | instskip(NEXT) | instid1(VALU_DEP_2)
	v_mul_f32_e32 v21, v18, v12
	v_fma_f32 v22, -v4, v19, v20
	s_delay_alu instid0(VALU_DEP_2) | instskip(NEXT) | instid1(VALU_DEP_2)
	v_fma_f32 v23, -v10, v21, v18
	v_fmac_f32_e32 v19, v22, v11
	s_delay_alu instid0(VALU_DEP_2) | instskip(NEXT) | instid1(VALU_DEP_2)
	v_fmac_f32_e32 v21, v23, v12
	v_fma_f32 v4, -v4, v19, v20
	s_delay_alu instid0(VALU_DEP_2) | instskip(NEXT) | instid1(VALU_DEP_2)
	v_fma_f32 v10, -v10, v21, v18
	v_div_fmas_f32 v4, v4, v11, v19
	s_mov_b32 vcc_lo, s2
	s_delay_alu instid0(VALU_DEP_2) | instskip(NEXT) | instid1(VALU_DEP_2)
	v_div_fmas_f32 v10, v10, v12, v21
	v_div_fixup_f32 v18, v4, v3, v2
	s_delay_alu instid0(VALU_DEP_2)
	v_div_fixup_f32 v11, v10, v3, v1
                                        ; implicit-def: $vgpr1_vgpr2_vgpr3_vgpr4
                                        ; implicit-def: $vgpr1
.LBB95_129:                             ;   in Loop: Header=BB95_7 Depth=1
	s_and_not1_saveexec_b32 s29, s29
	s_cbranch_execz .LBB95_139
; %bb.130:                              ;   in Loop: Header=BB95_7 Depth=1
	v_lshrrev_b32_e32 v2, 23, v1
	v_cmp_ngt_f32_e64 s30, 0x48000000, |v3|
	v_and_or_b32 v10, v1, s21, 0x800000
                                        ; implicit-def: $vgpr11
	s_delay_alu instid0(VALU_DEP_3) | instskip(NEXT) | instid1(VALU_DEP_3)
	v_add_nc_u32_e32 v18, 0xffffff88, v2
                                        ; implicit-def: $vgpr2
	s_and_saveexec_b32 s2, s30
	s_delay_alu instid0(SALU_CYCLE_1)
	s_xor_b32 s31, exec_lo, s2
	s_cbranch_execz .LBB95_132
; %bb.131:                              ;   in Loop: Header=BB95_7 Depth=1
	v_mad_u64_u32 v[11:12], null, 0xfe5163ab, v10, 0
	v_cmp_lt_u32_e32 vcc_lo, 63, v18
	v_cndmask_b32_e64 v2, 0, 0xffffffc0, vcc_lo
	s_delay_alu instid0(VALU_DEP_3) | instskip(NEXT) | instid1(VALU_DEP_2)
	v_mad_u64_u32 v[19:20], null, 0x3c439041, v10, v[12:13]
	v_add_nc_u32_e32 v2, v2, v18
	s_delay_alu instid0(VALU_DEP_2) | instskip(NEXT) | instid1(VALU_DEP_2)
	v_mov_b32_e32 v12, v20
	v_cmp_lt_u32_e64 s2, 31, v2
	s_delay_alu instid0(VALU_DEP_2) | instskip(NEXT) | instid1(VALU_DEP_2)
	v_mad_u64_u32 v[20:21], null, 0xdb629599, v10, v[12:13]
	v_cndmask_b32_e64 v25, 0, 0xffffffe0, s2
	s_delay_alu instid0(VALU_DEP_1) | instskip(NEXT) | instid1(VALU_DEP_3)
	v_add_nc_u32_e32 v2, v25, v2
	v_dual_mov_b32 v12, v21 :: v_dual_cndmask_b32 v11, v20, v11
	s_delay_alu instid0(VALU_DEP_2) | instskip(NEXT) | instid1(VALU_DEP_2)
	v_cmp_lt_u32_e64 s3, 31, v2
	v_mad_u64_u32 v[21:22], null, 0xf534ddc0, v10, v[12:13]
	s_delay_alu instid0(VALU_DEP_1) | instskip(NEXT) | instid1(VALU_DEP_1)
	v_mov_b32_e32 v12, v22
	v_mad_u64_u32 v[22:23], null, 0xfc2757d1, v10, v[12:13]
	s_delay_alu instid0(VALU_DEP_1) | instskip(NEXT) | instid1(VALU_DEP_1)
	v_mov_b32_e32 v12, v23
	v_mad_u64_u32 v[23:24], null, 0x4e441529, v10, v[12:13]
	s_delay_alu instid0(VALU_DEP_1) | instskip(NEXT) | instid1(VALU_DEP_2)
	v_mov_b32_e32 v12, v24
	v_cndmask_b32_e32 v26, v23, v21, vcc_lo
	s_delay_alu instid0(VALU_DEP_2) | instskip(SKIP_1) | instid1(VALU_DEP_1)
	v_mad_u64_u32 v[24:25], null, 0xa2f9836e, v10, v[12:13]
	v_cndmask_b32_e64 v12, 0, 0xffffffe0, s3
	v_add_nc_u32_e32 v2, v12, v2
	s_delay_alu instid0(VALU_DEP_3) | instskip(SKIP_2) | instid1(VALU_DEP_4)
	v_dual_cndmask_b32 v24, v24, v22 :: v_dual_cndmask_b32 v23, v25, v23
	v_cndmask_b32_e32 v22, v22, v20, vcc_lo
	v_cndmask_b32_e32 v12, v21, v19, vcc_lo
	v_cmp_eq_u32_e64 s4, 0, v2
	s_delay_alu instid0(VALU_DEP_4)
	v_cndmask_b32_e64 v19, v24, v26, s2
	v_cndmask_b32_e64 v21, v23, v24, s2
	;; [unrolled: 1-line block ×3, first 2 shown]
	v_sub_nc_u32_e32 v24, 32, v2
	v_cndmask_b32_e64 v22, v22, v12, s2
	v_cndmask_b32_e64 v11, v12, v11, s2
	;; [unrolled: 1-line block ×4, first 2 shown]
	s_delay_alu instid0(VALU_DEP_4) | instskip(NEXT) | instid1(VALU_DEP_4)
	v_cndmask_b32_e64 v23, v23, v22, s3
	v_cndmask_b32_e64 v11, v22, v11, s3
	s_delay_alu instid0(VALU_DEP_3) | instskip(NEXT) | instid1(VALU_DEP_3)
	v_alignbit_b32 v25, v21, v19, v24
	v_alignbit_b32 v26, v19, v23, v24
	s_delay_alu instid0(VALU_DEP_3) | instskip(NEXT) | instid1(VALU_DEP_3)
	v_alignbit_b32 v24, v23, v11, v24
	v_cndmask_b32_e64 v2, v25, v21, s4
	s_delay_alu instid0(VALU_DEP_3) | instskip(NEXT) | instid1(VALU_DEP_3)
	v_cndmask_b32_e64 v19, v26, v19, s4
	v_cndmask_b32_e64 v23, v24, v23, s4
	s_delay_alu instid0(VALU_DEP_3) | instskip(NEXT) | instid1(VALU_DEP_3)
	v_bfe_u32 v20, v2, 29, 1
	v_alignbit_b32 v12, v2, v19, 30
	s_delay_alu instid0(VALU_DEP_3) | instskip(SKIP_1) | instid1(VALU_DEP_4)
	v_alignbit_b32 v19, v19, v23, 30
	v_alignbit_b32 v11, v23, v11, 30
	v_sub_nc_u32_e32 v21, 0, v20
	s_delay_alu instid0(VALU_DEP_1) | instskip(SKIP_3) | instid1(VALU_DEP_4)
	v_xor_b32_e32 v22, v12, v21
	v_cmp_ne_u32_e32 vcc_lo, v12, v21
	v_xor_b32_e32 v19, v19, v21
	v_xor_b32_e32 v11, v11, v21
	v_clz_i32_u32_e32 v25, v22
	s_delay_alu instid0(VALU_DEP_1) | instskip(NEXT) | instid1(VALU_DEP_1)
	v_add_nc_u32_e32 v24, 1, v25
	v_cndmask_b32_e32 v12, 33, v24, vcc_lo
	s_delay_alu instid0(VALU_DEP_1) | instskip(NEXT) | instid1(VALU_DEP_1)
	v_sub_nc_u32_e32 v23, 32, v12
	v_alignbit_b32 v21, v22, v19, v23
	v_alignbit_b32 v11, v19, v11, v23
	v_lshrrev_b32_e32 v19, 29, v2
	s_delay_alu instid0(VALU_DEP_2) | instskip(NEXT) | instid1(VALU_DEP_2)
	v_alignbit_b32 v22, v21, v11, 9
	v_lshlrev_b32_e32 v19, 31, v19
	v_alignbit_b32 v21, v12, v21, 9
	s_delay_alu instid0(VALU_DEP_3) | instskip(NEXT) | instid1(VALU_DEP_2)
	v_clz_i32_u32_e32 v23, v22
	v_or_b32_e32 v21, v21, v19
	v_or_b32_e32 v19, 0x33800000, v19
	s_delay_alu instid0(VALU_DEP_3) | instskip(NEXT) | instid1(VALU_DEP_3)
	v_min_u32_e32 v23, 32, v23
	v_xor_b32_e32 v21, 1.0, v21
	s_delay_alu instid0(VALU_DEP_2) | instskip(SKIP_1) | instid1(VALU_DEP_3)
	v_sub_nc_u32_e32 v24, 31, v23
	v_add_lshl_u32 v12, v23, v12, 23
	v_mul_f32_e32 v23, 0x3fc90fda, v21
	s_delay_alu instid0(VALU_DEP_3) | instskip(NEXT) | instid1(VALU_DEP_3)
	v_alignbit_b32 v11, v22, v11, v24
	v_sub_nc_u32_e32 v12, v19, v12
	s_delay_alu instid0(VALU_DEP_3) | instskip(NEXT) | instid1(VALU_DEP_3)
	v_fma_f32 v19, 0x3fc90fda, v21, -v23
	v_lshrrev_b32_e32 v11, 9, v11
	s_delay_alu instid0(VALU_DEP_2) | instskip(NEXT) | instid1(VALU_DEP_2)
	v_fmac_f32_e32 v19, 0x33a22168, v21
	v_or_b32_e32 v11, v12, v11
	s_delay_alu instid0(VALU_DEP_1) | instskip(SKIP_1) | instid1(VALU_DEP_2)
	v_fmac_f32_e32 v19, 0x3fc90fda, v11
	v_lshrrev_b32_e32 v11, 30, v2
	v_add_f32_e32 v2, v23, v19
	s_delay_alu instid0(VALU_DEP_2)
	v_add_nc_u32_e32 v11, v20, v11
	s_and_not1_saveexec_b32 s2, s31
	s_branch .LBB95_133
.LBB95_132:                             ;   in Loop: Header=BB95_7 Depth=1
	s_and_not1_saveexec_b32 s2, s31
.LBB95_133:                             ;   in Loop: Header=BB95_7 Depth=1
	v_mul_f32_e64 v2, 0x3f22f983, |v3|
	s_delay_alu instid0(VALU_DEP_1) | instskip(NEXT) | instid1(VALU_DEP_1)
	v_rndne_f32_e32 v11, v2
	v_fma_f32 v2, 0xbfc90fda, v11, |v3|
	s_delay_alu instid0(VALU_DEP_1) | instskip(NEXT) | instid1(VALU_DEP_1)
	v_fmac_f32_e32 v2, 0xb3a22168, v11
	v_fmac_f32_e32 v2, 0xa7c234c4, v11
	v_cvt_i32_f32_e32 v11, v11
; %bb.134:                              ;   in Loop: Header=BB95_7 Depth=1
	s_or_b32 exec_lo, exec_lo, s2
                                        ; implicit-def: $vgpr19
                                        ; implicit-def: $vgpr12
	s_and_saveexec_b32 s2, s30
	s_delay_alu instid0(SALU_CYCLE_1)
	s_xor_b32 s30, exec_lo, s2
	s_cbranch_execz .LBB95_136
; %bb.135:                              ;   in Loop: Header=BB95_7 Depth=1
	v_mad_u64_u32 v[19:20], null, 0xfe5163ab, v10, 0
	v_cmp_lt_u32_e32 vcc_lo, 63, v18
	v_cndmask_b32_e64 v25, 0, 0xffffffc0, vcc_lo
	s_delay_alu instid0(VALU_DEP_3) | instskip(NEXT) | instid1(VALU_DEP_2)
	v_mov_b32_e32 v12, v20
	v_add_nc_u32_e32 v18, v25, v18
	s_delay_alu instid0(VALU_DEP_2) | instskip(NEXT) | instid1(VALU_DEP_2)
	v_mad_u64_u32 v[20:21], null, 0x3c439041, v10, v[12:13]
	v_cmp_lt_u32_e64 s2, 31, v18
	s_delay_alu instid0(VALU_DEP_2) | instskip(NEXT) | instid1(VALU_DEP_2)
	v_mov_b32_e32 v12, v21
	v_cndmask_b32_e64 v26, 0, 0xffffffe0, s2
	s_delay_alu instid0(VALU_DEP_2) | instskip(NEXT) | instid1(VALU_DEP_2)
	v_mad_u64_u32 v[21:22], null, 0xdb629599, v10, v[12:13]
	v_add_nc_u32_e32 v18, v26, v18
	s_delay_alu instid0(VALU_DEP_1) | instskip(NEXT) | instid1(VALU_DEP_3)
	v_cmp_lt_u32_e64 s3, 31, v18
	v_dual_mov_b32 v12, v22 :: v_dual_cndmask_b32 v19, v21, v19
	s_delay_alu instid0(VALU_DEP_1) | instskip(NEXT) | instid1(VALU_DEP_1)
	v_mad_u64_u32 v[22:23], null, 0xf534ddc0, v10, v[12:13]
	v_mov_b32_e32 v12, v23
	s_delay_alu instid0(VALU_DEP_1) | instskip(NEXT) | instid1(VALU_DEP_1)
	v_mad_u64_u32 v[23:24], null, 0xfc2757d1, v10, v[12:13]
	v_mov_b32_e32 v12, v24
	;; [unrolled: 3-line block ×3, first 2 shown]
	s_delay_alu instid0(VALU_DEP_1) | instskip(SKIP_1) | instid1(VALU_DEP_4)
	v_mad_u64_u32 v[25:26], null, 0xa2f9836e, v10, v[12:13]
	v_cndmask_b32_e64 v10, 0, 0xffffffe0, s3
	v_cndmask_b32_e32 v12, v24, v22, vcc_lo
	s_delay_alu instid0(VALU_DEP_2) | instskip(NEXT) | instid1(VALU_DEP_4)
	v_dual_cndmask_b32 v25, v25, v23 :: v_dual_add_nc_u32 v10, v10, v18
	v_dual_cndmask_b32 v24, v26, v24 :: v_dual_cndmask_b32 v23, v23, v21
	v_cndmask_b32_e32 v18, v22, v20, vcc_lo
	s_delay_alu instid0(VALU_DEP_3) | instskip(NEXT) | instid1(VALU_DEP_4)
	v_cmp_eq_u32_e64 s4, 0, v10
	v_cndmask_b32_e64 v20, v25, v12, s2
	s_delay_alu instid0(VALU_DEP_4)
	v_cndmask_b32_e64 v22, v24, v25, s2
	v_cndmask_b32_e64 v12, v12, v23, s2
	v_sub_nc_u32_e32 v24, 32, v10
	v_cndmask_b32_e64 v23, v23, v18, s2
	v_cndmask_b32_e64 v18, v18, v19, s2
	;; [unrolled: 1-line block ×4, first 2 shown]
	s_delay_alu instid0(VALU_DEP_4) | instskip(NEXT) | instid1(VALU_DEP_4)
	v_cndmask_b32_e64 v12, v12, v23, s3
	v_cndmask_b32_e64 v18, v23, v18, s3
	s_delay_alu instid0(VALU_DEP_3) | instskip(NEXT) | instid1(VALU_DEP_3)
	v_alignbit_b32 v25, v22, v20, v24
	v_alignbit_b32 v26, v20, v12, v24
	s_delay_alu instid0(VALU_DEP_3) | instskip(NEXT) | instid1(VALU_DEP_3)
	v_alignbit_b32 v24, v12, v18, v24
	v_cndmask_b32_e64 v10, v25, v22, s4
	s_delay_alu instid0(VALU_DEP_3) | instskip(NEXT) | instid1(VALU_DEP_3)
	v_cndmask_b32_e64 v20, v26, v20, s4
	v_cndmask_b32_e64 v12, v24, v12, s4
	s_delay_alu instid0(VALU_DEP_3) | instskip(NEXT) | instid1(VALU_DEP_3)
	v_bfe_u32 v21, v10, 29, 1
	v_alignbit_b32 v19, v10, v20, 30
	s_delay_alu instid0(VALU_DEP_3) | instskip(SKIP_1) | instid1(VALU_DEP_4)
	v_alignbit_b32 v20, v20, v12, 30
	v_alignbit_b32 v12, v12, v18, 30
	v_sub_nc_u32_e32 v22, 0, v21
	s_delay_alu instid0(VALU_DEP_1) | instskip(SKIP_3) | instid1(VALU_DEP_4)
	v_xor_b32_e32 v23, v19, v22
	v_cmp_ne_u32_e32 vcc_lo, v19, v22
	v_xor_b32_e32 v18, v20, v22
	v_xor_b32_e32 v12, v12, v22
	v_clz_i32_u32_e32 v25, v23
	s_delay_alu instid0(VALU_DEP_1) | instskip(NEXT) | instid1(VALU_DEP_1)
	v_add_nc_u32_e32 v24, 1, v25
	v_cndmask_b32_e32 v19, 33, v24, vcc_lo
	s_delay_alu instid0(VALU_DEP_1) | instskip(NEXT) | instid1(VALU_DEP_1)
	v_sub_nc_u32_e32 v20, 32, v19
	v_alignbit_b32 v22, v23, v18, v20
	v_alignbit_b32 v12, v18, v12, v20
	v_lshrrev_b32_e32 v18, 29, v10
	v_lshrrev_b32_e32 v10, 30, v10
	s_delay_alu instid0(VALU_DEP_3) | instskip(NEXT) | instid1(VALU_DEP_3)
	v_alignbit_b32 v20, v22, v12, 9
	v_lshlrev_b32_e32 v18, 31, v18
	v_alignbit_b32 v22, v19, v22, 9
	s_delay_alu instid0(VALU_DEP_3) | instskip(NEXT) | instid1(VALU_DEP_2)
	v_clz_i32_u32_e32 v23, v20
	v_or_b32_e32 v22, v22, v18
	v_or_b32_e32 v18, 0x33800000, v18
	s_delay_alu instid0(VALU_DEP_3) | instskip(NEXT) | instid1(VALU_DEP_3)
	v_min_u32_e32 v23, 32, v23
	v_xor_b32_e32 v22, 1.0, v22
	s_delay_alu instid0(VALU_DEP_2) | instskip(SKIP_1) | instid1(VALU_DEP_3)
	v_sub_nc_u32_e32 v24, 31, v23
	v_add_lshl_u32 v19, v23, v19, 23
	v_mul_f32_e32 v23, 0x3fc90fda, v22
	s_delay_alu instid0(VALU_DEP_3) | instskip(NEXT) | instid1(VALU_DEP_3)
	v_alignbit_b32 v12, v20, v12, v24
	v_sub_nc_u32_e32 v18, v18, v19
	s_delay_alu instid0(VALU_DEP_3) | instskip(NEXT) | instid1(VALU_DEP_3)
	v_fma_f32 v19, 0x3fc90fda, v22, -v23
	v_lshrrev_b32_e32 v12, 9, v12
	s_delay_alu instid0(VALU_DEP_2) | instskip(NEXT) | instid1(VALU_DEP_2)
	v_fmac_f32_e32 v19, 0x33a22168, v22
	v_or_b32_e32 v12, v18, v12
	s_delay_alu instid0(VALU_DEP_1) | instskip(NEXT) | instid1(VALU_DEP_1)
	v_fmac_f32_e32 v19, 0x3fc90fda, v12
	v_dual_add_f32 v12, v23, v19 :: v_dual_add_nc_u32 v19, v21, v10
	s_and_not1_saveexec_b32 s2, s30
	s_cbranch_execnz .LBB95_137
	s_branch .LBB95_138
.LBB95_136:                             ;   in Loop: Header=BB95_7 Depth=1
	s_and_not1_saveexec_b32 s2, s30
.LBB95_137:                             ;   in Loop: Header=BB95_7 Depth=1
	v_mul_f32_e64 v10, 0x3f22f983, |v3|
	s_delay_alu instid0(VALU_DEP_1) | instskip(NEXT) | instid1(VALU_DEP_1)
	v_rndne_f32_e32 v10, v10
	v_fma_f32 v12, 0xbfc90fda, v10, |v3|
	v_cvt_i32_f32_e32 v19, v10
	s_delay_alu instid0(VALU_DEP_2) | instskip(NEXT) | instid1(VALU_DEP_1)
	v_fmac_f32_e32 v12, 0xb3a22168, v10
	v_fmac_f32_e32 v12, 0xa7c234c4, v10
.LBB95_138:                             ;   in Loop: Header=BB95_7 Depth=1
	s_or_b32 exec_lo, exec_lo, s2
	v_mul_f32_e32 v10, v2, v2
	v_mul_f32_e64 v20, 0xbfb8aa3b, |v4|
	v_and_b32_e32 v18, 1, v11
	v_lshlrev_b32_e32 v11, 30, v11
	v_mul_f32_e32 v23, v12, v12
	v_fmaak_f32 v21, s25, v10, 0x3c0881c4
	v_rndne_f32_e32 v24, v20
	v_fma_f32 v25, 0xbfb8aa3b, |v4|, -v20
	v_fmaak_f32 v22, s26, v10, 0xbab64f3b
	v_cmp_eq_u32_e32 vcc_lo, 0, v18
	s_delay_alu instid0(VALU_DEP_4) | instskip(NEXT) | instid1(VALU_DEP_4)
	v_dual_fmaak_f32 v21, v10, v21, 0xbe2aaa9d :: v_dual_sub_f32 v20, v20, v24
	v_fma_f32 v25, 0xb2a5705f, |v4|, v25
	v_fmaak_f32 v26, s25, v23, 0x3c0881c4
	v_fmaak_f32 v27, s26, v23, 0xbab64f3b
	s_delay_alu instid0(VALU_DEP_4) | instskip(NEXT) | instid1(VALU_DEP_4)
	v_dual_mul_f32 v21, v10, v21 :: v_dual_and_b32 v18, 1, v19
	v_add_f32_e32 v20, v20, v25
	v_fmaak_f32 v22, v10, v22, 0x3d2aabf7
	s_delay_alu instid0(VALU_DEP_3) | instskip(SKIP_1) | instid1(VALU_DEP_3)
	v_dual_fmac_f32 v2, v2, v21 :: v_dual_and_b32 v11, 0x80000000, v11
	v_fmaak_f32 v21, v23, v27, 0x3d2aabf7
	v_dual_fmaak_f32 v22, v10, v22, 0xbf000004 :: v_dual_lshlrev_b32 v19, 30, v19
	v_exp_f32_e32 v20, v20
	s_delay_alu instid0(VALU_DEP_3) | instskip(SKIP_1) | instid1(VALU_DEP_3)
	v_xor_b32_e32 v1, v1, v11
	v_cvt_i32_f32_e32 v11, v24
	v_fma_f32 v10, v10, v22, 1.0
	s_delay_alu instid0(VALU_DEP_1) | instskip(SKIP_2) | instid1(VALU_DEP_3)
	v_cndmask_b32_e32 v2, v10, v2, vcc_lo
	v_fmaak_f32 v10, v23, v21, 0xbf000004
	v_cmp_eq_u32_e32 vcc_lo, 0, v18
	v_xor3_b32 v1, v1, v2, v3
	v_fmaak_f32 v26, v23, v26, 0xbe2aaa9d
	s_delay_alu instid0(VALU_DEP_4) | instskip(SKIP_1) | instid1(VALU_DEP_3)
	v_fma_f32 v10, v23, v10, 1.0
	v_ldexp_f32 v2, v20, v11
	v_dual_mul_f32 v1, 4.0, v1 :: v_dual_mul_f32 v22, v23, v26
	s_delay_alu instid0(VALU_DEP_1) | instskip(NEXT) | instid1(VALU_DEP_1)
	v_fmac_f32_e32 v12, v12, v22
	v_cndmask_b32_e64 v3, -v12, v10, vcc_lo
	v_and_b32_e32 v10, 0x80000000, v19
	v_cmp_nlt_f32_e64 vcc_lo, 0x42ce8ed0, |v4|
	s_delay_alu instid0(VALU_DEP_2) | instskip(SKIP_2) | instid1(VALU_DEP_3)
	v_xor_b32_e32 v3, v10, v3
	v_cndmask_b32_e32 v2, 0, v2, vcc_lo
	v_cmp_ngt_f32_e64 vcc_lo, 0xc2b17218, |v4|
	v_mul_f32_e32 v1, v1, v3
	v_xor_b32_e32 v3, 0x80000000, v4
	s_delay_alu instid0(VALU_DEP_4) | instskip(NEXT) | instid1(VALU_DEP_2)
	v_cndmask_b32_e32 v2, 0x7f800000, v2, vcc_lo
	v_bfi_b32 v18, 0x7fffffff, 1.0, v3
	s_delay_alu instid0(VALU_DEP_2) | instskip(NEXT) | instid1(VALU_DEP_1)
	v_mul_f32_e32 v1, v2, v1
	v_mul_f32_e32 v11, v2, v1
.LBB95_139:                             ;   in Loop: Header=BB95_7 Depth=1
	s_or_b32 exec_lo, exec_lo, s29
                                        ; implicit-def: $vgpr1_vgpr2_vgpr3_vgpr4
.LBB95_140:                             ;   in Loop: Header=BB95_7 Depth=1
	s_and_not1_saveexec_b32 s2, s28
; %bb.141:                              ;   in Loop: Header=BB95_7 Depth=1
	v_sub_f32_e32 v11, v3, v3
	s_delay_alu instid0(VALU_DEP_1)
	v_mov_b32_e32 v18, v11
; %bb.142:                              ;   in Loop: Header=BB95_7 Depth=1
	s_or_b32 exec_lo, exec_lo, s2
                                        ; implicit-def: $vgpr1_vgpr2_vgpr3_vgpr4
.LBB95_143:                             ;   in Loop: Header=BB95_7 Depth=1
	s_and_not1_saveexec_b32 s27, s27
	s_cbranch_execz .LBB95_6
; %bb.144:                              ;   in Loop: Header=BB95_7 Depth=1
	v_xor_b32_e32 v18, 0x80000000, v4
	s_mov_b32 s2, exec_lo
	s_delay_alu instid0(VALU_DEP_1) | instskip(NEXT) | instid1(VALU_DEP_1)
	v_and_b32_e32 v1, 0x7fffff, v18
	v_cmpx_ne_u32_e32 0, v1
	s_xor_b32 s2, exec_lo, s2
; %bb.145:                              ;   in Loop: Header=BB95_7 Depth=1
	v_mul_f32_e64 v1, v3, -v4
	v_cmp_eq_f32_e32 vcc_lo, 0, v3
	s_delay_alu instid0(VALU_DEP_2)
	v_cndmask_b32_e32 v11, v1, v3, vcc_lo
                                        ; implicit-def: $vgpr1_vgpr2_vgpr3_vgpr4
; %bb.146:                              ;   in Loop: Header=BB95_7 Depth=1
	s_and_not1_saveexec_b32 s28, s2
	s_cbranch_execz .LBB95_5
; %bb.147:                              ;   in Loop: Header=BB95_7 Depth=1
	s_mov_b32 s29, exec_lo
	v_cmpx_neq_f32_e64 0x7f800000, |v3|
	s_cbranch_execz .LBB95_4
; %bb.148:                              ;   in Loop: Header=BB95_7 Depth=1
	v_and_b32_e32 v1, 0x7fffffff, v3
	v_cmp_ngt_f32_e64 s30, 0x48000000, |v3|
                                        ; implicit-def: $vgpr4
	s_delay_alu instid0(VALU_DEP_2) | instskip(SKIP_1) | instid1(VALU_DEP_2)
	v_lshrrev_b32_e32 v2, 23, v1
	v_and_or_b32 v10, v1, s21, 0x800000
	v_add_nc_u32_e32 v11, 0xffffff88, v2
                                        ; implicit-def: $vgpr2
	s_delay_alu instid0(VALU_DEP_4) | instskip(NEXT) | instid1(SALU_CYCLE_1)
	s_and_saveexec_b32 s2, s30
	s_xor_b32 s31, exec_lo, s2
	s_cbranch_execz .LBB95_150
; %bb.149:                              ;   in Loop: Header=BB95_7 Depth=1
	v_mad_u64_u32 v[19:20], null, 0xfe5163ab, v10, 0
	v_cmp_lt_u32_e32 vcc_lo, 63, v11
	v_cndmask_b32_e64 v2, 0, 0xffffffc0, vcc_lo
	s_delay_alu instid0(VALU_DEP_3) | instskip(NEXT) | instid1(VALU_DEP_2)
	v_mov_b32_e32 v12, v20
	v_add_nc_u32_e32 v2, v2, v11
	s_delay_alu instid0(VALU_DEP_2) | instskip(NEXT) | instid1(VALU_DEP_2)
	v_mad_u64_u32 v[20:21], null, 0x3c439041, v10, v[12:13]
	v_cmp_lt_u32_e64 s2, 31, v2
	s_delay_alu instid0(VALU_DEP_2) | instskip(NEXT) | instid1(VALU_DEP_2)
	v_mov_b32_e32 v12, v21
	v_cndmask_b32_e64 v4, 0, 0xffffffe0, s2
	s_delay_alu instid0(VALU_DEP_2) | instskip(NEXT) | instid1(VALU_DEP_2)
	v_mad_u64_u32 v[21:22], null, 0xdb629599, v10, v[12:13]
	v_add_nc_u32_e32 v2, v4, v2
	s_delay_alu instid0(VALU_DEP_1) | instskip(NEXT) | instid1(VALU_DEP_3)
	v_cmp_lt_u32_e64 s3, 31, v2
	v_dual_mov_b32 v12, v22 :: v_dual_cndmask_b32 v19, v21, v19
	s_delay_alu instid0(VALU_DEP_2) | instskip(NEXT) | instid1(VALU_DEP_2)
	v_cndmask_b32_e64 v4, 0, 0xffffffe0, s3
	v_mad_u64_u32 v[22:23], null, 0xf534ddc0, v10, v[12:13]
	s_delay_alu instid0(VALU_DEP_2) | instskip(NEXT) | instid1(VALU_DEP_2)
	v_add_nc_u32_e32 v2, v4, v2
	v_mov_b32_e32 v12, v23
	s_delay_alu instid0(VALU_DEP_3) | instskip(NEXT) | instid1(VALU_DEP_3)
	v_cndmask_b32_e32 v4, v22, v20, vcc_lo
	v_cmp_eq_u32_e64 s4, 0, v2
	s_delay_alu instid0(VALU_DEP_3) | instskip(NEXT) | instid1(VALU_DEP_1)
	v_mad_u64_u32 v[23:24], null, 0xfc2757d1, v10, v[12:13]
	v_mov_b32_e32 v12, v24
	s_delay_alu instid0(VALU_DEP_1) | instskip(NEXT) | instid1(VALU_DEP_1)
	v_mad_u64_u32 v[24:25], null, 0x4e441529, v10, v[12:13]
	v_mov_b32_e32 v12, v25
	s_delay_alu instid0(VALU_DEP_1) | instskip(NEXT) | instid1(VALU_DEP_1)
	v_mad_u64_u32 v[25:26], null, 0xa2f9836e, v10, v[12:13]
	v_dual_cndmask_b32 v12, v24, v22 :: v_dual_cndmask_b32 v25, v25, v23
	s_delay_alu instid0(VALU_DEP_2) | instskip(NEXT) | instid1(VALU_DEP_2)
	v_dual_cndmask_b32 v24, v26, v24 :: v_dual_cndmask_b32 v23, v23, v21
	v_cndmask_b32_e64 v20, v25, v12, s2
	s_delay_alu instid0(VALU_DEP_2) | instskip(NEXT) | instid1(VALU_DEP_3)
	v_cndmask_b32_e64 v22, v24, v25, s2
	v_cndmask_b32_e64 v12, v12, v23, s2
	v_sub_nc_u32_e32 v24, 32, v2
	v_cndmask_b32_e64 v23, v23, v4, s2
	v_cndmask_b32_e64 v4, v4, v19, s2
	;; [unrolled: 1-line block ×4, first 2 shown]
	s_delay_alu instid0(VALU_DEP_4) | instskip(NEXT) | instid1(VALU_DEP_4)
	v_cndmask_b32_e64 v12, v12, v23, s3
	v_cndmask_b32_e64 v4, v23, v4, s3
	s_delay_alu instid0(VALU_DEP_3) | instskip(NEXT) | instid1(VALU_DEP_3)
	v_alignbit_b32 v25, v22, v20, v24
	v_alignbit_b32 v26, v20, v12, v24
	s_delay_alu instid0(VALU_DEP_3) | instskip(NEXT) | instid1(VALU_DEP_3)
	v_alignbit_b32 v24, v12, v4, v24
	v_cndmask_b32_e64 v2, v25, v22, s4
	s_delay_alu instid0(VALU_DEP_3) | instskip(NEXT) | instid1(VALU_DEP_3)
	v_cndmask_b32_e64 v20, v26, v20, s4
	v_cndmask_b32_e64 v12, v24, v12, s4
	s_delay_alu instid0(VALU_DEP_3) | instskip(NEXT) | instid1(VALU_DEP_3)
	v_bfe_u32 v21, v2, 29, 1
	v_alignbit_b32 v19, v2, v20, 30
	s_delay_alu instid0(VALU_DEP_3) | instskip(SKIP_1) | instid1(VALU_DEP_4)
	v_alignbit_b32 v20, v20, v12, 30
	v_alignbit_b32 v4, v12, v4, 30
	v_sub_nc_u32_e32 v22, 0, v21
	s_delay_alu instid0(VALU_DEP_1) | instskip(SKIP_3) | instid1(VALU_DEP_4)
	v_xor_b32_e32 v23, v19, v22
	v_cmp_ne_u32_e32 vcc_lo, v19, v22
	v_xor_b32_e32 v12, v20, v22
	v_xor_b32_e32 v4, v4, v22
	v_clz_i32_u32_e32 v25, v23
	s_delay_alu instid0(VALU_DEP_1) | instskip(NEXT) | instid1(VALU_DEP_1)
	v_add_nc_u32_e32 v24, 1, v25
	v_cndmask_b32_e32 v19, 33, v24, vcc_lo
	s_delay_alu instid0(VALU_DEP_1) | instskip(NEXT) | instid1(VALU_DEP_1)
	v_sub_nc_u32_e32 v20, 32, v19
	v_alignbit_b32 v22, v23, v12, v20
	v_alignbit_b32 v4, v12, v4, v20
	v_lshrrev_b32_e32 v12, 29, v2
	s_delay_alu instid0(VALU_DEP_2) | instskip(NEXT) | instid1(VALU_DEP_2)
	v_alignbit_b32 v20, v22, v4, 9
	v_lshlrev_b32_e32 v12, 31, v12
	v_alignbit_b32 v22, v19, v22, 9
	s_delay_alu instid0(VALU_DEP_3) | instskip(NEXT) | instid1(VALU_DEP_2)
	v_clz_i32_u32_e32 v23, v20
	v_or_b32_e32 v22, v22, v12
	v_or_b32_e32 v12, 0x33800000, v12
	s_delay_alu instid0(VALU_DEP_3) | instskip(NEXT) | instid1(VALU_DEP_3)
	v_min_u32_e32 v23, 32, v23
	v_xor_b32_e32 v22, 1.0, v22
	s_delay_alu instid0(VALU_DEP_2) | instskip(SKIP_1) | instid1(VALU_DEP_3)
	v_sub_nc_u32_e32 v24, 31, v23
	v_add_lshl_u32 v19, v23, v19, 23
	v_mul_f32_e32 v23, 0x3fc90fda, v22
	s_delay_alu instid0(VALU_DEP_3) | instskip(NEXT) | instid1(VALU_DEP_3)
	v_alignbit_b32 v4, v20, v4, v24
	v_sub_nc_u32_e32 v12, v12, v19
	s_delay_alu instid0(VALU_DEP_3) | instskip(NEXT) | instid1(VALU_DEP_3)
	v_fma_f32 v19, 0x3fc90fda, v22, -v23
	v_lshrrev_b32_e32 v4, 9, v4
	s_delay_alu instid0(VALU_DEP_2) | instskip(NEXT) | instid1(VALU_DEP_2)
	v_fmac_f32_e32 v19, 0x33a22168, v22
	v_or_b32_e32 v4, v12, v4
	s_delay_alu instid0(VALU_DEP_1) | instskip(SKIP_1) | instid1(VALU_DEP_2)
	v_fmac_f32_e32 v19, 0x3fc90fda, v4
	v_lshrrev_b32_e32 v4, 30, v2
	v_add_f32_e32 v2, v23, v19
	s_delay_alu instid0(VALU_DEP_2)
	v_add_nc_u32_e32 v4, v21, v4
.LBB95_150:                             ;   in Loop: Header=BB95_7 Depth=1
	s_or_saveexec_b32 s2, s31
	v_mul_f32_e64 v12, 0x3f22f983, |v3|
	s_delay_alu instid0(VALU_DEP_1)
	v_rndne_f32_e32 v20, v12
	s_xor_b32 exec_lo, exec_lo, s2
; %bb.151:                              ;   in Loop: Header=BB95_7 Depth=1
	s_delay_alu instid0(VALU_DEP_1) | instskip(SKIP_1) | instid1(VALU_DEP_2)
	v_fma_f32 v2, 0xbfc90fda, v20, |v3|
	v_cvt_i32_f32_e32 v4, v20
	v_fmac_f32_e32 v2, 0xb3a22168, v20
	s_delay_alu instid0(VALU_DEP_1)
	v_fmac_f32_e32 v2, 0xa7c234c4, v20
; %bb.152:                              ;   in Loop: Header=BB95_7 Depth=1
	s_or_b32 exec_lo, exec_lo, s2
                                        ; implicit-def: $vgpr19
                                        ; implicit-def: $vgpr12
	s_and_saveexec_b32 s2, s30
	s_delay_alu instid0(SALU_CYCLE_1)
	s_xor_b32 s30, exec_lo, s2
	s_cbranch_execz .LBB95_154
; %bb.153:                              ;   in Loop: Header=BB95_7 Depth=1
	v_mad_u64_u32 v[19:20], null, 0xfe5163ab, v10, 0
	v_cmp_lt_u32_e32 vcc_lo, 63, v11
	v_cndmask_b32_e64 v25, 0, 0xffffffc0, vcc_lo
	s_delay_alu instid0(VALU_DEP_1) | instskip(NEXT) | instid1(VALU_DEP_1)
	v_dual_mov_b32 v12, v20 :: v_dual_add_nc_u32 v11, v25, v11
	v_mad_u64_u32 v[20:21], null, 0x3c439041, v10, v[12:13]
	s_delay_alu instid0(VALU_DEP_2) | instskip(NEXT) | instid1(VALU_DEP_1)
	v_cmp_lt_u32_e64 s2, 31, v11
	v_cndmask_b32_e64 v26, 0, 0xffffffe0, s2
	s_delay_alu instid0(VALU_DEP_1) | instskip(NEXT) | instid1(VALU_DEP_1)
	v_dual_mov_b32 v12, v21 :: v_dual_add_nc_u32 v11, v26, v11
	v_mad_u64_u32 v[21:22], null, 0xdb629599, v10, v[12:13]
	s_delay_alu instid0(VALU_DEP_2) | instskip(NEXT) | instid1(VALU_DEP_2)
	v_cmp_lt_u32_e64 s3, 31, v11
	v_dual_mov_b32 v12, v22 :: v_dual_cndmask_b32 v19, v21, v19
	s_delay_alu instid0(VALU_DEP_1) | instskip(NEXT) | instid1(VALU_DEP_1)
	v_mad_u64_u32 v[22:23], null, 0xf534ddc0, v10, v[12:13]
	v_mov_b32_e32 v12, v23
	s_delay_alu instid0(VALU_DEP_1) | instskip(NEXT) | instid1(VALU_DEP_1)
	v_mad_u64_u32 v[23:24], null, 0xfc2757d1, v10, v[12:13]
	v_mov_b32_e32 v12, v24
	;; [unrolled: 3-line block ×3, first 2 shown]
	s_delay_alu instid0(VALU_DEP_1) | instskip(SKIP_1) | instid1(VALU_DEP_4)
	v_mad_u64_u32 v[25:26], null, 0xa2f9836e, v10, v[12:13]
	v_cndmask_b32_e64 v10, 0, 0xffffffe0, s3
	v_cndmask_b32_e32 v12, v24, v22, vcc_lo
	s_delay_alu instid0(VALU_DEP_2) | instskip(NEXT) | instid1(VALU_DEP_4)
	v_add_nc_u32_e32 v10, v10, v11
	v_dual_cndmask_b32 v25, v25, v23 :: v_dual_cndmask_b32 v24, v26, v24
	v_cndmask_b32_e32 v23, v23, v21, vcc_lo
	v_cndmask_b32_e32 v11, v22, v20, vcc_lo
	s_delay_alu instid0(VALU_DEP_4) | instskip(NEXT) | instid1(VALU_DEP_4)
	v_cmp_eq_u32_e64 s4, 0, v10
	v_cndmask_b32_e64 v20, v25, v12, s2
	v_cndmask_b32_e64 v22, v24, v25, s2
	v_cndmask_b32_e64 v12, v12, v23, s2
	v_sub_nc_u32_e32 v24, 32, v10
	v_cndmask_b32_e64 v23, v23, v11, s2
	v_cndmask_b32_e64 v11, v11, v19, s2
	v_cndmask_b32_e64 v22, v22, v20, s3
	v_cndmask_b32_e64 v20, v20, v12, s3
	s_delay_alu instid0(VALU_DEP_4) | instskip(NEXT) | instid1(VALU_DEP_4)
	v_cndmask_b32_e64 v12, v12, v23, s3
	v_cndmask_b32_e64 v11, v23, v11, s3
	s_delay_alu instid0(VALU_DEP_3) | instskip(NEXT) | instid1(VALU_DEP_3)
	v_alignbit_b32 v25, v22, v20, v24
	v_alignbit_b32 v26, v20, v12, v24
	s_delay_alu instid0(VALU_DEP_3) | instskip(NEXT) | instid1(VALU_DEP_3)
	v_alignbit_b32 v24, v12, v11, v24
	v_cndmask_b32_e64 v10, v25, v22, s4
	s_delay_alu instid0(VALU_DEP_3) | instskip(NEXT) | instid1(VALU_DEP_3)
	v_cndmask_b32_e64 v20, v26, v20, s4
	v_cndmask_b32_e64 v12, v24, v12, s4
	s_delay_alu instid0(VALU_DEP_3) | instskip(NEXT) | instid1(VALU_DEP_3)
	v_bfe_u32 v21, v10, 29, 1
	v_alignbit_b32 v19, v10, v20, 30
	s_delay_alu instid0(VALU_DEP_3) | instskip(SKIP_1) | instid1(VALU_DEP_4)
	v_alignbit_b32 v20, v20, v12, 30
	v_alignbit_b32 v11, v12, v11, 30
	v_sub_nc_u32_e32 v22, 0, v21
	s_delay_alu instid0(VALU_DEP_1) | instskip(SKIP_3) | instid1(VALU_DEP_4)
	v_xor_b32_e32 v23, v19, v22
	v_cmp_ne_u32_e32 vcc_lo, v19, v22
	v_xor_b32_e32 v12, v20, v22
	v_xor_b32_e32 v11, v11, v22
	v_clz_i32_u32_e32 v25, v23
	s_delay_alu instid0(VALU_DEP_1) | instskip(NEXT) | instid1(VALU_DEP_1)
	v_add_nc_u32_e32 v24, 1, v25
	v_cndmask_b32_e32 v19, 33, v24, vcc_lo
	s_delay_alu instid0(VALU_DEP_1) | instskip(NEXT) | instid1(VALU_DEP_1)
	v_sub_nc_u32_e32 v20, 32, v19
	v_alignbit_b32 v22, v23, v12, v20
	v_alignbit_b32 v11, v12, v11, v20
	v_lshrrev_b32_e32 v12, 29, v10
	v_lshrrev_b32_e32 v10, 30, v10
	s_delay_alu instid0(VALU_DEP_3) | instskip(NEXT) | instid1(VALU_DEP_3)
	v_alignbit_b32 v20, v22, v11, 9
	v_lshlrev_b32_e32 v12, 31, v12
	v_alignbit_b32 v22, v19, v22, 9
	s_delay_alu instid0(VALU_DEP_3) | instskip(NEXT) | instid1(VALU_DEP_2)
	v_clz_i32_u32_e32 v23, v20
	v_or_b32_e32 v22, v22, v12
	v_or_b32_e32 v12, 0x33800000, v12
	s_delay_alu instid0(VALU_DEP_3) | instskip(NEXT) | instid1(VALU_DEP_3)
	v_min_u32_e32 v23, 32, v23
	v_xor_b32_e32 v22, 1.0, v22
	s_delay_alu instid0(VALU_DEP_2) | instskip(SKIP_1) | instid1(VALU_DEP_3)
	v_sub_nc_u32_e32 v24, 31, v23
	v_add_lshl_u32 v19, v23, v19, 23
	v_mul_f32_e32 v23, 0x3fc90fda, v22
	s_delay_alu instid0(VALU_DEP_3) | instskip(NEXT) | instid1(VALU_DEP_3)
	v_alignbit_b32 v11, v20, v11, v24
	v_sub_nc_u32_e32 v12, v12, v19
	s_delay_alu instid0(VALU_DEP_3) | instskip(NEXT) | instid1(VALU_DEP_3)
	v_fma_f32 v19, 0x3fc90fda, v22, -v23
                                        ; implicit-def: $vgpr20
	v_lshrrev_b32_e32 v11, 9, v11
	s_delay_alu instid0(VALU_DEP_2) | instskip(NEXT) | instid1(VALU_DEP_2)
	v_fmac_f32_e32 v19, 0x33a22168, v22
	v_or_b32_e32 v11, v12, v11
	s_delay_alu instid0(VALU_DEP_1) | instskip(NEXT) | instid1(VALU_DEP_1)
	v_fmac_f32_e32 v19, 0x3fc90fda, v11
	v_dual_add_f32 v12, v23, v19 :: v_dual_add_nc_u32 v19, v21, v10
	s_and_not1_saveexec_b32 s2, s30
	s_cbranch_execz .LBB95_3
	s_branch .LBB95_155
.LBB95_154:                             ;   in Loop: Header=BB95_7 Depth=1
	s_and_not1_saveexec_b32 s2, s30
	s_cbranch_execz .LBB95_3
.LBB95_155:                             ;   in Loop: Header=BB95_7 Depth=1
	v_fma_f32 v12, 0xbfc90fda, v20, |v3|
	v_cvt_i32_f32_e32 v19, v20
	s_delay_alu instid0(VALU_DEP_2) | instskip(NEXT) | instid1(VALU_DEP_1)
	v_fmac_f32_e32 v12, 0xb3a22168, v20
	v_fmac_f32_e32 v12, 0xa7c234c4, v20
	s_branch .LBB95_3
.LBB95_156:
	s_or_b32 exec_lo, exec_lo, s15
	s_mov_b32 s2, 0
.LBB95_157:
	s_delay_alu instid0(SALU_CYCLE_1)
	s_and_not1_b32 vcc_lo, exec_lo, s2
	s_cbranch_vccnz .LBB95_329
; %bb.158:
	v_cmp_lt_i64_e64 s2, s[10:11], 1
	s_delay_alu instid0(VALU_DEP_1)
	s_and_b32 vcc_lo, exec_lo, s2
	s_cbranch_vccnz .LBB95_329
; %bb.159:
	s_load_b32 s0, s[0:1], 0xc5c
	v_mov_b32_e32 v1, 0
	v_lshl_or_b32 v2, v0, 3, 4
	v_cmp_gt_u64_e64 s1, 0x10000, s[10:11]
	s_mov_b32 s13, 0
	s_mov_b32 s22, 0xbc8cedd3
	v_mov_b32_e32 v3, v1
	v_add_co_u32 v14, s2, s6, v2
	s_delay_alu instid0(VALU_DEP_1) | instskip(SKIP_1) | instid1(VALU_DEP_1)
	v_add_co_ci_u32_e64 v15, null, s7, 0, s2
	v_add_co_u32 v16, s2, s16, v2
	v_add_co_ci_u32_e64 v17, null, s17, 0, s2
	s_mov_b32 s23, 0x3c971480
	s_mov_b32 s24, 0x3ab42872
	;; [unrolled: 1-line block ×4, first 2 shown]
	s_waitcnt lgkmcnt(0)
	s_and_b32 s18, s0, 0xffff
	s_and_b32 s0, s1, exec_lo
	v_add_lshl_u32 v6, v0, s18, 3
	v_mad_u64_u32 v[4:5], null, s18, 24, v[2:3]
	s_cselect_b32 s15, s11, 0
	s_cselect_b32 s14, s10, 0x10000
	s_delay_alu instid0(VALU_DEP_2) | instskip(NEXT) | instid1(VALU_DEP_1)
	v_add_co_u32 v18, s0, s16, v6
	v_add_co_ci_u32_e64 v19, null, s17, 0, s0
	v_add_co_u32 v22, s0, s6, v6
	s_delay_alu instid0(VALU_DEP_1)
	v_add_co_ci_u32_e64 v23, null, s7, 0, s0
	s_lshl_b32 s0, s18, 4
	v_add_co_u32 v20, vcc_lo, s6, v4
	v_add_co_u32 v2, s0, v2, s0
	v_add_co_ci_u32_e32 v21, vcc_lo, s7, v5, vcc_lo
	v_add_co_ci_u32_e64 v3, null, 0, 0, s0
	v_add_co_u32 v24, vcc_lo, s16, v4
	v_add_co_ci_u32_e32 v25, vcc_lo, s17, v5, vcc_lo
	v_add_co_u32 v26, vcc_lo, s6, v2
	s_delay_alu instid0(VALU_DEP_4)
	v_add_co_ci_u32_e32 v27, vcc_lo, s7, v3, vcc_lo
	v_add_co_u32 v28, vcc_lo, s16, v2
	v_add_co_ci_u32_e32 v29, vcc_lo, s17, v3, vcc_lo
	v_dual_mov_b32 v3, v1 :: v_dual_mov_b32 v2, v0
	s_lshl_b32 s12, s18, 2
	s_lshl_b32 s19, s18, 1
	s_mul_i32 s20, s18, 3
	s_lshl_b32 s21, s18, 5
	s_mov_b32 s7, 0x7fffff
	s_mov_b64 s[16:17], s[12:13]
	s_branch .LBB95_161
.LBB95_160:                             ;   in Loop: Header=BB95_161 Depth=1
	s_or_b32 exec_lo, exec_lo, s0
	v_add_co_u32 v2, vcc_lo, v2, s12
	v_add_co_ci_u32_e32 v3, vcc_lo, 0, v3, vcc_lo
	v_add_co_u32 v14, vcc_lo, v14, s21
	v_add_co_ci_u32_e32 v15, vcc_lo, 0, v15, vcc_lo
	;; [unrolled: 2-line block ×7, first 2 shown]
	v_cmp_ge_i64_e64 s0, s[16:17], s[10:11]
	v_cmp_lt_u64_e64 s1, 0xffff, s[16:17]
	v_add_co_u32 v26, vcc_lo, v26, s21
	v_add_co_ci_u32_e32 v27, vcc_lo, 0, v27, vcc_lo
	v_add_co_u32 v28, vcc_lo, v28, s21
	v_add_co_ci_u32_e32 v29, vcc_lo, 0, v29, vcc_lo
	s_or_b32 s0, s0, s1
	s_add_u32 s16, s16, s12
	s_addc_u32 s17, s17, 0
	s_and_b32 vcc_lo, exec_lo, s0
	s_cbranch_vccnz .LBB95_329
.LBB95_161:                             ; =>This Inner Loop Header: Depth=1
	v_cmp_gt_u64_e64 s0, s[14:15], v[2:3]
	v_dual_mov_b32 v13, 0 :: v_dual_mov_b32 v12, 0
	s_delay_alu instid0(VALU_DEP_2)
	s_and_saveexec_b32 s1, s0
	s_cbranch_execz .LBB95_163
; %bb.162:                              ;   in Loop: Header=BB95_161 Depth=1
	v_add_co_u32 v4, vcc_lo, v14, s8
	v_add_co_ci_u32_e32 v5, vcc_lo, s9, v15, vcc_lo
	global_load_b64 v[12:13], v[4:5], off offset:-4
.LBB95_163:                             ;   in Loop: Header=BB95_161 Depth=1
	s_or_b32 exec_lo, exec_lo, s1
	v_add_co_u32 v4, vcc_lo, s18, v2
	v_add_co_ci_u32_e32 v5, vcc_lo, 0, v3, vcc_lo
	v_dual_mov_b32 v8, 0 :: v_dual_mov_b32 v11, 0
	v_mov_b32_e32 v10, 0
	s_delay_alu instid0(VALU_DEP_3) | instskip(NEXT) | instid1(VALU_DEP_1)
	v_cmp_gt_u64_e64 s1, s[14:15], v[4:5]
	s_and_saveexec_b32 s2, s1
	s_cbranch_execz .LBB95_165
; %bb.164:                              ;   in Loop: Header=BB95_161 Depth=1
	v_add_co_u32 v4, vcc_lo, v22, s8
	v_add_co_ci_u32_e32 v5, vcc_lo, s9, v23, vcc_lo
	global_load_b64 v[10:11], v[4:5], off
.LBB95_165:                             ;   in Loop: Header=BB95_161 Depth=1
	s_or_b32 exec_lo, exec_lo, s2
	v_add_co_u32 v4, vcc_lo, s19, v2
	v_add_co_ci_u32_e32 v5, vcc_lo, 0, v3, vcc_lo
	v_mov_b32_e32 v7, 0
	s_delay_alu instid0(VALU_DEP_2) | instskip(NEXT) | instid1(VALU_DEP_1)
	v_cmp_gt_u64_e64 s2, s[14:15], v[4:5]
	s_and_saveexec_b32 s3, s2
	s_cbranch_execz .LBB95_167
; %bb.166:                              ;   in Loop: Header=BB95_161 Depth=1
	v_add_co_u32 v4, vcc_lo, v26, s8
	v_add_co_ci_u32_e32 v5, vcc_lo, s9, v27, vcc_lo
	global_load_b64 v[7:8], v[4:5], off offset:-4
.LBB95_167:                             ;   in Loop: Header=BB95_161 Depth=1
	s_or_b32 exec_lo, exec_lo, s3
	v_add_co_u32 v4, vcc_lo, s20, v2
	v_add_co_ci_u32_e32 v5, vcc_lo, 0, v3, vcc_lo
	s_delay_alu instid0(VALU_DEP_1) | instskip(SKIP_1) | instid1(VALU_DEP_2)
	v_cmp_gt_u64_e64 s3, s[14:15], v[4:5]
	v_dual_mov_b32 v5, 0 :: v_dual_mov_b32 v4, 0
	s_and_saveexec_b32 s4, s3
	s_cbranch_execz .LBB95_169
; %bb.168:                              ;   in Loop: Header=BB95_161 Depth=1
	v_add_co_u32 v4, vcc_lo, v20, s8
	v_add_co_ci_u32_e32 v5, vcc_lo, s9, v21, vcc_lo
	global_load_b64 v[4:5], v[4:5], off offset:-4
.LBB95_169:                             ;   in Loop: Header=BB95_161 Depth=1
	s_or_b32 exec_lo, exec_lo, s4
	s_waitcnt vmcnt(0)
	v_and_b32_e32 v0, 0x7fffffff, v13
                                        ; implicit-def: $vgpr6
                                        ; implicit-def: $vgpr30
	s_mov_b32 s4, exec_lo
	s_delay_alu instid0(VALU_DEP_1)
	v_cmpx_gt_u32_e32 0x7f800000, v0
	s_xor_b32 s13, exec_lo, s4
	s_cbranch_execz .LBB95_190
; %bb.170:                              ;   in Loop: Header=BB95_161 Depth=1
	v_cmp_class_f32_e64 s4, v12, 0x1f8
                                        ; implicit-def: $vgpr6
                                        ; implicit-def: $vgpr30
	s_delay_alu instid0(VALU_DEP_1) | instskip(NEXT) | instid1(SALU_CYCLE_1)
	s_and_saveexec_b32 s5, s4
	s_xor_b32 s27, exec_lo, s5
	s_cbranch_execz .LBB95_187
; %bb.171:                              ;   in Loop: Header=BB95_161 Depth=1
	v_and_b32_e32 v9, 0x7fffffff, v12
                                        ; implicit-def: $vgpr6
                                        ; implicit-def: $vgpr30
	s_mov_b32 s4, exec_lo
	v_cmpx_gt_u32_e32 0x41300000, v0
	s_xor_b32 s28, exec_lo, s4
	s_cbranch_execz .LBB95_177
; %bb.172:                              ;   in Loop: Header=BB95_161 Depth=1
                                        ; implicit-def: $vgpr0
                                        ; implicit-def: $vgpr6
	s_mov_b32 s5, exec_lo
	v_cmpx_ngt_f32_e64 0x48000000, |v12|
	s_xor_b32 s29, exec_lo, s5
	s_cbranch_execz .LBB95_174
; %bb.173:                              ;   in Loop: Header=BB95_161 Depth=1
	v_lshrrev_b32_e32 v35, 23, v9
	v_and_or_b32 v6, v9, s7, 0x800000
	s_delay_alu instid0(VALU_DEP_2) | instskip(NEXT) | instid1(VALU_DEP_2)
	v_add_nc_u32_e32 v36, 0xffffff88, v35
	v_mad_u64_u32 v[30:31], null, 0xfe5163ab, v6, 0
	s_delay_alu instid0(VALU_DEP_2) | instskip(SKIP_1) | instid1(VALU_DEP_1)
	v_cmp_lt_u32_e32 vcc_lo, 63, v36
	v_cndmask_b32_e64 v37, 0, 0xffffffc0, vcc_lo
	v_dual_mov_b32 v0, v31 :: v_dual_add_nc_u32 v37, v37, v36
	s_delay_alu instid0(VALU_DEP_1) | instskip(NEXT) | instid1(VALU_DEP_2)
	v_mad_u64_u32 v[31:32], null, 0x3c439041, v6, v[0:1]
	v_cmp_lt_u32_e64 s4, 31, v37
	s_delay_alu instid0(VALU_DEP_2) | instskip(NEXT) | instid1(VALU_DEP_2)
	v_mov_b32_e32 v0, v32
	v_cndmask_b32_e64 v38, 0, 0xffffffe0, s4
	s_delay_alu instid0(VALU_DEP_2) | instskip(NEXT) | instid1(VALU_DEP_2)
	v_mad_u64_u32 v[32:33], null, 0xdb629599, v6, v[0:1]
	v_add_nc_u32_e32 v38, v38, v37
	s_delay_alu instid0(VALU_DEP_1) | instskip(NEXT) | instid1(VALU_DEP_3)
	v_cmp_lt_u32_e64 s5, 31, v38
	v_mov_b32_e32 v0, v33
	s_delay_alu instid0(VALU_DEP_4) | instskip(NEXT) | instid1(VALU_DEP_2)
	v_cndmask_b32_e32 v30, v32, v30, vcc_lo
	v_mad_u64_u32 v[33:34], null, 0xf534ddc0, v6, v[0:1]
	s_delay_alu instid0(VALU_DEP_1) | instskip(NEXT) | instid1(VALU_DEP_1)
	v_dual_mov_b32 v0, v34 :: v_dual_cndmask_b32 v31, v33, v31
	v_mad_u64_u32 v[34:35], null, 0xfc2757d1, v6, v[0:1]
	s_delay_alu instid0(VALU_DEP_2) | instskip(NEXT) | instid1(VALU_DEP_2)
	v_cndmask_b32_e64 v30, v31, v30, s4
	v_mov_b32_e32 v0, v35
	s_delay_alu instid0(VALU_DEP_1) | instskip(NEXT) | instid1(VALU_DEP_1)
	v_mad_u64_u32 v[35:36], null, 0x4e441529, v6, v[0:1]
	v_mov_b32_e32 v0, v36
	s_delay_alu instid0(VALU_DEP_1) | instskip(SKIP_1) | instid1(VALU_DEP_4)
	v_mad_u64_u32 v[36:37], null, 0xa2f9836e, v6, v[0:1]
	v_cndmask_b32_e64 v0, 0, 0xffffffe0, s5
	v_cndmask_b32_e32 v6, v35, v33, vcc_lo
	s_delay_alu instid0(VALU_DEP_2) | instskip(NEXT) | instid1(VALU_DEP_4)
	v_add_nc_u32_e32 v0, v0, v38
	v_dual_cndmask_b32 v36, v36, v34 :: v_dual_cndmask_b32 v35, v37, v35
	v_cndmask_b32_e32 v34, v34, v32, vcc_lo
	s_delay_alu instid0(VALU_DEP_3) | instskip(NEXT) | instid1(VALU_DEP_3)
	v_cmp_eq_u32_e64 s6, 0, v0
	v_cndmask_b32_e64 v33, v36, v6, s4
	s_delay_alu instid0(VALU_DEP_4) | instskip(NEXT) | instid1(VALU_DEP_4)
	v_cndmask_b32_e64 v35, v35, v36, s4
	v_cndmask_b32_e64 v6, v6, v34, s4
	v_sub_nc_u32_e32 v36, 32, v0
	v_cndmask_b32_e64 v34, v34, v31, s4
	s_delay_alu instid0(VALU_DEP_4) | instskip(NEXT) | instid1(VALU_DEP_4)
	v_cndmask_b32_e64 v35, v35, v33, s5
	v_cndmask_b32_e64 v33, v33, v6, s5
	s_delay_alu instid0(VALU_DEP_3) | instskip(SKIP_1) | instid1(VALU_DEP_3)
	v_cndmask_b32_e64 v6, v6, v34, s5
	v_cndmask_b32_e64 v30, v34, v30, s5
	v_alignbit_b32 v37, v35, v33, v36
	s_delay_alu instid0(VALU_DEP_3) | instskip(NEXT) | instid1(VALU_DEP_3)
	v_alignbit_b32 v38, v33, v6, v36
	v_alignbit_b32 v36, v6, v30, v36
	s_delay_alu instid0(VALU_DEP_3) | instskip(NEXT) | instid1(VALU_DEP_3)
	v_cndmask_b32_e64 v0, v37, v35, s6
	v_cndmask_b32_e64 v32, v38, v33, s6
	s_delay_alu instid0(VALU_DEP_3) | instskip(NEXT) | instid1(VALU_DEP_3)
	v_cndmask_b32_e64 v6, v36, v6, s6
	v_bfe_u32 v33, v0, 29, 1
	s_delay_alu instid0(VALU_DEP_3) | instskip(NEXT) | instid1(VALU_DEP_3)
	v_alignbit_b32 v31, v0, v32, 30
	v_alignbit_b32 v32, v32, v6, 30
	;; [unrolled: 1-line block ×3, first 2 shown]
	s_delay_alu instid0(VALU_DEP_4) | instskip(NEXT) | instid1(VALU_DEP_1)
	v_sub_nc_u32_e32 v35, 0, v33
	v_xor_b32_e32 v34, v31, v35
	v_cmp_ne_u32_e32 vcc_lo, v31, v35
	v_xor_b32_e32 v30, v32, v35
	v_xor_b32_e32 v6, v6, v35
	s_delay_alu instid0(VALU_DEP_4) | instskip(NEXT) | instid1(VALU_DEP_1)
	v_clz_i32_u32_e32 v37, v34
	v_add_nc_u32_e32 v36, 1, v37
	s_delay_alu instid0(VALU_DEP_1) | instskip(NEXT) | instid1(VALU_DEP_1)
	v_cndmask_b32_e32 v31, 33, v36, vcc_lo
	v_sub_nc_u32_e32 v32, 32, v31
	s_delay_alu instid0(VALU_DEP_1) | instskip(SKIP_3) | instid1(VALU_DEP_3)
	v_alignbit_b32 v34, v34, v30, v32
	v_alignbit_b32 v6, v30, v6, v32
	v_lshrrev_b32_e32 v30, 29, v0
	v_lshrrev_b32_e32 v0, 30, v0
	v_alignbit_b32 v32, v34, v6, 9
	s_delay_alu instid0(VALU_DEP_3) | instskip(SKIP_1) | instid1(VALU_DEP_4)
	v_lshlrev_b32_e32 v30, 31, v30
	v_alignbit_b32 v34, v31, v34, 9
	v_add_nc_u32_e32 v0, v33, v0
	s_delay_alu instid0(VALU_DEP_4) | instskip(NEXT) | instid1(VALU_DEP_3)
	v_clz_i32_u32_e32 v35, v32
	v_or_b32_e32 v34, v34, v30
	v_or_b32_e32 v30, 0x33800000, v30
	s_delay_alu instid0(VALU_DEP_3) | instskip(NEXT) | instid1(VALU_DEP_3)
	v_min_u32_e32 v35, 32, v35
	v_xor_b32_e32 v34, 1.0, v34
	s_delay_alu instid0(VALU_DEP_2) | instskip(SKIP_1) | instid1(VALU_DEP_3)
	v_sub_nc_u32_e32 v36, 31, v35
	v_add_lshl_u32 v31, v35, v31, 23
	v_mul_f32_e32 v35, 0x3fc90fda, v34
	s_delay_alu instid0(VALU_DEP_3) | instskip(NEXT) | instid1(VALU_DEP_3)
	v_alignbit_b32 v6, v32, v6, v36
	v_sub_nc_u32_e32 v30, v30, v31
	s_delay_alu instid0(VALU_DEP_3) | instskip(NEXT) | instid1(VALU_DEP_3)
	v_fma_f32 v31, 0x3fc90fda, v34, -v35
	v_lshrrev_b32_e32 v6, 9, v6
	s_delay_alu instid0(VALU_DEP_2) | instskip(NEXT) | instid1(VALU_DEP_2)
	v_fmac_f32_e32 v31, 0x33a22168, v34
	v_or_b32_e32 v6, v30, v6
	s_delay_alu instid0(VALU_DEP_1) | instskip(NEXT) | instid1(VALU_DEP_1)
	v_fmac_f32_e32 v31, 0x3fc90fda, v6
	v_add_f32_e32 v6, v35, v31
.LBB95_174:                             ;   in Loop: Header=BB95_161 Depth=1
	s_and_not1_saveexec_b32 s4, s29
; %bb.175:                              ;   in Loop: Header=BB95_161 Depth=1
	v_mul_f32_e64 v0, 0x3f22f983, |v12|
	s_delay_alu instid0(VALU_DEP_1) | instskip(NEXT) | instid1(VALU_DEP_1)
	v_rndne_f32_e32 v0, v0
	v_fma_f32 v6, 0xbfc90fda, v0, |v12|
	s_delay_alu instid0(VALU_DEP_1) | instskip(NEXT) | instid1(VALU_DEP_1)
	v_fmac_f32_e32 v6, 0xb3a22168, v0
	v_fmac_f32_e32 v6, 0xa7c234c4, v0
	v_cvt_i32_f32_e32 v0, v0
; %bb.176:                              ;   in Loop: Header=BB95_161 Depth=1
	s_or_b32 exec_lo, exec_lo, s4
	v_add_f32_e64 v30, 0xbf317218, |v13|
	v_cmp_nlt_f32_e64 vcc_lo, 0x42b2d4fc, |v13|
	v_cmp_gt_f32_e64 s4, 0x39800000, |v13|
	v_and_b32_e32 v0, 1, v0
	s_delay_alu instid0(VALU_DEP_4) | instskip(NEXT) | instid1(VALU_DEP_1)
	v_sub_f32_e64 v31, v30, |v13|
	v_dual_sub_f32 v32, v31, v30 :: v_dual_add_f32 v31, 0x3f317218, v31
	s_delay_alu instid0(VALU_DEP_1) | instskip(NEXT) | instid1(VALU_DEP_1)
	v_add_f32_e64 v32, |v13|, v32
	v_sub_f32_e32 v31, v32, v31
	s_delay_alu instid0(VALU_DEP_1) | instskip(NEXT) | instid1(VALU_DEP_1)
	v_add_f32_e32 v31, 0x3102e308, v31
	v_add_f32_e32 v32, v30, v31
	s_delay_alu instid0(VALU_DEP_1) | instskip(NEXT) | instid1(VALU_DEP_1)
	v_sub_f32_e32 v30, v30, v32
	v_dual_mul_f32 v33, 0x3fb8aa3b, v32 :: v_dual_add_f32 v30, v31, v30
	s_delay_alu instid0(VALU_DEP_1) | instskip(NEXT) | instid1(VALU_DEP_1)
	v_rndne_f32_e32 v33, v33
	v_mul_f32_e32 v31, 0x35bfbc00, v33
	v_fmac_f32_e32 v32, 0xbf317200, v33
	s_delay_alu instid0(VALU_DEP_1) | instskip(NEXT) | instid1(VALU_DEP_1)
	v_add_f32_e32 v34, v30, v32
	v_dual_sub_f32 v35, v34, v31 :: v_dual_sub_f32 v32, v32, v34
	s_delay_alu instid0(VALU_DEP_1) | instskip(NEXT) | instid1(VALU_DEP_1)
	v_sub_f32_e32 v34, v34, v35
	v_sub_f32_e32 v31, v34, v31
	s_delay_alu instid0(VALU_DEP_3) | instskip(NEXT) | instid1(VALU_DEP_1)
	v_add_f32_e32 v30, v30, v32
	v_dual_add_f32 v30, v30, v31 :: v_dual_mul_f32 v31, 0x2ea39ef3, v33
	s_delay_alu instid0(VALU_DEP_1) | instskip(NEXT) | instid1(VALU_DEP_1)
	v_add_f32_e32 v32, v35, v30
	v_dual_sub_f32 v34, v32, v31 :: v_dual_sub_f32 v35, v35, v32
	s_delay_alu instid0(VALU_DEP_1) | instskip(NEXT) | instid1(VALU_DEP_2)
	v_sub_f32_e32 v32, v32, v34
	v_add_f32_e32 v30, v30, v35
	s_delay_alu instid0(VALU_DEP_2) | instskip(NEXT) | instid1(VALU_DEP_1)
	v_sub_f32_e32 v31, v32, v31
	v_add_f32_e32 v30, v30, v31
	s_delay_alu instid0(VALU_DEP_1) | instskip(NEXT) | instid1(VALU_DEP_1)
	v_add_f32_e32 v31, v34, v30
	v_sub_f32_e32 v32, v34, v31
	v_mul_f32_e32 v34, v31, v31
	s_delay_alu instid0(VALU_DEP_2) | instskip(SKIP_1) | instid1(VALU_DEP_3)
	v_add_f32_e32 v30, v30, v32
	v_fmaak_f32 v32, s24, v31, 0x3c091de6
	v_fma_f32 v35, v31, v31, -v34
	s_delay_alu instid0(VALU_DEP_3) | instskip(NEXT) | instid1(VALU_DEP_3)
	v_add_f32_e32 v36, v30, v30
	v_fmaak_f32 v32, v31, v32, 0x3d2aadcc
	s_delay_alu instid0(VALU_DEP_2) | instskip(NEXT) | instid1(VALU_DEP_2)
	v_fmac_f32_e32 v35, v31, v36
	v_fmaak_f32 v32, v31, v32, 0x3e2aaa47
	s_delay_alu instid0(VALU_DEP_2) | instskip(NEXT) | instid1(VALU_DEP_2)
	v_add_f32_e32 v36, v34, v35
	v_fmaak_f32 v32, v31, v32, 0x3efffffc
	s_delay_alu instid0(VALU_DEP_2) | instskip(NEXT) | instid1(VALU_DEP_1)
	v_sub_f32_e32 v34, v36, v34
	v_dual_mul_f32 v37, v32, v36 :: v_dual_sub_f32 v34, v35, v34
	s_delay_alu instid0(VALU_DEP_1) | instskip(NEXT) | instid1(VALU_DEP_1)
	v_fma_f32 v35, v36, v32, -v37
	v_fmac_f32_e32 v35, v34, v32
	s_delay_alu instid0(VALU_DEP_1) | instskip(NEXT) | instid1(VALU_DEP_1)
	v_add_f32_e32 v32, v37, v35
	v_sub_f32_e32 v36, v32, v37
	v_add_f32_e32 v34, v31, v32
	s_delay_alu instid0(VALU_DEP_2) | instskip(NEXT) | instid1(VALU_DEP_2)
	v_sub_f32_e32 v35, v35, v36
	v_sub_f32_e32 v31, v34, v31
	s_delay_alu instid0(VALU_DEP_1) | instskip(NEXT) | instid1(VALU_DEP_3)
	v_sub_f32_e32 v31, v32, v31
	v_add_f32_e32 v30, v30, v35
	s_delay_alu instid0(VALU_DEP_1) | instskip(NEXT) | instid1(VALU_DEP_1)
	v_add_f32_e32 v30, v30, v31
	v_add_f32_e32 v31, v34, v30
	s_delay_alu instid0(VALU_DEP_1) | instskip(NEXT) | instid1(VALU_DEP_1)
	v_add_f32_e32 v32, 1.0, v31
	v_dual_sub_f32 v34, v31, v34 :: v_dual_add_f32 v35, -1.0, v32
	s_delay_alu instid0(VALU_DEP_1) | instskip(NEXT) | instid1(VALU_DEP_1)
	v_dual_sub_f32 v30, v30, v34 :: v_dual_sub_f32 v31, v31, v35
	v_add_f32_e32 v30, v30, v31
	v_cvt_i32_f32_e32 v31, v33
	s_delay_alu instid0(VALU_DEP_2) | instskip(NEXT) | instid1(VALU_DEP_1)
	v_add_f32_e32 v33, v32, v30
	v_ldexp_f32 v34, v33, v31
	s_delay_alu instid0(VALU_DEP_1) | instskip(SKIP_1) | instid1(VALU_DEP_1)
	v_rcp_f32_e32 v35, v34
	v_sub_f32_e32 v32, v33, v32
	v_sub_f32_e32 v30, v30, v32
	s_waitcnt_depctr 0xfff
	v_mul_f32_e32 v32, v34, v35
	v_ldexp_f32 v30, v30, v31
	s_delay_alu instid0(VALU_DEP_2) | instskip(NEXT) | instid1(VALU_DEP_1)
	v_fma_f32 v31, v35, v34, -v32
	v_fmac_f32_e32 v31, v35, v30
	s_delay_alu instid0(VALU_DEP_1) | instskip(NEXT) | instid1(VALU_DEP_1)
	v_add_f32_e32 v33, v32, v31
	v_sub_f32_e32 v36, 1.0, v33
	v_sub_f32_e32 v32, v33, v32
	s_delay_alu instid0(VALU_DEP_2) | instskip(NEXT) | instid1(VALU_DEP_1)
	v_sub_f32_e32 v37, 1.0, v36
	v_dual_sub_f32 v31, v32, v31 :: v_dual_sub_f32 v32, v37, v33
	s_delay_alu instid0(VALU_DEP_1) | instskip(NEXT) | instid1(VALU_DEP_1)
	v_add_f32_e32 v31, v31, v32
	v_add_f32_e32 v32, v36, v31
	s_delay_alu instid0(VALU_DEP_1) | instskip(NEXT) | instid1(VALU_DEP_1)
	v_mul_f32_e32 v33, v35, v32
	v_dual_sub_f32 v36, v36, v32 :: v_dual_mul_f32 v37, v34, v33
	s_delay_alu instid0(VALU_DEP_1) | instskip(NEXT) | instid1(VALU_DEP_2)
	v_add_f32_e32 v31, v31, v36
	v_fma_f32 v38, v33, v34, -v37
	s_delay_alu instid0(VALU_DEP_1) | instskip(NEXT) | instid1(VALU_DEP_1)
	v_fmac_f32_e32 v38, v33, v30
	v_add_f32_e32 v39, v37, v38
	s_delay_alu instid0(VALU_DEP_1) | instskip(SKIP_1) | instid1(VALU_DEP_2)
	v_sub_f32_e32 v40, v32, v39
	v_sub_f32_e32 v36, v39, v37
	;; [unrolled: 1-line block ×3, first 2 shown]
	s_delay_alu instid0(VALU_DEP_2) | instskip(NEXT) | instid1(VALU_DEP_2)
	v_sub_f32_e32 v36, v36, v38
	v_sub_f32_e32 v32, v32, v39
	s_delay_alu instid0(VALU_DEP_1) | instskip(NEXT) | instid1(VALU_DEP_1)
	v_add_f32_e32 v31, v31, v32
	v_dual_add_f32 v32, v35, v33 :: v_dual_add_f32 v31, v36, v31
	s_delay_alu instid0(VALU_DEP_1) | instskip(NEXT) | instid1(VALU_DEP_2)
	v_sub_f32_e32 v36, v32, v35
	v_add_f32_e32 v31, v40, v31
	s_delay_alu instid0(VALU_DEP_2) | instskip(NEXT) | instid1(VALU_DEP_2)
	v_sub_f32_e32 v33, v33, v36
	v_mul_f32_e32 v31, v35, v31
	s_delay_alu instid0(VALU_DEP_1) | instskip(NEXT) | instid1(VALU_DEP_1)
	v_add_f32_e32 v31, v33, v31
	v_add_f32_e32 v33, v32, v31
	s_delay_alu instid0(VALU_DEP_1) | instskip(SKIP_1) | instid1(VALU_DEP_1)
	v_ldexp_f32 v35, v33, -2
	v_sub_f32_e32 v32, v33, v32
	v_dual_sub_f32 v36, v34, v35 :: v_dual_sub_f32 v31, v31, v32
	s_delay_alu instid0(VALU_DEP_1) | instskip(NEXT) | instid1(VALU_DEP_2)
	v_sub_f32_e32 v33, v34, v36
	v_ldexp_f32 v31, v31, -2
	s_delay_alu instid0(VALU_DEP_2) | instskip(SKIP_1) | instid1(VALU_DEP_2)
	v_sub_f32_e32 v32, v33, v35
	v_xor_b32_e32 v33, 0x80000000, v13
	v_add_f32_e32 v30, v30, v32
	s_delay_alu instid0(VALU_DEP_1) | instskip(SKIP_1) | instid1(VALU_DEP_2)
	v_sub_f32_e32 v30, v30, v31
	v_mul_f32_e32 v31, v6, v6
	v_add_f32_e32 v30, v36, v30
	s_delay_alu instid0(VALU_DEP_2) | instskip(NEXT) | instid1(VALU_DEP_2)
	v_fmaak_f32 v32, s23, v31, 0xbf039337
	v_cndmask_b32_e32 v30, 0x7f800000, v30, vcc_lo
	s_delay_alu instid0(VALU_DEP_2) | instskip(NEXT) | instid1(VALU_DEP_2)
	v_fmaak_f32 v32, v31, v32, 0x3f93f425
	v_cndmask_b32_e64 v13, v30, |v13|, s4
	s_delay_alu instid0(VALU_DEP_2) | instskip(SKIP_1) | instid1(VALU_DEP_2)
	v_rcp_f32_e32 v30, v32
	v_fmaak_f32 v32, s22, v31, 0x3ec54587
	v_bfi_b32 v13, 0x7fffffff, v13, v33
	s_delay_alu instid0(VALU_DEP_1) | instskip(SKIP_4) | instid1(VALU_DEP_2)
	v_fma_f32 v33, v13, v13, 1.0
	s_waitcnt_depctr 0xfff
	v_mul_f32_e32 v30, v32, v30
	v_mul_f32_e32 v32, 0x4f800000, v33
	v_cmp_gt_f32_e32 vcc_lo, 0xf800000, v33
	v_dual_mul_f32 v30, v31, v30 :: v_dual_cndmask_b32 v31, v33, v32
	s_delay_alu instid0(VALU_DEP_1) | instskip(NEXT) | instid1(VALU_DEP_2)
	v_fma_f32 v32, v30, v6, v6
	v_sqrt_f32_e32 v33, v31
	s_delay_alu instid0(VALU_DEP_1) | instskip(SKIP_1) | instid1(VALU_DEP_1)
	v_rcp_f32_e32 v34, v32
	v_sub_f32_e32 v35, v32, v6
	v_fma_f32 v6, v30, v6, -v35
	s_waitcnt_depctr 0xfff
	v_add_nc_u32_e32 v36, -1, v33
	v_fma_f32 v30, v32, -v34, 1.0
	v_add_nc_u32_e32 v35, 1, v33
	s_delay_alu instid0(VALU_DEP_3) | instskip(NEXT) | instid1(VALU_DEP_3)
	v_fma_f32 v37, -v36, v33, v31
	v_fma_f32 v6, v6, -v34, v30
	s_delay_alu instid0(VALU_DEP_3) | instskip(NEXT) | instid1(VALU_DEP_3)
	v_fma_f32 v30, -v35, v33, v31
	v_cmp_ge_f32_e64 s4, 0, v37
	s_delay_alu instid0(VALU_DEP_3) | instskip(NEXT) | instid1(VALU_DEP_2)
	v_fma_f32 v6, v6, -v34, -v34
	v_cndmask_b32_e64 v33, v33, v36, s4
	s_delay_alu instid0(VALU_DEP_4) | instskip(NEXT) | instid1(VALU_DEP_1)
	v_cmp_lt_f32_e64 s4, 0, v30
	v_cndmask_b32_e64 v30, v33, v35, s4
	v_cmp_eq_u32_e64 s4, 0, v0
	s_delay_alu instid0(VALU_DEP_1) | instskip(NEXT) | instid1(VALU_DEP_3)
	v_cndmask_b32_e64 v0, v6, v32, s4
	v_mul_f32_e32 v6, 0x37800000, v30
	s_delay_alu instid0(VALU_DEP_2) | instskip(NEXT) | instid1(VALU_DEP_2)
	v_xor3_b32 v0, v9, v0, v12
	v_cndmask_b32_e32 v6, v30, v6, vcc_lo
	v_cmp_class_f32_e64 vcc_lo, v31, 0x260
	s_delay_alu instid0(VALU_DEP_3) | instskip(NEXT) | instid1(VALU_DEP_3)
	v_fma_f32 v9, v0, v0, 1.0
	v_cndmask_b32_e32 v6, v6, v31, vcc_lo
	s_delay_alu instid0(VALU_DEP_2) | instskip(NEXT) | instid1(VALU_DEP_2)
	v_mul_f32_e32 v12, v13, v9
	v_mul_f32_e32 v6, v6, v9
	s_delay_alu instid0(VALU_DEP_2) | instskip(NEXT) | instid1(VALU_DEP_2)
	v_fma_f32 v9, v13, v12, 1.0
	v_mul_f32_e32 v6, v13, v6
	s_delay_alu instid0(VALU_DEP_2) | instskip(NEXT) | instid1(VALU_DEP_2)
	v_div_scale_f32 v13, null, v9, v9, v0
	v_div_scale_f32 v12, null, v9, v9, v6
	v_div_scale_f32 v34, vcc_lo, v6, v9, v6
	s_delay_alu instid0(VALU_DEP_3) | instskip(NEXT) | instid1(VALU_DEP_2)
	v_rcp_f32_e32 v31, v13
	v_rcp_f32_e32 v30, v12
	s_waitcnt_depctr 0xfff
	v_fma_f32 v33, -v13, v31, 1.0
	v_fma_f32 v32, -v12, v30, 1.0
	s_delay_alu instid0(VALU_DEP_1) | instskip(SKIP_1) | instid1(VALU_DEP_2)
	v_dual_fmac_f32 v31, v33, v31 :: v_dual_fmac_f32 v30, v32, v30
	v_div_scale_f32 v32, s4, v0, v9, v0
	v_mul_f32_e32 v33, v34, v30
	s_delay_alu instid0(VALU_DEP_2) | instskip(NEXT) | instid1(VALU_DEP_2)
	v_mul_f32_e32 v35, v32, v31
	v_fma_f32 v36, -v12, v33, v34
	s_delay_alu instid0(VALU_DEP_2) | instskip(NEXT) | instid1(VALU_DEP_2)
	v_fma_f32 v37, -v13, v35, v32
	v_fmac_f32_e32 v33, v36, v30
	s_delay_alu instid0(VALU_DEP_2) | instskip(NEXT) | instid1(VALU_DEP_2)
	v_fmac_f32_e32 v35, v37, v31
	v_fma_f32 v12, -v12, v33, v34
	s_delay_alu instid0(VALU_DEP_2) | instskip(NEXT) | instid1(VALU_DEP_2)
	v_fma_f32 v13, -v13, v35, v32
	v_div_fmas_f32 v12, v12, v30, v33
	s_mov_b32 vcc_lo, s4
	s_delay_alu instid0(VALU_DEP_2) | instskip(NEXT) | instid1(VALU_DEP_2)
	v_div_fmas_f32 v13, v13, v31, v35
	v_div_fixup_f32 v30, v12, v9, v6
                                        ; implicit-def: $vgpr12
	s_delay_alu instid0(VALU_DEP_2)
	v_div_fixup_f32 v6, v13, v9, v0
                                        ; implicit-def: $vgpr9
.LBB95_177:                             ;   in Loop: Header=BB95_161 Depth=1
	s_and_not1_saveexec_b32 s28, s28
	s_cbranch_execz .LBB95_197
; %bb.178:                              ;   in Loop: Header=BB95_161 Depth=1
	v_cmp_ngt_f32_e64 s29, 0x48000000, |v12|
                                        ; implicit-def: $vgpr30
                                        ; implicit-def: $vgpr6
	s_delay_alu instid0(VALU_DEP_1) | instskip(NEXT) | instid1(SALU_CYCLE_1)
	s_and_saveexec_b32 s4, s29
	s_xor_b32 s30, exec_lo, s4
	s_cbranch_execz .LBB95_180
; %bb.179:                              ;   in Loop: Header=BB95_161 Depth=1
	v_lshrrev_b32_e32 v35, 23, v9
	v_and_or_b32 v6, v9, s7, 0x800000
	s_delay_alu instid0(VALU_DEP_2) | instskip(NEXT) | instid1(VALU_DEP_2)
	v_add_nc_u32_e32 v36, 0xffffff88, v35
	v_mad_u64_u32 v[30:31], null, 0xfe5163ab, v6, 0
	s_delay_alu instid0(VALU_DEP_2) | instskip(SKIP_1) | instid1(VALU_DEP_1)
	v_cmp_lt_u32_e32 vcc_lo, 63, v36
	v_cndmask_b32_e64 v37, 0, 0xffffffc0, vcc_lo
	v_dual_mov_b32 v0, v31 :: v_dual_add_nc_u32 v37, v37, v36
	s_delay_alu instid0(VALU_DEP_1) | instskip(NEXT) | instid1(VALU_DEP_2)
	v_mad_u64_u32 v[31:32], null, 0x3c439041, v6, v[0:1]
	v_cmp_lt_u32_e64 s4, 31, v37
	s_delay_alu instid0(VALU_DEP_2) | instskip(NEXT) | instid1(VALU_DEP_2)
	v_mov_b32_e32 v0, v32
	v_cndmask_b32_e64 v38, 0, 0xffffffe0, s4
	s_delay_alu instid0(VALU_DEP_2) | instskip(NEXT) | instid1(VALU_DEP_2)
	v_mad_u64_u32 v[32:33], null, 0xdb629599, v6, v[0:1]
	v_add_nc_u32_e32 v38, v38, v37
	s_delay_alu instid0(VALU_DEP_1) | instskip(NEXT) | instid1(VALU_DEP_3)
	v_cmp_lt_u32_e64 s5, 31, v38
	v_mov_b32_e32 v0, v33
	s_delay_alu instid0(VALU_DEP_4) | instskip(NEXT) | instid1(VALU_DEP_2)
	v_cndmask_b32_e32 v30, v32, v30, vcc_lo
	v_mad_u64_u32 v[33:34], null, 0xf534ddc0, v6, v[0:1]
	s_delay_alu instid0(VALU_DEP_1) | instskip(NEXT) | instid1(VALU_DEP_1)
	v_dual_mov_b32 v0, v34 :: v_dual_cndmask_b32 v31, v33, v31
	v_mad_u64_u32 v[34:35], null, 0xfc2757d1, v6, v[0:1]
	s_delay_alu instid0(VALU_DEP_2) | instskip(NEXT) | instid1(VALU_DEP_2)
	v_cndmask_b32_e64 v30, v31, v30, s4
	v_mov_b32_e32 v0, v35
	s_delay_alu instid0(VALU_DEP_1) | instskip(NEXT) | instid1(VALU_DEP_1)
	v_mad_u64_u32 v[35:36], null, 0x4e441529, v6, v[0:1]
	v_mov_b32_e32 v0, v36
	s_delay_alu instid0(VALU_DEP_1) | instskip(SKIP_1) | instid1(VALU_DEP_4)
	v_mad_u64_u32 v[36:37], null, 0xa2f9836e, v6, v[0:1]
	v_cndmask_b32_e64 v0, 0, 0xffffffe0, s5
	v_cndmask_b32_e32 v6, v35, v33, vcc_lo
	s_delay_alu instid0(VALU_DEP_2) | instskip(NEXT) | instid1(VALU_DEP_4)
	v_add_nc_u32_e32 v0, v0, v38
	v_dual_cndmask_b32 v36, v36, v34 :: v_dual_cndmask_b32 v35, v37, v35
	v_cndmask_b32_e32 v34, v34, v32, vcc_lo
	s_delay_alu instid0(VALU_DEP_3) | instskip(NEXT) | instid1(VALU_DEP_3)
	v_cmp_eq_u32_e64 s6, 0, v0
	v_cndmask_b32_e64 v33, v36, v6, s4
	s_delay_alu instid0(VALU_DEP_4) | instskip(NEXT) | instid1(VALU_DEP_4)
	v_cndmask_b32_e64 v35, v35, v36, s4
	v_cndmask_b32_e64 v6, v6, v34, s4
	v_sub_nc_u32_e32 v36, 32, v0
	v_cndmask_b32_e64 v34, v34, v31, s4
	s_delay_alu instid0(VALU_DEP_4) | instskip(NEXT) | instid1(VALU_DEP_4)
	v_cndmask_b32_e64 v35, v35, v33, s5
	v_cndmask_b32_e64 v33, v33, v6, s5
	s_delay_alu instid0(VALU_DEP_3) | instskip(SKIP_1) | instid1(VALU_DEP_3)
	v_cndmask_b32_e64 v6, v6, v34, s5
	v_cndmask_b32_e64 v30, v34, v30, s5
	v_alignbit_b32 v37, v35, v33, v36
	s_delay_alu instid0(VALU_DEP_3) | instskip(NEXT) | instid1(VALU_DEP_3)
	v_alignbit_b32 v38, v33, v6, v36
	v_alignbit_b32 v36, v6, v30, v36
	s_delay_alu instid0(VALU_DEP_3) | instskip(NEXT) | instid1(VALU_DEP_3)
	v_cndmask_b32_e64 v0, v37, v35, s6
	v_cndmask_b32_e64 v32, v38, v33, s6
	s_delay_alu instid0(VALU_DEP_3) | instskip(NEXT) | instid1(VALU_DEP_3)
	v_cndmask_b32_e64 v6, v36, v6, s6
	v_bfe_u32 v33, v0, 29, 1
	s_delay_alu instid0(VALU_DEP_3) | instskip(NEXT) | instid1(VALU_DEP_3)
	v_alignbit_b32 v31, v0, v32, 30
	v_alignbit_b32 v32, v32, v6, 30
	;; [unrolled: 1-line block ×3, first 2 shown]
	s_delay_alu instid0(VALU_DEP_4) | instskip(NEXT) | instid1(VALU_DEP_1)
	v_sub_nc_u32_e32 v35, 0, v33
	v_xor_b32_e32 v34, v31, v35
	v_cmp_ne_u32_e32 vcc_lo, v31, v35
	v_xor_b32_e32 v30, v32, v35
	v_xor_b32_e32 v6, v6, v35
	s_delay_alu instid0(VALU_DEP_4) | instskip(NEXT) | instid1(VALU_DEP_1)
	v_clz_i32_u32_e32 v37, v34
	v_add_nc_u32_e32 v36, 1, v37
	s_delay_alu instid0(VALU_DEP_1) | instskip(NEXT) | instid1(VALU_DEP_1)
	v_cndmask_b32_e32 v31, 33, v36, vcc_lo
	v_sub_nc_u32_e32 v32, 32, v31
	s_delay_alu instid0(VALU_DEP_1) | instskip(SKIP_3) | instid1(VALU_DEP_3)
	v_alignbit_b32 v34, v34, v30, v32
	v_alignbit_b32 v6, v30, v6, v32
	v_lshrrev_b32_e32 v30, 29, v0
	v_lshrrev_b32_e32 v0, 30, v0
	v_alignbit_b32 v32, v34, v6, 9
	s_delay_alu instid0(VALU_DEP_3) | instskip(SKIP_1) | instid1(VALU_DEP_3)
	v_lshlrev_b32_e32 v30, 31, v30
	v_alignbit_b32 v34, v31, v34, 9
	v_clz_i32_u32_e32 v35, v32
	s_delay_alu instid0(VALU_DEP_2) | instskip(SKIP_1) | instid1(VALU_DEP_3)
	v_or_b32_e32 v34, v34, v30
	v_or_b32_e32 v30, 0x33800000, v30
	v_min_u32_e32 v35, 32, v35
	s_delay_alu instid0(VALU_DEP_3) | instskip(NEXT) | instid1(VALU_DEP_2)
	v_xor_b32_e32 v34, 1.0, v34
	v_sub_nc_u32_e32 v36, 31, v35
	v_add_lshl_u32 v31, v35, v31, 23
	s_delay_alu instid0(VALU_DEP_3) | instskip(NEXT) | instid1(VALU_DEP_3)
	v_mul_f32_e32 v35, 0x3fc90fda, v34
	v_alignbit_b32 v6, v32, v6, v36
	s_delay_alu instid0(VALU_DEP_3) | instskip(NEXT) | instid1(VALU_DEP_3)
	v_sub_nc_u32_e32 v30, v30, v31
	v_fma_f32 v31, 0x3fc90fda, v34, -v35
	s_delay_alu instid0(VALU_DEP_3) | instskip(NEXT) | instid1(VALU_DEP_2)
	v_lshrrev_b32_e32 v6, 9, v6
	v_fmac_f32_e32 v31, 0x33a22168, v34
	s_delay_alu instid0(VALU_DEP_2) | instskip(NEXT) | instid1(VALU_DEP_1)
	v_or_b32_e32 v6, v30, v6
	v_dual_fmac_f32 v31, 0x3fc90fda, v6 :: v_dual_add_nc_u32 v30, v33, v0
	s_delay_alu instid0(VALU_DEP_1)
	v_add_f32_e32 v6, v35, v31
	s_and_not1_saveexec_b32 s4, s30
	s_branch .LBB95_181
.LBB95_180:                             ;   in Loop: Header=BB95_161 Depth=1
	s_and_not1_saveexec_b32 s4, s30
.LBB95_181:                             ;   in Loop: Header=BB95_161 Depth=1
	v_mul_f32_e64 v0, 0x3f22f983, |v12|
	s_delay_alu instid0(VALU_DEP_1) | instskip(NEXT) | instid1(VALU_DEP_1)
	v_rndne_f32_e32 v0, v0
	v_fma_f32 v6, 0xbfc90fda, v0, |v12|
	v_cvt_i32_f32_e32 v30, v0
	s_delay_alu instid0(VALU_DEP_2) | instskip(NEXT) | instid1(VALU_DEP_1)
	v_fmac_f32_e32 v6, 0xb3a22168, v0
	v_fmac_f32_e32 v6, 0xa7c234c4, v0
; %bb.182:                              ;   in Loop: Header=BB95_161 Depth=1
	s_or_b32 exec_lo, exec_lo, s4
                                        ; implicit-def: $vgpr31
                                        ; implicit-def: $vgpr0
	s_and_saveexec_b32 s4, s29
	s_delay_alu instid0(SALU_CYCLE_1)
	s_xor_b32 s29, exec_lo, s4
	s_cbranch_execz .LBB95_184
; %bb.183:                              ;   in Loop: Header=BB95_161 Depth=1
	v_and_or_b32 v39, v9, s7, 0x800000
	v_lshrrev_b32_e32 v36, 23, v9
	s_delay_alu instid0(VALU_DEP_2) | instskip(NEXT) | instid1(VALU_DEP_2)
	v_mad_u64_u32 v[31:32], null, 0xfe5163ab, v39, 0
	v_add_nc_u32_e32 v37, 0xffffff88, v36
	s_delay_alu instid0(VALU_DEP_1) | instskip(NEXT) | instid1(VALU_DEP_3)
	v_cmp_lt_u32_e32 vcc_lo, 63, v37
	v_mov_b32_e32 v0, v32
	v_cndmask_b32_e64 v38, 0, 0xffffffc0, vcc_lo
	s_delay_alu instid0(VALU_DEP_2) | instskip(NEXT) | instid1(VALU_DEP_2)
	v_mad_u64_u32 v[32:33], null, 0x3c439041, v39, v[0:1]
	v_add_nc_u32_e32 v38, v38, v37
	s_delay_alu instid0(VALU_DEP_2) | instskip(NEXT) | instid1(VALU_DEP_2)
	v_mov_b32_e32 v0, v33
	v_cmp_lt_u32_e64 s4, 31, v38
	s_delay_alu instid0(VALU_DEP_2) | instskip(NEXT) | instid1(VALU_DEP_2)
	v_mad_u64_u32 v[33:34], null, 0xdb629599, v39, v[0:1]
	v_cndmask_b32_e64 v40, 0, 0xffffffe0, s4
	s_delay_alu instid0(VALU_DEP_1) | instskip(NEXT) | instid1(VALU_DEP_3)
	v_add_nc_u32_e32 v40, v40, v38
	v_dual_mov_b32 v0, v34 :: v_dual_cndmask_b32 v31, v33, v31
	s_delay_alu instid0(VALU_DEP_2) | instskip(NEXT) | instid1(VALU_DEP_2)
	v_cmp_lt_u32_e64 s5, 31, v40
	v_mad_u64_u32 v[34:35], null, 0xf534ddc0, v39, v[0:1]
	s_delay_alu instid0(VALU_DEP_1) | instskip(NEXT) | instid1(VALU_DEP_2)
	v_mov_b32_e32 v0, v35
	v_cndmask_b32_e32 v32, v34, v32, vcc_lo
	s_delay_alu instid0(VALU_DEP_2) | instskip(NEXT) | instid1(VALU_DEP_2)
	v_mad_u64_u32 v[35:36], null, 0xfc2757d1, v39, v[0:1]
	v_cndmask_b32_e64 v31, v32, v31, s4
	s_delay_alu instid0(VALU_DEP_2) | instskip(NEXT) | instid1(VALU_DEP_1)
	v_mov_b32_e32 v0, v36
	v_mad_u64_u32 v[36:37], null, 0x4e441529, v39, v[0:1]
	s_delay_alu instid0(VALU_DEP_1) | instskip(NEXT) | instid1(VALU_DEP_1)
	v_mov_b32_e32 v0, v37
	v_mad_u64_u32 v[37:38], null, 0xa2f9836e, v39, v[0:1]
	v_cndmask_b32_e64 v0, 0, 0xffffffe0, s5
	s_delay_alu instid0(VALU_DEP_4) | instskip(NEXT) | instid1(VALU_DEP_2)
	v_cndmask_b32_e32 v39, v36, v34, vcc_lo
	v_dual_cndmask_b32 v37, v37, v35 :: v_dual_add_nc_u32 v0, v0, v40
	s_delay_alu instid0(VALU_DEP_4) | instskip(NEXT) | instid1(VALU_DEP_2)
	v_dual_cndmask_b32 v36, v38, v36 :: v_dual_cndmask_b32 v35, v35, v33
	v_sub_nc_u32_e32 v38, 32, v0
	s_delay_alu instid0(VALU_DEP_3) | instskip(NEXT) | instid1(VALU_DEP_3)
	v_cndmask_b32_e64 v34, v37, v39, s4
	v_cndmask_b32_e64 v36, v36, v37, s4
	s_delay_alu instid0(VALU_DEP_4) | instskip(SKIP_2) | instid1(VALU_DEP_4)
	v_cndmask_b32_e64 v37, v39, v35, s4
	v_cndmask_b32_e64 v35, v35, v32, s4
	v_cmp_eq_u32_e64 s6, 0, v0
	v_cndmask_b32_e64 v36, v36, v34, s5
	s_delay_alu instid0(VALU_DEP_4) | instskip(NEXT) | instid1(VALU_DEP_4)
	v_cndmask_b32_e64 v34, v34, v37, s5
	v_cndmask_b32_e64 v37, v37, v35, s5
	;; [unrolled: 1-line block ×3, first 2 shown]
	s_delay_alu instid0(VALU_DEP_3) | instskip(NEXT) | instid1(VALU_DEP_3)
	v_alignbit_b32 v39, v36, v34, v38
	v_alignbit_b32 v40, v34, v37, v38
	s_delay_alu instid0(VALU_DEP_3) | instskip(NEXT) | instid1(VALU_DEP_3)
	v_alignbit_b32 v38, v37, v31, v38
	v_cndmask_b32_e64 v0, v39, v36, s6
	s_delay_alu instid0(VALU_DEP_3) | instskip(NEXT) | instid1(VALU_DEP_3)
	v_cndmask_b32_e64 v33, v40, v34, s6
	v_cndmask_b32_e64 v37, v38, v37, s6
	s_delay_alu instid0(VALU_DEP_3) | instskip(NEXT) | instid1(VALU_DEP_3)
	v_bfe_u32 v34, v0, 29, 1
	v_alignbit_b32 v32, v0, v33, 30
	s_delay_alu instid0(VALU_DEP_3) | instskip(SKIP_1) | instid1(VALU_DEP_4)
	v_alignbit_b32 v33, v33, v37, 30
	v_alignbit_b32 v31, v37, v31, 30
	v_sub_nc_u32_e32 v36, 0, v34
	s_delay_alu instid0(VALU_DEP_1) | instskip(SKIP_3) | instid1(VALU_DEP_4)
	v_xor_b32_e32 v35, v32, v36
	v_cmp_ne_u32_e32 vcc_lo, v32, v36
	v_xor_b32_e32 v33, v33, v36
	v_xor_b32_e32 v31, v31, v36
	v_clz_i32_u32_e32 v39, v35
	s_delay_alu instid0(VALU_DEP_1) | instskip(NEXT) | instid1(VALU_DEP_1)
	v_add_nc_u32_e32 v38, 1, v39
	v_cndmask_b32_e32 v32, 33, v38, vcc_lo
	s_delay_alu instid0(VALU_DEP_1) | instskip(NEXT) | instid1(VALU_DEP_1)
	v_sub_nc_u32_e32 v37, 32, v32
	v_alignbit_b32 v35, v35, v33, v37
	v_alignbit_b32 v31, v33, v31, v37
	v_lshrrev_b32_e32 v33, 29, v0
	s_delay_alu instid0(VALU_DEP_2) | instskip(NEXT) | instid1(VALU_DEP_2)
	v_alignbit_b32 v36, v35, v31, 9
	v_lshlrev_b32_e32 v33, 31, v33
	v_alignbit_b32 v35, v32, v35, 9
	s_delay_alu instid0(VALU_DEP_3) | instskip(NEXT) | instid1(VALU_DEP_2)
	v_clz_i32_u32_e32 v37, v36
	v_or_b32_e32 v35, v35, v33
	v_or_b32_e32 v33, 0x33800000, v33
	s_delay_alu instid0(VALU_DEP_3) | instskip(NEXT) | instid1(VALU_DEP_3)
	v_min_u32_e32 v37, 32, v37
	v_xor_b32_e32 v35, 1.0, v35
	s_delay_alu instid0(VALU_DEP_2) | instskip(SKIP_1) | instid1(VALU_DEP_3)
	v_sub_nc_u32_e32 v38, 31, v37
	v_add_lshl_u32 v32, v37, v32, 23
	v_mul_f32_e32 v37, 0x3fc90fda, v35
	s_delay_alu instid0(VALU_DEP_3) | instskip(NEXT) | instid1(VALU_DEP_3)
	v_alignbit_b32 v31, v36, v31, v38
	v_sub_nc_u32_e32 v32, v33, v32
	s_delay_alu instid0(VALU_DEP_3) | instskip(NEXT) | instid1(VALU_DEP_3)
	v_fma_f32 v33, 0x3fc90fda, v35, -v37
	v_lshrrev_b32_e32 v31, 9, v31
	s_delay_alu instid0(VALU_DEP_2) | instskip(NEXT) | instid1(VALU_DEP_2)
	v_fmac_f32_e32 v33, 0x33a22168, v35
	v_or_b32_e32 v31, v32, v31
	s_delay_alu instid0(VALU_DEP_1) | instskip(SKIP_1) | instid1(VALU_DEP_1)
	v_fmac_f32_e32 v33, 0x3fc90fda, v31
	v_lshrrev_b32_e32 v31, 30, v0
	v_dual_add_f32 v0, v37, v33 :: v_dual_add_nc_u32 v31, v34, v31
	s_and_not1_saveexec_b32 s4, s29
	s_cbranch_execnz .LBB95_185
	s_branch .LBB95_186
.LBB95_184:                             ;   in Loop: Header=BB95_161 Depth=1
	s_and_not1_saveexec_b32 s4, s29
.LBB95_185:                             ;   in Loop: Header=BB95_161 Depth=1
	v_mul_f32_e64 v0, 0x3f22f983, |v12|
	s_delay_alu instid0(VALU_DEP_1) | instskip(NEXT) | instid1(VALU_DEP_1)
	v_rndne_f32_e32 v31, v0
	v_fma_f32 v0, 0xbfc90fda, v31, |v12|
	s_delay_alu instid0(VALU_DEP_1) | instskip(NEXT) | instid1(VALU_DEP_1)
	v_fmac_f32_e32 v0, 0xb3a22168, v31
	v_fmac_f32_e32 v0, 0xa7c234c4, v31
	v_cvt_i32_f32_e32 v31, v31
.LBB95_186:                             ;   in Loop: Header=BB95_161 Depth=1
	s_or_b32 exec_lo, exec_lo, s4
	s_delay_alu instid0(VALU_DEP_1) | instskip(SKIP_2) | instid1(VALU_DEP_3)
	v_dual_mul_f32 v32, v6, v6 :: v_dual_mul_f32 v37, v0, v0
	v_mul_f32_e64 v34, 0xbfb8aa3b, |v13|
	v_and_b32_e32 v33, 1, v30
	v_dual_fmaak_f32 v35, s25, v32, 0x3c0881c4 :: v_dual_lshlrev_b32 v30, 30, v30
	v_fmaak_f32 v36, s26, v32, 0xbab64f3b
	s_delay_alu instid0(VALU_DEP_4)
	v_rndne_f32_e32 v38, v34
	v_fma_f32 v39, 0xbfb8aa3b, |v13|, -v34
	v_cmp_eq_u32_e32 vcc_lo, 0, v33
	v_fmaak_f32 v35, v32, v35, 0xbe2aaa9d
	v_and_b32_e32 v30, 0x80000000, v30
	v_sub_f32_e32 v34, v34, v38
	v_fma_f32 v39, 0xb2a5705f, |v13|, v39
	s_delay_alu instid0(VALU_DEP_4) | instskip(SKIP_2) | instid1(VALU_DEP_4)
	v_dual_fmaak_f32 v40, s25, v37, 0x3c0881c4 :: v_dual_mul_f32 v35, v32, v35
	v_fmaak_f32 v41, s26, v37, 0xbab64f3b
	v_xor_b32_e32 v9, v9, v30
	v_add_f32_e32 v34, v34, v39
	v_fmaak_f32 v36, v32, v36, 0x3d2aabf7
	s_delay_alu instid0(VALU_DEP_4) | instskip(SKIP_1) | instid1(VALU_DEP_3)
	v_dual_fmac_f32 v6, v6, v35 :: v_dual_fmaak_f32 v35, v37, v41, 0x3d2aabf7
	v_dual_fmaak_f32 v40, v37, v40, 0xbe2aaa9d :: v_dual_and_b32 v33, 1, v31
	v_dual_fmaak_f32 v36, v32, v36, 0xbf000004 :: v_dual_lshlrev_b32 v31, 30, v31
	v_exp_f32_e32 v34, v34
	v_cvt_i32_f32_e32 v30, v38
	s_delay_alu instid0(VALU_DEP_2) | instskip(SKIP_1) | instid1(VALU_DEP_2)
	v_fma_f32 v32, v32, v36, 1.0
	v_mul_f32_e32 v36, v37, v40
	v_cndmask_b32_e32 v6, v32, v6, vcc_lo
	v_fmaak_f32 v32, v37, v35, 0xbf000004
	s_delay_alu instid0(VALU_DEP_3) | instskip(SKIP_1) | instid1(VALU_DEP_4)
	v_fmac_f32_e32 v0, v0, v36
	v_cmp_eq_u32_e32 vcc_lo, 0, v33
	v_xor3_b32 v6, v9, v6, v12
	s_delay_alu instid0(VALU_DEP_4) | instskip(SKIP_2) | instid1(VALU_DEP_4)
	v_fma_f32 v32, v37, v32, 1.0
	v_ldexp_f32 v9, v34, v30
	v_and_b32_e32 v12, 0x80000000, v31
	v_mul_f32_e32 v6, 4.0, v6
	s_delay_alu instid0(VALU_DEP_4) | instskip(SKIP_1) | instid1(VALU_DEP_2)
	v_cndmask_b32_e64 v0, -v0, v32, vcc_lo
	v_cmp_nlt_f32_e64 vcc_lo, 0x42ce8ed0, |v13|
	v_xor_b32_e32 v0, v12, v0
	v_cndmask_b32_e32 v9, 0, v9, vcc_lo
	v_cmp_ngt_f32_e64 vcc_lo, 0xc2b17218, |v13|
	s_delay_alu instid0(VALU_DEP_3) | instskip(SKIP_1) | instid1(VALU_DEP_4)
	v_mul_f32_e32 v0, v6, v0
	v_xor_b32_e32 v6, 0x80000000, v13
	v_cndmask_b32_e32 v9, 0x7f800000, v9, vcc_lo
	s_delay_alu instid0(VALU_DEP_2) | instskip(NEXT) | instid1(VALU_DEP_2)
	v_bfi_b32 v30, 0x7fffffff, 1.0, v6
	v_mul_f32_e32 v0, v9, v0
	s_delay_alu instid0(VALU_DEP_1)
	v_mul_f32_e32 v6, v9, v0
	s_or_b32 exec_lo, exec_lo, s28
                                        ; implicit-def: $vgpr12
.LBB95_187:                             ;   in Loop: Header=BB95_161 Depth=1
	s_and_not1_saveexec_b32 s4, s27
.LBB95_188:                             ;   in Loop: Header=BB95_161 Depth=1
	v_sub_f32_e32 v6, v12, v12
	s_delay_alu instid0(VALU_DEP_1)
	v_mov_b32_e32 v30, v6
.LBB95_189:                             ;   in Loop: Header=BB95_161 Depth=1
	s_or_b32 exec_lo, exec_lo, s4
                                        ; implicit-def: $vgpr13
.LBB95_190:                             ;   in Loop: Header=BB95_161 Depth=1
	s_and_not1_saveexec_b32 s13, s13
	s_cbranch_execz .LBB95_207
; %bb.191:                              ;   in Loop: Header=BB95_161 Depth=1
	v_xor_b32_e32 v30, 0x80000000, v13
	s_mov_b32 s4, exec_lo
                                        ; implicit-def: $vgpr6
	s_delay_alu instid0(VALU_DEP_1) | instskip(NEXT) | instid1(VALU_DEP_1)
	v_and_b32_e32 v0, 0x7fffff, v30
	v_cmpx_ne_u32_e32 0, v0
	s_xor_b32 s4, exec_lo, s4
; %bb.192:                              ;   in Loop: Header=BB95_161 Depth=1
	v_mul_f32_e64 v0, v12, -v13
	v_cmp_eq_f32_e32 vcc_lo, 0, v12
	s_delay_alu instid0(VALU_DEP_2)
	v_cndmask_b32_e32 v6, v0, v12, vcc_lo
                                        ; implicit-def: $vgpr12
; %bb.193:                              ;   in Loop: Header=BB95_161 Depth=1
	s_and_not1_saveexec_b32 s27, s4
	s_cbranch_execz .LBB95_206
; %bb.194:                              ;   in Loop: Header=BB95_161 Depth=1
	s_mov_b32 s28, exec_lo
	v_cmpx_neq_f32_e64 0x7f800000, |v12|
	s_cbranch_execz .LBB95_205
; %bb.195:                              ;   in Loop: Header=BB95_161 Depth=1
	v_and_b32_e32 v6, 0x7fffffff, v12
	v_cmp_ngt_f32_e64 s29, 0x48000000, |v12|
                                        ; implicit-def: $vgpr13
                                        ; implicit-def: $vgpr9
	s_delay_alu instid0(VALU_DEP_1) | instskip(NEXT) | instid1(SALU_CYCLE_1)
	s_and_saveexec_b32 s4, s29
	s_xor_b32 s30, exec_lo, s4
	s_cbranch_execz .LBB95_198
; %bb.196:                              ;   in Loop: Header=BB95_161 Depth=1
	v_and_or_b32 v9, v6, s7, 0x800000
	v_lshrrev_b32_e32 v13, 23, v6
	s_delay_alu instid0(VALU_DEP_2) | instskip(NEXT) | instid1(VALU_DEP_2)
	v_mad_u64_u32 v[31:32], null, 0xfe5163ab, v9, 0
	v_add_nc_u32_e32 v13, 0xffffff88, v13
	s_delay_alu instid0(VALU_DEP_1) | instskip(NEXT) | instid1(VALU_DEP_3)
	v_cmp_lt_u32_e32 vcc_lo, 63, v13
	v_mov_b32_e32 v0, v32
	v_cndmask_b32_e64 v37, 0, 0xffffffc0, vcc_lo
	s_delay_alu instid0(VALU_DEP_2) | instskip(NEXT) | instid1(VALU_DEP_2)
	v_mad_u64_u32 v[32:33], null, 0x3c439041, v9, v[0:1]
	v_add_nc_u32_e32 v13, v37, v13
	s_delay_alu instid0(VALU_DEP_1) | instskip(NEXT) | instid1(VALU_DEP_1)
	v_cmp_lt_u32_e64 s4, 31, v13
	v_cndmask_b32_e64 v38, 0, 0xffffffe0, s4
	s_delay_alu instid0(VALU_DEP_1) | instskip(NEXT) | instid1(VALU_DEP_1)
	v_dual_mov_b32 v0, v33 :: v_dual_add_nc_u32 v13, v38, v13
	v_mad_u64_u32 v[33:34], null, 0xdb629599, v9, v[0:1]
	s_delay_alu instid0(VALU_DEP_2) | instskip(NEXT) | instid1(VALU_DEP_2)
	v_cmp_lt_u32_e64 s5, 31, v13
	v_dual_mov_b32 v0, v34 :: v_dual_cndmask_b32 v31, v33, v31
	s_delay_alu instid0(VALU_DEP_1) | instskip(NEXT) | instid1(VALU_DEP_1)
	v_mad_u64_u32 v[34:35], null, 0xf534ddc0, v9, v[0:1]
	v_mov_b32_e32 v0, v35
	s_delay_alu instid0(VALU_DEP_1) | instskip(NEXT) | instid1(VALU_DEP_1)
	v_mad_u64_u32 v[35:36], null, 0xfc2757d1, v9, v[0:1]
	v_mov_b32_e32 v0, v36
	;; [unrolled: 3-line block ×3, first 2 shown]
	s_delay_alu instid0(VALU_DEP_1) | instskip(SKIP_1) | instid1(VALU_DEP_4)
	v_mad_u64_u32 v[37:38], null, 0xa2f9836e, v9, v[0:1]
	v_cndmask_b32_e64 v0, 0, 0xffffffe0, s5
	v_cndmask_b32_e32 v9, v36, v34, vcc_lo
	s_delay_alu instid0(VALU_DEP_2) | instskip(NEXT) | instid1(VALU_DEP_4)
	v_dual_cndmask_b32 v13, v34, v32 :: v_dual_add_nc_u32 v0, v0, v13
	v_dual_cndmask_b32 v37, v37, v35 :: v_dual_cndmask_b32 v36, v38, v36
	v_cndmask_b32_e32 v35, v35, v33, vcc_lo
	s_delay_alu instid0(VALU_DEP_3) | instskip(NEXT) | instid1(VALU_DEP_3)
	v_cmp_eq_u32_e64 s6, 0, v0
	v_cndmask_b32_e64 v32, v37, v9, s4
	s_delay_alu instid0(VALU_DEP_4) | instskip(NEXT) | instid1(VALU_DEP_4)
	v_cndmask_b32_e64 v34, v36, v37, s4
	v_cndmask_b32_e64 v9, v9, v35, s4
	v_sub_nc_u32_e32 v36, 32, v0
	v_cndmask_b32_e64 v35, v35, v13, s4
	v_cndmask_b32_e64 v13, v13, v31, s4
	;; [unrolled: 1-line block ×4, first 2 shown]
	s_delay_alu instid0(VALU_DEP_4) | instskip(NEXT) | instid1(VALU_DEP_4)
	v_cndmask_b32_e64 v9, v9, v35, s5
	v_cndmask_b32_e64 v13, v35, v13, s5
	s_delay_alu instid0(VALU_DEP_3) | instskip(NEXT) | instid1(VALU_DEP_3)
	v_alignbit_b32 v37, v34, v32, v36
	v_alignbit_b32 v38, v32, v9, v36
	s_delay_alu instid0(VALU_DEP_3) | instskip(NEXT) | instid1(VALU_DEP_3)
	v_alignbit_b32 v36, v9, v13, v36
	v_cndmask_b32_e64 v0, v37, v34, s6
	s_delay_alu instid0(VALU_DEP_3) | instskip(NEXT) | instid1(VALU_DEP_3)
	v_cndmask_b32_e64 v32, v38, v32, s6
	v_cndmask_b32_e64 v9, v36, v9, s6
	s_delay_alu instid0(VALU_DEP_3) | instskip(NEXT) | instid1(VALU_DEP_3)
	v_bfe_u32 v33, v0, 29, 1
	v_alignbit_b32 v31, v0, v32, 30
	s_delay_alu instid0(VALU_DEP_3) | instskip(SKIP_1) | instid1(VALU_DEP_4)
	v_alignbit_b32 v32, v32, v9, 30
	v_alignbit_b32 v9, v9, v13, 30
	v_sub_nc_u32_e32 v34, 0, v33
	s_delay_alu instid0(VALU_DEP_1) | instskip(SKIP_3) | instid1(VALU_DEP_4)
	v_xor_b32_e32 v35, v31, v34
	v_cmp_ne_u32_e32 vcc_lo, v31, v34
	v_xor_b32_e32 v13, v32, v34
	v_xor_b32_e32 v9, v9, v34
	v_clz_i32_u32_e32 v37, v35
	s_delay_alu instid0(VALU_DEP_1) | instskip(NEXT) | instid1(VALU_DEP_1)
	v_add_nc_u32_e32 v36, 1, v37
	v_cndmask_b32_e32 v31, 33, v36, vcc_lo
	s_delay_alu instid0(VALU_DEP_1) | instskip(NEXT) | instid1(VALU_DEP_1)
	v_sub_nc_u32_e32 v32, 32, v31
	v_alignbit_b32 v34, v35, v13, v32
	v_alignbit_b32 v9, v13, v9, v32
	v_lshrrev_b32_e32 v13, 29, v0
	v_lshrrev_b32_e32 v0, 30, v0
	s_delay_alu instid0(VALU_DEP_3) | instskip(NEXT) | instid1(VALU_DEP_3)
	v_alignbit_b32 v32, v34, v9, 9
	v_lshlrev_b32_e32 v13, 31, v13
	v_alignbit_b32 v34, v31, v34, 9
	s_delay_alu instid0(VALU_DEP_3) | instskip(NEXT) | instid1(VALU_DEP_2)
	v_clz_i32_u32_e32 v35, v32
	v_or_b32_e32 v34, v34, v13
	v_or_b32_e32 v13, 0x33800000, v13
	s_delay_alu instid0(VALU_DEP_3) | instskip(NEXT) | instid1(VALU_DEP_3)
	v_min_u32_e32 v35, 32, v35
	v_xor_b32_e32 v34, 1.0, v34
	s_delay_alu instid0(VALU_DEP_2) | instskip(SKIP_1) | instid1(VALU_DEP_3)
	v_sub_nc_u32_e32 v36, 31, v35
	v_add_lshl_u32 v31, v35, v31, 23
	v_mul_f32_e32 v35, 0x3fc90fda, v34
	s_delay_alu instid0(VALU_DEP_3) | instskip(NEXT) | instid1(VALU_DEP_3)
	v_alignbit_b32 v9, v32, v9, v36
	v_sub_nc_u32_e32 v13, v13, v31
	s_delay_alu instid0(VALU_DEP_3) | instskip(NEXT) | instid1(VALU_DEP_3)
	v_fma_f32 v31, 0x3fc90fda, v34, -v35
	v_lshrrev_b32_e32 v9, 9, v9
	s_delay_alu instid0(VALU_DEP_2) | instskip(NEXT) | instid1(VALU_DEP_2)
	v_fmac_f32_e32 v31, 0x33a22168, v34
	v_or_b32_e32 v9, v13, v9
	v_add_nc_u32_e32 v13, v33, v0
	s_delay_alu instid0(VALU_DEP_2) | instskip(NEXT) | instid1(VALU_DEP_1)
	v_fmac_f32_e32 v31, 0x3fc90fda, v9
	v_add_f32_e32 v9, v35, v31
	s_and_not1_saveexec_b32 s4, s30
	s_branch .LBB95_199
.LBB95_197:                             ;   in Loop: Header=BB95_161 Depth=1
	s_or_b32 exec_lo, exec_lo, s28
                                        ; implicit-def: $vgpr12
	s_and_not1_saveexec_b32 s4, s27
	s_cbranch_execnz .LBB95_188
	s_branch .LBB95_189
.LBB95_198:                             ;   in Loop: Header=BB95_161 Depth=1
	s_and_not1_saveexec_b32 s4, s30
.LBB95_199:                             ;   in Loop: Header=BB95_161 Depth=1
	v_mul_f32_e64 v0, 0x3f22f983, |v12|
	s_delay_alu instid0(VALU_DEP_1) | instskip(NEXT) | instid1(VALU_DEP_1)
	v_rndne_f32_e32 v0, v0
	v_fma_f32 v9, 0xbfc90fda, v0, |v12|
	v_cvt_i32_f32_e32 v13, v0
	s_delay_alu instid0(VALU_DEP_2) | instskip(NEXT) | instid1(VALU_DEP_1)
	v_fmac_f32_e32 v9, 0xb3a22168, v0
	v_fmac_f32_e32 v9, 0xa7c234c4, v0
; %bb.200:                              ;   in Loop: Header=BB95_161 Depth=1
	s_or_b32 exec_lo, exec_lo, s4
                                        ; implicit-def: $vgpr31
                                        ; implicit-def: $vgpr0
	s_and_saveexec_b32 s4, s29
	s_delay_alu instid0(SALU_CYCLE_1)
	s_xor_b32 s29, exec_lo, s4
	s_cbranch_execz .LBB95_202
; %bb.201:                              ;   in Loop: Header=BB95_161 Depth=1
	v_and_or_b32 v39, v6, s7, 0x800000
	v_lshrrev_b32_e32 v36, 23, v6
	s_delay_alu instid0(VALU_DEP_2) | instskip(NEXT) | instid1(VALU_DEP_2)
	v_mad_u64_u32 v[31:32], null, 0xfe5163ab, v39, 0
	v_add_nc_u32_e32 v37, 0xffffff88, v36
	s_delay_alu instid0(VALU_DEP_1) | instskip(NEXT) | instid1(VALU_DEP_3)
	v_cmp_lt_u32_e32 vcc_lo, 63, v37
	v_mov_b32_e32 v0, v32
	v_cndmask_b32_e64 v38, 0, 0xffffffc0, vcc_lo
	s_delay_alu instid0(VALU_DEP_2) | instskip(NEXT) | instid1(VALU_DEP_2)
	v_mad_u64_u32 v[32:33], null, 0x3c439041, v39, v[0:1]
	v_add_nc_u32_e32 v38, v38, v37
	s_delay_alu instid0(VALU_DEP_2) | instskip(NEXT) | instid1(VALU_DEP_2)
	v_mov_b32_e32 v0, v33
	v_cmp_lt_u32_e64 s4, 31, v38
	s_delay_alu instid0(VALU_DEP_2) | instskip(NEXT) | instid1(VALU_DEP_2)
	v_mad_u64_u32 v[33:34], null, 0xdb629599, v39, v[0:1]
	v_cndmask_b32_e64 v40, 0, 0xffffffe0, s4
	s_delay_alu instid0(VALU_DEP_1) | instskip(NEXT) | instid1(VALU_DEP_3)
	v_add_nc_u32_e32 v40, v40, v38
	v_dual_mov_b32 v0, v34 :: v_dual_cndmask_b32 v31, v33, v31
	s_delay_alu instid0(VALU_DEP_2) | instskip(NEXT) | instid1(VALU_DEP_2)
	v_cmp_lt_u32_e64 s5, 31, v40
	v_mad_u64_u32 v[34:35], null, 0xf534ddc0, v39, v[0:1]
	s_delay_alu instid0(VALU_DEP_1) | instskip(NEXT) | instid1(VALU_DEP_2)
	v_mov_b32_e32 v0, v35
	v_cndmask_b32_e32 v32, v34, v32, vcc_lo
	s_delay_alu instid0(VALU_DEP_2) | instskip(NEXT) | instid1(VALU_DEP_2)
	v_mad_u64_u32 v[35:36], null, 0xfc2757d1, v39, v[0:1]
	v_cndmask_b32_e64 v31, v32, v31, s4
	s_delay_alu instid0(VALU_DEP_2) | instskip(NEXT) | instid1(VALU_DEP_1)
	v_mov_b32_e32 v0, v36
	v_mad_u64_u32 v[36:37], null, 0x4e441529, v39, v[0:1]
	s_delay_alu instid0(VALU_DEP_1) | instskip(NEXT) | instid1(VALU_DEP_1)
	v_mov_b32_e32 v0, v37
	v_mad_u64_u32 v[37:38], null, 0xa2f9836e, v39, v[0:1]
	v_cndmask_b32_e64 v0, 0, 0xffffffe0, s5
	s_delay_alu instid0(VALU_DEP_4) | instskip(NEXT) | instid1(VALU_DEP_2)
	v_cndmask_b32_e32 v39, v36, v34, vcc_lo
	v_dual_cndmask_b32 v37, v37, v35 :: v_dual_add_nc_u32 v0, v0, v40
	s_delay_alu instid0(VALU_DEP_4) | instskip(NEXT) | instid1(VALU_DEP_2)
	v_dual_cndmask_b32 v36, v38, v36 :: v_dual_cndmask_b32 v35, v35, v33
	v_sub_nc_u32_e32 v38, 32, v0
	s_delay_alu instid0(VALU_DEP_3) | instskip(NEXT) | instid1(VALU_DEP_3)
	v_cndmask_b32_e64 v34, v37, v39, s4
	v_cndmask_b32_e64 v36, v36, v37, s4
	s_delay_alu instid0(VALU_DEP_4) | instskip(SKIP_2) | instid1(VALU_DEP_4)
	v_cndmask_b32_e64 v37, v39, v35, s4
	v_cndmask_b32_e64 v35, v35, v32, s4
	v_cmp_eq_u32_e64 s6, 0, v0
	v_cndmask_b32_e64 v36, v36, v34, s5
	s_delay_alu instid0(VALU_DEP_4) | instskip(NEXT) | instid1(VALU_DEP_4)
	v_cndmask_b32_e64 v34, v34, v37, s5
	v_cndmask_b32_e64 v37, v37, v35, s5
	;; [unrolled: 1-line block ×3, first 2 shown]
	s_delay_alu instid0(VALU_DEP_3) | instskip(NEXT) | instid1(VALU_DEP_3)
	v_alignbit_b32 v39, v36, v34, v38
	v_alignbit_b32 v40, v34, v37, v38
	s_delay_alu instid0(VALU_DEP_3) | instskip(NEXT) | instid1(VALU_DEP_3)
	v_alignbit_b32 v38, v37, v31, v38
	v_cndmask_b32_e64 v0, v39, v36, s6
	s_delay_alu instid0(VALU_DEP_3) | instskip(NEXT) | instid1(VALU_DEP_3)
	v_cndmask_b32_e64 v33, v40, v34, s6
	v_cndmask_b32_e64 v37, v38, v37, s6
	s_delay_alu instid0(VALU_DEP_3) | instskip(NEXT) | instid1(VALU_DEP_3)
	v_bfe_u32 v34, v0, 29, 1
	v_alignbit_b32 v32, v0, v33, 30
	s_delay_alu instid0(VALU_DEP_3) | instskip(SKIP_1) | instid1(VALU_DEP_4)
	v_alignbit_b32 v33, v33, v37, 30
	v_alignbit_b32 v31, v37, v31, 30
	v_sub_nc_u32_e32 v36, 0, v34
	s_delay_alu instid0(VALU_DEP_1) | instskip(SKIP_3) | instid1(VALU_DEP_4)
	v_xor_b32_e32 v35, v32, v36
	v_cmp_ne_u32_e32 vcc_lo, v32, v36
	v_xor_b32_e32 v33, v33, v36
	v_xor_b32_e32 v31, v31, v36
	v_clz_i32_u32_e32 v39, v35
	s_delay_alu instid0(VALU_DEP_1) | instskip(NEXT) | instid1(VALU_DEP_1)
	v_add_nc_u32_e32 v38, 1, v39
	v_cndmask_b32_e32 v32, 33, v38, vcc_lo
	s_delay_alu instid0(VALU_DEP_1) | instskip(NEXT) | instid1(VALU_DEP_1)
	v_sub_nc_u32_e32 v37, 32, v32
	v_alignbit_b32 v35, v35, v33, v37
	v_alignbit_b32 v31, v33, v31, v37
	v_lshrrev_b32_e32 v33, 29, v0
	s_delay_alu instid0(VALU_DEP_2) | instskip(NEXT) | instid1(VALU_DEP_2)
	v_alignbit_b32 v36, v35, v31, 9
	v_lshlrev_b32_e32 v33, 31, v33
	v_alignbit_b32 v35, v32, v35, 9
	s_delay_alu instid0(VALU_DEP_3) | instskip(NEXT) | instid1(VALU_DEP_2)
	v_clz_i32_u32_e32 v37, v36
	v_or_b32_e32 v35, v35, v33
	v_or_b32_e32 v33, 0x33800000, v33
	s_delay_alu instid0(VALU_DEP_3) | instskip(NEXT) | instid1(VALU_DEP_3)
	v_min_u32_e32 v37, 32, v37
	v_xor_b32_e32 v35, 1.0, v35
	s_delay_alu instid0(VALU_DEP_2) | instskip(SKIP_1) | instid1(VALU_DEP_3)
	v_sub_nc_u32_e32 v38, 31, v37
	v_add_lshl_u32 v32, v37, v32, 23
	v_mul_f32_e32 v37, 0x3fc90fda, v35
	s_delay_alu instid0(VALU_DEP_3) | instskip(NEXT) | instid1(VALU_DEP_3)
	v_alignbit_b32 v31, v36, v31, v38
	v_sub_nc_u32_e32 v32, v33, v32
	s_delay_alu instid0(VALU_DEP_3) | instskip(NEXT) | instid1(VALU_DEP_3)
	v_fma_f32 v33, 0x3fc90fda, v35, -v37
	v_lshrrev_b32_e32 v31, 9, v31
	s_delay_alu instid0(VALU_DEP_2) | instskip(NEXT) | instid1(VALU_DEP_2)
	v_fmac_f32_e32 v33, 0x33a22168, v35
	v_or_b32_e32 v31, v32, v31
	s_delay_alu instid0(VALU_DEP_1) | instskip(SKIP_1) | instid1(VALU_DEP_1)
	v_fmac_f32_e32 v33, 0x3fc90fda, v31
	v_lshrrev_b32_e32 v31, 30, v0
	v_dual_add_f32 v0, v37, v33 :: v_dual_add_nc_u32 v31, v34, v31
	s_and_not1_saveexec_b32 s4, s29
	s_cbranch_execnz .LBB95_203
	s_branch .LBB95_204
.LBB95_202:                             ;   in Loop: Header=BB95_161 Depth=1
	s_and_not1_saveexec_b32 s4, s29
.LBB95_203:                             ;   in Loop: Header=BB95_161 Depth=1
	v_mul_f32_e64 v0, 0x3f22f983, |v12|
	s_delay_alu instid0(VALU_DEP_1) | instskip(NEXT) | instid1(VALU_DEP_1)
	v_rndne_f32_e32 v31, v0
	v_fma_f32 v0, 0xbfc90fda, v31, |v12|
	s_delay_alu instid0(VALU_DEP_1) | instskip(NEXT) | instid1(VALU_DEP_1)
	v_fmac_f32_e32 v0, 0xb3a22168, v31
	v_fmac_f32_e32 v0, 0xa7c234c4, v31
	v_cvt_i32_f32_e32 v31, v31
.LBB95_204:                             ;   in Loop: Header=BB95_161 Depth=1
	s_or_b32 exec_lo, exec_lo, s4
	s_delay_alu instid0(VALU_DEP_1) | instskip(NEXT) | instid1(VALU_DEP_2)
	v_dual_mul_f32 v32, v9, v9 :: v_dual_and_b32 v37, 1, v31
	v_dual_mul_f32 v34, v0, v0 :: v_dual_and_b32 v33, 1, v13
	s_delay_alu instid0(VALU_DEP_2) | instskip(SKIP_1) | instid1(VALU_DEP_3)
	v_dual_fmaak_f32 v36, s26, v32, 0xbab64f3b :: v_dual_lshlrev_b32 v13, 30, v13
	v_fmaak_f32 v35, s25, v32, 0x3c0881c4
	v_cmp_eq_u32_e32 vcc_lo, 0, v33
	s_delay_alu instid0(VALU_DEP_4) | instskip(NEXT) | instid1(VALU_DEP_4)
	v_fmaak_f32 v38, s25, v34, 0x3c0881c4
	v_and_b32_e32 v13, 0x80000000, v13
	v_dual_fmaak_f32 v36, v32, v36, 0x3d2aabf7 :: v_dual_lshlrev_b32 v31, 30, v31
	s_delay_alu instid0(VALU_DEP_3) | instskip(NEXT) | instid1(VALU_DEP_3)
	v_dual_fmaak_f32 v35, v32, v35, 0xbe2aaa9d :: v_dual_fmaak_f32 v38, v34, v38, 0xbe2aaa9d
	v_xor_b32_e32 v6, v6, v13
	s_delay_alu instid0(VALU_DEP_3) | instskip(NEXT) | instid1(VALU_DEP_4)
	v_fmaak_f32 v36, v32, v36, 0xbf000004
	v_and_b32_e32 v31, 0x80000000, v31
	s_delay_alu instid0(VALU_DEP_4) | instskip(NEXT) | instid1(VALU_DEP_3)
	v_dual_mul_f32 v35, v32, v35 :: v_dual_mul_f32 v38, v34, v38
	v_fma_f32 v32, v32, v36, 1.0
	s_delay_alu instid0(VALU_DEP_2) | instskip(NEXT) | instid1(VALU_DEP_1)
	v_dual_fmac_f32 v9, v9, v35 :: v_dual_fmac_f32 v0, v0, v38
	v_cndmask_b32_e32 v9, v32, v9, vcc_lo
	v_cmp_eq_u32_e32 vcc_lo, 0, v37
	s_delay_alu instid0(VALU_DEP_2) | instskip(SKIP_1) | instid1(VALU_DEP_1)
	v_xor3_b32 v6, v6, v9, v12
	v_fmaak_f32 v39, s26, v34, 0xbab64f3b
	v_fmaak_f32 v39, v34, v39, 0x3d2aabf7
	s_delay_alu instid0(VALU_DEP_1) | instskip(NEXT) | instid1(VALU_DEP_1)
	v_fmaak_f32 v39, v34, v39, 0xbf000004
	v_fma_f32 v13, v34, v39, 1.0
	s_delay_alu instid0(VALU_DEP_1) | instskip(SKIP_1) | instid1(VALU_DEP_2)
	v_cndmask_b32_e64 v0, -v0, v13, vcc_lo
	v_cmp_class_f32_e64 vcc_lo, v12, 0x1f8
	v_xor_b32_e32 v0, v31, v0
	s_delay_alu instid0(VALU_DEP_1) | instskip(NEXT) | instid1(VALU_DEP_1)
	v_mul_f32_e32 v0, v6, v0
	v_cndmask_b32_e32 v12, 0x7fc00000, v0, vcc_lo
.LBB95_205:                             ;   in Loop: Header=BB95_161 Depth=1
	s_or_b32 exec_lo, exec_lo, s28
	v_add_nc_u32_e32 v30, -2.0, v30
	s_delay_alu instid0(VALU_DEP_2)
	v_bfi_b32 v6, 0x7fffffff, 0, v12
.LBB95_206:                             ;   in Loop: Header=BB95_161 Depth=1
	s_or_b32 exec_lo, exec_lo, s27
.LBB95_207:                             ;   in Loop: Header=BB95_161 Depth=1
	s_delay_alu instid0(SALU_CYCLE_1) | instskip(SKIP_2) | instid1(VALU_DEP_1)
	s_or_b32 exec_lo, exec_lo, s13
	v_and_b32_e32 v0, 0x7fffffff, v11
                                        ; implicit-def: $vgpr9
                                        ; implicit-def: $vgpr12
	s_mov_b32 s4, exec_lo
	v_cmpx_gt_u32_e32 0x7f800000, v0
	s_xor_b32 s13, exec_lo, s4
	s_cbranch_execz .LBB95_229
; %bb.208:                              ;   in Loop: Header=BB95_161 Depth=1
	v_cmp_class_f32_e64 s4, v10, 0x1f8
                                        ; implicit-def: $vgpr9
                                        ; implicit-def: $vgpr12
	s_delay_alu instid0(VALU_DEP_1) | instskip(NEXT) | instid1(SALU_CYCLE_1)
	s_and_saveexec_b32 s5, s4
	s_xor_b32 s27, exec_lo, s5
	s_cbranch_execz .LBB95_226
; %bb.209:                              ;   in Loop: Header=BB95_161 Depth=1
	v_and_b32_e32 v13, 0x7fffffff, v10
                                        ; implicit-def: $vgpr9
                                        ; implicit-def: $vgpr12
	s_mov_b32 s4, exec_lo
	v_cmpx_gt_u32_e32 0x41300000, v0
	s_xor_b32 s28, exec_lo, s4
	s_cbranch_execz .LBB95_215
; %bb.210:                              ;   in Loop: Header=BB95_161 Depth=1
                                        ; implicit-def: $vgpr0
                                        ; implicit-def: $vgpr9
	s_mov_b32 s5, exec_lo
	v_cmpx_ngt_f32_e64 0x48000000, |v10|
	s_xor_b32 s29, exec_lo, s5
	s_cbranch_execz .LBB95_212
; %bb.211:                              ;   in Loop: Header=BB95_161 Depth=1
	v_and_or_b32 v9, v13, s7, 0x800000
	v_lshrrev_b32_e32 v12, 23, v13
	s_delay_alu instid0(VALU_DEP_2) | instskip(NEXT) | instid1(VALU_DEP_2)
	v_mad_u64_u32 v[31:32], null, 0xfe5163ab, v9, 0
	v_add_nc_u32_e32 v12, 0xffffff88, v12
	s_delay_alu instid0(VALU_DEP_1) | instskip(NEXT) | instid1(VALU_DEP_3)
	v_cmp_lt_u32_e32 vcc_lo, 63, v12
	v_mov_b32_e32 v0, v32
	v_cndmask_b32_e64 v37, 0, 0xffffffc0, vcc_lo
	s_delay_alu instid0(VALU_DEP_2) | instskip(NEXT) | instid1(VALU_DEP_2)
	v_mad_u64_u32 v[32:33], null, 0x3c439041, v9, v[0:1]
	v_add_nc_u32_e32 v12, v37, v12
	s_delay_alu instid0(VALU_DEP_2) | instskip(NEXT) | instid1(VALU_DEP_2)
	v_mov_b32_e32 v0, v33
	v_cmp_lt_u32_e64 s4, 31, v12
	s_delay_alu instid0(VALU_DEP_2) | instskip(NEXT) | instid1(VALU_DEP_2)
	v_mad_u64_u32 v[33:34], null, 0xdb629599, v9, v[0:1]
	v_cndmask_b32_e64 v38, 0, 0xffffffe0, s4
	s_delay_alu instid0(VALU_DEP_1) | instskip(NEXT) | instid1(VALU_DEP_3)
	v_add_nc_u32_e32 v12, v38, v12
	v_dual_mov_b32 v0, v34 :: v_dual_cndmask_b32 v31, v33, v31
	s_delay_alu instid0(VALU_DEP_2) | instskip(NEXT) | instid1(VALU_DEP_2)
	v_cmp_lt_u32_e64 s5, 31, v12
	v_mad_u64_u32 v[34:35], null, 0xf534ddc0, v9, v[0:1]
	s_delay_alu instid0(VALU_DEP_1) | instskip(NEXT) | instid1(VALU_DEP_1)
	v_mov_b32_e32 v0, v35
	v_mad_u64_u32 v[35:36], null, 0xfc2757d1, v9, v[0:1]
	s_delay_alu instid0(VALU_DEP_1) | instskip(NEXT) | instid1(VALU_DEP_1)
	v_mov_b32_e32 v0, v36
	;; [unrolled: 3-line block ×3, first 2 shown]
	v_mad_u64_u32 v[37:38], null, 0xa2f9836e, v9, v[0:1]
	v_cndmask_b32_e64 v0, 0, 0xffffffe0, s5
	s_delay_alu instid0(VALU_DEP_4) | instskip(NEXT) | instid1(VALU_DEP_2)
	v_cndmask_b32_e32 v9, v36, v34, vcc_lo
	v_dual_cndmask_b32 v37, v37, v35 :: v_dual_add_nc_u32 v0, v0, v12
	s_delay_alu instid0(VALU_DEP_4) | instskip(SKIP_1) | instid1(VALU_DEP_3)
	v_dual_cndmask_b32 v36, v38, v36 :: v_dual_cndmask_b32 v35, v35, v33
	v_cndmask_b32_e32 v12, v34, v32, vcc_lo
	v_cmp_eq_u32_e64 s6, 0, v0
	s_delay_alu instid0(VALU_DEP_4) | instskip(NEXT) | instid1(VALU_DEP_4)
	v_cndmask_b32_e64 v32, v37, v9, s4
	v_cndmask_b32_e64 v34, v36, v37, s4
	v_cndmask_b32_e64 v9, v9, v35, s4
	v_sub_nc_u32_e32 v36, 32, v0
	v_cndmask_b32_e64 v35, v35, v12, s4
	v_cndmask_b32_e64 v12, v12, v31, s4
	;; [unrolled: 1-line block ×4, first 2 shown]
	s_delay_alu instid0(VALU_DEP_4) | instskip(NEXT) | instid1(VALU_DEP_4)
	v_cndmask_b32_e64 v9, v9, v35, s5
	v_cndmask_b32_e64 v12, v35, v12, s5
	s_delay_alu instid0(VALU_DEP_3) | instskip(NEXT) | instid1(VALU_DEP_3)
	v_alignbit_b32 v37, v34, v32, v36
	v_alignbit_b32 v38, v32, v9, v36
	s_delay_alu instid0(VALU_DEP_3) | instskip(NEXT) | instid1(VALU_DEP_3)
	v_alignbit_b32 v36, v9, v12, v36
	v_cndmask_b32_e64 v0, v37, v34, s6
	s_delay_alu instid0(VALU_DEP_3) | instskip(NEXT) | instid1(VALU_DEP_3)
	v_cndmask_b32_e64 v32, v38, v32, s6
	v_cndmask_b32_e64 v9, v36, v9, s6
	s_delay_alu instid0(VALU_DEP_3) | instskip(NEXT) | instid1(VALU_DEP_3)
	v_bfe_u32 v33, v0, 29, 1
	v_alignbit_b32 v31, v0, v32, 30
	s_delay_alu instid0(VALU_DEP_3) | instskip(SKIP_1) | instid1(VALU_DEP_4)
	v_alignbit_b32 v32, v32, v9, 30
	v_alignbit_b32 v9, v9, v12, 30
	v_sub_nc_u32_e32 v34, 0, v33
	s_delay_alu instid0(VALU_DEP_1) | instskip(SKIP_3) | instid1(VALU_DEP_4)
	v_xor_b32_e32 v35, v31, v34
	v_cmp_ne_u32_e32 vcc_lo, v31, v34
	v_xor_b32_e32 v12, v32, v34
	v_xor_b32_e32 v9, v9, v34
	v_clz_i32_u32_e32 v37, v35
	s_delay_alu instid0(VALU_DEP_1) | instskip(NEXT) | instid1(VALU_DEP_1)
	v_add_nc_u32_e32 v36, 1, v37
	v_cndmask_b32_e32 v31, 33, v36, vcc_lo
	s_delay_alu instid0(VALU_DEP_1) | instskip(NEXT) | instid1(VALU_DEP_1)
	v_sub_nc_u32_e32 v32, 32, v31
	v_alignbit_b32 v34, v35, v12, v32
	v_alignbit_b32 v9, v12, v9, v32
	v_lshrrev_b32_e32 v12, 29, v0
	v_lshrrev_b32_e32 v0, 30, v0
	s_delay_alu instid0(VALU_DEP_3) | instskip(NEXT) | instid1(VALU_DEP_3)
	v_alignbit_b32 v32, v34, v9, 9
	v_lshlrev_b32_e32 v12, 31, v12
	v_alignbit_b32 v34, v31, v34, 9
	s_delay_alu instid0(VALU_DEP_4) | instskip(NEXT) | instid1(VALU_DEP_4)
	v_add_nc_u32_e32 v0, v33, v0
	v_clz_i32_u32_e32 v35, v32
	s_delay_alu instid0(VALU_DEP_3) | instskip(SKIP_1) | instid1(VALU_DEP_3)
	v_or_b32_e32 v34, v34, v12
	v_or_b32_e32 v12, 0x33800000, v12
	v_min_u32_e32 v35, 32, v35
	s_delay_alu instid0(VALU_DEP_3) | instskip(NEXT) | instid1(VALU_DEP_2)
	v_xor_b32_e32 v34, 1.0, v34
	v_sub_nc_u32_e32 v36, 31, v35
	v_add_lshl_u32 v31, v35, v31, 23
	s_delay_alu instid0(VALU_DEP_3) | instskip(NEXT) | instid1(VALU_DEP_3)
	v_mul_f32_e32 v35, 0x3fc90fda, v34
	v_alignbit_b32 v9, v32, v9, v36
	s_delay_alu instid0(VALU_DEP_3) | instskip(NEXT) | instid1(VALU_DEP_3)
	v_sub_nc_u32_e32 v12, v12, v31
	v_fma_f32 v31, 0x3fc90fda, v34, -v35
	s_delay_alu instid0(VALU_DEP_3) | instskip(NEXT) | instid1(VALU_DEP_2)
	v_lshrrev_b32_e32 v9, 9, v9
	v_fmac_f32_e32 v31, 0x33a22168, v34
	s_delay_alu instid0(VALU_DEP_2) | instskip(NEXT) | instid1(VALU_DEP_1)
	v_or_b32_e32 v9, v12, v9
	v_fmac_f32_e32 v31, 0x3fc90fda, v9
	s_delay_alu instid0(VALU_DEP_1)
	v_add_f32_e32 v9, v35, v31
.LBB95_212:                             ;   in Loop: Header=BB95_161 Depth=1
	s_and_not1_saveexec_b32 s4, s29
; %bb.213:                              ;   in Loop: Header=BB95_161 Depth=1
	v_mul_f32_e64 v0, 0x3f22f983, |v10|
	s_delay_alu instid0(VALU_DEP_1) | instskip(NEXT) | instid1(VALU_DEP_1)
	v_rndne_f32_e32 v0, v0
	v_fma_f32 v9, 0xbfc90fda, v0, |v10|
	s_delay_alu instid0(VALU_DEP_1) | instskip(NEXT) | instid1(VALU_DEP_1)
	v_fmac_f32_e32 v9, 0xb3a22168, v0
	v_fmac_f32_e32 v9, 0xa7c234c4, v0
	v_cvt_i32_f32_e32 v0, v0
; %bb.214:                              ;   in Loop: Header=BB95_161 Depth=1
	s_or_b32 exec_lo, exec_lo, s4
	v_add_f32_e64 v12, 0xbf317218, |v11|
	v_cmp_nlt_f32_e64 vcc_lo, 0x42b2d4fc, |v11|
	v_cmp_gt_f32_e64 s4, 0x39800000, |v11|
	v_and_b32_e32 v0, 1, v0
	s_delay_alu instid0(VALU_DEP_4) | instskip(NEXT) | instid1(VALU_DEP_1)
	v_sub_f32_e64 v31, v12, |v11|
	v_dual_sub_f32 v32, v31, v12 :: v_dual_add_f32 v31, 0x3f317218, v31
	s_delay_alu instid0(VALU_DEP_1) | instskip(NEXT) | instid1(VALU_DEP_1)
	v_add_f32_e64 v32, |v11|, v32
	v_sub_f32_e32 v31, v32, v31
	s_delay_alu instid0(VALU_DEP_1) | instskip(NEXT) | instid1(VALU_DEP_1)
	v_add_f32_e32 v31, 0x3102e308, v31
	v_add_f32_e32 v32, v12, v31
	s_delay_alu instid0(VALU_DEP_1) | instskip(SKIP_1) | instid1(VALU_DEP_2)
	v_mul_f32_e32 v33, 0x3fb8aa3b, v32
	v_sub_f32_e32 v12, v12, v32
	v_rndne_f32_e32 v33, v33
	s_delay_alu instid0(VALU_DEP_1) | instskip(SKIP_1) | instid1(VALU_DEP_1)
	v_dual_add_f32 v12, v31, v12 :: v_dual_mul_f32 v31, 0x35bfbc00, v33
	v_fmac_f32_e32 v32, 0xbf317200, v33
	v_add_f32_e32 v34, v12, v32
	s_delay_alu instid0(VALU_DEP_1) | instskip(NEXT) | instid1(VALU_DEP_1)
	v_dual_sub_f32 v35, v34, v31 :: v_dual_sub_f32 v32, v32, v34
	v_sub_f32_e32 v34, v34, v35
	s_delay_alu instid0(VALU_DEP_1) | instskip(NEXT) | instid1(VALU_DEP_1)
	v_dual_add_f32 v12, v12, v32 :: v_dual_sub_f32 v31, v34, v31
	v_dual_add_f32 v12, v12, v31 :: v_dual_mul_f32 v31, 0x2ea39ef3, v33
	s_delay_alu instid0(VALU_DEP_1) | instskip(NEXT) | instid1(VALU_DEP_1)
	v_add_f32_e32 v32, v35, v12
	v_dual_sub_f32 v34, v32, v31 :: v_dual_sub_f32 v35, v35, v32
	s_delay_alu instid0(VALU_DEP_1) | instskip(NEXT) | instid1(VALU_DEP_2)
	v_sub_f32_e32 v32, v32, v34
	v_add_f32_e32 v12, v12, v35
	s_delay_alu instid0(VALU_DEP_2) | instskip(NEXT) | instid1(VALU_DEP_1)
	v_sub_f32_e32 v31, v32, v31
	v_add_f32_e32 v12, v12, v31
	s_delay_alu instid0(VALU_DEP_1) | instskip(NEXT) | instid1(VALU_DEP_1)
	v_add_f32_e32 v31, v34, v12
	v_sub_f32_e32 v32, v34, v31
	s_delay_alu instid0(VALU_DEP_1) | instskip(SKIP_1) | instid1(VALU_DEP_2)
	v_add_f32_e32 v12, v12, v32
	v_fmaak_f32 v32, s24, v31, 0x3c091de6
	v_add_f32_e32 v36, v12, v12
	s_delay_alu instid0(VALU_DEP_2) | instskip(NEXT) | instid1(VALU_DEP_1)
	v_fmaak_f32 v32, v31, v32, 0x3d2aadcc
	v_fmaak_f32 v32, v31, v32, 0x3e2aaa47
	s_delay_alu instid0(VALU_DEP_1) | instskip(SKIP_1) | instid1(VALU_DEP_1)
	v_fmaak_f32 v32, v31, v32, 0x3efffffc
	v_mul_f32_e32 v34, v31, v31
	v_fma_f32 v35, v31, v31, -v34
	s_delay_alu instid0(VALU_DEP_1) | instskip(NEXT) | instid1(VALU_DEP_1)
	v_fmac_f32_e32 v35, v31, v36
	v_add_f32_e32 v36, v34, v35
	s_delay_alu instid0(VALU_DEP_1) | instskip(SKIP_1) | instid1(VALU_DEP_1)
	v_mul_f32_e32 v37, v32, v36
	v_sub_f32_e32 v34, v36, v34
	v_sub_f32_e32 v34, v35, v34
	s_delay_alu instid0(VALU_DEP_3) | instskip(NEXT) | instid1(VALU_DEP_1)
	v_fma_f32 v35, v36, v32, -v37
	v_fmac_f32_e32 v35, v34, v32
	s_delay_alu instid0(VALU_DEP_1) | instskip(NEXT) | instid1(VALU_DEP_1)
	v_add_f32_e32 v32, v37, v35
	v_add_f32_e32 v34, v31, v32
	s_delay_alu instid0(VALU_DEP_1) | instskip(NEXT) | instid1(VALU_DEP_1)
	v_dual_sub_f32 v36, v32, v37 :: v_dual_sub_f32 v31, v34, v31
	v_sub_f32_e32 v35, v35, v36
	s_delay_alu instid0(VALU_DEP_2) | instskip(NEXT) | instid1(VALU_DEP_2)
	v_sub_f32_e32 v31, v32, v31
	v_add_f32_e32 v12, v12, v35
	s_delay_alu instid0(VALU_DEP_1) | instskip(NEXT) | instid1(VALU_DEP_1)
	v_add_f32_e32 v12, v12, v31
	v_add_f32_e32 v31, v34, v12
	s_delay_alu instid0(VALU_DEP_1) | instskip(NEXT) | instid1(VALU_DEP_1)
	v_add_f32_e32 v32, 1.0, v31
	v_dual_sub_f32 v34, v31, v34 :: v_dual_add_f32 v35, -1.0, v32
	s_delay_alu instid0(VALU_DEP_1) | instskip(NEXT) | instid1(VALU_DEP_1)
	v_dual_sub_f32 v12, v12, v34 :: v_dual_sub_f32 v31, v31, v35
	v_add_f32_e32 v12, v12, v31
	v_cvt_i32_f32_e32 v31, v33
	s_delay_alu instid0(VALU_DEP_2) | instskip(NEXT) | instid1(VALU_DEP_1)
	v_add_f32_e32 v33, v32, v12
	v_ldexp_f32 v34, v33, v31
	v_sub_f32_e32 v32, v33, v32
	s_delay_alu instid0(VALU_DEP_2) | instskip(NEXT) | instid1(VALU_DEP_1)
	v_rcp_f32_e32 v35, v34
	v_sub_f32_e32 v12, v12, v32
	s_delay_alu instid0(VALU_DEP_1) | instskip(SKIP_2) | instid1(VALU_DEP_1)
	v_ldexp_f32 v12, v12, v31
	s_waitcnt_depctr 0xfff
	v_mul_f32_e32 v32, v34, v35
	v_fma_f32 v31, v35, v34, -v32
	s_delay_alu instid0(VALU_DEP_1) | instskip(NEXT) | instid1(VALU_DEP_1)
	v_fmac_f32_e32 v31, v35, v12
	v_add_f32_e32 v33, v32, v31
	s_delay_alu instid0(VALU_DEP_1) | instskip(NEXT) | instid1(VALU_DEP_1)
	v_sub_f32_e32 v32, v33, v32
	v_dual_sub_f32 v36, 1.0, v33 :: v_dual_sub_f32 v31, v32, v31
	s_delay_alu instid0(VALU_DEP_1) | instskip(NEXT) | instid1(VALU_DEP_1)
	v_sub_f32_e32 v37, 1.0, v36
	v_sub_f32_e32 v32, v37, v33
	s_delay_alu instid0(VALU_DEP_1) | instskip(NEXT) | instid1(VALU_DEP_1)
	v_add_f32_e32 v31, v31, v32
	v_add_f32_e32 v32, v36, v31
	s_delay_alu instid0(VALU_DEP_1) | instskip(NEXT) | instid1(VALU_DEP_1)
	v_mul_f32_e32 v33, v35, v32
	v_dual_sub_f32 v36, v36, v32 :: v_dual_mul_f32 v37, v34, v33
	s_delay_alu instid0(VALU_DEP_1) | instskip(NEXT) | instid1(VALU_DEP_2)
	v_add_f32_e32 v31, v31, v36
	v_fma_f32 v38, v33, v34, -v37
	s_delay_alu instid0(VALU_DEP_1) | instskip(NEXT) | instid1(VALU_DEP_1)
	v_fmac_f32_e32 v38, v33, v12
	v_add_f32_e32 v39, v37, v38
	s_delay_alu instid0(VALU_DEP_1) | instskip(SKIP_1) | instid1(VALU_DEP_2)
	v_sub_f32_e32 v40, v32, v39
	v_sub_f32_e32 v36, v39, v37
	v_sub_f32_e32 v32, v32, v40
	s_delay_alu instid0(VALU_DEP_2) | instskip(NEXT) | instid1(VALU_DEP_2)
	v_sub_f32_e32 v36, v36, v38
	v_sub_f32_e32 v32, v32, v39
	s_delay_alu instid0(VALU_DEP_1) | instskip(NEXT) | instid1(VALU_DEP_1)
	v_add_f32_e32 v31, v31, v32
	v_dual_add_f32 v32, v35, v33 :: v_dual_add_f32 v31, v36, v31
	s_delay_alu instid0(VALU_DEP_1) | instskip(NEXT) | instid1(VALU_DEP_2)
	v_sub_f32_e32 v36, v32, v35
	v_add_f32_e32 v31, v40, v31
	s_delay_alu instid0(VALU_DEP_2) | instskip(NEXT) | instid1(VALU_DEP_2)
	v_sub_f32_e32 v33, v33, v36
	v_mul_f32_e32 v31, v35, v31
	s_delay_alu instid0(VALU_DEP_1) | instskip(NEXT) | instid1(VALU_DEP_1)
	v_add_f32_e32 v31, v33, v31
	v_add_f32_e32 v33, v32, v31
	s_delay_alu instid0(VALU_DEP_1) | instskip(SKIP_1) | instid1(VALU_DEP_1)
	v_ldexp_f32 v35, v33, -2
	v_sub_f32_e32 v32, v33, v32
	v_dual_sub_f32 v36, v34, v35 :: v_dual_sub_f32 v31, v31, v32
	s_delay_alu instid0(VALU_DEP_1) | instskip(NEXT) | instid1(VALU_DEP_2)
	v_sub_f32_e32 v33, v34, v36
	v_ldexp_f32 v31, v31, -2
	s_delay_alu instid0(VALU_DEP_2) | instskip(SKIP_1) | instid1(VALU_DEP_2)
	v_sub_f32_e32 v32, v33, v35
	v_xor_b32_e32 v33, 0x80000000, v11
	v_add_f32_e32 v12, v12, v32
	s_delay_alu instid0(VALU_DEP_1) | instskip(NEXT) | instid1(VALU_DEP_1)
	v_dual_sub_f32 v12, v12, v31 :: v_dual_mul_f32 v31, v9, v9
	v_add_f32_e32 v12, v36, v12
	s_delay_alu instid0(VALU_DEP_2) | instskip(NEXT) | instid1(VALU_DEP_2)
	v_fmaak_f32 v32, s23, v31, 0xbf039337
	v_cndmask_b32_e32 v12, 0x7f800000, v12, vcc_lo
	s_delay_alu instid0(VALU_DEP_2) | instskip(NEXT) | instid1(VALU_DEP_2)
	v_fmaak_f32 v32, v31, v32, 0x3f93f425
	v_cndmask_b32_e64 v11, v12, |v11|, s4
	s_delay_alu instid0(VALU_DEP_2) | instskip(SKIP_1) | instid1(VALU_DEP_2)
	v_rcp_f32_e32 v12, v32
	v_fmaak_f32 v32, s22, v31, 0x3ec54587
	v_bfi_b32 v11, 0x7fffffff, v11, v33
	s_delay_alu instid0(VALU_DEP_1) | instskip(SKIP_4) | instid1(VALU_DEP_3)
	v_fma_f32 v33, v11, v11, 1.0
	s_waitcnt_depctr 0xfff
	v_mul_f32_e32 v12, v32, v12
	v_mul_f32_e32 v32, 0x4f800000, v33
	v_cmp_gt_f32_e32 vcc_lo, 0xf800000, v33
	v_mul_f32_e32 v12, v31, v12
	s_delay_alu instid0(VALU_DEP_3) | instskip(NEXT) | instid1(VALU_DEP_2)
	v_cndmask_b32_e32 v31, v33, v32, vcc_lo
	v_fma_f32 v32, v12, v9, v9
	s_delay_alu instid0(VALU_DEP_2) | instskip(NEXT) | instid1(VALU_DEP_1)
	v_sqrt_f32_e32 v33, v31
	v_rcp_f32_e32 v34, v32
	v_sub_f32_e32 v35, v32, v9
	s_delay_alu instid0(VALU_DEP_1) | instskip(SKIP_4) | instid1(VALU_DEP_3)
	v_fma_f32 v9, v12, v9, -v35
	s_waitcnt_depctr 0xfff
	v_add_nc_u32_e32 v36, -1, v33
	v_fma_f32 v12, v32, -v34, 1.0
	v_add_nc_u32_e32 v35, 1, v33
	v_fma_f32 v37, -v36, v33, v31
	s_delay_alu instid0(VALU_DEP_3) | instskip(NEXT) | instid1(VALU_DEP_3)
	v_fma_f32 v9, v9, -v34, v12
	v_fma_f32 v12, -v35, v33, v31
	s_delay_alu instid0(VALU_DEP_3) | instskip(NEXT) | instid1(VALU_DEP_3)
	v_cmp_ge_f32_e64 s4, 0, v37
	v_fma_f32 v9, v9, -v34, -v34
	s_delay_alu instid0(VALU_DEP_2) | instskip(NEXT) | instid1(VALU_DEP_4)
	v_cndmask_b32_e64 v33, v33, v36, s4
	v_cmp_lt_f32_e64 s4, 0, v12
	s_delay_alu instid0(VALU_DEP_1) | instskip(SKIP_1) | instid1(VALU_DEP_1)
	v_cndmask_b32_e64 v12, v33, v35, s4
	v_cmp_eq_u32_e64 s4, 0, v0
	v_cndmask_b32_e64 v0, v9, v32, s4
	s_delay_alu instid0(VALU_DEP_3) | instskip(NEXT) | instid1(VALU_DEP_2)
	v_mul_f32_e32 v9, 0x37800000, v12
	v_xor3_b32 v0, v13, v0, v10
	s_delay_alu instid0(VALU_DEP_2) | instskip(SKIP_1) | instid1(VALU_DEP_3)
	v_cndmask_b32_e32 v9, v12, v9, vcc_lo
	v_cmp_class_f32_e64 vcc_lo, v31, 0x260
	v_fma_f32 v10, v0, v0, 1.0
	s_delay_alu instid0(VALU_DEP_1) | instskip(NEXT) | instid1(VALU_DEP_1)
	v_dual_cndmask_b32 v9, v9, v31 :: v_dual_mul_f32 v12, v11, v10
	v_mul_f32_e32 v9, v9, v10
	s_delay_alu instid0(VALU_DEP_2) | instskip(NEXT) | instid1(VALU_DEP_2)
	v_fma_f32 v10, v11, v12, 1.0
	v_mul_f32_e32 v9, v11, v9
	s_delay_alu instid0(VALU_DEP_2) | instskip(NEXT) | instid1(VALU_DEP_2)
	v_div_scale_f32 v12, null, v10, v10, v0
	v_div_scale_f32 v11, null, v10, v10, v9
	v_div_scale_f32 v34, vcc_lo, v9, v10, v9
	s_delay_alu instid0(VALU_DEP_3) | instskip(NEXT) | instid1(VALU_DEP_2)
	v_rcp_f32_e32 v31, v12
	v_rcp_f32_e32 v13, v11
	s_waitcnt_depctr 0xfff
	v_fma_f32 v33, -v12, v31, 1.0
	v_fma_f32 v32, -v11, v13, 1.0
	s_delay_alu instid0(VALU_DEP_2) | instskip(NEXT) | instid1(VALU_DEP_2)
	v_fmac_f32_e32 v31, v33, v31
	v_fmac_f32_e32 v13, v32, v13
	v_div_scale_f32 v32, s4, v0, v10, v0
	s_delay_alu instid0(VALU_DEP_2) | instskip(NEXT) | instid1(VALU_DEP_2)
	v_mul_f32_e32 v33, v34, v13
	v_mul_f32_e32 v35, v32, v31
	s_delay_alu instid0(VALU_DEP_2) | instskip(NEXT) | instid1(VALU_DEP_2)
	v_fma_f32 v36, -v11, v33, v34
	v_fma_f32 v37, -v12, v35, v32
	s_delay_alu instid0(VALU_DEP_2) | instskip(NEXT) | instid1(VALU_DEP_2)
	v_fmac_f32_e32 v33, v36, v13
	v_fmac_f32_e32 v35, v37, v31
	s_delay_alu instid0(VALU_DEP_2) | instskip(NEXT) | instid1(VALU_DEP_2)
	v_fma_f32 v11, -v11, v33, v34
	v_fma_f32 v12, -v12, v35, v32
	s_delay_alu instid0(VALU_DEP_2) | instskip(SKIP_1) | instid1(VALU_DEP_2)
	v_div_fmas_f32 v11, v11, v13, v33
	s_mov_b32 vcc_lo, s4
	v_div_fmas_f32 v13, v12, v31, v35
	s_delay_alu instid0(VALU_DEP_2) | instskip(NEXT) | instid1(VALU_DEP_2)
	v_div_fixup_f32 v12, v11, v10, v9
	v_div_fixup_f32 v9, v13, v10, v0
                                        ; implicit-def: $vgpr10
                                        ; implicit-def: $vgpr13
.LBB95_215:                             ;   in Loop: Header=BB95_161 Depth=1
	s_and_not1_saveexec_b32 s28, s28
	s_cbranch_execz .LBB95_225
; %bb.216:                              ;   in Loop: Header=BB95_161 Depth=1
	v_cmp_ngt_f32_e64 s29, 0x48000000, |v10|
                                        ; implicit-def: $vgpr12
                                        ; implicit-def: $vgpr9
	s_delay_alu instid0(VALU_DEP_1) | instskip(NEXT) | instid1(SALU_CYCLE_1)
	s_and_saveexec_b32 s4, s29
	s_xor_b32 s30, exec_lo, s4
	s_cbranch_execz .LBB95_218
; %bb.217:                              ;   in Loop: Header=BB95_161 Depth=1
	v_and_or_b32 v9, v13, s7, 0x800000
	v_lshrrev_b32_e32 v12, 23, v13
	s_delay_alu instid0(VALU_DEP_2) | instskip(NEXT) | instid1(VALU_DEP_2)
	v_mad_u64_u32 v[31:32], null, 0xfe5163ab, v9, 0
	v_add_nc_u32_e32 v12, 0xffffff88, v12
	s_delay_alu instid0(VALU_DEP_1) | instskip(NEXT) | instid1(VALU_DEP_3)
	v_cmp_lt_u32_e32 vcc_lo, 63, v12
	v_mov_b32_e32 v0, v32
	v_cndmask_b32_e64 v37, 0, 0xffffffc0, vcc_lo
	s_delay_alu instid0(VALU_DEP_2) | instskip(NEXT) | instid1(VALU_DEP_2)
	v_mad_u64_u32 v[32:33], null, 0x3c439041, v9, v[0:1]
	v_add_nc_u32_e32 v12, v37, v12
	s_delay_alu instid0(VALU_DEP_2) | instskip(NEXT) | instid1(VALU_DEP_2)
	v_mov_b32_e32 v0, v33
	v_cmp_lt_u32_e64 s4, 31, v12
	s_delay_alu instid0(VALU_DEP_2) | instskip(NEXT) | instid1(VALU_DEP_2)
	v_mad_u64_u32 v[33:34], null, 0xdb629599, v9, v[0:1]
	v_cndmask_b32_e64 v38, 0, 0xffffffe0, s4
	s_delay_alu instid0(VALU_DEP_1) | instskip(NEXT) | instid1(VALU_DEP_3)
	v_add_nc_u32_e32 v12, v38, v12
	v_dual_mov_b32 v0, v34 :: v_dual_cndmask_b32 v31, v33, v31
	s_delay_alu instid0(VALU_DEP_2) | instskip(NEXT) | instid1(VALU_DEP_2)
	v_cmp_lt_u32_e64 s5, 31, v12
	v_mad_u64_u32 v[34:35], null, 0xf534ddc0, v9, v[0:1]
	s_delay_alu instid0(VALU_DEP_1) | instskip(NEXT) | instid1(VALU_DEP_1)
	v_mov_b32_e32 v0, v35
	v_mad_u64_u32 v[35:36], null, 0xfc2757d1, v9, v[0:1]
	s_delay_alu instid0(VALU_DEP_1) | instskip(NEXT) | instid1(VALU_DEP_1)
	v_mov_b32_e32 v0, v36
	;; [unrolled: 3-line block ×3, first 2 shown]
	v_mad_u64_u32 v[37:38], null, 0xa2f9836e, v9, v[0:1]
	v_cndmask_b32_e64 v0, 0, 0xffffffe0, s5
	s_delay_alu instid0(VALU_DEP_4) | instskip(NEXT) | instid1(VALU_DEP_2)
	v_cndmask_b32_e32 v9, v36, v34, vcc_lo
	v_dual_cndmask_b32 v37, v37, v35 :: v_dual_add_nc_u32 v0, v0, v12
	s_delay_alu instid0(VALU_DEP_4) | instskip(SKIP_1) | instid1(VALU_DEP_3)
	v_dual_cndmask_b32 v36, v38, v36 :: v_dual_cndmask_b32 v35, v35, v33
	v_cndmask_b32_e32 v12, v34, v32, vcc_lo
	v_cmp_eq_u32_e64 s6, 0, v0
	s_delay_alu instid0(VALU_DEP_4) | instskip(NEXT) | instid1(VALU_DEP_4)
	v_cndmask_b32_e64 v32, v37, v9, s4
	v_cndmask_b32_e64 v34, v36, v37, s4
	;; [unrolled: 1-line block ×3, first 2 shown]
	v_sub_nc_u32_e32 v36, 32, v0
	v_cndmask_b32_e64 v35, v35, v12, s4
	v_cndmask_b32_e64 v12, v12, v31, s4
	;; [unrolled: 1-line block ×4, first 2 shown]
	s_delay_alu instid0(VALU_DEP_4) | instskip(NEXT) | instid1(VALU_DEP_4)
	v_cndmask_b32_e64 v9, v9, v35, s5
	v_cndmask_b32_e64 v12, v35, v12, s5
	s_delay_alu instid0(VALU_DEP_3) | instskip(NEXT) | instid1(VALU_DEP_3)
	v_alignbit_b32 v37, v34, v32, v36
	v_alignbit_b32 v38, v32, v9, v36
	s_delay_alu instid0(VALU_DEP_3) | instskip(NEXT) | instid1(VALU_DEP_3)
	v_alignbit_b32 v36, v9, v12, v36
	v_cndmask_b32_e64 v0, v37, v34, s6
	s_delay_alu instid0(VALU_DEP_3) | instskip(NEXT) | instid1(VALU_DEP_3)
	v_cndmask_b32_e64 v32, v38, v32, s6
	v_cndmask_b32_e64 v9, v36, v9, s6
	s_delay_alu instid0(VALU_DEP_3) | instskip(NEXT) | instid1(VALU_DEP_3)
	v_bfe_u32 v33, v0, 29, 1
	v_alignbit_b32 v31, v0, v32, 30
	s_delay_alu instid0(VALU_DEP_3) | instskip(SKIP_1) | instid1(VALU_DEP_4)
	v_alignbit_b32 v32, v32, v9, 30
	v_alignbit_b32 v9, v9, v12, 30
	v_sub_nc_u32_e32 v34, 0, v33
	s_delay_alu instid0(VALU_DEP_1) | instskip(SKIP_3) | instid1(VALU_DEP_4)
	v_xor_b32_e32 v35, v31, v34
	v_cmp_ne_u32_e32 vcc_lo, v31, v34
	v_xor_b32_e32 v12, v32, v34
	v_xor_b32_e32 v9, v9, v34
	v_clz_i32_u32_e32 v37, v35
	s_delay_alu instid0(VALU_DEP_1) | instskip(NEXT) | instid1(VALU_DEP_1)
	v_add_nc_u32_e32 v36, 1, v37
	v_cndmask_b32_e32 v31, 33, v36, vcc_lo
	s_delay_alu instid0(VALU_DEP_1) | instskip(NEXT) | instid1(VALU_DEP_1)
	v_sub_nc_u32_e32 v32, 32, v31
	v_alignbit_b32 v34, v35, v12, v32
	v_alignbit_b32 v9, v12, v9, v32
	v_lshrrev_b32_e32 v12, 29, v0
	v_lshrrev_b32_e32 v0, 30, v0
	s_delay_alu instid0(VALU_DEP_3) | instskip(NEXT) | instid1(VALU_DEP_3)
	v_alignbit_b32 v32, v34, v9, 9
	v_lshlrev_b32_e32 v12, 31, v12
	v_alignbit_b32 v34, v31, v34, 9
	s_delay_alu instid0(VALU_DEP_3) | instskip(NEXT) | instid1(VALU_DEP_2)
	v_clz_i32_u32_e32 v35, v32
	v_or_b32_e32 v34, v34, v12
	v_or_b32_e32 v12, 0x33800000, v12
	s_delay_alu instid0(VALU_DEP_3) | instskip(NEXT) | instid1(VALU_DEP_3)
	v_min_u32_e32 v35, 32, v35
	v_xor_b32_e32 v34, 1.0, v34
	s_delay_alu instid0(VALU_DEP_2) | instskip(SKIP_1) | instid1(VALU_DEP_3)
	v_sub_nc_u32_e32 v36, 31, v35
	v_add_lshl_u32 v31, v35, v31, 23
	v_mul_f32_e32 v35, 0x3fc90fda, v34
	s_delay_alu instid0(VALU_DEP_3) | instskip(NEXT) | instid1(VALU_DEP_3)
	v_alignbit_b32 v9, v32, v9, v36
	v_sub_nc_u32_e32 v12, v12, v31
	s_delay_alu instid0(VALU_DEP_3) | instskip(NEXT) | instid1(VALU_DEP_3)
	v_fma_f32 v31, 0x3fc90fda, v34, -v35
	v_lshrrev_b32_e32 v9, 9, v9
	s_delay_alu instid0(VALU_DEP_2) | instskip(NEXT) | instid1(VALU_DEP_2)
	v_fmac_f32_e32 v31, 0x33a22168, v34
	v_or_b32_e32 v9, v12, v9
	s_delay_alu instid0(VALU_DEP_1) | instskip(NEXT) | instid1(VALU_DEP_1)
	v_dual_fmac_f32 v31, 0x3fc90fda, v9 :: v_dual_add_nc_u32 v12, v33, v0
	v_add_f32_e32 v9, v35, v31
	s_and_not1_saveexec_b32 s4, s30
	s_branch .LBB95_219
.LBB95_218:                             ;   in Loop: Header=BB95_161 Depth=1
	s_and_not1_saveexec_b32 s4, s30
.LBB95_219:                             ;   in Loop: Header=BB95_161 Depth=1
	v_mul_f32_e64 v0, 0x3f22f983, |v10|
	s_delay_alu instid0(VALU_DEP_1) | instskip(NEXT) | instid1(VALU_DEP_1)
	v_rndne_f32_e32 v0, v0
	v_fma_f32 v9, 0xbfc90fda, v0, |v10|
	v_cvt_i32_f32_e32 v12, v0
	s_delay_alu instid0(VALU_DEP_2) | instskip(NEXT) | instid1(VALU_DEP_1)
	v_fmac_f32_e32 v9, 0xb3a22168, v0
	v_fmac_f32_e32 v9, 0xa7c234c4, v0
; %bb.220:                              ;   in Loop: Header=BB95_161 Depth=1
	s_or_b32 exec_lo, exec_lo, s4
                                        ; implicit-def: $vgpr31
                                        ; implicit-def: $vgpr0
	s_and_saveexec_b32 s4, s29
	s_delay_alu instid0(SALU_CYCLE_1)
	s_xor_b32 s29, exec_lo, s4
	s_cbranch_execz .LBB95_222
; %bb.221:                              ;   in Loop: Header=BB95_161 Depth=1
	v_and_or_b32 v39, v13, s7, 0x800000
	v_lshrrev_b32_e32 v36, 23, v13
	s_delay_alu instid0(VALU_DEP_2) | instskip(NEXT) | instid1(VALU_DEP_2)
	v_mad_u64_u32 v[31:32], null, 0xfe5163ab, v39, 0
	v_add_nc_u32_e32 v37, 0xffffff88, v36
	s_delay_alu instid0(VALU_DEP_1) | instskip(NEXT) | instid1(VALU_DEP_3)
	v_cmp_lt_u32_e32 vcc_lo, 63, v37
	v_mov_b32_e32 v0, v32
	v_cndmask_b32_e64 v38, 0, 0xffffffc0, vcc_lo
	s_delay_alu instid0(VALU_DEP_2) | instskip(NEXT) | instid1(VALU_DEP_2)
	v_mad_u64_u32 v[32:33], null, 0x3c439041, v39, v[0:1]
	v_add_nc_u32_e32 v38, v38, v37
	s_delay_alu instid0(VALU_DEP_2) | instskip(NEXT) | instid1(VALU_DEP_2)
	v_mov_b32_e32 v0, v33
	v_cmp_lt_u32_e64 s4, 31, v38
	s_delay_alu instid0(VALU_DEP_2) | instskip(NEXT) | instid1(VALU_DEP_2)
	v_mad_u64_u32 v[33:34], null, 0xdb629599, v39, v[0:1]
	v_cndmask_b32_e64 v40, 0, 0xffffffe0, s4
	s_delay_alu instid0(VALU_DEP_1) | instskip(NEXT) | instid1(VALU_DEP_3)
	v_add_nc_u32_e32 v40, v40, v38
	v_dual_mov_b32 v0, v34 :: v_dual_cndmask_b32 v31, v33, v31
	s_delay_alu instid0(VALU_DEP_2) | instskip(NEXT) | instid1(VALU_DEP_2)
	v_cmp_lt_u32_e64 s5, 31, v40
	v_mad_u64_u32 v[34:35], null, 0xf534ddc0, v39, v[0:1]
	s_delay_alu instid0(VALU_DEP_1) | instskip(NEXT) | instid1(VALU_DEP_2)
	v_mov_b32_e32 v0, v35
	v_cndmask_b32_e32 v32, v34, v32, vcc_lo
	s_delay_alu instid0(VALU_DEP_2) | instskip(NEXT) | instid1(VALU_DEP_2)
	v_mad_u64_u32 v[35:36], null, 0xfc2757d1, v39, v[0:1]
	v_cndmask_b32_e64 v31, v32, v31, s4
	s_delay_alu instid0(VALU_DEP_2) | instskip(NEXT) | instid1(VALU_DEP_1)
	v_mov_b32_e32 v0, v36
	v_mad_u64_u32 v[36:37], null, 0x4e441529, v39, v[0:1]
	s_delay_alu instid0(VALU_DEP_1) | instskip(NEXT) | instid1(VALU_DEP_1)
	v_mov_b32_e32 v0, v37
	v_mad_u64_u32 v[37:38], null, 0xa2f9836e, v39, v[0:1]
	v_cndmask_b32_e64 v0, 0, 0xffffffe0, s5
	s_delay_alu instid0(VALU_DEP_4) | instskip(NEXT) | instid1(VALU_DEP_2)
	v_cndmask_b32_e32 v39, v36, v34, vcc_lo
	v_dual_cndmask_b32 v37, v37, v35 :: v_dual_add_nc_u32 v0, v0, v40
	s_delay_alu instid0(VALU_DEP_4) | instskip(NEXT) | instid1(VALU_DEP_2)
	v_dual_cndmask_b32 v36, v38, v36 :: v_dual_cndmask_b32 v35, v35, v33
	v_sub_nc_u32_e32 v38, 32, v0
	s_delay_alu instid0(VALU_DEP_3) | instskip(NEXT) | instid1(VALU_DEP_3)
	v_cndmask_b32_e64 v34, v37, v39, s4
	v_cndmask_b32_e64 v36, v36, v37, s4
	s_delay_alu instid0(VALU_DEP_4) | instskip(SKIP_2) | instid1(VALU_DEP_4)
	v_cndmask_b32_e64 v37, v39, v35, s4
	v_cndmask_b32_e64 v35, v35, v32, s4
	v_cmp_eq_u32_e64 s6, 0, v0
	v_cndmask_b32_e64 v36, v36, v34, s5
	s_delay_alu instid0(VALU_DEP_4) | instskip(NEXT) | instid1(VALU_DEP_4)
	v_cndmask_b32_e64 v34, v34, v37, s5
	v_cndmask_b32_e64 v37, v37, v35, s5
	;; [unrolled: 1-line block ×3, first 2 shown]
	s_delay_alu instid0(VALU_DEP_3) | instskip(NEXT) | instid1(VALU_DEP_3)
	v_alignbit_b32 v39, v36, v34, v38
	v_alignbit_b32 v40, v34, v37, v38
	s_delay_alu instid0(VALU_DEP_3) | instskip(NEXT) | instid1(VALU_DEP_3)
	v_alignbit_b32 v38, v37, v31, v38
	v_cndmask_b32_e64 v0, v39, v36, s6
	s_delay_alu instid0(VALU_DEP_3) | instskip(NEXT) | instid1(VALU_DEP_3)
	v_cndmask_b32_e64 v33, v40, v34, s6
	v_cndmask_b32_e64 v37, v38, v37, s6
	s_delay_alu instid0(VALU_DEP_3) | instskip(NEXT) | instid1(VALU_DEP_3)
	v_bfe_u32 v34, v0, 29, 1
	v_alignbit_b32 v32, v0, v33, 30
	s_delay_alu instid0(VALU_DEP_3) | instskip(SKIP_1) | instid1(VALU_DEP_4)
	v_alignbit_b32 v33, v33, v37, 30
	v_alignbit_b32 v31, v37, v31, 30
	v_sub_nc_u32_e32 v36, 0, v34
	s_delay_alu instid0(VALU_DEP_1) | instskip(SKIP_3) | instid1(VALU_DEP_4)
	v_xor_b32_e32 v35, v32, v36
	v_cmp_ne_u32_e32 vcc_lo, v32, v36
	v_xor_b32_e32 v33, v33, v36
	v_xor_b32_e32 v31, v31, v36
	v_clz_i32_u32_e32 v39, v35
	s_delay_alu instid0(VALU_DEP_1) | instskip(NEXT) | instid1(VALU_DEP_1)
	v_add_nc_u32_e32 v38, 1, v39
	v_cndmask_b32_e32 v32, 33, v38, vcc_lo
	s_delay_alu instid0(VALU_DEP_1) | instskip(NEXT) | instid1(VALU_DEP_1)
	v_sub_nc_u32_e32 v37, 32, v32
	v_alignbit_b32 v35, v35, v33, v37
	v_alignbit_b32 v31, v33, v31, v37
	v_lshrrev_b32_e32 v33, 29, v0
	s_delay_alu instid0(VALU_DEP_2) | instskip(NEXT) | instid1(VALU_DEP_2)
	v_alignbit_b32 v36, v35, v31, 9
	v_lshlrev_b32_e32 v33, 31, v33
	v_alignbit_b32 v35, v32, v35, 9
	s_delay_alu instid0(VALU_DEP_3) | instskip(NEXT) | instid1(VALU_DEP_2)
	v_clz_i32_u32_e32 v37, v36
	v_or_b32_e32 v35, v35, v33
	v_or_b32_e32 v33, 0x33800000, v33
	s_delay_alu instid0(VALU_DEP_3) | instskip(NEXT) | instid1(VALU_DEP_3)
	v_min_u32_e32 v37, 32, v37
	v_xor_b32_e32 v35, 1.0, v35
	s_delay_alu instid0(VALU_DEP_2) | instskip(SKIP_1) | instid1(VALU_DEP_3)
	v_sub_nc_u32_e32 v38, 31, v37
	v_add_lshl_u32 v32, v37, v32, 23
	v_mul_f32_e32 v37, 0x3fc90fda, v35
	s_delay_alu instid0(VALU_DEP_3) | instskip(NEXT) | instid1(VALU_DEP_3)
	v_alignbit_b32 v31, v36, v31, v38
	v_sub_nc_u32_e32 v32, v33, v32
	s_delay_alu instid0(VALU_DEP_3) | instskip(NEXT) | instid1(VALU_DEP_3)
	v_fma_f32 v33, 0x3fc90fda, v35, -v37
	v_lshrrev_b32_e32 v31, 9, v31
	s_delay_alu instid0(VALU_DEP_2) | instskip(NEXT) | instid1(VALU_DEP_2)
	v_fmac_f32_e32 v33, 0x33a22168, v35
	v_or_b32_e32 v31, v32, v31
	s_delay_alu instid0(VALU_DEP_1) | instskip(SKIP_1) | instid1(VALU_DEP_1)
	v_fmac_f32_e32 v33, 0x3fc90fda, v31
	v_lshrrev_b32_e32 v31, 30, v0
	v_dual_add_f32 v0, v37, v33 :: v_dual_add_nc_u32 v31, v34, v31
	s_and_not1_saveexec_b32 s4, s29
	s_cbranch_execnz .LBB95_223
	s_branch .LBB95_224
.LBB95_222:                             ;   in Loop: Header=BB95_161 Depth=1
	s_and_not1_saveexec_b32 s4, s29
.LBB95_223:                             ;   in Loop: Header=BB95_161 Depth=1
	v_mul_f32_e64 v0, 0x3f22f983, |v10|
	s_delay_alu instid0(VALU_DEP_1) | instskip(NEXT) | instid1(VALU_DEP_1)
	v_rndne_f32_e32 v31, v0
	v_fma_f32 v0, 0xbfc90fda, v31, |v10|
	s_delay_alu instid0(VALU_DEP_1) | instskip(NEXT) | instid1(VALU_DEP_1)
	v_fmac_f32_e32 v0, 0xb3a22168, v31
	v_fmac_f32_e32 v0, 0xa7c234c4, v31
	v_cvt_i32_f32_e32 v31, v31
.LBB95_224:                             ;   in Loop: Header=BB95_161 Depth=1
	s_or_b32 exec_lo, exec_lo, s4
	v_mul_f32_e64 v34, 0xbfb8aa3b, |v11|
	v_dual_mul_f32 v32, v9, v9 :: v_dual_and_b32 v33, 1, v12
	s_delay_alu instid0(VALU_DEP_2) | instskip(SKIP_2) | instid1(VALU_DEP_4)
	v_rndne_f32_e32 v38, v34
	v_mul_f32_e32 v37, v0, v0
	v_fma_f32 v39, 0xbfb8aa3b, |v11|, -v34
	v_cmp_eq_u32_e32 vcc_lo, 0, v33
	s_delay_alu instid0(VALU_DEP_4) | instskip(NEXT) | instid1(VALU_DEP_4)
	v_dual_sub_f32 v34, v34, v38 :: v_dual_and_b32 v33, 1, v31
	v_dual_fmaak_f32 v35, s25, v32, 0x3c0881c4 :: v_dual_fmaak_f32 v40, s25, v37, 0x3c0881c4
	v_lshlrev_b32_e32 v12, 30, v12
	v_fma_f32 v39, 0xb2a5705f, |v11|, v39
	v_fmaak_f32 v41, s26, v37, 0xbab64f3b
	s_delay_alu instid0(VALU_DEP_4)
	v_fmaak_f32 v35, v32, v35, 0xbe2aaa9d
	v_fmaak_f32 v36, s26, v32, 0xbab64f3b
	v_and_b32_e32 v12, 0x80000000, v12
	v_add_f32_e32 v34, v34, v39
	v_lshlrev_b32_e32 v31, 30, v31
	v_mul_f32_e32 v35, v32, v35
	v_fmaak_f32 v36, v32, v36, 0x3d2aabf7
	v_xor_b32_e32 v12, v13, v12
	v_exp_f32_e32 v34, v34
	v_cvt_i32_f32_e32 v13, v38
	s_delay_alu instid0(VALU_DEP_3) | instskip(NEXT) | instid1(VALU_DEP_1)
	v_dual_fmac_f32 v9, v9, v35 :: v_dual_fmaak_f32 v36, v32, v36, 0xbf000004
	v_fma_f32 v32, v32, v36, 1.0
	s_delay_alu instid0(VALU_DEP_1) | instskip(NEXT) | instid1(VALU_DEP_1)
	v_dual_fmaak_f32 v40, v37, v40, 0xbe2aaa9d :: v_dual_cndmask_b32 v9, v32, v9
	v_mul_f32_e32 v36, v37, v40
	v_fmaak_f32 v35, v37, v41, 0x3d2aabf7
	v_cmp_eq_u32_e32 vcc_lo, 0, v33
	s_delay_alu instid0(VALU_DEP_4) | instskip(NEXT) | instid1(VALU_DEP_4)
	v_xor3_b32 v9, v12, v9, v10
	v_fmac_f32_e32 v0, v0, v36
	s_delay_alu instid0(VALU_DEP_4) | instskip(SKIP_1) | instid1(VALU_DEP_4)
	v_fmaak_f32 v32, v37, v35, 0xbf000004
	v_ldexp_f32 v10, v34, v13
	v_dual_mul_f32 v9, 4.0, v9 :: v_dual_and_b32 v12, 0x80000000, v31
	s_delay_alu instid0(VALU_DEP_3) | instskip(NEXT) | instid1(VALU_DEP_1)
	v_fma_f32 v32, v37, v32, 1.0
	v_cndmask_b32_e64 v0, -v0, v32, vcc_lo
	v_cmp_nlt_f32_e64 vcc_lo, 0x42ce8ed0, |v11|
	s_delay_alu instid0(VALU_DEP_2) | instskip(SKIP_2) | instid1(VALU_DEP_3)
	v_xor_b32_e32 v0, v12, v0
	v_cndmask_b32_e32 v10, 0, v10, vcc_lo
	v_cmp_ngt_f32_e64 vcc_lo, 0xc2b17218, |v11|
	v_mul_f32_e32 v0, v9, v0
	v_xor_b32_e32 v9, 0x80000000, v11
	s_delay_alu instid0(VALU_DEP_4) | instskip(NEXT) | instid1(VALU_DEP_2)
	v_cndmask_b32_e32 v10, 0x7f800000, v10, vcc_lo
	v_bfi_b32 v12, 0x7fffffff, 1.0, v9
	s_delay_alu instid0(VALU_DEP_2) | instskip(NEXT) | instid1(VALU_DEP_1)
	v_mul_f32_e32 v0, v10, v0
	v_mul_f32_e32 v9, v10, v0
.LBB95_225:                             ;   in Loop: Header=BB95_161 Depth=1
	s_or_b32 exec_lo, exec_lo, s28
                                        ; implicit-def: $vgpr10
.LBB95_226:                             ;   in Loop: Header=BB95_161 Depth=1
	s_and_not1_saveexec_b32 s4, s27
; %bb.227:                              ;   in Loop: Header=BB95_161 Depth=1
	v_sub_f32_e32 v9, v10, v10
	s_delay_alu instid0(VALU_DEP_1)
	v_mov_b32_e32 v12, v9
; %bb.228:                              ;   in Loop: Header=BB95_161 Depth=1
	s_or_b32 exec_lo, exec_lo, s4
                                        ; implicit-def: $vgpr11
.LBB95_229:                             ;   in Loop: Header=BB95_161 Depth=1
	s_and_not1_saveexec_b32 s13, s13
	s_cbranch_execz .LBB95_245
; %bb.230:                              ;   in Loop: Header=BB95_161 Depth=1
	v_xor_b32_e32 v12, 0x80000000, v11
	s_mov_b32 s4, exec_lo
                                        ; implicit-def: $vgpr9
	s_delay_alu instid0(VALU_DEP_1) | instskip(NEXT) | instid1(VALU_DEP_1)
	v_and_b32_e32 v0, 0x7fffff, v12
	v_cmpx_ne_u32_e32 0, v0
	s_xor_b32 s4, exec_lo, s4
; %bb.231:                              ;   in Loop: Header=BB95_161 Depth=1
	v_mul_f32_e64 v0, v10, -v11
	v_cmp_eq_f32_e32 vcc_lo, 0, v10
	s_delay_alu instid0(VALU_DEP_2)
	v_cndmask_b32_e32 v9, v0, v10, vcc_lo
                                        ; implicit-def: $vgpr10
; %bb.232:                              ;   in Loop: Header=BB95_161 Depth=1
	s_and_not1_saveexec_b32 s27, s4
	s_cbranch_execz .LBB95_244
; %bb.233:                              ;   in Loop: Header=BB95_161 Depth=1
	s_mov_b32 s28, exec_lo
	v_cmpx_neq_f32_e64 0x7f800000, |v10|
	s_cbranch_execz .LBB95_243
; %bb.234:                              ;   in Loop: Header=BB95_161 Depth=1
	v_and_b32_e32 v9, 0x7fffffff, v10
	v_cmp_ngt_f32_e64 s29, 0x48000000, |v10|
                                        ; implicit-def: $vgpr13
                                        ; implicit-def: $vgpr11
	s_delay_alu instid0(VALU_DEP_1) | instskip(NEXT) | instid1(SALU_CYCLE_1)
	s_and_saveexec_b32 s4, s29
	s_xor_b32 s30, exec_lo, s4
	s_cbranch_execz .LBB95_236
; %bb.235:                              ;   in Loop: Header=BB95_161 Depth=1
	v_and_or_b32 v11, v9, s7, 0x800000
	v_lshrrev_b32_e32 v13, 23, v9
	s_delay_alu instid0(VALU_DEP_2) | instskip(NEXT) | instid1(VALU_DEP_2)
	v_mad_u64_u32 v[31:32], null, 0xfe5163ab, v11, 0
	v_add_nc_u32_e32 v13, 0xffffff88, v13
	s_delay_alu instid0(VALU_DEP_1) | instskip(NEXT) | instid1(VALU_DEP_3)
	v_cmp_lt_u32_e32 vcc_lo, 63, v13
	v_mov_b32_e32 v0, v32
	v_cndmask_b32_e64 v37, 0, 0xffffffc0, vcc_lo
	s_delay_alu instid0(VALU_DEP_2) | instskip(NEXT) | instid1(VALU_DEP_2)
	v_mad_u64_u32 v[32:33], null, 0x3c439041, v11, v[0:1]
	v_add_nc_u32_e32 v13, v37, v13
	s_delay_alu instid0(VALU_DEP_1) | instskip(NEXT) | instid1(VALU_DEP_1)
	v_cmp_lt_u32_e64 s4, 31, v13
	v_cndmask_b32_e64 v38, 0, 0xffffffe0, s4
	s_delay_alu instid0(VALU_DEP_1) | instskip(NEXT) | instid1(VALU_DEP_1)
	v_dual_mov_b32 v0, v33 :: v_dual_add_nc_u32 v13, v38, v13
	v_mad_u64_u32 v[33:34], null, 0xdb629599, v11, v[0:1]
	s_delay_alu instid0(VALU_DEP_2) | instskip(NEXT) | instid1(VALU_DEP_2)
	v_cmp_lt_u32_e64 s5, 31, v13
	v_dual_mov_b32 v0, v34 :: v_dual_cndmask_b32 v31, v33, v31
	s_delay_alu instid0(VALU_DEP_1) | instskip(NEXT) | instid1(VALU_DEP_1)
	v_mad_u64_u32 v[34:35], null, 0xf534ddc0, v11, v[0:1]
	v_mov_b32_e32 v0, v35
	s_delay_alu instid0(VALU_DEP_1) | instskip(NEXT) | instid1(VALU_DEP_1)
	v_mad_u64_u32 v[35:36], null, 0xfc2757d1, v11, v[0:1]
	v_mov_b32_e32 v0, v36
	;; [unrolled: 3-line block ×3, first 2 shown]
	s_delay_alu instid0(VALU_DEP_1) | instskip(SKIP_1) | instid1(VALU_DEP_4)
	v_mad_u64_u32 v[37:38], null, 0xa2f9836e, v11, v[0:1]
	v_cndmask_b32_e64 v0, 0, 0xffffffe0, s5
	v_cndmask_b32_e32 v11, v36, v34, vcc_lo
	s_delay_alu instid0(VALU_DEP_2) | instskip(NEXT) | instid1(VALU_DEP_4)
	v_dual_cndmask_b32 v13, v34, v32 :: v_dual_add_nc_u32 v0, v0, v13
	v_dual_cndmask_b32 v37, v37, v35 :: v_dual_cndmask_b32 v36, v38, v36
	v_cndmask_b32_e32 v35, v35, v33, vcc_lo
	s_delay_alu instid0(VALU_DEP_3) | instskip(NEXT) | instid1(VALU_DEP_3)
	v_cmp_eq_u32_e64 s6, 0, v0
	v_cndmask_b32_e64 v32, v37, v11, s4
	s_delay_alu instid0(VALU_DEP_4) | instskip(NEXT) | instid1(VALU_DEP_4)
	v_cndmask_b32_e64 v34, v36, v37, s4
	v_cndmask_b32_e64 v11, v11, v35, s4
	v_sub_nc_u32_e32 v36, 32, v0
	v_cndmask_b32_e64 v35, v35, v13, s4
	v_cndmask_b32_e64 v13, v13, v31, s4
	;; [unrolled: 1-line block ×4, first 2 shown]
	s_delay_alu instid0(VALU_DEP_4) | instskip(NEXT) | instid1(VALU_DEP_4)
	v_cndmask_b32_e64 v11, v11, v35, s5
	v_cndmask_b32_e64 v13, v35, v13, s5
	s_delay_alu instid0(VALU_DEP_3) | instskip(NEXT) | instid1(VALU_DEP_3)
	v_alignbit_b32 v37, v34, v32, v36
	v_alignbit_b32 v38, v32, v11, v36
	s_delay_alu instid0(VALU_DEP_3) | instskip(NEXT) | instid1(VALU_DEP_3)
	v_alignbit_b32 v36, v11, v13, v36
	v_cndmask_b32_e64 v0, v37, v34, s6
	s_delay_alu instid0(VALU_DEP_3) | instskip(NEXT) | instid1(VALU_DEP_3)
	v_cndmask_b32_e64 v32, v38, v32, s6
	v_cndmask_b32_e64 v11, v36, v11, s6
	s_delay_alu instid0(VALU_DEP_3) | instskip(NEXT) | instid1(VALU_DEP_3)
	v_bfe_u32 v33, v0, 29, 1
	v_alignbit_b32 v31, v0, v32, 30
	s_delay_alu instid0(VALU_DEP_3) | instskip(SKIP_1) | instid1(VALU_DEP_4)
	v_alignbit_b32 v32, v32, v11, 30
	v_alignbit_b32 v11, v11, v13, 30
	v_sub_nc_u32_e32 v34, 0, v33
	s_delay_alu instid0(VALU_DEP_1) | instskip(SKIP_3) | instid1(VALU_DEP_4)
	v_xor_b32_e32 v35, v31, v34
	v_cmp_ne_u32_e32 vcc_lo, v31, v34
	v_xor_b32_e32 v13, v32, v34
	v_xor_b32_e32 v11, v11, v34
	v_clz_i32_u32_e32 v37, v35
	s_delay_alu instid0(VALU_DEP_1) | instskip(NEXT) | instid1(VALU_DEP_1)
	v_add_nc_u32_e32 v36, 1, v37
	v_cndmask_b32_e32 v31, 33, v36, vcc_lo
	s_delay_alu instid0(VALU_DEP_1) | instskip(NEXT) | instid1(VALU_DEP_1)
	v_sub_nc_u32_e32 v32, 32, v31
	v_alignbit_b32 v34, v35, v13, v32
	v_alignbit_b32 v11, v13, v11, v32
	v_lshrrev_b32_e32 v13, 29, v0
	v_lshrrev_b32_e32 v0, 30, v0
	s_delay_alu instid0(VALU_DEP_3) | instskip(NEXT) | instid1(VALU_DEP_3)
	v_alignbit_b32 v32, v34, v11, 9
	v_lshlrev_b32_e32 v13, 31, v13
	v_alignbit_b32 v34, v31, v34, 9
	s_delay_alu instid0(VALU_DEP_3) | instskip(NEXT) | instid1(VALU_DEP_2)
	v_clz_i32_u32_e32 v35, v32
	v_or_b32_e32 v34, v34, v13
	v_or_b32_e32 v13, 0x33800000, v13
	s_delay_alu instid0(VALU_DEP_3) | instskip(NEXT) | instid1(VALU_DEP_3)
	v_min_u32_e32 v35, 32, v35
	v_xor_b32_e32 v34, 1.0, v34
	s_delay_alu instid0(VALU_DEP_2) | instskip(SKIP_1) | instid1(VALU_DEP_3)
	v_sub_nc_u32_e32 v36, 31, v35
	v_add_lshl_u32 v31, v35, v31, 23
	v_mul_f32_e32 v35, 0x3fc90fda, v34
	s_delay_alu instid0(VALU_DEP_3) | instskip(NEXT) | instid1(VALU_DEP_3)
	v_alignbit_b32 v11, v32, v11, v36
	v_sub_nc_u32_e32 v13, v13, v31
	s_delay_alu instid0(VALU_DEP_3) | instskip(NEXT) | instid1(VALU_DEP_3)
	v_fma_f32 v31, 0x3fc90fda, v34, -v35
	v_lshrrev_b32_e32 v11, 9, v11
	s_delay_alu instid0(VALU_DEP_2) | instskip(NEXT) | instid1(VALU_DEP_2)
	v_fmac_f32_e32 v31, 0x33a22168, v34
	v_or_b32_e32 v11, v13, v11
	v_add_nc_u32_e32 v13, v33, v0
	s_delay_alu instid0(VALU_DEP_2) | instskip(NEXT) | instid1(VALU_DEP_1)
	v_fmac_f32_e32 v31, 0x3fc90fda, v11
	v_add_f32_e32 v11, v35, v31
	s_and_not1_saveexec_b32 s4, s30
	s_branch .LBB95_237
.LBB95_236:                             ;   in Loop: Header=BB95_161 Depth=1
	s_and_not1_saveexec_b32 s4, s30
.LBB95_237:                             ;   in Loop: Header=BB95_161 Depth=1
	v_mul_f32_e64 v0, 0x3f22f983, |v10|
	s_delay_alu instid0(VALU_DEP_1) | instskip(NEXT) | instid1(VALU_DEP_1)
	v_rndne_f32_e32 v0, v0
	v_fma_f32 v11, 0xbfc90fda, v0, |v10|
	v_cvt_i32_f32_e32 v13, v0
	s_delay_alu instid0(VALU_DEP_2) | instskip(NEXT) | instid1(VALU_DEP_1)
	v_fmac_f32_e32 v11, 0xb3a22168, v0
	v_fmac_f32_e32 v11, 0xa7c234c4, v0
; %bb.238:                              ;   in Loop: Header=BB95_161 Depth=1
	s_or_b32 exec_lo, exec_lo, s4
                                        ; implicit-def: $vgpr31
                                        ; implicit-def: $vgpr0
	s_and_saveexec_b32 s4, s29
	s_delay_alu instid0(SALU_CYCLE_1)
	s_xor_b32 s29, exec_lo, s4
	s_cbranch_execz .LBB95_240
; %bb.239:                              ;   in Loop: Header=BB95_161 Depth=1
	v_and_or_b32 v39, v9, s7, 0x800000
	v_lshrrev_b32_e32 v36, 23, v9
	s_delay_alu instid0(VALU_DEP_2) | instskip(NEXT) | instid1(VALU_DEP_2)
	v_mad_u64_u32 v[31:32], null, 0xfe5163ab, v39, 0
	v_add_nc_u32_e32 v37, 0xffffff88, v36
	s_delay_alu instid0(VALU_DEP_1) | instskip(NEXT) | instid1(VALU_DEP_3)
	v_cmp_lt_u32_e32 vcc_lo, 63, v37
	v_mov_b32_e32 v0, v32
	v_cndmask_b32_e64 v38, 0, 0xffffffc0, vcc_lo
	s_delay_alu instid0(VALU_DEP_2) | instskip(NEXT) | instid1(VALU_DEP_2)
	v_mad_u64_u32 v[32:33], null, 0x3c439041, v39, v[0:1]
	v_add_nc_u32_e32 v38, v38, v37
	s_delay_alu instid0(VALU_DEP_2) | instskip(NEXT) | instid1(VALU_DEP_2)
	v_mov_b32_e32 v0, v33
	v_cmp_lt_u32_e64 s4, 31, v38
	s_delay_alu instid0(VALU_DEP_2) | instskip(NEXT) | instid1(VALU_DEP_2)
	v_mad_u64_u32 v[33:34], null, 0xdb629599, v39, v[0:1]
	v_cndmask_b32_e64 v40, 0, 0xffffffe0, s4
	s_delay_alu instid0(VALU_DEP_1) | instskip(NEXT) | instid1(VALU_DEP_3)
	v_add_nc_u32_e32 v40, v40, v38
	v_dual_mov_b32 v0, v34 :: v_dual_cndmask_b32 v31, v33, v31
	s_delay_alu instid0(VALU_DEP_2) | instskip(NEXT) | instid1(VALU_DEP_2)
	v_cmp_lt_u32_e64 s5, 31, v40
	v_mad_u64_u32 v[34:35], null, 0xf534ddc0, v39, v[0:1]
	s_delay_alu instid0(VALU_DEP_1) | instskip(NEXT) | instid1(VALU_DEP_2)
	v_mov_b32_e32 v0, v35
	v_cndmask_b32_e32 v32, v34, v32, vcc_lo
	s_delay_alu instid0(VALU_DEP_2) | instskip(NEXT) | instid1(VALU_DEP_2)
	v_mad_u64_u32 v[35:36], null, 0xfc2757d1, v39, v[0:1]
	v_cndmask_b32_e64 v31, v32, v31, s4
	s_delay_alu instid0(VALU_DEP_2) | instskip(NEXT) | instid1(VALU_DEP_1)
	v_mov_b32_e32 v0, v36
	v_mad_u64_u32 v[36:37], null, 0x4e441529, v39, v[0:1]
	s_delay_alu instid0(VALU_DEP_1) | instskip(NEXT) | instid1(VALU_DEP_1)
	v_mov_b32_e32 v0, v37
	v_mad_u64_u32 v[37:38], null, 0xa2f9836e, v39, v[0:1]
	v_cndmask_b32_e64 v0, 0, 0xffffffe0, s5
	s_delay_alu instid0(VALU_DEP_4) | instskip(NEXT) | instid1(VALU_DEP_2)
	v_cndmask_b32_e32 v39, v36, v34, vcc_lo
	v_dual_cndmask_b32 v37, v37, v35 :: v_dual_add_nc_u32 v0, v0, v40
	s_delay_alu instid0(VALU_DEP_4) | instskip(NEXT) | instid1(VALU_DEP_2)
	v_dual_cndmask_b32 v36, v38, v36 :: v_dual_cndmask_b32 v35, v35, v33
	v_sub_nc_u32_e32 v38, 32, v0
	s_delay_alu instid0(VALU_DEP_3) | instskip(NEXT) | instid1(VALU_DEP_3)
	v_cndmask_b32_e64 v34, v37, v39, s4
	v_cndmask_b32_e64 v36, v36, v37, s4
	s_delay_alu instid0(VALU_DEP_4) | instskip(SKIP_2) | instid1(VALU_DEP_4)
	v_cndmask_b32_e64 v37, v39, v35, s4
	v_cndmask_b32_e64 v35, v35, v32, s4
	v_cmp_eq_u32_e64 s6, 0, v0
	v_cndmask_b32_e64 v36, v36, v34, s5
	s_delay_alu instid0(VALU_DEP_4) | instskip(NEXT) | instid1(VALU_DEP_4)
	v_cndmask_b32_e64 v34, v34, v37, s5
	v_cndmask_b32_e64 v37, v37, v35, s5
	;; [unrolled: 1-line block ×3, first 2 shown]
	s_delay_alu instid0(VALU_DEP_3) | instskip(NEXT) | instid1(VALU_DEP_3)
	v_alignbit_b32 v39, v36, v34, v38
	v_alignbit_b32 v40, v34, v37, v38
	s_delay_alu instid0(VALU_DEP_3) | instskip(NEXT) | instid1(VALU_DEP_3)
	v_alignbit_b32 v38, v37, v31, v38
	v_cndmask_b32_e64 v0, v39, v36, s6
	s_delay_alu instid0(VALU_DEP_3) | instskip(NEXT) | instid1(VALU_DEP_3)
	v_cndmask_b32_e64 v33, v40, v34, s6
	v_cndmask_b32_e64 v37, v38, v37, s6
	s_delay_alu instid0(VALU_DEP_3) | instskip(NEXT) | instid1(VALU_DEP_3)
	v_bfe_u32 v34, v0, 29, 1
	v_alignbit_b32 v32, v0, v33, 30
	s_delay_alu instid0(VALU_DEP_3) | instskip(SKIP_1) | instid1(VALU_DEP_4)
	v_alignbit_b32 v33, v33, v37, 30
	v_alignbit_b32 v31, v37, v31, 30
	v_sub_nc_u32_e32 v36, 0, v34
	s_delay_alu instid0(VALU_DEP_1) | instskip(SKIP_3) | instid1(VALU_DEP_4)
	v_xor_b32_e32 v35, v32, v36
	v_cmp_ne_u32_e32 vcc_lo, v32, v36
	v_xor_b32_e32 v33, v33, v36
	v_xor_b32_e32 v31, v31, v36
	v_clz_i32_u32_e32 v39, v35
	s_delay_alu instid0(VALU_DEP_1) | instskip(NEXT) | instid1(VALU_DEP_1)
	v_add_nc_u32_e32 v38, 1, v39
	v_cndmask_b32_e32 v32, 33, v38, vcc_lo
	s_delay_alu instid0(VALU_DEP_1) | instskip(NEXT) | instid1(VALU_DEP_1)
	v_sub_nc_u32_e32 v37, 32, v32
	v_alignbit_b32 v35, v35, v33, v37
	v_alignbit_b32 v31, v33, v31, v37
	v_lshrrev_b32_e32 v33, 29, v0
	s_delay_alu instid0(VALU_DEP_2) | instskip(NEXT) | instid1(VALU_DEP_2)
	v_alignbit_b32 v36, v35, v31, 9
	v_lshlrev_b32_e32 v33, 31, v33
	v_alignbit_b32 v35, v32, v35, 9
	s_delay_alu instid0(VALU_DEP_3) | instskip(NEXT) | instid1(VALU_DEP_2)
	v_clz_i32_u32_e32 v37, v36
	v_or_b32_e32 v35, v35, v33
	v_or_b32_e32 v33, 0x33800000, v33
	s_delay_alu instid0(VALU_DEP_3) | instskip(NEXT) | instid1(VALU_DEP_3)
	v_min_u32_e32 v37, 32, v37
	v_xor_b32_e32 v35, 1.0, v35
	s_delay_alu instid0(VALU_DEP_2) | instskip(SKIP_1) | instid1(VALU_DEP_3)
	v_sub_nc_u32_e32 v38, 31, v37
	v_add_lshl_u32 v32, v37, v32, 23
	v_mul_f32_e32 v37, 0x3fc90fda, v35
	s_delay_alu instid0(VALU_DEP_3) | instskip(NEXT) | instid1(VALU_DEP_3)
	v_alignbit_b32 v31, v36, v31, v38
	v_sub_nc_u32_e32 v32, v33, v32
	s_delay_alu instid0(VALU_DEP_3) | instskip(NEXT) | instid1(VALU_DEP_3)
	v_fma_f32 v33, 0x3fc90fda, v35, -v37
	v_lshrrev_b32_e32 v31, 9, v31
	s_delay_alu instid0(VALU_DEP_2) | instskip(NEXT) | instid1(VALU_DEP_2)
	v_fmac_f32_e32 v33, 0x33a22168, v35
	v_or_b32_e32 v31, v32, v31
	s_delay_alu instid0(VALU_DEP_1) | instskip(SKIP_1) | instid1(VALU_DEP_1)
	v_fmac_f32_e32 v33, 0x3fc90fda, v31
	v_lshrrev_b32_e32 v31, 30, v0
	v_dual_add_f32 v0, v37, v33 :: v_dual_add_nc_u32 v31, v34, v31
	s_and_not1_saveexec_b32 s4, s29
	s_cbranch_execnz .LBB95_241
	s_branch .LBB95_242
.LBB95_240:                             ;   in Loop: Header=BB95_161 Depth=1
	s_and_not1_saveexec_b32 s4, s29
.LBB95_241:                             ;   in Loop: Header=BB95_161 Depth=1
	v_mul_f32_e64 v0, 0x3f22f983, |v10|
	s_delay_alu instid0(VALU_DEP_1) | instskip(NEXT) | instid1(VALU_DEP_1)
	v_rndne_f32_e32 v31, v0
	v_fma_f32 v0, 0xbfc90fda, v31, |v10|
	s_delay_alu instid0(VALU_DEP_1) | instskip(NEXT) | instid1(VALU_DEP_1)
	v_fmac_f32_e32 v0, 0xb3a22168, v31
	v_fmac_f32_e32 v0, 0xa7c234c4, v31
	v_cvt_i32_f32_e32 v31, v31
.LBB95_242:                             ;   in Loop: Header=BB95_161 Depth=1
	s_or_b32 exec_lo, exec_lo, s4
	v_dual_mul_f32 v32, v11, v11 :: v_dual_and_b32 v33, 1, v13
	s_delay_alu instid0(VALU_DEP_2) | instskip(NEXT) | instid1(VALU_DEP_3)
	v_dual_mul_f32 v34, v0, v0 :: v_dual_lshlrev_b32 v13, 30, v13
	v_and_b32_e32 v37, 1, v31
	s_delay_alu instid0(VALU_DEP_3) | instskip(SKIP_1) | instid1(VALU_DEP_4)
	v_fmaak_f32 v35, s25, v32, 0x3c0881c4
	v_fmaak_f32 v36, s26, v32, 0xbab64f3b
	;; [unrolled: 1-line block ×3, first 2 shown]
	v_and_b32_e32 v13, 0x80000000, v13
	v_cmp_eq_u32_e32 vcc_lo, 0, v33
	v_fmaak_f32 v35, v32, v35, 0xbe2aaa9d
	v_dual_fmaak_f32 v36, v32, v36, 0x3d2aabf7 :: v_dual_lshlrev_b32 v31, 30, v31
	v_fmaak_f32 v38, v34, v38, 0xbe2aaa9d
	v_xor_b32_e32 v9, v9, v13
	s_delay_alu instid0(VALU_DEP_4) | instskip(NEXT) | instid1(VALU_DEP_4)
	v_mul_f32_e32 v35, v32, v35
	v_fmaak_f32 v36, v32, v36, 0xbf000004
	s_delay_alu instid0(VALU_DEP_4) | instskip(NEXT) | instid1(VALU_DEP_3)
	v_dual_mul_f32 v38, v34, v38 :: v_dual_and_b32 v31, 0x80000000, v31
	v_fmac_f32_e32 v11, v11, v35
	s_delay_alu instid0(VALU_DEP_3) | instskip(NEXT) | instid1(VALU_DEP_3)
	v_fma_f32 v32, v32, v36, 1.0
	v_fmac_f32_e32 v0, v0, v38
	s_delay_alu instid0(VALU_DEP_2) | instskip(SKIP_1) | instid1(VALU_DEP_2)
	v_cndmask_b32_e32 v11, v32, v11, vcc_lo
	v_cmp_eq_u32_e32 vcc_lo, 0, v37
	v_xor3_b32 v9, v9, v11, v10
	v_fmaak_f32 v39, s26, v34, 0xbab64f3b
	s_delay_alu instid0(VALU_DEP_1) | instskip(NEXT) | instid1(VALU_DEP_1)
	v_fmaak_f32 v39, v34, v39, 0x3d2aabf7
	v_fmaak_f32 v39, v34, v39, 0xbf000004
	s_delay_alu instid0(VALU_DEP_1) | instskip(NEXT) | instid1(VALU_DEP_1)
	v_fma_f32 v13, v34, v39, 1.0
	v_cndmask_b32_e64 v0, -v0, v13, vcc_lo
	v_cmp_class_f32_e64 vcc_lo, v10, 0x1f8
	s_delay_alu instid0(VALU_DEP_2) | instskip(NEXT) | instid1(VALU_DEP_1)
	v_xor_b32_e32 v0, v31, v0
	v_mul_f32_e32 v0, v9, v0
	s_delay_alu instid0(VALU_DEP_1)
	v_cndmask_b32_e32 v10, 0x7fc00000, v0, vcc_lo
.LBB95_243:                             ;   in Loop: Header=BB95_161 Depth=1
	s_or_b32 exec_lo, exec_lo, s28
	v_add_nc_u32_e32 v12, -2.0, v12
	s_delay_alu instid0(VALU_DEP_2)
	v_bfi_b32 v9, 0x7fffffff, 0, v10
.LBB95_244:                             ;   in Loop: Header=BB95_161 Depth=1
	s_or_b32 exec_lo, exec_lo, s27
.LBB95_245:                             ;   in Loop: Header=BB95_161 Depth=1
	s_delay_alu instid0(SALU_CYCLE_1) | instskip(SKIP_2) | instid1(VALU_DEP_1)
	s_or_b32 exec_lo, exec_lo, s13
	v_and_b32_e32 v0, 0x7fffffff, v8
                                        ; implicit-def: $vgpr11
                                        ; implicit-def: $vgpr13
	s_mov_b32 s4, exec_lo
	v_cmpx_gt_u32_e32 0x7f800000, v0
	s_xor_b32 s13, exec_lo, s4
	s_cbranch_execz .LBB95_267
; %bb.246:                              ;   in Loop: Header=BB95_161 Depth=1
	v_cmp_class_f32_e64 s4, v7, 0x1f8
                                        ; implicit-def: $vgpr11
                                        ; implicit-def: $vgpr13
	s_delay_alu instid0(VALU_DEP_1) | instskip(NEXT) | instid1(SALU_CYCLE_1)
	s_and_saveexec_b32 s5, s4
	s_xor_b32 s27, exec_lo, s5
	s_cbranch_execz .LBB95_264
; %bb.247:                              ;   in Loop: Header=BB95_161 Depth=1
	v_and_b32_e32 v10, 0x7fffffff, v7
                                        ; implicit-def: $vgpr11
                                        ; implicit-def: $vgpr13
	s_mov_b32 s4, exec_lo
	v_cmpx_gt_u32_e32 0x41300000, v0
	s_xor_b32 s28, exec_lo, s4
	s_cbranch_execz .LBB95_253
; %bb.248:                              ;   in Loop: Header=BB95_161 Depth=1
                                        ; implicit-def: $vgpr0
                                        ; implicit-def: $vgpr11
	s_mov_b32 s5, exec_lo
	v_cmpx_ngt_f32_e64 0x48000000, |v7|
	s_xor_b32 s29, exec_lo, s5
	s_cbranch_execz .LBB95_250
; %bb.249:                              ;   in Loop: Header=BB95_161 Depth=1
	v_and_or_b32 v11, v10, s7, 0x800000
	v_lshrrev_b32_e32 v13, 23, v10
	s_delay_alu instid0(VALU_DEP_2) | instskip(NEXT) | instid1(VALU_DEP_2)
	v_mad_u64_u32 v[31:32], null, 0xfe5163ab, v11, 0
	v_add_nc_u32_e32 v13, 0xffffff88, v13
	s_delay_alu instid0(VALU_DEP_1) | instskip(NEXT) | instid1(VALU_DEP_3)
	v_cmp_lt_u32_e32 vcc_lo, 63, v13
	v_mov_b32_e32 v0, v32
	v_cndmask_b32_e64 v37, 0, 0xffffffc0, vcc_lo
	s_delay_alu instid0(VALU_DEP_2) | instskip(NEXT) | instid1(VALU_DEP_2)
	v_mad_u64_u32 v[32:33], null, 0x3c439041, v11, v[0:1]
	v_add_nc_u32_e32 v13, v37, v13
	s_delay_alu instid0(VALU_DEP_1) | instskip(NEXT) | instid1(VALU_DEP_1)
	v_cmp_lt_u32_e64 s4, 31, v13
	v_cndmask_b32_e64 v38, 0, 0xffffffe0, s4
	s_delay_alu instid0(VALU_DEP_1) | instskip(NEXT) | instid1(VALU_DEP_1)
	v_dual_mov_b32 v0, v33 :: v_dual_add_nc_u32 v13, v38, v13
	v_mad_u64_u32 v[33:34], null, 0xdb629599, v11, v[0:1]
	s_delay_alu instid0(VALU_DEP_2) | instskip(NEXT) | instid1(VALU_DEP_2)
	v_cmp_lt_u32_e64 s5, 31, v13
	v_dual_mov_b32 v0, v34 :: v_dual_cndmask_b32 v31, v33, v31
	s_delay_alu instid0(VALU_DEP_1) | instskip(NEXT) | instid1(VALU_DEP_1)
	v_mad_u64_u32 v[34:35], null, 0xf534ddc0, v11, v[0:1]
	v_mov_b32_e32 v0, v35
	s_delay_alu instid0(VALU_DEP_1) | instskip(NEXT) | instid1(VALU_DEP_1)
	v_mad_u64_u32 v[35:36], null, 0xfc2757d1, v11, v[0:1]
	v_mov_b32_e32 v0, v36
	;; [unrolled: 3-line block ×3, first 2 shown]
	s_delay_alu instid0(VALU_DEP_1) | instskip(SKIP_1) | instid1(VALU_DEP_4)
	v_mad_u64_u32 v[37:38], null, 0xa2f9836e, v11, v[0:1]
	v_cndmask_b32_e64 v0, 0, 0xffffffe0, s5
	v_cndmask_b32_e32 v11, v36, v34, vcc_lo
	s_delay_alu instid0(VALU_DEP_2) | instskip(NEXT) | instid1(VALU_DEP_4)
	v_dual_cndmask_b32 v13, v34, v32 :: v_dual_add_nc_u32 v0, v0, v13
	v_dual_cndmask_b32 v37, v37, v35 :: v_dual_cndmask_b32 v36, v38, v36
	v_cndmask_b32_e32 v35, v35, v33, vcc_lo
	s_delay_alu instid0(VALU_DEP_3) | instskip(NEXT) | instid1(VALU_DEP_3)
	v_cmp_eq_u32_e64 s6, 0, v0
	v_cndmask_b32_e64 v32, v37, v11, s4
	s_delay_alu instid0(VALU_DEP_4) | instskip(NEXT) | instid1(VALU_DEP_4)
	v_cndmask_b32_e64 v34, v36, v37, s4
	v_cndmask_b32_e64 v11, v11, v35, s4
	v_sub_nc_u32_e32 v36, 32, v0
	v_cndmask_b32_e64 v35, v35, v13, s4
	v_cndmask_b32_e64 v13, v13, v31, s4
	v_cndmask_b32_e64 v34, v34, v32, s5
	v_cndmask_b32_e64 v32, v32, v11, s5
	s_delay_alu instid0(VALU_DEP_4) | instskip(NEXT) | instid1(VALU_DEP_4)
	v_cndmask_b32_e64 v11, v11, v35, s5
	v_cndmask_b32_e64 v13, v35, v13, s5
	s_delay_alu instid0(VALU_DEP_3) | instskip(NEXT) | instid1(VALU_DEP_3)
	v_alignbit_b32 v37, v34, v32, v36
	v_alignbit_b32 v38, v32, v11, v36
	s_delay_alu instid0(VALU_DEP_3) | instskip(NEXT) | instid1(VALU_DEP_3)
	v_alignbit_b32 v36, v11, v13, v36
	v_cndmask_b32_e64 v0, v37, v34, s6
	s_delay_alu instid0(VALU_DEP_3) | instskip(NEXT) | instid1(VALU_DEP_3)
	v_cndmask_b32_e64 v32, v38, v32, s6
	v_cndmask_b32_e64 v11, v36, v11, s6
	s_delay_alu instid0(VALU_DEP_3) | instskip(NEXT) | instid1(VALU_DEP_3)
	v_bfe_u32 v33, v0, 29, 1
	v_alignbit_b32 v31, v0, v32, 30
	s_delay_alu instid0(VALU_DEP_3) | instskip(SKIP_1) | instid1(VALU_DEP_4)
	v_alignbit_b32 v32, v32, v11, 30
	v_alignbit_b32 v11, v11, v13, 30
	v_sub_nc_u32_e32 v34, 0, v33
	s_delay_alu instid0(VALU_DEP_1) | instskip(SKIP_3) | instid1(VALU_DEP_4)
	v_xor_b32_e32 v35, v31, v34
	v_cmp_ne_u32_e32 vcc_lo, v31, v34
	v_xor_b32_e32 v13, v32, v34
	v_xor_b32_e32 v11, v11, v34
	v_clz_i32_u32_e32 v37, v35
	s_delay_alu instid0(VALU_DEP_1) | instskip(NEXT) | instid1(VALU_DEP_1)
	v_add_nc_u32_e32 v36, 1, v37
	v_cndmask_b32_e32 v31, 33, v36, vcc_lo
	s_delay_alu instid0(VALU_DEP_1) | instskip(NEXT) | instid1(VALU_DEP_1)
	v_sub_nc_u32_e32 v32, 32, v31
	v_alignbit_b32 v34, v35, v13, v32
	v_alignbit_b32 v11, v13, v11, v32
	v_lshrrev_b32_e32 v13, 29, v0
	v_lshrrev_b32_e32 v0, 30, v0
	s_delay_alu instid0(VALU_DEP_3) | instskip(NEXT) | instid1(VALU_DEP_3)
	v_alignbit_b32 v32, v34, v11, 9
	v_lshlrev_b32_e32 v13, 31, v13
	v_alignbit_b32 v34, v31, v34, 9
	s_delay_alu instid0(VALU_DEP_4) | instskip(NEXT) | instid1(VALU_DEP_4)
	v_add_nc_u32_e32 v0, v33, v0
	v_clz_i32_u32_e32 v35, v32
	s_delay_alu instid0(VALU_DEP_3) | instskip(SKIP_1) | instid1(VALU_DEP_3)
	v_or_b32_e32 v34, v34, v13
	v_or_b32_e32 v13, 0x33800000, v13
	v_min_u32_e32 v35, 32, v35
	s_delay_alu instid0(VALU_DEP_3) | instskip(NEXT) | instid1(VALU_DEP_2)
	v_xor_b32_e32 v34, 1.0, v34
	v_sub_nc_u32_e32 v36, 31, v35
	v_add_lshl_u32 v31, v35, v31, 23
	s_delay_alu instid0(VALU_DEP_3) | instskip(NEXT) | instid1(VALU_DEP_3)
	v_mul_f32_e32 v35, 0x3fc90fda, v34
	v_alignbit_b32 v11, v32, v11, v36
	s_delay_alu instid0(VALU_DEP_3) | instskip(NEXT) | instid1(VALU_DEP_3)
	v_sub_nc_u32_e32 v13, v13, v31
	v_fma_f32 v31, 0x3fc90fda, v34, -v35
	s_delay_alu instid0(VALU_DEP_3) | instskip(NEXT) | instid1(VALU_DEP_2)
	v_lshrrev_b32_e32 v11, 9, v11
	v_fmac_f32_e32 v31, 0x33a22168, v34
	s_delay_alu instid0(VALU_DEP_2) | instskip(NEXT) | instid1(VALU_DEP_1)
	v_or_b32_e32 v11, v13, v11
	v_fmac_f32_e32 v31, 0x3fc90fda, v11
	s_delay_alu instid0(VALU_DEP_1)
	v_add_f32_e32 v11, v35, v31
.LBB95_250:                             ;   in Loop: Header=BB95_161 Depth=1
	s_and_not1_saveexec_b32 s4, s29
; %bb.251:                              ;   in Loop: Header=BB95_161 Depth=1
	v_mul_f32_e64 v0, 0x3f22f983, |v7|
	s_delay_alu instid0(VALU_DEP_1) | instskip(NEXT) | instid1(VALU_DEP_1)
	v_rndne_f32_e32 v0, v0
	v_fma_f32 v11, 0xbfc90fda, v0, |v7|
	s_delay_alu instid0(VALU_DEP_1) | instskip(NEXT) | instid1(VALU_DEP_1)
	v_fmac_f32_e32 v11, 0xb3a22168, v0
	v_fmac_f32_e32 v11, 0xa7c234c4, v0
	v_cvt_i32_f32_e32 v0, v0
; %bb.252:                              ;   in Loop: Header=BB95_161 Depth=1
	s_or_b32 exec_lo, exec_lo, s4
	v_add_f32_e64 v13, 0xbf317218, |v8|
	v_cmp_nlt_f32_e64 vcc_lo, 0x42b2d4fc, |v8|
	v_cmp_gt_f32_e64 s4, 0x39800000, |v8|
	v_and_b32_e32 v0, 1, v0
	s_delay_alu instid0(VALU_DEP_4) | instskip(NEXT) | instid1(VALU_DEP_1)
	v_sub_f32_e64 v31, v13, |v8|
	v_dual_sub_f32 v32, v31, v13 :: v_dual_add_f32 v31, 0x3f317218, v31
	s_delay_alu instid0(VALU_DEP_1) | instskip(NEXT) | instid1(VALU_DEP_1)
	v_add_f32_e64 v32, |v8|, v32
	v_sub_f32_e32 v31, v32, v31
	s_delay_alu instid0(VALU_DEP_1) | instskip(NEXT) | instid1(VALU_DEP_1)
	v_add_f32_e32 v31, 0x3102e308, v31
	v_add_f32_e32 v32, v13, v31
	s_delay_alu instid0(VALU_DEP_1) | instskip(NEXT) | instid1(VALU_DEP_1)
	v_sub_f32_e32 v13, v13, v32
	v_add_f32_e32 v13, v31, v13
	v_mul_f32_e32 v33, 0x3fb8aa3b, v32
	s_delay_alu instid0(VALU_DEP_1) | instskip(NEXT) | instid1(VALU_DEP_1)
	v_rndne_f32_e32 v33, v33
	v_fmac_f32_e32 v32, 0xbf317200, v33
	s_delay_alu instid0(VALU_DEP_1) | instskip(NEXT) | instid1(VALU_DEP_1)
	v_dual_mul_f32 v31, 0x35bfbc00, v33 :: v_dual_add_f32 v34, v13, v32
	v_dual_sub_f32 v35, v34, v31 :: v_dual_sub_f32 v32, v32, v34
	s_delay_alu instid0(VALU_DEP_1) | instskip(NEXT) | instid1(VALU_DEP_1)
	v_dual_sub_f32 v34, v34, v35 :: v_dual_add_f32 v13, v13, v32
	v_sub_f32_e32 v31, v34, v31
	s_delay_alu instid0(VALU_DEP_1) | instskip(SKIP_1) | instid1(VALU_DEP_2)
	v_add_f32_e32 v13, v13, v31
	v_mul_f32_e32 v31, 0x2ea39ef3, v33
	v_add_f32_e32 v32, v35, v13
	s_delay_alu instid0(VALU_DEP_1) | instskip(NEXT) | instid1(VALU_DEP_1)
	v_dual_sub_f32 v34, v32, v31 :: v_dual_sub_f32 v35, v35, v32
	v_dual_sub_f32 v32, v32, v34 :: v_dual_add_f32 v13, v13, v35
	s_delay_alu instid0(VALU_DEP_1) | instskip(NEXT) | instid1(VALU_DEP_1)
	v_sub_f32_e32 v31, v32, v31
	v_add_f32_e32 v13, v13, v31
	s_delay_alu instid0(VALU_DEP_1) | instskip(NEXT) | instid1(VALU_DEP_1)
	v_add_f32_e32 v31, v34, v13
	v_sub_f32_e32 v32, v34, v31
	s_delay_alu instid0(VALU_DEP_1) | instskip(NEXT) | instid1(VALU_DEP_1)
	v_dual_mul_f32 v34, v31, v31 :: v_dual_add_f32 v13, v13, v32
	v_fma_f32 v35, v31, v31, -v34
	s_delay_alu instid0(VALU_DEP_2) | instskip(NEXT) | instid1(VALU_DEP_1)
	v_add_f32_e32 v36, v13, v13
	v_fmac_f32_e32 v35, v31, v36
	s_delay_alu instid0(VALU_DEP_1) | instskip(NEXT) | instid1(VALU_DEP_1)
	v_add_f32_e32 v36, v34, v35
	v_sub_f32_e32 v34, v36, v34
	v_fmaak_f32 v32, s24, v31, 0x3c091de6
	s_delay_alu instid0(VALU_DEP_2) | instskip(NEXT) | instid1(VALU_DEP_2)
	v_sub_f32_e32 v34, v35, v34
	v_fmaak_f32 v32, v31, v32, 0x3d2aadcc
	s_delay_alu instid0(VALU_DEP_1) | instskip(NEXT) | instid1(VALU_DEP_1)
	v_fmaak_f32 v32, v31, v32, 0x3e2aaa47
	v_fmaak_f32 v32, v31, v32, 0x3efffffc
	s_delay_alu instid0(VALU_DEP_1) | instskip(NEXT) | instid1(VALU_DEP_1)
	v_mul_f32_e32 v37, v32, v36
	v_fma_f32 v35, v36, v32, -v37
	s_delay_alu instid0(VALU_DEP_1) | instskip(NEXT) | instid1(VALU_DEP_1)
	v_fmac_f32_e32 v35, v34, v32
	v_add_f32_e32 v32, v37, v35
	s_delay_alu instid0(VALU_DEP_1) | instskip(NEXT) | instid1(VALU_DEP_1)
	v_add_f32_e32 v34, v31, v32
	v_dual_sub_f32 v36, v32, v37 :: v_dual_sub_f32 v31, v34, v31
	s_delay_alu instid0(VALU_DEP_1) | instskip(NEXT) | instid1(VALU_DEP_2)
	v_sub_f32_e32 v35, v35, v36
	v_sub_f32_e32 v31, v32, v31
	s_delay_alu instid0(VALU_DEP_2) | instskip(NEXT) | instid1(VALU_DEP_1)
	v_add_f32_e32 v13, v13, v35
	v_add_f32_e32 v13, v13, v31
	s_delay_alu instid0(VALU_DEP_1) | instskip(NEXT) | instid1(VALU_DEP_1)
	v_add_f32_e32 v31, v34, v13
	v_add_f32_e32 v32, 1.0, v31
	s_delay_alu instid0(VALU_DEP_1) | instskip(NEXT) | instid1(VALU_DEP_1)
	v_dual_sub_f32 v34, v31, v34 :: v_dual_add_f32 v35, -1.0, v32
	v_sub_f32_e32 v13, v13, v34
	s_delay_alu instid0(VALU_DEP_2) | instskip(NEXT) | instid1(VALU_DEP_1)
	v_sub_f32_e32 v31, v31, v35
	v_add_f32_e32 v13, v13, v31
	v_cvt_i32_f32_e32 v31, v33
	s_delay_alu instid0(VALU_DEP_2) | instskip(NEXT) | instid1(VALU_DEP_1)
	v_add_f32_e32 v33, v32, v13
	v_ldexp_f32 v34, v33, v31
	v_sub_f32_e32 v32, v33, v32
	s_delay_alu instid0(VALU_DEP_2) | instskip(NEXT) | instid1(VALU_DEP_1)
	v_rcp_f32_e32 v35, v34
	v_sub_f32_e32 v13, v13, v32
	s_delay_alu instid0(VALU_DEP_1) | instskip(SKIP_2) | instid1(VALU_DEP_1)
	v_ldexp_f32 v13, v13, v31
	s_waitcnt_depctr 0xfff
	v_mul_f32_e32 v32, v34, v35
	v_fma_f32 v31, v35, v34, -v32
	s_delay_alu instid0(VALU_DEP_1) | instskip(NEXT) | instid1(VALU_DEP_1)
	v_fmac_f32_e32 v31, v35, v13
	v_add_f32_e32 v33, v32, v31
	s_delay_alu instid0(VALU_DEP_1) | instskip(SKIP_1) | instid1(VALU_DEP_2)
	v_sub_f32_e32 v36, 1.0, v33
	v_sub_f32_e32 v32, v33, v32
	v_sub_f32_e32 v37, 1.0, v36
	s_delay_alu instid0(VALU_DEP_1) | instskip(NEXT) | instid1(VALU_DEP_1)
	v_dual_sub_f32 v31, v32, v31 :: v_dual_sub_f32 v32, v37, v33
	v_add_f32_e32 v31, v31, v32
	s_delay_alu instid0(VALU_DEP_1) | instskip(NEXT) | instid1(VALU_DEP_1)
	v_add_f32_e32 v32, v36, v31
	v_mul_f32_e32 v33, v35, v32
	s_delay_alu instid0(VALU_DEP_1) | instskip(NEXT) | instid1(VALU_DEP_1)
	v_dual_sub_f32 v36, v36, v32 :: v_dual_mul_f32 v37, v34, v33
	v_fma_f32 v38, v33, v34, -v37
	s_delay_alu instid0(VALU_DEP_1) | instskip(NEXT) | instid1(VALU_DEP_1)
	v_fmac_f32_e32 v38, v33, v13
	v_add_f32_e32 v39, v37, v38
	s_delay_alu instid0(VALU_DEP_1) | instskip(NEXT) | instid1(VALU_DEP_1)
	v_sub_f32_e32 v40, v32, v39
	v_sub_f32_e32 v32, v32, v40
	s_delay_alu instid0(VALU_DEP_1) | instskip(SKIP_1) | instid1(VALU_DEP_1)
	v_dual_sub_f32 v32, v32, v39 :: v_dual_add_f32 v31, v31, v36
	v_sub_f32_e32 v36, v39, v37
	v_dual_add_f32 v31, v31, v32 :: v_dual_sub_f32 v36, v36, v38
	s_delay_alu instid0(VALU_DEP_1) | instskip(NEXT) | instid1(VALU_DEP_1)
	v_dual_add_f32 v32, v35, v33 :: v_dual_add_f32 v31, v36, v31
	v_sub_f32_e32 v36, v32, v35
	s_delay_alu instid0(VALU_DEP_2) | instskip(NEXT) | instid1(VALU_DEP_2)
	v_add_f32_e32 v31, v40, v31
	v_sub_f32_e32 v33, v33, v36
	s_delay_alu instid0(VALU_DEP_2) | instskip(NEXT) | instid1(VALU_DEP_1)
	v_mul_f32_e32 v31, v35, v31
	v_add_f32_e32 v31, v33, v31
	s_delay_alu instid0(VALU_DEP_1) | instskip(NEXT) | instid1(VALU_DEP_1)
	v_add_f32_e32 v33, v32, v31
	v_ldexp_f32 v35, v33, -2
	v_sub_f32_e32 v32, v33, v32
	s_delay_alu instid0(VALU_DEP_1) | instskip(NEXT) | instid1(VALU_DEP_1)
	v_dual_sub_f32 v36, v34, v35 :: v_dual_sub_f32 v31, v31, v32
	v_sub_f32_e32 v33, v34, v36
	s_delay_alu instid0(VALU_DEP_2) | instskip(NEXT) | instid1(VALU_DEP_2)
	v_ldexp_f32 v31, v31, -2
	v_sub_f32_e32 v32, v33, v35
	v_xor_b32_e32 v33, 0x80000000, v8
	s_delay_alu instid0(VALU_DEP_2) | instskip(NEXT) | instid1(VALU_DEP_1)
	v_add_f32_e32 v13, v13, v32
	v_sub_f32_e32 v13, v13, v31
	v_mul_f32_e32 v31, v11, v11
	s_delay_alu instid0(VALU_DEP_1) | instskip(NEXT) | instid1(VALU_DEP_1)
	v_dual_add_f32 v13, v36, v13 :: v_dual_fmaak_f32 v32, s23, v31, 0xbf039337
	v_cndmask_b32_e32 v13, 0x7f800000, v13, vcc_lo
	s_delay_alu instid0(VALU_DEP_2) | instskip(NEXT) | instid1(VALU_DEP_2)
	v_fmaak_f32 v32, v31, v32, 0x3f93f425
	v_cndmask_b32_e64 v8, v13, |v8|, s4
	s_delay_alu instid0(VALU_DEP_2) | instskip(SKIP_1) | instid1(VALU_DEP_2)
	v_rcp_f32_e32 v13, v32
	v_fmaak_f32 v32, s22, v31, 0x3ec54587
	v_bfi_b32 v8, 0x7fffffff, v8, v33
	s_delay_alu instid0(VALU_DEP_1) | instskip(SKIP_4) | instid1(VALU_DEP_3)
	v_fma_f32 v33, v8, v8, 1.0
	s_waitcnt_depctr 0xfff
	v_mul_f32_e32 v13, v32, v13
	v_mul_f32_e32 v32, 0x4f800000, v33
	v_cmp_gt_f32_e32 vcc_lo, 0xf800000, v33
	v_mul_f32_e32 v13, v31, v13
	s_delay_alu instid0(VALU_DEP_3) | instskip(NEXT) | instid1(VALU_DEP_2)
	v_cndmask_b32_e32 v31, v33, v32, vcc_lo
	v_fma_f32 v32, v13, v11, v11
	s_delay_alu instid0(VALU_DEP_2) | instskip(NEXT) | instid1(VALU_DEP_1)
	v_sqrt_f32_e32 v33, v31
	v_rcp_f32_e32 v34, v32
	v_sub_f32_e32 v35, v32, v11
	s_delay_alu instid0(VALU_DEP_1) | instskip(SKIP_4) | instid1(VALU_DEP_3)
	v_fma_f32 v11, v13, v11, -v35
	s_waitcnt_depctr 0xfff
	v_add_nc_u32_e32 v36, -1, v33
	v_fma_f32 v13, v32, -v34, 1.0
	v_add_nc_u32_e32 v35, 1, v33
	v_fma_f32 v37, -v36, v33, v31
	s_delay_alu instid0(VALU_DEP_3) | instskip(NEXT) | instid1(VALU_DEP_3)
	v_fma_f32 v11, v11, -v34, v13
	v_fma_f32 v13, -v35, v33, v31
	s_delay_alu instid0(VALU_DEP_3) | instskip(NEXT) | instid1(VALU_DEP_3)
	v_cmp_ge_f32_e64 s4, 0, v37
	v_fma_f32 v11, v11, -v34, -v34
	s_delay_alu instid0(VALU_DEP_2) | instskip(NEXT) | instid1(VALU_DEP_4)
	v_cndmask_b32_e64 v33, v33, v36, s4
	v_cmp_lt_f32_e64 s4, 0, v13
	s_delay_alu instid0(VALU_DEP_1) | instskip(SKIP_1) | instid1(VALU_DEP_1)
	v_cndmask_b32_e64 v13, v33, v35, s4
	v_cmp_eq_u32_e64 s4, 0, v0
	v_cndmask_b32_e64 v0, v11, v32, s4
	s_delay_alu instid0(VALU_DEP_3) | instskip(NEXT) | instid1(VALU_DEP_2)
	v_mul_f32_e32 v11, 0x37800000, v13
	v_xor3_b32 v0, v10, v0, v7
	s_delay_alu instid0(VALU_DEP_2) | instskip(SKIP_1) | instid1(VALU_DEP_3)
	v_cndmask_b32_e32 v7, v13, v11, vcc_lo
	v_cmp_class_f32_e64 vcc_lo, v31, 0x260
	v_fma_f32 v10, v0, v0, 1.0
	s_delay_alu instid0(VALU_DEP_3) | instskip(NEXT) | instid1(VALU_DEP_2)
	v_cndmask_b32_e32 v7, v7, v31, vcc_lo
	v_mul_f32_e32 v11, v8, v10
	s_delay_alu instid0(VALU_DEP_2) | instskip(NEXT) | instid1(VALU_DEP_2)
	v_mul_f32_e32 v7, v7, v10
	v_fma_f32 v10, v8, v11, 1.0
	s_delay_alu instid0(VALU_DEP_2) | instskip(NEXT) | instid1(VALU_DEP_2)
	v_mul_f32_e32 v7, v8, v7
	v_div_scale_f32 v11, null, v10, v10, v0
	s_delay_alu instid0(VALU_DEP_2) | instskip(SKIP_1) | instid1(VALU_DEP_3)
	v_div_scale_f32 v8, null, v10, v10, v7
	v_div_scale_f32 v34, vcc_lo, v7, v10, v7
	v_rcp_f32_e32 v31, v11
	s_delay_alu instid0(VALU_DEP_2) | instskip(SKIP_3) | instid1(VALU_DEP_2)
	v_rcp_f32_e32 v13, v8
	s_waitcnt_depctr 0xfff
	v_fma_f32 v33, -v11, v31, 1.0
	v_fma_f32 v32, -v8, v13, 1.0
	v_fmac_f32_e32 v31, v33, v31
	s_delay_alu instid0(VALU_DEP_2) | instskip(SKIP_1) | instid1(VALU_DEP_2)
	v_fmac_f32_e32 v13, v32, v13
	v_div_scale_f32 v32, s4, v0, v10, v0
	v_mul_f32_e32 v33, v34, v13
	s_delay_alu instid0(VALU_DEP_2) | instskip(NEXT) | instid1(VALU_DEP_2)
	v_mul_f32_e32 v35, v32, v31
	v_fma_f32 v36, -v8, v33, v34
	s_delay_alu instid0(VALU_DEP_2) | instskip(NEXT) | instid1(VALU_DEP_2)
	v_fma_f32 v37, -v11, v35, v32
	v_fmac_f32_e32 v33, v36, v13
	s_delay_alu instid0(VALU_DEP_2) | instskip(NEXT) | instid1(VALU_DEP_2)
	v_fmac_f32_e32 v35, v37, v31
	v_fma_f32 v8, -v8, v33, v34
	s_delay_alu instid0(VALU_DEP_2) | instskip(NEXT) | instid1(VALU_DEP_2)
	v_fma_f32 v11, -v11, v35, v32
	v_div_fmas_f32 v8, v8, v13, v33
	s_mov_b32 vcc_lo, s4
	s_delay_alu instid0(VALU_DEP_2) | instskip(NEXT) | instid1(VALU_DEP_2)
	v_div_fmas_f32 v11, v11, v31, v35
	v_div_fixup_f32 v13, v8, v10, v7
                                        ; implicit-def: $vgpr7
	s_delay_alu instid0(VALU_DEP_2)
	v_div_fixup_f32 v11, v11, v10, v0
                                        ; implicit-def: $vgpr10
.LBB95_253:                             ;   in Loop: Header=BB95_161 Depth=1
	s_and_not1_saveexec_b32 s28, s28
	s_cbranch_execz .LBB95_263
; %bb.254:                              ;   in Loop: Header=BB95_161 Depth=1
	v_cmp_ngt_f32_e64 s29, 0x48000000, |v7|
                                        ; implicit-def: $vgpr13
                                        ; implicit-def: $vgpr11
	s_delay_alu instid0(VALU_DEP_1) | instskip(NEXT) | instid1(SALU_CYCLE_1)
	s_and_saveexec_b32 s4, s29
	s_xor_b32 s30, exec_lo, s4
	s_cbranch_execz .LBB95_256
; %bb.255:                              ;   in Loop: Header=BB95_161 Depth=1
	v_and_or_b32 v11, v10, s7, 0x800000
	v_lshrrev_b32_e32 v13, 23, v10
	s_delay_alu instid0(VALU_DEP_2) | instskip(NEXT) | instid1(VALU_DEP_2)
	v_mad_u64_u32 v[31:32], null, 0xfe5163ab, v11, 0
	v_add_nc_u32_e32 v13, 0xffffff88, v13
	s_delay_alu instid0(VALU_DEP_1) | instskip(NEXT) | instid1(VALU_DEP_3)
	v_cmp_lt_u32_e32 vcc_lo, 63, v13
	v_mov_b32_e32 v0, v32
	v_cndmask_b32_e64 v37, 0, 0xffffffc0, vcc_lo
	s_delay_alu instid0(VALU_DEP_2) | instskip(NEXT) | instid1(VALU_DEP_2)
	v_mad_u64_u32 v[32:33], null, 0x3c439041, v11, v[0:1]
	v_add_nc_u32_e32 v13, v37, v13
	s_delay_alu instid0(VALU_DEP_1) | instskip(NEXT) | instid1(VALU_DEP_1)
	v_cmp_lt_u32_e64 s4, 31, v13
	v_cndmask_b32_e64 v38, 0, 0xffffffe0, s4
	s_delay_alu instid0(VALU_DEP_1) | instskip(NEXT) | instid1(VALU_DEP_1)
	v_dual_mov_b32 v0, v33 :: v_dual_add_nc_u32 v13, v38, v13
	v_mad_u64_u32 v[33:34], null, 0xdb629599, v11, v[0:1]
	s_delay_alu instid0(VALU_DEP_2) | instskip(NEXT) | instid1(VALU_DEP_2)
	v_cmp_lt_u32_e64 s5, 31, v13
	v_dual_mov_b32 v0, v34 :: v_dual_cndmask_b32 v31, v33, v31
	s_delay_alu instid0(VALU_DEP_1) | instskip(NEXT) | instid1(VALU_DEP_1)
	v_mad_u64_u32 v[34:35], null, 0xf534ddc0, v11, v[0:1]
	v_mov_b32_e32 v0, v35
	s_delay_alu instid0(VALU_DEP_1) | instskip(NEXT) | instid1(VALU_DEP_1)
	v_mad_u64_u32 v[35:36], null, 0xfc2757d1, v11, v[0:1]
	v_mov_b32_e32 v0, v36
	;; [unrolled: 3-line block ×3, first 2 shown]
	s_delay_alu instid0(VALU_DEP_1) | instskip(SKIP_1) | instid1(VALU_DEP_4)
	v_mad_u64_u32 v[37:38], null, 0xa2f9836e, v11, v[0:1]
	v_cndmask_b32_e64 v0, 0, 0xffffffe0, s5
	v_cndmask_b32_e32 v11, v36, v34, vcc_lo
	s_delay_alu instid0(VALU_DEP_2) | instskip(NEXT) | instid1(VALU_DEP_4)
	v_dual_cndmask_b32 v13, v34, v32 :: v_dual_add_nc_u32 v0, v0, v13
	v_dual_cndmask_b32 v37, v37, v35 :: v_dual_cndmask_b32 v36, v38, v36
	v_cndmask_b32_e32 v35, v35, v33, vcc_lo
	s_delay_alu instid0(VALU_DEP_3) | instskip(NEXT) | instid1(VALU_DEP_3)
	v_cmp_eq_u32_e64 s6, 0, v0
	v_cndmask_b32_e64 v32, v37, v11, s4
	s_delay_alu instid0(VALU_DEP_4) | instskip(NEXT) | instid1(VALU_DEP_4)
	v_cndmask_b32_e64 v34, v36, v37, s4
	v_cndmask_b32_e64 v11, v11, v35, s4
	v_sub_nc_u32_e32 v36, 32, v0
	v_cndmask_b32_e64 v35, v35, v13, s4
	v_cndmask_b32_e64 v13, v13, v31, s4
	;; [unrolled: 1-line block ×4, first 2 shown]
	s_delay_alu instid0(VALU_DEP_4) | instskip(NEXT) | instid1(VALU_DEP_4)
	v_cndmask_b32_e64 v11, v11, v35, s5
	v_cndmask_b32_e64 v13, v35, v13, s5
	s_delay_alu instid0(VALU_DEP_3) | instskip(NEXT) | instid1(VALU_DEP_3)
	v_alignbit_b32 v37, v34, v32, v36
	v_alignbit_b32 v38, v32, v11, v36
	s_delay_alu instid0(VALU_DEP_3) | instskip(NEXT) | instid1(VALU_DEP_3)
	v_alignbit_b32 v36, v11, v13, v36
	v_cndmask_b32_e64 v0, v37, v34, s6
	s_delay_alu instid0(VALU_DEP_3) | instskip(NEXT) | instid1(VALU_DEP_3)
	v_cndmask_b32_e64 v32, v38, v32, s6
	v_cndmask_b32_e64 v11, v36, v11, s6
	s_delay_alu instid0(VALU_DEP_3) | instskip(NEXT) | instid1(VALU_DEP_3)
	v_bfe_u32 v33, v0, 29, 1
	v_alignbit_b32 v31, v0, v32, 30
	s_delay_alu instid0(VALU_DEP_3) | instskip(SKIP_1) | instid1(VALU_DEP_4)
	v_alignbit_b32 v32, v32, v11, 30
	v_alignbit_b32 v11, v11, v13, 30
	v_sub_nc_u32_e32 v34, 0, v33
	s_delay_alu instid0(VALU_DEP_1) | instskip(SKIP_3) | instid1(VALU_DEP_4)
	v_xor_b32_e32 v35, v31, v34
	v_cmp_ne_u32_e32 vcc_lo, v31, v34
	v_xor_b32_e32 v13, v32, v34
	v_xor_b32_e32 v11, v11, v34
	v_clz_i32_u32_e32 v37, v35
	s_delay_alu instid0(VALU_DEP_1) | instskip(NEXT) | instid1(VALU_DEP_1)
	v_add_nc_u32_e32 v36, 1, v37
	v_cndmask_b32_e32 v31, 33, v36, vcc_lo
	s_delay_alu instid0(VALU_DEP_1) | instskip(NEXT) | instid1(VALU_DEP_1)
	v_sub_nc_u32_e32 v32, 32, v31
	v_alignbit_b32 v34, v35, v13, v32
	v_alignbit_b32 v11, v13, v11, v32
	v_lshrrev_b32_e32 v13, 29, v0
	v_lshrrev_b32_e32 v0, 30, v0
	s_delay_alu instid0(VALU_DEP_3) | instskip(NEXT) | instid1(VALU_DEP_3)
	v_alignbit_b32 v32, v34, v11, 9
	v_lshlrev_b32_e32 v13, 31, v13
	v_alignbit_b32 v34, v31, v34, 9
	s_delay_alu instid0(VALU_DEP_3) | instskip(NEXT) | instid1(VALU_DEP_2)
	v_clz_i32_u32_e32 v35, v32
	v_or_b32_e32 v34, v34, v13
	v_or_b32_e32 v13, 0x33800000, v13
	s_delay_alu instid0(VALU_DEP_3) | instskip(NEXT) | instid1(VALU_DEP_3)
	v_min_u32_e32 v35, 32, v35
	v_xor_b32_e32 v34, 1.0, v34
	s_delay_alu instid0(VALU_DEP_2) | instskip(SKIP_1) | instid1(VALU_DEP_3)
	v_sub_nc_u32_e32 v36, 31, v35
	v_add_lshl_u32 v31, v35, v31, 23
	v_mul_f32_e32 v35, 0x3fc90fda, v34
	s_delay_alu instid0(VALU_DEP_3) | instskip(NEXT) | instid1(VALU_DEP_3)
	v_alignbit_b32 v11, v32, v11, v36
	v_sub_nc_u32_e32 v13, v13, v31
	s_delay_alu instid0(VALU_DEP_3) | instskip(NEXT) | instid1(VALU_DEP_3)
	v_fma_f32 v31, 0x3fc90fda, v34, -v35
	v_lshrrev_b32_e32 v11, 9, v11
	s_delay_alu instid0(VALU_DEP_2) | instskip(NEXT) | instid1(VALU_DEP_2)
	v_fmac_f32_e32 v31, 0x33a22168, v34
	v_or_b32_e32 v11, v13, v11
	v_add_nc_u32_e32 v13, v33, v0
	s_delay_alu instid0(VALU_DEP_2) | instskip(NEXT) | instid1(VALU_DEP_1)
	v_fmac_f32_e32 v31, 0x3fc90fda, v11
	v_add_f32_e32 v11, v35, v31
	s_and_not1_saveexec_b32 s4, s30
	s_branch .LBB95_257
.LBB95_256:                             ;   in Loop: Header=BB95_161 Depth=1
	s_and_not1_saveexec_b32 s4, s30
.LBB95_257:                             ;   in Loop: Header=BB95_161 Depth=1
	v_mul_f32_e64 v0, 0x3f22f983, |v7|
	s_delay_alu instid0(VALU_DEP_1) | instskip(NEXT) | instid1(VALU_DEP_1)
	v_rndne_f32_e32 v0, v0
	v_fma_f32 v11, 0xbfc90fda, v0, |v7|
	v_cvt_i32_f32_e32 v13, v0
	s_delay_alu instid0(VALU_DEP_2) | instskip(NEXT) | instid1(VALU_DEP_1)
	v_fmac_f32_e32 v11, 0xb3a22168, v0
	v_fmac_f32_e32 v11, 0xa7c234c4, v0
; %bb.258:                              ;   in Loop: Header=BB95_161 Depth=1
	s_or_b32 exec_lo, exec_lo, s4
                                        ; implicit-def: $vgpr31
                                        ; implicit-def: $vgpr0
	s_and_saveexec_b32 s4, s29
	s_delay_alu instid0(SALU_CYCLE_1)
	s_xor_b32 s29, exec_lo, s4
	s_cbranch_execz .LBB95_260
; %bb.259:                              ;   in Loop: Header=BB95_161 Depth=1
	v_and_or_b32 v39, v10, s7, 0x800000
	v_lshrrev_b32_e32 v36, 23, v10
	s_delay_alu instid0(VALU_DEP_2) | instskip(NEXT) | instid1(VALU_DEP_2)
	v_mad_u64_u32 v[31:32], null, 0xfe5163ab, v39, 0
	v_add_nc_u32_e32 v37, 0xffffff88, v36
	s_delay_alu instid0(VALU_DEP_1) | instskip(NEXT) | instid1(VALU_DEP_3)
	v_cmp_lt_u32_e32 vcc_lo, 63, v37
	v_mov_b32_e32 v0, v32
	v_cndmask_b32_e64 v38, 0, 0xffffffc0, vcc_lo
	s_delay_alu instid0(VALU_DEP_2) | instskip(NEXT) | instid1(VALU_DEP_2)
	v_mad_u64_u32 v[32:33], null, 0x3c439041, v39, v[0:1]
	v_add_nc_u32_e32 v38, v38, v37
	s_delay_alu instid0(VALU_DEP_2) | instskip(NEXT) | instid1(VALU_DEP_2)
	v_mov_b32_e32 v0, v33
	v_cmp_lt_u32_e64 s4, 31, v38
	s_delay_alu instid0(VALU_DEP_2) | instskip(NEXT) | instid1(VALU_DEP_2)
	v_mad_u64_u32 v[33:34], null, 0xdb629599, v39, v[0:1]
	v_cndmask_b32_e64 v40, 0, 0xffffffe0, s4
	s_delay_alu instid0(VALU_DEP_1) | instskip(NEXT) | instid1(VALU_DEP_3)
	v_add_nc_u32_e32 v40, v40, v38
	v_dual_mov_b32 v0, v34 :: v_dual_cndmask_b32 v31, v33, v31
	s_delay_alu instid0(VALU_DEP_2) | instskip(NEXT) | instid1(VALU_DEP_2)
	v_cmp_lt_u32_e64 s5, 31, v40
	v_mad_u64_u32 v[34:35], null, 0xf534ddc0, v39, v[0:1]
	s_delay_alu instid0(VALU_DEP_1) | instskip(NEXT) | instid1(VALU_DEP_2)
	v_mov_b32_e32 v0, v35
	v_cndmask_b32_e32 v32, v34, v32, vcc_lo
	s_delay_alu instid0(VALU_DEP_2) | instskip(NEXT) | instid1(VALU_DEP_2)
	v_mad_u64_u32 v[35:36], null, 0xfc2757d1, v39, v[0:1]
	v_cndmask_b32_e64 v31, v32, v31, s4
	s_delay_alu instid0(VALU_DEP_2) | instskip(NEXT) | instid1(VALU_DEP_1)
	v_mov_b32_e32 v0, v36
	v_mad_u64_u32 v[36:37], null, 0x4e441529, v39, v[0:1]
	s_delay_alu instid0(VALU_DEP_1) | instskip(NEXT) | instid1(VALU_DEP_1)
	v_mov_b32_e32 v0, v37
	v_mad_u64_u32 v[37:38], null, 0xa2f9836e, v39, v[0:1]
	v_cndmask_b32_e64 v0, 0, 0xffffffe0, s5
	s_delay_alu instid0(VALU_DEP_4) | instskip(NEXT) | instid1(VALU_DEP_2)
	v_cndmask_b32_e32 v39, v36, v34, vcc_lo
	v_dual_cndmask_b32 v37, v37, v35 :: v_dual_add_nc_u32 v0, v0, v40
	s_delay_alu instid0(VALU_DEP_4) | instskip(NEXT) | instid1(VALU_DEP_2)
	v_dual_cndmask_b32 v36, v38, v36 :: v_dual_cndmask_b32 v35, v35, v33
	v_sub_nc_u32_e32 v38, 32, v0
	s_delay_alu instid0(VALU_DEP_3) | instskip(NEXT) | instid1(VALU_DEP_3)
	v_cndmask_b32_e64 v34, v37, v39, s4
	v_cndmask_b32_e64 v36, v36, v37, s4
	s_delay_alu instid0(VALU_DEP_4) | instskip(SKIP_2) | instid1(VALU_DEP_4)
	v_cndmask_b32_e64 v37, v39, v35, s4
	v_cndmask_b32_e64 v35, v35, v32, s4
	v_cmp_eq_u32_e64 s6, 0, v0
	v_cndmask_b32_e64 v36, v36, v34, s5
	s_delay_alu instid0(VALU_DEP_4) | instskip(NEXT) | instid1(VALU_DEP_4)
	v_cndmask_b32_e64 v34, v34, v37, s5
	v_cndmask_b32_e64 v37, v37, v35, s5
	;; [unrolled: 1-line block ×3, first 2 shown]
	s_delay_alu instid0(VALU_DEP_3) | instskip(NEXT) | instid1(VALU_DEP_3)
	v_alignbit_b32 v39, v36, v34, v38
	v_alignbit_b32 v40, v34, v37, v38
	s_delay_alu instid0(VALU_DEP_3) | instskip(NEXT) | instid1(VALU_DEP_3)
	v_alignbit_b32 v38, v37, v31, v38
	v_cndmask_b32_e64 v0, v39, v36, s6
	s_delay_alu instid0(VALU_DEP_3) | instskip(NEXT) | instid1(VALU_DEP_3)
	v_cndmask_b32_e64 v33, v40, v34, s6
	v_cndmask_b32_e64 v37, v38, v37, s6
	s_delay_alu instid0(VALU_DEP_3) | instskip(NEXT) | instid1(VALU_DEP_3)
	v_bfe_u32 v34, v0, 29, 1
	v_alignbit_b32 v32, v0, v33, 30
	s_delay_alu instid0(VALU_DEP_3) | instskip(SKIP_1) | instid1(VALU_DEP_4)
	v_alignbit_b32 v33, v33, v37, 30
	v_alignbit_b32 v31, v37, v31, 30
	v_sub_nc_u32_e32 v36, 0, v34
	s_delay_alu instid0(VALU_DEP_1) | instskip(SKIP_3) | instid1(VALU_DEP_4)
	v_xor_b32_e32 v35, v32, v36
	v_cmp_ne_u32_e32 vcc_lo, v32, v36
	v_xor_b32_e32 v33, v33, v36
	v_xor_b32_e32 v31, v31, v36
	v_clz_i32_u32_e32 v39, v35
	s_delay_alu instid0(VALU_DEP_1) | instskip(NEXT) | instid1(VALU_DEP_1)
	v_add_nc_u32_e32 v38, 1, v39
	v_cndmask_b32_e32 v32, 33, v38, vcc_lo
	s_delay_alu instid0(VALU_DEP_1) | instskip(NEXT) | instid1(VALU_DEP_1)
	v_sub_nc_u32_e32 v37, 32, v32
	v_alignbit_b32 v35, v35, v33, v37
	v_alignbit_b32 v31, v33, v31, v37
	v_lshrrev_b32_e32 v33, 29, v0
	s_delay_alu instid0(VALU_DEP_2) | instskip(NEXT) | instid1(VALU_DEP_2)
	v_alignbit_b32 v36, v35, v31, 9
	v_lshlrev_b32_e32 v33, 31, v33
	v_alignbit_b32 v35, v32, v35, 9
	s_delay_alu instid0(VALU_DEP_3) | instskip(NEXT) | instid1(VALU_DEP_2)
	v_clz_i32_u32_e32 v37, v36
	v_or_b32_e32 v35, v35, v33
	v_or_b32_e32 v33, 0x33800000, v33
	s_delay_alu instid0(VALU_DEP_3) | instskip(NEXT) | instid1(VALU_DEP_3)
	v_min_u32_e32 v37, 32, v37
	v_xor_b32_e32 v35, 1.0, v35
	s_delay_alu instid0(VALU_DEP_2) | instskip(SKIP_1) | instid1(VALU_DEP_3)
	v_sub_nc_u32_e32 v38, 31, v37
	v_add_lshl_u32 v32, v37, v32, 23
	v_mul_f32_e32 v37, 0x3fc90fda, v35
	s_delay_alu instid0(VALU_DEP_3) | instskip(NEXT) | instid1(VALU_DEP_3)
	v_alignbit_b32 v31, v36, v31, v38
	v_sub_nc_u32_e32 v32, v33, v32
	s_delay_alu instid0(VALU_DEP_3) | instskip(NEXT) | instid1(VALU_DEP_3)
	v_fma_f32 v33, 0x3fc90fda, v35, -v37
	v_lshrrev_b32_e32 v31, 9, v31
	s_delay_alu instid0(VALU_DEP_2) | instskip(NEXT) | instid1(VALU_DEP_2)
	v_fmac_f32_e32 v33, 0x33a22168, v35
	v_or_b32_e32 v31, v32, v31
	s_delay_alu instid0(VALU_DEP_1) | instskip(SKIP_1) | instid1(VALU_DEP_1)
	v_fmac_f32_e32 v33, 0x3fc90fda, v31
	v_lshrrev_b32_e32 v31, 30, v0
	v_dual_add_f32 v0, v37, v33 :: v_dual_add_nc_u32 v31, v34, v31
	s_and_not1_saveexec_b32 s4, s29
	s_cbranch_execnz .LBB95_261
	s_branch .LBB95_262
.LBB95_260:                             ;   in Loop: Header=BB95_161 Depth=1
	s_and_not1_saveexec_b32 s4, s29
.LBB95_261:                             ;   in Loop: Header=BB95_161 Depth=1
	v_mul_f32_e64 v0, 0x3f22f983, |v7|
	s_delay_alu instid0(VALU_DEP_1) | instskip(NEXT) | instid1(VALU_DEP_1)
	v_rndne_f32_e32 v31, v0
	v_fma_f32 v0, 0xbfc90fda, v31, |v7|
	s_delay_alu instid0(VALU_DEP_1) | instskip(NEXT) | instid1(VALU_DEP_1)
	v_fmac_f32_e32 v0, 0xb3a22168, v31
	v_fmac_f32_e32 v0, 0xa7c234c4, v31
	v_cvt_i32_f32_e32 v31, v31
.LBB95_262:                             ;   in Loop: Header=BB95_161 Depth=1
	s_or_b32 exec_lo, exec_lo, s4
	v_mul_f32_e64 v34, 0xbfb8aa3b, |v8|
	v_dual_mul_f32 v32, v11, v11 :: v_dual_and_b32 v33, 1, v13
	v_lshlrev_b32_e32 v13, 30, v13
	s_delay_alu instid0(VALU_DEP_3) | instskip(NEXT) | instid1(VALU_DEP_3)
	v_rndne_f32_e32 v38, v34
	v_fmaak_f32 v36, s26, v32, 0xbab64f3b
	v_mul_f32_e32 v37, v0, v0
	v_fma_f32 v39, 0xbfb8aa3b, |v8|, -v34
	v_cmp_eq_u32_e32 vcc_lo, 0, v33
	v_dual_sub_f32 v34, v34, v38 :: v_dual_fmaak_f32 v35, s25, v32, 0x3c0881c4
	s_delay_alu instid0(VALU_DEP_4) | instskip(NEXT) | instid1(VALU_DEP_4)
	v_fmaak_f32 v40, s25, v37, 0x3c0881c4
	v_fma_f32 v39, 0xb2a5705f, |v8|, v39
	v_fmaak_f32 v41, s26, v37, 0xbab64f3b
	v_and_b32_e32 v33, 1, v31
	s_delay_alu instid0(VALU_DEP_4) | instskip(NEXT) | instid1(VALU_DEP_4)
	v_dual_fmaak_f32 v35, v32, v35, 0xbe2aaa9d :: v_dual_fmaak_f32 v40, v37, v40, 0xbe2aaa9d
	v_add_f32_e32 v34, v34, v39
	s_delay_alu instid0(VALU_DEP_2) | instskip(SKIP_1) | instid1(VALU_DEP_3)
	v_mul_f32_e32 v35, v32, v35
	v_fmaak_f32 v36, v32, v36, 0x3d2aabf7
	v_exp_f32_e32 v34, v34
	s_delay_alu instid0(VALU_DEP_1) | instskip(NEXT) | instid1(VALU_DEP_1)
	v_dual_fmac_f32 v11, v11, v35 :: v_dual_fmaak_f32 v36, v32, v36, 0xbf000004
	v_fma_f32 v32, v32, v36, 1.0
	v_dual_mul_f32 v36, v37, v40 :: v_dual_and_b32 v13, 0x80000000, v13
	s_delay_alu instid0(VALU_DEP_2) | instskip(NEXT) | instid1(VALU_DEP_2)
	v_cndmask_b32_e32 v11, v32, v11, vcc_lo
	v_fmac_f32_e32 v0, v0, v36
	s_delay_alu instid0(VALU_DEP_3) | instskip(SKIP_2) | instid1(VALU_DEP_3)
	v_xor_b32_e32 v10, v10, v13
	v_cvt_i32_f32_e32 v13, v38
	v_cmp_eq_u32_e32 vcc_lo, 0, v33
	v_xor3_b32 v7, v10, v11, v7
	s_delay_alu instid0(VALU_DEP_3) | instskip(SKIP_1) | instid1(VALU_DEP_3)
	v_ldexp_f32 v10, v34, v13
	v_fmaak_f32 v35, v37, v41, 0x3d2aabf7
	v_mul_f32_e32 v7, 4.0, v7
	s_delay_alu instid0(VALU_DEP_2) | instskip(NEXT) | instid1(VALU_DEP_1)
	v_fmaak_f32 v32, v37, v35, 0xbf000004
	v_fma_f32 v32, v37, v32, 1.0
	s_delay_alu instid0(VALU_DEP_1) | instskip(SKIP_3) | instid1(VALU_DEP_2)
	v_cndmask_b32_e64 v0, -v0, v32, vcc_lo
	v_cmp_nlt_f32_e64 vcc_lo, 0x42ce8ed0, |v8|
	v_cndmask_b32_e32 v10, 0, v10, vcc_lo
	v_cmp_ngt_f32_e64 vcc_lo, 0xc2b17218, |v8|
	v_dual_cndmask_b32 v10, 0x7f800000, v10 :: v_dual_lshlrev_b32 v31, 30, v31
	s_delay_alu instid0(VALU_DEP_1) | instskip(NEXT) | instid1(VALU_DEP_1)
	v_and_b32_e32 v11, 0x80000000, v31
	v_xor_b32_e32 v0, v11, v0
	s_delay_alu instid0(VALU_DEP_1) | instskip(SKIP_1) | instid1(VALU_DEP_2)
	v_mul_f32_e32 v0, v7, v0
	v_xor_b32_e32 v7, 0x80000000, v8
	v_mul_f32_e32 v0, v10, v0
	s_delay_alu instid0(VALU_DEP_2) | instskip(NEXT) | instid1(VALU_DEP_2)
	v_bfi_b32 v13, 0x7fffffff, 1.0, v7
	v_mul_f32_e32 v11, v10, v0
.LBB95_263:                             ;   in Loop: Header=BB95_161 Depth=1
	s_or_b32 exec_lo, exec_lo, s28
                                        ; implicit-def: $vgpr7
.LBB95_264:                             ;   in Loop: Header=BB95_161 Depth=1
	s_and_not1_saveexec_b32 s4, s27
; %bb.265:                              ;   in Loop: Header=BB95_161 Depth=1
	v_sub_f32_e32 v11, v7, v7
	s_delay_alu instid0(VALU_DEP_1)
	v_mov_b32_e32 v13, v11
; %bb.266:                              ;   in Loop: Header=BB95_161 Depth=1
	s_or_b32 exec_lo, exec_lo, s4
                                        ; implicit-def: $vgpr8
.LBB95_267:                             ;   in Loop: Header=BB95_161 Depth=1
	s_and_not1_saveexec_b32 s13, s13
	s_cbranch_execz .LBB95_283
; %bb.268:                              ;   in Loop: Header=BB95_161 Depth=1
	v_xor_b32_e32 v13, 0x80000000, v8
	s_mov_b32 s4, exec_lo
                                        ; implicit-def: $vgpr11
	s_delay_alu instid0(VALU_DEP_1) | instskip(NEXT) | instid1(VALU_DEP_1)
	v_and_b32_e32 v0, 0x7fffff, v13
	v_cmpx_ne_u32_e32 0, v0
	s_xor_b32 s4, exec_lo, s4
; %bb.269:                              ;   in Loop: Header=BB95_161 Depth=1
	v_mul_f32_e64 v0, v7, -v8
	v_cmp_eq_f32_e32 vcc_lo, 0, v7
	s_delay_alu instid0(VALU_DEP_2)
	v_cndmask_b32_e32 v11, v0, v7, vcc_lo
                                        ; implicit-def: $vgpr7
; %bb.270:                              ;   in Loop: Header=BB95_161 Depth=1
	s_and_not1_saveexec_b32 s27, s4
	s_cbranch_execz .LBB95_282
; %bb.271:                              ;   in Loop: Header=BB95_161 Depth=1
	s_mov_b32 s28, exec_lo
	v_cmpx_neq_f32_e64 0x7f800000, |v7|
	s_cbranch_execz .LBB95_281
; %bb.272:                              ;   in Loop: Header=BB95_161 Depth=1
	v_and_b32_e32 v8, 0x7fffffff, v7
	v_cmp_ngt_f32_e64 s29, 0x48000000, |v7|
                                        ; implicit-def: $vgpr11
                                        ; implicit-def: $vgpr10
	s_delay_alu instid0(VALU_DEP_1) | instskip(NEXT) | instid1(SALU_CYCLE_1)
	s_and_saveexec_b32 s4, s29
	s_xor_b32 s30, exec_lo, s4
	s_cbranch_execz .LBB95_274
; %bb.273:                              ;   in Loop: Header=BB95_161 Depth=1
	v_and_or_b32 v38, v8, s7, 0x800000
	s_delay_alu instid0(VALU_DEP_1) | instskip(NEXT) | instid1(VALU_DEP_1)
	v_mad_u64_u32 v[10:11], null, 0xfe5163ab, v38, 0
	v_mov_b32_e32 v0, v11
	v_lshrrev_b32_e32 v11, 23, v8
	s_delay_alu instid0(VALU_DEP_1) | instskip(NEXT) | instid1(VALU_DEP_3)
	v_add_nc_u32_e32 v11, 0xffffff88, v11
	v_mad_u64_u32 v[31:32], null, 0x3c439041, v38, v[0:1]
	s_delay_alu instid0(VALU_DEP_2) | instskip(SKIP_1) | instid1(VALU_DEP_1)
	v_cmp_lt_u32_e32 vcc_lo, 63, v11
	v_cndmask_b32_e64 v36, 0, 0xffffffc0, vcc_lo
	v_add_nc_u32_e32 v11, v36, v11
	s_delay_alu instid0(VALU_DEP_1) | instskip(NEXT) | instid1(VALU_DEP_1)
	v_cmp_lt_u32_e64 s4, 31, v11
	v_cndmask_b32_e64 v37, 0, 0xffffffe0, s4
	s_delay_alu instid0(VALU_DEP_1) | instskip(NEXT) | instid1(VALU_DEP_1)
	v_dual_mov_b32 v0, v32 :: v_dual_add_nc_u32 v11, v37, v11
	v_mad_u64_u32 v[32:33], null, 0xdb629599, v38, v[0:1]
	s_delay_alu instid0(VALU_DEP_2) | instskip(NEXT) | instid1(VALU_DEP_2)
	v_cmp_lt_u32_e64 s5, 31, v11
	v_mov_b32_e32 v0, v33
	s_delay_alu instid0(VALU_DEP_3) | instskip(NEXT) | instid1(VALU_DEP_2)
	v_cndmask_b32_e32 v10, v32, v10, vcc_lo
	v_mad_u64_u32 v[33:34], null, 0xf534ddc0, v38, v[0:1]
	s_delay_alu instid0(VALU_DEP_1) | instskip(NEXT) | instid1(VALU_DEP_1)
	v_mov_b32_e32 v0, v34
	v_mad_u64_u32 v[34:35], null, 0xfc2757d1, v38, v[0:1]
	s_delay_alu instid0(VALU_DEP_1) | instskip(NEXT) | instid1(VALU_DEP_1)
	v_mov_b32_e32 v0, v35
	;; [unrolled: 3-line block ×3, first 2 shown]
	v_mad_u64_u32 v[36:37], null, 0xa2f9836e, v38, v[0:1]
	v_cndmask_b32_e64 v0, 0, 0xffffffe0, s5
	s_delay_alu instid0(VALU_DEP_4) | instskip(NEXT) | instid1(VALU_DEP_2)
	v_cndmask_b32_e32 v38, v35, v33, vcc_lo
	v_add_nc_u32_e32 v0, v0, v11
	s_delay_alu instid0(VALU_DEP_4) | instskip(SKIP_1) | instid1(VALU_DEP_3)
	v_dual_cndmask_b32 v36, v36, v34 :: v_dual_cndmask_b32 v35, v37, v35
	v_dual_cndmask_b32 v34, v34, v32 :: v_dual_cndmask_b32 v11, v33, v31
	v_cmp_eq_u32_e64 s6, 0, v0
	s_delay_alu instid0(VALU_DEP_3) | instskip(NEXT) | instid1(VALU_DEP_4)
	v_cndmask_b32_e64 v31, v36, v38, s4
	v_cndmask_b32_e64 v33, v35, v36, s4
	s_delay_alu instid0(VALU_DEP_4)
	v_cndmask_b32_e64 v35, v38, v34, s4
	v_sub_nc_u32_e32 v36, 32, v0
	v_cndmask_b32_e64 v34, v34, v11, s4
	v_cndmask_b32_e64 v10, v11, v10, s4
	v_cndmask_b32_e64 v33, v33, v31, s5
	v_cndmask_b32_e64 v31, v31, v35, s5
	s_delay_alu instid0(VALU_DEP_4) | instskip(NEXT) | instid1(VALU_DEP_4)
	v_cndmask_b32_e64 v35, v35, v34, s5
	v_cndmask_b32_e64 v10, v34, v10, s5
	s_delay_alu instid0(VALU_DEP_3) | instskip(NEXT) | instid1(VALU_DEP_3)
	v_alignbit_b32 v37, v33, v31, v36
	v_alignbit_b32 v38, v31, v35, v36
	s_delay_alu instid0(VALU_DEP_3) | instskip(NEXT) | instid1(VALU_DEP_3)
	v_alignbit_b32 v36, v35, v10, v36
	v_cndmask_b32_e64 v0, v37, v33, s6
	s_delay_alu instid0(VALU_DEP_3) | instskip(NEXT) | instid1(VALU_DEP_3)
	v_cndmask_b32_e64 v31, v38, v31, s6
	v_cndmask_b32_e64 v35, v36, v35, s6
	s_delay_alu instid0(VALU_DEP_3) | instskip(NEXT) | instid1(VALU_DEP_3)
	v_bfe_u32 v32, v0, 29, 1
	v_alignbit_b32 v11, v0, v31, 30
	s_delay_alu instid0(VALU_DEP_3) | instskip(SKIP_1) | instid1(VALU_DEP_4)
	v_alignbit_b32 v31, v31, v35, 30
	v_alignbit_b32 v10, v35, v10, 30
	v_sub_nc_u32_e32 v33, 0, v32
	s_delay_alu instid0(VALU_DEP_1) | instskip(SKIP_3) | instid1(VALU_DEP_4)
	v_xor_b32_e32 v34, v11, v33
	v_cmp_ne_u32_e32 vcc_lo, v11, v33
	v_xor_b32_e32 v31, v31, v33
	v_xor_b32_e32 v10, v10, v33
	v_clz_i32_u32_e32 v37, v34
	s_delay_alu instid0(VALU_DEP_1) | instskip(NEXT) | instid1(VALU_DEP_1)
	v_add_nc_u32_e32 v36, 1, v37
	v_cndmask_b32_e32 v11, 33, v36, vcc_lo
	s_delay_alu instid0(VALU_DEP_1) | instskip(NEXT) | instid1(VALU_DEP_1)
	v_sub_nc_u32_e32 v35, 32, v11
	v_alignbit_b32 v33, v34, v31, v35
	v_alignbit_b32 v10, v31, v10, v35
	v_lshrrev_b32_e32 v31, 29, v0
	v_lshrrev_b32_e32 v0, 30, v0
	s_delay_alu instid0(VALU_DEP_3) | instskip(NEXT) | instid1(VALU_DEP_3)
	v_alignbit_b32 v34, v33, v10, 9
	v_lshlrev_b32_e32 v31, 31, v31
	v_alignbit_b32 v33, v11, v33, 9
	s_delay_alu instid0(VALU_DEP_3) | instskip(NEXT) | instid1(VALU_DEP_2)
	v_clz_i32_u32_e32 v35, v34
	v_or_b32_e32 v33, v33, v31
	v_or_b32_e32 v31, 0x33800000, v31
	s_delay_alu instid0(VALU_DEP_3) | instskip(NEXT) | instid1(VALU_DEP_3)
	v_min_u32_e32 v35, 32, v35
	v_xor_b32_e32 v33, 1.0, v33
	s_delay_alu instid0(VALU_DEP_2) | instskip(SKIP_1) | instid1(VALU_DEP_3)
	v_sub_nc_u32_e32 v36, 31, v35
	v_add_lshl_u32 v11, v35, v11, 23
	v_mul_f32_e32 v35, 0x3fc90fda, v33
	s_delay_alu instid0(VALU_DEP_3) | instskip(NEXT) | instid1(VALU_DEP_3)
	v_alignbit_b32 v10, v34, v10, v36
	v_sub_nc_u32_e32 v11, v31, v11
	s_delay_alu instid0(VALU_DEP_3) | instskip(NEXT) | instid1(VALU_DEP_3)
	v_fma_f32 v31, 0x3fc90fda, v33, -v35
	v_lshrrev_b32_e32 v10, 9, v10
	s_delay_alu instid0(VALU_DEP_2) | instskip(NEXT) | instid1(VALU_DEP_2)
	v_fmac_f32_e32 v31, 0x33a22168, v33
	v_or_b32_e32 v10, v11, v10
	v_add_nc_u32_e32 v11, v32, v0
	s_delay_alu instid0(VALU_DEP_2) | instskip(NEXT) | instid1(VALU_DEP_1)
	v_fmac_f32_e32 v31, 0x3fc90fda, v10
	v_add_f32_e32 v10, v35, v31
	s_and_not1_saveexec_b32 s4, s30
	s_branch .LBB95_275
.LBB95_274:                             ;   in Loop: Header=BB95_161 Depth=1
	s_and_not1_saveexec_b32 s4, s30
.LBB95_275:                             ;   in Loop: Header=BB95_161 Depth=1
	v_mul_f32_e64 v0, 0x3f22f983, |v7|
	s_delay_alu instid0(VALU_DEP_1) | instskip(NEXT) | instid1(VALU_DEP_1)
	v_rndne_f32_e32 v0, v0
	v_fma_f32 v10, 0xbfc90fda, v0, |v7|
	v_cvt_i32_f32_e32 v11, v0
	s_delay_alu instid0(VALU_DEP_2) | instskip(NEXT) | instid1(VALU_DEP_1)
	v_fmac_f32_e32 v10, 0xb3a22168, v0
	v_fmac_f32_e32 v10, 0xa7c234c4, v0
; %bb.276:                              ;   in Loop: Header=BB95_161 Depth=1
	s_or_b32 exec_lo, exec_lo, s4
                                        ; implicit-def: $vgpr31
                                        ; implicit-def: $vgpr0
	s_and_saveexec_b32 s4, s29
	s_delay_alu instid0(SALU_CYCLE_1)
	s_xor_b32 s29, exec_lo, s4
	s_cbranch_execz .LBB95_278
; %bb.277:                              ;   in Loop: Header=BB95_161 Depth=1
	v_and_or_b32 v39, v8, s7, 0x800000
	v_lshrrev_b32_e32 v36, 23, v8
	s_delay_alu instid0(VALU_DEP_2) | instskip(NEXT) | instid1(VALU_DEP_2)
	v_mad_u64_u32 v[31:32], null, 0xfe5163ab, v39, 0
	v_add_nc_u32_e32 v37, 0xffffff88, v36
	s_delay_alu instid0(VALU_DEP_1) | instskip(NEXT) | instid1(VALU_DEP_3)
	v_cmp_lt_u32_e32 vcc_lo, 63, v37
	v_mov_b32_e32 v0, v32
	v_cndmask_b32_e64 v38, 0, 0xffffffc0, vcc_lo
	s_delay_alu instid0(VALU_DEP_2) | instskip(NEXT) | instid1(VALU_DEP_2)
	v_mad_u64_u32 v[32:33], null, 0x3c439041, v39, v[0:1]
	v_add_nc_u32_e32 v38, v38, v37
	s_delay_alu instid0(VALU_DEP_2) | instskip(NEXT) | instid1(VALU_DEP_2)
	v_mov_b32_e32 v0, v33
	v_cmp_lt_u32_e64 s4, 31, v38
	s_delay_alu instid0(VALU_DEP_2) | instskip(NEXT) | instid1(VALU_DEP_2)
	v_mad_u64_u32 v[33:34], null, 0xdb629599, v39, v[0:1]
	v_cndmask_b32_e64 v40, 0, 0xffffffe0, s4
	s_delay_alu instid0(VALU_DEP_1) | instskip(NEXT) | instid1(VALU_DEP_3)
	v_add_nc_u32_e32 v40, v40, v38
	v_dual_mov_b32 v0, v34 :: v_dual_cndmask_b32 v31, v33, v31
	s_delay_alu instid0(VALU_DEP_2) | instskip(NEXT) | instid1(VALU_DEP_2)
	v_cmp_lt_u32_e64 s5, 31, v40
	v_mad_u64_u32 v[34:35], null, 0xf534ddc0, v39, v[0:1]
	s_delay_alu instid0(VALU_DEP_1) | instskip(NEXT) | instid1(VALU_DEP_2)
	v_mov_b32_e32 v0, v35
	v_cndmask_b32_e32 v32, v34, v32, vcc_lo
	s_delay_alu instid0(VALU_DEP_2) | instskip(NEXT) | instid1(VALU_DEP_2)
	v_mad_u64_u32 v[35:36], null, 0xfc2757d1, v39, v[0:1]
	v_cndmask_b32_e64 v31, v32, v31, s4
	s_delay_alu instid0(VALU_DEP_2) | instskip(NEXT) | instid1(VALU_DEP_1)
	v_mov_b32_e32 v0, v36
	v_mad_u64_u32 v[36:37], null, 0x4e441529, v39, v[0:1]
	s_delay_alu instid0(VALU_DEP_1) | instskip(NEXT) | instid1(VALU_DEP_1)
	v_mov_b32_e32 v0, v37
	v_mad_u64_u32 v[37:38], null, 0xa2f9836e, v39, v[0:1]
	v_cndmask_b32_e64 v0, 0, 0xffffffe0, s5
	s_delay_alu instid0(VALU_DEP_4) | instskip(NEXT) | instid1(VALU_DEP_2)
	v_cndmask_b32_e32 v39, v36, v34, vcc_lo
	v_dual_cndmask_b32 v37, v37, v35 :: v_dual_add_nc_u32 v0, v0, v40
	s_delay_alu instid0(VALU_DEP_4) | instskip(NEXT) | instid1(VALU_DEP_2)
	v_dual_cndmask_b32 v36, v38, v36 :: v_dual_cndmask_b32 v35, v35, v33
	v_sub_nc_u32_e32 v38, 32, v0
	s_delay_alu instid0(VALU_DEP_3) | instskip(NEXT) | instid1(VALU_DEP_3)
	v_cndmask_b32_e64 v34, v37, v39, s4
	v_cndmask_b32_e64 v36, v36, v37, s4
	s_delay_alu instid0(VALU_DEP_4) | instskip(SKIP_2) | instid1(VALU_DEP_4)
	v_cndmask_b32_e64 v37, v39, v35, s4
	v_cndmask_b32_e64 v35, v35, v32, s4
	v_cmp_eq_u32_e64 s6, 0, v0
	v_cndmask_b32_e64 v36, v36, v34, s5
	s_delay_alu instid0(VALU_DEP_4) | instskip(NEXT) | instid1(VALU_DEP_4)
	v_cndmask_b32_e64 v34, v34, v37, s5
	v_cndmask_b32_e64 v37, v37, v35, s5
	;; [unrolled: 1-line block ×3, first 2 shown]
	s_delay_alu instid0(VALU_DEP_3) | instskip(NEXT) | instid1(VALU_DEP_3)
	v_alignbit_b32 v39, v36, v34, v38
	v_alignbit_b32 v40, v34, v37, v38
	s_delay_alu instid0(VALU_DEP_3) | instskip(NEXT) | instid1(VALU_DEP_3)
	v_alignbit_b32 v38, v37, v31, v38
	v_cndmask_b32_e64 v0, v39, v36, s6
	s_delay_alu instid0(VALU_DEP_3) | instskip(NEXT) | instid1(VALU_DEP_3)
	v_cndmask_b32_e64 v33, v40, v34, s6
	v_cndmask_b32_e64 v37, v38, v37, s6
	s_delay_alu instid0(VALU_DEP_3) | instskip(NEXT) | instid1(VALU_DEP_3)
	v_bfe_u32 v34, v0, 29, 1
	v_alignbit_b32 v32, v0, v33, 30
	s_delay_alu instid0(VALU_DEP_3) | instskip(SKIP_1) | instid1(VALU_DEP_4)
	v_alignbit_b32 v33, v33, v37, 30
	v_alignbit_b32 v31, v37, v31, 30
	v_sub_nc_u32_e32 v36, 0, v34
	s_delay_alu instid0(VALU_DEP_1) | instskip(SKIP_3) | instid1(VALU_DEP_4)
	v_xor_b32_e32 v35, v32, v36
	v_cmp_ne_u32_e32 vcc_lo, v32, v36
	v_xor_b32_e32 v33, v33, v36
	v_xor_b32_e32 v31, v31, v36
	v_clz_i32_u32_e32 v39, v35
	s_delay_alu instid0(VALU_DEP_1) | instskip(NEXT) | instid1(VALU_DEP_1)
	v_add_nc_u32_e32 v38, 1, v39
	v_cndmask_b32_e32 v32, 33, v38, vcc_lo
	s_delay_alu instid0(VALU_DEP_1) | instskip(NEXT) | instid1(VALU_DEP_1)
	v_sub_nc_u32_e32 v37, 32, v32
	v_alignbit_b32 v35, v35, v33, v37
	v_alignbit_b32 v31, v33, v31, v37
	v_lshrrev_b32_e32 v33, 29, v0
	s_delay_alu instid0(VALU_DEP_2) | instskip(NEXT) | instid1(VALU_DEP_2)
	v_alignbit_b32 v36, v35, v31, 9
	v_lshlrev_b32_e32 v33, 31, v33
	v_alignbit_b32 v35, v32, v35, 9
	s_delay_alu instid0(VALU_DEP_3) | instskip(NEXT) | instid1(VALU_DEP_2)
	v_clz_i32_u32_e32 v37, v36
	v_or_b32_e32 v35, v35, v33
	v_or_b32_e32 v33, 0x33800000, v33
	s_delay_alu instid0(VALU_DEP_3) | instskip(NEXT) | instid1(VALU_DEP_3)
	v_min_u32_e32 v37, 32, v37
	v_xor_b32_e32 v35, 1.0, v35
	s_delay_alu instid0(VALU_DEP_2) | instskip(SKIP_1) | instid1(VALU_DEP_3)
	v_sub_nc_u32_e32 v38, 31, v37
	v_add_lshl_u32 v32, v37, v32, 23
	v_mul_f32_e32 v37, 0x3fc90fda, v35
	s_delay_alu instid0(VALU_DEP_3) | instskip(NEXT) | instid1(VALU_DEP_3)
	v_alignbit_b32 v31, v36, v31, v38
	v_sub_nc_u32_e32 v32, v33, v32
	s_delay_alu instid0(VALU_DEP_3) | instskip(NEXT) | instid1(VALU_DEP_3)
	v_fma_f32 v33, 0x3fc90fda, v35, -v37
	v_lshrrev_b32_e32 v31, 9, v31
	s_delay_alu instid0(VALU_DEP_2) | instskip(NEXT) | instid1(VALU_DEP_2)
	v_fmac_f32_e32 v33, 0x33a22168, v35
	v_or_b32_e32 v31, v32, v31
	s_delay_alu instid0(VALU_DEP_1) | instskip(SKIP_1) | instid1(VALU_DEP_1)
	v_fmac_f32_e32 v33, 0x3fc90fda, v31
	v_lshrrev_b32_e32 v31, 30, v0
	v_dual_add_f32 v0, v37, v33 :: v_dual_add_nc_u32 v31, v34, v31
	s_and_not1_saveexec_b32 s4, s29
	s_cbranch_execnz .LBB95_279
	s_branch .LBB95_280
.LBB95_278:                             ;   in Loop: Header=BB95_161 Depth=1
	s_and_not1_saveexec_b32 s4, s29
.LBB95_279:                             ;   in Loop: Header=BB95_161 Depth=1
	v_mul_f32_e64 v0, 0x3f22f983, |v7|
	s_delay_alu instid0(VALU_DEP_1) | instskip(NEXT) | instid1(VALU_DEP_1)
	v_rndne_f32_e32 v31, v0
	v_fma_f32 v0, 0xbfc90fda, v31, |v7|
	s_delay_alu instid0(VALU_DEP_1) | instskip(NEXT) | instid1(VALU_DEP_1)
	v_fmac_f32_e32 v0, 0xb3a22168, v31
	v_fmac_f32_e32 v0, 0xa7c234c4, v31
	v_cvt_i32_f32_e32 v31, v31
.LBB95_280:                             ;   in Loop: Header=BB95_161 Depth=1
	s_or_b32 exec_lo, exec_lo, s4
	v_dual_mul_f32 v32, v10, v10 :: v_dual_and_b32 v33, 1, v11
	s_delay_alu instid0(VALU_DEP_2) | instskip(NEXT) | instid1(VALU_DEP_3)
	v_dual_mul_f32 v34, v0, v0 :: v_dual_lshlrev_b32 v11, 30, v11
	v_and_b32_e32 v37, 1, v31
	s_delay_alu instid0(VALU_DEP_3) | instskip(SKIP_1) | instid1(VALU_DEP_4)
	v_fmaak_f32 v35, s25, v32, 0x3c0881c4
	v_fmaak_f32 v36, s26, v32, 0xbab64f3b
	;; [unrolled: 1-line block ×3, first 2 shown]
	v_cmp_eq_u32_e32 vcc_lo, 0, v33
	v_lshlrev_b32_e32 v31, 30, v31
	v_fmaak_f32 v35, v32, v35, 0xbe2aaa9d
	v_fmaak_f32 v36, v32, v36, 0x3d2aabf7
	s_delay_alu instid0(VALU_DEP_2) | instskip(NEXT) | instid1(VALU_DEP_1)
	v_dual_fmaak_f32 v38, v34, v38, 0xbe2aaa9d :: v_dual_mul_f32 v35, v32, v35
	v_mul_f32_e32 v38, v34, v38
	s_delay_alu instid0(VALU_DEP_2) | instskip(NEXT) | instid1(VALU_DEP_1)
	v_dual_fmaak_f32 v39, s26, v34, 0xbab64f3b :: v_dual_fmac_f32 v10, v10, v35
	v_dual_fmac_f32 v0, v0, v38 :: v_dual_fmaak_f32 v39, v34, v39, 0x3d2aabf7
	s_delay_alu instid0(VALU_DEP_1) | instskip(NEXT) | instid1(VALU_DEP_1)
	v_dual_fmaak_f32 v36, v32, v36, 0xbf000004 :: v_dual_fmaak_f32 v39, v34, v39, 0xbf000004
	v_fma_f32 v32, v32, v36, 1.0
	s_delay_alu instid0(VALU_DEP_1) | instskip(NEXT) | instid1(VALU_DEP_1)
	v_dual_cndmask_b32 v10, v32, v10 :: v_dual_and_b32 v11, 0x80000000, v11
	v_xor_b32_e32 v8, v8, v11
	s_delay_alu instid0(VALU_DEP_4) | instskip(SKIP_1) | instid1(VALU_DEP_3)
	v_fma_f32 v11, v34, v39, 1.0
	v_cmp_eq_u32_e32 vcc_lo, 0, v37
	v_xor3_b32 v8, v8, v10, v7
	v_and_b32_e32 v31, 0x80000000, v31
	s_delay_alu instid0(VALU_DEP_4) | instskip(SKIP_1) | instid1(VALU_DEP_2)
	v_cndmask_b32_e64 v0, -v0, v11, vcc_lo
	v_cmp_class_f32_e64 vcc_lo, v7, 0x1f8
	v_xor_b32_e32 v0, v31, v0
	s_delay_alu instid0(VALU_DEP_1) | instskip(NEXT) | instid1(VALU_DEP_1)
	v_mul_f32_e32 v0, v8, v0
	v_cndmask_b32_e32 v7, 0x7fc00000, v0, vcc_lo
.LBB95_281:                             ;   in Loop: Header=BB95_161 Depth=1
	s_or_b32 exec_lo, exec_lo, s28
	v_add_nc_u32_e32 v13, -2.0, v13
	s_delay_alu instid0(VALU_DEP_2)
	v_bfi_b32 v11, 0x7fffffff, 0, v7
.LBB95_282:                             ;   in Loop: Header=BB95_161 Depth=1
	s_or_b32 exec_lo, exec_lo, s27
.LBB95_283:                             ;   in Loop: Header=BB95_161 Depth=1
	s_delay_alu instid0(SALU_CYCLE_1) | instskip(SKIP_2) | instid1(VALU_DEP_1)
	s_or_b32 exec_lo, exec_lo, s13
	v_and_b32_e32 v0, 0x7fffffff, v5
                                        ; implicit-def: $vgpr8
                                        ; implicit-def: $vgpr31
	s_mov_b32 s4, exec_lo
	v_cmpx_gt_u32_e32 0x7f800000, v0
	s_xor_b32 s13, exec_lo, s4
	s_cbranch_execz .LBB95_294
; %bb.284:                              ;   in Loop: Header=BB95_161 Depth=1
	v_cmp_class_f32_e64 s4, v4, 0x1f8
                                        ; implicit-def: $vgpr8
                                        ; implicit-def: $vgpr31
	s_delay_alu instid0(VALU_DEP_1) | instskip(NEXT) | instid1(SALU_CYCLE_1)
	s_and_saveexec_b32 s5, s4
	s_xor_b32 s27, exec_lo, s5
	s_cbranch_execz .LBB95_313
; %bb.285:                              ;   in Loop: Header=BB95_161 Depth=1
	v_and_b32_e32 v7, 0x7fffffff, v4
                                        ; implicit-def: $vgpr8
                                        ; implicit-def: $vgpr31
	s_mov_b32 s4, exec_lo
	v_cmpx_gt_u32_e32 0x41300000, v0
	s_xor_b32 s28, exec_lo, s4
	s_cbranch_execz .LBB95_291
; %bb.286:                              ;   in Loop: Header=BB95_161 Depth=1
                                        ; implicit-def: $vgpr0
                                        ; implicit-def: $vgpr8
	s_mov_b32 s5, exec_lo
	v_cmpx_ngt_f32_e64 0x48000000, |v4|
	s_xor_b32 s29, exec_lo, s5
	s_cbranch_execz .LBB95_288
; %bb.287:                              ;   in Loop: Header=BB95_161 Depth=1
	v_and_or_b32 v8, v7, s7, 0x800000
	v_lshrrev_b32_e32 v10, 23, v7
	s_delay_alu instid0(VALU_DEP_2) | instskip(NEXT) | instid1(VALU_DEP_2)
	v_mad_u64_u32 v[31:32], null, 0xfe5163ab, v8, 0
	v_add_nc_u32_e32 v10, 0xffffff88, v10
	s_delay_alu instid0(VALU_DEP_1) | instskip(NEXT) | instid1(VALU_DEP_3)
	v_cmp_lt_u32_e32 vcc_lo, 63, v10
	v_mov_b32_e32 v0, v32
	v_cndmask_b32_e64 v37, 0, 0xffffffc0, vcc_lo
	s_delay_alu instid0(VALU_DEP_2) | instskip(NEXT) | instid1(VALU_DEP_2)
	v_mad_u64_u32 v[32:33], null, 0x3c439041, v8, v[0:1]
	v_add_nc_u32_e32 v10, v37, v10
	s_delay_alu instid0(VALU_DEP_2) | instskip(NEXT) | instid1(VALU_DEP_2)
	v_mov_b32_e32 v0, v33
	v_cmp_lt_u32_e64 s4, 31, v10
	s_delay_alu instid0(VALU_DEP_2) | instskip(NEXT) | instid1(VALU_DEP_2)
	v_mad_u64_u32 v[33:34], null, 0xdb629599, v8, v[0:1]
	v_cndmask_b32_e64 v38, 0, 0xffffffe0, s4
	s_delay_alu instid0(VALU_DEP_1) | instskip(NEXT) | instid1(VALU_DEP_3)
	v_add_nc_u32_e32 v10, v38, v10
	v_dual_mov_b32 v0, v34 :: v_dual_cndmask_b32 v31, v33, v31
	s_delay_alu instid0(VALU_DEP_2) | instskip(NEXT) | instid1(VALU_DEP_2)
	v_cmp_lt_u32_e64 s5, 31, v10
	v_mad_u64_u32 v[34:35], null, 0xf534ddc0, v8, v[0:1]
	s_delay_alu instid0(VALU_DEP_1) | instskip(NEXT) | instid1(VALU_DEP_1)
	v_mov_b32_e32 v0, v35
	v_mad_u64_u32 v[35:36], null, 0xfc2757d1, v8, v[0:1]
	s_delay_alu instid0(VALU_DEP_1) | instskip(NEXT) | instid1(VALU_DEP_1)
	v_mov_b32_e32 v0, v36
	;; [unrolled: 3-line block ×3, first 2 shown]
	v_mad_u64_u32 v[37:38], null, 0xa2f9836e, v8, v[0:1]
	v_cndmask_b32_e64 v0, 0, 0xffffffe0, s5
	s_delay_alu instid0(VALU_DEP_4) | instskip(NEXT) | instid1(VALU_DEP_2)
	v_cndmask_b32_e32 v8, v36, v34, vcc_lo
	v_dual_cndmask_b32 v37, v37, v35 :: v_dual_add_nc_u32 v0, v0, v10
	s_delay_alu instid0(VALU_DEP_4) | instskip(SKIP_1) | instid1(VALU_DEP_3)
	v_dual_cndmask_b32 v36, v38, v36 :: v_dual_cndmask_b32 v35, v35, v33
	v_cndmask_b32_e32 v10, v34, v32, vcc_lo
	v_cmp_eq_u32_e64 s6, 0, v0
	s_delay_alu instid0(VALU_DEP_4) | instskip(NEXT) | instid1(VALU_DEP_4)
	v_cndmask_b32_e64 v32, v37, v8, s4
	v_cndmask_b32_e64 v34, v36, v37, s4
	;; [unrolled: 1-line block ×3, first 2 shown]
	v_sub_nc_u32_e32 v36, 32, v0
	v_cndmask_b32_e64 v35, v35, v10, s4
	v_cndmask_b32_e64 v10, v10, v31, s4
	v_cndmask_b32_e64 v34, v34, v32, s5
	v_cndmask_b32_e64 v32, v32, v8, s5
	s_delay_alu instid0(VALU_DEP_4) | instskip(NEXT) | instid1(VALU_DEP_4)
	v_cndmask_b32_e64 v8, v8, v35, s5
	v_cndmask_b32_e64 v10, v35, v10, s5
	s_delay_alu instid0(VALU_DEP_3) | instskip(NEXT) | instid1(VALU_DEP_3)
	v_alignbit_b32 v37, v34, v32, v36
	v_alignbit_b32 v38, v32, v8, v36
	s_delay_alu instid0(VALU_DEP_3) | instskip(NEXT) | instid1(VALU_DEP_3)
	v_alignbit_b32 v36, v8, v10, v36
	v_cndmask_b32_e64 v0, v37, v34, s6
	s_delay_alu instid0(VALU_DEP_3) | instskip(NEXT) | instid1(VALU_DEP_3)
	v_cndmask_b32_e64 v32, v38, v32, s6
	v_cndmask_b32_e64 v8, v36, v8, s6
	s_delay_alu instid0(VALU_DEP_3) | instskip(NEXT) | instid1(VALU_DEP_3)
	v_bfe_u32 v33, v0, 29, 1
	v_alignbit_b32 v31, v0, v32, 30
	s_delay_alu instid0(VALU_DEP_3) | instskip(SKIP_1) | instid1(VALU_DEP_4)
	v_alignbit_b32 v32, v32, v8, 30
	v_alignbit_b32 v8, v8, v10, 30
	v_sub_nc_u32_e32 v34, 0, v33
	s_delay_alu instid0(VALU_DEP_1) | instskip(SKIP_3) | instid1(VALU_DEP_4)
	v_xor_b32_e32 v35, v31, v34
	v_cmp_ne_u32_e32 vcc_lo, v31, v34
	v_xor_b32_e32 v10, v32, v34
	v_xor_b32_e32 v8, v8, v34
	v_clz_i32_u32_e32 v37, v35
	s_delay_alu instid0(VALU_DEP_1) | instskip(NEXT) | instid1(VALU_DEP_1)
	v_add_nc_u32_e32 v36, 1, v37
	v_cndmask_b32_e32 v31, 33, v36, vcc_lo
	s_delay_alu instid0(VALU_DEP_1) | instskip(NEXT) | instid1(VALU_DEP_1)
	v_sub_nc_u32_e32 v32, 32, v31
	v_alignbit_b32 v34, v35, v10, v32
	v_alignbit_b32 v8, v10, v8, v32
	v_lshrrev_b32_e32 v10, 29, v0
	v_lshrrev_b32_e32 v0, 30, v0
	s_delay_alu instid0(VALU_DEP_3) | instskip(NEXT) | instid1(VALU_DEP_3)
	v_alignbit_b32 v32, v34, v8, 9
	v_lshlrev_b32_e32 v10, 31, v10
	v_alignbit_b32 v34, v31, v34, 9
	s_delay_alu instid0(VALU_DEP_4) | instskip(NEXT) | instid1(VALU_DEP_4)
	v_add_nc_u32_e32 v0, v33, v0
	v_clz_i32_u32_e32 v35, v32
	s_delay_alu instid0(VALU_DEP_3) | instskip(SKIP_1) | instid1(VALU_DEP_3)
	v_or_b32_e32 v34, v34, v10
	v_or_b32_e32 v10, 0x33800000, v10
	v_min_u32_e32 v35, 32, v35
	s_delay_alu instid0(VALU_DEP_3) | instskip(NEXT) | instid1(VALU_DEP_2)
	v_xor_b32_e32 v34, 1.0, v34
	v_sub_nc_u32_e32 v36, 31, v35
	v_add_lshl_u32 v31, v35, v31, 23
	s_delay_alu instid0(VALU_DEP_3) | instskip(NEXT) | instid1(VALU_DEP_3)
	v_mul_f32_e32 v35, 0x3fc90fda, v34
	v_alignbit_b32 v8, v32, v8, v36
	s_delay_alu instid0(VALU_DEP_3) | instskip(NEXT) | instid1(VALU_DEP_3)
	v_sub_nc_u32_e32 v10, v10, v31
	v_fma_f32 v31, 0x3fc90fda, v34, -v35
	s_delay_alu instid0(VALU_DEP_3) | instskip(NEXT) | instid1(VALU_DEP_2)
	v_lshrrev_b32_e32 v8, 9, v8
	v_fmac_f32_e32 v31, 0x33a22168, v34
	s_delay_alu instid0(VALU_DEP_2) | instskip(NEXT) | instid1(VALU_DEP_1)
	v_or_b32_e32 v8, v10, v8
	v_fmac_f32_e32 v31, 0x3fc90fda, v8
	s_delay_alu instid0(VALU_DEP_1)
	v_add_f32_e32 v8, v35, v31
.LBB95_288:                             ;   in Loop: Header=BB95_161 Depth=1
	s_and_not1_saveexec_b32 s4, s29
; %bb.289:                              ;   in Loop: Header=BB95_161 Depth=1
	v_mul_f32_e64 v0, 0x3f22f983, |v4|
	s_delay_alu instid0(VALU_DEP_1) | instskip(NEXT) | instid1(VALU_DEP_1)
	v_rndne_f32_e32 v0, v0
	v_fma_f32 v8, 0xbfc90fda, v0, |v4|
	s_delay_alu instid0(VALU_DEP_1) | instskip(NEXT) | instid1(VALU_DEP_1)
	v_fmac_f32_e32 v8, 0xb3a22168, v0
	v_fmac_f32_e32 v8, 0xa7c234c4, v0
	v_cvt_i32_f32_e32 v0, v0
; %bb.290:                              ;   in Loop: Header=BB95_161 Depth=1
	s_or_b32 exec_lo, exec_lo, s4
	v_add_f32_e64 v10, 0xbf317218, |v5|
	v_cmp_nlt_f32_e64 vcc_lo, 0x42b2d4fc, |v5|
	v_cmp_gt_f32_e64 s4, 0x39800000, |v5|
	v_and_b32_e32 v0, 1, v0
	s_delay_alu instid0(VALU_DEP_4) | instskip(NEXT) | instid1(VALU_DEP_1)
	v_sub_f32_e64 v31, v10, |v5|
	v_dual_sub_f32 v32, v31, v10 :: v_dual_add_f32 v31, 0x3f317218, v31
	s_delay_alu instid0(VALU_DEP_1) | instskip(NEXT) | instid1(VALU_DEP_1)
	v_add_f32_e64 v32, |v5|, v32
	v_sub_f32_e32 v31, v32, v31
	s_delay_alu instid0(VALU_DEP_1) | instskip(NEXT) | instid1(VALU_DEP_1)
	v_add_f32_e32 v31, 0x3102e308, v31
	v_add_f32_e32 v32, v10, v31
	s_delay_alu instid0(VALU_DEP_1) | instskip(NEXT) | instid1(VALU_DEP_1)
	v_sub_f32_e32 v10, v10, v32
	v_dual_mul_f32 v33, 0x3fb8aa3b, v32 :: v_dual_add_f32 v10, v31, v10
	s_delay_alu instid0(VALU_DEP_1) | instskip(NEXT) | instid1(VALU_DEP_1)
	v_rndne_f32_e32 v33, v33
	v_mul_f32_e32 v31, 0x35bfbc00, v33
	v_fmac_f32_e32 v32, 0xbf317200, v33
	s_delay_alu instid0(VALU_DEP_1) | instskip(NEXT) | instid1(VALU_DEP_1)
	v_add_f32_e32 v34, v10, v32
	v_dual_sub_f32 v35, v34, v31 :: v_dual_sub_f32 v32, v32, v34
	s_delay_alu instid0(VALU_DEP_1) | instskip(NEXT) | instid1(VALU_DEP_1)
	v_sub_f32_e32 v34, v34, v35
	v_sub_f32_e32 v31, v34, v31
	s_delay_alu instid0(VALU_DEP_3) | instskip(NEXT) | instid1(VALU_DEP_1)
	v_add_f32_e32 v10, v10, v32
	v_dual_add_f32 v10, v10, v31 :: v_dual_mul_f32 v31, 0x2ea39ef3, v33
	s_delay_alu instid0(VALU_DEP_1) | instskip(NEXT) | instid1(VALU_DEP_1)
	v_add_f32_e32 v32, v35, v10
	v_dual_sub_f32 v34, v32, v31 :: v_dual_sub_f32 v35, v35, v32
	s_delay_alu instid0(VALU_DEP_1) | instskip(NEXT) | instid1(VALU_DEP_2)
	v_sub_f32_e32 v32, v32, v34
	v_add_f32_e32 v10, v10, v35
	s_delay_alu instid0(VALU_DEP_2) | instskip(NEXT) | instid1(VALU_DEP_1)
	v_sub_f32_e32 v31, v32, v31
	v_add_f32_e32 v10, v10, v31
	s_delay_alu instid0(VALU_DEP_1) | instskip(NEXT) | instid1(VALU_DEP_1)
	v_add_f32_e32 v31, v34, v10
	v_sub_f32_e32 v32, v34, v31
	v_mul_f32_e32 v34, v31, v31
	s_delay_alu instid0(VALU_DEP_2) | instskip(SKIP_1) | instid1(VALU_DEP_3)
	v_add_f32_e32 v10, v10, v32
	v_fmaak_f32 v32, s24, v31, 0x3c091de6
	v_fma_f32 v35, v31, v31, -v34
	s_delay_alu instid0(VALU_DEP_3) | instskip(NEXT) | instid1(VALU_DEP_3)
	v_add_f32_e32 v36, v10, v10
	v_fmaak_f32 v32, v31, v32, 0x3d2aadcc
	s_delay_alu instid0(VALU_DEP_2) | instskip(NEXT) | instid1(VALU_DEP_2)
	v_fmac_f32_e32 v35, v31, v36
	v_fmaak_f32 v32, v31, v32, 0x3e2aaa47
	s_delay_alu instid0(VALU_DEP_2) | instskip(NEXT) | instid1(VALU_DEP_2)
	v_add_f32_e32 v36, v34, v35
	v_fmaak_f32 v32, v31, v32, 0x3efffffc
	s_delay_alu instid0(VALU_DEP_2) | instskip(NEXT) | instid1(VALU_DEP_1)
	v_sub_f32_e32 v34, v36, v34
	v_dual_mul_f32 v37, v32, v36 :: v_dual_sub_f32 v34, v35, v34
	s_delay_alu instid0(VALU_DEP_1) | instskip(NEXT) | instid1(VALU_DEP_1)
	v_fma_f32 v35, v36, v32, -v37
	v_fmac_f32_e32 v35, v34, v32
	s_delay_alu instid0(VALU_DEP_1) | instskip(NEXT) | instid1(VALU_DEP_1)
	v_add_f32_e32 v32, v37, v35
	v_sub_f32_e32 v36, v32, v37
	v_add_f32_e32 v34, v31, v32
	s_delay_alu instid0(VALU_DEP_2) | instskip(NEXT) | instid1(VALU_DEP_2)
	v_sub_f32_e32 v35, v35, v36
	v_sub_f32_e32 v31, v34, v31
	s_delay_alu instid0(VALU_DEP_1) | instskip(NEXT) | instid1(VALU_DEP_3)
	v_sub_f32_e32 v31, v32, v31
	v_add_f32_e32 v10, v10, v35
	s_delay_alu instid0(VALU_DEP_1) | instskip(NEXT) | instid1(VALU_DEP_1)
	v_add_f32_e32 v10, v10, v31
	v_add_f32_e32 v31, v34, v10
	s_delay_alu instid0(VALU_DEP_1) | instskip(NEXT) | instid1(VALU_DEP_1)
	v_add_f32_e32 v32, 1.0, v31
	v_dual_sub_f32 v34, v31, v34 :: v_dual_add_f32 v35, -1.0, v32
	s_delay_alu instid0(VALU_DEP_1) | instskip(NEXT) | instid1(VALU_DEP_1)
	v_dual_sub_f32 v10, v10, v34 :: v_dual_sub_f32 v31, v31, v35
	v_add_f32_e32 v10, v10, v31
	v_cvt_i32_f32_e32 v31, v33
	s_delay_alu instid0(VALU_DEP_2) | instskip(NEXT) | instid1(VALU_DEP_1)
	v_add_f32_e32 v33, v32, v10
	v_ldexp_f32 v34, v33, v31
	s_delay_alu instid0(VALU_DEP_1) | instskip(SKIP_1) | instid1(VALU_DEP_1)
	v_rcp_f32_e32 v35, v34
	v_sub_f32_e32 v32, v33, v32
	v_sub_f32_e32 v10, v10, v32
	s_waitcnt_depctr 0xfff
	v_mul_f32_e32 v32, v34, v35
	v_ldexp_f32 v10, v10, v31
	s_delay_alu instid0(VALU_DEP_2) | instskip(NEXT) | instid1(VALU_DEP_1)
	v_fma_f32 v31, v35, v34, -v32
	v_fmac_f32_e32 v31, v35, v10
	s_delay_alu instid0(VALU_DEP_1) | instskip(NEXT) | instid1(VALU_DEP_1)
	v_add_f32_e32 v33, v32, v31
	v_sub_f32_e32 v36, 1.0, v33
	v_sub_f32_e32 v32, v33, v32
	s_delay_alu instid0(VALU_DEP_2) | instskip(NEXT) | instid1(VALU_DEP_1)
	v_sub_f32_e32 v37, 1.0, v36
	v_dual_sub_f32 v31, v32, v31 :: v_dual_sub_f32 v32, v37, v33
	s_delay_alu instid0(VALU_DEP_1) | instskip(NEXT) | instid1(VALU_DEP_1)
	v_add_f32_e32 v31, v31, v32
	v_add_f32_e32 v32, v36, v31
	s_delay_alu instid0(VALU_DEP_1) | instskip(NEXT) | instid1(VALU_DEP_1)
	v_mul_f32_e32 v33, v35, v32
	v_dual_sub_f32 v36, v36, v32 :: v_dual_mul_f32 v37, v34, v33
	s_delay_alu instid0(VALU_DEP_1) | instskip(NEXT) | instid1(VALU_DEP_2)
	v_add_f32_e32 v31, v31, v36
	v_fma_f32 v38, v33, v34, -v37
	s_delay_alu instid0(VALU_DEP_1) | instskip(NEXT) | instid1(VALU_DEP_1)
	v_fmac_f32_e32 v38, v33, v10
	v_add_f32_e32 v39, v37, v38
	s_delay_alu instid0(VALU_DEP_1) | instskip(SKIP_1) | instid1(VALU_DEP_2)
	v_sub_f32_e32 v40, v32, v39
	v_sub_f32_e32 v36, v39, v37
	;; [unrolled: 1-line block ×3, first 2 shown]
	s_delay_alu instid0(VALU_DEP_2) | instskip(NEXT) | instid1(VALU_DEP_2)
	v_sub_f32_e32 v36, v36, v38
	v_sub_f32_e32 v32, v32, v39
	s_delay_alu instid0(VALU_DEP_1) | instskip(NEXT) | instid1(VALU_DEP_1)
	v_add_f32_e32 v31, v31, v32
	v_dual_add_f32 v32, v35, v33 :: v_dual_add_f32 v31, v36, v31
	s_delay_alu instid0(VALU_DEP_1) | instskip(NEXT) | instid1(VALU_DEP_2)
	v_sub_f32_e32 v36, v32, v35
	v_add_f32_e32 v31, v40, v31
	s_delay_alu instid0(VALU_DEP_2) | instskip(NEXT) | instid1(VALU_DEP_2)
	v_sub_f32_e32 v33, v33, v36
	v_mul_f32_e32 v31, v35, v31
	s_delay_alu instid0(VALU_DEP_1) | instskip(NEXT) | instid1(VALU_DEP_1)
	v_add_f32_e32 v31, v33, v31
	v_add_f32_e32 v33, v32, v31
	s_delay_alu instid0(VALU_DEP_1) | instskip(SKIP_1) | instid1(VALU_DEP_1)
	v_ldexp_f32 v35, v33, -2
	v_sub_f32_e32 v32, v33, v32
	v_dual_sub_f32 v36, v34, v35 :: v_dual_sub_f32 v31, v31, v32
	s_delay_alu instid0(VALU_DEP_1) | instskip(NEXT) | instid1(VALU_DEP_2)
	v_sub_f32_e32 v33, v34, v36
	v_ldexp_f32 v31, v31, -2
	s_delay_alu instid0(VALU_DEP_2) | instskip(SKIP_1) | instid1(VALU_DEP_2)
	v_sub_f32_e32 v32, v33, v35
	v_xor_b32_e32 v33, 0x80000000, v5
	v_add_f32_e32 v10, v10, v32
	s_delay_alu instid0(VALU_DEP_1) | instskip(NEXT) | instid1(VALU_DEP_1)
	v_dual_sub_f32 v10, v10, v31 :: v_dual_mul_f32 v31, v8, v8
	v_add_f32_e32 v10, v36, v10
	s_delay_alu instid0(VALU_DEP_2) | instskip(NEXT) | instid1(VALU_DEP_2)
	v_fmaak_f32 v32, s23, v31, 0xbf039337
	v_cndmask_b32_e32 v10, 0x7f800000, v10, vcc_lo
	s_delay_alu instid0(VALU_DEP_2) | instskip(NEXT) | instid1(VALU_DEP_2)
	v_fmaak_f32 v32, v31, v32, 0x3f93f425
	v_cndmask_b32_e64 v5, v10, |v5|, s4
	s_delay_alu instid0(VALU_DEP_2) | instskip(SKIP_1) | instid1(VALU_DEP_2)
	v_rcp_f32_e32 v10, v32
	v_fmaak_f32 v32, s22, v31, 0x3ec54587
	v_bfi_b32 v5, 0x7fffffff, v5, v33
	s_delay_alu instid0(VALU_DEP_1) | instskip(SKIP_4) | instid1(VALU_DEP_2)
	v_fma_f32 v33, v5, v5, 1.0
	s_waitcnt_depctr 0xfff
	v_mul_f32_e32 v10, v32, v10
	v_mul_f32_e32 v32, 0x4f800000, v33
	v_cmp_gt_f32_e32 vcc_lo, 0xf800000, v33
	v_dual_mul_f32 v10, v31, v10 :: v_dual_cndmask_b32 v31, v33, v32
	s_delay_alu instid0(VALU_DEP_1) | instskip(NEXT) | instid1(VALU_DEP_2)
	v_fma_f32 v32, v10, v8, v8
	v_sqrt_f32_e32 v33, v31
	s_delay_alu instid0(VALU_DEP_1) | instskip(SKIP_1) | instid1(VALU_DEP_1)
	v_rcp_f32_e32 v34, v32
	v_sub_f32_e32 v35, v32, v8
	v_fma_f32 v8, v10, v8, -v35
	s_waitcnt_depctr 0xfff
	v_add_nc_u32_e32 v36, -1, v33
	v_fma_f32 v10, v32, -v34, 1.0
	v_add_nc_u32_e32 v35, 1, v33
	s_delay_alu instid0(VALU_DEP_3) | instskip(NEXT) | instid1(VALU_DEP_3)
	v_fma_f32 v37, -v36, v33, v31
	v_fma_f32 v8, v8, -v34, v10
	s_delay_alu instid0(VALU_DEP_3) | instskip(NEXT) | instid1(VALU_DEP_3)
	v_fma_f32 v10, -v35, v33, v31
	v_cmp_ge_f32_e64 s4, 0, v37
	s_delay_alu instid0(VALU_DEP_3) | instskip(NEXT) | instid1(VALU_DEP_2)
	v_fma_f32 v8, v8, -v34, -v34
	v_cndmask_b32_e64 v33, v33, v36, s4
	s_delay_alu instid0(VALU_DEP_4) | instskip(NEXT) | instid1(VALU_DEP_1)
	v_cmp_lt_f32_e64 s4, 0, v10
	v_cndmask_b32_e64 v10, v33, v35, s4
	v_cmp_eq_u32_e64 s4, 0, v0
	s_delay_alu instid0(VALU_DEP_1) | instskip(NEXT) | instid1(VALU_DEP_3)
	v_cndmask_b32_e64 v0, v8, v32, s4
	v_mul_f32_e32 v8, 0x37800000, v10
	s_delay_alu instid0(VALU_DEP_2) | instskip(NEXT) | instid1(VALU_DEP_2)
	v_xor3_b32 v0, v7, v0, v4
	v_cndmask_b32_e32 v4, v10, v8, vcc_lo
	v_cmp_class_f32_e64 vcc_lo, v31, 0x260
	s_delay_alu instid0(VALU_DEP_3) | instskip(NEXT) | instid1(VALU_DEP_3)
	v_fma_f32 v7, v0, v0, 1.0
	v_cndmask_b32_e32 v4, v4, v31, vcc_lo
	s_delay_alu instid0(VALU_DEP_2) | instskip(NEXT) | instid1(VALU_DEP_2)
	v_mul_f32_e32 v8, v5, v7
	v_mul_f32_e32 v4, v4, v7
	s_delay_alu instid0(VALU_DEP_2) | instskip(NEXT) | instid1(VALU_DEP_2)
	v_fma_f32 v7, v5, v8, 1.0
	v_mul_f32_e32 v4, v5, v4
	s_delay_alu instid0(VALU_DEP_2) | instskip(NEXT) | instid1(VALU_DEP_2)
	v_div_scale_f32 v8, null, v7, v7, v0
	v_div_scale_f32 v5, null, v7, v7, v4
	v_div_scale_f32 v34, vcc_lo, v4, v7, v4
	s_delay_alu instid0(VALU_DEP_3) | instskip(NEXT) | instid1(VALU_DEP_2)
	v_rcp_f32_e32 v31, v8
	v_rcp_f32_e32 v10, v5
	s_waitcnt_depctr 0xfff
	v_fma_f32 v33, -v8, v31, 1.0
	v_fma_f32 v32, -v5, v10, 1.0
	s_delay_alu instid0(VALU_DEP_1) | instskip(SKIP_1) | instid1(VALU_DEP_2)
	v_dual_fmac_f32 v31, v33, v31 :: v_dual_fmac_f32 v10, v32, v10
	v_div_scale_f32 v32, s4, v0, v7, v0
	v_mul_f32_e32 v33, v34, v10
	s_delay_alu instid0(VALU_DEP_2) | instskip(NEXT) | instid1(VALU_DEP_2)
	v_mul_f32_e32 v35, v32, v31
	v_fma_f32 v36, -v5, v33, v34
	s_delay_alu instid0(VALU_DEP_2) | instskip(NEXT) | instid1(VALU_DEP_2)
	v_fma_f32 v37, -v8, v35, v32
	v_fmac_f32_e32 v33, v36, v10
	s_delay_alu instid0(VALU_DEP_2) | instskip(NEXT) | instid1(VALU_DEP_2)
	v_fmac_f32_e32 v35, v37, v31
	v_fma_f32 v5, -v5, v33, v34
	s_delay_alu instid0(VALU_DEP_2) | instskip(NEXT) | instid1(VALU_DEP_2)
	v_fma_f32 v8, -v8, v35, v32
	v_div_fmas_f32 v5, v5, v10, v33
	s_mov_b32 vcc_lo, s4
	s_delay_alu instid0(VALU_DEP_2) | instskip(NEXT) | instid1(VALU_DEP_2)
	v_div_fmas_f32 v8, v8, v31, v35
	v_div_fixup_f32 v31, v5, v7, v4
                                        ; implicit-def: $vgpr4
	s_delay_alu instid0(VALU_DEP_2)
	v_div_fixup_f32 v8, v8, v7, v0
                                        ; implicit-def: $vgpr7
.LBB95_291:                             ;   in Loop: Header=BB95_161 Depth=1
	s_and_not1_saveexec_b32 s28, s28
	s_cbranch_execz .LBB95_312
; %bb.292:                              ;   in Loop: Header=BB95_161 Depth=1
	v_cmp_ngt_f32_e64 s29, 0x48000000, |v4|
                                        ; implicit-def: $vgpr10
                                        ; implicit-def: $vgpr8
	s_delay_alu instid0(VALU_DEP_1) | instskip(NEXT) | instid1(SALU_CYCLE_1)
	s_and_saveexec_b32 s4, s29
	s_xor_b32 s30, exec_lo, s4
	s_cbranch_execz .LBB95_301
; %bb.293:                              ;   in Loop: Header=BB95_161 Depth=1
	v_and_or_b32 v8, v7, s7, 0x800000
	v_lshrrev_b32_e32 v10, 23, v7
	s_delay_alu instid0(VALU_DEP_2) | instskip(NEXT) | instid1(VALU_DEP_2)
	v_mad_u64_u32 v[31:32], null, 0xfe5163ab, v8, 0
	v_add_nc_u32_e32 v10, 0xffffff88, v10
	s_delay_alu instid0(VALU_DEP_1) | instskip(NEXT) | instid1(VALU_DEP_3)
	v_cmp_lt_u32_e32 vcc_lo, 63, v10
	v_mov_b32_e32 v0, v32
	v_cndmask_b32_e64 v37, 0, 0xffffffc0, vcc_lo
	s_delay_alu instid0(VALU_DEP_2) | instskip(NEXT) | instid1(VALU_DEP_2)
	v_mad_u64_u32 v[32:33], null, 0x3c439041, v8, v[0:1]
	v_add_nc_u32_e32 v10, v37, v10
	s_delay_alu instid0(VALU_DEP_2) | instskip(NEXT) | instid1(VALU_DEP_2)
	v_mov_b32_e32 v0, v33
	v_cmp_lt_u32_e64 s4, 31, v10
	s_delay_alu instid0(VALU_DEP_2) | instskip(NEXT) | instid1(VALU_DEP_2)
	v_mad_u64_u32 v[33:34], null, 0xdb629599, v8, v[0:1]
	v_cndmask_b32_e64 v38, 0, 0xffffffe0, s4
	s_delay_alu instid0(VALU_DEP_1) | instskip(NEXT) | instid1(VALU_DEP_3)
	v_add_nc_u32_e32 v10, v38, v10
	v_dual_mov_b32 v0, v34 :: v_dual_cndmask_b32 v31, v33, v31
	s_delay_alu instid0(VALU_DEP_2) | instskip(NEXT) | instid1(VALU_DEP_2)
	v_cmp_lt_u32_e64 s5, 31, v10
	v_mad_u64_u32 v[34:35], null, 0xf534ddc0, v8, v[0:1]
	s_delay_alu instid0(VALU_DEP_1) | instskip(NEXT) | instid1(VALU_DEP_1)
	v_mov_b32_e32 v0, v35
	v_mad_u64_u32 v[35:36], null, 0xfc2757d1, v8, v[0:1]
	s_delay_alu instid0(VALU_DEP_1) | instskip(NEXT) | instid1(VALU_DEP_1)
	v_mov_b32_e32 v0, v36
	;; [unrolled: 3-line block ×3, first 2 shown]
	v_mad_u64_u32 v[37:38], null, 0xa2f9836e, v8, v[0:1]
	v_cndmask_b32_e64 v0, 0, 0xffffffe0, s5
	s_delay_alu instid0(VALU_DEP_4) | instskip(NEXT) | instid1(VALU_DEP_2)
	v_cndmask_b32_e32 v8, v36, v34, vcc_lo
	v_dual_cndmask_b32 v37, v37, v35 :: v_dual_add_nc_u32 v0, v0, v10
	s_delay_alu instid0(VALU_DEP_4) | instskip(SKIP_1) | instid1(VALU_DEP_3)
	v_dual_cndmask_b32 v36, v38, v36 :: v_dual_cndmask_b32 v35, v35, v33
	v_cndmask_b32_e32 v10, v34, v32, vcc_lo
	v_cmp_eq_u32_e64 s6, 0, v0
	s_delay_alu instid0(VALU_DEP_4) | instskip(NEXT) | instid1(VALU_DEP_4)
	v_cndmask_b32_e64 v32, v37, v8, s4
	v_cndmask_b32_e64 v34, v36, v37, s4
	;; [unrolled: 1-line block ×3, first 2 shown]
	v_sub_nc_u32_e32 v36, 32, v0
	v_cndmask_b32_e64 v35, v35, v10, s4
	v_cndmask_b32_e64 v10, v10, v31, s4
	v_cndmask_b32_e64 v34, v34, v32, s5
	v_cndmask_b32_e64 v32, v32, v8, s5
	s_delay_alu instid0(VALU_DEP_4) | instskip(NEXT) | instid1(VALU_DEP_4)
	v_cndmask_b32_e64 v8, v8, v35, s5
	v_cndmask_b32_e64 v10, v35, v10, s5
	s_delay_alu instid0(VALU_DEP_3) | instskip(NEXT) | instid1(VALU_DEP_3)
	v_alignbit_b32 v37, v34, v32, v36
	v_alignbit_b32 v38, v32, v8, v36
	s_delay_alu instid0(VALU_DEP_3) | instskip(NEXT) | instid1(VALU_DEP_3)
	v_alignbit_b32 v36, v8, v10, v36
	v_cndmask_b32_e64 v0, v37, v34, s6
	s_delay_alu instid0(VALU_DEP_3) | instskip(NEXT) | instid1(VALU_DEP_3)
	v_cndmask_b32_e64 v32, v38, v32, s6
	v_cndmask_b32_e64 v8, v36, v8, s6
	s_delay_alu instid0(VALU_DEP_3) | instskip(NEXT) | instid1(VALU_DEP_3)
	v_bfe_u32 v33, v0, 29, 1
	v_alignbit_b32 v31, v0, v32, 30
	s_delay_alu instid0(VALU_DEP_3) | instskip(SKIP_1) | instid1(VALU_DEP_4)
	v_alignbit_b32 v32, v32, v8, 30
	v_alignbit_b32 v8, v8, v10, 30
	v_sub_nc_u32_e32 v34, 0, v33
	s_delay_alu instid0(VALU_DEP_1) | instskip(SKIP_3) | instid1(VALU_DEP_4)
	v_xor_b32_e32 v35, v31, v34
	v_cmp_ne_u32_e32 vcc_lo, v31, v34
	v_xor_b32_e32 v10, v32, v34
	v_xor_b32_e32 v8, v8, v34
	v_clz_i32_u32_e32 v37, v35
	s_delay_alu instid0(VALU_DEP_1) | instskip(NEXT) | instid1(VALU_DEP_1)
	v_add_nc_u32_e32 v36, 1, v37
	v_cndmask_b32_e32 v31, 33, v36, vcc_lo
	s_delay_alu instid0(VALU_DEP_1) | instskip(NEXT) | instid1(VALU_DEP_1)
	v_sub_nc_u32_e32 v32, 32, v31
	v_alignbit_b32 v34, v35, v10, v32
	v_alignbit_b32 v8, v10, v8, v32
	v_lshrrev_b32_e32 v10, 29, v0
	v_lshrrev_b32_e32 v0, 30, v0
	s_delay_alu instid0(VALU_DEP_3) | instskip(NEXT) | instid1(VALU_DEP_3)
	v_alignbit_b32 v32, v34, v8, 9
	v_lshlrev_b32_e32 v10, 31, v10
	v_alignbit_b32 v34, v31, v34, 9
	s_delay_alu instid0(VALU_DEP_3) | instskip(NEXT) | instid1(VALU_DEP_2)
	v_clz_i32_u32_e32 v35, v32
	v_or_b32_e32 v34, v34, v10
	v_or_b32_e32 v10, 0x33800000, v10
	s_delay_alu instid0(VALU_DEP_3) | instskip(NEXT) | instid1(VALU_DEP_3)
	v_min_u32_e32 v35, 32, v35
	v_xor_b32_e32 v34, 1.0, v34
	s_delay_alu instid0(VALU_DEP_2) | instskip(SKIP_1) | instid1(VALU_DEP_3)
	v_sub_nc_u32_e32 v36, 31, v35
	v_add_lshl_u32 v31, v35, v31, 23
	v_mul_f32_e32 v35, 0x3fc90fda, v34
	s_delay_alu instid0(VALU_DEP_3) | instskip(NEXT) | instid1(VALU_DEP_3)
	v_alignbit_b32 v8, v32, v8, v36
	v_sub_nc_u32_e32 v10, v10, v31
	s_delay_alu instid0(VALU_DEP_3) | instskip(NEXT) | instid1(VALU_DEP_3)
	v_fma_f32 v31, 0x3fc90fda, v34, -v35
	v_lshrrev_b32_e32 v8, 9, v8
	s_delay_alu instid0(VALU_DEP_2) | instskip(NEXT) | instid1(VALU_DEP_2)
	v_fmac_f32_e32 v31, 0x33a22168, v34
	v_or_b32_e32 v8, v10, v8
	v_add_nc_u32_e32 v10, v33, v0
	s_delay_alu instid0(VALU_DEP_2) | instskip(NEXT) | instid1(VALU_DEP_1)
	v_fmac_f32_e32 v31, 0x3fc90fda, v8
	v_add_f32_e32 v8, v35, v31
	s_and_not1_saveexec_b32 s4, s30
	s_branch .LBB95_302
.LBB95_294:                             ;   in Loop: Header=BB95_161 Depth=1
	s_and_not1_saveexec_b32 s13, s13
	s_cbranch_execz .LBB95_316
.LBB95_295:                             ;   in Loop: Header=BB95_161 Depth=1
	v_xor_b32_e32 v31, 0x80000000, v5
	s_mov_b32 s4, exec_lo
                                        ; implicit-def: $vgpr8
	s_delay_alu instid0(VALU_DEP_1) | instskip(NEXT) | instid1(VALU_DEP_1)
	v_and_b32_e32 v0, 0x7fffff, v31
	v_cmpx_ne_u32_e32 0, v0
	s_xor_b32 s4, exec_lo, s4
; %bb.296:                              ;   in Loop: Header=BB95_161 Depth=1
	v_mul_f32_e64 v0, v4, -v5
	v_cmp_eq_f32_e32 vcc_lo, 0, v4
	s_delay_alu instid0(VALU_DEP_2)
	v_cndmask_b32_e32 v8, v0, v4, vcc_lo
                                        ; implicit-def: $vgpr4
; %bb.297:                              ;   in Loop: Header=BB95_161 Depth=1
	s_and_not1_saveexec_b32 s27, s4
	s_cbranch_execz .LBB95_324
; %bb.298:                              ;   in Loop: Header=BB95_161 Depth=1
	s_mov_b32 s28, exec_lo
	v_cmpx_neq_f32_e64 0x7f800000, |v4|
	s_cbranch_execz .LBB95_323
; %bb.299:                              ;   in Loop: Header=BB95_161 Depth=1
	v_and_b32_e32 v5, 0x7fffffff, v4
	v_cmp_ngt_f32_e64 s29, 0x48000000, |v4|
                                        ; implicit-def: $vgpr8
                                        ; implicit-def: $vgpr7
	s_delay_alu instid0(VALU_DEP_1) | instskip(NEXT) | instid1(SALU_CYCLE_1)
	s_and_saveexec_b32 s4, s29
	s_xor_b32 s30, exec_lo, s4
	s_cbranch_execz .LBB95_305
; %bb.300:                              ;   in Loop: Header=BB95_161 Depth=1
	v_and_or_b32 v10, v5, s7, 0x800000
	s_delay_alu instid0(VALU_DEP_1) | instskip(NEXT) | instid1(VALU_DEP_1)
	v_mad_u64_u32 v[7:8], null, 0xfe5163ab, v10, 0
	v_mov_b32_e32 v0, v8
	v_lshrrev_b32_e32 v8, 23, v5
	s_delay_alu instid0(VALU_DEP_2) | instskip(NEXT) | instid1(VALU_DEP_2)
	v_mad_u64_u32 v[32:33], null, 0x3c439041, v10, v[0:1]
	v_add_nc_u32_e32 v8, 0xffffff88, v8
	s_delay_alu instid0(VALU_DEP_1) | instskip(NEXT) | instid1(VALU_DEP_3)
	v_cmp_lt_u32_e32 vcc_lo, 63, v8
	v_mov_b32_e32 v0, v33
	v_cndmask_b32_e64 v37, 0, 0xffffffc0, vcc_lo
	s_delay_alu instid0(VALU_DEP_2) | instskip(NEXT) | instid1(VALU_DEP_2)
	v_mad_u64_u32 v[33:34], null, 0xdb629599, v10, v[0:1]
	v_add_nc_u32_e32 v8, v37, v8
	s_delay_alu instid0(VALU_DEP_2) | instskip(NEXT) | instid1(VALU_DEP_2)
	v_dual_mov_b32 v0, v34 :: v_dual_cndmask_b32 v7, v33, v7
	v_cmp_lt_u32_e64 s4, 31, v8
	s_delay_alu instid0(VALU_DEP_2) | instskip(NEXT) | instid1(VALU_DEP_2)
	v_mad_u64_u32 v[34:35], null, 0xf534ddc0, v10, v[0:1]
	v_cndmask_b32_e64 v38, 0, 0xffffffe0, s4
	s_delay_alu instid0(VALU_DEP_1) | instskip(NEXT) | instid1(VALU_DEP_3)
	v_add_nc_u32_e32 v8, v38, v8
	v_mov_b32_e32 v0, v35
	s_delay_alu instid0(VALU_DEP_2) | instskip(NEXT) | instid1(VALU_DEP_2)
	v_cmp_lt_u32_e64 s5, 31, v8
	v_mad_u64_u32 v[35:36], null, 0xfc2757d1, v10, v[0:1]
	s_delay_alu instid0(VALU_DEP_1) | instskip(NEXT) | instid1(VALU_DEP_1)
	v_mov_b32_e32 v0, v36
	v_mad_u64_u32 v[36:37], null, 0x4e441529, v10, v[0:1]
	s_delay_alu instid0(VALU_DEP_1) | instskip(NEXT) | instid1(VALU_DEP_1)
	v_mov_b32_e32 v0, v37
	v_mad_u64_u32 v[37:38], null, 0xa2f9836e, v10, v[0:1]
	v_cndmask_b32_e64 v0, 0, 0xffffffe0, s5
	s_delay_alu instid0(VALU_DEP_4) | instskip(NEXT) | instid1(VALU_DEP_2)
	v_cndmask_b32_e32 v10, v36, v34, vcc_lo
	v_dual_cndmask_b32 v37, v37, v35 :: v_dual_add_nc_u32 v0, v0, v8
	s_delay_alu instid0(VALU_DEP_4) | instskip(SKIP_1) | instid1(VALU_DEP_3)
	v_dual_cndmask_b32 v36, v38, v36 :: v_dual_cndmask_b32 v35, v35, v33
	v_cndmask_b32_e32 v8, v34, v32, vcc_lo
	v_cmp_eq_u32_e64 s6, 0, v0
	s_delay_alu instid0(VALU_DEP_4) | instskip(NEXT) | instid1(VALU_DEP_4)
	v_cndmask_b32_e64 v32, v37, v10, s4
	v_cndmask_b32_e64 v34, v36, v37, s4
	;; [unrolled: 1-line block ×3, first 2 shown]
	v_sub_nc_u32_e32 v36, 32, v0
	v_cndmask_b32_e64 v35, v35, v8, s4
	v_cndmask_b32_e64 v7, v8, v7, s4
	v_cndmask_b32_e64 v34, v34, v32, s5
	v_cndmask_b32_e64 v32, v32, v10, s5
	s_delay_alu instid0(VALU_DEP_4) | instskip(NEXT) | instid1(VALU_DEP_4)
	v_cndmask_b32_e64 v10, v10, v35, s5
	v_cndmask_b32_e64 v7, v35, v7, s5
	s_delay_alu instid0(VALU_DEP_3) | instskip(NEXT) | instid1(VALU_DEP_3)
	v_alignbit_b32 v37, v34, v32, v36
	v_alignbit_b32 v38, v32, v10, v36
	s_delay_alu instid0(VALU_DEP_3) | instskip(NEXT) | instid1(VALU_DEP_3)
	v_alignbit_b32 v36, v10, v7, v36
	v_cndmask_b32_e64 v0, v37, v34, s6
	s_delay_alu instid0(VALU_DEP_3) | instskip(NEXT) | instid1(VALU_DEP_3)
	v_cndmask_b32_e64 v32, v38, v32, s6
	v_cndmask_b32_e64 v10, v36, v10, s6
	s_delay_alu instid0(VALU_DEP_3) | instskip(NEXT) | instid1(VALU_DEP_3)
	v_bfe_u32 v33, v0, 29, 1
	v_alignbit_b32 v8, v0, v32, 30
	s_delay_alu instid0(VALU_DEP_3) | instskip(SKIP_1) | instid1(VALU_DEP_4)
	v_alignbit_b32 v32, v32, v10, 30
	v_alignbit_b32 v7, v10, v7, 30
	v_sub_nc_u32_e32 v34, 0, v33
	s_delay_alu instid0(VALU_DEP_1) | instskip(SKIP_3) | instid1(VALU_DEP_4)
	v_xor_b32_e32 v35, v8, v34
	v_cmp_ne_u32_e32 vcc_lo, v8, v34
	v_xor_b32_e32 v10, v32, v34
	v_xor_b32_e32 v7, v7, v34
	v_clz_i32_u32_e32 v37, v35
	s_delay_alu instid0(VALU_DEP_1) | instskip(NEXT) | instid1(VALU_DEP_1)
	v_add_nc_u32_e32 v36, 1, v37
	v_cndmask_b32_e32 v8, 33, v36, vcc_lo
	s_delay_alu instid0(VALU_DEP_1) | instskip(NEXT) | instid1(VALU_DEP_1)
	v_sub_nc_u32_e32 v32, 32, v8
	v_alignbit_b32 v34, v35, v10, v32
	v_alignbit_b32 v7, v10, v7, v32
	v_lshrrev_b32_e32 v10, 29, v0
	v_lshrrev_b32_e32 v0, 30, v0
	s_delay_alu instid0(VALU_DEP_3) | instskip(NEXT) | instid1(VALU_DEP_3)
	v_alignbit_b32 v32, v34, v7, 9
	v_lshlrev_b32_e32 v10, 31, v10
	v_alignbit_b32 v34, v8, v34, 9
	s_delay_alu instid0(VALU_DEP_3) | instskip(NEXT) | instid1(VALU_DEP_2)
	v_clz_i32_u32_e32 v35, v32
	v_or_b32_e32 v34, v34, v10
	v_or_b32_e32 v10, 0x33800000, v10
	s_delay_alu instid0(VALU_DEP_3) | instskip(NEXT) | instid1(VALU_DEP_3)
	v_min_u32_e32 v35, 32, v35
	v_xor_b32_e32 v34, 1.0, v34
	s_delay_alu instid0(VALU_DEP_2) | instskip(SKIP_1) | instid1(VALU_DEP_3)
	v_sub_nc_u32_e32 v36, 31, v35
	v_add_lshl_u32 v8, v35, v8, 23
	v_mul_f32_e32 v35, 0x3fc90fda, v34
	s_delay_alu instid0(VALU_DEP_3) | instskip(NEXT) | instid1(VALU_DEP_3)
	v_alignbit_b32 v7, v32, v7, v36
	v_sub_nc_u32_e32 v8, v10, v8
	s_delay_alu instid0(VALU_DEP_3) | instskip(NEXT) | instid1(VALU_DEP_3)
	v_fma_f32 v10, 0x3fc90fda, v34, -v35
	v_lshrrev_b32_e32 v7, 9, v7
	s_delay_alu instid0(VALU_DEP_2) | instskip(NEXT) | instid1(VALU_DEP_2)
	v_fmac_f32_e32 v10, 0x33a22168, v34
	v_or_b32_e32 v7, v8, v7
	v_add_nc_u32_e32 v8, v33, v0
	s_delay_alu instid0(VALU_DEP_2) | instskip(NEXT) | instid1(VALU_DEP_1)
	v_fmac_f32_e32 v10, 0x3fc90fda, v7
	v_add_f32_e32 v7, v35, v10
	s_and_not1_saveexec_b32 s4, s30
	s_branch .LBB95_306
.LBB95_301:                             ;   in Loop: Header=BB95_161 Depth=1
	s_and_not1_saveexec_b32 s4, s30
.LBB95_302:                             ;   in Loop: Header=BB95_161 Depth=1
	v_mul_f32_e64 v0, 0x3f22f983, |v4|
	s_delay_alu instid0(VALU_DEP_1) | instskip(NEXT) | instid1(VALU_DEP_1)
	v_rndne_f32_e32 v0, v0
	v_fma_f32 v8, 0xbfc90fda, v0, |v4|
	v_cvt_i32_f32_e32 v10, v0
	s_delay_alu instid0(VALU_DEP_2) | instskip(NEXT) | instid1(VALU_DEP_1)
	v_fmac_f32_e32 v8, 0xb3a22168, v0
	v_fmac_f32_e32 v8, 0xa7c234c4, v0
; %bb.303:                              ;   in Loop: Header=BB95_161 Depth=1
	s_or_b32 exec_lo, exec_lo, s4
                                        ; implicit-def: $vgpr31
                                        ; implicit-def: $vgpr0
	s_and_saveexec_b32 s4, s29
	s_delay_alu instid0(SALU_CYCLE_1)
	s_xor_b32 s29, exec_lo, s4
	s_cbranch_execz .LBB95_309
; %bb.304:                              ;   in Loop: Header=BB95_161 Depth=1
	v_and_or_b32 v39, v7, s7, 0x800000
	v_lshrrev_b32_e32 v36, 23, v7
	s_delay_alu instid0(VALU_DEP_2) | instskip(NEXT) | instid1(VALU_DEP_2)
	v_mad_u64_u32 v[31:32], null, 0xfe5163ab, v39, 0
	v_add_nc_u32_e32 v37, 0xffffff88, v36
	s_delay_alu instid0(VALU_DEP_1) | instskip(NEXT) | instid1(VALU_DEP_3)
	v_cmp_lt_u32_e32 vcc_lo, 63, v37
	v_mov_b32_e32 v0, v32
	v_cndmask_b32_e64 v38, 0, 0xffffffc0, vcc_lo
	s_delay_alu instid0(VALU_DEP_2) | instskip(NEXT) | instid1(VALU_DEP_2)
	v_mad_u64_u32 v[32:33], null, 0x3c439041, v39, v[0:1]
	v_add_nc_u32_e32 v38, v38, v37
	s_delay_alu instid0(VALU_DEP_2) | instskip(NEXT) | instid1(VALU_DEP_2)
	v_mov_b32_e32 v0, v33
	v_cmp_lt_u32_e64 s4, 31, v38
	s_delay_alu instid0(VALU_DEP_2) | instskip(NEXT) | instid1(VALU_DEP_2)
	v_mad_u64_u32 v[33:34], null, 0xdb629599, v39, v[0:1]
	v_cndmask_b32_e64 v40, 0, 0xffffffe0, s4
	s_delay_alu instid0(VALU_DEP_1) | instskip(NEXT) | instid1(VALU_DEP_3)
	v_add_nc_u32_e32 v40, v40, v38
	v_dual_mov_b32 v0, v34 :: v_dual_cndmask_b32 v31, v33, v31
	s_delay_alu instid0(VALU_DEP_2) | instskip(NEXT) | instid1(VALU_DEP_2)
	v_cmp_lt_u32_e64 s5, 31, v40
	v_mad_u64_u32 v[34:35], null, 0xf534ddc0, v39, v[0:1]
	s_delay_alu instid0(VALU_DEP_1) | instskip(NEXT) | instid1(VALU_DEP_2)
	v_mov_b32_e32 v0, v35
	v_cndmask_b32_e32 v32, v34, v32, vcc_lo
	s_delay_alu instid0(VALU_DEP_2) | instskip(NEXT) | instid1(VALU_DEP_2)
	v_mad_u64_u32 v[35:36], null, 0xfc2757d1, v39, v[0:1]
	v_cndmask_b32_e64 v31, v32, v31, s4
	s_delay_alu instid0(VALU_DEP_2) | instskip(NEXT) | instid1(VALU_DEP_1)
	v_mov_b32_e32 v0, v36
	v_mad_u64_u32 v[36:37], null, 0x4e441529, v39, v[0:1]
	s_delay_alu instid0(VALU_DEP_1) | instskip(NEXT) | instid1(VALU_DEP_1)
	v_mov_b32_e32 v0, v37
	v_mad_u64_u32 v[37:38], null, 0xa2f9836e, v39, v[0:1]
	v_cndmask_b32_e64 v0, 0, 0xffffffe0, s5
	s_delay_alu instid0(VALU_DEP_4) | instskip(NEXT) | instid1(VALU_DEP_2)
	v_cndmask_b32_e32 v39, v36, v34, vcc_lo
	v_dual_cndmask_b32 v37, v37, v35 :: v_dual_add_nc_u32 v0, v0, v40
	s_delay_alu instid0(VALU_DEP_4) | instskip(NEXT) | instid1(VALU_DEP_2)
	v_dual_cndmask_b32 v36, v38, v36 :: v_dual_cndmask_b32 v35, v35, v33
	v_sub_nc_u32_e32 v38, 32, v0
	s_delay_alu instid0(VALU_DEP_3) | instskip(NEXT) | instid1(VALU_DEP_3)
	v_cndmask_b32_e64 v34, v37, v39, s4
	v_cndmask_b32_e64 v36, v36, v37, s4
	s_delay_alu instid0(VALU_DEP_4) | instskip(SKIP_2) | instid1(VALU_DEP_4)
	v_cndmask_b32_e64 v37, v39, v35, s4
	v_cndmask_b32_e64 v35, v35, v32, s4
	v_cmp_eq_u32_e64 s6, 0, v0
	v_cndmask_b32_e64 v36, v36, v34, s5
	s_delay_alu instid0(VALU_DEP_4) | instskip(NEXT) | instid1(VALU_DEP_4)
	v_cndmask_b32_e64 v34, v34, v37, s5
	v_cndmask_b32_e64 v37, v37, v35, s5
	;; [unrolled: 1-line block ×3, first 2 shown]
	s_delay_alu instid0(VALU_DEP_3) | instskip(NEXT) | instid1(VALU_DEP_3)
	v_alignbit_b32 v39, v36, v34, v38
	v_alignbit_b32 v40, v34, v37, v38
	s_delay_alu instid0(VALU_DEP_3) | instskip(NEXT) | instid1(VALU_DEP_3)
	v_alignbit_b32 v38, v37, v31, v38
	v_cndmask_b32_e64 v0, v39, v36, s6
	s_delay_alu instid0(VALU_DEP_3) | instskip(NEXT) | instid1(VALU_DEP_3)
	v_cndmask_b32_e64 v33, v40, v34, s6
	v_cndmask_b32_e64 v37, v38, v37, s6
	s_delay_alu instid0(VALU_DEP_3) | instskip(NEXT) | instid1(VALU_DEP_3)
	v_bfe_u32 v34, v0, 29, 1
	v_alignbit_b32 v32, v0, v33, 30
	s_delay_alu instid0(VALU_DEP_3) | instskip(SKIP_1) | instid1(VALU_DEP_4)
	v_alignbit_b32 v33, v33, v37, 30
	v_alignbit_b32 v31, v37, v31, 30
	v_sub_nc_u32_e32 v36, 0, v34
	s_delay_alu instid0(VALU_DEP_1) | instskip(SKIP_3) | instid1(VALU_DEP_4)
	v_xor_b32_e32 v35, v32, v36
	v_cmp_ne_u32_e32 vcc_lo, v32, v36
	v_xor_b32_e32 v33, v33, v36
	v_xor_b32_e32 v31, v31, v36
	v_clz_i32_u32_e32 v39, v35
	s_delay_alu instid0(VALU_DEP_1) | instskip(NEXT) | instid1(VALU_DEP_1)
	v_add_nc_u32_e32 v38, 1, v39
	v_cndmask_b32_e32 v32, 33, v38, vcc_lo
	s_delay_alu instid0(VALU_DEP_1) | instskip(NEXT) | instid1(VALU_DEP_1)
	v_sub_nc_u32_e32 v37, 32, v32
	v_alignbit_b32 v35, v35, v33, v37
	v_alignbit_b32 v31, v33, v31, v37
	v_lshrrev_b32_e32 v33, 29, v0
	s_delay_alu instid0(VALU_DEP_2) | instskip(NEXT) | instid1(VALU_DEP_2)
	v_alignbit_b32 v36, v35, v31, 9
	v_lshlrev_b32_e32 v33, 31, v33
	v_alignbit_b32 v35, v32, v35, 9
	s_delay_alu instid0(VALU_DEP_3) | instskip(NEXT) | instid1(VALU_DEP_2)
	v_clz_i32_u32_e32 v37, v36
	v_or_b32_e32 v35, v35, v33
	v_or_b32_e32 v33, 0x33800000, v33
	s_delay_alu instid0(VALU_DEP_3) | instskip(NEXT) | instid1(VALU_DEP_3)
	v_min_u32_e32 v37, 32, v37
	v_xor_b32_e32 v35, 1.0, v35
	s_delay_alu instid0(VALU_DEP_2) | instskip(SKIP_1) | instid1(VALU_DEP_3)
	v_sub_nc_u32_e32 v38, 31, v37
	v_add_lshl_u32 v32, v37, v32, 23
	v_mul_f32_e32 v37, 0x3fc90fda, v35
	s_delay_alu instid0(VALU_DEP_3) | instskip(NEXT) | instid1(VALU_DEP_3)
	v_alignbit_b32 v31, v36, v31, v38
	v_sub_nc_u32_e32 v32, v33, v32
	s_delay_alu instid0(VALU_DEP_3) | instskip(NEXT) | instid1(VALU_DEP_3)
	v_fma_f32 v33, 0x3fc90fda, v35, -v37
	v_lshrrev_b32_e32 v31, 9, v31
	s_delay_alu instid0(VALU_DEP_2) | instskip(NEXT) | instid1(VALU_DEP_2)
	v_fmac_f32_e32 v33, 0x33a22168, v35
	v_or_b32_e32 v31, v32, v31
	s_delay_alu instid0(VALU_DEP_1) | instskip(SKIP_1) | instid1(VALU_DEP_1)
	v_fmac_f32_e32 v33, 0x3fc90fda, v31
	v_lshrrev_b32_e32 v31, 30, v0
	v_dual_add_f32 v0, v37, v33 :: v_dual_add_nc_u32 v31, v34, v31
	s_and_not1_saveexec_b32 s4, s29
	s_cbranch_execnz .LBB95_310
	s_branch .LBB95_311
.LBB95_305:                             ;   in Loop: Header=BB95_161 Depth=1
	s_and_not1_saveexec_b32 s4, s30
.LBB95_306:                             ;   in Loop: Header=BB95_161 Depth=1
	v_mul_f32_e64 v0, 0x3f22f983, |v4|
	s_delay_alu instid0(VALU_DEP_1) | instskip(NEXT) | instid1(VALU_DEP_1)
	v_rndne_f32_e32 v0, v0
	v_fma_f32 v7, 0xbfc90fda, v0, |v4|
	v_cvt_i32_f32_e32 v8, v0
	s_delay_alu instid0(VALU_DEP_2) | instskip(NEXT) | instid1(VALU_DEP_1)
	v_fmac_f32_e32 v7, 0xb3a22168, v0
	v_fmac_f32_e32 v7, 0xa7c234c4, v0
; %bb.307:                              ;   in Loop: Header=BB95_161 Depth=1
	s_or_b32 exec_lo, exec_lo, s4
                                        ; implicit-def: $vgpr10
                                        ; implicit-def: $vgpr0
	s_and_saveexec_b32 s4, s29
	s_delay_alu instid0(SALU_CYCLE_1)
	s_xor_b32 s29, exec_lo, s4
	s_cbranch_execz .LBB95_320
; %bb.308:                              ;   in Loop: Header=BB95_161 Depth=1
	v_lshrrev_b32_e32 v37, 23, v5
	v_and_or_b32 v10, v5, s7, 0x800000
	s_delay_alu instid0(VALU_DEP_2) | instskip(NEXT) | instid1(VALU_DEP_2)
	v_add_nc_u32_e32 v38, 0xffffff88, v37
	v_mad_u64_u32 v[32:33], null, 0xfe5163ab, v10, 0
	s_delay_alu instid0(VALU_DEP_2) | instskip(SKIP_1) | instid1(VALU_DEP_1)
	v_cmp_lt_u32_e32 vcc_lo, 63, v38
	v_cndmask_b32_e64 v39, 0, 0xffffffc0, vcc_lo
	v_dual_mov_b32 v0, v33 :: v_dual_add_nc_u32 v39, v39, v38
	s_delay_alu instid0(VALU_DEP_1) | instskip(NEXT) | instid1(VALU_DEP_2)
	v_mad_u64_u32 v[33:34], null, 0x3c439041, v10, v[0:1]
	v_cmp_lt_u32_e64 s4, 31, v39
	s_delay_alu instid0(VALU_DEP_2) | instskip(NEXT) | instid1(VALU_DEP_2)
	v_mov_b32_e32 v0, v34
	v_cndmask_b32_e64 v40, 0, 0xffffffe0, s4
	s_delay_alu instid0(VALU_DEP_2) | instskip(NEXT) | instid1(VALU_DEP_2)
	v_mad_u64_u32 v[34:35], null, 0xdb629599, v10, v[0:1]
	v_add_nc_u32_e32 v40, v40, v39
	s_delay_alu instid0(VALU_DEP_1) | instskip(NEXT) | instid1(VALU_DEP_3)
	v_cmp_lt_u32_e64 s5, 31, v40
	v_mov_b32_e32 v0, v35
	s_delay_alu instid0(VALU_DEP_4) | instskip(NEXT) | instid1(VALU_DEP_2)
	v_cndmask_b32_e32 v32, v34, v32, vcc_lo
	v_mad_u64_u32 v[35:36], null, 0xf534ddc0, v10, v[0:1]
	s_delay_alu instid0(VALU_DEP_1) | instskip(NEXT) | instid1(VALU_DEP_1)
	v_dual_mov_b32 v0, v36 :: v_dual_cndmask_b32 v33, v35, v33
	v_mad_u64_u32 v[36:37], null, 0xfc2757d1, v10, v[0:1]
	s_delay_alu instid0(VALU_DEP_2) | instskip(NEXT) | instid1(VALU_DEP_2)
	v_cndmask_b32_e64 v32, v33, v32, s4
	v_mov_b32_e32 v0, v37
	s_delay_alu instid0(VALU_DEP_1) | instskip(NEXT) | instid1(VALU_DEP_1)
	v_mad_u64_u32 v[37:38], null, 0x4e441529, v10, v[0:1]
	v_mov_b32_e32 v0, v38
	s_delay_alu instid0(VALU_DEP_1) | instskip(SKIP_1) | instid1(VALU_DEP_4)
	v_mad_u64_u32 v[38:39], null, 0xa2f9836e, v10, v[0:1]
	v_cndmask_b32_e64 v0, 0, 0xffffffe0, s5
	v_cndmask_b32_e32 v10, v37, v35, vcc_lo
	s_delay_alu instid0(VALU_DEP_2) | instskip(NEXT) | instid1(VALU_DEP_4)
	v_add_nc_u32_e32 v0, v0, v40
	v_dual_cndmask_b32 v38, v38, v36 :: v_dual_cndmask_b32 v37, v39, v37
	v_cndmask_b32_e32 v36, v36, v34, vcc_lo
	s_delay_alu instid0(VALU_DEP_3) | instskip(NEXT) | instid1(VALU_DEP_3)
	v_cmp_eq_u32_e64 s6, 0, v0
	v_cndmask_b32_e64 v35, v38, v10, s4
	s_delay_alu instid0(VALU_DEP_4) | instskip(NEXT) | instid1(VALU_DEP_4)
	v_cndmask_b32_e64 v37, v37, v38, s4
	v_cndmask_b32_e64 v10, v10, v36, s4
	v_sub_nc_u32_e32 v38, 32, v0
	v_cndmask_b32_e64 v36, v36, v33, s4
	s_delay_alu instid0(VALU_DEP_4) | instskip(NEXT) | instid1(VALU_DEP_4)
	v_cndmask_b32_e64 v37, v37, v35, s5
	v_cndmask_b32_e64 v35, v35, v10, s5
	s_delay_alu instid0(VALU_DEP_3) | instskip(SKIP_1) | instid1(VALU_DEP_3)
	v_cndmask_b32_e64 v10, v10, v36, s5
	v_cndmask_b32_e64 v32, v36, v32, s5
	v_alignbit_b32 v39, v37, v35, v38
	s_delay_alu instid0(VALU_DEP_3) | instskip(NEXT) | instid1(VALU_DEP_3)
	v_alignbit_b32 v40, v35, v10, v38
	v_alignbit_b32 v38, v10, v32, v38
	s_delay_alu instid0(VALU_DEP_3) | instskip(NEXT) | instid1(VALU_DEP_3)
	v_cndmask_b32_e64 v0, v39, v37, s6
	v_cndmask_b32_e64 v34, v40, v35, s6
	s_delay_alu instid0(VALU_DEP_3) | instskip(NEXT) | instid1(VALU_DEP_3)
	v_cndmask_b32_e64 v10, v38, v10, s6
	v_bfe_u32 v35, v0, 29, 1
	s_delay_alu instid0(VALU_DEP_3) | instskip(NEXT) | instid1(VALU_DEP_3)
	v_alignbit_b32 v33, v0, v34, 30
	v_alignbit_b32 v34, v34, v10, 30
	;; [unrolled: 1-line block ×3, first 2 shown]
	s_delay_alu instid0(VALU_DEP_4) | instskip(NEXT) | instid1(VALU_DEP_1)
	v_sub_nc_u32_e32 v37, 0, v35
	v_xor_b32_e32 v36, v33, v37
	v_cmp_ne_u32_e32 vcc_lo, v33, v37
	v_xor_b32_e32 v32, v34, v37
	v_xor_b32_e32 v10, v10, v37
	s_delay_alu instid0(VALU_DEP_4) | instskip(NEXT) | instid1(VALU_DEP_1)
	v_clz_i32_u32_e32 v39, v36
	v_add_nc_u32_e32 v38, 1, v39
	s_delay_alu instid0(VALU_DEP_1) | instskip(NEXT) | instid1(VALU_DEP_1)
	v_cndmask_b32_e32 v33, 33, v38, vcc_lo
	v_sub_nc_u32_e32 v34, 32, v33
	s_delay_alu instid0(VALU_DEP_1) | instskip(SKIP_2) | instid1(VALU_DEP_2)
	v_alignbit_b32 v36, v36, v32, v34
	v_alignbit_b32 v10, v32, v10, v34
	v_lshrrev_b32_e32 v32, 29, v0
	v_alignbit_b32 v34, v36, v10, 9
	s_delay_alu instid0(VALU_DEP_2) | instskip(SKIP_1) | instid1(VALU_DEP_3)
	v_lshlrev_b32_e32 v32, 31, v32
	v_alignbit_b32 v36, v33, v36, 9
	v_clz_i32_u32_e32 v37, v34
	s_delay_alu instid0(VALU_DEP_2) | instskip(SKIP_1) | instid1(VALU_DEP_3)
	v_or_b32_e32 v36, v36, v32
	v_or_b32_e32 v32, 0x33800000, v32
	v_min_u32_e32 v37, 32, v37
	s_delay_alu instid0(VALU_DEP_3) | instskip(NEXT) | instid1(VALU_DEP_2)
	v_xor_b32_e32 v36, 1.0, v36
	v_sub_nc_u32_e32 v38, 31, v37
	v_add_lshl_u32 v33, v37, v33, 23
	s_delay_alu instid0(VALU_DEP_3) | instskip(NEXT) | instid1(VALU_DEP_3)
	v_mul_f32_e32 v37, 0x3fc90fda, v36
	v_alignbit_b32 v10, v34, v10, v38
	s_delay_alu instid0(VALU_DEP_3) | instskip(NEXT) | instid1(VALU_DEP_3)
	v_sub_nc_u32_e32 v32, v32, v33
	v_fma_f32 v33, 0x3fc90fda, v36, -v37
	s_delay_alu instid0(VALU_DEP_3) | instskip(NEXT) | instid1(VALU_DEP_2)
	v_lshrrev_b32_e32 v10, 9, v10
	v_fmac_f32_e32 v33, 0x33a22168, v36
	s_delay_alu instid0(VALU_DEP_2) | instskip(NEXT) | instid1(VALU_DEP_1)
	v_or_b32_e32 v10, v32, v10
	v_fmac_f32_e32 v33, 0x3fc90fda, v10
	v_lshrrev_b32_e32 v10, 30, v0
	s_delay_alu instid0(VALU_DEP_2) | instskip(NEXT) | instid1(VALU_DEP_2)
	v_add_f32_e32 v0, v37, v33
	v_add_nc_u32_e32 v10, v35, v10
	s_and_not1_saveexec_b32 s4, s29
	s_cbranch_execnz .LBB95_321
	s_branch .LBB95_322
.LBB95_309:                             ;   in Loop: Header=BB95_161 Depth=1
	s_and_not1_saveexec_b32 s4, s29
.LBB95_310:                             ;   in Loop: Header=BB95_161 Depth=1
	v_mul_f32_e64 v0, 0x3f22f983, |v4|
	s_delay_alu instid0(VALU_DEP_1) | instskip(NEXT) | instid1(VALU_DEP_1)
	v_rndne_f32_e32 v31, v0
	v_fma_f32 v0, 0xbfc90fda, v31, |v4|
	s_delay_alu instid0(VALU_DEP_1) | instskip(NEXT) | instid1(VALU_DEP_1)
	v_fmac_f32_e32 v0, 0xb3a22168, v31
	v_fmac_f32_e32 v0, 0xa7c234c4, v31
	v_cvt_i32_f32_e32 v31, v31
.LBB95_311:                             ;   in Loop: Header=BB95_161 Depth=1
	s_or_b32 exec_lo, exec_lo, s4
	v_mul_f32_e64 v34, 0xbfb8aa3b, |v5|
	v_dual_mul_f32 v32, v8, v8 :: v_dual_and_b32 v33, 1, v10
	v_lshlrev_b32_e32 v10, 30, v10
	s_delay_alu instid0(VALU_DEP_3) | instskip(NEXT) | instid1(VALU_DEP_3)
	v_rndne_f32_e32 v38, v34
	v_fmaak_f32 v35, s25, v32, 0x3c0881c4
	v_mul_f32_e32 v37, v0, v0
	v_fma_f32 v39, 0xbfb8aa3b, |v5|, -v34
	v_cmp_eq_u32_e32 vcc_lo, 0, v33
	v_dual_sub_f32 v34, v34, v38 :: v_dual_and_b32 v33, 1, v31
	s_delay_alu instid0(VALU_DEP_4) | instskip(SKIP_3) | instid1(VALU_DEP_4)
	v_fmaak_f32 v40, s25, v37, 0x3c0881c4
	v_fmaak_f32 v35, v32, v35, 0xbe2aaa9d
	v_fma_f32 v39, 0xb2a5705f, |v5|, v39
	v_fmaak_f32 v41, s26, v37, 0xbab64f3b
	v_dual_fmaak_f32 v40, v37, v40, 0xbe2aaa9d :: v_dual_lshlrev_b32 v31, 30, v31
	s_delay_alu instid0(VALU_DEP_4) | instskip(NEXT) | instid1(VALU_DEP_4)
	v_dual_fmaak_f32 v36, s26, v32, 0xbab64f3b :: v_dual_mul_f32 v35, v32, v35
	v_add_f32_e32 v34, v34, v39
	s_delay_alu instid0(VALU_DEP_2) | instskip(NEXT) | instid1(VALU_DEP_3)
	v_fmaak_f32 v36, v32, v36, 0x3d2aabf7
	v_dual_fmac_f32 v8, v8, v35 :: v_dual_fmaak_f32 v35, v37, v41, 0x3d2aabf7
	s_delay_alu instid0(VALU_DEP_3) | instskip(NEXT) | instid1(VALU_DEP_2)
	v_exp_f32_e32 v34, v34
	v_fmaak_f32 v36, v32, v36, 0xbf000004
	s_delay_alu instid0(VALU_DEP_1) | instskip(SKIP_1) | instid1(VALU_DEP_2)
	v_fma_f32 v32, v32, v36, 1.0
	v_mul_f32_e32 v36, v37, v40
	v_cndmask_b32_e32 v8, v32, v8, vcc_lo
	v_fmaak_f32 v32, v37, v35, 0xbf000004
	s_delay_alu instid0(VALU_DEP_3) | instskip(SKIP_1) | instid1(VALU_DEP_3)
	v_fmac_f32_e32 v0, v0, v36
	v_cmp_eq_u32_e32 vcc_lo, 0, v33
	v_fma_f32 v32, v37, v32, 1.0
	s_delay_alu instid0(VALU_DEP_1) | instskip(SKIP_2) | instid1(VALU_DEP_1)
	v_cndmask_b32_e64 v0, -v0, v32, vcc_lo
	v_cmp_nlt_f32_e64 vcc_lo, 0x42ce8ed0, |v5|
	v_and_b32_e32 v10, 0x80000000, v10
	v_xor_b32_e32 v7, v7, v10
	v_cvt_i32_f32_e32 v10, v38
	s_delay_alu instid0(VALU_DEP_2) | instskip(NEXT) | instid1(VALU_DEP_2)
	v_xor3_b32 v4, v7, v8, v4
	v_ldexp_f32 v7, v34, v10
	v_and_b32_e32 v8, 0x80000000, v31
	s_delay_alu instid0(VALU_DEP_2) | instskip(NEXT) | instid1(VALU_DEP_2)
	v_dual_mul_f32 v4, 4.0, v4 :: v_dual_cndmask_b32 v7, 0, v7
	v_xor_b32_e32 v0, v8, v0
	v_cmp_ngt_f32_e64 vcc_lo, 0xc2b17218, |v5|
	s_delay_alu instid0(VALU_DEP_2) | instskip(SKIP_1) | instid1(VALU_DEP_2)
	v_dual_mul_f32 v0, v4, v0 :: v_dual_cndmask_b32 v7, 0x7f800000, v7
	v_xor_b32_e32 v4, 0x80000000, v5
	v_mul_f32_e32 v0, v7, v0
	s_delay_alu instid0(VALU_DEP_2) | instskip(NEXT) | instid1(VALU_DEP_2)
	v_bfi_b32 v31, 0x7fffffff, 1.0, v4
	v_mul_f32_e32 v8, v7, v0
.LBB95_312:                             ;   in Loop: Header=BB95_161 Depth=1
	s_or_b32 exec_lo, exec_lo, s28
                                        ; implicit-def: $vgpr4
.LBB95_313:                             ;   in Loop: Header=BB95_161 Depth=1
	s_and_not1_saveexec_b32 s4, s27
; %bb.314:                              ;   in Loop: Header=BB95_161 Depth=1
	v_sub_f32_e32 v8, v4, v4
	s_delay_alu instid0(VALU_DEP_1)
	v_mov_b32_e32 v31, v8
; %bb.315:                              ;   in Loop: Header=BB95_161 Depth=1
	s_or_b32 exec_lo, exec_lo, s4
                                        ; implicit-def: $vgpr5
	s_and_not1_saveexec_b32 s13, s13
	s_cbranch_execnz .LBB95_295
.LBB95_316:                             ;   in Loop: Header=BB95_161 Depth=1
	s_or_b32 exec_lo, exec_lo, s13
	s_and_saveexec_b32 s4, s0
	s_delay_alu instid0(SALU_CYCLE_1)
	s_xor_b32 s0, exec_lo, s4
	s_cbranch_execz .LBB95_325
.LBB95_317:                             ;   in Loop: Header=BB95_161 Depth=1
	v_add_co_u32 v4, vcc_lo, v16, s8
	v_xor_b32_e32 v7, 0x80000000, v30
	v_add_co_ci_u32_e32 v5, vcc_lo, s9, v17, vcc_lo
	global_store_b64 v[4:5], v[6:7], off offset:-4
	s_or_b32 exec_lo, exec_lo, s0
	s_and_saveexec_b32 s0, s1
	s_cbranch_execnz .LBB95_326
.LBB95_318:                             ;   in Loop: Header=BB95_161 Depth=1
	s_or_b32 exec_lo, exec_lo, s0
	s_and_saveexec_b32 s0, s2
	s_cbranch_execz .LBB95_327
.LBB95_319:                             ;   in Loop: Header=BB95_161 Depth=1
	v_add_co_u32 v4, vcc_lo, v28, s8
	v_xor_b32_e32 v12, 0x80000000, v13
	v_add_co_ci_u32_e32 v5, vcc_lo, s9, v29, vcc_lo
	global_store_b64 v[4:5], v[11:12], off offset:-4
	s_or_b32 exec_lo, exec_lo, s0
	s_and_saveexec_b32 s0, s3
	s_cbranch_execz .LBB95_160
	s_branch .LBB95_328
.LBB95_320:                             ;   in Loop: Header=BB95_161 Depth=1
	s_and_not1_saveexec_b32 s4, s29
.LBB95_321:                             ;   in Loop: Header=BB95_161 Depth=1
	v_mul_f32_e64 v0, 0x3f22f983, |v4|
	s_delay_alu instid0(VALU_DEP_1) | instskip(NEXT) | instid1(VALU_DEP_1)
	v_rndne_f32_e32 v10, v0
	v_fma_f32 v0, 0xbfc90fda, v10, |v4|
	s_delay_alu instid0(VALU_DEP_1) | instskip(NEXT) | instid1(VALU_DEP_1)
	v_fmac_f32_e32 v0, 0xb3a22168, v10
	v_fmac_f32_e32 v0, 0xa7c234c4, v10
	v_cvt_i32_f32_e32 v10, v10
.LBB95_322:                             ;   in Loop: Header=BB95_161 Depth=1
	s_or_b32 exec_lo, exec_lo, s4
	v_dual_mul_f32 v32, v7, v7 :: v_dual_and_b32 v33, 1, v8
	s_delay_alu instid0(VALU_DEP_2) | instskip(SKIP_1) | instid1(VALU_DEP_3)
	v_dual_mul_f32 v34, v0, v0 :: v_dual_and_b32 v37, 1, v10
	v_lshlrev_b32_e32 v8, 30, v8
	v_fmaak_f32 v35, s25, v32, 0x3c0881c4
	s_delay_alu instid0(VALU_DEP_4) | instskip(NEXT) | instid1(VALU_DEP_4)
	v_cmp_eq_u32_e32 vcc_lo, 0, v33
	v_fmaak_f32 v38, s25, v34, 0x3c0881c4
	v_fmaak_f32 v39, s26, v34, 0xbab64f3b
	s_delay_alu instid0(VALU_DEP_4) | instskip(SKIP_1) | instid1(VALU_DEP_3)
	v_dual_fmaak_f32 v35, v32, v35, 0xbe2aaa9d :: v_dual_lshlrev_b32 v10, 30, v10
	v_fmaak_f32 v36, s26, v32, 0xbab64f3b
	v_fmaak_f32 v39, v34, v39, 0x3d2aabf7
	s_delay_alu instid0(VALU_DEP_3) | instskip(NEXT) | instid1(VALU_DEP_3)
	v_dual_mul_f32 v35, v32, v35 :: v_dual_and_b32 v10, 0x80000000, v10
	v_fmaak_f32 v36, v32, v36, 0x3d2aabf7
	v_fmaak_f32 v38, v34, v38, 0xbe2aaa9d
	s_delay_alu instid0(VALU_DEP_4) | instskip(NEXT) | instid1(VALU_DEP_3)
	v_fmaak_f32 v39, v34, v39, 0xbf000004
	v_dual_fmac_f32 v7, v7, v35 :: v_dual_fmaak_f32 v36, v32, v36, 0xbf000004
	s_delay_alu instid0(VALU_DEP_3) | instskip(NEXT) | instid1(VALU_DEP_2)
	v_mul_f32_e32 v38, v34, v38
	v_fma_f32 v32, v32, v36, 1.0
	v_and_b32_e32 v8, 0x80000000, v8
	s_delay_alu instid0(VALU_DEP_3) | instskip(NEXT) | instid1(VALU_DEP_3)
	v_fmac_f32_e32 v0, v0, v38
	v_cndmask_b32_e32 v7, v32, v7, vcc_lo
	s_delay_alu instid0(VALU_DEP_3) | instskip(SKIP_2) | instid1(VALU_DEP_3)
	v_xor_b32_e32 v5, v5, v8
	v_fma_f32 v8, v34, v39, 1.0
	v_cmp_eq_u32_e32 vcc_lo, 0, v37
	v_xor3_b32 v5, v5, v7, v4
	s_delay_alu instid0(VALU_DEP_3) | instskip(SKIP_1) | instid1(VALU_DEP_2)
	v_cndmask_b32_e64 v0, -v0, v8, vcc_lo
	v_cmp_class_f32_e64 vcc_lo, v4, 0x1f8
	v_xor_b32_e32 v0, v10, v0
	s_delay_alu instid0(VALU_DEP_1) | instskip(NEXT) | instid1(VALU_DEP_1)
	v_mul_f32_e32 v0, v5, v0
	v_cndmask_b32_e32 v4, 0x7fc00000, v0, vcc_lo
.LBB95_323:                             ;   in Loop: Header=BB95_161 Depth=1
	s_or_b32 exec_lo, exec_lo, s28
	v_add_nc_u32_e32 v31, -2.0, v31
	s_delay_alu instid0(VALU_DEP_2)
	v_bfi_b32 v8, 0x7fffffff, 0, v4
.LBB95_324:                             ;   in Loop: Header=BB95_161 Depth=1
	s_or_b32 exec_lo, exec_lo, s27
	s_delay_alu instid0(SALU_CYCLE_1) | instskip(SKIP_1) | instid1(SALU_CYCLE_1)
	s_or_b32 exec_lo, exec_lo, s13
	s_and_saveexec_b32 s4, s0
	s_xor_b32 s0, exec_lo, s4
	s_cbranch_execnz .LBB95_317
.LBB95_325:                             ;   in Loop: Header=BB95_161 Depth=1
	s_or_b32 exec_lo, exec_lo, s0
	s_and_saveexec_b32 s0, s1
	s_cbranch_execz .LBB95_318
.LBB95_326:                             ;   in Loop: Header=BB95_161 Depth=1
	v_add_co_u32 v4, vcc_lo, v18, s8
	v_xor_b32_e32 v10, 0x80000000, v12
	v_add_co_ci_u32_e32 v5, vcc_lo, s9, v19, vcc_lo
	global_store_b64 v[4:5], v[9:10], off
	s_or_b32 exec_lo, exec_lo, s0
	s_and_saveexec_b32 s0, s2
	s_cbranch_execnz .LBB95_319
.LBB95_327:                             ;   in Loop: Header=BB95_161 Depth=1
	s_or_b32 exec_lo, exec_lo, s0
	s_and_saveexec_b32 s0, s3
	s_cbranch_execz .LBB95_160
.LBB95_328:                             ;   in Loop: Header=BB95_161 Depth=1
	v_add_co_u32 v4, vcc_lo, v24, s8
	v_xor_b32_e32 v9, 0x80000000, v31
	v_add_co_ci_u32_e32 v5, vcc_lo, s9, v25, vcc_lo
	global_store_b64 v[4:5], v[8:9], off offset:-4
	s_branch .LBB95_160
.LBB95_329:
	s_nop 0
	s_sendmsg sendmsg(MSG_DEALLOC_VGPRS)
	s_endpgm
	.section	.rodata,"a",@progbits
	.p2align	6, 0x0
	.amdhsa_kernel _ZN2at6native12_GLOBAL__N_125multi_tensor_apply_kernelINS1_18TensorListMetadataILi2EEENS1_14UnaryOpFunctorIN3c107complexIfEELi2ELi1ELi1EEEJNS0_3TanIS8_EEEEEvT_T0_DpT1_
		.amdhsa_group_segment_fixed_size 0
		.amdhsa_private_segment_fixed_size 0
		.amdhsa_kernarg_size 3408
		.amdhsa_user_sgpr_count 15
		.amdhsa_user_sgpr_dispatch_ptr 0
		.amdhsa_user_sgpr_queue_ptr 0
		.amdhsa_user_sgpr_kernarg_segment_ptr 1
		.amdhsa_user_sgpr_dispatch_id 0
		.amdhsa_user_sgpr_private_segment_size 0
		.amdhsa_wavefront_size32 1
		.amdhsa_uses_dynamic_stack 0
		.amdhsa_enable_private_segment 0
		.amdhsa_system_sgpr_workgroup_id_x 1
		.amdhsa_system_sgpr_workgroup_id_y 0
		.amdhsa_system_sgpr_workgroup_id_z 0
		.amdhsa_system_sgpr_workgroup_info 0
		.amdhsa_system_vgpr_workitem_id 0
		.amdhsa_next_free_vgpr 42
		.amdhsa_next_free_sgpr 32
		.amdhsa_reserve_vcc 1
		.amdhsa_float_round_mode_32 0
		.amdhsa_float_round_mode_16_64 0
		.amdhsa_float_denorm_mode_32 3
		.amdhsa_float_denorm_mode_16_64 3
		.amdhsa_dx10_clamp 1
		.amdhsa_ieee_mode 1
		.amdhsa_fp16_overflow 0
		.amdhsa_workgroup_processor_mode 1
		.amdhsa_memory_ordered 1
		.amdhsa_forward_progress 0
		.amdhsa_shared_vgpr_count 0
		.amdhsa_exception_fp_ieee_invalid_op 0
		.amdhsa_exception_fp_denorm_src 0
		.amdhsa_exception_fp_ieee_div_zero 0
		.amdhsa_exception_fp_ieee_overflow 0
		.amdhsa_exception_fp_ieee_underflow 0
		.amdhsa_exception_fp_ieee_inexact 0
		.amdhsa_exception_int_div_zero 0
	.end_amdhsa_kernel
	.section	.text._ZN2at6native12_GLOBAL__N_125multi_tensor_apply_kernelINS1_18TensorListMetadataILi2EEENS1_14UnaryOpFunctorIN3c107complexIfEELi2ELi1ELi1EEEJNS0_3TanIS8_EEEEEvT_T0_DpT1_,"axG",@progbits,_ZN2at6native12_GLOBAL__N_125multi_tensor_apply_kernelINS1_18TensorListMetadataILi2EEENS1_14UnaryOpFunctorIN3c107complexIfEELi2ELi1ELi1EEEJNS0_3TanIS8_EEEEEvT_T0_DpT1_,comdat
.Lfunc_end95:
	.size	_ZN2at6native12_GLOBAL__N_125multi_tensor_apply_kernelINS1_18TensorListMetadataILi2EEENS1_14UnaryOpFunctorIN3c107complexIfEELi2ELi1ELi1EEEJNS0_3TanIS8_EEEEEvT_T0_DpT1_, .Lfunc_end95-_ZN2at6native12_GLOBAL__N_125multi_tensor_apply_kernelINS1_18TensorListMetadataILi2EEENS1_14UnaryOpFunctorIN3c107complexIfEELi2ELi1ELi1EEEJNS0_3TanIS8_EEEEEvT_T0_DpT1_
                                        ; -- End function
	.section	.AMDGPU.csdata,"",@progbits
; Kernel info:
; codeLenInByte = 49776
; NumSgprs: 34
; NumVgprs: 42
; ScratchSize: 0
; MemoryBound: 0
; FloatMode: 240
; IeeeMode: 1
; LDSByteSize: 0 bytes/workgroup (compile time only)
; SGPRBlocks: 4
; VGPRBlocks: 5
; NumSGPRsForWavesPerEU: 34
; NumVGPRsForWavesPerEU: 42
; Occupancy: 16
; WaveLimiterHint : 0
; COMPUTE_PGM_RSRC2:SCRATCH_EN: 0
; COMPUTE_PGM_RSRC2:USER_SGPR: 15
; COMPUTE_PGM_RSRC2:TRAP_HANDLER: 0
; COMPUTE_PGM_RSRC2:TGID_X_EN: 1
; COMPUTE_PGM_RSRC2:TGID_Y_EN: 0
; COMPUTE_PGM_RSRC2:TGID_Z_EN: 0
; COMPUTE_PGM_RSRC2:TIDIG_COMP_CNT: 0
	.section	.text._ZN2at6native12_GLOBAL__N_125multi_tensor_apply_kernelINS1_18TensorListMetadataILi2EEENS1_14UnaryOpFunctorIN3c104HalfELi2ELi1ELi1EEEJNS0_3TanIfEEEEEvT_T0_DpT1_,"axG",@progbits,_ZN2at6native12_GLOBAL__N_125multi_tensor_apply_kernelINS1_18TensorListMetadataILi2EEENS1_14UnaryOpFunctorIN3c104HalfELi2ELi1ELi1EEEJNS0_3TanIfEEEEEvT_T0_DpT1_,comdat
	.globl	_ZN2at6native12_GLOBAL__N_125multi_tensor_apply_kernelINS1_18TensorListMetadataILi2EEENS1_14UnaryOpFunctorIN3c104HalfELi2ELi1ELi1EEEJNS0_3TanIfEEEEEvT_T0_DpT1_ ; -- Begin function _ZN2at6native12_GLOBAL__N_125multi_tensor_apply_kernelINS1_18TensorListMetadataILi2EEENS1_14UnaryOpFunctorIN3c104HalfELi2ELi1ELi1EEEJNS0_3TanIfEEEEEvT_T0_DpT1_
	.p2align	8
	.type	_ZN2at6native12_GLOBAL__N_125multi_tensor_apply_kernelINS1_18TensorListMetadataILi2EEENS1_14UnaryOpFunctorIN3c104HalfELi2ELi1ELi1EEEJNS0_3TanIfEEEEEvT_T0_DpT1_,@function
_ZN2at6native12_GLOBAL__N_125multi_tensor_apply_kernelINS1_18TensorListMetadataILi2EEENS1_14UnaryOpFunctorIN3c104HalfELi2ELi1ELi1EEEJNS0_3TanIfEEEEEvT_T0_DpT1_: ; @_ZN2at6native12_GLOBAL__N_125multi_tensor_apply_kernelINS1_18TensorListMetadataILi2EEENS1_14UnaryOpFunctorIN3c104HalfELi2ELi1ELi1EEEJNS0_3TanIfEEEEEvT_T0_DpT1_
; %bb.0:
	v_mov_b32_e32 v1, s15
	s_add_u32 s2, s0, s15
	s_mul_hi_u32 s3, s15, 3
	s_mul_i32 s15, s15, 3
	s_addc_u32 s4, s1, 0
	global_load_u8 v1, v1, s[0:1] offset:1536
	s_add_u32 s2, s2, s15
	s_addc_u32 s3, s4, s3
	s_mov_b32 s19, 0
	s_load_b32 s2, s[2:3], 0x740
	s_mov_b32 s21, s19
	s_mov_b32 s23, s19
	s_waitcnt vmcnt(0)
	v_readfirstlane_b32 s5, v1
	s_delay_alu instid0(VALU_DEP_1)
	s_lshl_b32 s3, s5, 3
	s_clause 0x2
	s_load_b64 s[6:7], s[0:1], s3 offset:0x0
	s_load_b64 s[12:13], s[0:1], s3 offset:0x200
	;; [unrolled: 1-line block ×3, first 2 shown]
	s_waitcnt lgkmcnt(0)
	s_ashr_i32 s3, s2, 31
	s_delay_alu instid0(SALU_CYCLE_1) | instskip(NEXT) | instid1(SALU_CYCLE_1)
	s_lshl_b64 s[8:9], s[2:3], 17
	s_add_u32 s5, s6, s8
	s_addc_u32 s14, s7, s9
	s_and_b32 s18, s5, 7
	s_add_u32 s15, s12, s8
	s_addc_u32 s16, s13, s9
	s_and_b32 s20, s10, 3
	s_and_b32 s22, s15, 7
	s_or_b64 s[18:19], s[18:19], s[20:21]
	s_lshl_b64 s[2:3], s[2:3], 16
	s_or_b64 s[18:19], s[22:23], s[18:19]
	s_sub_u32 s10, s10, s2
	s_subb_u32 s11, s11, s3
	s_cmp_eq_u64 s[18:19], 0
	s_mov_b32 s2, -1
	s_cbranch_scc0 .LBB96_21
; %bb.1:
	v_dual_mov_b32 v2, 0 :: v_dual_lshlrev_b32 v1, 2, v0
	s_mov_b32 s17, exec_lo
	s_delay_alu instid0(VALU_DEP_1)
	v_cmpx_gt_i64_e64 s[10:11], v[1:2]
	s_cbranch_execz .LBB96_20
; %bb.2:
	s_load_b32 s2, s[0:1], 0xc5c
	s_mov_b32 s18, 0
	s_mov_b32 s21, 0x7fffff
	;; [unrolled: 1-line block ×4, first 2 shown]
	s_waitcnt lgkmcnt(0)
	s_and_b32 s2, s2, 0xffff
	s_delay_alu instid0(SALU_CYCLE_1) | instskip(SKIP_3) | instid1(VALU_DEP_2)
	v_add_lshl_u32 v1, v0, s2, 2
	v_dual_mov_b32 v4, v2 :: v_dual_lshlrev_b32 v7, 3, v0
	s_lshl_b32 s19, s2, 2
	s_lshl_b32 s20, s2, 3
	v_mov_b32_e32 v3, v1
	s_branch .LBB96_4
.LBB96_3:                               ;   in Loop: Header=BB96_4 Depth=1
	s_or_b32 exec_lo, exec_lo, s2
	s_delay_alu instid0(VALU_DEP_1) | instskip(SKIP_2) | instid1(VALU_DEP_3)
	v_dual_mul_f32 v21, v17, v17 :: v_dual_mul_f32 v24, v20, v20
	v_dual_mul_f32 v22, v13, v13 :: v_dual_mul_f32 v23, v11, v11
	v_cmp_lt_u64_e64 s2, 0xffff, v[3:4]
	v_dual_fmaak_f32 v25, s23, v21, 0xbf039337 :: v_dual_fmaak_f32 v28, s23, v24, 0xbf039337
	s_delay_alu instid0(VALU_DEP_3) | instskip(SKIP_1) | instid1(VALU_DEP_2)
	v_dual_fmaak_f32 v26, s23, v22, 0xbf039337 :: v_dual_fmaak_f32 v27, s23, v23, 0xbf039337
	v_dual_fmaak_f32 v29, s22, v21, 0x3ec54587 :: v_dual_fmaak_f32 v30, s22, v22, 0x3ec54587
	;; [unrolled: 1-line block ×3, first 2 shown]
	s_delay_alu instid0(VALU_DEP_3) | instskip(SKIP_1) | instid1(VALU_DEP_3)
	v_dual_fmaak_f32 v27, v23, v27, 0x3f93f425 :: v_dual_fmaak_f32 v28, v24, v28, 0x3f93f425
	v_dual_fmaak_f32 v31, s22, v23, 0x3ec54587 :: v_dual_fmaak_f32 v32, s22, v24, 0x3ec54587
	v_rcp_f32_e32 v25, v25
	s_delay_alu instid0(VALU_DEP_3) | instskip(NEXT) | instid1(VALU_DEP_2)
	v_rcp_f32_e32 v26, v26
	v_rcp_f32_e32 v27, v27
	v_rcp_f32_e32 v28, v28
	v_and_b32_e32 v14, 1, v14
	v_dual_mul_f32 v25, v29, v25 :: v_dual_and_b32 v10, 1, v10
	s_waitcnt_depctr 0xfff
	v_dual_mul_f32 v26, v30, v26 :: v_dual_mul_f32 v27, v31, v27
	v_dual_mul_f32 v28, v32, v28 :: v_dual_mul_f32 v21, v21, v25
	s_delay_alu instid0(VALU_DEP_2) | instskip(NEXT) | instid1(VALU_DEP_2)
	v_dual_mul_f32 v22, v22, v26 :: v_dual_mul_f32 v23, v23, v27
	v_mul_f32_e32 v24, v24, v28
	s_delay_alu instid0(VALU_DEP_3) | instskip(NEXT) | instid1(VALU_DEP_3)
	v_fma_f32 v25, v21, v17, v17
	v_fma_f32 v26, v22, v13, v13
	s_delay_alu instid0(VALU_DEP_4) | instskip(NEXT) | instid1(VALU_DEP_4)
	v_fma_f32 v27, v23, v11, v11
	v_fma_f32 v28, v24, v20, v20
	v_and_b32_e32 v19, 1, v19
	v_rcp_f32_e32 v30, v25
	v_sub_f32_e32 v29, v25, v17
	v_rcp_f32_e32 v32, v26
	v_sub_f32_e32 v31, v26, v13
	;; [unrolled: 2-line block ×3, first 2 shown]
	v_fma_f32 v17, v21, v17, -v29
	v_rcp_f32_e32 v35, v28
	v_fma_f32 v13, v22, v13, -v31
	v_sub_f32_e32 v36, v28, v20
	v_fma_f32 v21, v25, -v30, 1.0
	v_fma_f32 v11, v23, v11, -v33
	v_fma_f32 v22, v26, -v32, 1.0
	v_cmp_eq_u32_e32 vcc_lo, 0, v19
	v_fma_f32 v23, v27, -v34, 1.0
	v_fma_f32 v17, v17, -v30, v21
	v_fma_f32 v20, v24, v20, -v36
	v_fma_f32 v13, v13, -v32, v22
	v_fma_f32 v24, v28, -v35, 1.0
	v_fma_f32 v11, v11, -v34, v23
	v_fma_f32 v17, v17, -v30, -v30
	s_delay_alu instid0(VALU_DEP_4) | instskip(NEXT) | instid1(VALU_DEP_4)
	v_fma_f32 v13, v13, -v32, -v32
	v_fma_f32 v20, v20, -v35, v24
	s_delay_alu instid0(VALU_DEP_4) | instskip(NEXT) | instid1(VALU_DEP_4)
	v_fma_f32 v11, v11, -v34, -v34
	v_cndmask_b32_e32 v17, v17, v25, vcc_lo
	v_cmp_eq_u32_e32 vcc_lo, 0, v14
	s_delay_alu instid0(VALU_DEP_4) | instskip(SKIP_3) | instid1(VALU_DEP_3)
	v_fma_f32 v20, v20, -v35, -v35
	v_cndmask_b32_e32 v13, v13, v26, vcc_lo
	v_cmp_eq_u32_e32 vcc_lo, 0, v10
	v_and_b32_e32 v1, 1, v1
	v_xor3_b32 v12, v12, v5, v13
	v_cndmask_b32_e32 v10, v11, v27, vcc_lo
	s_delay_alu instid0(VALU_DEP_3) | instskip(SKIP_1) | instid1(VALU_DEP_3)
	v_cmp_eq_u32_e32 vcc_lo, 0, v1
	v_xor3_b32 v11, v16, v15, v17
	v_xor3_b32 v9, v9, v8, v10
	v_cndmask_b32_e32 v1, v20, v28, vcc_lo
	v_cmp_class_f32_e64 vcc_lo, v15, 0x1f8
	s_delay_alu instid0(VALU_DEP_2)
	v_xor3_b32 v1, v18, v6, v1
	v_cndmask_b32_e32 v10, 0x7fc00000, v11, vcc_lo
	v_cmp_class_f32_e64 vcc_lo, v5, 0x1f8
	v_cndmask_b32_e32 v5, 0x7fc00000, v12, vcc_lo
	v_cmp_class_f32_e64 vcc_lo, v8, 0x1f8
	;; [unrolled: 2-line block ×3, first 2 shown]
	v_cvt_f16_f32_e32 v9, v10
	v_cvt_f16_f32_e32 v10, v5
	v_add_co_u32 v5, s3, s15, v7
	v_cndmask_b32_e32 v1, 0x7fc00000, v1, vcc_lo
	v_cmp_le_i64_e32 vcc_lo, s[10:11], v[3:4]
	v_cvt_f16_f32_e32 v8, v8
	v_add_co_ci_u32_e64 v6, null, s16, 0, s3
	s_delay_alu instid0(VALU_DEP_4)
	v_cvt_f16_f32_e32 v1, v1
	s_or_b32 s2, vcc_lo, s2
	s_add_u32 s5, s5, s20
	v_add_co_u32 v3, vcc_lo, v3, s19
	s_addc_u32 s14, s14, 0
	s_add_u32 s15, s15, s20
	v_pack_b32_f16 v9, v9, v1
	v_pack_b32_f16 v8, v8, v10
	v_add_co_ci_u32_e32 v4, vcc_lo, 0, v4, vcc_lo
	s_addc_u32 s16, s16, 0
	s_and_b32 s2, exec_lo, s2
	global_store_b64 v[5:6], v[8:9], off
	s_or_b32 s18, s2, s18
	s_delay_alu instid0(SALU_CYCLE_1)
	s_and_not1_b32 exec_lo, exec_lo, s18
	s_cbranch_execz .LBB96_20
.LBB96_4:                               ; =>This Inner Loop Header: Depth=1
	v_add_co_u32 v5, s2, s5, v7
	s_delay_alu instid0(VALU_DEP_1) | instskip(SKIP_4) | instid1(VALU_DEP_1)
	v_add_co_ci_u32_e64 v6, null, s14, 0, s2
                                        ; implicit-def: $vgpr10
                                        ; implicit-def: $vgpr11
	s_mov_b32 s3, exec_lo
	global_load_b64 v[5:6], v[5:6], off
	s_waitcnt vmcnt(0)
	v_cvt_f32_f16_e32 v8, v5
	v_and_b32_e32 v9, 0x7fffffff, v8
	v_cmpx_ngt_f32_e64 0x48000000, |v8|
	s_xor_b32 s24, exec_lo, s3
	s_cbranch_execz .LBB96_6
; %bb.5:                                ;   in Loop: Header=BB96_4 Depth=1
	s_delay_alu instid0(VALU_DEP_2) | instskip(SKIP_1) | instid1(VALU_DEP_2)
	v_and_or_b32 v18, v9, s21, 0x800000
	v_lshrrev_b32_e32 v15, 23, v9
	v_mad_u64_u32 v[10:11], null, 0xfe5163ab, v18, 0
	s_delay_alu instid0(VALU_DEP_2) | instskip(NEXT) | instid1(VALU_DEP_1)
	v_add_nc_u32_e32 v16, 0xffffff88, v15
	v_cmp_lt_u32_e32 vcc_lo, 63, v16
	s_delay_alu instid0(VALU_DEP_3) | instskip(SKIP_1) | instid1(VALU_DEP_2)
	v_mov_b32_e32 v1, v11
	v_cndmask_b32_e64 v17, 0, 0xffffffc0, vcc_lo
	v_mad_u64_u32 v[11:12], null, 0x3c439041, v18, v[1:2]
	s_delay_alu instid0(VALU_DEP_2) | instskip(NEXT) | instid1(VALU_DEP_2)
	v_add_nc_u32_e32 v17, v17, v16
	v_mov_b32_e32 v1, v12
	s_delay_alu instid0(VALU_DEP_2) | instskip(NEXT) | instid1(VALU_DEP_2)
	v_cmp_lt_u32_e64 s2, 31, v17
	v_mad_u64_u32 v[12:13], null, 0xdb629599, v18, v[1:2]
	s_delay_alu instid0(VALU_DEP_2) | instskip(NEXT) | instid1(VALU_DEP_1)
	v_cndmask_b32_e64 v19, 0, 0xffffffe0, s2
	v_add_nc_u32_e32 v19, v19, v17
	s_delay_alu instid0(VALU_DEP_3) | instskip(NEXT) | instid1(VALU_DEP_2)
	v_dual_mov_b32 v1, v13 :: v_dual_cndmask_b32 v10, v12, v10
	v_cmp_lt_u32_e64 s3, 31, v19
	s_delay_alu instid0(VALU_DEP_2) | instskip(NEXT) | instid1(VALU_DEP_1)
	v_mad_u64_u32 v[13:14], null, 0xf534ddc0, v18, v[1:2]
	v_mov_b32_e32 v1, v14
	s_delay_alu instid0(VALU_DEP_2) | instskip(NEXT) | instid1(VALU_DEP_2)
	v_cndmask_b32_e32 v11, v13, v11, vcc_lo
	v_mad_u64_u32 v[14:15], null, 0xfc2757d1, v18, v[1:2]
	s_delay_alu instid0(VALU_DEP_2) | instskip(NEXT) | instid1(VALU_DEP_2)
	v_cndmask_b32_e64 v10, v11, v10, s2
	v_mov_b32_e32 v1, v15
	s_delay_alu instid0(VALU_DEP_1) | instskip(NEXT) | instid1(VALU_DEP_1)
	v_mad_u64_u32 v[15:16], null, 0x4e441529, v18, v[1:2]
	v_mov_b32_e32 v1, v16
	s_delay_alu instid0(VALU_DEP_1) | instskip(SKIP_1) | instid1(VALU_DEP_1)
	v_mad_u64_u32 v[16:17], null, 0xa2f9836e, v18, v[1:2]
	v_cndmask_b32_e64 v1, 0, 0xffffffe0, s3
	v_dual_cndmask_b32 v18, v15, v13 :: v_dual_add_nc_u32 v1, v1, v19
	s_delay_alu instid0(VALU_DEP_3) | instskip(SKIP_1) | instid1(VALU_DEP_3)
	v_dual_cndmask_b32 v16, v16, v14 :: v_dual_cndmask_b32 v15, v17, v15
	v_cndmask_b32_e32 v14, v14, v12, vcc_lo
	v_sub_nc_u32_e32 v17, 32, v1
	s_delay_alu instid0(VALU_DEP_3) | instskip(NEXT) | instid1(VALU_DEP_4)
	v_cndmask_b32_e64 v13, v16, v18, s2
	v_cndmask_b32_e64 v15, v15, v16, s2
	s_delay_alu instid0(VALU_DEP_4) | instskip(SKIP_2) | instid1(VALU_DEP_4)
	v_cndmask_b32_e64 v16, v18, v14, s2
	v_cndmask_b32_e64 v14, v14, v11, s2
	v_cmp_eq_u32_e64 s4, 0, v1
	v_cndmask_b32_e64 v15, v15, v13, s3
	s_delay_alu instid0(VALU_DEP_4) | instskip(NEXT) | instid1(VALU_DEP_4)
	v_cndmask_b32_e64 v13, v13, v16, s3
	v_cndmask_b32_e64 v16, v16, v14, s3
	v_cndmask_b32_e64 v10, v14, v10, s3
	s_delay_alu instid0(VALU_DEP_3) | instskip(NEXT) | instid1(VALU_DEP_3)
	v_alignbit_b32 v18, v15, v13, v17
	v_alignbit_b32 v19, v13, v16, v17
	s_delay_alu instid0(VALU_DEP_3) | instskip(NEXT) | instid1(VALU_DEP_3)
	v_alignbit_b32 v17, v16, v10, v17
	v_cndmask_b32_e64 v1, v18, v15, s4
	s_delay_alu instid0(VALU_DEP_3) | instskip(NEXT) | instid1(VALU_DEP_3)
	v_cndmask_b32_e64 v12, v19, v13, s4
	v_cndmask_b32_e64 v16, v17, v16, s4
	s_delay_alu instid0(VALU_DEP_3) | instskip(NEXT) | instid1(VALU_DEP_3)
	v_bfe_u32 v13, v1, 29, 1
	v_alignbit_b32 v11, v1, v12, 30
	s_delay_alu instid0(VALU_DEP_3) | instskip(SKIP_1) | instid1(VALU_DEP_4)
	v_alignbit_b32 v12, v12, v16, 30
	v_alignbit_b32 v10, v16, v10, 30
	v_sub_nc_u32_e32 v15, 0, v13
	s_delay_alu instid0(VALU_DEP_1) | instskip(SKIP_3) | instid1(VALU_DEP_4)
	v_xor_b32_e32 v14, v11, v15
	v_cmp_ne_u32_e32 vcc_lo, v11, v15
	v_xor_b32_e32 v12, v12, v15
	v_xor_b32_e32 v10, v10, v15
	v_clz_i32_u32_e32 v18, v14
	s_delay_alu instid0(VALU_DEP_1) | instskip(NEXT) | instid1(VALU_DEP_1)
	v_add_nc_u32_e32 v17, 1, v18
	v_cndmask_b32_e32 v11, 33, v17, vcc_lo
	s_delay_alu instid0(VALU_DEP_1) | instskip(NEXT) | instid1(VALU_DEP_1)
	v_sub_nc_u32_e32 v16, 32, v11
	v_alignbit_b32 v14, v14, v12, v16
	v_alignbit_b32 v10, v12, v10, v16
	v_lshrrev_b32_e32 v12, 29, v1
	v_lshrrev_b32_e32 v1, 30, v1
	s_delay_alu instid0(VALU_DEP_3) | instskip(NEXT) | instid1(VALU_DEP_3)
	v_alignbit_b32 v15, v14, v10, 9
	v_lshlrev_b32_e32 v12, 31, v12
	v_alignbit_b32 v14, v11, v14, 9
	s_delay_alu instid0(VALU_DEP_3) | instskip(NEXT) | instid1(VALU_DEP_2)
	v_clz_i32_u32_e32 v16, v15
	v_or_b32_e32 v14, v14, v12
	v_or_b32_e32 v12, 0x33800000, v12
	s_delay_alu instid0(VALU_DEP_3) | instskip(NEXT) | instid1(VALU_DEP_3)
	v_min_u32_e32 v16, 32, v16
	v_xor_b32_e32 v14, 1.0, v14
	s_delay_alu instid0(VALU_DEP_2) | instskip(SKIP_1) | instid1(VALU_DEP_3)
	v_sub_nc_u32_e32 v17, 31, v16
	v_add_lshl_u32 v11, v16, v11, 23
	v_mul_f32_e32 v16, 0x3fc90fda, v14
	s_delay_alu instid0(VALU_DEP_3) | instskip(NEXT) | instid1(VALU_DEP_3)
	v_alignbit_b32 v10, v15, v10, v17
	v_sub_nc_u32_e32 v11, v12, v11
	s_delay_alu instid0(VALU_DEP_3) | instskip(NEXT) | instid1(VALU_DEP_3)
	v_fma_f32 v12, 0x3fc90fda, v14, -v16
	v_lshrrev_b32_e32 v10, 9, v10
	s_delay_alu instid0(VALU_DEP_2) | instskip(NEXT) | instid1(VALU_DEP_2)
	v_fmac_f32_e32 v12, 0x33a22168, v14
	v_or_b32_e32 v10, v11, v10
	s_delay_alu instid0(VALU_DEP_1) | instskip(NEXT) | instid1(VALU_DEP_1)
	v_fmac_f32_e32 v12, 0x3fc90fda, v10
	v_dual_add_f32 v11, v16, v12 :: v_dual_add_nc_u32 v10, v13, v1
.LBB96_6:                               ;   in Loop: Header=BB96_4 Depth=1
	s_and_not1_saveexec_b32 s2, s24
; %bb.7:                                ;   in Loop: Header=BB96_4 Depth=1
	v_mul_f32_e64 v1, 0x3f22f983, |v8|
	s_delay_alu instid0(VALU_DEP_1) | instskip(NEXT) | instid1(VALU_DEP_1)
	v_rndne_f32_e32 v1, v1
	v_fma_f32 v11, 0xbfc90fda, v1, |v8|
	v_cvt_i32_f32_e32 v10, v1
	s_delay_alu instid0(VALU_DEP_2) | instskip(NEXT) | instid1(VALU_DEP_1)
	v_fmac_f32_e32 v11, 0xb3a22168, v1
	v_fmac_f32_e32 v11, 0xa7c234c4, v1
; %bb.8:                                ;   in Loop: Header=BB96_4 Depth=1
	s_or_b32 exec_lo, exec_lo, s2
	v_lshrrev_b32_e32 v1, 16, v5
                                        ; implicit-def: $vgpr14
                                        ; implicit-def: $vgpr13
	s_mov_b32 s3, exec_lo
	s_delay_alu instid0(VALU_DEP_1) | instskip(NEXT) | instid1(VALU_DEP_1)
	v_cvt_f32_f16_e32 v5, v1
	v_and_b32_e32 v12, 0x7fffffff, v5
	v_cmpx_ngt_f32_e64 0x48000000, |v5|
	s_xor_b32 s24, exec_lo, s3
	s_cbranch_execz .LBB96_10
; %bb.9:                                ;   in Loop: Header=BB96_4 Depth=1
	s_delay_alu instid0(VALU_DEP_2) | instskip(SKIP_1) | instid1(VALU_DEP_2)
	v_lshrrev_b32_e32 v18, 23, v12
	v_and_or_b32 v21, v12, s21, 0x800000
	v_add_nc_u32_e32 v19, 0xffffff88, v18
	s_delay_alu instid0(VALU_DEP_2) | instskip(NEXT) | instid1(VALU_DEP_2)
	v_mad_u64_u32 v[13:14], null, 0xfe5163ab, v21, 0
	v_cmp_lt_u32_e32 vcc_lo, 63, v19
	v_cndmask_b32_e64 v20, 0, 0xffffffc0, vcc_lo
	s_delay_alu instid0(VALU_DEP_1) | instskip(NEXT) | instid1(VALU_DEP_1)
	v_dual_mov_b32 v1, v14 :: v_dual_add_nc_u32 v20, v20, v19
	v_mad_u64_u32 v[14:15], null, 0x3c439041, v21, v[1:2]
	s_delay_alu instid0(VALU_DEP_2) | instskip(NEXT) | instid1(VALU_DEP_1)
	v_cmp_lt_u32_e64 s2, 31, v20
	v_cndmask_b32_e64 v22, 0, 0xffffffe0, s2
	s_delay_alu instid0(VALU_DEP_1) | instskip(NEXT) | instid1(VALU_DEP_1)
	v_dual_mov_b32 v1, v15 :: v_dual_add_nc_u32 v22, v22, v20
	v_mad_u64_u32 v[15:16], null, 0xdb629599, v21, v[1:2]
	s_delay_alu instid0(VALU_DEP_2) | instskip(NEXT) | instid1(VALU_DEP_2)
	v_cmp_lt_u32_e64 s3, 31, v22
	v_mov_b32_e32 v1, v16
	s_delay_alu instid0(VALU_DEP_3) | instskip(NEXT) | instid1(VALU_DEP_2)
	v_cndmask_b32_e32 v13, v15, v13, vcc_lo
	v_mad_u64_u32 v[16:17], null, 0xf534ddc0, v21, v[1:2]
	s_delay_alu instid0(VALU_DEP_1) | instskip(NEXT) | instid1(VALU_DEP_1)
	v_dual_mov_b32 v1, v17 :: v_dual_cndmask_b32 v14, v16, v14
	v_mad_u64_u32 v[17:18], null, 0xfc2757d1, v21, v[1:2]
	s_delay_alu instid0(VALU_DEP_2) | instskip(NEXT) | instid1(VALU_DEP_2)
	v_cndmask_b32_e64 v13, v14, v13, s2
	v_mov_b32_e32 v1, v18
	s_delay_alu instid0(VALU_DEP_1) | instskip(NEXT) | instid1(VALU_DEP_1)
	v_mad_u64_u32 v[18:19], null, 0x4e441529, v21, v[1:2]
	v_mov_b32_e32 v1, v19
	s_delay_alu instid0(VALU_DEP_1) | instskip(SKIP_1) | instid1(VALU_DEP_4)
	v_mad_u64_u32 v[19:20], null, 0xa2f9836e, v21, v[1:2]
	v_cndmask_b32_e64 v1, 0, 0xffffffe0, s3
	v_cndmask_b32_e32 v21, v18, v16, vcc_lo
	s_delay_alu instid0(VALU_DEP_2) | instskip(NEXT) | instid1(VALU_DEP_4)
	v_add_nc_u32_e32 v1, v1, v22
	v_dual_cndmask_b32 v19, v19, v17 :: v_dual_cndmask_b32 v18, v20, v18
	v_cndmask_b32_e32 v17, v17, v15, vcc_lo
	s_delay_alu instid0(VALU_DEP_3) | instskip(NEXT) | instid1(VALU_DEP_3)
	v_sub_nc_u32_e32 v20, 32, v1
	v_cndmask_b32_e64 v16, v19, v21, s2
	s_delay_alu instid0(VALU_DEP_4) | instskip(NEXT) | instid1(VALU_DEP_4)
	v_cndmask_b32_e64 v18, v18, v19, s2
	v_cndmask_b32_e64 v19, v21, v17, s2
	;; [unrolled: 1-line block ×3, first 2 shown]
	v_cmp_eq_u32_e64 s4, 0, v1
	s_delay_alu instid0(VALU_DEP_4) | instskip(NEXT) | instid1(VALU_DEP_4)
	v_cndmask_b32_e64 v18, v18, v16, s3
	v_cndmask_b32_e64 v16, v16, v19, s3
	s_delay_alu instid0(VALU_DEP_4) | instskip(SKIP_1) | instid1(VALU_DEP_3)
	v_cndmask_b32_e64 v19, v19, v17, s3
	v_cndmask_b32_e64 v13, v17, v13, s3
	v_alignbit_b32 v21, v18, v16, v20
	s_delay_alu instid0(VALU_DEP_3) | instskip(NEXT) | instid1(VALU_DEP_3)
	v_alignbit_b32 v22, v16, v19, v20
	v_alignbit_b32 v20, v19, v13, v20
	s_delay_alu instid0(VALU_DEP_3) | instskip(NEXT) | instid1(VALU_DEP_3)
	v_cndmask_b32_e64 v1, v21, v18, s4
	v_cndmask_b32_e64 v15, v22, v16, s4
	s_delay_alu instid0(VALU_DEP_3) | instskip(NEXT) | instid1(VALU_DEP_3)
	v_cndmask_b32_e64 v19, v20, v19, s4
	v_bfe_u32 v16, v1, 29, 1
	s_delay_alu instid0(VALU_DEP_3) | instskip(NEXT) | instid1(VALU_DEP_3)
	v_alignbit_b32 v14, v1, v15, 30
	v_alignbit_b32 v15, v15, v19, 30
	v_alignbit_b32 v13, v19, v13, 30
	s_delay_alu instid0(VALU_DEP_4) | instskip(NEXT) | instid1(VALU_DEP_1)
	v_sub_nc_u32_e32 v18, 0, v16
	v_xor_b32_e32 v17, v14, v18
	v_cmp_ne_u32_e32 vcc_lo, v14, v18
	v_xor_b32_e32 v15, v15, v18
	v_xor_b32_e32 v13, v13, v18
	s_delay_alu instid0(VALU_DEP_4) | instskip(NEXT) | instid1(VALU_DEP_1)
	v_clz_i32_u32_e32 v21, v17
	v_add_nc_u32_e32 v20, 1, v21
	s_delay_alu instid0(VALU_DEP_1) | instskip(NEXT) | instid1(VALU_DEP_1)
	v_cndmask_b32_e32 v14, 33, v20, vcc_lo
	v_sub_nc_u32_e32 v19, 32, v14
	s_delay_alu instid0(VALU_DEP_1) | instskip(SKIP_3) | instid1(VALU_DEP_3)
	v_alignbit_b32 v17, v17, v15, v19
	v_alignbit_b32 v13, v15, v13, v19
	v_lshrrev_b32_e32 v15, 29, v1
	v_lshrrev_b32_e32 v1, 30, v1
	v_alignbit_b32 v18, v17, v13, 9
	s_delay_alu instid0(VALU_DEP_3) | instskip(SKIP_1) | instid1(VALU_DEP_3)
	v_lshlrev_b32_e32 v15, 31, v15
	v_alignbit_b32 v17, v14, v17, 9
	v_clz_i32_u32_e32 v19, v18
	s_delay_alu instid0(VALU_DEP_2) | instskip(SKIP_1) | instid1(VALU_DEP_3)
	v_or_b32_e32 v17, v17, v15
	v_or_b32_e32 v15, 0x33800000, v15
	v_min_u32_e32 v19, 32, v19
	s_delay_alu instid0(VALU_DEP_3) | instskip(NEXT) | instid1(VALU_DEP_2)
	v_xor_b32_e32 v17, 1.0, v17
	v_sub_nc_u32_e32 v20, 31, v19
	v_add_lshl_u32 v14, v19, v14, 23
	s_delay_alu instid0(VALU_DEP_3) | instskip(NEXT) | instid1(VALU_DEP_3)
	v_mul_f32_e32 v19, 0x3fc90fda, v17
	v_alignbit_b32 v13, v18, v13, v20
	s_delay_alu instid0(VALU_DEP_3) | instskip(NEXT) | instid1(VALU_DEP_3)
	v_sub_nc_u32_e32 v14, v15, v14
	v_fma_f32 v15, 0x3fc90fda, v17, -v19
	s_delay_alu instid0(VALU_DEP_3) | instskip(NEXT) | instid1(VALU_DEP_2)
	v_lshrrev_b32_e32 v13, 9, v13
	v_fmac_f32_e32 v15, 0x33a22168, v17
	s_delay_alu instid0(VALU_DEP_2) | instskip(SKIP_1) | instid1(VALU_DEP_2)
	v_or_b32_e32 v13, v14, v13
	v_add_nc_u32_e32 v14, v16, v1
	v_fmac_f32_e32 v15, 0x3fc90fda, v13
	s_delay_alu instid0(VALU_DEP_1)
	v_add_f32_e32 v13, v19, v15
.LBB96_10:                              ;   in Loop: Header=BB96_4 Depth=1
	s_and_not1_saveexec_b32 s2, s24
; %bb.11:                               ;   in Loop: Header=BB96_4 Depth=1
	v_mul_f32_e64 v1, 0x3f22f983, |v5|
	s_delay_alu instid0(VALU_DEP_1) | instskip(NEXT) | instid1(VALU_DEP_1)
	v_rndne_f32_e32 v1, v1
	v_fma_f32 v13, 0xbfc90fda, v1, |v5|
	v_cvt_i32_f32_e32 v14, v1
	s_delay_alu instid0(VALU_DEP_2) | instskip(NEXT) | instid1(VALU_DEP_1)
	v_fmac_f32_e32 v13, 0xb3a22168, v1
	v_fmac_f32_e32 v13, 0xa7c234c4, v1
; %bb.12:                               ;   in Loop: Header=BB96_4 Depth=1
	s_or_b32 exec_lo, exec_lo, s2
	v_cvt_f32_f16_e32 v15, v6
                                        ; implicit-def: $vgpr19
                                        ; implicit-def: $vgpr17
	s_mov_b32 s3, exec_lo
	s_delay_alu instid0(VALU_DEP_1)
	v_and_b32_e32 v16, 0x7fffffff, v15
	v_cmpx_ngt_f32_e64 0x48000000, |v15|
	s_xor_b32 s24, exec_lo, s3
	s_cbranch_execz .LBB96_14
; %bb.13:                               ;   in Loop: Header=BB96_4 Depth=1
	s_delay_alu instid0(VALU_DEP_2) | instskip(SKIP_1) | instid1(VALU_DEP_2)
	v_lshrrev_b32_e32 v22, 23, v16
	v_and_or_b32 v25, v16, s21, 0x800000
	v_add_nc_u32_e32 v23, 0xffffff88, v22
	s_delay_alu instid0(VALU_DEP_2) | instskip(NEXT) | instid1(VALU_DEP_2)
	v_mad_u64_u32 v[17:18], null, 0xfe5163ab, v25, 0
	v_cmp_lt_u32_e32 vcc_lo, 63, v23
	v_cndmask_b32_e64 v24, 0, 0xffffffc0, vcc_lo
	s_delay_alu instid0(VALU_DEP_1) | instskip(NEXT) | instid1(VALU_DEP_1)
	v_dual_mov_b32 v1, v18 :: v_dual_add_nc_u32 v24, v24, v23
	v_mad_u64_u32 v[18:19], null, 0x3c439041, v25, v[1:2]
	s_delay_alu instid0(VALU_DEP_2) | instskip(NEXT) | instid1(VALU_DEP_1)
	v_cmp_lt_u32_e64 s2, 31, v24
	v_cndmask_b32_e64 v26, 0, 0xffffffe0, s2
	s_delay_alu instid0(VALU_DEP_1) | instskip(NEXT) | instid1(VALU_DEP_1)
	v_dual_mov_b32 v1, v19 :: v_dual_add_nc_u32 v26, v26, v24
	v_mad_u64_u32 v[19:20], null, 0xdb629599, v25, v[1:2]
	s_delay_alu instid0(VALU_DEP_2) | instskip(NEXT) | instid1(VALU_DEP_2)
	v_cmp_lt_u32_e64 s3, 31, v26
	v_mov_b32_e32 v1, v20
	s_delay_alu instid0(VALU_DEP_3) | instskip(NEXT) | instid1(VALU_DEP_2)
	v_cndmask_b32_e32 v17, v19, v17, vcc_lo
	v_mad_u64_u32 v[20:21], null, 0xf534ddc0, v25, v[1:2]
	s_delay_alu instid0(VALU_DEP_1) | instskip(NEXT) | instid1(VALU_DEP_1)
	v_dual_mov_b32 v1, v21 :: v_dual_cndmask_b32 v18, v20, v18
	v_mad_u64_u32 v[21:22], null, 0xfc2757d1, v25, v[1:2]
	s_delay_alu instid0(VALU_DEP_2) | instskip(NEXT) | instid1(VALU_DEP_2)
	v_cndmask_b32_e64 v17, v18, v17, s2
	v_mov_b32_e32 v1, v22
	s_delay_alu instid0(VALU_DEP_1) | instskip(NEXT) | instid1(VALU_DEP_1)
	v_mad_u64_u32 v[22:23], null, 0x4e441529, v25, v[1:2]
	v_mov_b32_e32 v1, v23
	s_delay_alu instid0(VALU_DEP_1) | instskip(SKIP_1) | instid1(VALU_DEP_4)
	v_mad_u64_u32 v[23:24], null, 0xa2f9836e, v25, v[1:2]
	v_cndmask_b32_e64 v1, 0, 0xffffffe0, s3
	v_cndmask_b32_e32 v25, v22, v20, vcc_lo
	s_delay_alu instid0(VALU_DEP_2) | instskip(NEXT) | instid1(VALU_DEP_4)
	v_add_nc_u32_e32 v1, v1, v26
	v_dual_cndmask_b32 v23, v23, v21 :: v_dual_cndmask_b32 v22, v24, v22
	v_cndmask_b32_e32 v21, v21, v19, vcc_lo
	s_delay_alu instid0(VALU_DEP_3) | instskip(NEXT) | instid1(VALU_DEP_3)
	v_sub_nc_u32_e32 v24, 32, v1
	v_cndmask_b32_e64 v20, v23, v25, s2
	s_delay_alu instid0(VALU_DEP_4) | instskip(NEXT) | instid1(VALU_DEP_4)
	v_cndmask_b32_e64 v22, v22, v23, s2
	v_cndmask_b32_e64 v23, v25, v21, s2
	;; [unrolled: 1-line block ×3, first 2 shown]
	v_cmp_eq_u32_e64 s4, 0, v1
	s_delay_alu instid0(VALU_DEP_4) | instskip(NEXT) | instid1(VALU_DEP_4)
	v_cndmask_b32_e64 v22, v22, v20, s3
	v_cndmask_b32_e64 v20, v20, v23, s3
	s_delay_alu instid0(VALU_DEP_4) | instskip(SKIP_1) | instid1(VALU_DEP_3)
	v_cndmask_b32_e64 v23, v23, v21, s3
	v_cndmask_b32_e64 v17, v21, v17, s3
	v_alignbit_b32 v25, v22, v20, v24
	s_delay_alu instid0(VALU_DEP_3) | instskip(NEXT) | instid1(VALU_DEP_3)
	v_alignbit_b32 v26, v20, v23, v24
	v_alignbit_b32 v24, v23, v17, v24
	s_delay_alu instid0(VALU_DEP_3) | instskip(NEXT) | instid1(VALU_DEP_3)
	v_cndmask_b32_e64 v1, v25, v22, s4
	v_cndmask_b32_e64 v19, v26, v20, s4
	s_delay_alu instid0(VALU_DEP_3) | instskip(NEXT) | instid1(VALU_DEP_3)
	v_cndmask_b32_e64 v23, v24, v23, s4
	v_bfe_u32 v20, v1, 29, 1
	s_delay_alu instid0(VALU_DEP_3) | instskip(NEXT) | instid1(VALU_DEP_3)
	v_alignbit_b32 v18, v1, v19, 30
	v_alignbit_b32 v19, v19, v23, 30
	;; [unrolled: 1-line block ×3, first 2 shown]
	s_delay_alu instid0(VALU_DEP_4) | instskip(NEXT) | instid1(VALU_DEP_1)
	v_sub_nc_u32_e32 v22, 0, v20
	v_xor_b32_e32 v21, v18, v22
	v_cmp_ne_u32_e32 vcc_lo, v18, v22
	v_xor_b32_e32 v19, v19, v22
	v_xor_b32_e32 v17, v17, v22
	s_delay_alu instid0(VALU_DEP_4) | instskip(NEXT) | instid1(VALU_DEP_1)
	v_clz_i32_u32_e32 v25, v21
	v_add_nc_u32_e32 v24, 1, v25
	s_delay_alu instid0(VALU_DEP_1) | instskip(NEXT) | instid1(VALU_DEP_1)
	v_cndmask_b32_e32 v18, 33, v24, vcc_lo
	v_sub_nc_u32_e32 v23, 32, v18
	s_delay_alu instid0(VALU_DEP_1) | instskip(SKIP_3) | instid1(VALU_DEP_3)
	v_alignbit_b32 v21, v21, v19, v23
	v_alignbit_b32 v17, v19, v17, v23
	v_lshrrev_b32_e32 v19, 29, v1
	v_lshrrev_b32_e32 v1, 30, v1
	v_alignbit_b32 v22, v21, v17, 9
	s_delay_alu instid0(VALU_DEP_3) | instskip(SKIP_1) | instid1(VALU_DEP_3)
	v_lshlrev_b32_e32 v19, 31, v19
	v_alignbit_b32 v21, v18, v21, 9
	v_clz_i32_u32_e32 v23, v22
	s_delay_alu instid0(VALU_DEP_2) | instskip(SKIP_1) | instid1(VALU_DEP_3)
	v_or_b32_e32 v21, v21, v19
	v_or_b32_e32 v19, 0x33800000, v19
	v_min_u32_e32 v23, 32, v23
	s_delay_alu instid0(VALU_DEP_3) | instskip(NEXT) | instid1(VALU_DEP_2)
	v_xor_b32_e32 v21, 1.0, v21
	v_sub_nc_u32_e32 v24, 31, v23
	v_add_lshl_u32 v18, v23, v18, 23
	s_delay_alu instid0(VALU_DEP_3) | instskip(NEXT) | instid1(VALU_DEP_3)
	v_mul_f32_e32 v23, 0x3fc90fda, v21
	v_alignbit_b32 v17, v22, v17, v24
	s_delay_alu instid0(VALU_DEP_3) | instskip(NEXT) | instid1(VALU_DEP_3)
	v_sub_nc_u32_e32 v18, v19, v18
	v_fma_f32 v19, 0x3fc90fda, v21, -v23
	s_delay_alu instid0(VALU_DEP_3) | instskip(NEXT) | instid1(VALU_DEP_2)
	v_lshrrev_b32_e32 v17, 9, v17
	v_fmac_f32_e32 v19, 0x33a22168, v21
	s_delay_alu instid0(VALU_DEP_2) | instskip(NEXT) | instid1(VALU_DEP_1)
	v_or_b32_e32 v17, v18, v17
	v_fmac_f32_e32 v19, 0x3fc90fda, v17
	s_delay_alu instid0(VALU_DEP_1)
	v_add_f32_e32 v17, v23, v19
	v_add_nc_u32_e32 v19, v20, v1
.LBB96_14:                              ;   in Loop: Header=BB96_4 Depth=1
	s_and_not1_saveexec_b32 s2, s24
; %bb.15:                               ;   in Loop: Header=BB96_4 Depth=1
	v_mul_f32_e64 v1, 0x3f22f983, |v15|
	s_delay_alu instid0(VALU_DEP_1) | instskip(NEXT) | instid1(VALU_DEP_1)
	v_rndne_f32_e32 v1, v1
	v_fma_f32 v17, 0xbfc90fda, v1, |v15|
	v_cvt_i32_f32_e32 v19, v1
	s_delay_alu instid0(VALU_DEP_2) | instskip(NEXT) | instid1(VALU_DEP_1)
	v_fmac_f32_e32 v17, 0xb3a22168, v1
	v_fmac_f32_e32 v17, 0xa7c234c4, v1
; %bb.16:                               ;   in Loop: Header=BB96_4 Depth=1
	s_or_b32 exec_lo, exec_lo, s2
	v_lshrrev_b32_e32 v1, 16, v6
                                        ; implicit-def: $vgpr20
	s_mov_b32 s3, exec_lo
	s_delay_alu instid0(VALU_DEP_1) | instskip(NEXT) | instid1(VALU_DEP_1)
	v_cvt_f32_f16_e32 v6, v1
                                        ; implicit-def: $vgpr1
	v_and_b32_e32 v18, 0x7fffffff, v6
	v_cmpx_ngt_f32_e64 0x48000000, |v6|
	s_xor_b32 s24, exec_lo, s3
	s_cbranch_execz .LBB96_18
; %bb.17:                               ;   in Loop: Header=BB96_4 Depth=1
	s_delay_alu instid0(VALU_DEP_2) | instskip(SKIP_1) | instid1(VALU_DEP_2)
	v_and_or_b32 v28, v18, s21, 0x800000
	v_lshrrev_b32_e32 v25, 23, v18
	v_mad_u64_u32 v[20:21], null, 0xfe5163ab, v28, 0
	s_delay_alu instid0(VALU_DEP_2) | instskip(NEXT) | instid1(VALU_DEP_1)
	v_add_nc_u32_e32 v26, 0xffffff88, v25
	v_cmp_lt_u32_e32 vcc_lo, 63, v26
	s_delay_alu instid0(VALU_DEP_3) | instskip(SKIP_1) | instid1(VALU_DEP_2)
	v_mov_b32_e32 v1, v21
	v_cndmask_b32_e64 v27, 0, 0xffffffc0, vcc_lo
	v_mad_u64_u32 v[21:22], null, 0x3c439041, v28, v[1:2]
	s_delay_alu instid0(VALU_DEP_2) | instskip(NEXT) | instid1(VALU_DEP_2)
	v_add_nc_u32_e32 v27, v27, v26
	v_mov_b32_e32 v1, v22
	s_delay_alu instid0(VALU_DEP_2) | instskip(NEXT) | instid1(VALU_DEP_2)
	v_cmp_lt_u32_e64 s2, 31, v27
	v_mad_u64_u32 v[22:23], null, 0xdb629599, v28, v[1:2]
	s_delay_alu instid0(VALU_DEP_2) | instskip(NEXT) | instid1(VALU_DEP_1)
	v_cndmask_b32_e64 v29, 0, 0xffffffe0, s2
	v_add_nc_u32_e32 v29, v29, v27
	s_delay_alu instid0(VALU_DEP_3) | instskip(NEXT) | instid1(VALU_DEP_2)
	v_dual_mov_b32 v1, v23 :: v_dual_cndmask_b32 v20, v22, v20
	v_cmp_lt_u32_e64 s3, 31, v29
	s_delay_alu instid0(VALU_DEP_2) | instskip(NEXT) | instid1(VALU_DEP_1)
	v_mad_u64_u32 v[23:24], null, 0xf534ddc0, v28, v[1:2]
	v_mov_b32_e32 v1, v24
	s_delay_alu instid0(VALU_DEP_2) | instskip(NEXT) | instid1(VALU_DEP_2)
	v_cndmask_b32_e32 v21, v23, v21, vcc_lo
	v_mad_u64_u32 v[24:25], null, 0xfc2757d1, v28, v[1:2]
	s_delay_alu instid0(VALU_DEP_2) | instskip(NEXT) | instid1(VALU_DEP_2)
	v_cndmask_b32_e64 v20, v21, v20, s2
	v_mov_b32_e32 v1, v25
	s_delay_alu instid0(VALU_DEP_1) | instskip(NEXT) | instid1(VALU_DEP_1)
	v_mad_u64_u32 v[25:26], null, 0x4e441529, v28, v[1:2]
	v_mov_b32_e32 v1, v26
	s_delay_alu instid0(VALU_DEP_1) | instskip(SKIP_1) | instid1(VALU_DEP_4)
	v_mad_u64_u32 v[26:27], null, 0xa2f9836e, v28, v[1:2]
	v_cndmask_b32_e64 v1, 0, 0xffffffe0, s3
	v_cndmask_b32_e32 v28, v25, v23, vcc_lo
	s_delay_alu instid0(VALU_DEP_2) | instskip(NEXT) | instid1(VALU_DEP_4)
	v_dual_cndmask_b32 v26, v26, v24 :: v_dual_add_nc_u32 v1, v1, v29
	v_dual_cndmask_b32 v25, v27, v25 :: v_dual_cndmask_b32 v24, v24, v22
	s_delay_alu instid0(VALU_DEP_2) | instskip(NEXT) | instid1(VALU_DEP_3)
	v_sub_nc_u32_e32 v27, 32, v1
	v_cndmask_b32_e64 v23, v26, v28, s2
	s_delay_alu instid0(VALU_DEP_3) | instskip(NEXT) | instid1(VALU_DEP_4)
	v_cndmask_b32_e64 v25, v25, v26, s2
	v_cndmask_b32_e64 v26, v28, v24, s2
	;; [unrolled: 1-line block ×3, first 2 shown]
	v_cmp_eq_u32_e64 s4, 0, v1
	s_delay_alu instid0(VALU_DEP_4) | instskip(NEXT) | instid1(VALU_DEP_4)
	v_cndmask_b32_e64 v25, v25, v23, s3
	v_cndmask_b32_e64 v23, v23, v26, s3
	s_delay_alu instid0(VALU_DEP_4) | instskip(SKIP_1) | instid1(VALU_DEP_3)
	v_cndmask_b32_e64 v26, v26, v24, s3
	v_cndmask_b32_e64 v20, v24, v20, s3
	v_alignbit_b32 v28, v25, v23, v27
	s_delay_alu instid0(VALU_DEP_3) | instskip(NEXT) | instid1(VALU_DEP_3)
	v_alignbit_b32 v29, v23, v26, v27
	v_alignbit_b32 v27, v26, v20, v27
	s_delay_alu instid0(VALU_DEP_3) | instskip(NEXT) | instid1(VALU_DEP_3)
	v_cndmask_b32_e64 v1, v28, v25, s4
	v_cndmask_b32_e64 v22, v29, v23, s4
	s_delay_alu instid0(VALU_DEP_3) | instskip(NEXT) | instid1(VALU_DEP_3)
	v_cndmask_b32_e64 v26, v27, v26, s4
	v_bfe_u32 v23, v1, 29, 1
	s_delay_alu instid0(VALU_DEP_3) | instskip(NEXT) | instid1(VALU_DEP_3)
	v_alignbit_b32 v21, v1, v22, 30
	v_alignbit_b32 v22, v22, v26, 30
	;; [unrolled: 1-line block ×3, first 2 shown]
	s_delay_alu instid0(VALU_DEP_4) | instskip(NEXT) | instid1(VALU_DEP_1)
	v_sub_nc_u32_e32 v25, 0, v23
	v_xor_b32_e32 v24, v21, v25
	v_cmp_ne_u32_e32 vcc_lo, v21, v25
	v_xor_b32_e32 v22, v22, v25
	v_xor_b32_e32 v20, v20, v25
	s_delay_alu instid0(VALU_DEP_4) | instskip(NEXT) | instid1(VALU_DEP_1)
	v_clz_i32_u32_e32 v28, v24
	v_add_nc_u32_e32 v27, 1, v28
	s_delay_alu instid0(VALU_DEP_1) | instskip(NEXT) | instid1(VALU_DEP_1)
	v_cndmask_b32_e32 v21, 33, v27, vcc_lo
	v_sub_nc_u32_e32 v26, 32, v21
	s_delay_alu instid0(VALU_DEP_1) | instskip(SKIP_3) | instid1(VALU_DEP_3)
	v_alignbit_b32 v24, v24, v22, v26
	v_alignbit_b32 v20, v22, v20, v26
	v_lshrrev_b32_e32 v22, 29, v1
	v_lshrrev_b32_e32 v1, 30, v1
	v_alignbit_b32 v25, v24, v20, 9
	s_delay_alu instid0(VALU_DEP_3) | instskip(SKIP_1) | instid1(VALU_DEP_4)
	v_lshlrev_b32_e32 v22, 31, v22
	v_alignbit_b32 v24, v21, v24, 9
	v_add_nc_u32_e32 v1, v23, v1
	s_delay_alu instid0(VALU_DEP_4) | instskip(NEXT) | instid1(VALU_DEP_3)
	v_clz_i32_u32_e32 v26, v25
	v_or_b32_e32 v24, v24, v22
	v_or_b32_e32 v22, 0x33800000, v22
	s_delay_alu instid0(VALU_DEP_3) | instskip(NEXT) | instid1(VALU_DEP_3)
	v_min_u32_e32 v26, 32, v26
	v_xor_b32_e32 v24, 1.0, v24
	s_delay_alu instid0(VALU_DEP_2) | instskip(SKIP_1) | instid1(VALU_DEP_3)
	v_sub_nc_u32_e32 v27, 31, v26
	v_add_lshl_u32 v21, v26, v21, 23
	v_mul_f32_e32 v26, 0x3fc90fda, v24
	s_delay_alu instid0(VALU_DEP_3) | instskip(NEXT) | instid1(VALU_DEP_3)
	v_alignbit_b32 v20, v25, v20, v27
	v_sub_nc_u32_e32 v21, v22, v21
	s_delay_alu instid0(VALU_DEP_3) | instskip(NEXT) | instid1(VALU_DEP_3)
	v_fma_f32 v22, 0x3fc90fda, v24, -v26
	v_lshrrev_b32_e32 v20, 9, v20
	s_delay_alu instid0(VALU_DEP_2) | instskip(NEXT) | instid1(VALU_DEP_2)
	v_fmac_f32_e32 v22, 0x33a22168, v24
	v_or_b32_e32 v20, v21, v20
	s_delay_alu instid0(VALU_DEP_1) | instskip(NEXT) | instid1(VALU_DEP_1)
	v_fmac_f32_e32 v22, 0x3fc90fda, v20
	v_add_f32_e32 v20, v26, v22
.LBB96_18:                              ;   in Loop: Header=BB96_4 Depth=1
	s_and_not1_saveexec_b32 s2, s24
	s_cbranch_execz .LBB96_3
; %bb.19:                               ;   in Loop: Header=BB96_4 Depth=1
	v_mul_f32_e64 v1, 0x3f22f983, |v6|
	s_delay_alu instid0(VALU_DEP_1) | instskip(NEXT) | instid1(VALU_DEP_1)
	v_rndne_f32_e32 v1, v1
	v_fma_f32 v20, 0xbfc90fda, v1, |v6|
	s_delay_alu instid0(VALU_DEP_1) | instskip(NEXT) | instid1(VALU_DEP_1)
	v_fmac_f32_e32 v20, 0xb3a22168, v1
	v_fmac_f32_e32 v20, 0xa7c234c4, v1
	v_cvt_i32_f32_e32 v1, v1
	s_branch .LBB96_3
.LBB96_20:
	s_or_b32 exec_lo, exec_lo, s17
	s_mov_b32 s2, 0
.LBB96_21:
	s_delay_alu instid0(SALU_CYCLE_1)
	s_and_not1_b32 vcc_lo, exec_lo, s2
	s_cbranch_vccnz .LBB96_57
; %bb.22:
	v_cmp_lt_i64_e64 s2, s[10:11], 1
	s_delay_alu instid0(VALU_DEP_1)
	s_and_b32 vcc_lo, exec_lo, s2
	s_cbranch_vccnz .LBB96_57
; %bb.23:
	s_load_b32 s0, s[0:1], 0xc5c
	v_dual_mov_b32 v2, 0 :: v_dual_lshlrev_b32 v1, 1, v0
	v_cmp_gt_u64_e64 s1, 0x10000, s[10:11]
	s_mov_b32 s18, 0xbc8cedd3
	s_mov_b32 s19, 0x3c971480
	s_delay_alu instid0(VALU_DEP_2) | instskip(NEXT) | instid1(VALU_DEP_1)
	v_add_co_u32 v3, s2, s6, v1
	v_add_co_ci_u32_e64 v4, null, s7, 0, s2
	v_add_co_u32 v5, s2, s12, v1
	s_delay_alu instid0(VALU_DEP_1)
	v_add_co_ci_u32_e64 v6, null, s13, 0, s2
	s_waitcnt lgkmcnt(0)
	s_and_b32 s0, s0, 0xffff
	s_and_b32 s1, s1, exec_lo
	v_mad_u64_u32 v[9:10], null, s0, 6, v[1:2]
	s_cselect_b32 s15, s11, 0
	s_cselect_b32 s14, s10, 0x10000
	s_lshl_b32 s16, s0, 2
	s_lshl_b32 s1, s0, 1
	v_add_co_u32 v1, s3, s16, v1
	s_delay_alu instid0(VALU_DEP_2) | instskip(NEXT) | instid1(VALU_DEP_3)
	v_add_co_u32 v7, vcc_lo, s6, v9
	v_add_co_ci_u32_e32 v8, vcc_lo, s7, v10, vcc_lo
	v_add_co_u32 v9, vcc_lo, s12, v9
	v_add_co_ci_u32_e64 v17, null, 0, 0, s3
	s_mul_i32 s2, s0, 3
	s_lshl_b32 s17, s0, 3
	v_add_co_u32 v15, s0, v0, s0
	v_add_co_ci_u32_e32 v10, vcc_lo, s13, v10, vcc_lo
	v_add_co_u32 v13, vcc_lo, s6, v1
	v_add_co_ci_u32_e32 v14, vcc_lo, s7, v17, vcc_lo
	v_add_co_u32 v16, vcc_lo, s12, v1
	v_lshlrev_b32_e32 v1, 1, v15
	v_add_co_ci_u32_e64 v18, null, 0, 0, s0
	v_add_co_u32 v19, s0, s1, v0
	s_delay_alu instid0(VALU_DEP_1) | instskip(NEXT) | instid1(VALU_DEP_4)
	v_add_co_ci_u32_e64 v20, null, 0, 0, s0
	v_add_co_u32 v21, s0, s6, v1
	v_add_co_u32 v11, s2, s2, v0
	v_add_co_ci_u32_e64 v22, null, s7, 0, s0
	v_add_co_u32 v23, s0, s12, v1
	v_add_co_ci_u32_e64 v12, null, 0, 0, s2
	v_add_co_ci_u32_e32 v17, vcc_lo, s13, v17, vcc_lo
	v_add_co_ci_u32_e64 v24, null, s13, 0, s0
	s_mov_b64 s[12:13], 0
	s_mov_b32 s7, 0x7fffff
	s_branch .LBB96_25
.LBB96_24:                              ;   in Loop: Header=BB96_25 Depth=1
	s_or_b32 exec_lo, exec_lo, s0
	v_add_co_u32 v3, vcc_lo, v3, s17
	v_add_co_ci_u32_e32 v4, vcc_lo, 0, v4, vcc_lo
	v_add_co_u32 v5, vcc_lo, v5, s17
	v_add_co_ci_u32_e32 v6, vcc_lo, 0, v6, vcc_lo
	;; [unrolled: 2-line block ×5, first 2 shown]
	s_add_u32 s12, s12, s16
	v_add_co_u32 v16, vcc_lo, v16, s17
	s_addc_u32 s13, s13, 0
	v_add_co_ci_u32_e32 v17, vcc_lo, 0, v17, vcc_lo
	v_cmp_ge_i64_e64 s0, s[12:13], s[10:11]
	v_cmp_lt_u64_e64 s1, 0xffff, s[12:13]
	v_add_co_u32 v21, vcc_lo, v21, s17
	v_add_co_ci_u32_e32 v22, vcc_lo, 0, v22, vcc_lo
	v_add_co_u32 v23, vcc_lo, v23, s17
	v_add_co_ci_u32_e32 v24, vcc_lo, 0, v24, vcc_lo
	s_or_b32 s0, s0, s1
	s_delay_alu instid0(SALU_CYCLE_1)
	s_and_b32 vcc_lo, exec_lo, s0
	s_cbranch_vccnz .LBB96_57
.LBB96_25:                              ; =>This Inner Loop Header: Depth=1
	v_add_co_u32 v25, s0, v0, s12
	s_delay_alu instid0(VALU_DEP_1) | instskip(SKIP_1) | instid1(VALU_DEP_2)
	v_add_co_ci_u32_e64 v26, null, 0, s13, s0
	v_mov_b32_e32 v1, 0
	v_cmp_gt_u64_e64 s2, s[14:15], v[25:26]
	s_delay_alu instid0(VALU_DEP_1)
	s_and_saveexec_b32 s0, s2
	s_cbranch_execz .LBB96_27
; %bb.26:                               ;   in Loop: Header=BB96_25 Depth=1
	v_add_co_u32 v25, vcc_lo, v3, s8
	v_add_co_ci_u32_e32 v26, vcc_lo, s9, v4, vcc_lo
	global_load_u16 v1, v[25:26], off
.LBB96_27:                              ;   in Loop: Header=BB96_25 Depth=1
	s_or_b32 exec_lo, exec_lo, s0
	v_add_co_u32 v25, vcc_lo, v15, s12
	v_add_co_ci_u32_e32 v26, vcc_lo, s13, v18, vcc_lo
	v_mov_b32_e32 v27, 0
	s_delay_alu instid0(VALU_DEP_2) | instskip(NEXT) | instid1(VALU_DEP_1)
	v_cmp_gt_u64_e64 s1, s[14:15], v[25:26]
	s_and_saveexec_b32 s0, s1
	s_cbranch_execz .LBB96_29
; %bb.28:                               ;   in Loop: Header=BB96_25 Depth=1
	v_add_co_u32 v25, vcc_lo, v21, s8
	v_add_co_ci_u32_e32 v26, vcc_lo, s9, v22, vcc_lo
	global_load_u16 v27, v[25:26], off
.LBB96_29:                              ;   in Loop: Header=BB96_25 Depth=1
	s_or_b32 exec_lo, exec_lo, s0
	v_add_co_u32 v25, vcc_lo, v19, s12
	v_add_co_ci_u32_e32 v26, vcc_lo, s13, v20, vcc_lo
	v_dual_mov_b32 v31, 0 :: v_dual_mov_b32 v32, 0
	s_delay_alu instid0(VALU_DEP_2) | instskip(NEXT) | instid1(VALU_DEP_1)
	v_cmp_gt_u64_e64 s0, s[14:15], v[25:26]
	s_and_saveexec_b32 s3, s0
	s_cbranch_execz .LBB96_31
; %bb.30:                               ;   in Loop: Header=BB96_25 Depth=1
	v_add_co_u32 v25, vcc_lo, v13, s8
	v_add_co_ci_u32_e32 v26, vcc_lo, s9, v14, vcc_lo
	global_load_u16 v32, v[25:26], off
.LBB96_31:                              ;   in Loop: Header=BB96_25 Depth=1
	s_or_b32 exec_lo, exec_lo, s3
	v_add_co_u32 v25, vcc_lo, v11, s12
	v_add_co_ci_u32_e32 v26, vcc_lo, s13, v12, vcc_lo
	s_delay_alu instid0(VALU_DEP_1)
	v_cmp_gt_u64_e32 vcc_lo, s[14:15], v[25:26]
	s_and_saveexec_b32 s4, vcc_lo
	s_cbranch_execz .LBB96_33
; %bb.32:                               ;   in Loop: Header=BB96_25 Depth=1
	v_add_co_u32 v25, s3, v7, s8
	s_delay_alu instid0(VALU_DEP_1)
	v_add_co_ci_u32_e64 v26, s3, s9, v8, s3
	global_load_u16 v31, v[25:26], off
.LBB96_33:                              ;   in Loop: Header=BB96_25 Depth=1
	s_or_b32 exec_lo, exec_lo, s4
	s_waitcnt vmcnt(0)
	v_cvt_f32_f16_e32 v25, v1
                                        ; implicit-def: $vgpr30
                                        ; implicit-def: $vgpr28
	s_mov_b32 s4, exec_lo
	s_delay_alu instid0(VALU_DEP_1)
	v_and_b32_e32 v26, 0x7fffffff, v25
	v_cmpx_ngt_f32_e64 0x48000000, |v25|
	s_xor_b32 s20, exec_lo, s4
	s_cbranch_execz .LBB96_35
; %bb.34:                               ;   in Loop: Header=BB96_25 Depth=1
	s_delay_alu instid0(VALU_DEP_2) | instskip(NEXT) | instid1(VALU_DEP_1)
	v_and_or_b32 v39, v26, s7, 0x800000
	v_mad_u64_u32 v[28:29], null, 0xfe5163ab, v39, 0
	s_delay_alu instid0(VALU_DEP_1) | instskip(NEXT) | instid1(VALU_DEP_1)
	v_mov_b32_e32 v1, v29
	v_mad_u64_u32 v[29:30], null, 0x3c439041, v39, v[1:2]
	s_delay_alu instid0(VALU_DEP_1) | instskip(SKIP_1) | instid1(VALU_DEP_1)
	v_mov_b32_e32 v1, v30
	v_lshrrev_b32_e32 v30, 23, v26
	v_add_nc_u32_e32 v30, 0xffffff88, v30
	s_delay_alu instid0(VALU_DEP_1) | instskip(NEXT) | instid1(VALU_DEP_1)
	v_cmp_lt_u32_e64 s3, 63, v30
	v_cndmask_b32_e64 v37, 0, 0xffffffc0, s3
	s_delay_alu instid0(VALU_DEP_1) | instskip(SKIP_1) | instid1(VALU_DEP_2)
	v_add_nc_u32_e32 v30, v37, v30
	v_mad_u64_u32 v[33:34], null, 0xdb629599, v39, v[1:2]
	v_cmp_lt_u32_e64 s4, 31, v30
	s_delay_alu instid0(VALU_DEP_2) | instskip(NEXT) | instid1(VALU_DEP_2)
	v_mov_b32_e32 v1, v34
	v_cndmask_b32_e64 v38, 0, 0xffffffe0, s4
	s_delay_alu instid0(VALU_DEP_4) | instskip(NEXT) | instid1(VALU_DEP_3)
	v_cndmask_b32_e64 v28, v33, v28, s3
	v_mad_u64_u32 v[34:35], null, 0xf534ddc0, v39, v[1:2]
	s_delay_alu instid0(VALU_DEP_3) | instskip(NEXT) | instid1(VALU_DEP_1)
	v_add_nc_u32_e32 v30, v38, v30
	v_cmp_lt_u32_e64 s5, 31, v30
	s_delay_alu instid0(VALU_DEP_3) | instskip(NEXT) | instid1(VALU_DEP_4)
	v_mov_b32_e32 v1, v35
	v_cndmask_b32_e64 v29, v34, v29, s3
	s_delay_alu instid0(VALU_DEP_2) | instskip(NEXT) | instid1(VALU_DEP_2)
	v_mad_u64_u32 v[35:36], null, 0xfc2757d1, v39, v[1:2]
	v_cndmask_b32_e64 v28, v29, v28, s4
	s_delay_alu instid0(VALU_DEP_2) | instskip(NEXT) | instid1(VALU_DEP_1)
	v_mov_b32_e32 v1, v36
	v_mad_u64_u32 v[36:37], null, 0x4e441529, v39, v[1:2]
	s_delay_alu instid0(VALU_DEP_1) | instskip(NEXT) | instid1(VALU_DEP_1)
	v_mov_b32_e32 v1, v37
	v_mad_u64_u32 v[37:38], null, 0xa2f9836e, v39, v[1:2]
	v_cndmask_b32_e64 v1, 0, 0xffffffe0, s5
	s_delay_alu instid0(VALU_DEP_4) | instskip(NEXT) | instid1(VALU_DEP_2)
	v_cndmask_b32_e64 v39, v36, v34, s3
	v_add_nc_u32_e32 v1, v1, v30
	s_delay_alu instid0(VALU_DEP_4) | instskip(SKIP_2) | instid1(VALU_DEP_4)
	v_cndmask_b32_e64 v37, v37, v35, s3
	v_cndmask_b32_e64 v36, v38, v36, s3
	;; [unrolled: 1-line block ×3, first 2 shown]
	v_cmp_eq_u32_e64 s6, 0, v1
	s_delay_alu instid0(VALU_DEP_4) | instskip(NEXT) | instid1(VALU_DEP_4)
	v_cndmask_b32_e64 v30, v37, v39, s4
	v_cndmask_b32_e64 v34, v36, v37, s4
	s_delay_alu instid0(VALU_DEP_4) | instskip(SKIP_2) | instid1(VALU_DEP_4)
	v_cndmask_b32_e64 v36, v39, v35, s4
	v_sub_nc_u32_e32 v37, 32, v1
	v_cndmask_b32_e64 v35, v35, v29, s4
	v_cndmask_b32_e64 v34, v34, v30, s5
	s_delay_alu instid0(VALU_DEP_4) | instskip(NEXT) | instid1(VALU_DEP_3)
	v_cndmask_b32_e64 v30, v30, v36, s5
	v_cndmask_b32_e64 v36, v36, v35, s5
	;; [unrolled: 1-line block ×3, first 2 shown]
	s_delay_alu instid0(VALU_DEP_3) | instskip(NEXT) | instid1(VALU_DEP_3)
	v_alignbit_b32 v38, v34, v30, v37
	v_alignbit_b32 v39, v30, v36, v37
	s_delay_alu instid0(VALU_DEP_3) | instskip(NEXT) | instid1(VALU_DEP_3)
	v_alignbit_b32 v37, v36, v28, v37
	v_cndmask_b32_e64 v1, v38, v34, s6
	s_delay_alu instid0(VALU_DEP_3) | instskip(NEXT) | instid1(VALU_DEP_3)
	v_cndmask_b32_e64 v30, v39, v30, s6
	v_cndmask_b32_e64 v36, v37, v36, s6
	s_delay_alu instid0(VALU_DEP_3) | instskip(NEXT) | instid1(VALU_DEP_3)
	v_bfe_u32 v33, v1, 29, 1
	v_alignbit_b32 v29, v1, v30, 30
	s_delay_alu instid0(VALU_DEP_3) | instskip(SKIP_1) | instid1(VALU_DEP_4)
	v_alignbit_b32 v30, v30, v36, 30
	v_alignbit_b32 v28, v36, v28, 30
	v_sub_nc_u32_e32 v34, 0, v33
	s_delay_alu instid0(VALU_DEP_1) | instskip(SKIP_3) | instid1(VALU_DEP_4)
	v_xor_b32_e32 v35, v29, v34
	v_cmp_ne_u32_e64 s3, v29, v34
	v_xor_b32_e32 v30, v30, v34
	v_xor_b32_e32 v28, v28, v34
	v_clz_i32_u32_e32 v38, v35
	s_delay_alu instid0(VALU_DEP_1) | instskip(NEXT) | instid1(VALU_DEP_1)
	v_add_nc_u32_e32 v37, 1, v38
	v_cndmask_b32_e64 v29, 33, v37, s3
	s_delay_alu instid0(VALU_DEP_1) | instskip(NEXT) | instid1(VALU_DEP_1)
	v_sub_nc_u32_e32 v36, 32, v29
	v_alignbit_b32 v34, v35, v30, v36
	v_alignbit_b32 v28, v30, v28, v36
	v_lshrrev_b32_e32 v30, 29, v1
	v_lshrrev_b32_e32 v1, 30, v1
	s_delay_alu instid0(VALU_DEP_3) | instskip(NEXT) | instid1(VALU_DEP_3)
	v_alignbit_b32 v35, v34, v28, 9
	v_lshlrev_b32_e32 v30, 31, v30
	v_alignbit_b32 v34, v29, v34, 9
	s_delay_alu instid0(VALU_DEP_3) | instskip(NEXT) | instid1(VALU_DEP_2)
	v_clz_i32_u32_e32 v36, v35
	v_or_b32_e32 v34, v34, v30
	v_or_b32_e32 v30, 0x33800000, v30
	s_delay_alu instid0(VALU_DEP_3) | instskip(NEXT) | instid1(VALU_DEP_3)
	v_min_u32_e32 v36, 32, v36
	v_xor_b32_e32 v34, 1.0, v34
	s_delay_alu instid0(VALU_DEP_2) | instskip(SKIP_1) | instid1(VALU_DEP_3)
	v_sub_nc_u32_e32 v37, 31, v36
	v_add_lshl_u32 v29, v36, v29, 23
	v_mul_f32_e32 v36, 0x3fc90fda, v34
	s_delay_alu instid0(VALU_DEP_3) | instskip(NEXT) | instid1(VALU_DEP_3)
	v_alignbit_b32 v28, v35, v28, v37
	v_sub_nc_u32_e32 v29, v30, v29
	s_delay_alu instid0(VALU_DEP_3) | instskip(NEXT) | instid1(VALU_DEP_3)
	v_fma_f32 v30, 0x3fc90fda, v34, -v36
	v_lshrrev_b32_e32 v28, 9, v28
	s_delay_alu instid0(VALU_DEP_2) | instskip(NEXT) | instid1(VALU_DEP_2)
	v_fmac_f32_e32 v30, 0x33a22168, v34
	v_or_b32_e32 v28, v29, v28
	s_delay_alu instid0(VALU_DEP_1) | instskip(NEXT) | instid1(VALU_DEP_1)
	v_fmac_f32_e32 v30, 0x3fc90fda, v28
	v_add_f32_e32 v28, v36, v30
	v_add_nc_u32_e32 v30, v33, v1
.LBB96_35:                              ;   in Loop: Header=BB96_25 Depth=1
	s_and_not1_saveexec_b32 s3, s20
; %bb.36:                               ;   in Loop: Header=BB96_25 Depth=1
	v_mul_f32_e64 v1, 0x3f22f983, |v25|
	s_delay_alu instid0(VALU_DEP_1) | instskip(NEXT) | instid1(VALU_DEP_1)
	v_rndne_f32_e32 v1, v1
	v_fma_f32 v28, 0xbfc90fda, v1, |v25|
	v_cvt_i32_f32_e32 v30, v1
	s_delay_alu instid0(VALU_DEP_2) | instskip(NEXT) | instid1(VALU_DEP_1)
	v_fmac_f32_e32 v28, 0xb3a22168, v1
	v_fmac_f32_e32 v28, 0xa7c234c4, v1
; %bb.37:                               ;   in Loop: Header=BB96_25 Depth=1
	s_or_b32 exec_lo, exec_lo, s3
	v_cvt_f32_f16_e32 v27, v27
                                        ; implicit-def: $vgpr35
                                        ; implicit-def: $vgpr34
	s_mov_b32 s4, exec_lo
	s_delay_alu instid0(VALU_DEP_1)
	v_and_b32_e32 v29, 0x7fffffff, v27
	v_cmpx_ngt_f32_e64 0x48000000, |v27|
	s_xor_b32 s20, exec_lo, s4
	s_cbranch_execz .LBB96_39
; %bb.38:                               ;   in Loop: Header=BB96_25 Depth=1
	s_delay_alu instid0(VALU_DEP_2) | instskip(SKIP_1) | instid1(VALU_DEP_2)
	v_lshrrev_b32_e32 v38, 23, v29
	v_and_or_b32 v41, v29, s7, 0x800000
	v_add_nc_u32_e32 v39, 0xffffff88, v38
	s_delay_alu instid0(VALU_DEP_2) | instskip(NEXT) | instid1(VALU_DEP_2)
	v_mad_u64_u32 v[33:34], null, 0xfe5163ab, v41, 0
	v_cmp_lt_u32_e64 s3, 63, v39
	s_delay_alu instid0(VALU_DEP_1) | instskip(NEXT) | instid1(VALU_DEP_1)
	v_cndmask_b32_e64 v40, 0, 0xffffffc0, s3
	v_dual_mov_b32 v1, v34 :: v_dual_add_nc_u32 v40, v40, v39
	s_delay_alu instid0(VALU_DEP_1) | instskip(NEXT) | instid1(VALU_DEP_2)
	v_mad_u64_u32 v[34:35], null, 0x3c439041, v41, v[1:2]
	v_cmp_lt_u32_e64 s4, 31, v40
	s_delay_alu instid0(VALU_DEP_1) | instskip(NEXT) | instid1(VALU_DEP_1)
	v_cndmask_b32_e64 v42, 0, 0xffffffe0, s4
	v_dual_mov_b32 v1, v35 :: v_dual_add_nc_u32 v42, v42, v40
	s_delay_alu instid0(VALU_DEP_1) | instskip(NEXT) | instid1(VALU_DEP_2)
	v_mad_u64_u32 v[35:36], null, 0xdb629599, v41, v[1:2]
	v_cmp_lt_u32_e64 s5, 31, v42
	s_delay_alu instid0(VALU_DEP_2) | instskip(NEXT) | instid1(VALU_DEP_3)
	v_mov_b32_e32 v1, v36
	v_cndmask_b32_e64 v33, v35, v33, s3
	s_delay_alu instid0(VALU_DEP_2) | instskip(NEXT) | instid1(VALU_DEP_1)
	v_mad_u64_u32 v[36:37], null, 0xf534ddc0, v41, v[1:2]
	v_mov_b32_e32 v1, v37
	s_delay_alu instid0(VALU_DEP_2) | instskip(NEXT) | instid1(VALU_DEP_2)
	v_cndmask_b32_e64 v34, v36, v34, s3
	v_mad_u64_u32 v[37:38], null, 0xfc2757d1, v41, v[1:2]
	s_delay_alu instid0(VALU_DEP_2) | instskip(NEXT) | instid1(VALU_DEP_2)
	v_cndmask_b32_e64 v33, v34, v33, s4
	v_mov_b32_e32 v1, v38
	s_delay_alu instid0(VALU_DEP_1) | instskip(NEXT) | instid1(VALU_DEP_1)
	v_mad_u64_u32 v[38:39], null, 0x4e441529, v41, v[1:2]
	v_mov_b32_e32 v1, v39
	s_delay_alu instid0(VALU_DEP_1) | instskip(SKIP_1) | instid1(VALU_DEP_4)
	v_mad_u64_u32 v[39:40], null, 0xa2f9836e, v41, v[1:2]
	v_cndmask_b32_e64 v1, 0, 0xffffffe0, s5
	v_cndmask_b32_e64 v41, v38, v36, s3
	s_delay_alu instid0(VALU_DEP_2) | instskip(NEXT) | instid1(VALU_DEP_4)
	v_add_nc_u32_e32 v1, v1, v42
	v_cndmask_b32_e64 v39, v39, v37, s3
	v_cndmask_b32_e64 v38, v40, v38, s3
	;; [unrolled: 1-line block ×3, first 2 shown]
	s_delay_alu instid0(VALU_DEP_4) | instskip(NEXT) | instid1(VALU_DEP_4)
	v_sub_nc_u32_e32 v40, 32, v1
	v_cndmask_b32_e64 v36, v39, v41, s4
	s_delay_alu instid0(VALU_DEP_4) | instskip(NEXT) | instid1(VALU_DEP_4)
	v_cndmask_b32_e64 v38, v38, v39, s4
	v_cndmask_b32_e64 v39, v41, v37, s4
	v_cndmask_b32_e64 v37, v37, v34, s4
	v_cmp_eq_u32_e64 s6, 0, v1
	s_delay_alu instid0(VALU_DEP_4) | instskip(NEXT) | instid1(VALU_DEP_4)
	v_cndmask_b32_e64 v38, v38, v36, s5
	v_cndmask_b32_e64 v36, v36, v39, s5
	s_delay_alu instid0(VALU_DEP_4) | instskip(SKIP_1) | instid1(VALU_DEP_3)
	v_cndmask_b32_e64 v39, v39, v37, s5
	v_cndmask_b32_e64 v33, v37, v33, s5
	v_alignbit_b32 v41, v38, v36, v40
	s_delay_alu instid0(VALU_DEP_3) | instskip(NEXT) | instid1(VALU_DEP_3)
	v_alignbit_b32 v42, v36, v39, v40
	v_alignbit_b32 v40, v39, v33, v40
	s_delay_alu instid0(VALU_DEP_3) | instskip(NEXT) | instid1(VALU_DEP_3)
	v_cndmask_b32_e64 v1, v41, v38, s6
	v_cndmask_b32_e64 v35, v42, v36, s6
	s_delay_alu instid0(VALU_DEP_3) | instskip(NEXT) | instid1(VALU_DEP_3)
	v_cndmask_b32_e64 v39, v40, v39, s6
	v_bfe_u32 v36, v1, 29, 1
	s_delay_alu instid0(VALU_DEP_3) | instskip(NEXT) | instid1(VALU_DEP_3)
	v_alignbit_b32 v34, v1, v35, 30
	v_alignbit_b32 v35, v35, v39, 30
	;; [unrolled: 1-line block ×3, first 2 shown]
	s_delay_alu instid0(VALU_DEP_4) | instskip(NEXT) | instid1(VALU_DEP_1)
	v_sub_nc_u32_e32 v38, 0, v36
	v_xor_b32_e32 v37, v34, v38
	v_cmp_ne_u32_e64 s3, v34, v38
	v_xor_b32_e32 v35, v35, v38
	v_xor_b32_e32 v33, v33, v38
	s_delay_alu instid0(VALU_DEP_4) | instskip(NEXT) | instid1(VALU_DEP_1)
	v_clz_i32_u32_e32 v41, v37
	v_add_nc_u32_e32 v40, 1, v41
	s_delay_alu instid0(VALU_DEP_1) | instskip(NEXT) | instid1(VALU_DEP_1)
	v_cndmask_b32_e64 v34, 33, v40, s3
	v_sub_nc_u32_e32 v39, 32, v34
	s_delay_alu instid0(VALU_DEP_1) | instskip(SKIP_3) | instid1(VALU_DEP_3)
	v_alignbit_b32 v37, v37, v35, v39
	v_alignbit_b32 v33, v35, v33, v39
	v_lshrrev_b32_e32 v35, 29, v1
	v_lshrrev_b32_e32 v1, 30, v1
	v_alignbit_b32 v38, v37, v33, 9
	s_delay_alu instid0(VALU_DEP_3) | instskip(SKIP_1) | instid1(VALU_DEP_3)
	v_lshlrev_b32_e32 v35, 31, v35
	v_alignbit_b32 v37, v34, v37, 9
	v_clz_i32_u32_e32 v39, v38
	s_delay_alu instid0(VALU_DEP_2) | instskip(SKIP_1) | instid1(VALU_DEP_3)
	v_or_b32_e32 v37, v37, v35
	v_or_b32_e32 v35, 0x33800000, v35
	v_min_u32_e32 v39, 32, v39
	s_delay_alu instid0(VALU_DEP_3) | instskip(NEXT) | instid1(VALU_DEP_2)
	v_xor_b32_e32 v37, 1.0, v37
	v_sub_nc_u32_e32 v40, 31, v39
	v_add_lshl_u32 v34, v39, v34, 23
	s_delay_alu instid0(VALU_DEP_3) | instskip(NEXT) | instid1(VALU_DEP_3)
	v_mul_f32_e32 v39, 0x3fc90fda, v37
	v_alignbit_b32 v33, v38, v33, v40
	s_delay_alu instid0(VALU_DEP_3) | instskip(NEXT) | instid1(VALU_DEP_3)
	v_sub_nc_u32_e32 v34, v35, v34
	v_fma_f32 v35, 0x3fc90fda, v37, -v39
	s_delay_alu instid0(VALU_DEP_3) | instskip(NEXT) | instid1(VALU_DEP_2)
	v_lshrrev_b32_e32 v33, 9, v33
	v_fmac_f32_e32 v35, 0x33a22168, v37
	s_delay_alu instid0(VALU_DEP_2) | instskip(NEXT) | instid1(VALU_DEP_1)
	v_or_b32_e32 v33, v34, v33
	v_fmac_f32_e32 v35, 0x3fc90fda, v33
	s_delay_alu instid0(VALU_DEP_1)
	v_dual_add_f32 v34, v39, v35 :: v_dual_add_nc_u32 v35, v36, v1
.LBB96_39:                              ;   in Loop: Header=BB96_25 Depth=1
	s_and_not1_saveexec_b32 s3, s20
; %bb.40:                               ;   in Loop: Header=BB96_25 Depth=1
	v_mul_f32_e64 v1, 0x3f22f983, |v27|
	s_delay_alu instid0(VALU_DEP_1) | instskip(NEXT) | instid1(VALU_DEP_1)
	v_rndne_f32_e32 v1, v1
	v_fma_f32 v34, 0xbfc90fda, v1, |v27|
	v_cvt_i32_f32_e32 v35, v1
	s_delay_alu instid0(VALU_DEP_2) | instskip(NEXT) | instid1(VALU_DEP_1)
	v_fmac_f32_e32 v34, 0xb3a22168, v1
	v_fmac_f32_e32 v34, 0xa7c234c4, v1
; %bb.41:                               ;   in Loop: Header=BB96_25 Depth=1
	s_or_b32 exec_lo, exec_lo, s3
	v_cvt_f32_f16_e32 v32, v32
                                        ; implicit-def: $vgpr38
                                        ; implicit-def: $vgpr37
	s_mov_b32 s4, exec_lo
	s_delay_alu instid0(VALU_DEP_1)
	v_and_b32_e32 v33, 0x7fffffff, v32
	v_cmpx_ngt_f32_e64 0x48000000, |v32|
	s_xor_b32 s20, exec_lo, s4
	s_cbranch_execz .LBB96_43
; %bb.42:                               ;   in Loop: Header=BB96_25 Depth=1
	s_delay_alu instid0(VALU_DEP_2) | instskip(SKIP_1) | instid1(VALU_DEP_2)
	v_and_or_b32 v44, v33, s7, 0x800000
	v_lshrrev_b32_e32 v41, 23, v33
	v_mad_u64_u32 v[36:37], null, 0xfe5163ab, v44, 0
	s_delay_alu instid0(VALU_DEP_2) | instskip(NEXT) | instid1(VALU_DEP_1)
	v_add_nc_u32_e32 v42, 0xffffff88, v41
	v_cmp_lt_u32_e64 s3, 63, v42
	s_delay_alu instid0(VALU_DEP_3) | instskip(NEXT) | instid1(VALU_DEP_2)
	v_mov_b32_e32 v1, v37
	v_cndmask_b32_e64 v43, 0, 0xffffffc0, s3
	s_delay_alu instid0(VALU_DEP_2) | instskip(NEXT) | instid1(VALU_DEP_2)
	v_mad_u64_u32 v[37:38], null, 0x3c439041, v44, v[1:2]
	v_add_nc_u32_e32 v43, v43, v42
	s_delay_alu instid0(VALU_DEP_2) | instskip(NEXT) | instid1(VALU_DEP_2)
	v_mov_b32_e32 v1, v38
	v_cmp_lt_u32_e64 s4, 31, v43
	s_delay_alu instid0(VALU_DEP_2) | instskip(NEXT) | instid1(VALU_DEP_2)
	v_mad_u64_u32 v[38:39], null, 0xdb629599, v44, v[1:2]
	v_cndmask_b32_e64 v45, 0, 0xffffffe0, s4
	s_delay_alu instid0(VALU_DEP_1) | instskip(NEXT) | instid1(VALU_DEP_3)
	v_add_nc_u32_e32 v45, v45, v43
	v_mov_b32_e32 v1, v39
	s_delay_alu instid0(VALU_DEP_4) | instskip(NEXT) | instid1(VALU_DEP_3)
	v_cndmask_b32_e64 v36, v38, v36, s3
	v_cmp_lt_u32_e64 s5, 31, v45
	s_delay_alu instid0(VALU_DEP_3) | instskip(NEXT) | instid1(VALU_DEP_1)
	v_mad_u64_u32 v[39:40], null, 0xf534ddc0, v44, v[1:2]
	v_mov_b32_e32 v1, v40
	s_delay_alu instid0(VALU_DEP_2) | instskip(NEXT) | instid1(VALU_DEP_2)
	v_cndmask_b32_e64 v37, v39, v37, s3
	v_mad_u64_u32 v[40:41], null, 0xfc2757d1, v44, v[1:2]
	s_delay_alu instid0(VALU_DEP_2) | instskip(NEXT) | instid1(VALU_DEP_2)
	v_cndmask_b32_e64 v36, v37, v36, s4
	v_mov_b32_e32 v1, v41
	s_delay_alu instid0(VALU_DEP_1) | instskip(NEXT) | instid1(VALU_DEP_1)
	v_mad_u64_u32 v[41:42], null, 0x4e441529, v44, v[1:2]
	v_mov_b32_e32 v1, v42
	s_delay_alu instid0(VALU_DEP_1) | instskip(SKIP_1) | instid1(VALU_DEP_4)
	v_mad_u64_u32 v[42:43], null, 0xa2f9836e, v44, v[1:2]
	v_cndmask_b32_e64 v1, 0, 0xffffffe0, s5
	v_cndmask_b32_e64 v44, v41, v39, s3
	s_delay_alu instid0(VALU_DEP_2) | instskip(NEXT) | instid1(VALU_DEP_4)
	v_add_nc_u32_e32 v1, v1, v45
	v_cndmask_b32_e64 v42, v42, v40, s3
	v_cndmask_b32_e64 v41, v43, v41, s3
	;; [unrolled: 1-line block ×3, first 2 shown]
	s_delay_alu instid0(VALU_DEP_4) | instskip(NEXT) | instid1(VALU_DEP_4)
	v_sub_nc_u32_e32 v43, 32, v1
	v_cndmask_b32_e64 v39, v42, v44, s4
	s_delay_alu instid0(VALU_DEP_4) | instskip(NEXT) | instid1(VALU_DEP_4)
	v_cndmask_b32_e64 v41, v41, v42, s4
	v_cndmask_b32_e64 v42, v44, v40, s4
	;; [unrolled: 1-line block ×3, first 2 shown]
	v_cmp_eq_u32_e64 s6, 0, v1
	s_delay_alu instid0(VALU_DEP_4) | instskip(NEXT) | instid1(VALU_DEP_4)
	v_cndmask_b32_e64 v41, v41, v39, s5
	v_cndmask_b32_e64 v39, v39, v42, s5
	s_delay_alu instid0(VALU_DEP_4) | instskip(SKIP_1) | instid1(VALU_DEP_3)
	v_cndmask_b32_e64 v42, v42, v40, s5
	v_cndmask_b32_e64 v36, v40, v36, s5
	v_alignbit_b32 v44, v41, v39, v43
	s_delay_alu instid0(VALU_DEP_3) | instskip(NEXT) | instid1(VALU_DEP_3)
	v_alignbit_b32 v45, v39, v42, v43
	v_alignbit_b32 v43, v42, v36, v43
	s_delay_alu instid0(VALU_DEP_3) | instskip(NEXT) | instid1(VALU_DEP_3)
	v_cndmask_b32_e64 v1, v44, v41, s6
	v_cndmask_b32_e64 v38, v45, v39, s6
	s_delay_alu instid0(VALU_DEP_3) | instskip(NEXT) | instid1(VALU_DEP_3)
	v_cndmask_b32_e64 v42, v43, v42, s6
	v_bfe_u32 v39, v1, 29, 1
	s_delay_alu instid0(VALU_DEP_3) | instskip(NEXT) | instid1(VALU_DEP_3)
	v_alignbit_b32 v37, v1, v38, 30
	v_alignbit_b32 v38, v38, v42, 30
	;; [unrolled: 1-line block ×3, first 2 shown]
	s_delay_alu instid0(VALU_DEP_4) | instskip(NEXT) | instid1(VALU_DEP_1)
	v_sub_nc_u32_e32 v41, 0, v39
	v_xor_b32_e32 v40, v37, v41
	v_cmp_ne_u32_e64 s3, v37, v41
	v_xor_b32_e32 v38, v38, v41
	v_xor_b32_e32 v36, v36, v41
	s_delay_alu instid0(VALU_DEP_4) | instskip(NEXT) | instid1(VALU_DEP_1)
	v_clz_i32_u32_e32 v44, v40
	v_add_nc_u32_e32 v43, 1, v44
	s_delay_alu instid0(VALU_DEP_1) | instskip(NEXT) | instid1(VALU_DEP_1)
	v_cndmask_b32_e64 v37, 33, v43, s3
	v_sub_nc_u32_e32 v42, 32, v37
	s_delay_alu instid0(VALU_DEP_1) | instskip(SKIP_3) | instid1(VALU_DEP_3)
	v_alignbit_b32 v40, v40, v38, v42
	v_alignbit_b32 v36, v38, v36, v42
	v_lshrrev_b32_e32 v38, 29, v1
	v_lshrrev_b32_e32 v1, 30, v1
	v_alignbit_b32 v41, v40, v36, 9
	s_delay_alu instid0(VALU_DEP_3) | instskip(SKIP_1) | instid1(VALU_DEP_3)
	v_lshlrev_b32_e32 v38, 31, v38
	v_alignbit_b32 v40, v37, v40, 9
	v_clz_i32_u32_e32 v42, v41
	s_delay_alu instid0(VALU_DEP_2) | instskip(SKIP_1) | instid1(VALU_DEP_3)
	v_or_b32_e32 v40, v40, v38
	v_or_b32_e32 v38, 0x33800000, v38
	v_min_u32_e32 v42, 32, v42
	s_delay_alu instid0(VALU_DEP_3) | instskip(NEXT) | instid1(VALU_DEP_2)
	v_xor_b32_e32 v40, 1.0, v40
	v_sub_nc_u32_e32 v43, 31, v42
	v_add_lshl_u32 v37, v42, v37, 23
	s_delay_alu instid0(VALU_DEP_3) | instskip(NEXT) | instid1(VALU_DEP_3)
	v_mul_f32_e32 v42, 0x3fc90fda, v40
	v_alignbit_b32 v36, v41, v36, v43
	s_delay_alu instid0(VALU_DEP_3) | instskip(NEXT) | instid1(VALU_DEP_3)
	v_sub_nc_u32_e32 v37, v38, v37
	v_fma_f32 v38, 0x3fc90fda, v40, -v42
	s_delay_alu instid0(VALU_DEP_3) | instskip(NEXT) | instid1(VALU_DEP_2)
	v_lshrrev_b32_e32 v36, 9, v36
	v_fmac_f32_e32 v38, 0x33a22168, v40
	s_delay_alu instid0(VALU_DEP_2) | instskip(NEXT) | instid1(VALU_DEP_1)
	v_or_b32_e32 v36, v37, v36
	v_fmac_f32_e32 v38, 0x3fc90fda, v36
	s_delay_alu instid0(VALU_DEP_1)
	v_dual_add_f32 v37, v42, v38 :: v_dual_add_nc_u32 v38, v39, v1
.LBB96_43:                              ;   in Loop: Header=BB96_25 Depth=1
	s_and_not1_saveexec_b32 s3, s20
; %bb.44:                               ;   in Loop: Header=BB96_25 Depth=1
	v_mul_f32_e64 v1, 0x3f22f983, |v32|
	s_delay_alu instid0(VALU_DEP_1) | instskip(NEXT) | instid1(VALU_DEP_1)
	v_rndne_f32_e32 v1, v1
	v_fma_f32 v37, 0xbfc90fda, v1, |v32|
	v_cvt_i32_f32_e32 v38, v1
	s_delay_alu instid0(VALU_DEP_2) | instskip(NEXT) | instid1(VALU_DEP_1)
	v_fmac_f32_e32 v37, 0xb3a22168, v1
	v_fmac_f32_e32 v37, 0xa7c234c4, v1
; %bb.45:                               ;   in Loop: Header=BB96_25 Depth=1
	s_or_b32 exec_lo, exec_lo, s3
	v_cvt_f32_f16_e32 v31, v31
                                        ; implicit-def: $vgpr39
                                        ; implicit-def: $vgpr1
	s_mov_b32 s4, exec_lo
	s_delay_alu instid0(VALU_DEP_1)
	v_and_b32_e32 v36, 0x7fffffff, v31
	v_cmpx_ngt_f32_e64 0x48000000, |v31|
	s_xor_b32 s20, exec_lo, s4
	s_cbranch_execnz .LBB96_51
; %bb.46:                               ;   in Loop: Header=BB96_25 Depth=1
	s_and_not1_saveexec_b32 s3, s20
	s_cbranch_execnz .LBB96_52
.LBB96_47:                              ;   in Loop: Header=BB96_25 Depth=1
	s_or_b32 exec_lo, exec_lo, s3
	s_and_saveexec_b32 s3, s2
	s_delay_alu instid0(SALU_CYCLE_1)
	s_xor_b32 s3, exec_lo, s3
	s_cbranch_execnz .LBB96_53
.LBB96_48:                              ;   in Loop: Header=BB96_25 Depth=1
	s_or_b32 exec_lo, exec_lo, s3
	s_and_saveexec_b32 s2, s1
	s_cbranch_execnz .LBB96_54
.LBB96_49:                              ;   in Loop: Header=BB96_25 Depth=1
	s_or_b32 exec_lo, exec_lo, s2
	s_and_saveexec_b32 s1, s0
	s_cbranch_execnz .LBB96_55
.LBB96_50:                              ;   in Loop: Header=BB96_25 Depth=1
	s_or_b32 exec_lo, exec_lo, s1
	s_and_saveexec_b32 s0, vcc_lo
	s_cbranch_execz .LBB96_24
	s_branch .LBB96_56
.LBB96_51:                              ;   in Loop: Header=BB96_25 Depth=1
	s_delay_alu instid0(VALU_DEP_2) | instskip(SKIP_1) | instid1(VALU_DEP_2)
	v_lshrrev_b32_e32 v44, 23, v36
	v_and_or_b32 v47, v36, s7, 0x800000
	v_add_nc_u32_e32 v45, 0xffffff88, v44
	s_delay_alu instid0(VALU_DEP_2) | instskip(NEXT) | instid1(VALU_DEP_2)
	v_mad_u64_u32 v[39:40], null, 0xfe5163ab, v47, 0
	v_cmp_lt_u32_e64 s3, 63, v45
	s_delay_alu instid0(VALU_DEP_1) | instskip(NEXT) | instid1(VALU_DEP_1)
	v_cndmask_b32_e64 v46, 0, 0xffffffc0, s3
	v_dual_mov_b32 v1, v40 :: v_dual_add_nc_u32 v46, v46, v45
	s_delay_alu instid0(VALU_DEP_1) | instskip(NEXT) | instid1(VALU_DEP_2)
	v_mad_u64_u32 v[40:41], null, 0x3c439041, v47, v[1:2]
	v_cmp_lt_u32_e64 s4, 31, v46
	s_delay_alu instid0(VALU_DEP_1) | instskip(NEXT) | instid1(VALU_DEP_1)
	v_cndmask_b32_e64 v48, 0, 0xffffffe0, s4
	v_dual_mov_b32 v1, v41 :: v_dual_add_nc_u32 v48, v48, v46
	s_delay_alu instid0(VALU_DEP_1) | instskip(NEXT) | instid1(VALU_DEP_2)
	v_mad_u64_u32 v[41:42], null, 0xdb629599, v47, v[1:2]
	v_cmp_lt_u32_e64 s5, 31, v48
	s_delay_alu instid0(VALU_DEP_2) | instskip(NEXT) | instid1(VALU_DEP_3)
	v_mov_b32_e32 v1, v42
	v_cndmask_b32_e64 v39, v41, v39, s3
	s_delay_alu instid0(VALU_DEP_2) | instskip(NEXT) | instid1(VALU_DEP_1)
	v_mad_u64_u32 v[42:43], null, 0xf534ddc0, v47, v[1:2]
	v_mov_b32_e32 v1, v43
	s_delay_alu instid0(VALU_DEP_2) | instskip(NEXT) | instid1(VALU_DEP_2)
	v_cndmask_b32_e64 v40, v42, v40, s3
	v_mad_u64_u32 v[43:44], null, 0xfc2757d1, v47, v[1:2]
	s_delay_alu instid0(VALU_DEP_2) | instskip(NEXT) | instid1(VALU_DEP_2)
	v_cndmask_b32_e64 v39, v40, v39, s4
	v_mov_b32_e32 v1, v44
	s_delay_alu instid0(VALU_DEP_1) | instskip(NEXT) | instid1(VALU_DEP_1)
	v_mad_u64_u32 v[44:45], null, 0x4e441529, v47, v[1:2]
	v_mov_b32_e32 v1, v45
	s_delay_alu instid0(VALU_DEP_1) | instskip(SKIP_1) | instid1(VALU_DEP_4)
	v_mad_u64_u32 v[45:46], null, 0xa2f9836e, v47, v[1:2]
	v_cndmask_b32_e64 v1, 0, 0xffffffe0, s5
	v_cndmask_b32_e64 v47, v44, v42, s3
	s_delay_alu instid0(VALU_DEP_2) | instskip(NEXT) | instid1(VALU_DEP_4)
	v_add_nc_u32_e32 v1, v1, v48
	v_cndmask_b32_e64 v45, v45, v43, s3
	v_cndmask_b32_e64 v44, v46, v44, s3
	;; [unrolled: 1-line block ×3, first 2 shown]
	s_delay_alu instid0(VALU_DEP_4) | instskip(NEXT) | instid1(VALU_DEP_4)
	v_sub_nc_u32_e32 v46, 32, v1
	v_cndmask_b32_e64 v42, v45, v47, s4
	s_delay_alu instid0(VALU_DEP_4) | instskip(NEXT) | instid1(VALU_DEP_4)
	v_cndmask_b32_e64 v44, v44, v45, s4
	v_cndmask_b32_e64 v45, v47, v43, s4
	v_cndmask_b32_e64 v43, v43, v40, s4
	v_cmp_eq_u32_e64 s6, 0, v1
	s_delay_alu instid0(VALU_DEP_4) | instskip(NEXT) | instid1(VALU_DEP_4)
	v_cndmask_b32_e64 v44, v44, v42, s5
	v_cndmask_b32_e64 v42, v42, v45, s5
	s_delay_alu instid0(VALU_DEP_4) | instskip(SKIP_1) | instid1(VALU_DEP_3)
	v_cndmask_b32_e64 v45, v45, v43, s5
	v_cndmask_b32_e64 v39, v43, v39, s5
	v_alignbit_b32 v47, v44, v42, v46
	s_delay_alu instid0(VALU_DEP_3) | instskip(NEXT) | instid1(VALU_DEP_3)
	v_alignbit_b32 v48, v42, v45, v46
	v_alignbit_b32 v46, v45, v39, v46
	s_delay_alu instid0(VALU_DEP_3) | instskip(NEXT) | instid1(VALU_DEP_3)
	v_cndmask_b32_e64 v1, v47, v44, s6
	v_cndmask_b32_e64 v41, v48, v42, s6
	s_delay_alu instid0(VALU_DEP_3) | instskip(NEXT) | instid1(VALU_DEP_3)
	v_cndmask_b32_e64 v45, v46, v45, s6
	v_bfe_u32 v42, v1, 29, 1
	s_delay_alu instid0(VALU_DEP_3) | instskip(NEXT) | instid1(VALU_DEP_3)
	v_alignbit_b32 v40, v1, v41, 30
	v_alignbit_b32 v41, v41, v45, 30
	;; [unrolled: 1-line block ×3, first 2 shown]
	s_delay_alu instid0(VALU_DEP_4) | instskip(NEXT) | instid1(VALU_DEP_1)
	v_sub_nc_u32_e32 v44, 0, v42
	v_xor_b32_e32 v43, v40, v44
	v_cmp_ne_u32_e64 s3, v40, v44
	v_xor_b32_e32 v41, v41, v44
	v_xor_b32_e32 v39, v39, v44
	s_delay_alu instid0(VALU_DEP_4) | instskip(NEXT) | instid1(VALU_DEP_1)
	v_clz_i32_u32_e32 v47, v43
	v_add_nc_u32_e32 v46, 1, v47
	s_delay_alu instid0(VALU_DEP_1) | instskip(NEXT) | instid1(VALU_DEP_1)
	v_cndmask_b32_e64 v40, 33, v46, s3
	v_sub_nc_u32_e32 v45, 32, v40
	s_delay_alu instid0(VALU_DEP_1) | instskip(SKIP_2) | instid1(VALU_DEP_2)
	v_alignbit_b32 v43, v43, v41, v45
	v_alignbit_b32 v39, v41, v39, v45
	v_lshrrev_b32_e32 v41, 29, v1
	v_alignbit_b32 v44, v43, v39, 9
	s_delay_alu instid0(VALU_DEP_2) | instskip(SKIP_1) | instid1(VALU_DEP_3)
	v_lshlrev_b32_e32 v41, 31, v41
	v_alignbit_b32 v43, v40, v43, 9
	v_clz_i32_u32_e32 v45, v44
	s_delay_alu instid0(VALU_DEP_2) | instskip(SKIP_1) | instid1(VALU_DEP_3)
	v_or_b32_e32 v43, v43, v41
	v_or_b32_e32 v41, 0x33800000, v41
	v_min_u32_e32 v45, 32, v45
	s_delay_alu instid0(VALU_DEP_3) | instskip(NEXT) | instid1(VALU_DEP_2)
	v_xor_b32_e32 v43, 1.0, v43
	v_sub_nc_u32_e32 v46, 31, v45
	v_add_lshl_u32 v40, v45, v40, 23
	s_delay_alu instid0(VALU_DEP_3) | instskip(NEXT) | instid1(VALU_DEP_3)
	v_mul_f32_e32 v45, 0x3fc90fda, v43
	v_alignbit_b32 v39, v44, v39, v46
	s_delay_alu instid0(VALU_DEP_3) | instskip(NEXT) | instid1(VALU_DEP_3)
	v_sub_nc_u32_e32 v40, v41, v40
	v_fma_f32 v41, 0x3fc90fda, v43, -v45
	s_delay_alu instid0(VALU_DEP_3) | instskip(NEXT) | instid1(VALU_DEP_2)
	v_lshrrev_b32_e32 v39, 9, v39
	v_fmac_f32_e32 v41, 0x33a22168, v43
	s_delay_alu instid0(VALU_DEP_2) | instskip(NEXT) | instid1(VALU_DEP_1)
	v_or_b32_e32 v39, v40, v39
	v_fmac_f32_e32 v41, 0x3fc90fda, v39
	v_lshrrev_b32_e32 v39, 30, v1
	s_delay_alu instid0(VALU_DEP_2) | instskip(NEXT) | instid1(VALU_DEP_2)
	v_add_f32_e32 v1, v45, v41
	v_add_nc_u32_e32 v39, v42, v39
	s_and_not1_saveexec_b32 s3, s20
	s_cbranch_execz .LBB96_47
.LBB96_52:                              ;   in Loop: Header=BB96_25 Depth=1
	v_mul_f32_e64 v1, 0x3f22f983, |v31|
	s_delay_alu instid0(VALU_DEP_1) | instskip(NEXT) | instid1(VALU_DEP_1)
	v_rndne_f32_e32 v39, v1
	v_fma_f32 v1, 0xbfc90fda, v39, |v31|
	s_delay_alu instid0(VALU_DEP_1) | instskip(NEXT) | instid1(VALU_DEP_1)
	v_fmac_f32_e32 v1, 0xb3a22168, v39
	v_fmac_f32_e32 v1, 0xa7c234c4, v39
	v_cvt_i32_f32_e32 v39, v39
	s_or_b32 exec_lo, exec_lo, s3
	s_and_saveexec_b32 s3, s2
	s_delay_alu instid0(SALU_CYCLE_1)
	s_xor_b32 s3, exec_lo, s3
	s_cbranch_execz .LBB96_48
.LBB96_53:                              ;   in Loop: Header=BB96_25 Depth=1
	v_mul_f32_e32 v40, v28, v28
	s_delay_alu instid0(VALU_DEP_1) | instskip(SKIP_1) | instid1(VALU_DEP_2)
	v_dual_fmaak_f32 v41, s19, v40, 0xbf039337 :: v_dual_and_b32 v30, 1, v30
	v_fmaak_f32 v42, s18, v40, 0x3ec54587
	v_cmp_eq_u32_e64 s2, 0, v30
	s_delay_alu instid0(VALU_DEP_3) | instskip(NEXT) | instid1(VALU_DEP_1)
	v_fmaak_f32 v41, v40, v41, 0x3f93f425
	v_rcp_f32_e32 v41, v41
	s_waitcnt_depctr 0xfff
	v_mul_f32_e32 v41, v42, v41
	s_delay_alu instid0(VALU_DEP_1) | instskip(NEXT) | instid1(VALU_DEP_1)
	v_mul_f32_e32 v40, v40, v41
	v_fma_f32 v41, v40, v28, v28
	s_delay_alu instid0(VALU_DEP_1) | instskip(SKIP_1) | instid1(VALU_DEP_1)
	v_sub_f32_e32 v43, v41, v28
	v_rcp_f32_e32 v42, v41
	v_fma_f32 v28, v40, v28, -v43
	s_waitcnt_depctr 0xfff
	v_fma_f32 v40, v41, -v42, 1.0
	s_delay_alu instid0(VALU_DEP_1) | instskip(NEXT) | instid1(VALU_DEP_1)
	v_fma_f32 v28, v28, -v42, v40
	v_fma_f32 v28, v28, -v42, -v42
	s_delay_alu instid0(VALU_DEP_1) | instskip(SKIP_1) | instid1(VALU_DEP_2)
	v_cndmask_b32_e64 v28, v28, v41, s2
	v_cmp_class_f32_e64 s2, v25, 0x1f8
	v_xor3_b32 v26, v26, v25, v28
	s_delay_alu instid0(VALU_DEP_1) | instskip(NEXT) | instid1(VALU_DEP_1)
	v_cndmask_b32_e64 v25, 0x7fc00000, v26, s2
	v_cvt_f16_f32_e32 v28, v25
	v_add_co_u32 v25, s2, v5, s8
	s_delay_alu instid0(VALU_DEP_1)
	v_add_co_ci_u32_e64 v26, s2, s9, v6, s2
	global_store_b16 v[25:26], v28, off
	s_or_b32 exec_lo, exec_lo, s3
	s_and_saveexec_b32 s2, s1
	s_cbranch_execz .LBB96_49
.LBB96_54:                              ;   in Loop: Header=BB96_25 Depth=1
	v_mul_f32_e32 v25, v34, v34
	s_delay_alu instid0(VALU_DEP_1) | instskip(SKIP_1) | instid1(VALU_DEP_2)
	v_fmaak_f32 v26, s19, v25, 0xbf039337
	v_fmaak_f32 v28, s18, v25, 0x3ec54587
	;; [unrolled: 1-line block ×3, first 2 shown]
	s_delay_alu instid0(VALU_DEP_1) | instskip(SKIP_2) | instid1(VALU_DEP_1)
	v_rcp_f32_e32 v26, v26
	s_waitcnt_depctr 0xfff
	v_mul_f32_e32 v26, v28, v26
	v_mul_f32_e32 v25, v25, v26
	s_delay_alu instid0(VALU_DEP_1) | instskip(NEXT) | instid1(VALU_DEP_1)
	v_fma_f32 v26, v25, v34, v34
	v_rcp_f32_e32 v28, v26
	v_sub_f32_e32 v30, v26, v34
	s_delay_alu instid0(VALU_DEP_1) | instskip(SKIP_2) | instid1(VALU_DEP_1)
	v_fma_f32 v25, v25, v34, -v30
	s_waitcnt_depctr 0xfff
	v_fma_f32 v30, v26, -v28, 1.0
	v_fma_f32 v25, v25, -v28, v30
	v_and_b32_e32 v30, 1, v35
	s_delay_alu instid0(VALU_DEP_2) | instskip(NEXT) | instid1(VALU_DEP_2)
	v_fma_f32 v25, v25, -v28, -v28
	v_cmp_eq_u32_e64 s1, 0, v30
	s_delay_alu instid0(VALU_DEP_1) | instskip(SKIP_1) | instid1(VALU_DEP_2)
	v_cndmask_b32_e64 v25, v25, v26, s1
	v_cmp_class_f32_e64 s1, v27, 0x1f8
	v_xor3_b32 v25, v29, v27, v25
	s_delay_alu instid0(VALU_DEP_1) | instskip(NEXT) | instid1(VALU_DEP_1)
	v_cndmask_b32_e64 v25, 0x7fc00000, v25, s1
	v_cvt_f16_f32_e32 v27, v25
	v_add_co_u32 v25, s1, v23, s8
	s_delay_alu instid0(VALU_DEP_1)
	v_add_co_ci_u32_e64 v26, s1, s9, v24, s1
	global_store_b16 v[25:26], v27, off
	s_or_b32 exec_lo, exec_lo, s2
	s_and_saveexec_b32 s1, s0
	s_cbranch_execz .LBB96_50
.LBB96_55:                              ;   in Loop: Header=BB96_25 Depth=1
	v_mul_f32_e32 v25, v37, v37
	s_delay_alu instid0(VALU_DEP_1) | instskip(SKIP_1) | instid1(VALU_DEP_2)
	v_fmaak_f32 v26, s19, v25, 0xbf039337
	v_fmaak_f32 v27, s18, v25, 0x3ec54587
	;; [unrolled: 1-line block ×3, first 2 shown]
	s_delay_alu instid0(VALU_DEP_1) | instskip(SKIP_2) | instid1(VALU_DEP_1)
	v_rcp_f32_e32 v26, v26
	s_waitcnt_depctr 0xfff
	v_mul_f32_e32 v26, v27, v26
	v_mul_f32_e32 v25, v25, v26
	s_delay_alu instid0(VALU_DEP_1) | instskip(NEXT) | instid1(VALU_DEP_1)
	v_fma_f32 v26, v25, v37, v37
	v_sub_f32_e32 v28, v26, v37
	v_rcp_f32_e32 v27, v26
	s_delay_alu instid0(VALU_DEP_1) | instskip(SKIP_2) | instid1(VALU_DEP_1)
	v_fma_f32 v25, v25, v37, -v28
	s_waitcnt_depctr 0xfff
	v_fma_f32 v28, v26, -v27, 1.0
	v_fma_f32 v25, v25, -v27, v28
	v_and_b32_e32 v28, 1, v38
	s_delay_alu instid0(VALU_DEP_2) | instskip(NEXT) | instid1(VALU_DEP_2)
	v_fma_f32 v25, v25, -v27, -v27
	v_cmp_eq_u32_e64 s0, 0, v28
	s_delay_alu instid0(VALU_DEP_1) | instskip(SKIP_1) | instid1(VALU_DEP_2)
	v_cndmask_b32_e64 v25, v25, v26, s0
	v_cmp_class_f32_e64 s0, v32, 0x1f8
	v_xor3_b32 v25, v33, v32, v25
	s_delay_alu instid0(VALU_DEP_1) | instskip(NEXT) | instid1(VALU_DEP_1)
	v_cndmask_b32_e64 v25, 0x7fc00000, v25, s0
	v_cvt_f16_f32_e32 v27, v25
	v_add_co_u32 v25, s0, v16, s8
	s_delay_alu instid0(VALU_DEP_1)
	v_add_co_ci_u32_e64 v26, s0, s9, v17, s0
	global_store_b16 v[25:26], v27, off
	s_or_b32 exec_lo, exec_lo, s1
	s_and_saveexec_b32 s0, vcc_lo
	s_cbranch_execz .LBB96_24
.LBB96_56:                              ;   in Loop: Header=BB96_25 Depth=1
	v_mul_f32_e32 v25, v1, v1
	s_delay_alu instid0(VALU_DEP_1) | instskip(SKIP_1) | instid1(VALU_DEP_2)
	v_fmaak_f32 v26, s19, v25, 0xbf039337
	v_fmaak_f32 v27, s18, v25, 0x3ec54587
	;; [unrolled: 1-line block ×3, first 2 shown]
	s_delay_alu instid0(VALU_DEP_1) | instskip(SKIP_2) | instid1(VALU_DEP_1)
	v_rcp_f32_e32 v26, v26
	s_waitcnt_depctr 0xfff
	v_mul_f32_e32 v26, v27, v26
	v_mul_f32_e32 v25, v25, v26
	s_delay_alu instid0(VALU_DEP_1) | instskip(NEXT) | instid1(VALU_DEP_1)
	v_fma_f32 v26, v25, v1, v1
	v_sub_f32_e32 v28, v26, v1
	v_rcp_f32_e32 v27, v26
	s_delay_alu instid0(VALU_DEP_1) | instskip(SKIP_2) | instid1(VALU_DEP_1)
	v_fma_f32 v1, v25, v1, -v28
	s_waitcnt_depctr 0xfff
	v_fma_f32 v25, v26, -v27, 1.0
	v_fma_f32 v1, v1, -v27, v25
	v_and_b32_e32 v25, 1, v39
	s_delay_alu instid0(VALU_DEP_2) | instskip(NEXT) | instid1(VALU_DEP_2)
	v_fma_f32 v1, v1, -v27, -v27
	v_cmp_eq_u32_e32 vcc_lo, 0, v25
	s_delay_alu instid0(VALU_DEP_2) | instskip(SKIP_1) | instid1(VALU_DEP_2)
	v_cndmask_b32_e32 v1, v1, v26, vcc_lo
	v_cmp_class_f32_e64 vcc_lo, v31, 0x1f8
	v_xor3_b32 v1, v36, v31, v1
	s_delay_alu instid0(VALU_DEP_1) | instskip(SKIP_2) | instid1(VALU_DEP_3)
	v_cndmask_b32_e32 v1, 0x7fc00000, v1, vcc_lo
	v_add_co_u32 v25, vcc_lo, v9, s8
	v_add_co_ci_u32_e32 v26, vcc_lo, s9, v10, vcc_lo
	v_cvt_f16_f32_e32 v1, v1
	global_store_b16 v[25:26], v1, off
	s_branch .LBB96_24
.LBB96_57:
	s_nop 0
	s_sendmsg sendmsg(MSG_DEALLOC_VGPRS)
	s_endpgm
	.section	.rodata,"a",@progbits
	.p2align	6, 0x0
	.amdhsa_kernel _ZN2at6native12_GLOBAL__N_125multi_tensor_apply_kernelINS1_18TensorListMetadataILi2EEENS1_14UnaryOpFunctorIN3c104HalfELi2ELi1ELi1EEEJNS0_3TanIfEEEEEvT_T0_DpT1_
		.amdhsa_group_segment_fixed_size 0
		.amdhsa_private_segment_fixed_size 0
		.amdhsa_kernarg_size 3408
		.amdhsa_user_sgpr_count 15
		.amdhsa_user_sgpr_dispatch_ptr 0
		.amdhsa_user_sgpr_queue_ptr 0
		.amdhsa_user_sgpr_kernarg_segment_ptr 1
		.amdhsa_user_sgpr_dispatch_id 0
		.amdhsa_user_sgpr_private_segment_size 0
		.amdhsa_wavefront_size32 1
		.amdhsa_uses_dynamic_stack 0
		.amdhsa_enable_private_segment 0
		.amdhsa_system_sgpr_workgroup_id_x 1
		.amdhsa_system_sgpr_workgroup_id_y 0
		.amdhsa_system_sgpr_workgroup_id_z 0
		.amdhsa_system_sgpr_workgroup_info 0
		.amdhsa_system_vgpr_workitem_id 0
		.amdhsa_next_free_vgpr 49
		.amdhsa_next_free_sgpr 25
		.amdhsa_reserve_vcc 1
		.amdhsa_float_round_mode_32 0
		.amdhsa_float_round_mode_16_64 0
		.amdhsa_float_denorm_mode_32 3
		.amdhsa_float_denorm_mode_16_64 3
		.amdhsa_dx10_clamp 1
		.amdhsa_ieee_mode 1
		.amdhsa_fp16_overflow 0
		.amdhsa_workgroup_processor_mode 1
		.amdhsa_memory_ordered 1
		.amdhsa_forward_progress 0
		.amdhsa_shared_vgpr_count 0
		.amdhsa_exception_fp_ieee_invalid_op 0
		.amdhsa_exception_fp_denorm_src 0
		.amdhsa_exception_fp_ieee_div_zero 0
		.amdhsa_exception_fp_ieee_overflow 0
		.amdhsa_exception_fp_ieee_underflow 0
		.amdhsa_exception_fp_ieee_inexact 0
		.amdhsa_exception_int_div_zero 0
	.end_amdhsa_kernel
	.section	.text._ZN2at6native12_GLOBAL__N_125multi_tensor_apply_kernelINS1_18TensorListMetadataILi2EEENS1_14UnaryOpFunctorIN3c104HalfELi2ELi1ELi1EEEJNS0_3TanIfEEEEEvT_T0_DpT1_,"axG",@progbits,_ZN2at6native12_GLOBAL__N_125multi_tensor_apply_kernelINS1_18TensorListMetadataILi2EEENS1_14UnaryOpFunctorIN3c104HalfELi2ELi1ELi1EEEJNS0_3TanIfEEEEEvT_T0_DpT1_,comdat
.Lfunc_end96:
	.size	_ZN2at6native12_GLOBAL__N_125multi_tensor_apply_kernelINS1_18TensorListMetadataILi2EEENS1_14UnaryOpFunctorIN3c104HalfELi2ELi1ELi1EEEJNS0_3TanIfEEEEEvT_T0_DpT1_, .Lfunc_end96-_ZN2at6native12_GLOBAL__N_125multi_tensor_apply_kernelINS1_18TensorListMetadataILi2EEENS1_14UnaryOpFunctorIN3c104HalfELi2ELi1ELi1EEEJNS0_3TanIfEEEEEvT_T0_DpT1_
                                        ; -- End function
	.section	.AMDGPU.csdata,"",@progbits
; Kernel info:
; codeLenInByte = 9268
; NumSgprs: 27
; NumVgprs: 49
; ScratchSize: 0
; MemoryBound: 0
; FloatMode: 240
; IeeeMode: 1
; LDSByteSize: 0 bytes/workgroup (compile time only)
; SGPRBlocks: 3
; VGPRBlocks: 6
; NumSGPRsForWavesPerEU: 27
; NumVGPRsForWavesPerEU: 49
; Occupancy: 16
; WaveLimiterHint : 0
; COMPUTE_PGM_RSRC2:SCRATCH_EN: 0
; COMPUTE_PGM_RSRC2:USER_SGPR: 15
; COMPUTE_PGM_RSRC2:TRAP_HANDLER: 0
; COMPUTE_PGM_RSRC2:TGID_X_EN: 1
; COMPUTE_PGM_RSRC2:TGID_Y_EN: 0
; COMPUTE_PGM_RSRC2:TGID_Z_EN: 0
; COMPUTE_PGM_RSRC2:TIDIG_COMP_CNT: 0
	.section	.text._ZN2at6native12_GLOBAL__N_125multi_tensor_apply_kernelINS1_18TensorListMetadataILi2EEENS1_14UnaryOpFunctorIN3c108BFloat16ELi2ELi1ELi1EEEJNS0_3TanIfEEEEEvT_T0_DpT1_,"axG",@progbits,_ZN2at6native12_GLOBAL__N_125multi_tensor_apply_kernelINS1_18TensorListMetadataILi2EEENS1_14UnaryOpFunctorIN3c108BFloat16ELi2ELi1ELi1EEEJNS0_3TanIfEEEEEvT_T0_DpT1_,comdat
	.globl	_ZN2at6native12_GLOBAL__N_125multi_tensor_apply_kernelINS1_18TensorListMetadataILi2EEENS1_14UnaryOpFunctorIN3c108BFloat16ELi2ELi1ELi1EEEJNS0_3TanIfEEEEEvT_T0_DpT1_ ; -- Begin function _ZN2at6native12_GLOBAL__N_125multi_tensor_apply_kernelINS1_18TensorListMetadataILi2EEENS1_14UnaryOpFunctorIN3c108BFloat16ELi2ELi1ELi1EEEJNS0_3TanIfEEEEEvT_T0_DpT1_
	.p2align	8
	.type	_ZN2at6native12_GLOBAL__N_125multi_tensor_apply_kernelINS1_18TensorListMetadataILi2EEENS1_14UnaryOpFunctorIN3c108BFloat16ELi2ELi1ELi1EEEJNS0_3TanIfEEEEEvT_T0_DpT1_,@function
_ZN2at6native12_GLOBAL__N_125multi_tensor_apply_kernelINS1_18TensorListMetadataILi2EEENS1_14UnaryOpFunctorIN3c108BFloat16ELi2ELi1ELi1EEEJNS0_3TanIfEEEEEvT_T0_DpT1_: ; @_ZN2at6native12_GLOBAL__N_125multi_tensor_apply_kernelINS1_18TensorListMetadataILi2EEENS1_14UnaryOpFunctorIN3c108BFloat16ELi2ELi1ELi1EEEJNS0_3TanIfEEEEEvT_T0_DpT1_
; %bb.0:
	v_mov_b32_e32 v1, s15
	s_add_u32 s2, s0, s15
	s_mul_hi_u32 s3, s15, 3
	s_mul_i32 s15, s15, 3
	s_addc_u32 s4, s1, 0
	global_load_u8 v1, v1, s[0:1] offset:1536
	s_add_u32 s2, s2, s15
	s_addc_u32 s3, s4, s3
	s_mov_b32 s11, 0
	s_load_b32 s2, s[2:3], 0x740
	s_mov_b32 s17, s11
	s_mov_b32 s15, s11
	s_waitcnt vmcnt(0)
	v_readfirstlane_b32 s5, v1
	s_delay_alu instid0(VALU_DEP_1)
	s_lshl_b32 s3, s5, 3
	s_clause 0x2
	s_load_b64 s[6:7], s[0:1], s3 offset:0x0
	s_load_b64 s[12:13], s[0:1], s3 offset:0x200
	;; [unrolled: 1-line block ×3, first 2 shown]
	s_waitcnt lgkmcnt(0)
	s_ashr_i32 s3, s2, 31
	s_delay_alu instid0(SALU_CYCLE_1) | instskip(SKIP_4) | instid1(SALU_CYCLE_1)
	s_lshl_b64 s[8:9], s[2:3], 17
	s_lshl_b64 s[2:3], s[2:3], 16
	s_and_b32 s10, s6, 7
	s_and_b32 s14, s12, 7
	;; [unrolled: 1-line block ×3, first 2 shown]
	s_or_b64 s[10:11], s[10:11], s[16:17]
	s_delay_alu instid0(SALU_CYCLE_1)
	s_or_b64 s[14:15], s[14:15], s[10:11]
	s_sub_u32 s10, s4, s2
	s_subb_u32 s11, s5, s3
	s_cmp_eq_u64 s[14:15], 0
	s_mov_b32 s2, -1
	s_cbranch_scc0 .LBB97_21
; %bb.1:
	v_dual_mov_b32 v2, 0 :: v_dual_lshlrev_b32 v1, 2, v0
	s_mov_b32 s5, exec_lo
	s_delay_alu instid0(VALU_DEP_1)
	v_cmpx_gt_i64_e64 s[10:11], v[1:2]
	s_cbranch_execz .LBB97_20
; %bb.2:
	s_load_b32 s2, s[0:1], 0xc5c
	v_lshlrev_b32_e32 v3, 3, v0
	s_mov_b32 s14, 0
	s_mov_b32 s17, 0x7fffff
	;; [unrolled: 1-line block ×4, first 2 shown]
	v_add_co_u32 v7, s3, s8, v3
	s_delay_alu instid0(VALU_DEP_1) | instskip(SKIP_2) | instid1(SALU_CYCLE_1)
	v_add_co_ci_u32_e64 v8, null, s9, 0, s3
	s_waitcnt lgkmcnt(0)
	s_and_b32 s2, s2, 0xffff
	v_add_lshl_u32 v1, v0, s2, 2
	v_mov_b32_e32 v4, v2
	s_lshl_b32 s15, s2, 3
	s_lshl_b32 s16, s2, 2
	s_delay_alu instid0(VALU_DEP_2)
	v_mov_b32_e32 v3, v1
	s_branch .LBB97_4
.LBB97_3:                               ;   in Loop: Header=BB97_4 Depth=1
	s_or_b32 exec_lo, exec_lo, s2
	v_dual_mul_f32 v22, v18, v18 :: v_dual_mul_f32 v23, v15, v15
	v_dual_mul_f32 v24, v12, v12 :: v_dual_mul_f32 v25, v21, v21
	v_cmp_lt_u64_e64 s2, 0xffff, v[3:4]
	s_delay_alu instid0(VALU_DEP_3) | instskip(NEXT) | instid1(VALU_DEP_3)
	v_dual_fmaak_f32 v26, s19, v22, 0xbf039337 :: v_dual_fmaak_f32 v27, s19, v23, 0xbf039337
	v_dual_fmaak_f32 v28, s19, v24, 0xbf039337 :: v_dual_fmaak_f32 v29, s19, v25, 0xbf039337
	;; [unrolled: 1-line block ×3, first 2 shown]
	s_delay_alu instid0(VALU_DEP_3) | instskip(NEXT) | instid1(VALU_DEP_3)
	v_dual_fmaak_f32 v26, v22, v26, 0x3f93f425 :: v_dual_fmaak_f32 v27, v23, v27, 0x3f93f425
	v_dual_fmaak_f32 v28, v24, v28, 0x3f93f425 :: v_dual_fmaak_f32 v29, v25, v29, 0x3f93f425
	;; [unrolled: 1-line block ×3, first 2 shown]
	s_delay_alu instid0(VALU_DEP_3) | instskip(NEXT) | instid1(VALU_DEP_2)
	v_rcp_f32_e32 v26, v26
	v_rcp_f32_e32 v28, v28
	s_delay_alu instid0(VALU_DEP_2)
	v_rcp_f32_e32 v29, v29
	v_rcp_f32_e32 v27, v27
	v_and_b32_e32 v11, 1, v11
	v_dual_mul_f32 v26, v30, v26 :: v_dual_and_b32 v1, 1, v1
	s_waitcnt_depctr 0xfff
	v_dual_mul_f32 v28, v32, v28 :: v_dual_mul_f32 v29, v33, v29
	v_dual_mul_f32 v27, v31, v27 :: v_dual_mul_f32 v22, v22, v26
	s_delay_alu instid0(VALU_DEP_2) | instskip(NEXT) | instid1(VALU_DEP_2)
	v_dual_mul_f32 v24, v24, v28 :: v_dual_mul_f32 v25, v25, v29
	v_mul_f32_e32 v23, v23, v27
	s_delay_alu instid0(VALU_DEP_3) | instskip(NEXT) | instid1(VALU_DEP_3)
	v_fma_f32 v26, v22, v18, v18
	v_fma_f32 v28, v24, v12, v12
	s_delay_alu instid0(VALU_DEP_4) | instskip(NEXT) | instid1(VALU_DEP_4)
	v_fma_f32 v29, v25, v21, v21
	v_fma_f32 v27, v23, v15, v15
	v_and_b32_e32 v20, 1, v20
	v_rcp_f32_e32 v31, v26
	v_sub_f32_e32 v30, v26, v18
	v_rcp_f32_e32 v36, v29
	v_rcp_f32_e32 v33, v27
	v_dual_sub_f32 v37, v29, v21 :: v_dual_sub_f32 v32, v27, v15
	s_delay_alu instid0(VALU_DEP_2) | instskip(SKIP_2) | instid1(VALU_DEP_3)
	v_fma_f32 v18, v22, v18, -v30
	v_rcp_f32_e32 v35, v28
	v_cmp_eq_u32_e32 vcc_lo, 0, v20
	v_fma_f32 v21, v25, v21, -v37
	v_fma_f32 v22, v26, -v31, 1.0
	v_fma_f32 v15, v23, v15, -v32
	s_delay_alu instid0(TRANS32_DEP_3) | instskip(NEXT) | instid1(TRANS32_DEP_2)
	v_fma_f32 v25, v29, -v36, 1.0
	v_fma_f32 v23, v27, -v33, 1.0
	s_delay_alu instid0(VALU_DEP_4) | instskip(NEXT) | instid1(VALU_DEP_3)
	v_fma_f32 v18, v18, -v31, v22
	v_fma_f32 v21, v21, -v36, v25
	s_delay_alu instid0(VALU_DEP_3) | instskip(NEXT) | instid1(VALU_DEP_3)
	v_fma_f32 v15, v15, -v33, v23
	v_fma_f32 v18, v18, -v31, -v31
	s_delay_alu instid0(VALU_DEP_3) | instskip(SKIP_1) | instid1(VALU_DEP_4)
	v_fma_f32 v21, v21, -v36, -v36
	v_and_b32_e32 v16, 1, v16
	v_fma_f32 v15, v15, -v33, -v33
	s_delay_alu instid0(VALU_DEP_4) | instskip(NEXT) | instid1(VALU_DEP_3)
	v_cndmask_b32_e32 v18, v18, v26, vcc_lo
	v_cmp_eq_u32_e32 vcc_lo, 0, v16
	s_delay_alu instid0(VALU_DEP_3) | instskip(NEXT) | instid1(VALU_DEP_1)
	v_dual_sub_f32 v34, v28, v12 :: v_dual_cndmask_b32 v15, v15, v27
	v_fma_f32 v12, v24, v12, -v34
	v_fma_f32 v24, v28, -v35, 1.0
	v_cmp_eq_u32_e32 vcc_lo, 0, v11
	s_delay_alu instid0(VALU_DEP_4) | instskip(NEXT) | instid1(VALU_DEP_3)
	v_xor3_b32 v14, v14, v15, v13
	v_fma_f32 v12, v12, -v35, v24
	s_delay_alu instid0(VALU_DEP_1) | instskip(NEXT) | instid1(VALU_DEP_1)
	v_fma_f32 v12, v12, -v35, -v35
	v_cndmask_b32_e32 v11, v12, v28, vcc_lo
	v_cmp_eq_u32_e32 vcc_lo, 0, v1
	v_xor3_b32 v12, v17, v18, v5
	s_delay_alu instid0(VALU_DEP_3) | instskip(SKIP_2) | instid1(VALU_DEP_2)
	v_xor3_b32 v10, v10, v11, v9
	v_cndmask_b32_e32 v1, v21, v29, vcc_lo
	v_cmp_class_f32_e64 vcc_lo, v5, 0x1f8
	v_xor3_b32 v1, v19, v1, v6
	v_cndmask_b32_e32 v5, 0x7fc00000, v12, vcc_lo
	v_cmp_class_f32_e64 vcc_lo, v13, 0x1f8
	v_cndmask_b32_e32 v11, 0x7fc00000, v14, vcc_lo
	v_cmp_class_f32_e64 vcc_lo, v9, 0x1f8
	;; [unrolled: 2-line block ×3, first 2 shown]
	s_delay_alu instid0(VALU_DEP_4) | instskip(SKIP_1) | instid1(VALU_DEP_4)
	v_bfe_u32 v6, v11, 16, 1
	v_bfe_u32 v10, v5, 16, 1
	;; [unrolled: 1-line block ×3, first 2 shown]
	v_cndmask_b32_e32 v1, 0x7fc00000, v1, vcc_lo
	s_delay_alu instid0(VALU_DEP_4)
	v_add3_u32 v6, v11, v6, 0x7fff
	v_cmp_o_f32_e32 vcc_lo, v11, v11
	v_add3_u32 v10, v5, v10, 0x7fff
	v_add3_u32 v12, v9, v12, 0x7fff
	v_bfe_u32 v13, v1, 16, 1
	v_and_b32_e32 v6, 0xffff0000, v6
	s_delay_alu instid0(VALU_DEP_4) | instskip(NEXT) | instid1(VALU_DEP_4)
	v_lshrrev_b32_e32 v10, 16, v10
	v_lshrrev_b32_e32 v12, 16, v12
	s_delay_alu instid0(VALU_DEP_4) | instskip(NEXT) | instid1(VALU_DEP_4)
	v_add3_u32 v13, v1, v13, 0x7fff
	v_cndmask_b32_e32 v6, 0x7fc00000, v6, vcc_lo
	v_cmp_o_f32_e32 vcc_lo, v9, v9
	s_delay_alu instid0(VALU_DEP_3) | instskip(SKIP_2) | instid1(VALU_DEP_2)
	v_and_b32_e32 v13, 0xffff0000, v13
	v_cndmask_b32_e32 v9, 0x7fc0, v12, vcc_lo
	v_cmp_o_f32_e32 vcc_lo, v1, v1
	v_or_b32_e32 v9, v6, v9
	s_delay_alu instid0(VALU_DEP_4) | instskip(SKIP_2) | instid1(VALU_DEP_1)
	v_cndmask_b32_e32 v1, 0x7fc00000, v13, vcc_lo
	v_cmp_o_f32_e32 vcc_lo, v5, v5
	v_add_co_u32 v5, s3, s12, v7
	v_add_co_ci_u32_e64 v6, s3, s13, v8, s3
	v_cndmask_b32_e32 v10, 0x7fc0, v10, vcc_lo
	v_cmp_le_i64_e32 vcc_lo, s[10:11], v[3:4]
	v_or3_b32 v9, v9, 0, 0
	s_delay_alu instid0(VALU_DEP_3)
	v_or3_b32 v10, 0, v10, v1
	s_or_b32 s2, vcc_lo, s2
	v_add_co_u32 v7, vcc_lo, v7, s15
	v_add_co_ci_u32_e32 v8, vcc_lo, 0, v8, vcc_lo
	v_add_co_u32 v3, vcc_lo, v3, s16
	v_add_co_ci_u32_e32 v4, vcc_lo, 0, v4, vcc_lo
	s_and_b32 s2, exec_lo, s2
	global_store_b64 v[5:6], v[9:10], off
	s_or_b32 s14, s2, s14
	s_delay_alu instid0(SALU_CYCLE_1)
	s_and_not1_b32 exec_lo, exec_lo, s14
	s_cbranch_execz .LBB97_20
.LBB97_4:                               ; =>This Inner Loop Header: Depth=1
	v_add_co_u32 v5, vcc_lo, s6, v7
	v_add_co_ci_u32_e32 v6, vcc_lo, s7, v8, vcc_lo
                                        ; implicit-def: $vgpr11
                                        ; implicit-def: $vgpr12
	s_mov_b32 s3, exec_lo
	global_load_b64 v[5:6], v[5:6], off
	s_waitcnt vmcnt(0)
	v_lshlrev_b32_e32 v9, 16, v5
	s_delay_alu instid0(VALU_DEP_1)
	v_and_b32_e32 v10, 0x7fffffff, v9
	v_cmpx_ngt_f32_e64 0x48000000, |v9|
	s_xor_b32 s20, exec_lo, s3
	s_cbranch_execz .LBB97_6
; %bb.5:                                ;   in Loop: Header=BB97_4 Depth=1
	s_delay_alu instid0(VALU_DEP_2) | instskip(SKIP_1) | instid1(VALU_DEP_2)
	v_lshrrev_b32_e32 v16, 23, v10
	v_and_or_b32 v19, v10, s17, 0x800000
	v_add_nc_u32_e32 v17, 0xffffff88, v16
	s_delay_alu instid0(VALU_DEP_2) | instskip(NEXT) | instid1(VALU_DEP_2)
	v_mad_u64_u32 v[11:12], null, 0xfe5163ab, v19, 0
	v_cmp_lt_u32_e32 vcc_lo, 63, v17
	v_cndmask_b32_e64 v18, 0, 0xffffffc0, vcc_lo
	s_delay_alu instid0(VALU_DEP_1) | instskip(NEXT) | instid1(VALU_DEP_1)
	v_dual_mov_b32 v1, v12 :: v_dual_add_nc_u32 v18, v18, v17
	v_mad_u64_u32 v[12:13], null, 0x3c439041, v19, v[1:2]
	s_delay_alu instid0(VALU_DEP_2) | instskip(NEXT) | instid1(VALU_DEP_1)
	v_cmp_lt_u32_e64 s2, 31, v18
	v_cndmask_b32_e64 v20, 0, 0xffffffe0, s2
	s_delay_alu instid0(VALU_DEP_1) | instskip(NEXT) | instid1(VALU_DEP_1)
	v_dual_mov_b32 v1, v13 :: v_dual_add_nc_u32 v20, v20, v18
	v_mad_u64_u32 v[13:14], null, 0xdb629599, v19, v[1:2]
	s_delay_alu instid0(VALU_DEP_2) | instskip(NEXT) | instid1(VALU_DEP_2)
	v_cmp_lt_u32_e64 s3, 31, v20
	v_mov_b32_e32 v1, v14
	s_delay_alu instid0(VALU_DEP_3) | instskip(NEXT) | instid1(VALU_DEP_2)
	v_cndmask_b32_e32 v11, v13, v11, vcc_lo
	v_mad_u64_u32 v[14:15], null, 0xf534ddc0, v19, v[1:2]
	s_delay_alu instid0(VALU_DEP_1) | instskip(NEXT) | instid1(VALU_DEP_1)
	v_dual_mov_b32 v1, v15 :: v_dual_cndmask_b32 v12, v14, v12
	v_mad_u64_u32 v[15:16], null, 0xfc2757d1, v19, v[1:2]
	s_delay_alu instid0(VALU_DEP_2) | instskip(NEXT) | instid1(VALU_DEP_2)
	v_cndmask_b32_e64 v11, v12, v11, s2
	v_mov_b32_e32 v1, v16
	s_delay_alu instid0(VALU_DEP_1) | instskip(NEXT) | instid1(VALU_DEP_1)
	v_mad_u64_u32 v[16:17], null, 0x4e441529, v19, v[1:2]
	v_mov_b32_e32 v1, v17
	s_delay_alu instid0(VALU_DEP_1) | instskip(SKIP_1) | instid1(VALU_DEP_4)
	v_mad_u64_u32 v[17:18], null, 0xa2f9836e, v19, v[1:2]
	v_cndmask_b32_e64 v1, 0, 0xffffffe0, s3
	v_cndmask_b32_e32 v19, v16, v14, vcc_lo
	s_delay_alu instid0(VALU_DEP_2) | instskip(NEXT) | instid1(VALU_DEP_4)
	v_add_nc_u32_e32 v1, v1, v20
	v_dual_cndmask_b32 v17, v17, v15 :: v_dual_cndmask_b32 v16, v18, v16
	v_cndmask_b32_e32 v15, v15, v13, vcc_lo
	s_delay_alu instid0(VALU_DEP_3) | instskip(NEXT) | instid1(VALU_DEP_3)
	v_sub_nc_u32_e32 v18, 32, v1
	v_cndmask_b32_e64 v14, v17, v19, s2
	s_delay_alu instid0(VALU_DEP_4) | instskip(NEXT) | instid1(VALU_DEP_4)
	v_cndmask_b32_e64 v16, v16, v17, s2
	v_cndmask_b32_e64 v17, v19, v15, s2
	;; [unrolled: 1-line block ×3, first 2 shown]
	v_cmp_eq_u32_e64 s4, 0, v1
	s_delay_alu instid0(VALU_DEP_4) | instskip(NEXT) | instid1(VALU_DEP_4)
	v_cndmask_b32_e64 v16, v16, v14, s3
	v_cndmask_b32_e64 v14, v14, v17, s3
	s_delay_alu instid0(VALU_DEP_4) | instskip(SKIP_1) | instid1(VALU_DEP_3)
	v_cndmask_b32_e64 v17, v17, v15, s3
	v_cndmask_b32_e64 v11, v15, v11, s3
	v_alignbit_b32 v19, v16, v14, v18
	s_delay_alu instid0(VALU_DEP_3) | instskip(NEXT) | instid1(VALU_DEP_3)
	v_alignbit_b32 v20, v14, v17, v18
	v_alignbit_b32 v18, v17, v11, v18
	s_delay_alu instid0(VALU_DEP_3) | instskip(NEXT) | instid1(VALU_DEP_3)
	v_cndmask_b32_e64 v1, v19, v16, s4
	v_cndmask_b32_e64 v13, v20, v14, s4
	s_delay_alu instid0(VALU_DEP_3) | instskip(NEXT) | instid1(VALU_DEP_3)
	v_cndmask_b32_e64 v17, v18, v17, s4
	v_bfe_u32 v14, v1, 29, 1
	s_delay_alu instid0(VALU_DEP_3) | instskip(NEXT) | instid1(VALU_DEP_3)
	v_alignbit_b32 v12, v1, v13, 30
	v_alignbit_b32 v13, v13, v17, 30
	;; [unrolled: 1-line block ×3, first 2 shown]
	s_delay_alu instid0(VALU_DEP_4) | instskip(NEXT) | instid1(VALU_DEP_1)
	v_sub_nc_u32_e32 v16, 0, v14
	v_xor_b32_e32 v15, v12, v16
	v_cmp_ne_u32_e32 vcc_lo, v12, v16
	v_xor_b32_e32 v13, v13, v16
	v_xor_b32_e32 v11, v11, v16
	s_delay_alu instid0(VALU_DEP_4) | instskip(NEXT) | instid1(VALU_DEP_1)
	v_clz_i32_u32_e32 v19, v15
	v_add_nc_u32_e32 v18, 1, v19
	s_delay_alu instid0(VALU_DEP_1) | instskip(NEXT) | instid1(VALU_DEP_1)
	v_cndmask_b32_e32 v12, 33, v18, vcc_lo
	v_sub_nc_u32_e32 v17, 32, v12
	s_delay_alu instid0(VALU_DEP_1) | instskip(SKIP_3) | instid1(VALU_DEP_3)
	v_alignbit_b32 v15, v15, v13, v17
	v_alignbit_b32 v11, v13, v11, v17
	v_lshrrev_b32_e32 v13, 29, v1
	v_lshrrev_b32_e32 v1, 30, v1
	v_alignbit_b32 v16, v15, v11, 9
	s_delay_alu instid0(VALU_DEP_3) | instskip(SKIP_1) | instid1(VALU_DEP_3)
	v_lshlrev_b32_e32 v13, 31, v13
	v_alignbit_b32 v15, v12, v15, 9
	v_clz_i32_u32_e32 v17, v16
	s_delay_alu instid0(VALU_DEP_2) | instskip(SKIP_1) | instid1(VALU_DEP_3)
	v_or_b32_e32 v15, v15, v13
	v_or_b32_e32 v13, 0x33800000, v13
	v_min_u32_e32 v17, 32, v17
	s_delay_alu instid0(VALU_DEP_3) | instskip(NEXT) | instid1(VALU_DEP_2)
	v_xor_b32_e32 v15, 1.0, v15
	v_sub_nc_u32_e32 v18, 31, v17
	v_add_lshl_u32 v12, v17, v12, 23
	s_delay_alu instid0(VALU_DEP_3) | instskip(NEXT) | instid1(VALU_DEP_3)
	v_mul_f32_e32 v17, 0x3fc90fda, v15
	v_alignbit_b32 v11, v16, v11, v18
	s_delay_alu instid0(VALU_DEP_3) | instskip(NEXT) | instid1(VALU_DEP_3)
	v_sub_nc_u32_e32 v12, v13, v12
	v_fma_f32 v13, 0x3fc90fda, v15, -v17
	s_delay_alu instid0(VALU_DEP_3) | instskip(NEXT) | instid1(VALU_DEP_2)
	v_lshrrev_b32_e32 v11, 9, v11
	v_fmac_f32_e32 v13, 0x33a22168, v15
	s_delay_alu instid0(VALU_DEP_2) | instskip(NEXT) | instid1(VALU_DEP_1)
	v_or_b32_e32 v11, v12, v11
	v_fmac_f32_e32 v13, 0x3fc90fda, v11
	v_add_nc_u32_e32 v11, v14, v1
	s_delay_alu instid0(VALU_DEP_2)
	v_add_f32_e32 v12, v17, v13
.LBB97_6:                               ;   in Loop: Header=BB97_4 Depth=1
	s_and_not1_saveexec_b32 s2, s20
; %bb.7:                                ;   in Loop: Header=BB97_4 Depth=1
	v_mul_f32_e64 v1, 0x3f22f983, |v9|
	s_delay_alu instid0(VALU_DEP_1) | instskip(NEXT) | instid1(VALU_DEP_1)
	v_rndne_f32_e32 v1, v1
	v_fma_f32 v12, 0xbfc90fda, v1, |v9|
	v_cvt_i32_f32_e32 v11, v1
	s_delay_alu instid0(VALU_DEP_2) | instskip(NEXT) | instid1(VALU_DEP_1)
	v_fmac_f32_e32 v12, 0xb3a22168, v1
	v_fmac_f32_e32 v12, 0xa7c234c4, v1
; %bb.8:                                ;   in Loop: Header=BB97_4 Depth=1
	s_or_b32 exec_lo, exec_lo, s2
	v_and_b32_e32 v13, 0xffff0000, v5
                                        ; implicit-def: $vgpr16
                                        ; implicit-def: $vgpr15
	s_mov_b32 s3, exec_lo
	s_delay_alu instid0(VALU_DEP_1)
	v_and_b32_e32 v14, 0x7fffffff, v13
	v_cmpx_ngt_f32_e64 0x48000000, |v13|
	s_xor_b32 s20, exec_lo, s3
	s_cbranch_execz .LBB97_10
; %bb.9:                                ;   in Loop: Header=BB97_4 Depth=1
	s_delay_alu instid0(VALU_DEP_2) | instskip(SKIP_1) | instid1(VALU_DEP_2)
	v_lshrrev_b32_e32 v20, 23, v14
	v_and_or_b32 v23, v14, s17, 0x800000
	v_add_nc_u32_e32 v21, 0xffffff88, v20
	s_delay_alu instid0(VALU_DEP_2) | instskip(NEXT) | instid1(VALU_DEP_2)
	v_mad_u64_u32 v[15:16], null, 0xfe5163ab, v23, 0
	v_cmp_lt_u32_e32 vcc_lo, 63, v21
	v_cndmask_b32_e64 v22, 0, 0xffffffc0, vcc_lo
	s_delay_alu instid0(VALU_DEP_1) | instskip(NEXT) | instid1(VALU_DEP_1)
	v_dual_mov_b32 v1, v16 :: v_dual_add_nc_u32 v22, v22, v21
	v_mad_u64_u32 v[16:17], null, 0x3c439041, v23, v[1:2]
	s_delay_alu instid0(VALU_DEP_2) | instskip(NEXT) | instid1(VALU_DEP_1)
	v_cmp_lt_u32_e64 s2, 31, v22
	v_cndmask_b32_e64 v24, 0, 0xffffffe0, s2
	s_delay_alu instid0(VALU_DEP_1) | instskip(NEXT) | instid1(VALU_DEP_1)
	v_dual_mov_b32 v1, v17 :: v_dual_add_nc_u32 v24, v24, v22
	v_mad_u64_u32 v[17:18], null, 0xdb629599, v23, v[1:2]
	s_delay_alu instid0(VALU_DEP_2) | instskip(NEXT) | instid1(VALU_DEP_2)
	v_cmp_lt_u32_e64 s3, 31, v24
	v_mov_b32_e32 v1, v18
	s_delay_alu instid0(VALU_DEP_3) | instskip(NEXT) | instid1(VALU_DEP_2)
	v_cndmask_b32_e32 v15, v17, v15, vcc_lo
	v_mad_u64_u32 v[18:19], null, 0xf534ddc0, v23, v[1:2]
	s_delay_alu instid0(VALU_DEP_1) | instskip(NEXT) | instid1(VALU_DEP_1)
	v_dual_mov_b32 v1, v19 :: v_dual_cndmask_b32 v16, v18, v16
	v_mad_u64_u32 v[19:20], null, 0xfc2757d1, v23, v[1:2]
	s_delay_alu instid0(VALU_DEP_2) | instskip(NEXT) | instid1(VALU_DEP_2)
	v_cndmask_b32_e64 v15, v16, v15, s2
	v_mov_b32_e32 v1, v20
	s_delay_alu instid0(VALU_DEP_1) | instskip(NEXT) | instid1(VALU_DEP_1)
	v_mad_u64_u32 v[20:21], null, 0x4e441529, v23, v[1:2]
	v_mov_b32_e32 v1, v21
	s_delay_alu instid0(VALU_DEP_1) | instskip(SKIP_1) | instid1(VALU_DEP_4)
	v_mad_u64_u32 v[21:22], null, 0xa2f9836e, v23, v[1:2]
	v_cndmask_b32_e64 v1, 0, 0xffffffe0, s3
	v_cndmask_b32_e32 v23, v20, v18, vcc_lo
	s_delay_alu instid0(VALU_DEP_2) | instskip(NEXT) | instid1(VALU_DEP_4)
	v_add_nc_u32_e32 v1, v1, v24
	v_dual_cndmask_b32 v21, v21, v19 :: v_dual_cndmask_b32 v20, v22, v20
	v_cndmask_b32_e32 v19, v19, v17, vcc_lo
	s_delay_alu instid0(VALU_DEP_3) | instskip(NEXT) | instid1(VALU_DEP_3)
	v_sub_nc_u32_e32 v22, 32, v1
	v_cndmask_b32_e64 v18, v21, v23, s2
	s_delay_alu instid0(VALU_DEP_4) | instskip(NEXT) | instid1(VALU_DEP_4)
	v_cndmask_b32_e64 v20, v20, v21, s2
	v_cndmask_b32_e64 v21, v23, v19, s2
	;; [unrolled: 1-line block ×3, first 2 shown]
	v_cmp_eq_u32_e64 s4, 0, v1
	s_delay_alu instid0(VALU_DEP_4) | instskip(NEXT) | instid1(VALU_DEP_4)
	v_cndmask_b32_e64 v20, v20, v18, s3
	v_cndmask_b32_e64 v18, v18, v21, s3
	s_delay_alu instid0(VALU_DEP_4) | instskip(SKIP_1) | instid1(VALU_DEP_3)
	v_cndmask_b32_e64 v21, v21, v19, s3
	v_cndmask_b32_e64 v15, v19, v15, s3
	v_alignbit_b32 v23, v20, v18, v22
	s_delay_alu instid0(VALU_DEP_3) | instskip(NEXT) | instid1(VALU_DEP_3)
	v_alignbit_b32 v24, v18, v21, v22
	v_alignbit_b32 v22, v21, v15, v22
	s_delay_alu instid0(VALU_DEP_3) | instskip(NEXT) | instid1(VALU_DEP_3)
	v_cndmask_b32_e64 v1, v23, v20, s4
	v_cndmask_b32_e64 v17, v24, v18, s4
	s_delay_alu instid0(VALU_DEP_3) | instskip(NEXT) | instid1(VALU_DEP_3)
	v_cndmask_b32_e64 v21, v22, v21, s4
	v_bfe_u32 v18, v1, 29, 1
	s_delay_alu instid0(VALU_DEP_3) | instskip(NEXT) | instid1(VALU_DEP_3)
	v_alignbit_b32 v16, v1, v17, 30
	v_alignbit_b32 v17, v17, v21, 30
	v_alignbit_b32 v15, v21, v15, 30
	s_delay_alu instid0(VALU_DEP_4) | instskip(NEXT) | instid1(VALU_DEP_1)
	v_sub_nc_u32_e32 v20, 0, v18
	v_xor_b32_e32 v19, v16, v20
	v_cmp_ne_u32_e32 vcc_lo, v16, v20
	v_xor_b32_e32 v17, v17, v20
	v_xor_b32_e32 v15, v15, v20
	s_delay_alu instid0(VALU_DEP_4) | instskip(NEXT) | instid1(VALU_DEP_1)
	v_clz_i32_u32_e32 v23, v19
	v_add_nc_u32_e32 v22, 1, v23
	s_delay_alu instid0(VALU_DEP_1) | instskip(NEXT) | instid1(VALU_DEP_1)
	v_cndmask_b32_e32 v16, 33, v22, vcc_lo
	v_sub_nc_u32_e32 v21, 32, v16
	s_delay_alu instid0(VALU_DEP_1) | instskip(SKIP_3) | instid1(VALU_DEP_3)
	v_alignbit_b32 v19, v19, v17, v21
	v_alignbit_b32 v15, v17, v15, v21
	v_lshrrev_b32_e32 v17, 29, v1
	v_lshrrev_b32_e32 v1, 30, v1
	v_alignbit_b32 v20, v19, v15, 9
	s_delay_alu instid0(VALU_DEP_3) | instskip(SKIP_1) | instid1(VALU_DEP_3)
	v_lshlrev_b32_e32 v17, 31, v17
	v_alignbit_b32 v19, v16, v19, 9
	v_clz_i32_u32_e32 v21, v20
	s_delay_alu instid0(VALU_DEP_2) | instskip(SKIP_1) | instid1(VALU_DEP_3)
	v_or_b32_e32 v19, v19, v17
	v_or_b32_e32 v17, 0x33800000, v17
	v_min_u32_e32 v21, 32, v21
	s_delay_alu instid0(VALU_DEP_3) | instskip(NEXT) | instid1(VALU_DEP_2)
	v_xor_b32_e32 v19, 1.0, v19
	v_sub_nc_u32_e32 v22, 31, v21
	v_add_lshl_u32 v16, v21, v16, 23
	s_delay_alu instid0(VALU_DEP_3) | instskip(NEXT) | instid1(VALU_DEP_3)
	v_mul_f32_e32 v21, 0x3fc90fda, v19
	v_alignbit_b32 v15, v20, v15, v22
	s_delay_alu instid0(VALU_DEP_3) | instskip(NEXT) | instid1(VALU_DEP_3)
	v_sub_nc_u32_e32 v16, v17, v16
	v_fma_f32 v17, 0x3fc90fda, v19, -v21
	s_delay_alu instid0(VALU_DEP_3) | instskip(NEXT) | instid1(VALU_DEP_2)
	v_lshrrev_b32_e32 v15, 9, v15
	v_fmac_f32_e32 v17, 0x33a22168, v19
	s_delay_alu instid0(VALU_DEP_2) | instskip(NEXT) | instid1(VALU_DEP_1)
	v_or_b32_e32 v15, v16, v15
	v_dual_fmac_f32 v17, 0x3fc90fda, v15 :: v_dual_add_nc_u32 v16, v18, v1
	s_delay_alu instid0(VALU_DEP_1)
	v_add_f32_e32 v15, v21, v17
.LBB97_10:                              ;   in Loop: Header=BB97_4 Depth=1
	s_and_not1_saveexec_b32 s2, s20
; %bb.11:                               ;   in Loop: Header=BB97_4 Depth=1
	v_mul_f32_e64 v1, 0x3f22f983, |v13|
	s_delay_alu instid0(VALU_DEP_1) | instskip(NEXT) | instid1(VALU_DEP_1)
	v_rndne_f32_e32 v1, v1
	v_fma_f32 v15, 0xbfc90fda, v1, |v13|
	v_cvt_i32_f32_e32 v16, v1
	s_delay_alu instid0(VALU_DEP_2) | instskip(NEXT) | instid1(VALU_DEP_1)
	v_fmac_f32_e32 v15, 0xb3a22168, v1
	v_fmac_f32_e32 v15, 0xa7c234c4, v1
; %bb.12:                               ;   in Loop: Header=BB97_4 Depth=1
	s_or_b32 exec_lo, exec_lo, s2
	v_alignbit_b32 v1, v6, v5, 16
                                        ; implicit-def: $vgpr20
                                        ; implicit-def: $vgpr18
	s_mov_b32 s3, exec_lo
	s_delay_alu instid0(VALU_DEP_1) | instskip(NEXT) | instid1(VALU_DEP_1)
	v_and_b32_e32 v5, 0xffff0000, v1
	v_and_b32_e32 v17, 0x7fffffff, v5
	v_cmpx_ngt_f32_e64 0x48000000, |v5|
	s_xor_b32 s20, exec_lo, s3
	s_cbranch_execz .LBB97_14
; %bb.13:                               ;   in Loop: Header=BB97_4 Depth=1
	s_delay_alu instid0(VALU_DEP_2) | instskip(SKIP_1) | instid1(VALU_DEP_2)
	v_and_or_b32 v26, v17, s17, 0x800000
	v_lshrrev_b32_e32 v23, 23, v17
	v_mad_u64_u32 v[18:19], null, 0xfe5163ab, v26, 0
	s_delay_alu instid0(VALU_DEP_2) | instskip(NEXT) | instid1(VALU_DEP_1)
	v_add_nc_u32_e32 v24, 0xffffff88, v23
	v_cmp_lt_u32_e32 vcc_lo, 63, v24
	s_delay_alu instid0(VALU_DEP_3) | instskip(SKIP_1) | instid1(VALU_DEP_2)
	v_mov_b32_e32 v1, v19
	v_cndmask_b32_e64 v25, 0, 0xffffffc0, vcc_lo
	v_mad_u64_u32 v[19:20], null, 0x3c439041, v26, v[1:2]
	s_delay_alu instid0(VALU_DEP_2) | instskip(NEXT) | instid1(VALU_DEP_2)
	v_add_nc_u32_e32 v25, v25, v24
	v_mov_b32_e32 v1, v20
	s_delay_alu instid0(VALU_DEP_2) | instskip(NEXT) | instid1(VALU_DEP_2)
	v_cmp_lt_u32_e64 s2, 31, v25
	v_mad_u64_u32 v[20:21], null, 0xdb629599, v26, v[1:2]
	s_delay_alu instid0(VALU_DEP_2) | instskip(NEXT) | instid1(VALU_DEP_1)
	v_cndmask_b32_e64 v27, 0, 0xffffffe0, s2
	v_add_nc_u32_e32 v27, v27, v25
	s_delay_alu instid0(VALU_DEP_3) | instskip(NEXT) | instid1(VALU_DEP_2)
	v_dual_mov_b32 v1, v21 :: v_dual_cndmask_b32 v18, v20, v18
	v_cmp_lt_u32_e64 s3, 31, v27
	s_delay_alu instid0(VALU_DEP_2) | instskip(NEXT) | instid1(VALU_DEP_1)
	v_mad_u64_u32 v[21:22], null, 0xf534ddc0, v26, v[1:2]
	v_mov_b32_e32 v1, v22
	s_delay_alu instid0(VALU_DEP_2) | instskip(NEXT) | instid1(VALU_DEP_2)
	v_cndmask_b32_e32 v19, v21, v19, vcc_lo
	v_mad_u64_u32 v[22:23], null, 0xfc2757d1, v26, v[1:2]
	s_delay_alu instid0(VALU_DEP_2) | instskip(NEXT) | instid1(VALU_DEP_2)
	v_cndmask_b32_e64 v18, v19, v18, s2
	v_mov_b32_e32 v1, v23
	s_delay_alu instid0(VALU_DEP_1) | instskip(NEXT) | instid1(VALU_DEP_1)
	v_mad_u64_u32 v[23:24], null, 0x4e441529, v26, v[1:2]
	v_mov_b32_e32 v1, v24
	s_delay_alu instid0(VALU_DEP_1) | instskip(SKIP_1) | instid1(VALU_DEP_1)
	v_mad_u64_u32 v[24:25], null, 0xa2f9836e, v26, v[1:2]
	v_cndmask_b32_e64 v1, 0, 0xffffffe0, s3
	v_dual_cndmask_b32 v26, v23, v21 :: v_dual_add_nc_u32 v1, v1, v27
	s_delay_alu instid0(VALU_DEP_3) | instskip(SKIP_1) | instid1(VALU_DEP_3)
	v_dual_cndmask_b32 v24, v24, v22 :: v_dual_cndmask_b32 v23, v25, v23
	v_cndmask_b32_e32 v22, v22, v20, vcc_lo
	v_sub_nc_u32_e32 v25, 32, v1
	s_delay_alu instid0(VALU_DEP_3) | instskip(NEXT) | instid1(VALU_DEP_4)
	v_cndmask_b32_e64 v21, v24, v26, s2
	v_cndmask_b32_e64 v23, v23, v24, s2
	s_delay_alu instid0(VALU_DEP_4) | instskip(SKIP_2) | instid1(VALU_DEP_4)
	v_cndmask_b32_e64 v24, v26, v22, s2
	v_cndmask_b32_e64 v22, v22, v19, s2
	v_cmp_eq_u32_e64 s4, 0, v1
	v_cndmask_b32_e64 v23, v23, v21, s3
	s_delay_alu instid0(VALU_DEP_4) | instskip(NEXT) | instid1(VALU_DEP_4)
	v_cndmask_b32_e64 v21, v21, v24, s3
	v_cndmask_b32_e64 v24, v24, v22, s3
	;; [unrolled: 1-line block ×3, first 2 shown]
	s_delay_alu instid0(VALU_DEP_3) | instskip(NEXT) | instid1(VALU_DEP_3)
	v_alignbit_b32 v26, v23, v21, v25
	v_alignbit_b32 v27, v21, v24, v25
	s_delay_alu instid0(VALU_DEP_3) | instskip(NEXT) | instid1(VALU_DEP_3)
	v_alignbit_b32 v25, v24, v18, v25
	v_cndmask_b32_e64 v1, v26, v23, s4
	s_delay_alu instid0(VALU_DEP_3) | instskip(NEXT) | instid1(VALU_DEP_3)
	v_cndmask_b32_e64 v20, v27, v21, s4
	v_cndmask_b32_e64 v24, v25, v24, s4
	s_delay_alu instid0(VALU_DEP_3) | instskip(NEXT) | instid1(VALU_DEP_3)
	v_bfe_u32 v21, v1, 29, 1
	v_alignbit_b32 v19, v1, v20, 30
	s_delay_alu instid0(VALU_DEP_3) | instskip(SKIP_1) | instid1(VALU_DEP_4)
	v_alignbit_b32 v20, v20, v24, 30
	v_alignbit_b32 v18, v24, v18, 30
	v_sub_nc_u32_e32 v23, 0, v21
	s_delay_alu instid0(VALU_DEP_1) | instskip(SKIP_3) | instid1(VALU_DEP_4)
	v_xor_b32_e32 v22, v19, v23
	v_cmp_ne_u32_e32 vcc_lo, v19, v23
	v_xor_b32_e32 v20, v20, v23
	v_xor_b32_e32 v18, v18, v23
	v_clz_i32_u32_e32 v26, v22
	s_delay_alu instid0(VALU_DEP_1) | instskip(NEXT) | instid1(VALU_DEP_1)
	v_add_nc_u32_e32 v25, 1, v26
	v_cndmask_b32_e32 v19, 33, v25, vcc_lo
	s_delay_alu instid0(VALU_DEP_1) | instskip(NEXT) | instid1(VALU_DEP_1)
	v_sub_nc_u32_e32 v24, 32, v19
	v_alignbit_b32 v22, v22, v20, v24
	v_alignbit_b32 v18, v20, v18, v24
	v_lshrrev_b32_e32 v20, 29, v1
	v_lshrrev_b32_e32 v1, 30, v1
	s_delay_alu instid0(VALU_DEP_3) | instskip(NEXT) | instid1(VALU_DEP_3)
	v_alignbit_b32 v23, v22, v18, 9
	v_lshlrev_b32_e32 v20, 31, v20
	v_alignbit_b32 v22, v19, v22, 9
	s_delay_alu instid0(VALU_DEP_3) | instskip(NEXT) | instid1(VALU_DEP_2)
	v_clz_i32_u32_e32 v24, v23
	v_or_b32_e32 v22, v22, v20
	v_or_b32_e32 v20, 0x33800000, v20
	s_delay_alu instid0(VALU_DEP_3) | instskip(NEXT) | instid1(VALU_DEP_3)
	v_min_u32_e32 v24, 32, v24
	v_xor_b32_e32 v22, 1.0, v22
	s_delay_alu instid0(VALU_DEP_2) | instskip(SKIP_1) | instid1(VALU_DEP_3)
	v_sub_nc_u32_e32 v25, 31, v24
	v_add_lshl_u32 v19, v24, v19, 23
	v_mul_f32_e32 v24, 0x3fc90fda, v22
	s_delay_alu instid0(VALU_DEP_3) | instskip(NEXT) | instid1(VALU_DEP_3)
	v_alignbit_b32 v18, v23, v18, v25
	v_sub_nc_u32_e32 v19, v20, v19
	s_delay_alu instid0(VALU_DEP_3) | instskip(NEXT) | instid1(VALU_DEP_3)
	v_fma_f32 v20, 0x3fc90fda, v22, -v24
	v_lshrrev_b32_e32 v18, 9, v18
	s_delay_alu instid0(VALU_DEP_2) | instskip(NEXT) | instid1(VALU_DEP_2)
	v_fmac_f32_e32 v20, 0x33a22168, v22
	v_or_b32_e32 v18, v19, v18
	s_delay_alu instid0(VALU_DEP_1) | instskip(NEXT) | instid1(VALU_DEP_1)
	v_fmac_f32_e32 v20, 0x3fc90fda, v18
	v_add_f32_e32 v18, v24, v20
	v_add_nc_u32_e32 v20, v21, v1
.LBB97_14:                              ;   in Loop: Header=BB97_4 Depth=1
	s_and_not1_saveexec_b32 s2, s20
; %bb.15:                               ;   in Loop: Header=BB97_4 Depth=1
	v_mul_f32_e64 v1, 0x3f22f983, |v5|
	s_delay_alu instid0(VALU_DEP_1) | instskip(NEXT) | instid1(VALU_DEP_1)
	v_rndne_f32_e32 v1, v1
	v_fma_f32 v18, 0xbfc90fda, v1, |v5|
	v_cvt_i32_f32_e32 v20, v1
	s_delay_alu instid0(VALU_DEP_2) | instskip(NEXT) | instid1(VALU_DEP_1)
	v_fmac_f32_e32 v18, 0xb3a22168, v1
	v_fmac_f32_e32 v18, 0xa7c234c4, v1
; %bb.16:                               ;   in Loop: Header=BB97_4 Depth=1
	s_or_b32 exec_lo, exec_lo, s2
	v_and_b32_e32 v6, 0xffff0000, v6
                                        ; implicit-def: $vgpr1
                                        ; implicit-def: $vgpr21
	s_mov_b32 s3, exec_lo
	s_delay_alu instid0(VALU_DEP_1)
	v_and_b32_e32 v19, 0x7fffffff, v6
	v_cmpx_ngt_f32_e64 0x48000000, |v6|
	s_xor_b32 s20, exec_lo, s3
	s_cbranch_execz .LBB97_18
; %bb.17:                               ;   in Loop: Header=BB97_4 Depth=1
	s_delay_alu instid0(VALU_DEP_2) | instskip(SKIP_1) | instid1(VALU_DEP_2)
	v_lshrrev_b32_e32 v26, 23, v19
	v_and_or_b32 v29, v19, s17, 0x800000
	v_add_nc_u32_e32 v27, 0xffffff88, v26
	s_delay_alu instid0(VALU_DEP_2) | instskip(NEXT) | instid1(VALU_DEP_2)
	v_mad_u64_u32 v[21:22], null, 0xfe5163ab, v29, 0
	v_cmp_lt_u32_e32 vcc_lo, 63, v27
	v_cndmask_b32_e64 v28, 0, 0xffffffc0, vcc_lo
	s_delay_alu instid0(VALU_DEP_1) | instskip(NEXT) | instid1(VALU_DEP_1)
	v_dual_mov_b32 v1, v22 :: v_dual_add_nc_u32 v28, v28, v27
	v_mad_u64_u32 v[22:23], null, 0x3c439041, v29, v[1:2]
	s_delay_alu instid0(VALU_DEP_2) | instskip(NEXT) | instid1(VALU_DEP_1)
	v_cmp_lt_u32_e64 s2, 31, v28
	v_cndmask_b32_e64 v30, 0, 0xffffffe0, s2
	s_delay_alu instid0(VALU_DEP_1) | instskip(NEXT) | instid1(VALU_DEP_1)
	v_dual_mov_b32 v1, v23 :: v_dual_add_nc_u32 v30, v30, v28
	v_mad_u64_u32 v[23:24], null, 0xdb629599, v29, v[1:2]
	s_delay_alu instid0(VALU_DEP_2) | instskip(NEXT) | instid1(VALU_DEP_2)
	v_cmp_lt_u32_e64 s3, 31, v30
	v_mov_b32_e32 v1, v24
	s_delay_alu instid0(VALU_DEP_3) | instskip(NEXT) | instid1(VALU_DEP_2)
	v_cndmask_b32_e32 v21, v23, v21, vcc_lo
	v_mad_u64_u32 v[24:25], null, 0xf534ddc0, v29, v[1:2]
	s_delay_alu instid0(VALU_DEP_1) | instskip(NEXT) | instid1(VALU_DEP_1)
	v_dual_mov_b32 v1, v25 :: v_dual_cndmask_b32 v22, v24, v22
	v_mad_u64_u32 v[25:26], null, 0xfc2757d1, v29, v[1:2]
	s_delay_alu instid0(VALU_DEP_2) | instskip(NEXT) | instid1(VALU_DEP_2)
	v_cndmask_b32_e64 v21, v22, v21, s2
	v_mov_b32_e32 v1, v26
	s_delay_alu instid0(VALU_DEP_1) | instskip(NEXT) | instid1(VALU_DEP_1)
	v_mad_u64_u32 v[26:27], null, 0x4e441529, v29, v[1:2]
	v_mov_b32_e32 v1, v27
	s_delay_alu instid0(VALU_DEP_1) | instskip(SKIP_1) | instid1(VALU_DEP_4)
	v_mad_u64_u32 v[27:28], null, 0xa2f9836e, v29, v[1:2]
	v_cndmask_b32_e64 v1, 0, 0xffffffe0, s3
	v_cndmask_b32_e32 v29, v26, v24, vcc_lo
	s_delay_alu instid0(VALU_DEP_2) | instskip(NEXT) | instid1(VALU_DEP_4)
	v_add_nc_u32_e32 v1, v1, v30
	v_dual_cndmask_b32 v27, v27, v25 :: v_dual_cndmask_b32 v26, v28, v26
	v_cndmask_b32_e32 v25, v25, v23, vcc_lo
	s_delay_alu instid0(VALU_DEP_3) | instskip(NEXT) | instid1(VALU_DEP_3)
	v_sub_nc_u32_e32 v28, 32, v1
	v_cndmask_b32_e64 v24, v27, v29, s2
	s_delay_alu instid0(VALU_DEP_4) | instskip(NEXT) | instid1(VALU_DEP_4)
	v_cndmask_b32_e64 v26, v26, v27, s2
	v_cndmask_b32_e64 v27, v29, v25, s2
	;; [unrolled: 1-line block ×3, first 2 shown]
	v_cmp_eq_u32_e64 s4, 0, v1
	s_delay_alu instid0(VALU_DEP_4) | instskip(NEXT) | instid1(VALU_DEP_4)
	v_cndmask_b32_e64 v26, v26, v24, s3
	v_cndmask_b32_e64 v24, v24, v27, s3
	s_delay_alu instid0(VALU_DEP_4) | instskip(SKIP_1) | instid1(VALU_DEP_3)
	v_cndmask_b32_e64 v27, v27, v25, s3
	v_cndmask_b32_e64 v21, v25, v21, s3
	v_alignbit_b32 v29, v26, v24, v28
	s_delay_alu instid0(VALU_DEP_3) | instskip(NEXT) | instid1(VALU_DEP_3)
	v_alignbit_b32 v30, v24, v27, v28
	v_alignbit_b32 v28, v27, v21, v28
	s_delay_alu instid0(VALU_DEP_3) | instskip(NEXT) | instid1(VALU_DEP_3)
	v_cndmask_b32_e64 v1, v29, v26, s4
	v_cndmask_b32_e64 v23, v30, v24, s4
	s_delay_alu instid0(VALU_DEP_3) | instskip(NEXT) | instid1(VALU_DEP_3)
	v_cndmask_b32_e64 v27, v28, v27, s4
	v_bfe_u32 v24, v1, 29, 1
	s_delay_alu instid0(VALU_DEP_3) | instskip(NEXT) | instid1(VALU_DEP_3)
	v_alignbit_b32 v22, v1, v23, 30
	v_alignbit_b32 v23, v23, v27, 30
	v_alignbit_b32 v21, v27, v21, 30
	s_delay_alu instid0(VALU_DEP_4) | instskip(NEXT) | instid1(VALU_DEP_1)
	v_sub_nc_u32_e32 v26, 0, v24
	v_xor_b32_e32 v25, v22, v26
	v_cmp_ne_u32_e32 vcc_lo, v22, v26
	v_xor_b32_e32 v23, v23, v26
	v_xor_b32_e32 v21, v21, v26
	s_delay_alu instid0(VALU_DEP_4) | instskip(NEXT) | instid1(VALU_DEP_1)
	v_clz_i32_u32_e32 v29, v25
	v_add_nc_u32_e32 v28, 1, v29
	s_delay_alu instid0(VALU_DEP_1) | instskip(NEXT) | instid1(VALU_DEP_1)
	v_cndmask_b32_e32 v22, 33, v28, vcc_lo
	v_sub_nc_u32_e32 v27, 32, v22
	s_delay_alu instid0(VALU_DEP_1) | instskip(SKIP_3) | instid1(VALU_DEP_3)
	v_alignbit_b32 v25, v25, v23, v27
	v_alignbit_b32 v21, v23, v21, v27
	v_lshrrev_b32_e32 v23, 29, v1
	v_lshrrev_b32_e32 v1, 30, v1
	v_alignbit_b32 v26, v25, v21, 9
	s_delay_alu instid0(VALU_DEP_3) | instskip(SKIP_1) | instid1(VALU_DEP_4)
	v_lshlrev_b32_e32 v23, 31, v23
	v_alignbit_b32 v25, v22, v25, 9
	v_add_nc_u32_e32 v1, v24, v1
	s_delay_alu instid0(VALU_DEP_4) | instskip(NEXT) | instid1(VALU_DEP_3)
	v_clz_i32_u32_e32 v27, v26
	v_or_b32_e32 v25, v25, v23
	v_or_b32_e32 v23, 0x33800000, v23
	s_delay_alu instid0(VALU_DEP_3) | instskip(NEXT) | instid1(VALU_DEP_3)
	v_min_u32_e32 v27, 32, v27
	v_xor_b32_e32 v25, 1.0, v25
	s_delay_alu instid0(VALU_DEP_2) | instskip(SKIP_1) | instid1(VALU_DEP_3)
	v_sub_nc_u32_e32 v28, 31, v27
	v_add_lshl_u32 v22, v27, v22, 23
	v_mul_f32_e32 v27, 0x3fc90fda, v25
	s_delay_alu instid0(VALU_DEP_3) | instskip(NEXT) | instid1(VALU_DEP_3)
	v_alignbit_b32 v21, v26, v21, v28
	v_sub_nc_u32_e32 v22, v23, v22
	s_delay_alu instid0(VALU_DEP_3) | instskip(NEXT) | instid1(VALU_DEP_3)
	v_fma_f32 v23, 0x3fc90fda, v25, -v27
	v_lshrrev_b32_e32 v21, 9, v21
	s_delay_alu instid0(VALU_DEP_2) | instskip(NEXT) | instid1(VALU_DEP_2)
	v_fmac_f32_e32 v23, 0x33a22168, v25
	v_or_b32_e32 v21, v22, v21
	s_delay_alu instid0(VALU_DEP_1) | instskip(NEXT) | instid1(VALU_DEP_1)
	v_fmac_f32_e32 v23, 0x3fc90fda, v21
	v_add_f32_e32 v21, v27, v23
.LBB97_18:                              ;   in Loop: Header=BB97_4 Depth=1
	s_and_not1_saveexec_b32 s2, s20
	s_cbranch_execz .LBB97_3
; %bb.19:                               ;   in Loop: Header=BB97_4 Depth=1
	v_mul_f32_e64 v1, 0x3f22f983, |v6|
	s_delay_alu instid0(VALU_DEP_1) | instskip(NEXT) | instid1(VALU_DEP_1)
	v_rndne_f32_e32 v1, v1
	v_fma_f32 v21, 0xbfc90fda, v1, |v6|
	s_delay_alu instid0(VALU_DEP_1) | instskip(NEXT) | instid1(VALU_DEP_1)
	v_fmac_f32_e32 v21, 0xb3a22168, v1
	v_fmac_f32_e32 v21, 0xa7c234c4, v1
	v_cvt_i32_f32_e32 v1, v1
	s_branch .LBB97_3
.LBB97_20:
	s_or_b32 exec_lo, exec_lo, s5
	s_mov_b32 s2, 0
.LBB97_21:
	s_delay_alu instid0(SALU_CYCLE_1)
	s_and_not1_b32 vcc_lo, exec_lo, s2
	s_cbranch_vccnz .LBB97_57
; %bb.22:
	v_cmp_lt_i64_e64 s2, s[10:11], 1
	s_delay_alu instid0(VALU_DEP_1)
	s_and_b32 vcc_lo, exec_lo, s2
	s_cbranch_vccnz .LBB97_57
; %bb.23:
	s_load_b32 s0, s[0:1], 0xc5c
	v_dual_mov_b32 v2, 0 :: v_dual_lshlrev_b32 v1, 1, v0
	v_cmp_gt_u64_e64 s1, 0x10000, s[10:11]
	s_mov_b32 s18, 0xbc8cedd3
	s_mov_b32 s19, 0x3c971480
	s_delay_alu instid0(VALU_DEP_2) | instskip(NEXT) | instid1(VALU_DEP_1)
	v_add_co_u32 v3, s2, s6, v1
	v_add_co_ci_u32_e64 v4, null, s7, 0, s2
	v_add_co_u32 v5, s2, s12, v1
	s_delay_alu instid0(VALU_DEP_1)
	v_add_co_ci_u32_e64 v6, null, s13, 0, s2
	s_waitcnt lgkmcnt(0)
	s_and_b32 s0, s0, 0xffff
	s_and_b32 s1, s1, exec_lo
	v_mad_u64_u32 v[9:10], null, s0, 6, v[1:2]
	s_cselect_b32 s15, s11, 0
	s_cselect_b32 s14, s10, 0x10000
	s_lshl_b32 s16, s0, 2
	s_lshl_b32 s1, s0, 1
	v_add_co_u32 v1, s3, s16, v1
	s_delay_alu instid0(VALU_DEP_2) | instskip(NEXT) | instid1(VALU_DEP_3)
	v_add_co_u32 v7, vcc_lo, s6, v9
	v_add_co_ci_u32_e32 v8, vcc_lo, s7, v10, vcc_lo
	v_add_co_u32 v9, vcc_lo, s12, v9
	v_add_co_ci_u32_e64 v17, null, 0, 0, s3
	s_mul_i32 s2, s0, 3
	s_lshl_b32 s17, s0, 3
	v_add_co_u32 v15, s0, v0, s0
	v_add_co_ci_u32_e32 v10, vcc_lo, s13, v10, vcc_lo
	v_add_co_u32 v13, vcc_lo, s6, v1
	v_add_co_ci_u32_e32 v14, vcc_lo, s7, v17, vcc_lo
	v_add_co_u32 v16, vcc_lo, s12, v1
	v_lshlrev_b32_e32 v1, 1, v15
	v_add_co_ci_u32_e64 v18, null, 0, 0, s0
	v_add_co_u32 v19, s0, s1, v0
	s_delay_alu instid0(VALU_DEP_1) | instskip(NEXT) | instid1(VALU_DEP_4)
	v_add_co_ci_u32_e64 v20, null, 0, 0, s0
	v_add_co_u32 v21, s0, s6, v1
	v_add_co_u32 v11, s2, s2, v0
	v_add_co_ci_u32_e64 v22, null, s7, 0, s0
	v_add_co_u32 v23, s0, s12, v1
	v_add_co_ci_u32_e64 v12, null, 0, 0, s2
	v_add_co_ci_u32_e32 v17, vcc_lo, s13, v17, vcc_lo
	v_add_co_ci_u32_e64 v24, null, s13, 0, s0
	s_mov_b64 s[12:13], 0
	s_mov_b32 s7, 0x7fffff
	s_branch .LBB97_25
.LBB97_24:                              ;   in Loop: Header=BB97_25 Depth=1
	s_or_b32 exec_lo, exec_lo, s0
	v_add_co_u32 v3, vcc_lo, v3, s17
	v_add_co_ci_u32_e32 v4, vcc_lo, 0, v4, vcc_lo
	v_add_co_u32 v5, vcc_lo, v5, s17
	v_add_co_ci_u32_e32 v6, vcc_lo, 0, v6, vcc_lo
	;; [unrolled: 2-line block ×5, first 2 shown]
	s_add_u32 s12, s12, s16
	v_add_co_u32 v16, vcc_lo, v16, s17
	s_addc_u32 s13, s13, 0
	v_add_co_ci_u32_e32 v17, vcc_lo, 0, v17, vcc_lo
	v_cmp_ge_i64_e64 s0, s[12:13], s[10:11]
	v_cmp_lt_u64_e64 s1, 0xffff, s[12:13]
	v_add_co_u32 v21, vcc_lo, v21, s17
	v_add_co_ci_u32_e32 v22, vcc_lo, 0, v22, vcc_lo
	v_add_co_u32 v23, vcc_lo, v23, s17
	v_add_co_ci_u32_e32 v24, vcc_lo, 0, v24, vcc_lo
	s_or_b32 s0, s0, s1
	s_delay_alu instid0(SALU_CYCLE_1)
	s_and_b32 vcc_lo, exec_lo, s0
	s_cbranch_vccnz .LBB97_57
.LBB97_25:                              ; =>This Inner Loop Header: Depth=1
	v_add_co_u32 v25, s0, v0, s12
	s_delay_alu instid0(VALU_DEP_1) | instskip(SKIP_1) | instid1(VALU_DEP_2)
	v_add_co_ci_u32_e64 v26, null, 0, s13, s0
	v_mov_b32_e32 v1, 0
	v_cmp_gt_u64_e64 s2, s[14:15], v[25:26]
	s_delay_alu instid0(VALU_DEP_1)
	s_and_saveexec_b32 s0, s2
	s_cbranch_execz .LBB97_27
; %bb.26:                               ;   in Loop: Header=BB97_25 Depth=1
	v_add_co_u32 v25, vcc_lo, v3, s8
	v_add_co_ci_u32_e32 v26, vcc_lo, s9, v4, vcc_lo
	global_load_u16 v1, v[25:26], off
.LBB97_27:                              ;   in Loop: Header=BB97_25 Depth=1
	s_or_b32 exec_lo, exec_lo, s0
	v_add_co_u32 v25, vcc_lo, v15, s12
	v_add_co_ci_u32_e32 v26, vcc_lo, s13, v18, vcc_lo
	v_mov_b32_e32 v27, 0
	s_delay_alu instid0(VALU_DEP_2) | instskip(NEXT) | instid1(VALU_DEP_1)
	v_cmp_gt_u64_e64 s1, s[14:15], v[25:26]
	s_and_saveexec_b32 s0, s1
	s_cbranch_execz .LBB97_29
; %bb.28:                               ;   in Loop: Header=BB97_25 Depth=1
	v_add_co_u32 v25, vcc_lo, v21, s8
	v_add_co_ci_u32_e32 v26, vcc_lo, s9, v22, vcc_lo
	global_load_u16 v27, v[25:26], off
.LBB97_29:                              ;   in Loop: Header=BB97_25 Depth=1
	s_or_b32 exec_lo, exec_lo, s0
	v_add_co_u32 v25, vcc_lo, v19, s12
	v_add_co_ci_u32_e32 v26, vcc_lo, s13, v20, vcc_lo
	v_dual_mov_b32 v31, 0 :: v_dual_mov_b32 v32, 0
	s_delay_alu instid0(VALU_DEP_2) | instskip(NEXT) | instid1(VALU_DEP_1)
	v_cmp_gt_u64_e64 s0, s[14:15], v[25:26]
	s_and_saveexec_b32 s3, s0
	s_cbranch_execz .LBB97_31
; %bb.30:                               ;   in Loop: Header=BB97_25 Depth=1
	v_add_co_u32 v25, vcc_lo, v13, s8
	v_add_co_ci_u32_e32 v26, vcc_lo, s9, v14, vcc_lo
	global_load_u16 v32, v[25:26], off
.LBB97_31:                              ;   in Loop: Header=BB97_25 Depth=1
	s_or_b32 exec_lo, exec_lo, s3
	v_add_co_u32 v25, vcc_lo, v11, s12
	v_add_co_ci_u32_e32 v26, vcc_lo, s13, v12, vcc_lo
	s_delay_alu instid0(VALU_DEP_1)
	v_cmp_gt_u64_e32 vcc_lo, s[14:15], v[25:26]
	s_and_saveexec_b32 s4, vcc_lo
	s_cbranch_execz .LBB97_33
; %bb.32:                               ;   in Loop: Header=BB97_25 Depth=1
	v_add_co_u32 v25, s3, v7, s8
	s_delay_alu instid0(VALU_DEP_1)
	v_add_co_ci_u32_e64 v26, s3, s9, v8, s3
	global_load_u16 v31, v[25:26], off
.LBB97_33:                              ;   in Loop: Header=BB97_25 Depth=1
	s_or_b32 exec_lo, exec_lo, s4
	s_waitcnt vmcnt(0)
	v_lshlrev_b32_e32 v25, 16, v1
                                        ; implicit-def: $vgpr30
                                        ; implicit-def: $vgpr29
	s_mov_b32 s4, exec_lo
	s_delay_alu instid0(VALU_DEP_1)
	v_and_b32_e32 v26, 0x7fffffff, v25
	v_cmpx_ngt_f32_e64 0x48000000, |v25|
	s_xor_b32 s20, exec_lo, s4
	s_cbranch_execz .LBB97_35
; %bb.34:                               ;   in Loop: Header=BB97_25 Depth=1
	s_delay_alu instid0(VALU_DEP_2) | instskip(NEXT) | instid1(VALU_DEP_1)
	v_and_or_b32 v39, v26, s7, 0x800000
	v_mad_u64_u32 v[28:29], null, 0xfe5163ab, v39, 0
	s_delay_alu instid0(VALU_DEP_1) | instskip(NEXT) | instid1(VALU_DEP_1)
	v_mov_b32_e32 v1, v29
	v_mad_u64_u32 v[29:30], null, 0x3c439041, v39, v[1:2]
	s_delay_alu instid0(VALU_DEP_1) | instskip(SKIP_1) | instid1(VALU_DEP_1)
	v_mov_b32_e32 v1, v30
	v_lshrrev_b32_e32 v30, 23, v26
	v_add_nc_u32_e32 v30, 0xffffff88, v30
	s_delay_alu instid0(VALU_DEP_1) | instskip(NEXT) | instid1(VALU_DEP_1)
	v_cmp_lt_u32_e64 s3, 63, v30
	v_cndmask_b32_e64 v37, 0, 0xffffffc0, s3
	s_delay_alu instid0(VALU_DEP_1) | instskip(SKIP_1) | instid1(VALU_DEP_2)
	v_add_nc_u32_e32 v30, v37, v30
	v_mad_u64_u32 v[33:34], null, 0xdb629599, v39, v[1:2]
	v_cmp_lt_u32_e64 s4, 31, v30
	s_delay_alu instid0(VALU_DEP_2) | instskip(NEXT) | instid1(VALU_DEP_2)
	v_mov_b32_e32 v1, v34
	v_cndmask_b32_e64 v38, 0, 0xffffffe0, s4
	s_delay_alu instid0(VALU_DEP_4) | instskip(NEXT) | instid1(VALU_DEP_3)
	v_cndmask_b32_e64 v28, v33, v28, s3
	v_mad_u64_u32 v[34:35], null, 0xf534ddc0, v39, v[1:2]
	s_delay_alu instid0(VALU_DEP_3) | instskip(NEXT) | instid1(VALU_DEP_1)
	v_add_nc_u32_e32 v30, v38, v30
	v_cmp_lt_u32_e64 s5, 31, v30
	s_delay_alu instid0(VALU_DEP_3) | instskip(NEXT) | instid1(VALU_DEP_4)
	v_mov_b32_e32 v1, v35
	v_cndmask_b32_e64 v29, v34, v29, s3
	s_delay_alu instid0(VALU_DEP_2) | instskip(NEXT) | instid1(VALU_DEP_2)
	v_mad_u64_u32 v[35:36], null, 0xfc2757d1, v39, v[1:2]
	v_cndmask_b32_e64 v28, v29, v28, s4
	s_delay_alu instid0(VALU_DEP_2) | instskip(NEXT) | instid1(VALU_DEP_1)
	v_mov_b32_e32 v1, v36
	v_mad_u64_u32 v[36:37], null, 0x4e441529, v39, v[1:2]
	s_delay_alu instid0(VALU_DEP_1) | instskip(NEXT) | instid1(VALU_DEP_1)
	v_mov_b32_e32 v1, v37
	v_mad_u64_u32 v[37:38], null, 0xa2f9836e, v39, v[1:2]
	v_cndmask_b32_e64 v1, 0, 0xffffffe0, s5
	s_delay_alu instid0(VALU_DEP_4) | instskip(NEXT) | instid1(VALU_DEP_2)
	v_cndmask_b32_e64 v39, v36, v34, s3
	v_add_nc_u32_e32 v1, v1, v30
	s_delay_alu instid0(VALU_DEP_4) | instskip(SKIP_2) | instid1(VALU_DEP_4)
	v_cndmask_b32_e64 v37, v37, v35, s3
	v_cndmask_b32_e64 v36, v38, v36, s3
	;; [unrolled: 1-line block ×3, first 2 shown]
	v_cmp_eq_u32_e64 s6, 0, v1
	s_delay_alu instid0(VALU_DEP_4) | instskip(NEXT) | instid1(VALU_DEP_4)
	v_cndmask_b32_e64 v30, v37, v39, s4
	v_cndmask_b32_e64 v34, v36, v37, s4
	s_delay_alu instid0(VALU_DEP_4) | instskip(SKIP_2) | instid1(VALU_DEP_4)
	v_cndmask_b32_e64 v36, v39, v35, s4
	v_sub_nc_u32_e32 v37, 32, v1
	v_cndmask_b32_e64 v35, v35, v29, s4
	v_cndmask_b32_e64 v34, v34, v30, s5
	s_delay_alu instid0(VALU_DEP_4) | instskip(NEXT) | instid1(VALU_DEP_3)
	v_cndmask_b32_e64 v30, v30, v36, s5
	v_cndmask_b32_e64 v36, v36, v35, s5
	;; [unrolled: 1-line block ×3, first 2 shown]
	s_delay_alu instid0(VALU_DEP_3) | instskip(NEXT) | instid1(VALU_DEP_3)
	v_alignbit_b32 v38, v34, v30, v37
	v_alignbit_b32 v39, v30, v36, v37
	s_delay_alu instid0(VALU_DEP_3) | instskip(NEXT) | instid1(VALU_DEP_3)
	v_alignbit_b32 v37, v36, v28, v37
	v_cndmask_b32_e64 v1, v38, v34, s6
	s_delay_alu instid0(VALU_DEP_3) | instskip(NEXT) | instid1(VALU_DEP_3)
	v_cndmask_b32_e64 v30, v39, v30, s6
	v_cndmask_b32_e64 v36, v37, v36, s6
	s_delay_alu instid0(VALU_DEP_3) | instskip(NEXT) | instid1(VALU_DEP_3)
	v_bfe_u32 v33, v1, 29, 1
	v_alignbit_b32 v29, v1, v30, 30
	s_delay_alu instid0(VALU_DEP_3) | instskip(SKIP_1) | instid1(VALU_DEP_4)
	v_alignbit_b32 v30, v30, v36, 30
	v_alignbit_b32 v28, v36, v28, 30
	v_sub_nc_u32_e32 v34, 0, v33
	s_delay_alu instid0(VALU_DEP_1) | instskip(SKIP_3) | instid1(VALU_DEP_4)
	v_xor_b32_e32 v35, v29, v34
	v_cmp_ne_u32_e64 s3, v29, v34
	v_xor_b32_e32 v30, v30, v34
	v_xor_b32_e32 v28, v28, v34
	v_clz_i32_u32_e32 v38, v35
	s_delay_alu instid0(VALU_DEP_1) | instskip(NEXT) | instid1(VALU_DEP_1)
	v_add_nc_u32_e32 v37, 1, v38
	v_cndmask_b32_e64 v29, 33, v37, s3
	s_delay_alu instid0(VALU_DEP_1) | instskip(NEXT) | instid1(VALU_DEP_1)
	v_sub_nc_u32_e32 v36, 32, v29
	v_alignbit_b32 v34, v35, v30, v36
	v_alignbit_b32 v28, v30, v28, v36
	v_lshrrev_b32_e32 v30, 29, v1
	v_lshrrev_b32_e32 v1, 30, v1
	s_delay_alu instid0(VALU_DEP_3) | instskip(NEXT) | instid1(VALU_DEP_3)
	v_alignbit_b32 v35, v34, v28, 9
	v_lshlrev_b32_e32 v30, 31, v30
	v_alignbit_b32 v34, v29, v34, 9
	s_delay_alu instid0(VALU_DEP_3) | instskip(NEXT) | instid1(VALU_DEP_2)
	v_clz_i32_u32_e32 v36, v35
	v_or_b32_e32 v34, v34, v30
	v_or_b32_e32 v30, 0x33800000, v30
	s_delay_alu instid0(VALU_DEP_3) | instskip(NEXT) | instid1(VALU_DEP_3)
	v_min_u32_e32 v36, 32, v36
	v_xor_b32_e32 v34, 1.0, v34
	s_delay_alu instid0(VALU_DEP_2) | instskip(SKIP_1) | instid1(VALU_DEP_3)
	v_sub_nc_u32_e32 v37, 31, v36
	v_add_lshl_u32 v29, v36, v29, 23
	v_mul_f32_e32 v36, 0x3fc90fda, v34
	s_delay_alu instid0(VALU_DEP_3) | instskip(NEXT) | instid1(VALU_DEP_3)
	v_alignbit_b32 v28, v35, v28, v37
	v_sub_nc_u32_e32 v29, v30, v29
	s_delay_alu instid0(VALU_DEP_3) | instskip(NEXT) | instid1(VALU_DEP_3)
	v_fma_f32 v30, 0x3fc90fda, v34, -v36
	v_lshrrev_b32_e32 v28, 9, v28
	s_delay_alu instid0(VALU_DEP_2) | instskip(NEXT) | instid1(VALU_DEP_2)
	v_fmac_f32_e32 v30, 0x33a22168, v34
	v_or_b32_e32 v28, v29, v28
	s_delay_alu instid0(VALU_DEP_1) | instskip(NEXT) | instid1(VALU_DEP_1)
	v_fmac_f32_e32 v30, 0x3fc90fda, v28
	v_dual_add_f32 v29, v36, v30 :: v_dual_add_nc_u32 v30, v33, v1
.LBB97_35:                              ;   in Loop: Header=BB97_25 Depth=1
	s_and_not1_saveexec_b32 s3, s20
; %bb.36:                               ;   in Loop: Header=BB97_25 Depth=1
	v_mul_f32_e64 v1, 0x3f22f983, |v25|
	s_delay_alu instid0(VALU_DEP_1) | instskip(NEXT) | instid1(VALU_DEP_1)
	v_rndne_f32_e32 v1, v1
	v_fma_f32 v29, 0xbfc90fda, v1, |v25|
	v_cvt_i32_f32_e32 v30, v1
	s_delay_alu instid0(VALU_DEP_2) | instskip(NEXT) | instid1(VALU_DEP_1)
	v_fmac_f32_e32 v29, 0xb3a22168, v1
	v_fmac_f32_e32 v29, 0xa7c234c4, v1
; %bb.37:                               ;   in Loop: Header=BB97_25 Depth=1
	s_or_b32 exec_lo, exec_lo, s3
	v_lshlrev_b32_e32 v27, 16, v27
                                        ; implicit-def: $vgpr35
                                        ; implicit-def: $vgpr34
	s_mov_b32 s4, exec_lo
	s_delay_alu instid0(VALU_DEP_1)
	v_and_b32_e32 v28, 0x7fffffff, v27
	v_cmpx_ngt_f32_e64 0x48000000, |v27|
	s_xor_b32 s20, exec_lo, s4
	s_cbranch_execz .LBB97_39
; %bb.38:                               ;   in Loop: Header=BB97_25 Depth=1
	s_delay_alu instid0(VALU_DEP_2) | instskip(SKIP_1) | instid1(VALU_DEP_2)
	v_lshrrev_b32_e32 v38, 23, v28
	v_and_or_b32 v41, v28, s7, 0x800000
	v_add_nc_u32_e32 v39, 0xffffff88, v38
	s_delay_alu instid0(VALU_DEP_2) | instskip(NEXT) | instid1(VALU_DEP_2)
	v_mad_u64_u32 v[33:34], null, 0xfe5163ab, v41, 0
	v_cmp_lt_u32_e64 s3, 63, v39
	s_delay_alu instid0(VALU_DEP_1) | instskip(NEXT) | instid1(VALU_DEP_1)
	v_cndmask_b32_e64 v40, 0, 0xffffffc0, s3
	v_dual_mov_b32 v1, v34 :: v_dual_add_nc_u32 v40, v40, v39
	s_delay_alu instid0(VALU_DEP_1) | instskip(NEXT) | instid1(VALU_DEP_2)
	v_mad_u64_u32 v[34:35], null, 0x3c439041, v41, v[1:2]
	v_cmp_lt_u32_e64 s4, 31, v40
	s_delay_alu instid0(VALU_DEP_1) | instskip(NEXT) | instid1(VALU_DEP_1)
	v_cndmask_b32_e64 v42, 0, 0xffffffe0, s4
	v_dual_mov_b32 v1, v35 :: v_dual_add_nc_u32 v42, v42, v40
	s_delay_alu instid0(VALU_DEP_1) | instskip(NEXT) | instid1(VALU_DEP_2)
	v_mad_u64_u32 v[35:36], null, 0xdb629599, v41, v[1:2]
	v_cmp_lt_u32_e64 s5, 31, v42
	s_delay_alu instid0(VALU_DEP_2) | instskip(NEXT) | instid1(VALU_DEP_3)
	v_mov_b32_e32 v1, v36
	v_cndmask_b32_e64 v33, v35, v33, s3
	s_delay_alu instid0(VALU_DEP_2) | instskip(NEXT) | instid1(VALU_DEP_1)
	v_mad_u64_u32 v[36:37], null, 0xf534ddc0, v41, v[1:2]
	v_mov_b32_e32 v1, v37
	s_delay_alu instid0(VALU_DEP_2) | instskip(NEXT) | instid1(VALU_DEP_2)
	v_cndmask_b32_e64 v34, v36, v34, s3
	v_mad_u64_u32 v[37:38], null, 0xfc2757d1, v41, v[1:2]
	s_delay_alu instid0(VALU_DEP_2) | instskip(NEXT) | instid1(VALU_DEP_2)
	v_cndmask_b32_e64 v33, v34, v33, s4
	v_mov_b32_e32 v1, v38
	s_delay_alu instid0(VALU_DEP_1) | instskip(NEXT) | instid1(VALU_DEP_1)
	v_mad_u64_u32 v[38:39], null, 0x4e441529, v41, v[1:2]
	v_mov_b32_e32 v1, v39
	s_delay_alu instid0(VALU_DEP_1) | instskip(SKIP_1) | instid1(VALU_DEP_4)
	v_mad_u64_u32 v[39:40], null, 0xa2f9836e, v41, v[1:2]
	v_cndmask_b32_e64 v1, 0, 0xffffffe0, s5
	v_cndmask_b32_e64 v41, v38, v36, s3
	s_delay_alu instid0(VALU_DEP_2) | instskip(NEXT) | instid1(VALU_DEP_4)
	v_add_nc_u32_e32 v1, v1, v42
	v_cndmask_b32_e64 v39, v39, v37, s3
	v_cndmask_b32_e64 v38, v40, v38, s3
	v_cndmask_b32_e64 v37, v37, v35, s3
	s_delay_alu instid0(VALU_DEP_4) | instskip(NEXT) | instid1(VALU_DEP_4)
	v_sub_nc_u32_e32 v40, 32, v1
	v_cndmask_b32_e64 v36, v39, v41, s4
	s_delay_alu instid0(VALU_DEP_4) | instskip(NEXT) | instid1(VALU_DEP_4)
	v_cndmask_b32_e64 v38, v38, v39, s4
	v_cndmask_b32_e64 v39, v41, v37, s4
	;; [unrolled: 1-line block ×3, first 2 shown]
	v_cmp_eq_u32_e64 s6, 0, v1
	s_delay_alu instid0(VALU_DEP_4) | instskip(NEXT) | instid1(VALU_DEP_4)
	v_cndmask_b32_e64 v38, v38, v36, s5
	v_cndmask_b32_e64 v36, v36, v39, s5
	s_delay_alu instid0(VALU_DEP_4) | instskip(SKIP_1) | instid1(VALU_DEP_3)
	v_cndmask_b32_e64 v39, v39, v37, s5
	v_cndmask_b32_e64 v33, v37, v33, s5
	v_alignbit_b32 v41, v38, v36, v40
	s_delay_alu instid0(VALU_DEP_3) | instskip(NEXT) | instid1(VALU_DEP_3)
	v_alignbit_b32 v42, v36, v39, v40
	v_alignbit_b32 v40, v39, v33, v40
	s_delay_alu instid0(VALU_DEP_3) | instskip(NEXT) | instid1(VALU_DEP_3)
	v_cndmask_b32_e64 v1, v41, v38, s6
	v_cndmask_b32_e64 v35, v42, v36, s6
	s_delay_alu instid0(VALU_DEP_3) | instskip(NEXT) | instid1(VALU_DEP_3)
	v_cndmask_b32_e64 v39, v40, v39, s6
	v_bfe_u32 v36, v1, 29, 1
	s_delay_alu instid0(VALU_DEP_3) | instskip(NEXT) | instid1(VALU_DEP_3)
	v_alignbit_b32 v34, v1, v35, 30
	v_alignbit_b32 v35, v35, v39, 30
	;; [unrolled: 1-line block ×3, first 2 shown]
	s_delay_alu instid0(VALU_DEP_4) | instskip(NEXT) | instid1(VALU_DEP_1)
	v_sub_nc_u32_e32 v38, 0, v36
	v_xor_b32_e32 v37, v34, v38
	v_cmp_ne_u32_e64 s3, v34, v38
	v_xor_b32_e32 v35, v35, v38
	v_xor_b32_e32 v33, v33, v38
	s_delay_alu instid0(VALU_DEP_4) | instskip(NEXT) | instid1(VALU_DEP_1)
	v_clz_i32_u32_e32 v41, v37
	v_add_nc_u32_e32 v40, 1, v41
	s_delay_alu instid0(VALU_DEP_1) | instskip(NEXT) | instid1(VALU_DEP_1)
	v_cndmask_b32_e64 v34, 33, v40, s3
	v_sub_nc_u32_e32 v39, 32, v34
	s_delay_alu instid0(VALU_DEP_1) | instskip(SKIP_3) | instid1(VALU_DEP_3)
	v_alignbit_b32 v37, v37, v35, v39
	v_alignbit_b32 v33, v35, v33, v39
	v_lshrrev_b32_e32 v35, 29, v1
	v_lshrrev_b32_e32 v1, 30, v1
	v_alignbit_b32 v38, v37, v33, 9
	s_delay_alu instid0(VALU_DEP_3) | instskip(SKIP_1) | instid1(VALU_DEP_3)
	v_lshlrev_b32_e32 v35, 31, v35
	v_alignbit_b32 v37, v34, v37, 9
	v_clz_i32_u32_e32 v39, v38
	s_delay_alu instid0(VALU_DEP_2) | instskip(SKIP_1) | instid1(VALU_DEP_3)
	v_or_b32_e32 v37, v37, v35
	v_or_b32_e32 v35, 0x33800000, v35
	v_min_u32_e32 v39, 32, v39
	s_delay_alu instid0(VALU_DEP_3) | instskip(NEXT) | instid1(VALU_DEP_2)
	v_xor_b32_e32 v37, 1.0, v37
	v_sub_nc_u32_e32 v40, 31, v39
	v_add_lshl_u32 v34, v39, v34, 23
	s_delay_alu instid0(VALU_DEP_3) | instskip(NEXT) | instid1(VALU_DEP_3)
	v_mul_f32_e32 v39, 0x3fc90fda, v37
	v_alignbit_b32 v33, v38, v33, v40
	s_delay_alu instid0(VALU_DEP_3) | instskip(NEXT) | instid1(VALU_DEP_3)
	v_sub_nc_u32_e32 v34, v35, v34
	v_fma_f32 v35, 0x3fc90fda, v37, -v39
	s_delay_alu instid0(VALU_DEP_3) | instskip(NEXT) | instid1(VALU_DEP_2)
	v_lshrrev_b32_e32 v33, 9, v33
	v_fmac_f32_e32 v35, 0x33a22168, v37
	s_delay_alu instid0(VALU_DEP_2) | instskip(NEXT) | instid1(VALU_DEP_1)
	v_or_b32_e32 v33, v34, v33
	v_fmac_f32_e32 v35, 0x3fc90fda, v33
	s_delay_alu instid0(VALU_DEP_1)
	v_dual_add_f32 v34, v39, v35 :: v_dual_add_nc_u32 v35, v36, v1
.LBB97_39:                              ;   in Loop: Header=BB97_25 Depth=1
	s_and_not1_saveexec_b32 s3, s20
; %bb.40:                               ;   in Loop: Header=BB97_25 Depth=1
	v_mul_f32_e64 v1, 0x3f22f983, |v27|
	s_delay_alu instid0(VALU_DEP_1) | instskip(NEXT) | instid1(VALU_DEP_1)
	v_rndne_f32_e32 v1, v1
	v_fma_f32 v34, 0xbfc90fda, v1, |v27|
	v_cvt_i32_f32_e32 v35, v1
	s_delay_alu instid0(VALU_DEP_2) | instskip(NEXT) | instid1(VALU_DEP_1)
	v_fmac_f32_e32 v34, 0xb3a22168, v1
	v_fmac_f32_e32 v34, 0xa7c234c4, v1
; %bb.41:                               ;   in Loop: Header=BB97_25 Depth=1
	s_or_b32 exec_lo, exec_lo, s3
	v_lshlrev_b32_e32 v32, 16, v32
                                        ; implicit-def: $vgpr38
                                        ; implicit-def: $vgpr37
	s_mov_b32 s4, exec_lo
	s_delay_alu instid0(VALU_DEP_1)
	v_and_b32_e32 v33, 0x7fffffff, v32
	v_cmpx_ngt_f32_e64 0x48000000, |v32|
	s_xor_b32 s20, exec_lo, s4
	s_cbranch_execz .LBB97_43
; %bb.42:                               ;   in Loop: Header=BB97_25 Depth=1
	s_delay_alu instid0(VALU_DEP_2) | instskip(SKIP_1) | instid1(VALU_DEP_2)
	v_and_or_b32 v44, v33, s7, 0x800000
	v_lshrrev_b32_e32 v41, 23, v33
	v_mad_u64_u32 v[36:37], null, 0xfe5163ab, v44, 0
	s_delay_alu instid0(VALU_DEP_2) | instskip(NEXT) | instid1(VALU_DEP_1)
	v_add_nc_u32_e32 v42, 0xffffff88, v41
	v_cmp_lt_u32_e64 s3, 63, v42
	s_delay_alu instid0(VALU_DEP_3) | instskip(NEXT) | instid1(VALU_DEP_2)
	v_mov_b32_e32 v1, v37
	v_cndmask_b32_e64 v43, 0, 0xffffffc0, s3
	s_delay_alu instid0(VALU_DEP_2) | instskip(NEXT) | instid1(VALU_DEP_2)
	v_mad_u64_u32 v[37:38], null, 0x3c439041, v44, v[1:2]
	v_add_nc_u32_e32 v43, v43, v42
	s_delay_alu instid0(VALU_DEP_2) | instskip(NEXT) | instid1(VALU_DEP_2)
	v_mov_b32_e32 v1, v38
	v_cmp_lt_u32_e64 s4, 31, v43
	s_delay_alu instid0(VALU_DEP_2) | instskip(NEXT) | instid1(VALU_DEP_2)
	v_mad_u64_u32 v[38:39], null, 0xdb629599, v44, v[1:2]
	v_cndmask_b32_e64 v45, 0, 0xffffffe0, s4
	s_delay_alu instid0(VALU_DEP_1) | instskip(NEXT) | instid1(VALU_DEP_3)
	v_add_nc_u32_e32 v45, v45, v43
	v_mov_b32_e32 v1, v39
	s_delay_alu instid0(VALU_DEP_4) | instskip(NEXT) | instid1(VALU_DEP_3)
	v_cndmask_b32_e64 v36, v38, v36, s3
	v_cmp_lt_u32_e64 s5, 31, v45
	s_delay_alu instid0(VALU_DEP_3) | instskip(NEXT) | instid1(VALU_DEP_1)
	v_mad_u64_u32 v[39:40], null, 0xf534ddc0, v44, v[1:2]
	v_mov_b32_e32 v1, v40
	s_delay_alu instid0(VALU_DEP_2) | instskip(NEXT) | instid1(VALU_DEP_2)
	v_cndmask_b32_e64 v37, v39, v37, s3
	v_mad_u64_u32 v[40:41], null, 0xfc2757d1, v44, v[1:2]
	s_delay_alu instid0(VALU_DEP_2) | instskip(NEXT) | instid1(VALU_DEP_2)
	v_cndmask_b32_e64 v36, v37, v36, s4
	v_mov_b32_e32 v1, v41
	s_delay_alu instid0(VALU_DEP_1) | instskip(NEXT) | instid1(VALU_DEP_1)
	v_mad_u64_u32 v[41:42], null, 0x4e441529, v44, v[1:2]
	v_mov_b32_e32 v1, v42
	s_delay_alu instid0(VALU_DEP_1) | instskip(SKIP_1) | instid1(VALU_DEP_4)
	v_mad_u64_u32 v[42:43], null, 0xa2f9836e, v44, v[1:2]
	v_cndmask_b32_e64 v1, 0, 0xffffffe0, s5
	v_cndmask_b32_e64 v44, v41, v39, s3
	s_delay_alu instid0(VALU_DEP_2) | instskip(NEXT) | instid1(VALU_DEP_4)
	v_add_nc_u32_e32 v1, v1, v45
	v_cndmask_b32_e64 v42, v42, v40, s3
	v_cndmask_b32_e64 v41, v43, v41, s3
	;; [unrolled: 1-line block ×3, first 2 shown]
	s_delay_alu instid0(VALU_DEP_4) | instskip(NEXT) | instid1(VALU_DEP_4)
	v_sub_nc_u32_e32 v43, 32, v1
	v_cndmask_b32_e64 v39, v42, v44, s4
	s_delay_alu instid0(VALU_DEP_4) | instskip(NEXT) | instid1(VALU_DEP_4)
	v_cndmask_b32_e64 v41, v41, v42, s4
	v_cndmask_b32_e64 v42, v44, v40, s4
	;; [unrolled: 1-line block ×3, first 2 shown]
	v_cmp_eq_u32_e64 s6, 0, v1
	s_delay_alu instid0(VALU_DEP_4) | instskip(NEXT) | instid1(VALU_DEP_4)
	v_cndmask_b32_e64 v41, v41, v39, s5
	v_cndmask_b32_e64 v39, v39, v42, s5
	s_delay_alu instid0(VALU_DEP_4) | instskip(SKIP_1) | instid1(VALU_DEP_3)
	v_cndmask_b32_e64 v42, v42, v40, s5
	v_cndmask_b32_e64 v36, v40, v36, s5
	v_alignbit_b32 v44, v41, v39, v43
	s_delay_alu instid0(VALU_DEP_3) | instskip(NEXT) | instid1(VALU_DEP_3)
	v_alignbit_b32 v45, v39, v42, v43
	v_alignbit_b32 v43, v42, v36, v43
	s_delay_alu instid0(VALU_DEP_3) | instskip(NEXT) | instid1(VALU_DEP_3)
	v_cndmask_b32_e64 v1, v44, v41, s6
	v_cndmask_b32_e64 v38, v45, v39, s6
	s_delay_alu instid0(VALU_DEP_3) | instskip(NEXT) | instid1(VALU_DEP_3)
	v_cndmask_b32_e64 v42, v43, v42, s6
	v_bfe_u32 v39, v1, 29, 1
	s_delay_alu instid0(VALU_DEP_3) | instskip(NEXT) | instid1(VALU_DEP_3)
	v_alignbit_b32 v37, v1, v38, 30
	v_alignbit_b32 v38, v38, v42, 30
	v_alignbit_b32 v36, v42, v36, 30
	s_delay_alu instid0(VALU_DEP_4) | instskip(NEXT) | instid1(VALU_DEP_1)
	v_sub_nc_u32_e32 v41, 0, v39
	v_xor_b32_e32 v40, v37, v41
	v_cmp_ne_u32_e64 s3, v37, v41
	v_xor_b32_e32 v38, v38, v41
	v_xor_b32_e32 v36, v36, v41
	s_delay_alu instid0(VALU_DEP_4) | instskip(NEXT) | instid1(VALU_DEP_1)
	v_clz_i32_u32_e32 v44, v40
	v_add_nc_u32_e32 v43, 1, v44
	s_delay_alu instid0(VALU_DEP_1) | instskip(NEXT) | instid1(VALU_DEP_1)
	v_cndmask_b32_e64 v37, 33, v43, s3
	v_sub_nc_u32_e32 v42, 32, v37
	s_delay_alu instid0(VALU_DEP_1) | instskip(SKIP_3) | instid1(VALU_DEP_3)
	v_alignbit_b32 v40, v40, v38, v42
	v_alignbit_b32 v36, v38, v36, v42
	v_lshrrev_b32_e32 v38, 29, v1
	v_lshrrev_b32_e32 v1, 30, v1
	v_alignbit_b32 v41, v40, v36, 9
	s_delay_alu instid0(VALU_DEP_3) | instskip(SKIP_1) | instid1(VALU_DEP_3)
	v_lshlrev_b32_e32 v38, 31, v38
	v_alignbit_b32 v40, v37, v40, 9
	v_clz_i32_u32_e32 v42, v41
	s_delay_alu instid0(VALU_DEP_2) | instskip(SKIP_1) | instid1(VALU_DEP_3)
	v_or_b32_e32 v40, v40, v38
	v_or_b32_e32 v38, 0x33800000, v38
	v_min_u32_e32 v42, 32, v42
	s_delay_alu instid0(VALU_DEP_3) | instskip(NEXT) | instid1(VALU_DEP_2)
	v_xor_b32_e32 v40, 1.0, v40
	v_sub_nc_u32_e32 v43, 31, v42
	v_add_lshl_u32 v37, v42, v37, 23
	s_delay_alu instid0(VALU_DEP_3) | instskip(NEXT) | instid1(VALU_DEP_3)
	v_mul_f32_e32 v42, 0x3fc90fda, v40
	v_alignbit_b32 v36, v41, v36, v43
	s_delay_alu instid0(VALU_DEP_3) | instskip(NEXT) | instid1(VALU_DEP_3)
	v_sub_nc_u32_e32 v37, v38, v37
	v_fma_f32 v38, 0x3fc90fda, v40, -v42
	s_delay_alu instid0(VALU_DEP_3) | instskip(NEXT) | instid1(VALU_DEP_2)
	v_lshrrev_b32_e32 v36, 9, v36
	v_fmac_f32_e32 v38, 0x33a22168, v40
	s_delay_alu instid0(VALU_DEP_2) | instskip(NEXT) | instid1(VALU_DEP_1)
	v_or_b32_e32 v36, v37, v36
	v_fmac_f32_e32 v38, 0x3fc90fda, v36
	s_delay_alu instid0(VALU_DEP_1)
	v_dual_add_f32 v37, v42, v38 :: v_dual_add_nc_u32 v38, v39, v1
.LBB97_43:                              ;   in Loop: Header=BB97_25 Depth=1
	s_and_not1_saveexec_b32 s3, s20
; %bb.44:                               ;   in Loop: Header=BB97_25 Depth=1
	v_mul_f32_e64 v1, 0x3f22f983, |v32|
	s_delay_alu instid0(VALU_DEP_1) | instskip(NEXT) | instid1(VALU_DEP_1)
	v_rndne_f32_e32 v1, v1
	v_fma_f32 v37, 0xbfc90fda, v1, |v32|
	v_cvt_i32_f32_e32 v38, v1
	s_delay_alu instid0(VALU_DEP_2) | instskip(NEXT) | instid1(VALU_DEP_1)
	v_fmac_f32_e32 v37, 0xb3a22168, v1
	v_fmac_f32_e32 v37, 0xa7c234c4, v1
; %bb.45:                               ;   in Loop: Header=BB97_25 Depth=1
	s_or_b32 exec_lo, exec_lo, s3
	v_lshlrev_b32_e32 v31, 16, v31
                                        ; implicit-def: $vgpr39
                                        ; implicit-def: $vgpr1
	s_mov_b32 s4, exec_lo
	s_delay_alu instid0(VALU_DEP_1)
	v_and_b32_e32 v36, 0x7fffffff, v31
	v_cmpx_ngt_f32_e64 0x48000000, |v31|
	s_xor_b32 s20, exec_lo, s4
	s_cbranch_execnz .LBB97_51
; %bb.46:                               ;   in Loop: Header=BB97_25 Depth=1
	s_and_not1_saveexec_b32 s3, s20
	s_cbranch_execnz .LBB97_52
.LBB97_47:                              ;   in Loop: Header=BB97_25 Depth=1
	s_or_b32 exec_lo, exec_lo, s3
	s_and_saveexec_b32 s3, s2
	s_delay_alu instid0(SALU_CYCLE_1)
	s_xor_b32 s3, exec_lo, s3
	s_cbranch_execnz .LBB97_53
.LBB97_48:                              ;   in Loop: Header=BB97_25 Depth=1
	s_or_b32 exec_lo, exec_lo, s3
	s_and_saveexec_b32 s2, s1
	s_cbranch_execnz .LBB97_54
.LBB97_49:                              ;   in Loop: Header=BB97_25 Depth=1
	s_or_b32 exec_lo, exec_lo, s2
	s_and_saveexec_b32 s1, s0
	s_cbranch_execnz .LBB97_55
.LBB97_50:                              ;   in Loop: Header=BB97_25 Depth=1
	s_or_b32 exec_lo, exec_lo, s1
	s_and_saveexec_b32 s0, vcc_lo
	s_cbranch_execz .LBB97_24
	s_branch .LBB97_56
.LBB97_51:                              ;   in Loop: Header=BB97_25 Depth=1
	s_delay_alu instid0(VALU_DEP_2) | instskip(SKIP_1) | instid1(VALU_DEP_2)
	v_lshrrev_b32_e32 v44, 23, v36
	v_and_or_b32 v47, v36, s7, 0x800000
	v_add_nc_u32_e32 v45, 0xffffff88, v44
	s_delay_alu instid0(VALU_DEP_2) | instskip(NEXT) | instid1(VALU_DEP_2)
	v_mad_u64_u32 v[39:40], null, 0xfe5163ab, v47, 0
	v_cmp_lt_u32_e64 s3, 63, v45
	s_delay_alu instid0(VALU_DEP_1) | instskip(NEXT) | instid1(VALU_DEP_1)
	v_cndmask_b32_e64 v46, 0, 0xffffffc0, s3
	v_dual_mov_b32 v1, v40 :: v_dual_add_nc_u32 v46, v46, v45
	s_delay_alu instid0(VALU_DEP_1) | instskip(NEXT) | instid1(VALU_DEP_2)
	v_mad_u64_u32 v[40:41], null, 0x3c439041, v47, v[1:2]
	v_cmp_lt_u32_e64 s4, 31, v46
	s_delay_alu instid0(VALU_DEP_1) | instskip(NEXT) | instid1(VALU_DEP_1)
	v_cndmask_b32_e64 v48, 0, 0xffffffe0, s4
	v_dual_mov_b32 v1, v41 :: v_dual_add_nc_u32 v48, v48, v46
	s_delay_alu instid0(VALU_DEP_1) | instskip(NEXT) | instid1(VALU_DEP_2)
	v_mad_u64_u32 v[41:42], null, 0xdb629599, v47, v[1:2]
	v_cmp_lt_u32_e64 s5, 31, v48
	s_delay_alu instid0(VALU_DEP_2) | instskip(NEXT) | instid1(VALU_DEP_3)
	v_mov_b32_e32 v1, v42
	v_cndmask_b32_e64 v39, v41, v39, s3
	s_delay_alu instid0(VALU_DEP_2) | instskip(NEXT) | instid1(VALU_DEP_1)
	v_mad_u64_u32 v[42:43], null, 0xf534ddc0, v47, v[1:2]
	v_mov_b32_e32 v1, v43
	s_delay_alu instid0(VALU_DEP_2) | instskip(NEXT) | instid1(VALU_DEP_2)
	v_cndmask_b32_e64 v40, v42, v40, s3
	v_mad_u64_u32 v[43:44], null, 0xfc2757d1, v47, v[1:2]
	s_delay_alu instid0(VALU_DEP_2) | instskip(NEXT) | instid1(VALU_DEP_2)
	v_cndmask_b32_e64 v39, v40, v39, s4
	v_mov_b32_e32 v1, v44
	s_delay_alu instid0(VALU_DEP_1) | instskip(NEXT) | instid1(VALU_DEP_1)
	v_mad_u64_u32 v[44:45], null, 0x4e441529, v47, v[1:2]
	v_mov_b32_e32 v1, v45
	s_delay_alu instid0(VALU_DEP_1) | instskip(SKIP_1) | instid1(VALU_DEP_4)
	v_mad_u64_u32 v[45:46], null, 0xa2f9836e, v47, v[1:2]
	v_cndmask_b32_e64 v1, 0, 0xffffffe0, s5
	v_cndmask_b32_e64 v47, v44, v42, s3
	s_delay_alu instid0(VALU_DEP_2) | instskip(NEXT) | instid1(VALU_DEP_4)
	v_add_nc_u32_e32 v1, v1, v48
	v_cndmask_b32_e64 v45, v45, v43, s3
	v_cndmask_b32_e64 v44, v46, v44, s3
	;; [unrolled: 1-line block ×3, first 2 shown]
	s_delay_alu instid0(VALU_DEP_4) | instskip(NEXT) | instid1(VALU_DEP_4)
	v_sub_nc_u32_e32 v46, 32, v1
	v_cndmask_b32_e64 v42, v45, v47, s4
	s_delay_alu instid0(VALU_DEP_4) | instskip(NEXT) | instid1(VALU_DEP_4)
	v_cndmask_b32_e64 v44, v44, v45, s4
	v_cndmask_b32_e64 v45, v47, v43, s4
	;; [unrolled: 1-line block ×3, first 2 shown]
	v_cmp_eq_u32_e64 s6, 0, v1
	s_delay_alu instid0(VALU_DEP_4) | instskip(NEXT) | instid1(VALU_DEP_4)
	v_cndmask_b32_e64 v44, v44, v42, s5
	v_cndmask_b32_e64 v42, v42, v45, s5
	s_delay_alu instid0(VALU_DEP_4) | instskip(SKIP_1) | instid1(VALU_DEP_3)
	v_cndmask_b32_e64 v45, v45, v43, s5
	v_cndmask_b32_e64 v39, v43, v39, s5
	v_alignbit_b32 v47, v44, v42, v46
	s_delay_alu instid0(VALU_DEP_3) | instskip(NEXT) | instid1(VALU_DEP_3)
	v_alignbit_b32 v48, v42, v45, v46
	v_alignbit_b32 v46, v45, v39, v46
	s_delay_alu instid0(VALU_DEP_3) | instskip(NEXT) | instid1(VALU_DEP_3)
	v_cndmask_b32_e64 v1, v47, v44, s6
	v_cndmask_b32_e64 v41, v48, v42, s6
	s_delay_alu instid0(VALU_DEP_3) | instskip(NEXT) | instid1(VALU_DEP_3)
	v_cndmask_b32_e64 v45, v46, v45, s6
	v_bfe_u32 v42, v1, 29, 1
	s_delay_alu instid0(VALU_DEP_3) | instskip(NEXT) | instid1(VALU_DEP_3)
	v_alignbit_b32 v40, v1, v41, 30
	v_alignbit_b32 v41, v41, v45, 30
	;; [unrolled: 1-line block ×3, first 2 shown]
	s_delay_alu instid0(VALU_DEP_4) | instskip(NEXT) | instid1(VALU_DEP_1)
	v_sub_nc_u32_e32 v44, 0, v42
	v_xor_b32_e32 v43, v40, v44
	v_cmp_ne_u32_e64 s3, v40, v44
	v_xor_b32_e32 v41, v41, v44
	v_xor_b32_e32 v39, v39, v44
	s_delay_alu instid0(VALU_DEP_4) | instskip(NEXT) | instid1(VALU_DEP_1)
	v_clz_i32_u32_e32 v47, v43
	v_add_nc_u32_e32 v46, 1, v47
	s_delay_alu instid0(VALU_DEP_1) | instskip(NEXT) | instid1(VALU_DEP_1)
	v_cndmask_b32_e64 v40, 33, v46, s3
	v_sub_nc_u32_e32 v45, 32, v40
	s_delay_alu instid0(VALU_DEP_1) | instskip(SKIP_2) | instid1(VALU_DEP_2)
	v_alignbit_b32 v43, v43, v41, v45
	v_alignbit_b32 v39, v41, v39, v45
	v_lshrrev_b32_e32 v41, 29, v1
	v_alignbit_b32 v44, v43, v39, 9
	s_delay_alu instid0(VALU_DEP_2) | instskip(SKIP_1) | instid1(VALU_DEP_3)
	v_lshlrev_b32_e32 v41, 31, v41
	v_alignbit_b32 v43, v40, v43, 9
	v_clz_i32_u32_e32 v45, v44
	s_delay_alu instid0(VALU_DEP_2) | instskip(SKIP_1) | instid1(VALU_DEP_3)
	v_or_b32_e32 v43, v43, v41
	v_or_b32_e32 v41, 0x33800000, v41
	v_min_u32_e32 v45, 32, v45
	s_delay_alu instid0(VALU_DEP_3) | instskip(NEXT) | instid1(VALU_DEP_2)
	v_xor_b32_e32 v43, 1.0, v43
	v_sub_nc_u32_e32 v46, 31, v45
	v_add_lshl_u32 v40, v45, v40, 23
	s_delay_alu instid0(VALU_DEP_3) | instskip(NEXT) | instid1(VALU_DEP_3)
	v_mul_f32_e32 v45, 0x3fc90fda, v43
	v_alignbit_b32 v39, v44, v39, v46
	s_delay_alu instid0(VALU_DEP_3) | instskip(NEXT) | instid1(VALU_DEP_3)
	v_sub_nc_u32_e32 v40, v41, v40
	v_fma_f32 v41, 0x3fc90fda, v43, -v45
	s_delay_alu instid0(VALU_DEP_3) | instskip(NEXT) | instid1(VALU_DEP_2)
	v_lshrrev_b32_e32 v39, 9, v39
	v_fmac_f32_e32 v41, 0x33a22168, v43
	s_delay_alu instid0(VALU_DEP_2) | instskip(NEXT) | instid1(VALU_DEP_1)
	v_or_b32_e32 v39, v40, v39
	v_fmac_f32_e32 v41, 0x3fc90fda, v39
	v_lshrrev_b32_e32 v39, 30, v1
	s_delay_alu instid0(VALU_DEP_2) | instskip(NEXT) | instid1(VALU_DEP_2)
	v_add_f32_e32 v1, v45, v41
	v_add_nc_u32_e32 v39, v42, v39
	s_and_not1_saveexec_b32 s3, s20
	s_cbranch_execz .LBB97_47
.LBB97_52:                              ;   in Loop: Header=BB97_25 Depth=1
	v_mul_f32_e64 v1, 0x3f22f983, |v31|
	s_delay_alu instid0(VALU_DEP_1) | instskip(NEXT) | instid1(VALU_DEP_1)
	v_rndne_f32_e32 v39, v1
	v_fma_f32 v1, 0xbfc90fda, v39, |v31|
	s_delay_alu instid0(VALU_DEP_1) | instskip(NEXT) | instid1(VALU_DEP_1)
	v_fmac_f32_e32 v1, 0xb3a22168, v39
	v_fmac_f32_e32 v1, 0xa7c234c4, v39
	v_cvt_i32_f32_e32 v39, v39
	s_or_b32 exec_lo, exec_lo, s3
	s_and_saveexec_b32 s3, s2
	s_delay_alu instid0(SALU_CYCLE_1)
	s_xor_b32 s3, exec_lo, s3
	s_cbranch_execz .LBB97_48
.LBB97_53:                              ;   in Loop: Header=BB97_25 Depth=1
	v_mul_f32_e32 v40, v29, v29
	s_delay_alu instid0(VALU_DEP_1) | instskip(SKIP_1) | instid1(VALU_DEP_2)
	v_dual_fmaak_f32 v41, s19, v40, 0xbf039337 :: v_dual_and_b32 v30, 1, v30
	v_fmaak_f32 v42, s18, v40, 0x3ec54587
	v_cmp_eq_u32_e64 s2, 0, v30
	s_delay_alu instid0(VALU_DEP_3) | instskip(NEXT) | instid1(VALU_DEP_1)
	v_fmaak_f32 v41, v40, v41, 0x3f93f425
	v_rcp_f32_e32 v41, v41
	s_waitcnt_depctr 0xfff
	v_mul_f32_e32 v41, v42, v41
	s_delay_alu instid0(VALU_DEP_1) | instskip(NEXT) | instid1(VALU_DEP_1)
	v_mul_f32_e32 v40, v40, v41
	v_fma_f32 v41, v40, v29, v29
	s_delay_alu instid0(VALU_DEP_1) | instskip(SKIP_1) | instid1(VALU_DEP_1)
	v_sub_f32_e32 v43, v41, v29
	v_rcp_f32_e32 v42, v41
	v_fma_f32 v29, v40, v29, -v43
	s_waitcnt_depctr 0xfff
	v_fma_f32 v40, v41, -v42, 1.0
	s_delay_alu instid0(VALU_DEP_1) | instskip(NEXT) | instid1(VALU_DEP_1)
	v_fma_f32 v29, v29, -v42, v40
	v_fma_f32 v29, v29, -v42, -v42
	s_delay_alu instid0(VALU_DEP_1) | instskip(SKIP_1) | instid1(VALU_DEP_2)
	v_cndmask_b32_e64 v29, v29, v41, s2
	v_cmp_class_f32_e64 s2, v25, 0x1f8
	v_xor3_b32 v26, v26, v29, v25
	s_delay_alu instid0(VALU_DEP_1) | instskip(NEXT) | instid1(VALU_DEP_1)
	v_cndmask_b32_e64 v25, 0x7fc00000, v26, s2
	v_bfe_u32 v26, v25, 16, 1
	v_cmp_o_f32_e64 s2, v25, v25
	s_delay_alu instid0(VALU_DEP_2) | instskip(NEXT) | instid1(VALU_DEP_1)
	v_add3_u32 v26, v25, v26, 0x7fff
	v_lshrrev_b32_e32 v26, 16, v26
	s_delay_alu instid0(VALU_DEP_1) | instskip(SKIP_1) | instid1(VALU_DEP_1)
	v_cndmask_b32_e64 v29, 0x7fc0, v26, s2
	v_add_co_u32 v25, s2, v5, s8
	v_add_co_ci_u32_e64 v26, s2, s9, v6, s2
	global_store_b16 v[25:26], v29, off
	s_or_b32 exec_lo, exec_lo, s3
	s_and_saveexec_b32 s2, s1
	s_cbranch_execz .LBB97_49
.LBB97_54:                              ;   in Loop: Header=BB97_25 Depth=1
	v_mul_f32_e32 v25, v34, v34
	s_delay_alu instid0(VALU_DEP_1) | instskip(SKIP_1) | instid1(VALU_DEP_2)
	v_fmaak_f32 v26, s19, v25, 0xbf039337
	v_fmaak_f32 v29, s18, v25, 0x3ec54587
	;; [unrolled: 1-line block ×3, first 2 shown]
	s_delay_alu instid0(VALU_DEP_1) | instskip(SKIP_2) | instid1(VALU_DEP_1)
	v_rcp_f32_e32 v26, v26
	s_waitcnt_depctr 0xfff
	v_mul_f32_e32 v26, v29, v26
	v_mul_f32_e32 v25, v25, v26
	s_delay_alu instid0(VALU_DEP_1) | instskip(NEXT) | instid1(VALU_DEP_1)
	v_fma_f32 v26, v25, v34, v34
	v_sub_f32_e32 v30, v26, v34
	v_rcp_f32_e32 v29, v26
	s_delay_alu instid0(VALU_DEP_1) | instskip(SKIP_2) | instid1(VALU_DEP_1)
	v_fma_f32 v25, v25, v34, -v30
	s_waitcnt_depctr 0xfff
	v_fma_f32 v30, v26, -v29, 1.0
	v_fma_f32 v25, v25, -v29, v30
	v_and_b32_e32 v30, 1, v35
	s_delay_alu instid0(VALU_DEP_2) | instskip(NEXT) | instid1(VALU_DEP_2)
	v_fma_f32 v25, v25, -v29, -v29
	v_cmp_eq_u32_e64 s1, 0, v30
	s_delay_alu instid0(VALU_DEP_1) | instskip(SKIP_1) | instid1(VALU_DEP_2)
	v_cndmask_b32_e64 v25, v25, v26, s1
	v_cmp_class_f32_e64 s1, v27, 0x1f8
	v_xor3_b32 v25, v28, v25, v27
	s_delay_alu instid0(VALU_DEP_1) | instskip(NEXT) | instid1(VALU_DEP_1)
	v_cndmask_b32_e64 v25, 0x7fc00000, v25, s1
	v_bfe_u32 v26, v25, 16, 1
	v_cmp_o_f32_e64 s1, v25, v25
	s_delay_alu instid0(VALU_DEP_2) | instskip(NEXT) | instid1(VALU_DEP_1)
	v_add3_u32 v26, v25, v26, 0x7fff
	v_lshrrev_b32_e32 v26, 16, v26
	s_delay_alu instid0(VALU_DEP_1) | instskip(SKIP_1) | instid1(VALU_DEP_1)
	v_cndmask_b32_e64 v27, 0x7fc0, v26, s1
	v_add_co_u32 v25, s1, v23, s8
	v_add_co_ci_u32_e64 v26, s1, s9, v24, s1
	global_store_b16 v[25:26], v27, off
	s_or_b32 exec_lo, exec_lo, s2
	s_and_saveexec_b32 s1, s0
	s_cbranch_execz .LBB97_50
.LBB97_55:                              ;   in Loop: Header=BB97_25 Depth=1
	v_mul_f32_e32 v25, v37, v37
	s_delay_alu instid0(VALU_DEP_1) | instskip(SKIP_1) | instid1(VALU_DEP_2)
	v_fmaak_f32 v26, s19, v25, 0xbf039337
	v_fmaak_f32 v27, s18, v25, 0x3ec54587
	v_fmaak_f32 v26, v25, v26, 0x3f93f425
	s_delay_alu instid0(VALU_DEP_1) | instskip(SKIP_2) | instid1(VALU_DEP_1)
	v_rcp_f32_e32 v26, v26
	s_waitcnt_depctr 0xfff
	v_mul_f32_e32 v26, v27, v26
	v_mul_f32_e32 v25, v25, v26
	s_delay_alu instid0(VALU_DEP_1) | instskip(NEXT) | instid1(VALU_DEP_1)
	v_fma_f32 v26, v25, v37, v37
	v_sub_f32_e32 v28, v26, v37
	v_rcp_f32_e32 v27, v26
	s_delay_alu instid0(VALU_DEP_1) | instskip(SKIP_2) | instid1(VALU_DEP_1)
	v_fma_f32 v25, v25, v37, -v28
	s_waitcnt_depctr 0xfff
	v_fma_f32 v28, v26, -v27, 1.0
	v_fma_f32 v25, v25, -v27, v28
	v_and_b32_e32 v28, 1, v38
	s_delay_alu instid0(VALU_DEP_2) | instskip(NEXT) | instid1(VALU_DEP_2)
	v_fma_f32 v25, v25, -v27, -v27
	v_cmp_eq_u32_e64 s0, 0, v28
	s_delay_alu instid0(VALU_DEP_1) | instskip(SKIP_1) | instid1(VALU_DEP_2)
	v_cndmask_b32_e64 v25, v25, v26, s0
	v_cmp_class_f32_e64 s0, v32, 0x1f8
	v_xor3_b32 v25, v33, v25, v32
	s_delay_alu instid0(VALU_DEP_1) | instskip(NEXT) | instid1(VALU_DEP_1)
	v_cndmask_b32_e64 v25, 0x7fc00000, v25, s0
	v_bfe_u32 v26, v25, 16, 1
	v_cmp_o_f32_e64 s0, v25, v25
	s_delay_alu instid0(VALU_DEP_2) | instskip(NEXT) | instid1(VALU_DEP_1)
	v_add3_u32 v26, v25, v26, 0x7fff
	v_lshrrev_b32_e32 v26, 16, v26
	s_delay_alu instid0(VALU_DEP_1) | instskip(SKIP_1) | instid1(VALU_DEP_1)
	v_cndmask_b32_e64 v27, 0x7fc0, v26, s0
	v_add_co_u32 v25, s0, v16, s8
	v_add_co_ci_u32_e64 v26, s0, s9, v17, s0
	global_store_b16 v[25:26], v27, off
	s_or_b32 exec_lo, exec_lo, s1
	s_and_saveexec_b32 s0, vcc_lo
	s_cbranch_execz .LBB97_24
.LBB97_56:                              ;   in Loop: Header=BB97_25 Depth=1
	v_mul_f32_e32 v25, v1, v1
	s_delay_alu instid0(VALU_DEP_1) | instskip(SKIP_1) | instid1(VALU_DEP_2)
	v_fmaak_f32 v26, s19, v25, 0xbf039337
	v_fmaak_f32 v27, s18, v25, 0x3ec54587
	v_fmaak_f32 v26, v25, v26, 0x3f93f425
	s_delay_alu instid0(VALU_DEP_1) | instskip(SKIP_2) | instid1(VALU_DEP_1)
	v_rcp_f32_e32 v26, v26
	s_waitcnt_depctr 0xfff
	v_mul_f32_e32 v26, v27, v26
	v_mul_f32_e32 v25, v25, v26
	s_delay_alu instid0(VALU_DEP_1) | instskip(NEXT) | instid1(VALU_DEP_1)
	v_fma_f32 v26, v25, v1, v1
	v_sub_f32_e32 v28, v26, v1
	v_rcp_f32_e32 v27, v26
	s_delay_alu instid0(VALU_DEP_1) | instskip(SKIP_2) | instid1(VALU_DEP_1)
	v_fma_f32 v1, v25, v1, -v28
	s_waitcnt_depctr 0xfff
	v_fma_f32 v25, v26, -v27, 1.0
	v_fma_f32 v1, v1, -v27, v25
	v_and_b32_e32 v25, 1, v39
	s_delay_alu instid0(VALU_DEP_2) | instskip(NEXT) | instid1(VALU_DEP_2)
	v_fma_f32 v1, v1, -v27, -v27
	v_cmp_eq_u32_e32 vcc_lo, 0, v25
	s_delay_alu instid0(VALU_DEP_2) | instskip(SKIP_1) | instid1(VALU_DEP_2)
	v_cndmask_b32_e32 v1, v1, v26, vcc_lo
	v_cmp_class_f32_e64 vcc_lo, v31, 0x1f8
	v_xor3_b32 v1, v36, v1, v31
	s_delay_alu instid0(VALU_DEP_1) | instskip(NEXT) | instid1(VALU_DEP_1)
	v_cndmask_b32_e32 v1, 0x7fc00000, v1, vcc_lo
	v_bfe_u32 v25, v1, 16, 1
	v_cmp_o_f32_e32 vcc_lo, v1, v1
	s_delay_alu instid0(VALU_DEP_2) | instskip(NEXT) | instid1(VALU_DEP_1)
	v_add3_u32 v25, v1, v25, 0x7fff
	v_lshrrev_b32_e32 v25, 16, v25
	s_delay_alu instid0(VALU_DEP_1)
	v_cndmask_b32_e32 v1, 0x7fc0, v25, vcc_lo
	v_add_co_u32 v25, vcc_lo, v9, s8
	v_add_co_ci_u32_e32 v26, vcc_lo, s9, v10, vcc_lo
	global_store_b16 v[25:26], v1, off
	s_branch .LBB97_24
.LBB97_57:
	s_nop 0
	s_sendmsg sendmsg(MSG_DEALLOC_VGPRS)
	s_endpgm
	.section	.rodata,"a",@progbits
	.p2align	6, 0x0
	.amdhsa_kernel _ZN2at6native12_GLOBAL__N_125multi_tensor_apply_kernelINS1_18TensorListMetadataILi2EEENS1_14UnaryOpFunctorIN3c108BFloat16ELi2ELi1ELi1EEEJNS0_3TanIfEEEEEvT_T0_DpT1_
		.amdhsa_group_segment_fixed_size 0
		.amdhsa_private_segment_fixed_size 0
		.amdhsa_kernarg_size 3408
		.amdhsa_user_sgpr_count 15
		.amdhsa_user_sgpr_dispatch_ptr 0
		.amdhsa_user_sgpr_queue_ptr 0
		.amdhsa_user_sgpr_kernarg_segment_ptr 1
		.amdhsa_user_sgpr_dispatch_id 0
		.amdhsa_user_sgpr_private_segment_size 0
		.amdhsa_wavefront_size32 1
		.amdhsa_uses_dynamic_stack 0
		.amdhsa_enable_private_segment 0
		.amdhsa_system_sgpr_workgroup_id_x 1
		.amdhsa_system_sgpr_workgroup_id_y 0
		.amdhsa_system_sgpr_workgroup_id_z 0
		.amdhsa_system_sgpr_workgroup_info 0
		.amdhsa_system_vgpr_workitem_id 0
		.amdhsa_next_free_vgpr 49
		.amdhsa_next_free_sgpr 21
		.amdhsa_reserve_vcc 1
		.amdhsa_float_round_mode_32 0
		.amdhsa_float_round_mode_16_64 0
		.amdhsa_float_denorm_mode_32 3
		.amdhsa_float_denorm_mode_16_64 3
		.amdhsa_dx10_clamp 1
		.amdhsa_ieee_mode 1
		.amdhsa_fp16_overflow 0
		.amdhsa_workgroup_processor_mode 1
		.amdhsa_memory_ordered 1
		.amdhsa_forward_progress 0
		.amdhsa_shared_vgpr_count 0
		.amdhsa_exception_fp_ieee_invalid_op 0
		.amdhsa_exception_fp_denorm_src 0
		.amdhsa_exception_fp_ieee_div_zero 0
		.amdhsa_exception_fp_ieee_overflow 0
		.amdhsa_exception_fp_ieee_underflow 0
		.amdhsa_exception_fp_ieee_inexact 0
		.amdhsa_exception_int_div_zero 0
	.end_amdhsa_kernel
	.section	.text._ZN2at6native12_GLOBAL__N_125multi_tensor_apply_kernelINS1_18TensorListMetadataILi2EEENS1_14UnaryOpFunctorIN3c108BFloat16ELi2ELi1ELi1EEEJNS0_3TanIfEEEEEvT_T0_DpT1_,"axG",@progbits,_ZN2at6native12_GLOBAL__N_125multi_tensor_apply_kernelINS1_18TensorListMetadataILi2EEENS1_14UnaryOpFunctorIN3c108BFloat16ELi2ELi1ELi1EEEJNS0_3TanIfEEEEEvT_T0_DpT1_,comdat
.Lfunc_end97:
	.size	_ZN2at6native12_GLOBAL__N_125multi_tensor_apply_kernelINS1_18TensorListMetadataILi2EEENS1_14UnaryOpFunctorIN3c108BFloat16ELi2ELi1ELi1EEEJNS0_3TanIfEEEEEvT_T0_DpT1_, .Lfunc_end97-_ZN2at6native12_GLOBAL__N_125multi_tensor_apply_kernelINS1_18TensorListMetadataILi2EEENS1_14UnaryOpFunctorIN3c108BFloat16ELi2ELi1ELi1EEEJNS0_3TanIfEEEEEvT_T0_DpT1_
                                        ; -- End function
	.section	.AMDGPU.csdata,"",@progbits
; Kernel info:
; codeLenInByte = 9632
; NumSgprs: 23
; NumVgprs: 49
; ScratchSize: 0
; MemoryBound: 0
; FloatMode: 240
; IeeeMode: 1
; LDSByteSize: 0 bytes/workgroup (compile time only)
; SGPRBlocks: 2
; VGPRBlocks: 6
; NumSGPRsForWavesPerEU: 23
; NumVGPRsForWavesPerEU: 49
; Occupancy: 16
; WaveLimiterHint : 0
; COMPUTE_PGM_RSRC2:SCRATCH_EN: 0
; COMPUTE_PGM_RSRC2:USER_SGPR: 15
; COMPUTE_PGM_RSRC2:TRAP_HANDLER: 0
; COMPUTE_PGM_RSRC2:TGID_X_EN: 1
; COMPUTE_PGM_RSRC2:TGID_Y_EN: 0
; COMPUTE_PGM_RSRC2:TGID_Z_EN: 0
; COMPUTE_PGM_RSRC2:TIDIG_COMP_CNT: 0
	.section	.text._ZN2at6native12_GLOBAL__N_125multi_tensor_apply_kernelINS1_18TensorListMetadataILi1EEENS1_14UnaryOpFunctorIdLi1ELi1ELi0EEEJNS0_3TanIdEEEEEvT_T0_DpT1_,"axG",@progbits,_ZN2at6native12_GLOBAL__N_125multi_tensor_apply_kernelINS1_18TensorListMetadataILi1EEENS1_14UnaryOpFunctorIdLi1ELi1ELi0EEEJNS0_3TanIdEEEEEvT_T0_DpT1_,comdat
	.globl	_ZN2at6native12_GLOBAL__N_125multi_tensor_apply_kernelINS1_18TensorListMetadataILi1EEENS1_14UnaryOpFunctorIdLi1ELi1ELi0EEEJNS0_3TanIdEEEEEvT_T0_DpT1_ ; -- Begin function _ZN2at6native12_GLOBAL__N_125multi_tensor_apply_kernelINS1_18TensorListMetadataILi1EEENS1_14UnaryOpFunctorIdLi1ELi1ELi0EEEJNS0_3TanIdEEEEEvT_T0_DpT1_
	.p2align	8
	.type	_ZN2at6native12_GLOBAL__N_125multi_tensor_apply_kernelINS1_18TensorListMetadataILi1EEENS1_14UnaryOpFunctorIdLi1ELi1ELi0EEEJNS0_3TanIdEEEEEvT_T0_DpT1_,@function
_ZN2at6native12_GLOBAL__N_125multi_tensor_apply_kernelINS1_18TensorListMetadataILi1EEENS1_14UnaryOpFunctorIdLi1ELi1ELi0EEEJNS0_3TanIdEEEEEvT_T0_DpT1_: ; @_ZN2at6native12_GLOBAL__N_125multi_tensor_apply_kernelINS1_18TensorListMetadataILi1EEENS1_14UnaryOpFunctorIdLi1ELi1ELi0EEEJNS0_3TanIdEEEEEvT_T0_DpT1_
; %bb.0:
	v_mov_b32_e32 v1, s15
	s_add_u32 s2, s0, s15
	s_mul_hi_u32 s3, s15, 3
	s_mul_i32 s15, s15, 3
	s_addc_u32 s4, s1, 0
	global_load_u8 v1, v1, s[0:1] offset:1760
	s_add_u32 s2, s2, s15
	s_addc_u32 s3, s4, s3
	s_mov_b32 s7, 0
	s_load_b32 s2, s[2:3], 0x820
	s_waitcnt vmcnt(0)
	v_readfirstlane_b32 s5, v1
	s_delay_alu instid0(VALU_DEP_1)
	s_lshl_b32 s3, s5, 3
	s_clause 0x1
	s_load_b64 s[8:9], s[0:1], s3 offset:0x0
	s_load_b64 s[4:5], s[0:1], s3 offset:0x370
	s_waitcnt lgkmcnt(0)
	s_ashr_i32 s3, s2, 31
	s_delay_alu instid0(SALU_CYCLE_1)
	s_lshl_b64 s[12:13], s[2:3], 19
	s_lshl_b64 s[2:3], s[2:3], 16
	s_and_b32 s6, s8, 31
	s_sub_u32 s10, s4, s2
	s_subb_u32 s11, s5, s3
	s_and_b32 s2, s4, 3
	s_mov_b32 s3, s7
	s_delay_alu instid0(SALU_CYCLE_1) | instskip(NEXT) | instid1(SALU_CYCLE_1)
	s_or_b64 s[2:3], s[6:7], s[2:3]
	s_cmp_eq_u64 s[2:3], 0
	s_cbranch_scc1 .LBB98_37
; %bb.1:
	v_cmp_lt_i64_e64 s2, s[10:11], 1
	s_delay_alu instid0(VALU_DEP_1)
	s_and_b32 vcc_lo, exec_lo, s2
	s_cbranch_vccnz .LBB98_36
; %bb.2:
	s_load_b32 s2, s[0:1], 0xd3c
	v_cmp_gt_u64_e64 s3, 0x10000, s[10:11]
	v_dual_mov_b32 v1, 0 :: v_dual_lshlrev_b32 v2, 3, v0
	s_mov_b32 s16, 0x54442d18
	s_mov_b32 s18, 0x6dc9c883
	;; [unrolled: 1-line block ×16, first 2 shown]
	s_waitcnt lgkmcnt(0)
	s_and_b32 s2, s2, 0xffff
	s_and_b32 s3, s3, exec_lo
	v_add_co_u32 v31, s5, v0, s2
	s_cselect_b32 s15, s11, 0
	s_cselect_b32 s14, s10, 0x10000
	s_lshl_b32 s3, s2, 1
	s_lshl_b32 s33, s2, 2
	s_add_u32 s6, s8, s12
	s_mul_i32 s4, s2, 3
	s_mul_i32 s60, s2, 24
	s_addc_u32 s7, s9, s13
	s_lshl_b32 s61, s2, 5
	s_lshl_b32 s62, s2, 4
	v_add_co_u32 v3, s2, s6, v2
	v_lshlrev_b32_e32 v2, 3, v31
	v_add_co_ci_u32_e64 v4, null, s7, 0, s2
	v_add_co_u32 v35, s2, s3, v0
	v_add_co_u32 v32, s4, s4, v0
	v_add_co_ci_u32_e64 v36, null, 0, 0, s2
	v_add_co_u32 v5, s2, s6, v2
	v_add_co_ci_u32_e64 v33, null, 0, 0, s4
	v_add_co_ci_u32_e64 v34, null, 0, 0, s5
	;; [unrolled: 1-line block ×3, first 2 shown]
	s_mov_b32 s50, 0x111185b7
	s_mov_b32 s52, 0x555554ee
	;; [unrolled: 1-line block ×20, first 2 shown]
	s_mov_b64 s[54:55], 0
	s_mov_b32 s7, 0x3ff921fb
	s_mov_b32 s57, 0x3c91a626
	;; [unrolled: 1-line block ×3, first 2 shown]
	s_branch .LBB98_4
.LBB98_3:                               ;   in Loop: Header=BB98_4 Depth=1
	s_or_b32 exec_lo, exec_lo, s3
	s_add_u32 s54, s54, s33
	s_addc_u32 s55, s55, 0
	v_add_co_u32 v3, vcc_lo, v3, s61
	v_cmp_ge_i64_e64 s2, s[54:55], s[10:11]
	v_cmp_lt_u64_e64 s3, 0xffff, s[54:55]
	v_add_co_ci_u32_e32 v4, vcc_lo, 0, v4, vcc_lo
	v_add_co_u32 v5, vcc_lo, v5, s61
	v_add_co_ci_u32_e32 v6, vcc_lo, 0, v6, vcc_lo
	s_delay_alu instid0(VALU_DEP_4) | instskip(NEXT) | instid1(SALU_CYCLE_1)
	s_or_b32 s2, s2, s3
	s_and_b32 vcc_lo, exec_lo, s2
	s_cbranch_vccnz .LBB98_36
.LBB98_4:                               ; =>This Inner Loop Header: Depth=1
	v_add_co_u32 v7, s2, v0, s54
	s_delay_alu instid0(VALU_DEP_1) | instskip(SKIP_1) | instid1(VALU_DEP_2)
	v_add_co_ci_u32_e64 v8, null, 0, s55, s2
	v_dual_mov_b32 v13, 0 :: v_dual_mov_b32 v14, 0
	v_cmp_gt_u64_e64 s4, s[14:15], v[7:8]
	s_delay_alu instid0(VALU_DEP_1)
	s_and_saveexec_b32 s2, s4
	s_cbranch_execz .LBB98_6
; %bb.5:                                ;   in Loop: Header=BB98_4 Depth=1
	global_load_b64 v[13:14], v[3:4], off
.LBB98_6:                               ;   in Loop: Header=BB98_4 Depth=1
	s_or_b32 exec_lo, exec_lo, s2
	v_add_co_u32 v7, vcc_lo, v31, s54
	v_add_co_ci_u32_e32 v8, vcc_lo, s55, v34, vcc_lo
	v_dual_mov_b32 v9, 0 :: v_dual_mov_b32 v12, 0
	v_mov_b32_e32 v11, 0
	s_delay_alu instid0(VALU_DEP_3) | instskip(NEXT) | instid1(VALU_DEP_1)
	v_cmp_gt_u64_e64 s3, s[14:15], v[7:8]
	s_and_saveexec_b32 s2, s3
	s_cbranch_execz .LBB98_8
; %bb.7:                                ;   in Loop: Header=BB98_4 Depth=1
	global_load_b64 v[11:12], v[5:6], off
.LBB98_8:                               ;   in Loop: Header=BB98_4 Depth=1
	s_or_b32 exec_lo, exec_lo, s2
	v_add_co_u32 v7, vcc_lo, v35, s54
	v_add_co_ci_u32_e32 v8, vcc_lo, s55, v36, vcc_lo
	v_mov_b32_e32 v10, 0
	s_delay_alu instid0(VALU_DEP_2) | instskip(NEXT) | instid1(VALU_DEP_1)
	v_cmp_gt_u64_e64 s2, s[14:15], v[7:8]
	s_and_saveexec_b32 s5, s2
	s_cbranch_execz .LBB98_10
; %bb.9:                                ;   in Loop: Header=BB98_4 Depth=1
	v_add_co_u32 v7, vcc_lo, v3, s62
	v_add_co_ci_u32_e32 v8, vcc_lo, 0, v4, vcc_lo
	global_load_b64 v[9:10], v[7:8], off
.LBB98_10:                              ;   in Loop: Header=BB98_4 Depth=1
	s_or_b32 exec_lo, exec_lo, s5
	v_add_co_u32 v7, vcc_lo, v32, s54
	v_add_co_ci_u32_e32 v8, vcc_lo, s55, v33, vcc_lo
	s_delay_alu instid0(VALU_DEP_1)
	v_cmp_gt_u64_e32 vcc_lo, s[14:15], v[7:8]
	v_mov_b32_e32 v7, 0
	v_mov_b32_e32 v8, 0
	s_and_saveexec_b32 s6, vcc_lo
	s_cbranch_execz .LBB98_12
; %bb.11:                               ;   in Loop: Header=BB98_4 Depth=1
	v_add_co_u32 v7, s5, v3, s60
	s_delay_alu instid0(VALU_DEP_1)
	v_add_co_ci_u32_e64 v8, s5, 0, v4, s5
	global_load_b64 v[7:8], v[7:8], off
.LBB98_12:                              ;   in Loop: Header=BB98_4 Depth=1
	s_or_b32 exec_lo, exec_lo, s6
                                        ; implicit-def: $vgpr37
                                        ; implicit-def: $vgpr15_vgpr16
                                        ; implicit-def: $vgpr17_vgpr18
	s_delay_alu instid0(SALU_CYCLE_1)
	s_mov_b32 s6, exec_lo
	s_waitcnt vmcnt(0)
	v_cmpx_ngt_f64_e64 0x41d00000, |v[13:14]|
	s_xor_b32 s56, exec_lo, s6
	s_cbranch_execz .LBB98_14
; %bb.13:                               ;   in Loop: Header=BB98_4 Depth=1
	v_ldexp_f64 v[15:16], |v[13:14]|, 0xffffff80
	v_cmp_le_f64_e64 s5, 0x7b000000, |v[13:14]|
	v_trig_preop_f64 v[17:18], |v[13:14]|, 0
	v_and_b32_e32 v2, 0x7fffffff, v14
	v_trig_preop_f64 v[19:20], |v[13:14]|, 1
	v_trig_preop_f64 v[29:30], |v[13:14]|, 2
	s_mov_b32 s59, s57
	s_delay_alu instid0(VALU_DEP_3) | instskip(SKIP_1) | instid1(VALU_DEP_1)
	v_cndmask_b32_e64 v16, v2, v16, s5
	v_cndmask_b32_e64 v15, v13, v15, s5
	v_mul_f64 v[21:22], v[17:18], v[15:16]
	v_mul_f64 v[23:24], v[19:20], v[15:16]
	;; [unrolled: 1-line block ×3, first 2 shown]
	s_delay_alu instid0(VALU_DEP_3) | instskip(NEXT) | instid1(VALU_DEP_3)
	v_fma_f64 v[17:18], v[17:18], v[15:16], -v[21:22]
	v_fma_f64 v[19:20], v[19:20], v[15:16], -v[23:24]
	s_delay_alu instid0(VALU_DEP_3) | instskip(NEXT) | instid1(VALU_DEP_3)
	v_fma_f64 v[15:16], v[29:30], v[15:16], -v[41:42]
	v_add_f64 v[25:26], v[23:24], v[17:18]
	s_delay_alu instid0(VALU_DEP_1) | instskip(SKIP_1) | instid1(VALU_DEP_2)
	v_add_f64 v[27:28], v[25:26], -v[23:24]
	v_add_f64 v[39:40], v[21:22], v[25:26]
	v_add_f64 v[37:38], v[25:26], -v[27:28]
	v_add_f64 v[17:18], v[17:18], -v[27:28]
	s_delay_alu instid0(VALU_DEP_3) | instskip(SKIP_1) | instid1(VALU_DEP_4)
	v_ldexp_f64 v[27:28], v[39:40], -2
	v_add_f64 v[21:22], v[39:40], -v[21:22]
	v_add_f64 v[23:24], v[23:24], -v[37:38]
	v_add_f64 v[37:38], v[41:42], v[19:20]
	s_delay_alu instid0(VALU_DEP_4) | instskip(NEXT) | instid1(VALU_DEP_4)
	v_cmp_neq_f64_e64 s5, 0x7ff00000, |v[27:28]|
	v_add_f64 v[21:22], v[25:26], -v[21:22]
	s_delay_alu instid0(VALU_DEP_4) | instskip(SKIP_1) | instid1(VALU_DEP_2)
	v_add_f64 v[17:18], v[17:18], v[23:24]
	v_fract_f64_e32 v[23:24], v[27:28]
	v_add_f64 v[25:26], v[37:38], v[17:18]
	s_delay_alu instid0(VALU_DEP_2) | instskip(NEXT) | instid1(VALU_DEP_3)
	v_cndmask_b32_e64 v24, 0, v24, s5
	v_cndmask_b32_e64 v23, 0, v23, s5
	s_delay_alu instid0(VALU_DEP_1) | instskip(NEXT) | instid1(VALU_DEP_4)
	v_ldexp_f64 v[23:24], v[23:24], 2
	v_add_f64 v[27:28], v[21:22], v[25:26]
	v_add_f64 v[43:44], v[25:26], -v[37:38]
	s_delay_alu instid0(VALU_DEP_2) | instskip(NEXT) | instid1(VALU_DEP_2)
	v_add_f64 v[39:40], v[27:28], v[23:24]
	v_add_f64 v[49:50], v[25:26], -v[43:44]
	v_add_f64 v[17:18], v[17:18], -v[43:44]
	;; [unrolled: 1-line block ×3, first 2 shown]
	s_delay_alu instid0(VALU_DEP_4) | instskip(SKIP_1) | instid1(VALU_DEP_3)
	v_cmp_gt_f64_e64 s5, 0, v[39:40]
	v_add_f64 v[39:40], v[37:38], -v[41:42]
	v_add_f64 v[21:22], v[25:26], -v[21:22]
	s_delay_alu instid0(VALU_DEP_3) | instskip(NEXT) | instid1(VALU_DEP_3)
	v_cndmask_b32_e64 v2, 0, 0x40100000, s5
	v_add_f64 v[47:48], v[37:38], -v[39:40]
	v_add_f64 v[19:20], v[19:20], -v[39:40]
	;; [unrolled: 1-line block ×3, first 2 shown]
	s_delay_alu instid0(VALU_DEP_4) | instskip(NEXT) | instid1(VALU_DEP_4)
	v_add_f64 v[23:24], v[23:24], v[1:2]
	v_add_f64 v[39:40], v[41:42], -v[47:48]
	s_delay_alu instid0(VALU_DEP_3) | instskip(NEXT) | instid1(VALU_DEP_3)
	v_add_f64 v[17:18], v[17:18], v[37:38]
	v_add_f64 v[45:46], v[27:28], v[23:24]
	s_delay_alu instid0(VALU_DEP_3) | instskip(NEXT) | instid1(VALU_DEP_2)
	v_add_f64 v[19:20], v[19:20], v[39:40]
	v_cvt_i32_f64_e32 v2, v[45:46]
	s_delay_alu instid0(VALU_DEP_2) | instskip(NEXT) | instid1(VALU_DEP_2)
	v_add_f64 v[17:18], v[19:20], v[17:18]
	v_cvt_f64_i32_e32 v[43:44], v2
	s_delay_alu instid0(VALU_DEP_2) | instskip(NEXT) | instid1(VALU_DEP_2)
	v_add_f64 v[15:16], v[15:16], v[17:18]
	v_add_f64 v[23:24], v[23:24], -v[43:44]
	s_delay_alu instid0(VALU_DEP_2) | instskip(NEXT) | instid1(VALU_DEP_2)
	v_add_f64 v[15:16], v[21:22], v[15:16]
	v_add_f64 v[19:20], v[27:28], v[23:24]
	s_delay_alu instid0(VALU_DEP_1) | instskip(SKIP_1) | instid1(VALU_DEP_2)
	v_add_f64 v[17:18], v[19:20], -v[23:24]
	v_cmp_le_f64_e64 s5, 0.5, v[19:20]
	v_add_f64 v[17:18], v[27:28], -v[17:18]
	s_delay_alu instid0(VALU_DEP_2) | instskip(SKIP_2) | instid1(VALU_DEP_3)
	v_add_co_ci_u32_e64 v37, s6, 0, v2, s5
	v_cndmask_b32_e64 v2, 0, 0x3ff00000, s5
	s_mov_b32 s6, s16
	v_add_f64 v[15:16], v[15:16], v[17:18]
	s_delay_alu instid0(VALU_DEP_2) | instskip(NEXT) | instid1(VALU_DEP_1)
	v_add_f64 v[17:18], v[19:20], -v[1:2]
	v_add_f64 v[19:20], v[17:18], v[15:16]
	s_delay_alu instid0(VALU_DEP_1) | instskip(SKIP_1) | instid1(VALU_DEP_2)
	v_mul_f64 v[21:22], v[19:20], s[6:7]
	v_add_f64 v[17:18], v[19:20], -v[17:18]
	v_fma_f64 v[23:24], v[19:20], s[6:7], -v[21:22]
	s_delay_alu instid0(VALU_DEP_2) | instskip(NEXT) | instid1(VALU_DEP_2)
	v_add_f64 v[15:16], v[15:16], -v[17:18]
	v_fma_f64 v[17:18], v[19:20], s[58:59], v[23:24]
	s_delay_alu instid0(VALU_DEP_1) | instskip(NEXT) | instid1(VALU_DEP_1)
	v_fma_f64 v[17:18], v[15:16], s[6:7], v[17:18]
	v_add_f64 v[15:16], v[21:22], v[17:18]
	s_delay_alu instid0(VALU_DEP_1) | instskip(NEXT) | instid1(VALU_DEP_1)
	v_add_f64 v[19:20], v[15:16], -v[21:22]
	v_add_f64 v[17:18], v[17:18], -v[19:20]
.LBB98_14:                              ;   in Loop: Header=BB98_4 Depth=1
	s_and_not1_saveexec_b32 s5, s56
	s_cbranch_execz .LBB98_16
; %bb.15:                               ;   in Loop: Header=BB98_4 Depth=1
	v_mul_f64 v[15:16], |v[13:14]|, s[18:19]
	s_mov_b32 s56, s20
	s_delay_alu instid0(VALU_DEP_1) | instskip(NEXT) | instid1(VALU_DEP_1)
	v_rndne_f64_e32 v[19:20], v[15:16]
	v_fma_f64 v[15:16], v[19:20], s[16:17], |v[13:14]|
	v_mul_f64 v[17:18], v[19:20], s[20:21]
	v_cvt_i32_f64_e32 v37, v[19:20]
	s_delay_alu instid0(VALU_DEP_3) | instskip(NEXT) | instid1(VALU_DEP_3)
	v_fma_f64 v[23:24], v[19:20], s[20:21], v[15:16]
	v_add_f64 v[21:22], v[15:16], v[17:18]
	s_delay_alu instid0(VALU_DEP_1) | instskip(NEXT) | instid1(VALU_DEP_3)
	v_add_f64 v[15:16], v[15:16], -v[21:22]
	v_add_f64 v[21:22], v[21:22], -v[23:24]
	s_delay_alu instid0(VALU_DEP_2) | instskip(SKIP_1) | instid1(VALU_DEP_2)
	v_add_f64 v[15:16], v[15:16], v[17:18]
	v_fma_f64 v[17:18], v[19:20], s[56:57], v[17:18]
	v_add_f64 v[15:16], v[21:22], v[15:16]
	s_delay_alu instid0(VALU_DEP_1) | instskip(NEXT) | instid1(VALU_DEP_1)
	v_add_f64 v[15:16], v[15:16], -v[17:18]
	v_fma_f64 v[17:18], v[19:20], s[22:23], v[15:16]
	s_delay_alu instid0(VALU_DEP_1) | instskip(NEXT) | instid1(VALU_DEP_1)
	v_add_f64 v[15:16], v[23:24], v[17:18]
	v_add_f64 v[21:22], v[15:16], -v[23:24]
	s_delay_alu instid0(VALU_DEP_1)
	v_add_f64 v[17:18], v[17:18], -v[21:22]
.LBB98_16:                              ;   in Loop: Header=BB98_4 Depth=1
	s_or_b32 exec_lo, exec_lo, s5
                                        ; implicit-def: $vgpr38
                                        ; implicit-def: $vgpr19_vgpr20
                                        ; implicit-def: $vgpr21_vgpr22
	s_delay_alu instid0(SALU_CYCLE_1)
	s_mov_b32 s6, exec_lo
	v_cmpx_ngt_f64_e64 0x41d00000, |v[11:12]|
	s_xor_b32 s56, exec_lo, s6
	s_cbranch_execz .LBB98_18
; %bb.17:                               ;   in Loop: Header=BB98_4 Depth=1
	v_ldexp_f64 v[19:20], |v[11:12]|, 0xffffff80
	v_cmp_le_f64_e64 s5, 0x7b000000, |v[11:12]|
	v_trig_preop_f64 v[21:22], |v[11:12]|, 0
	v_and_b32_e32 v2, 0x7fffffff, v12
	v_trig_preop_f64 v[23:24], |v[11:12]|, 1
	v_trig_preop_f64 v[40:41], |v[11:12]|, 2
	s_mov_b32 s59, s57
	s_delay_alu instid0(VALU_DEP_3) | instskip(SKIP_1) | instid1(VALU_DEP_1)
	v_cndmask_b32_e64 v20, v2, v20, s5
	v_cndmask_b32_e64 v19, v11, v19, s5
	v_mul_f64 v[25:26], v[21:22], v[19:20]
	v_mul_f64 v[27:28], v[23:24], v[19:20]
	;; [unrolled: 1-line block ×3, first 2 shown]
	s_delay_alu instid0(VALU_DEP_3) | instskip(NEXT) | instid1(VALU_DEP_3)
	v_fma_f64 v[21:22], v[21:22], v[19:20], -v[25:26]
	v_fma_f64 v[23:24], v[23:24], v[19:20], -v[27:28]
	s_delay_alu instid0(VALU_DEP_3) | instskip(NEXT) | instid1(VALU_DEP_3)
	v_fma_f64 v[19:20], v[40:41], v[19:20], -v[46:47]
	v_add_f64 v[29:30], v[27:28], v[21:22]
	s_delay_alu instid0(VALU_DEP_1) | instskip(SKIP_1) | instid1(VALU_DEP_2)
	v_add_f64 v[38:39], v[29:30], -v[27:28]
	v_add_f64 v[44:45], v[25:26], v[29:30]
	v_add_f64 v[42:43], v[29:30], -v[38:39]
	v_add_f64 v[21:22], v[21:22], -v[38:39]
	s_delay_alu instid0(VALU_DEP_3) | instskip(SKIP_1) | instid1(VALU_DEP_4)
	v_ldexp_f64 v[38:39], v[44:45], -2
	v_add_f64 v[25:26], v[44:45], -v[25:26]
	v_add_f64 v[27:28], v[27:28], -v[42:43]
	v_add_f64 v[42:43], v[46:47], v[23:24]
	s_delay_alu instid0(VALU_DEP_4) | instskip(NEXT) | instid1(VALU_DEP_4)
	v_cmp_neq_f64_e64 s5, 0x7ff00000, |v[38:39]|
	v_add_f64 v[25:26], v[29:30], -v[25:26]
	s_delay_alu instid0(VALU_DEP_4) | instskip(SKIP_1) | instid1(VALU_DEP_2)
	v_add_f64 v[21:22], v[21:22], v[27:28]
	v_fract_f64_e32 v[27:28], v[38:39]
	v_add_f64 v[29:30], v[42:43], v[21:22]
	s_delay_alu instid0(VALU_DEP_2) | instskip(NEXT) | instid1(VALU_DEP_3)
	v_cndmask_b32_e64 v28, 0, v28, s5
	v_cndmask_b32_e64 v27, 0, v27, s5
	s_delay_alu instid0(VALU_DEP_1) | instskip(NEXT) | instid1(VALU_DEP_4)
	v_ldexp_f64 v[27:28], v[27:28], 2
	v_add_f64 v[38:39], v[25:26], v[29:30]
	v_add_f64 v[48:49], v[29:30], -v[42:43]
	s_delay_alu instid0(VALU_DEP_2) | instskip(NEXT) | instid1(VALU_DEP_2)
	v_add_f64 v[44:45], v[38:39], v[27:28]
	v_add_f64 v[54:55], v[29:30], -v[48:49]
	v_add_f64 v[21:22], v[21:22], -v[48:49]
	;; [unrolled: 1-line block ×3, first 2 shown]
	s_delay_alu instid0(VALU_DEP_4) | instskip(SKIP_1) | instid1(VALU_DEP_3)
	v_cmp_gt_f64_e64 s5, 0, v[44:45]
	v_add_f64 v[44:45], v[42:43], -v[46:47]
	v_add_f64 v[25:26], v[29:30], -v[25:26]
	s_delay_alu instid0(VALU_DEP_3) | instskip(NEXT) | instid1(VALU_DEP_3)
	v_cndmask_b32_e64 v2, 0, 0x40100000, s5
	v_add_f64 v[52:53], v[42:43], -v[44:45]
	v_add_f64 v[23:24], v[23:24], -v[44:45]
	;; [unrolled: 1-line block ×3, first 2 shown]
	s_delay_alu instid0(VALU_DEP_4) | instskip(NEXT) | instid1(VALU_DEP_4)
	v_add_f64 v[27:28], v[27:28], v[1:2]
	v_add_f64 v[44:45], v[46:47], -v[52:53]
	s_delay_alu instid0(VALU_DEP_3) | instskip(NEXT) | instid1(VALU_DEP_3)
	v_add_f64 v[21:22], v[21:22], v[42:43]
	v_add_f64 v[50:51], v[38:39], v[27:28]
	s_delay_alu instid0(VALU_DEP_3) | instskip(NEXT) | instid1(VALU_DEP_2)
	v_add_f64 v[23:24], v[23:24], v[44:45]
	v_cvt_i32_f64_e32 v2, v[50:51]
	s_delay_alu instid0(VALU_DEP_2) | instskip(NEXT) | instid1(VALU_DEP_2)
	v_add_f64 v[21:22], v[23:24], v[21:22]
	v_cvt_f64_i32_e32 v[48:49], v2
	s_delay_alu instid0(VALU_DEP_2) | instskip(NEXT) | instid1(VALU_DEP_2)
	v_add_f64 v[19:20], v[19:20], v[21:22]
	v_add_f64 v[27:28], v[27:28], -v[48:49]
	s_delay_alu instid0(VALU_DEP_2) | instskip(NEXT) | instid1(VALU_DEP_2)
	v_add_f64 v[19:20], v[25:26], v[19:20]
	v_add_f64 v[23:24], v[38:39], v[27:28]
	s_delay_alu instid0(VALU_DEP_1) | instskip(SKIP_1) | instid1(VALU_DEP_2)
	v_add_f64 v[21:22], v[23:24], -v[27:28]
	v_cmp_le_f64_e64 s5, 0.5, v[23:24]
	v_add_f64 v[21:22], v[38:39], -v[21:22]
	s_delay_alu instid0(VALU_DEP_2) | instskip(SKIP_2) | instid1(VALU_DEP_3)
	v_add_co_ci_u32_e64 v38, s6, 0, v2, s5
	v_cndmask_b32_e64 v2, 0, 0x3ff00000, s5
	s_mov_b32 s6, s16
	v_add_f64 v[19:20], v[19:20], v[21:22]
	s_delay_alu instid0(VALU_DEP_2) | instskip(NEXT) | instid1(VALU_DEP_1)
	v_add_f64 v[21:22], v[23:24], -v[1:2]
	v_add_f64 v[23:24], v[21:22], v[19:20]
	s_delay_alu instid0(VALU_DEP_1) | instskip(SKIP_1) | instid1(VALU_DEP_2)
	v_mul_f64 v[25:26], v[23:24], s[6:7]
	v_add_f64 v[21:22], v[23:24], -v[21:22]
	v_fma_f64 v[27:28], v[23:24], s[6:7], -v[25:26]
	s_delay_alu instid0(VALU_DEP_2) | instskip(NEXT) | instid1(VALU_DEP_2)
	v_add_f64 v[19:20], v[19:20], -v[21:22]
	v_fma_f64 v[21:22], v[23:24], s[58:59], v[27:28]
	s_delay_alu instid0(VALU_DEP_1) | instskip(NEXT) | instid1(VALU_DEP_1)
	v_fma_f64 v[21:22], v[19:20], s[6:7], v[21:22]
	v_add_f64 v[19:20], v[25:26], v[21:22]
	s_delay_alu instid0(VALU_DEP_1) | instskip(NEXT) | instid1(VALU_DEP_1)
	v_add_f64 v[23:24], v[19:20], -v[25:26]
	v_add_f64 v[21:22], v[21:22], -v[23:24]
.LBB98_18:                              ;   in Loop: Header=BB98_4 Depth=1
	s_and_not1_saveexec_b32 s5, s56
	s_cbranch_execz .LBB98_20
; %bb.19:                               ;   in Loop: Header=BB98_4 Depth=1
	v_mul_f64 v[19:20], |v[11:12]|, s[18:19]
	s_mov_b32 s56, s20
	s_delay_alu instid0(VALU_DEP_1) | instskip(NEXT) | instid1(VALU_DEP_1)
	v_rndne_f64_e32 v[23:24], v[19:20]
	v_fma_f64 v[19:20], v[23:24], s[16:17], |v[11:12]|
	v_mul_f64 v[21:22], v[23:24], s[20:21]
	v_cvt_i32_f64_e32 v38, v[23:24]
	s_delay_alu instid0(VALU_DEP_3) | instskip(NEXT) | instid1(VALU_DEP_3)
	v_fma_f64 v[27:28], v[23:24], s[20:21], v[19:20]
	v_add_f64 v[25:26], v[19:20], v[21:22]
	s_delay_alu instid0(VALU_DEP_1) | instskip(NEXT) | instid1(VALU_DEP_3)
	v_add_f64 v[19:20], v[19:20], -v[25:26]
	v_add_f64 v[25:26], v[25:26], -v[27:28]
	s_delay_alu instid0(VALU_DEP_2) | instskip(SKIP_1) | instid1(VALU_DEP_2)
	v_add_f64 v[19:20], v[19:20], v[21:22]
	v_fma_f64 v[21:22], v[23:24], s[56:57], v[21:22]
	v_add_f64 v[19:20], v[25:26], v[19:20]
	s_delay_alu instid0(VALU_DEP_1) | instskip(NEXT) | instid1(VALU_DEP_1)
	v_add_f64 v[19:20], v[19:20], -v[21:22]
	v_fma_f64 v[21:22], v[23:24], s[22:23], v[19:20]
	s_delay_alu instid0(VALU_DEP_1) | instskip(NEXT) | instid1(VALU_DEP_1)
	v_add_f64 v[19:20], v[27:28], v[21:22]
	v_add_f64 v[25:26], v[19:20], -v[27:28]
	s_delay_alu instid0(VALU_DEP_1)
	v_add_f64 v[21:22], v[21:22], -v[25:26]
.LBB98_20:                              ;   in Loop: Header=BB98_4 Depth=1
	s_or_b32 exec_lo, exec_lo, s5
                                        ; implicit-def: $vgpr39
                                        ; implicit-def: $vgpr23_vgpr24
                                        ; implicit-def: $vgpr25_vgpr26
	s_delay_alu instid0(SALU_CYCLE_1)
	s_mov_b32 s6, exec_lo
	v_cmpx_ngt_f64_e64 0x41d00000, |v[9:10]|
	s_xor_b32 s56, exec_lo, s6
	s_cbranch_execz .LBB98_22
; %bb.21:                               ;   in Loop: Header=BB98_4 Depth=1
	v_ldexp_f64 v[23:24], |v[9:10]|, 0xffffff80
	v_cmp_le_f64_e64 s5, 0x7b000000, |v[9:10]|
	v_trig_preop_f64 v[25:26], |v[9:10]|, 0
	v_and_b32_e32 v2, 0x7fffffff, v10
	v_trig_preop_f64 v[27:28], |v[9:10]|, 1
	v_trig_preop_f64 v[45:46], |v[9:10]|, 2
	s_mov_b32 s59, s57
	s_delay_alu instid0(VALU_DEP_3) | instskip(SKIP_1) | instid1(VALU_DEP_1)
	v_cndmask_b32_e64 v24, v2, v24, s5
	v_cndmask_b32_e64 v23, v9, v23, s5
	v_mul_f64 v[29:30], v[25:26], v[23:24]
	v_mul_f64 v[39:40], v[27:28], v[23:24]
	;; [unrolled: 1-line block ×3, first 2 shown]
	s_delay_alu instid0(VALU_DEP_3) | instskip(NEXT) | instid1(VALU_DEP_3)
	v_fma_f64 v[25:26], v[25:26], v[23:24], -v[29:30]
	v_fma_f64 v[27:28], v[27:28], v[23:24], -v[39:40]
	s_delay_alu instid0(VALU_DEP_3) | instskip(NEXT) | instid1(VALU_DEP_3)
	v_fma_f64 v[23:24], v[45:46], v[23:24], -v[51:52]
	v_add_f64 v[41:42], v[39:40], v[25:26]
	s_delay_alu instid0(VALU_DEP_1) | instskip(SKIP_1) | instid1(VALU_DEP_2)
	v_add_f64 v[43:44], v[41:42], -v[39:40]
	v_add_f64 v[49:50], v[29:30], v[41:42]
	v_add_f64 v[47:48], v[41:42], -v[43:44]
	v_add_f64 v[25:26], v[25:26], -v[43:44]
	s_delay_alu instid0(VALU_DEP_3) | instskip(SKIP_1) | instid1(VALU_DEP_4)
	v_ldexp_f64 v[43:44], v[49:50], -2
	v_add_f64 v[29:30], v[49:50], -v[29:30]
	v_add_f64 v[39:40], v[39:40], -v[47:48]
	v_add_f64 v[47:48], v[51:52], v[27:28]
	s_delay_alu instid0(VALU_DEP_4) | instskip(NEXT) | instid1(VALU_DEP_4)
	v_cmp_neq_f64_e64 s5, 0x7ff00000, |v[43:44]|
	v_add_f64 v[29:30], v[41:42], -v[29:30]
	s_delay_alu instid0(VALU_DEP_4) | instskip(SKIP_1) | instid1(VALU_DEP_2)
	v_add_f64 v[25:26], v[25:26], v[39:40]
	v_fract_f64_e32 v[39:40], v[43:44]
	v_add_f64 v[41:42], v[47:48], v[25:26]
	s_delay_alu instid0(VALU_DEP_2) | instskip(NEXT) | instid1(VALU_DEP_3)
	v_cndmask_b32_e64 v40, 0, v40, s5
	v_cndmask_b32_e64 v39, 0, v39, s5
	s_delay_alu instid0(VALU_DEP_1) | instskip(NEXT) | instid1(VALU_DEP_4)
	v_ldexp_f64 v[39:40], v[39:40], 2
	v_add_f64 v[43:44], v[29:30], v[41:42]
	v_add_f64 v[53:54], v[41:42], -v[47:48]
	s_delay_alu instid0(VALU_DEP_2) | instskip(NEXT) | instid1(VALU_DEP_2)
	v_add_f64 v[49:50], v[43:44], v[39:40]
	v_add_f64 v[59:60], v[41:42], -v[53:54]
	v_add_f64 v[25:26], v[25:26], -v[53:54]
	;; [unrolled: 1-line block ×3, first 2 shown]
	s_delay_alu instid0(VALU_DEP_4) | instskip(SKIP_1) | instid1(VALU_DEP_3)
	v_cmp_gt_f64_e64 s5, 0, v[49:50]
	v_add_f64 v[49:50], v[47:48], -v[51:52]
	v_add_f64 v[29:30], v[41:42], -v[29:30]
	s_delay_alu instid0(VALU_DEP_3) | instskip(NEXT) | instid1(VALU_DEP_3)
	v_cndmask_b32_e64 v2, 0, 0x40100000, s5
	v_add_f64 v[57:58], v[47:48], -v[49:50]
	v_add_f64 v[27:28], v[27:28], -v[49:50]
	;; [unrolled: 1-line block ×3, first 2 shown]
	s_delay_alu instid0(VALU_DEP_4) | instskip(NEXT) | instid1(VALU_DEP_4)
	v_add_f64 v[39:40], v[39:40], v[1:2]
	v_add_f64 v[49:50], v[51:52], -v[57:58]
	s_delay_alu instid0(VALU_DEP_3) | instskip(NEXT) | instid1(VALU_DEP_3)
	v_add_f64 v[25:26], v[25:26], v[47:48]
	v_add_f64 v[55:56], v[43:44], v[39:40]
	s_delay_alu instid0(VALU_DEP_3) | instskip(NEXT) | instid1(VALU_DEP_2)
	v_add_f64 v[27:28], v[27:28], v[49:50]
	v_cvt_i32_f64_e32 v2, v[55:56]
	s_delay_alu instid0(VALU_DEP_2) | instskip(NEXT) | instid1(VALU_DEP_2)
	v_add_f64 v[25:26], v[27:28], v[25:26]
	v_cvt_f64_i32_e32 v[53:54], v2
	s_delay_alu instid0(VALU_DEP_2) | instskip(NEXT) | instid1(VALU_DEP_2)
	v_add_f64 v[23:24], v[23:24], v[25:26]
	v_add_f64 v[39:40], v[39:40], -v[53:54]
	s_delay_alu instid0(VALU_DEP_2) | instskip(NEXT) | instid1(VALU_DEP_2)
	v_add_f64 v[23:24], v[29:30], v[23:24]
	v_add_f64 v[27:28], v[43:44], v[39:40]
	s_delay_alu instid0(VALU_DEP_1) | instskip(SKIP_1) | instid1(VALU_DEP_2)
	v_add_f64 v[25:26], v[27:28], -v[39:40]
	v_cmp_le_f64_e64 s5, 0.5, v[27:28]
	v_add_f64 v[25:26], v[43:44], -v[25:26]
	s_delay_alu instid0(VALU_DEP_2) | instskip(SKIP_2) | instid1(VALU_DEP_3)
	v_add_co_ci_u32_e64 v39, s6, 0, v2, s5
	v_cndmask_b32_e64 v2, 0, 0x3ff00000, s5
	s_mov_b32 s6, s16
	v_add_f64 v[23:24], v[23:24], v[25:26]
	s_delay_alu instid0(VALU_DEP_2) | instskip(NEXT) | instid1(VALU_DEP_1)
	v_add_f64 v[25:26], v[27:28], -v[1:2]
	v_add_f64 v[27:28], v[25:26], v[23:24]
	s_delay_alu instid0(VALU_DEP_1) | instskip(SKIP_1) | instid1(VALU_DEP_2)
	v_mul_f64 v[29:30], v[27:28], s[6:7]
	v_add_f64 v[25:26], v[27:28], -v[25:26]
	v_fma_f64 v[40:41], v[27:28], s[6:7], -v[29:30]
	s_delay_alu instid0(VALU_DEP_2) | instskip(NEXT) | instid1(VALU_DEP_2)
	v_add_f64 v[23:24], v[23:24], -v[25:26]
	v_fma_f64 v[25:26], v[27:28], s[58:59], v[40:41]
	s_delay_alu instid0(VALU_DEP_1) | instskip(NEXT) | instid1(VALU_DEP_1)
	v_fma_f64 v[25:26], v[23:24], s[6:7], v[25:26]
	v_add_f64 v[23:24], v[29:30], v[25:26]
	s_delay_alu instid0(VALU_DEP_1) | instskip(NEXT) | instid1(VALU_DEP_1)
	v_add_f64 v[27:28], v[23:24], -v[29:30]
	v_add_f64 v[25:26], v[25:26], -v[27:28]
.LBB98_22:                              ;   in Loop: Header=BB98_4 Depth=1
	s_and_not1_saveexec_b32 s5, s56
	s_cbranch_execz .LBB98_24
; %bb.23:                               ;   in Loop: Header=BB98_4 Depth=1
	v_mul_f64 v[23:24], |v[9:10]|, s[18:19]
	s_mov_b32 s56, s20
	s_delay_alu instid0(VALU_DEP_1) | instskip(NEXT) | instid1(VALU_DEP_1)
	v_rndne_f64_e32 v[27:28], v[23:24]
	v_fma_f64 v[23:24], v[27:28], s[16:17], |v[9:10]|
	v_mul_f64 v[25:26], v[27:28], s[20:21]
	s_delay_alu instid0(VALU_DEP_2) | instskip(NEXT) | instid1(VALU_DEP_2)
	v_fma_f64 v[39:40], v[27:28], s[20:21], v[23:24]
	v_add_f64 v[29:30], v[23:24], v[25:26]
	s_delay_alu instid0(VALU_DEP_1) | instskip(NEXT) | instid1(VALU_DEP_3)
	v_add_f64 v[23:24], v[23:24], -v[29:30]
	v_add_f64 v[29:30], v[29:30], -v[39:40]
	s_delay_alu instid0(VALU_DEP_2) | instskip(SKIP_1) | instid1(VALU_DEP_2)
	v_add_f64 v[23:24], v[23:24], v[25:26]
	v_fma_f64 v[25:26], v[27:28], s[56:57], v[25:26]
	v_add_f64 v[23:24], v[29:30], v[23:24]
	s_delay_alu instid0(VALU_DEP_1) | instskip(NEXT) | instid1(VALU_DEP_1)
	v_add_f64 v[23:24], v[23:24], -v[25:26]
	v_fma_f64 v[25:26], v[27:28], s[22:23], v[23:24]
	s_delay_alu instid0(VALU_DEP_1) | instskip(NEXT) | instid1(VALU_DEP_1)
	v_add_f64 v[23:24], v[39:40], v[25:26]
	v_add_f64 v[29:30], v[23:24], -v[39:40]
	v_cvt_i32_f64_e32 v39, v[27:28]
	s_delay_alu instid0(VALU_DEP_2)
	v_add_f64 v[25:26], v[25:26], -v[29:30]
.LBB98_24:                              ;   in Loop: Header=BB98_4 Depth=1
	s_or_b32 exec_lo, exec_lo, s5
                                        ; implicit-def: $vgpr40
                                        ; implicit-def: $vgpr27_vgpr28
                                        ; implicit-def: $vgpr29_vgpr30
	s_delay_alu instid0(SALU_CYCLE_1)
	s_mov_b32 s6, exec_lo
	v_cmpx_ngt_f64_e64 0x41d00000, |v[7:8]|
	s_xor_b32 s56, exec_lo, s6
	s_cbranch_execnz .LBB98_30
; %bb.25:                               ;   in Loop: Header=BB98_4 Depth=1
	s_and_not1_saveexec_b32 s5, s56
	s_cbranch_execnz .LBB98_31
.LBB98_26:                              ;   in Loop: Header=BB98_4 Depth=1
	s_or_b32 exec_lo, exec_lo, s5
	s_and_saveexec_b32 s5, s4
	s_delay_alu instid0(SALU_CYCLE_1)
	s_xor_b32 s6, exec_lo, s5
	s_cbranch_execnz .LBB98_32
.LBB98_27:                              ;   in Loop: Header=BB98_4 Depth=1
	s_or_b32 exec_lo, exec_lo, s6
	s_and_saveexec_b32 s5, s3
	s_cbranch_execnz .LBB98_33
.LBB98_28:                              ;   in Loop: Header=BB98_4 Depth=1
	s_or_b32 exec_lo, exec_lo, s5
	s_and_saveexec_b32 s4, s2
	s_cbranch_execnz .LBB98_34
.LBB98_29:                              ;   in Loop: Header=BB98_4 Depth=1
	s_or_b32 exec_lo, exec_lo, s4
	s_and_saveexec_b32 s3, vcc_lo
	s_cbranch_execz .LBB98_3
	s_branch .LBB98_35
.LBB98_30:                              ;   in Loop: Header=BB98_4 Depth=1
	v_ldexp_f64 v[27:28], |v[7:8]|, 0xffffff80
	v_cmp_le_f64_e64 s5, 0x7b000000, |v[7:8]|
	v_trig_preop_f64 v[29:30], |v[7:8]|, 0
	v_and_b32_e32 v2, 0x7fffffff, v8
	v_trig_preop_f64 v[40:41], |v[7:8]|, 1
	v_trig_preop_f64 v[50:51], |v[7:8]|, 2
	s_mov_b32 s59, s57
	s_delay_alu instid0(VALU_DEP_3) | instskip(SKIP_1) | instid1(VALU_DEP_1)
	v_cndmask_b32_e64 v28, v2, v28, s5
	v_cndmask_b32_e64 v27, v7, v27, s5
	v_mul_f64 v[42:43], v[29:30], v[27:28]
	v_mul_f64 v[44:45], v[40:41], v[27:28]
	;; [unrolled: 1-line block ×3, first 2 shown]
	s_delay_alu instid0(VALU_DEP_3) | instskip(NEXT) | instid1(VALU_DEP_3)
	v_fma_f64 v[29:30], v[29:30], v[27:28], -v[42:43]
	v_fma_f64 v[40:41], v[40:41], v[27:28], -v[44:45]
	s_delay_alu instid0(VALU_DEP_3) | instskip(NEXT) | instid1(VALU_DEP_3)
	v_fma_f64 v[27:28], v[50:51], v[27:28], -v[56:57]
	v_add_f64 v[46:47], v[44:45], v[29:30]
	s_delay_alu instid0(VALU_DEP_1) | instskip(SKIP_1) | instid1(VALU_DEP_2)
	v_add_f64 v[48:49], v[46:47], -v[44:45]
	v_add_f64 v[54:55], v[42:43], v[46:47]
	v_add_f64 v[52:53], v[46:47], -v[48:49]
	v_add_f64 v[29:30], v[29:30], -v[48:49]
	s_delay_alu instid0(VALU_DEP_3) | instskip(SKIP_1) | instid1(VALU_DEP_4)
	v_ldexp_f64 v[48:49], v[54:55], -2
	v_add_f64 v[42:43], v[54:55], -v[42:43]
	v_add_f64 v[44:45], v[44:45], -v[52:53]
	v_add_f64 v[52:53], v[56:57], v[40:41]
	s_delay_alu instid0(VALU_DEP_4) | instskip(NEXT) | instid1(VALU_DEP_4)
	v_cmp_neq_f64_e64 s5, 0x7ff00000, |v[48:49]|
	v_add_f64 v[42:43], v[46:47], -v[42:43]
	s_delay_alu instid0(VALU_DEP_4) | instskip(SKIP_1) | instid1(VALU_DEP_2)
	v_add_f64 v[29:30], v[29:30], v[44:45]
	v_fract_f64_e32 v[44:45], v[48:49]
	v_add_f64 v[46:47], v[52:53], v[29:30]
	s_delay_alu instid0(VALU_DEP_2) | instskip(NEXT) | instid1(VALU_DEP_3)
	v_cndmask_b32_e64 v45, 0, v45, s5
	v_cndmask_b32_e64 v44, 0, v44, s5
	s_delay_alu instid0(VALU_DEP_1) | instskip(NEXT) | instid1(VALU_DEP_4)
	v_ldexp_f64 v[44:45], v[44:45], 2
	v_add_f64 v[48:49], v[42:43], v[46:47]
	v_add_f64 v[58:59], v[46:47], -v[52:53]
	s_delay_alu instid0(VALU_DEP_2) | instskip(NEXT) | instid1(VALU_DEP_2)
	v_add_f64 v[54:55], v[48:49], v[44:45]
	v_add_f64 v[64:65], v[46:47], -v[58:59]
	v_add_f64 v[29:30], v[29:30], -v[58:59]
	;; [unrolled: 1-line block ×3, first 2 shown]
	s_delay_alu instid0(VALU_DEP_4) | instskip(SKIP_1) | instid1(VALU_DEP_2)
	v_cmp_gt_f64_e64 s5, 0, v[54:55]
	v_add_f64 v[54:55], v[52:53], -v[56:57]
	v_cndmask_b32_e64 v2, 0, 0x40100000, s5
	s_delay_alu instid0(VALU_DEP_2) | instskip(SKIP_2) | instid1(VALU_DEP_4)
	v_add_f64 v[62:63], v[52:53], -v[54:55]
	v_add_f64 v[40:41], v[40:41], -v[54:55]
	;; [unrolled: 1-line block ×3, first 2 shown]
	v_add_f64 v[44:45], v[44:45], v[1:2]
	s_delay_alu instid0(VALU_DEP_4) | instskip(NEXT) | instid1(VALU_DEP_3)
	v_add_f64 v[54:55], v[56:57], -v[62:63]
	v_add_f64 v[29:30], v[29:30], v[52:53]
	s_delay_alu instid0(VALU_DEP_3) | instskip(NEXT) | instid1(VALU_DEP_3)
	v_add_f64 v[60:61], v[48:49], v[44:45]
	v_add_f64 v[40:41], v[40:41], v[54:55]
	s_delay_alu instid0(VALU_DEP_2) | instskip(NEXT) | instid1(VALU_DEP_2)
	v_cvt_i32_f64_e32 v2, v[60:61]
	v_add_f64 v[29:30], v[40:41], v[29:30]
	v_add_f64 v[40:41], v[46:47], -v[42:43]
	s_delay_alu instid0(VALU_DEP_3) | instskip(NEXT) | instid1(VALU_DEP_3)
	v_cvt_f64_i32_e32 v[58:59], v2
	v_add_f64 v[27:28], v[27:28], v[29:30]
	s_delay_alu instid0(VALU_DEP_2) | instskip(NEXT) | instid1(VALU_DEP_2)
	v_add_f64 v[44:45], v[44:45], -v[58:59]
	v_add_f64 v[27:28], v[40:41], v[27:28]
	s_delay_alu instid0(VALU_DEP_2) | instskip(NEXT) | instid1(VALU_DEP_1)
	v_add_f64 v[50:51], v[48:49], v[44:45]
	v_add_f64 v[29:30], v[50:51], -v[44:45]
	v_cmp_le_f64_e64 s5, 0.5, v[50:51]
	s_delay_alu instid0(VALU_DEP_2) | instskip(NEXT) | instid1(VALU_DEP_2)
	v_add_f64 v[29:30], v[48:49], -v[29:30]
	v_add_co_ci_u32_e64 v40, s6, 0, v2, s5
	v_cndmask_b32_e64 v2, 0, 0x3ff00000, s5
	s_mov_b32 s6, s16
	s_delay_alu instid0(VALU_DEP_3) | instskip(NEXT) | instid1(VALU_DEP_2)
	v_add_f64 v[27:28], v[27:28], v[29:30]
	v_add_f64 v[29:30], v[50:51], -v[1:2]
	s_delay_alu instid0(VALU_DEP_1) | instskip(NEXT) | instid1(VALU_DEP_1)
	v_add_f64 v[41:42], v[29:30], v[27:28]
	v_mul_f64 v[43:44], v[41:42], s[6:7]
	v_add_f64 v[29:30], v[41:42], -v[29:30]
	s_delay_alu instid0(VALU_DEP_2) | instskip(NEXT) | instid1(VALU_DEP_2)
	v_fma_f64 v[45:46], v[41:42], s[6:7], -v[43:44]
	v_add_f64 v[27:28], v[27:28], -v[29:30]
	s_delay_alu instid0(VALU_DEP_2) | instskip(NEXT) | instid1(VALU_DEP_1)
	v_fma_f64 v[29:30], v[41:42], s[58:59], v[45:46]
	v_fma_f64 v[29:30], v[27:28], s[6:7], v[29:30]
	s_delay_alu instid0(VALU_DEP_1) | instskip(NEXT) | instid1(VALU_DEP_1)
	v_add_f64 v[27:28], v[43:44], v[29:30]
	v_add_f64 v[41:42], v[27:28], -v[43:44]
	s_delay_alu instid0(VALU_DEP_1)
	v_add_f64 v[29:30], v[29:30], -v[41:42]
	s_and_not1_saveexec_b32 s5, s56
	s_cbranch_execz .LBB98_26
.LBB98_31:                              ;   in Loop: Header=BB98_4 Depth=1
	v_mul_f64 v[27:28], |v[7:8]|, s[18:19]
	s_mov_b32 s56, s20
	s_delay_alu instid0(VALU_DEP_1) | instskip(NEXT) | instid1(VALU_DEP_1)
	v_rndne_f64_e32 v[40:41], v[27:28]
	v_fma_f64 v[27:28], v[40:41], s[16:17], |v[7:8]|
	v_mul_f64 v[29:30], v[40:41], s[20:21]
	s_delay_alu instid0(VALU_DEP_2) | instskip(NEXT) | instid1(VALU_DEP_2)
	v_fma_f64 v[44:45], v[40:41], s[20:21], v[27:28]
	v_add_f64 v[42:43], v[27:28], v[29:30]
	s_delay_alu instid0(VALU_DEP_1) | instskip(NEXT) | instid1(VALU_DEP_3)
	v_add_f64 v[27:28], v[27:28], -v[42:43]
	v_add_f64 v[42:43], v[42:43], -v[44:45]
	s_delay_alu instid0(VALU_DEP_2) | instskip(SKIP_1) | instid1(VALU_DEP_2)
	v_add_f64 v[27:28], v[27:28], v[29:30]
	v_fma_f64 v[29:30], v[40:41], s[56:57], v[29:30]
	v_add_f64 v[27:28], v[42:43], v[27:28]
	s_delay_alu instid0(VALU_DEP_1) | instskip(NEXT) | instid1(VALU_DEP_1)
	v_add_f64 v[27:28], v[27:28], -v[29:30]
	v_fma_f64 v[29:30], v[40:41], s[22:23], v[27:28]
	v_cvt_i32_f64_e32 v40, v[40:41]
	s_delay_alu instid0(VALU_DEP_2) | instskip(NEXT) | instid1(VALU_DEP_1)
	v_add_f64 v[27:28], v[44:45], v[29:30]
	v_add_f64 v[42:43], v[27:28], -v[44:45]
	s_delay_alu instid0(VALU_DEP_1) | instskip(SKIP_2) | instid1(SALU_CYCLE_1)
	v_add_f64 v[29:30], v[29:30], -v[42:43]
	s_or_b32 exec_lo, exec_lo, s5
	s_and_saveexec_b32 s5, s4
	s_xor_b32 s6, exec_lo, s5
	s_cbranch_execz .LBB98_27
.LBB98_32:                              ;   in Loop: Header=BB98_4 Depth=1
	v_mul_f64 v[41:42], v[15:16], v[15:16]
	v_add_f64 v[43:44], v[17:18], v[17:18]
	v_cmp_class_f64_e64 s5, v[13:14], 0x1f8
	v_and_b32_e32 v2, 1, v37
	v_and_b32_e32 v14, 0x80000000, v14
	s_delay_alu instid0(VALU_DEP_2) | instskip(SKIP_1) | instid1(VALU_DEP_1)
	v_cmp_eq_u32_e64 s4, 0, v2
	v_fma_f64 v[45:46], v[15:16], v[15:16], -v[41:42]
	v_fma_f64 v[43:44], v[15:16], v[43:44], v[45:46]
	s_delay_alu instid0(VALU_DEP_1) | instskip(NEXT) | instid1(VALU_DEP_1)
	v_add_f64 v[41:42], v[41:42], v[43:44]
	v_fma_f64 v[43:44], v[41:42], s[26:27], s[24:25]
	s_delay_alu instid0(VALU_DEP_1) | instskip(NEXT) | instid1(VALU_DEP_1)
	v_fma_f64 v[43:44], v[41:42], v[43:44], s[28:29]
	v_fma_f64 v[43:44], v[41:42], v[43:44], s[30:31]
	s_delay_alu instid0(VALU_DEP_1) | instskip(NEXT) | instid1(VALU_DEP_1)
	v_fma_f64 v[43:44], v[41:42], v[43:44], s[34:35]
	;; [unrolled: 3-line block ×6, first 2 shown]
	v_fma_f64 v[43:44], v[41:42], v[43:44], s[52:53]
	s_delay_alu instid0(VALU_DEP_1) | instskip(NEXT) | instid1(VALU_DEP_1)
	v_mul_f64 v[41:42], v[41:42], v[43:44]
	v_mul_f64 v[43:44], v[15:16], v[41:42]
	s_delay_alu instid0(VALU_DEP_1) | instskip(SKIP_1) | instid1(VALU_DEP_2)
	v_add_f64 v[45:46], v[15:16], v[43:44]
	v_fma_f64 v[41:42], v[15:16], v[41:42], -v[43:44]
	v_add_f64 v[15:16], v[45:46], -v[15:16]
	s_delay_alu instid0(VALU_DEP_2) | instskip(NEXT) | instid1(VALU_DEP_2)
	v_add_f64 v[17:18], v[17:18], v[41:42]
	v_add_f64 v[15:16], v[43:44], -v[15:16]
	s_delay_alu instid0(VALU_DEP_1) | instskip(NEXT) | instid1(VALU_DEP_1)
	v_add_f64 v[15:16], v[17:18], v[15:16]
	v_add_f64 v[17:18], v[45:46], v[15:16]
	s_delay_alu instid0(VALU_DEP_1) | instskip(SKIP_2) | instid1(VALU_DEP_1)
	v_rcp_f64_e32 v[41:42], v[17:18]
	s_waitcnt_depctr 0xfff
	v_fma_f64 v[43:44], -v[17:18], v[41:42], 1.0
	v_fma_f64 v[41:42], v[43:44], v[41:42], v[41:42]
	s_delay_alu instid0(VALU_DEP_1) | instskip(NEXT) | instid1(VALU_DEP_1)
	v_fma_f64 v[43:44], -v[17:18], v[41:42], 1.0
	v_fma_f64 v[41:42], v[43:44], v[41:42], v[41:42]
	v_add_f64 v[43:44], v[17:18], -v[45:46]
	s_delay_alu instid0(VALU_DEP_2) | instskip(NEXT) | instid1(VALU_DEP_2)
	v_mul_f64 v[45:46], v[17:18], v[41:42]
	v_add_f64 v[15:16], v[15:16], -v[43:44]
	s_delay_alu instid0(VALU_DEP_2) | instskip(NEXT) | instid1(VALU_DEP_1)
	v_fma_f64 v[43:44], v[41:42], v[17:18], -v[45:46]
	v_fma_f64 v[15:16], v[41:42], v[15:16], v[43:44]
	s_delay_alu instid0(VALU_DEP_1) | instskip(NEXT) | instid1(VALU_DEP_1)
	v_add_f64 v[43:44], v[45:46], v[15:16]
	v_add_f64 v[47:48], -v[43:44], 1.0
	v_add_f64 v[45:46], v[43:44], -v[45:46]
	s_delay_alu instid0(VALU_DEP_2) | instskip(NEXT) | instid1(VALU_DEP_2)
	v_add_f64 v[49:50], -v[47:48], 1.0
	v_add_f64 v[15:16], v[45:46], -v[15:16]
	s_delay_alu instid0(VALU_DEP_2) | instskip(NEXT) | instid1(VALU_DEP_1)
	v_add_f64 v[43:44], v[49:50], -v[43:44]
	v_add_f64 v[15:16], v[15:16], v[43:44]
	s_delay_alu instid0(VALU_DEP_1) | instskip(NEXT) | instid1(VALU_DEP_1)
	v_add_f64 v[15:16], v[47:48], v[15:16]
	v_mul_f64 v[15:16], v[41:42], v[15:16]
	s_delay_alu instid0(VALU_DEP_1) | instskip(NEXT) | instid1(VALU_DEP_1)
	v_add_f64 v[15:16], v[41:42], v[15:16]
	v_xor_b32_e32 v13, 0x80000000, v16
	s_delay_alu instid0(VALU_DEP_2) | instskip(NEXT) | instid1(VALU_DEP_2)
	v_cndmask_b32_e64 v2, v15, v17, s4
	v_cndmask_b32_e64 v13, v13, v18, s4
	s_delay_alu instid0(VALU_DEP_1) | instskip(NEXT) | instid1(VALU_DEP_3)
	v_xor_b32_e32 v14, v13, v14
	v_cndmask_b32_e64 v13, 0, v2, s5
	s_delay_alu instid0(VALU_DEP_2)
	v_cndmask_b32_e64 v14, 0x7ff80000, v14, s5
	global_store_b64 v[3:4], v[13:14], off
	s_or_b32 exec_lo, exec_lo, s6
	s_and_saveexec_b32 s5, s3
	s_cbranch_execz .LBB98_28
.LBB98_33:                              ;   in Loop: Header=BB98_4 Depth=1
	v_mul_f64 v[13:14], v[19:20], v[19:20]
	s_delay_alu instid0(VALU_DEP_4) | instskip(SKIP_3) | instid1(VALU_DEP_2)
	v_add_f64 v[15:16], v[21:22], v[21:22]
	v_cmp_class_f64_e64 s4, v[11:12], 0x1f8
	v_and_b32_e32 v2, 1, v38
	v_and_b32_e32 v12, 0x80000000, v12
	v_cmp_eq_u32_e64 s3, 0, v2
	v_fma_f64 v[17:18], v[19:20], v[19:20], -v[13:14]
	s_delay_alu instid0(VALU_DEP_1) | instskip(NEXT) | instid1(VALU_DEP_1)
	v_fma_f64 v[15:16], v[19:20], v[15:16], v[17:18]
	v_add_f64 v[13:14], v[13:14], v[15:16]
	s_delay_alu instid0(VALU_DEP_1) | instskip(NEXT) | instid1(VALU_DEP_1)
	v_fma_f64 v[15:16], v[13:14], s[26:27], s[24:25]
	v_fma_f64 v[15:16], v[13:14], v[15:16], s[28:29]
	s_delay_alu instid0(VALU_DEP_1) | instskip(NEXT) | instid1(VALU_DEP_1)
	v_fma_f64 v[15:16], v[13:14], v[15:16], s[30:31]
	v_fma_f64 v[15:16], v[13:14], v[15:16], s[34:35]
	;; [unrolled: 3-line block ×6, first 2 shown]
	s_delay_alu instid0(VALU_DEP_1) | instskip(NEXT) | instid1(VALU_DEP_1)
	v_fma_f64 v[15:16], v[13:14], v[15:16], s[52:53]
	v_mul_f64 v[13:14], v[13:14], v[15:16]
	s_delay_alu instid0(VALU_DEP_1) | instskip(NEXT) | instid1(VALU_DEP_1)
	v_mul_f64 v[15:16], v[19:20], v[13:14]
	v_add_f64 v[17:18], v[19:20], v[15:16]
	v_fma_f64 v[13:14], v[19:20], v[13:14], -v[15:16]
	s_delay_alu instid0(VALU_DEP_2) | instskip(NEXT) | instid1(VALU_DEP_2)
	v_add_f64 v[19:20], v[17:18], -v[19:20]
	v_add_f64 v[13:14], v[21:22], v[13:14]
	s_delay_alu instid0(VALU_DEP_2) | instskip(NEXT) | instid1(VALU_DEP_1)
	v_add_f64 v[15:16], v[15:16], -v[19:20]
	v_add_f64 v[13:14], v[13:14], v[15:16]
	s_delay_alu instid0(VALU_DEP_1) | instskip(NEXT) | instid1(VALU_DEP_1)
	v_add_f64 v[15:16], v[17:18], v[13:14]
	v_rcp_f64_e32 v[19:20], v[15:16]
	v_add_f64 v[17:18], v[15:16], -v[17:18]
	s_delay_alu instid0(VALU_DEP_1) | instskip(SKIP_2) | instid1(VALU_DEP_1)
	v_add_f64 v[13:14], v[13:14], -v[17:18]
	s_waitcnt_depctr 0xfff
	v_fma_f64 v[21:22], -v[15:16], v[19:20], 1.0
	v_fma_f64 v[19:20], v[21:22], v[19:20], v[19:20]
	s_delay_alu instid0(VALU_DEP_1) | instskip(NEXT) | instid1(VALU_DEP_1)
	v_fma_f64 v[21:22], -v[15:16], v[19:20], 1.0
	v_fma_f64 v[19:20], v[21:22], v[19:20], v[19:20]
	s_delay_alu instid0(VALU_DEP_1) | instskip(NEXT) | instid1(VALU_DEP_1)
	v_mul_f64 v[21:22], v[15:16], v[19:20]
	v_fma_f64 v[17:18], v[19:20], v[15:16], -v[21:22]
	s_delay_alu instid0(VALU_DEP_1) | instskip(NEXT) | instid1(VALU_DEP_1)
	v_fma_f64 v[13:14], v[19:20], v[13:14], v[17:18]
	v_add_f64 v[17:18], v[21:22], v[13:14]
	s_delay_alu instid0(VALU_DEP_1) | instskip(SKIP_1) | instid1(VALU_DEP_2)
	v_add_f64 v[41:42], -v[17:18], 1.0
	v_add_f64 v[21:22], v[17:18], -v[21:22]
	v_add_f64 v[43:44], -v[41:42], 1.0
	s_delay_alu instid0(VALU_DEP_2) | instskip(NEXT) | instid1(VALU_DEP_2)
	v_add_f64 v[13:14], v[21:22], -v[13:14]
	v_add_f64 v[17:18], v[43:44], -v[17:18]
	s_delay_alu instid0(VALU_DEP_1) | instskip(NEXT) | instid1(VALU_DEP_1)
	v_add_f64 v[13:14], v[13:14], v[17:18]
	v_add_f64 v[13:14], v[41:42], v[13:14]
	s_delay_alu instid0(VALU_DEP_1) | instskip(NEXT) | instid1(VALU_DEP_1)
	v_mul_f64 v[13:14], v[19:20], v[13:14]
	v_add_f64 v[13:14], v[19:20], v[13:14]
	s_delay_alu instid0(VALU_DEP_1) | instskip(NEXT) | instid1(VALU_DEP_2)
	v_xor_b32_e32 v11, 0x80000000, v14
	v_cndmask_b32_e64 v2, v13, v15, s3
	s_delay_alu instid0(VALU_DEP_2) | instskip(NEXT) | instid1(VALU_DEP_1)
	v_cndmask_b32_e64 v11, v11, v16, s3
	v_xor_b32_e32 v12, v11, v12
	s_delay_alu instid0(VALU_DEP_3) | instskip(NEXT) | instid1(VALU_DEP_2)
	v_cndmask_b32_e64 v11, 0, v2, s4
	v_cndmask_b32_e64 v12, 0x7ff80000, v12, s4
	global_store_b64 v[5:6], v[11:12], off
	s_or_b32 exec_lo, exec_lo, s5
	s_and_saveexec_b32 s4, s2
	s_cbranch_execz .LBB98_29
.LBB98_34:                              ;   in Loop: Header=BB98_4 Depth=1
	v_mul_f64 v[11:12], v[23:24], v[23:24]
	s_delay_alu instid0(VALU_DEP_3) | instskip(SKIP_3) | instid1(VALU_DEP_2)
	v_add_f64 v[13:14], v[25:26], v[25:26]
	v_cmp_class_f64_e64 s3, v[9:10], 0x1f8
	v_and_b32_e32 v2, 1, v39
	v_and_b32_e32 v10, 0x80000000, v10
	v_cmp_eq_u32_e64 s2, 0, v2
	v_fma_f64 v[15:16], v[23:24], v[23:24], -v[11:12]
	s_delay_alu instid0(VALU_DEP_1) | instskip(NEXT) | instid1(VALU_DEP_1)
	v_fma_f64 v[13:14], v[23:24], v[13:14], v[15:16]
	v_add_f64 v[11:12], v[11:12], v[13:14]
	s_delay_alu instid0(VALU_DEP_1) | instskip(NEXT) | instid1(VALU_DEP_1)
	v_fma_f64 v[13:14], v[11:12], s[26:27], s[24:25]
	v_fma_f64 v[13:14], v[11:12], v[13:14], s[28:29]
	s_delay_alu instid0(VALU_DEP_1) | instskip(NEXT) | instid1(VALU_DEP_1)
	v_fma_f64 v[13:14], v[11:12], v[13:14], s[30:31]
	v_fma_f64 v[13:14], v[11:12], v[13:14], s[34:35]
	;; [unrolled: 3-line block ×6, first 2 shown]
	s_delay_alu instid0(VALU_DEP_1) | instskip(NEXT) | instid1(VALU_DEP_1)
	v_fma_f64 v[13:14], v[11:12], v[13:14], s[52:53]
	v_mul_f64 v[11:12], v[11:12], v[13:14]
	s_delay_alu instid0(VALU_DEP_1) | instskip(NEXT) | instid1(VALU_DEP_1)
	v_mul_f64 v[13:14], v[23:24], v[11:12]
	v_add_f64 v[15:16], v[23:24], v[13:14]
	v_fma_f64 v[11:12], v[23:24], v[11:12], -v[13:14]
	s_delay_alu instid0(VALU_DEP_2) | instskip(NEXT) | instid1(VALU_DEP_2)
	v_add_f64 v[17:18], v[15:16], -v[23:24]
	v_add_f64 v[11:12], v[25:26], v[11:12]
	s_delay_alu instid0(VALU_DEP_2) | instskip(NEXT) | instid1(VALU_DEP_1)
	v_add_f64 v[13:14], v[13:14], -v[17:18]
	v_add_f64 v[11:12], v[11:12], v[13:14]
	s_delay_alu instid0(VALU_DEP_1) | instskip(NEXT) | instid1(VALU_DEP_1)
	v_add_f64 v[13:14], v[15:16], v[11:12]
	v_rcp_f64_e32 v[17:18], v[13:14]
	v_add_f64 v[15:16], v[13:14], -v[15:16]
	s_delay_alu instid0(VALU_DEP_1) | instskip(SKIP_2) | instid1(VALU_DEP_1)
	v_add_f64 v[11:12], v[11:12], -v[15:16]
	s_waitcnt_depctr 0xfff
	v_fma_f64 v[19:20], -v[13:14], v[17:18], 1.0
	v_fma_f64 v[17:18], v[19:20], v[17:18], v[17:18]
	s_delay_alu instid0(VALU_DEP_1) | instskip(NEXT) | instid1(VALU_DEP_1)
	v_fma_f64 v[19:20], -v[13:14], v[17:18], 1.0
	v_fma_f64 v[17:18], v[19:20], v[17:18], v[17:18]
	s_delay_alu instid0(VALU_DEP_1) | instskip(NEXT) | instid1(VALU_DEP_1)
	v_mul_f64 v[19:20], v[13:14], v[17:18]
	v_fma_f64 v[15:16], v[17:18], v[13:14], -v[19:20]
	s_delay_alu instid0(VALU_DEP_1) | instskip(NEXT) | instid1(VALU_DEP_1)
	v_fma_f64 v[11:12], v[17:18], v[11:12], v[15:16]
	v_add_f64 v[15:16], v[19:20], v[11:12]
	s_delay_alu instid0(VALU_DEP_1) | instskip(SKIP_1) | instid1(VALU_DEP_2)
	v_add_f64 v[21:22], -v[15:16], 1.0
	v_add_f64 v[19:20], v[15:16], -v[19:20]
	v_add_f64 v[23:24], -v[21:22], 1.0
	s_delay_alu instid0(VALU_DEP_2) | instskip(NEXT) | instid1(VALU_DEP_2)
	v_add_f64 v[11:12], v[19:20], -v[11:12]
	v_add_f64 v[15:16], v[23:24], -v[15:16]
	s_delay_alu instid0(VALU_DEP_1) | instskip(NEXT) | instid1(VALU_DEP_1)
	v_add_f64 v[11:12], v[11:12], v[15:16]
	v_add_f64 v[11:12], v[21:22], v[11:12]
	s_delay_alu instid0(VALU_DEP_1) | instskip(NEXT) | instid1(VALU_DEP_1)
	v_mul_f64 v[11:12], v[17:18], v[11:12]
	v_add_f64 v[11:12], v[17:18], v[11:12]
	s_delay_alu instid0(VALU_DEP_1) | instskip(NEXT) | instid1(VALU_DEP_2)
	v_xor_b32_e32 v9, 0x80000000, v12
	v_cndmask_b32_e64 v2, v11, v13, s2
	s_delay_alu instid0(VALU_DEP_2) | instskip(SKIP_1) | instid1(VALU_DEP_1)
	v_cndmask_b32_e64 v9, v9, v14, s2
	v_add_co_u32 v11, s2, v3, s62
	v_add_co_ci_u32_e64 v12, s2, 0, v4, s2
	s_delay_alu instid0(VALU_DEP_3) | instskip(SKIP_1) | instid1(VALU_DEP_2)
	v_xor_b32_e32 v10, v9, v10
	v_cndmask_b32_e64 v9, 0, v2, s3
	v_cndmask_b32_e64 v10, 0x7ff80000, v10, s3
	global_store_b64 v[11:12], v[9:10], off
	s_or_b32 exec_lo, exec_lo, s4
	s_and_saveexec_b32 s3, vcc_lo
	s_cbranch_execz .LBB98_3
.LBB98_35:                              ;   in Loop: Header=BB98_4 Depth=1
	v_mul_f64 v[9:10], v[27:28], v[27:28]
	s_delay_alu instid0(VALU_DEP_2) | instskip(SKIP_3) | instid1(VALU_DEP_2)
	v_add_f64 v[11:12], v[29:30], v[29:30]
	v_cmp_class_f64_e64 s2, v[7:8], 0x1f8
	v_and_b32_e32 v2, 1, v40
	v_and_b32_e32 v8, 0x80000000, v8
	v_cmp_eq_u32_e32 vcc_lo, 0, v2
	v_fma_f64 v[13:14], v[27:28], v[27:28], -v[9:10]
	s_delay_alu instid0(VALU_DEP_1) | instskip(NEXT) | instid1(VALU_DEP_1)
	v_fma_f64 v[11:12], v[27:28], v[11:12], v[13:14]
	v_add_f64 v[9:10], v[9:10], v[11:12]
	s_delay_alu instid0(VALU_DEP_1) | instskip(NEXT) | instid1(VALU_DEP_1)
	v_fma_f64 v[11:12], v[9:10], s[26:27], s[24:25]
	v_fma_f64 v[11:12], v[9:10], v[11:12], s[28:29]
	s_delay_alu instid0(VALU_DEP_1) | instskip(NEXT) | instid1(VALU_DEP_1)
	v_fma_f64 v[11:12], v[9:10], v[11:12], s[30:31]
	v_fma_f64 v[11:12], v[9:10], v[11:12], s[34:35]
	;; [unrolled: 3-line block ×6, first 2 shown]
	s_delay_alu instid0(VALU_DEP_1) | instskip(NEXT) | instid1(VALU_DEP_1)
	v_fma_f64 v[11:12], v[9:10], v[11:12], s[52:53]
	v_mul_f64 v[9:10], v[9:10], v[11:12]
	s_delay_alu instid0(VALU_DEP_1) | instskip(NEXT) | instid1(VALU_DEP_1)
	v_mul_f64 v[11:12], v[27:28], v[9:10]
	v_add_f64 v[13:14], v[27:28], v[11:12]
	v_fma_f64 v[9:10], v[27:28], v[9:10], -v[11:12]
	s_delay_alu instid0(VALU_DEP_2) | instskip(NEXT) | instid1(VALU_DEP_2)
	v_add_f64 v[15:16], v[13:14], -v[27:28]
	v_add_f64 v[9:10], v[29:30], v[9:10]
	s_delay_alu instid0(VALU_DEP_2) | instskip(NEXT) | instid1(VALU_DEP_1)
	v_add_f64 v[11:12], v[11:12], -v[15:16]
	v_add_f64 v[9:10], v[9:10], v[11:12]
	s_delay_alu instid0(VALU_DEP_1) | instskip(NEXT) | instid1(VALU_DEP_1)
	v_add_f64 v[11:12], v[13:14], v[9:10]
	v_rcp_f64_e32 v[15:16], v[11:12]
	v_add_f64 v[13:14], v[11:12], -v[13:14]
	s_delay_alu instid0(VALU_DEP_1) | instskip(SKIP_2) | instid1(VALU_DEP_1)
	v_add_f64 v[9:10], v[9:10], -v[13:14]
	s_waitcnt_depctr 0xfff
	v_fma_f64 v[17:18], -v[11:12], v[15:16], 1.0
	v_fma_f64 v[15:16], v[17:18], v[15:16], v[15:16]
	s_delay_alu instid0(VALU_DEP_1) | instskip(NEXT) | instid1(VALU_DEP_1)
	v_fma_f64 v[17:18], -v[11:12], v[15:16], 1.0
	v_fma_f64 v[15:16], v[17:18], v[15:16], v[15:16]
	s_delay_alu instid0(VALU_DEP_1) | instskip(NEXT) | instid1(VALU_DEP_1)
	v_mul_f64 v[17:18], v[11:12], v[15:16]
	v_fma_f64 v[13:14], v[15:16], v[11:12], -v[17:18]
	s_delay_alu instid0(VALU_DEP_1) | instskip(NEXT) | instid1(VALU_DEP_1)
	v_fma_f64 v[9:10], v[15:16], v[9:10], v[13:14]
	v_add_f64 v[13:14], v[17:18], v[9:10]
	s_delay_alu instid0(VALU_DEP_1) | instskip(SKIP_1) | instid1(VALU_DEP_2)
	v_add_f64 v[19:20], -v[13:14], 1.0
	v_add_f64 v[17:18], v[13:14], -v[17:18]
	v_add_f64 v[21:22], -v[19:20], 1.0
	s_delay_alu instid0(VALU_DEP_2) | instskip(NEXT) | instid1(VALU_DEP_2)
	v_add_f64 v[9:10], v[17:18], -v[9:10]
	v_add_f64 v[13:14], v[21:22], -v[13:14]
	s_delay_alu instid0(VALU_DEP_1) | instskip(NEXT) | instid1(VALU_DEP_1)
	v_add_f64 v[9:10], v[9:10], v[13:14]
	v_add_f64 v[9:10], v[19:20], v[9:10]
	s_delay_alu instid0(VALU_DEP_1) | instskip(NEXT) | instid1(VALU_DEP_1)
	v_mul_f64 v[9:10], v[15:16], v[9:10]
	v_add_f64 v[9:10], v[15:16], v[9:10]
	s_delay_alu instid0(VALU_DEP_1) | instskip(NEXT) | instid1(VALU_DEP_1)
	v_xor_b32_e32 v7, 0x80000000, v10
	v_dual_cndmask_b32 v2, v9, v11 :: v_dual_cndmask_b32 v7, v7, v12
	v_add_co_u32 v9, vcc_lo, v3, s60
	v_add_co_ci_u32_e32 v10, vcc_lo, 0, v4, vcc_lo
	s_delay_alu instid0(VALU_DEP_3) | instskip(NEXT) | instid1(VALU_DEP_4)
	v_xor_b32_e32 v8, v7, v8
	v_cndmask_b32_e64 v7, 0, v2, s2
	s_delay_alu instid0(VALU_DEP_2)
	v_cndmask_b32_e64 v8, 0x7ff80000, v8, s2
	global_store_b64 v[9:10], v[7:8], off
	s_branch .LBB98_3
.LBB98_36:
	s_cbranch_execz .LBB98_38
	s_branch .LBB98_57
.LBB98_37:
.LBB98_38:
	v_dual_mov_b32 v8, 0 :: v_dual_lshlrev_b32 v1, 2, v0
	s_mov_b32 s33, 0
	s_mov_b32 s2, exec_lo
	s_delay_alu instid0(VALU_DEP_1) | instskip(NEXT) | instid1(VALU_DEP_1)
	v_mov_b32_e32 v2, v8
	v_cmpx_gt_i64_e64 s[10:11], v[1:2]
	s_cbranch_execz .LBB98_57
; %bb.39:
	s_load_b32 s0, s[0:1], 0xd3c
	v_lshlrev_b32_e32 v1, 5, v0
	v_mov_b32_e32 v11, v8
	s_mov_b32 s14, 0x54442d18
	s_mov_b32 s16, 0x6dc9c883
	;; [unrolled: 1-line block ×17, first 2 shown]
	s_waitcnt lgkmcnt(0)
	s_and_b32 s0, s0, 0xffff
	s_mov_b32 s15, 0xbff921fb
	s_lshl_b32 s54, s0, 2
	s_add_u32 s1, s8, s12
	s_addc_u32 s2, s9, s13
	v_add_co_u32 v1, s1, s1, v1
	s_delay_alu instid0(VALU_DEP_1) | instskip(SKIP_1) | instid1(VALU_DEP_3)
	v_add_co_ci_u32_e64 v2, null, s2, 0, s1
	v_add_lshl_u32 v10, v0, s0, 2
	v_add_co_u32 v12, vcc_lo, v1, 16
	s_delay_alu instid0(VALU_DEP_3)
	v_add_co_ci_u32_e32 v13, vcc_lo, 0, v2, vcc_lo
	s_mov_b32 s12, 0xa7943acf
	s_mov_b32 s17, 0x3fe45f30
	;; [unrolled: 1-line block ×18, first 2 shown]
	s_lshl_b32 s55, s0, 5
	s_mov_b32 s9, 0x3ff921fb
	s_mov_b32 s51, 0x3c91a626
	;; [unrolled: 1-line block ×3, first 2 shown]
	s_branch .LBB98_41
.LBB98_40:                              ;   in Loop: Header=BB98_41 Depth=1
	s_or_b32 exec_lo, exec_lo, s0
	v_mul_f64 v[34:35], v[24:25], v[24:25]
	v_mul_f64 v[36:37], v[20:21], v[20:21]
	;; [unrolled: 1-line block ×4, first 2 shown]
	v_add_f64 v[42:43], v[22:23], v[22:23]
	v_add_f64 v[46:47], v[18:19], v[18:19]
	;; [unrolled: 1-line block ×4, first 2 shown]
	v_cmp_class_f64_e64 s0, v[4:5], 0x1f8
	v_cmp_class_f64_e64 s2, v[2:3], 0x1f8
	;; [unrolled: 1-line block ×4, first 2 shown]
	v_and_b32_e32 v9, 1, v32
	v_and_b32_e32 v32, 1, v33
	;; [unrolled: 1-line block ×5, first 2 shown]
	v_cmp_eq_u32_e32 vcc_lo, 0, v9
	v_cmp_eq_u32_e64 s5, 0, v32
	v_cmp_eq_u32_e64 s1, 0, v31
	v_and_b32_e32 v1, 0x80000000, v1
	v_and_b32_e32 v7, 0x80000000, v7
	v_cmp_le_i64_e64 s7, s[10:11], v[10:11]
	v_cmp_lt_u64_e64 s8, 0xffff, v[10:11]
	v_fma_f64 v[44:45], v[24:25], v[24:25], -v[34:35]
	v_fma_f64 v[48:49], v[20:21], v[20:21], -v[36:37]
	;; [unrolled: 1-line block ×4, first 2 shown]
	s_delay_alu instid0(VALU_DEP_4) | instskip(NEXT) | instid1(VALU_DEP_4)
	v_fma_f64 v[42:43], v[24:25], v[42:43], v[44:45]
	v_fma_f64 v[44:45], v[20:21], v[46:47], v[48:49]
	s_delay_alu instid0(VALU_DEP_4) | instskip(NEXT) | instid1(VALU_DEP_4)
	v_fma_f64 v[46:47], v[16:17], v[50:51], v[52:53]
	v_fma_f64 v[48:49], v[28:29], v[54:55], v[56:57]
	s_delay_alu instid0(VALU_DEP_4) | instskip(NEXT) | instid1(VALU_DEP_4)
	v_add_f64 v[34:35], v[34:35], v[42:43]
	v_add_f64 v[36:37], v[36:37], v[44:45]
	s_delay_alu instid0(VALU_DEP_4) | instskip(NEXT) | instid1(VALU_DEP_4)
	v_add_f64 v[38:39], v[38:39], v[46:47]
	v_add_f64 v[40:41], v[40:41], v[48:49]
	s_delay_alu instid0(VALU_DEP_4) | instskip(NEXT) | instid1(VALU_DEP_4)
	v_fma_f64 v[42:43], v[34:35], s[24:25], s[22:23]
	v_fma_f64 v[44:45], v[36:37], s[24:25], s[22:23]
	s_delay_alu instid0(VALU_DEP_4) | instskip(NEXT) | instid1(VALU_DEP_4)
	v_fma_f64 v[46:47], v[38:39], s[24:25], s[22:23]
	v_fma_f64 v[48:49], v[40:41], s[24:25], s[22:23]
	;; [unrolled: 3-line block ×26, first 2 shown]
	s_delay_alu instid0(VALU_DEP_4) | instskip(NEXT) | instid1(VALU_DEP_4)
	v_mul_f64 v[34:35], v[34:35], v[42:43]
	v_mul_f64 v[36:37], v[36:37], v[44:45]
	s_delay_alu instid0(VALU_DEP_4) | instskip(NEXT) | instid1(VALU_DEP_4)
	v_mul_f64 v[38:39], v[38:39], v[46:47]
	v_mul_f64 v[40:41], v[40:41], v[48:49]
	;; [unrolled: 3-line block ×4, first 2 shown]
	s_delay_alu instid0(VALU_DEP_4) | instskip(NEXT) | instid1(VALU_DEP_4)
	v_add_f64 v[50:51], v[24:25], v[42:43]
	v_add_f64 v[52:53], v[20:21], v[44:45]
	s_delay_alu instid0(VALU_DEP_4) | instskip(NEXT) | instid1(VALU_DEP_4)
	v_add_f64 v[54:55], v[16:17], v[46:47]
	v_add_f64 v[56:57], v[28:29], v[48:49]
	v_fma_f64 v[34:35], v[24:25], v[34:35], -v[42:43]
	v_fma_f64 v[36:37], v[20:21], v[36:37], -v[44:45]
	;; [unrolled: 1-line block ×4, first 2 shown]
	v_add_f64 v[24:25], v[50:51], -v[24:25]
	v_add_f64 v[20:21], v[52:53], -v[20:21]
	;; [unrolled: 1-line block ×4, first 2 shown]
	v_add_f64 v[22:23], v[22:23], v[34:35]
	v_add_f64 v[18:19], v[18:19], v[36:37]
	;; [unrolled: 1-line block ×4, first 2 shown]
	v_add_f64 v[24:25], v[42:43], -v[24:25]
	v_add_f64 v[20:21], v[44:45], -v[20:21]
	;; [unrolled: 1-line block ×4, first 2 shown]
	s_delay_alu instid0(VALU_DEP_4) | instskip(NEXT) | instid1(VALU_DEP_4)
	v_add_f64 v[22:23], v[22:23], v[24:25]
	v_add_f64 v[18:19], v[18:19], v[20:21]
	s_delay_alu instid0(VALU_DEP_4) | instskip(NEXT) | instid1(VALU_DEP_4)
	v_add_f64 v[14:15], v[14:15], v[16:17]
	v_add_f64 v[16:17], v[26:27], v[28:29]
	;; [unrolled: 3-line block ×4, first 2 shown]
	s_delay_alu instid0(VALU_DEP_4) | instskip(NEXT) | instid1(VALU_DEP_3)
	v_rcp_f64_e32 v[34:35], v[20:21]
	v_rcp_f64_e32 v[36:37], v[24:25]
	s_delay_alu instid0(VALU_DEP_2) | instskip(NEXT) | instid1(VALU_DEP_1)
	v_rcp_f64_e32 v[38:39], v[26:27]
	v_rcp_f64_e32 v[40:41], v[28:29]
	v_fma_f64 v[42:43], -v[20:21], v[34:35], 1.0
	s_delay_alu instid0(TRANS32_DEP_3)
	v_fma_f64 v[44:45], -v[24:25], v[36:37], 1.0
	s_waitcnt_depctr 0xfff
	v_fma_f64 v[46:47], -v[26:27], v[38:39], 1.0
	v_fma_f64 v[48:49], -v[28:29], v[40:41], 1.0
	v_fma_f64 v[34:35], v[42:43], v[34:35], v[34:35]
	v_fma_f64 v[36:37], v[44:45], v[36:37], v[36:37]
	s_delay_alu instid0(VALU_DEP_4) | instskip(NEXT) | instid1(VALU_DEP_4)
	v_fma_f64 v[38:39], v[46:47], v[38:39], v[38:39]
	v_fma_f64 v[40:41], v[48:49], v[40:41], v[40:41]
	s_delay_alu instid0(VALU_DEP_4) | instskip(NEXT) | instid1(VALU_DEP_4)
	v_fma_f64 v[42:43], -v[20:21], v[34:35], 1.0
	v_fma_f64 v[44:45], -v[24:25], v[36:37], 1.0
	s_delay_alu instid0(VALU_DEP_4) | instskip(NEXT) | instid1(VALU_DEP_4)
	v_fma_f64 v[46:47], -v[26:27], v[38:39], 1.0
	v_fma_f64 v[48:49], -v[28:29], v[40:41], 1.0
	s_delay_alu instid0(VALU_DEP_4) | instskip(NEXT) | instid1(VALU_DEP_4)
	v_fma_f64 v[34:35], v[42:43], v[34:35], v[34:35]
	v_fma_f64 v[36:37], v[44:45], v[36:37], v[36:37]
	s_delay_alu instid0(VALU_DEP_4) | instskip(NEXT) | instid1(VALU_DEP_4)
	v_fma_f64 v[38:39], v[46:47], v[38:39], v[38:39]
	v_fma_f64 v[40:41], v[48:49], v[40:41], v[40:41]
	v_add_f64 v[42:43], v[20:21], -v[50:51]
	v_add_f64 v[46:47], v[24:25], -v[52:53]
	;; [unrolled: 1-line block ×4, first 2 shown]
	v_mul_f64 v[44:45], v[20:21], v[34:35]
	v_mul_f64 v[48:49], v[24:25], v[36:37]
	;; [unrolled: 1-line block ×4, first 2 shown]
	v_add_f64 v[22:23], v[22:23], -v[42:43]
	v_add_f64 v[18:19], v[18:19], -v[46:47]
	;; [unrolled: 1-line block ×4, first 2 shown]
	v_fma_f64 v[42:43], v[34:35], v[20:21], -v[44:45]
	v_fma_f64 v[46:47], v[36:37], v[24:25], -v[48:49]
	;; [unrolled: 1-line block ×4, first 2 shown]
	s_delay_alu instid0(VALU_DEP_4) | instskip(NEXT) | instid1(VALU_DEP_4)
	v_fma_f64 v[22:23], v[34:35], v[22:23], v[42:43]
	v_fma_f64 v[18:19], v[36:37], v[18:19], v[46:47]
	s_delay_alu instid0(VALU_DEP_4) | instskip(NEXT) | instid1(VALU_DEP_4)
	v_fma_f64 v[14:15], v[38:39], v[14:15], v[50:51]
	v_fma_f64 v[16:17], v[40:41], v[16:17], v[54:55]
	s_delay_alu instid0(VALU_DEP_4) | instskip(NEXT) | instid1(VALU_DEP_4)
	v_add_f64 v[42:43], v[44:45], v[22:23]
	v_add_f64 v[46:47], v[48:49], v[18:19]
	s_delay_alu instid0(VALU_DEP_4) | instskip(NEXT) | instid1(VALU_DEP_4)
	v_add_f64 v[50:51], v[52:53], v[14:15]
	v_add_f64 v[54:55], v[56:57], v[16:17]
	s_delay_alu instid0(VALU_DEP_4) | instskip(NEXT) | instid1(VALU_DEP_4)
	v_add_f64 v[58:59], -v[42:43], 1.0
	v_add_f64 v[60:61], -v[46:47], 1.0
	s_delay_alu instid0(VALU_DEP_4) | instskip(NEXT) | instid1(VALU_DEP_4)
	v_add_f64 v[62:63], -v[50:51], 1.0
	v_add_f64 v[64:65], -v[54:55], 1.0
	v_add_f64 v[44:45], v[42:43], -v[44:45]
	v_add_f64 v[48:49], v[46:47], -v[48:49]
	;; [unrolled: 1-line block ×4, first 2 shown]
	v_add_f64 v[66:67], -v[58:59], 1.0
	v_add_f64 v[68:69], -v[60:61], 1.0
	;; [unrolled: 1-line block ×4, first 2 shown]
	v_add_f64 v[22:23], v[44:45], -v[22:23]
	v_add_f64 v[18:19], v[48:49], -v[18:19]
	;; [unrolled: 1-line block ×8, first 2 shown]
	s_delay_alu instid0(VALU_DEP_4) | instskip(NEXT) | instid1(VALU_DEP_4)
	v_add_f64 v[22:23], v[22:23], v[42:43]
	v_add_f64 v[18:19], v[18:19], v[44:45]
	s_delay_alu instid0(VALU_DEP_4) | instskip(NEXT) | instid1(VALU_DEP_4)
	v_add_f64 v[14:15], v[14:15], v[46:47]
	v_add_f64 v[16:17], v[16:17], v[48:49]
	;; [unrolled: 3-line block ×4, first 2 shown]
	s_delay_alu instid0(VALU_DEP_4) | instskip(NEXT) | instid1(VALU_DEP_4)
	v_mul_f64 v[22:23], v[34:35], v[22:23]
	v_mul_f64 v[18:19], v[36:37], v[18:19]
	s_delay_alu instid0(VALU_DEP_4) | instskip(NEXT) | instid1(VALU_DEP_4)
	v_mul_f64 v[14:15], v[38:39], v[14:15]
	v_mul_f64 v[16:17], v[40:41], v[16:17]
	s_delay_alu instid0(VALU_DEP_4) | instskip(NEXT) | instid1(VALU_DEP_4)
	v_add_f64 v[22:23], v[34:35], v[22:23]
	v_add_f64 v[18:19], v[36:37], v[18:19]
	s_delay_alu instid0(VALU_DEP_4) | instskip(NEXT) | instid1(VALU_DEP_4)
	v_add_f64 v[14:15], v[38:39], v[14:15]
	v_add_f64 v[16:17], v[40:41], v[16:17]
	s_delay_alu instid0(VALU_DEP_4) | instskip(NEXT) | instid1(VALU_DEP_1)
	v_dual_cndmask_b32 v9, v22, v20 :: v_dual_and_b32 v30, 1, v30
	v_cmp_eq_u32_e64 s3, 0, v30
	v_xor_b32_e32 v0, 0x80000000, v23
	v_xor_b32_e32 v6, 0x80000000, v19
	v_xor_b32_e32 v15, 0x80000000, v15
	v_cndmask_b32_e64 v4, v18, v24, s1
	v_cndmask_b32_e64 v2, v14, v26, s3
	v_cndmask_b32_e64 v14, v16, v28, s5
	v_xor_b32_e32 v16, 0x80000000, v17
	v_cndmask_b32_e32 v17, v0, v21, vcc_lo
	v_cndmask_b32_e64 v0, 0, v9, s0
	v_cndmask_b32_e64 v9, v6, v25, s1
	;; [unrolled: 1-line block ×4, first 2 shown]
	v_xor_b32_e32 v5, v17, v5
	v_cndmask_b32_e64 v6, 0, v4, s2
	v_xor_b32_e32 v3, v9, v3
	v_xor_b32_e32 v9, v15, v1
	v_xor_b32_e32 v15, v16, v7
	v_cndmask_b32_e64 v4, 0, v2, s4
	v_cndmask_b32_e64 v1, 0x7ff80000, v5, s0
	;; [unrolled: 1-line block ×6, first 2 shown]
	v_add_co_u32 v10, vcc_lo, v10, s54
	v_add_co_ci_u32_e32 v11, vcc_lo, 0, v11, vcc_lo
	s_clause 0x1
	global_store_b128 v[12:13], v[4:7], off offset:-16
	global_store_b128 v[12:13], v[0:3], off
	v_add_co_u32 v12, vcc_lo, v12, s55
	s_or_b32 s0, s7, s8
	v_add_co_ci_u32_e32 v13, vcc_lo, 0, v13, vcc_lo
	s_and_b32 s0, exec_lo, s0
	s_delay_alu instid0(SALU_CYCLE_1) | instskip(NEXT) | instid1(SALU_CYCLE_1)
	s_or_b32 s33, s0, s33
	s_and_not1_b32 exec_lo, exec_lo, s33
	s_cbranch_execz .LBB98_57
.LBB98_41:                              ; =>This Inner Loop Header: Depth=1
	s_clause 0x1
	global_load_b128 v[0:3], v[12:13], off offset:-16
	global_load_b128 v[4:7], v[12:13], off
	s_mov_b32 s1, exec_lo
                                        ; implicit-def: $vgpr30
                                        ; implicit-def: $vgpr16_vgpr17
                                        ; implicit-def: $vgpr14_vgpr15
	s_waitcnt vmcnt(1)
	v_cmpx_ngt_f64_e64 0x41d00000, |v[0:1]|
	s_xor_b32 s1, exec_lo, s1
	s_cbranch_execz .LBB98_43
; %bb.42:                               ;   in Loop: Header=BB98_41 Depth=1
	v_ldexp_f64 v[14:15], |v[0:1]|, 0xffffff80
	v_cmp_le_f64_e64 vcc_lo, 0x7b000000, |v[0:1]|
	v_trig_preop_f64 v[16:17], |v[0:1]|, 0
	v_and_b32_e32 v9, 0x7fffffff, v1
	v_trig_preop_f64 v[18:19], |v[0:1]|, 1
	v_trig_preop_f64 v[28:29], |v[0:1]|, 2
	s_mov_b32 s8, s14
	s_mov_b32 s53, s51
	v_dual_cndmask_b32 v14, v0, v14 :: v_dual_cndmask_b32 v15, v9, v15
	s_delay_alu instid0(VALU_DEP_1) | instskip(NEXT) | instid1(VALU_DEP_4)
	v_mul_f64 v[20:21], v[16:17], v[14:15]
	v_mul_f64 v[22:23], v[18:19], v[14:15]
	s_delay_alu instid0(VALU_DEP_2) | instskip(NEXT) | instid1(VALU_DEP_2)
	v_fma_f64 v[16:17], v[16:17], v[14:15], -v[20:21]
	v_fma_f64 v[18:19], v[18:19], v[14:15], -v[22:23]
	s_delay_alu instid0(VALU_DEP_2) | instskip(NEXT) | instid1(VALU_DEP_1)
	v_add_f64 v[24:25], v[22:23], v[16:17]
	v_add_f64 v[26:27], v[24:25], -v[22:23]
	v_add_f64 v[32:33], v[20:21], v[24:25]
	s_delay_alu instid0(VALU_DEP_2) | instskip(SKIP_1) | instid1(VALU_DEP_3)
	v_add_f64 v[30:31], v[24:25], -v[26:27]
	v_add_f64 v[16:17], v[16:17], -v[26:27]
	v_ldexp_f64 v[26:27], v[32:33], -2
	v_add_f64 v[20:21], v[32:33], -v[20:21]
	s_delay_alu instid0(VALU_DEP_4) | instskip(NEXT) | instid1(VALU_DEP_3)
	v_add_f64 v[22:23], v[22:23], -v[30:31]
	v_cmp_neq_f64_e64 vcc_lo, 0x7ff00000, |v[26:27]|
	s_delay_alu instid0(VALU_DEP_3) | instskip(NEXT) | instid1(VALU_DEP_3)
	v_add_f64 v[20:21], v[24:25], -v[20:21]
	v_add_f64 v[16:17], v[16:17], v[22:23]
	v_fract_f64_e32 v[22:23], v[26:27]
	s_delay_alu instid0(VALU_DEP_1) | instskip(SKIP_1) | instid1(VALU_DEP_3)
	v_cndmask_b32_e32 v22, 0, v22, vcc_lo
	v_mul_f64 v[34:35], v[28:29], v[14:15]
	v_cndmask_b32_e32 v23, 0, v23, vcc_lo
	s_delay_alu instid0(VALU_DEP_1) | instskip(NEXT) | instid1(VALU_DEP_3)
	v_ldexp_f64 v[22:23], v[22:23], 2
	v_add_f64 v[30:31], v[34:35], v[18:19]
	v_fma_f64 v[14:15], v[28:29], v[14:15], -v[34:35]
	s_delay_alu instid0(VALU_DEP_2) | instskip(NEXT) | instid1(VALU_DEP_1)
	v_add_f64 v[24:25], v[30:31], v[16:17]
	v_add_f64 v[26:27], v[20:21], v[24:25]
	v_add_f64 v[36:37], v[24:25], -v[30:31]
	s_delay_alu instid0(VALU_DEP_2) | instskip(NEXT) | instid1(VALU_DEP_2)
	v_add_f64 v[32:33], v[26:27], v[22:23]
	v_add_f64 v[42:43], v[24:25], -v[36:37]
	v_add_f64 v[16:17], v[16:17], -v[36:37]
	;; [unrolled: 1-line block ×3, first 2 shown]
	s_delay_alu instid0(VALU_DEP_4) | instskip(SKIP_1) | instid1(VALU_DEP_3)
	v_cmp_gt_f64_e32 vcc_lo, 0, v[32:33]
	v_add_f64 v[32:33], v[30:31], -v[34:35]
	v_add_f64 v[20:21], v[24:25], -v[20:21]
	v_cndmask_b32_e64 v9, 0, 0x40100000, vcc_lo
	s_delay_alu instid0(VALU_DEP_3) | instskip(SKIP_2) | instid1(VALU_DEP_4)
	v_add_f64 v[40:41], v[30:31], -v[32:33]
	v_add_f64 v[18:19], v[18:19], -v[32:33]
	;; [unrolled: 1-line block ×3, first 2 shown]
	v_add_f64 v[22:23], v[22:23], v[8:9]
	s_delay_alu instid0(VALU_DEP_4) | instskip(NEXT) | instid1(VALU_DEP_3)
	v_add_f64 v[32:33], v[34:35], -v[40:41]
	v_add_f64 v[16:17], v[16:17], v[30:31]
	s_delay_alu instid0(VALU_DEP_3) | instskip(NEXT) | instid1(VALU_DEP_3)
	v_add_f64 v[38:39], v[26:27], v[22:23]
	v_add_f64 v[18:19], v[18:19], v[32:33]
	s_delay_alu instid0(VALU_DEP_2) | instskip(NEXT) | instid1(VALU_DEP_2)
	v_cvt_i32_f64_e32 v9, v[38:39]
	v_add_f64 v[16:17], v[18:19], v[16:17]
	s_delay_alu instid0(VALU_DEP_2) | instskip(NEXT) | instid1(VALU_DEP_2)
	v_cvt_f64_i32_e32 v[36:37], v9
	v_add_f64 v[14:15], v[14:15], v[16:17]
	s_delay_alu instid0(VALU_DEP_2) | instskip(NEXT) | instid1(VALU_DEP_2)
	v_add_f64 v[22:23], v[22:23], -v[36:37]
	v_add_f64 v[14:15], v[20:21], v[14:15]
	s_delay_alu instid0(VALU_DEP_2) | instskip(NEXT) | instid1(VALU_DEP_1)
	v_add_f64 v[18:19], v[26:27], v[22:23]
	v_add_f64 v[16:17], v[18:19], -v[22:23]
	v_cmp_le_f64_e32 vcc_lo, 0.5, v[18:19]
	s_delay_alu instid0(VALU_DEP_2) | instskip(SKIP_2) | instid1(VALU_DEP_3)
	v_add_f64 v[16:17], v[26:27], -v[16:17]
	v_add_co_ci_u32_e64 v30, s0, 0, v9, vcc_lo
	v_cndmask_b32_e64 v9, 0, 0x3ff00000, vcc_lo
	v_add_f64 v[14:15], v[14:15], v[16:17]
	s_delay_alu instid0(VALU_DEP_2) | instskip(NEXT) | instid1(VALU_DEP_1)
	v_add_f64 v[16:17], v[18:19], -v[8:9]
	v_add_f64 v[18:19], v[16:17], v[14:15]
	s_delay_alu instid0(VALU_DEP_1) | instskip(SKIP_1) | instid1(VALU_DEP_2)
	v_mul_f64 v[20:21], v[18:19], s[8:9]
	v_add_f64 v[16:17], v[18:19], -v[16:17]
	v_fma_f64 v[22:23], v[18:19], s[8:9], -v[20:21]
	s_delay_alu instid0(VALU_DEP_2) | instskip(NEXT) | instid1(VALU_DEP_2)
	v_add_f64 v[14:15], v[14:15], -v[16:17]
	v_fma_f64 v[16:17], v[18:19], s[52:53], v[22:23]
	s_delay_alu instid0(VALU_DEP_1) | instskip(NEXT) | instid1(VALU_DEP_1)
	v_fma_f64 v[14:15], v[14:15], s[8:9], v[16:17]
	v_add_f64 v[16:17], v[20:21], v[14:15]
	s_delay_alu instid0(VALU_DEP_1) | instskip(NEXT) | instid1(VALU_DEP_1)
	v_add_f64 v[18:19], v[16:17], -v[20:21]
	v_add_f64 v[14:15], v[14:15], -v[18:19]
.LBB98_43:                              ;   in Loop: Header=BB98_41 Depth=1
	s_and_not1_saveexec_b32 s0, s1
	s_cbranch_execz .LBB98_45
; %bb.44:                               ;   in Loop: Header=BB98_41 Depth=1
	v_mul_f64 v[14:15], |v[0:1]|, s[16:17]
	s_mov_b32 s50, s18
	s_delay_alu instid0(VALU_DEP_1) | instskip(NEXT) | instid1(VALU_DEP_1)
	v_rndne_f64_e32 v[18:19], v[14:15]
	v_fma_f64 v[14:15], v[18:19], s[14:15], |v[0:1]|
	v_mul_f64 v[16:17], v[18:19], s[18:19]
	v_cvt_i32_f64_e32 v30, v[18:19]
	s_delay_alu instid0(VALU_DEP_3) | instskip(NEXT) | instid1(VALU_DEP_3)
	v_fma_f64 v[22:23], v[18:19], s[18:19], v[14:15]
	v_add_f64 v[20:21], v[14:15], v[16:17]
	s_delay_alu instid0(VALU_DEP_1) | instskip(NEXT) | instid1(VALU_DEP_3)
	v_add_f64 v[14:15], v[14:15], -v[20:21]
	v_add_f64 v[20:21], v[20:21], -v[22:23]
	s_delay_alu instid0(VALU_DEP_2) | instskip(SKIP_1) | instid1(VALU_DEP_2)
	v_add_f64 v[14:15], v[14:15], v[16:17]
	v_fma_f64 v[16:17], v[18:19], s[50:51], v[16:17]
	v_add_f64 v[14:15], v[20:21], v[14:15]
	s_delay_alu instid0(VALU_DEP_1) | instskip(NEXT) | instid1(VALU_DEP_1)
	v_add_f64 v[14:15], v[14:15], -v[16:17]
	v_fma_f64 v[14:15], v[18:19], s[20:21], v[14:15]
	s_delay_alu instid0(VALU_DEP_1) | instskip(NEXT) | instid1(VALU_DEP_1)
	v_add_f64 v[16:17], v[22:23], v[14:15]
	v_add_f64 v[20:21], v[16:17], -v[22:23]
	s_delay_alu instid0(VALU_DEP_1)
	v_add_f64 v[14:15], v[14:15], -v[20:21]
.LBB98_45:                              ;   in Loop: Header=BB98_41 Depth=1
	s_or_b32 exec_lo, exec_lo, s0
	s_delay_alu instid0(SALU_CYCLE_1)
	s_mov_b32 s1, exec_lo
                                        ; implicit-def: $vgpr31
                                        ; implicit-def: $vgpr20_vgpr21
                                        ; implicit-def: $vgpr18_vgpr19
	v_cmpx_ngt_f64_e64 0x41d00000, |v[2:3]|
	s_xor_b32 s1, exec_lo, s1
	s_cbranch_execz .LBB98_47
; %bb.46:                               ;   in Loop: Header=BB98_41 Depth=1
	v_ldexp_f64 v[18:19], |v[2:3]|, 0xffffff80
	v_cmp_le_f64_e64 vcc_lo, 0x7b000000, |v[2:3]|
	v_trig_preop_f64 v[20:21], |v[2:3]|, 0
	v_and_b32_e32 v9, 0x7fffffff, v3
	v_trig_preop_f64 v[22:23], |v[2:3]|, 1
	v_trig_preop_f64 v[33:34], |v[2:3]|, 2
	s_mov_b32 s8, s14
	s_mov_b32 s53, s51
	v_dual_cndmask_b32 v18, v2, v18 :: v_dual_cndmask_b32 v19, v9, v19
	s_delay_alu instid0(VALU_DEP_1) | instskip(NEXT) | instid1(VALU_DEP_4)
	v_mul_f64 v[24:25], v[20:21], v[18:19]
	v_mul_f64 v[26:27], v[22:23], v[18:19]
	s_delay_alu instid0(VALU_DEP_2) | instskip(NEXT) | instid1(VALU_DEP_2)
	v_fma_f64 v[20:21], v[20:21], v[18:19], -v[24:25]
	v_fma_f64 v[22:23], v[22:23], v[18:19], -v[26:27]
	s_delay_alu instid0(VALU_DEP_2) | instskip(NEXT) | instid1(VALU_DEP_1)
	v_add_f64 v[28:29], v[26:27], v[20:21]
	v_add_f64 v[31:32], v[28:29], -v[26:27]
	v_add_f64 v[37:38], v[24:25], v[28:29]
	s_delay_alu instid0(VALU_DEP_2) | instskip(SKIP_1) | instid1(VALU_DEP_3)
	v_add_f64 v[35:36], v[28:29], -v[31:32]
	v_add_f64 v[20:21], v[20:21], -v[31:32]
	v_ldexp_f64 v[31:32], v[37:38], -2
	v_add_f64 v[24:25], v[37:38], -v[24:25]
	s_delay_alu instid0(VALU_DEP_4) | instskip(NEXT) | instid1(VALU_DEP_3)
	v_add_f64 v[26:27], v[26:27], -v[35:36]
	v_cmp_neq_f64_e64 vcc_lo, 0x7ff00000, |v[31:32]|
	s_delay_alu instid0(VALU_DEP_3) | instskip(NEXT) | instid1(VALU_DEP_3)
	v_add_f64 v[24:25], v[28:29], -v[24:25]
	v_add_f64 v[20:21], v[20:21], v[26:27]
	v_fract_f64_e32 v[26:27], v[31:32]
	s_delay_alu instid0(VALU_DEP_1) | instskip(SKIP_1) | instid1(VALU_DEP_3)
	v_cndmask_b32_e32 v26, 0, v26, vcc_lo
	v_mul_f64 v[39:40], v[33:34], v[18:19]
	v_cndmask_b32_e32 v27, 0, v27, vcc_lo
	s_delay_alu instid0(VALU_DEP_1) | instskip(NEXT) | instid1(VALU_DEP_3)
	v_ldexp_f64 v[26:27], v[26:27], 2
	v_add_f64 v[35:36], v[39:40], v[22:23]
	v_fma_f64 v[18:19], v[33:34], v[18:19], -v[39:40]
	s_delay_alu instid0(VALU_DEP_2) | instskip(NEXT) | instid1(VALU_DEP_1)
	v_add_f64 v[28:29], v[35:36], v[20:21]
	v_add_f64 v[31:32], v[24:25], v[28:29]
	v_add_f64 v[41:42], v[28:29], -v[35:36]
	s_delay_alu instid0(VALU_DEP_2) | instskip(NEXT) | instid1(VALU_DEP_2)
	v_add_f64 v[37:38], v[31:32], v[26:27]
	v_add_f64 v[47:48], v[28:29], -v[41:42]
	v_add_f64 v[20:21], v[20:21], -v[41:42]
	;; [unrolled: 1-line block ×3, first 2 shown]
	s_delay_alu instid0(VALU_DEP_4) | instskip(SKIP_1) | instid1(VALU_DEP_3)
	v_cmp_gt_f64_e32 vcc_lo, 0, v[37:38]
	v_add_f64 v[37:38], v[35:36], -v[39:40]
	v_add_f64 v[24:25], v[28:29], -v[24:25]
	v_cndmask_b32_e64 v9, 0, 0x40100000, vcc_lo
	s_delay_alu instid0(VALU_DEP_3) | instskip(SKIP_2) | instid1(VALU_DEP_4)
	v_add_f64 v[45:46], v[35:36], -v[37:38]
	v_add_f64 v[22:23], v[22:23], -v[37:38]
	v_add_f64 v[35:36], v[35:36], -v[47:48]
	v_add_f64 v[26:27], v[26:27], v[8:9]
	s_delay_alu instid0(VALU_DEP_4) | instskip(NEXT) | instid1(VALU_DEP_3)
	v_add_f64 v[37:38], v[39:40], -v[45:46]
	v_add_f64 v[20:21], v[20:21], v[35:36]
	s_delay_alu instid0(VALU_DEP_3) | instskip(NEXT) | instid1(VALU_DEP_3)
	v_add_f64 v[43:44], v[31:32], v[26:27]
	v_add_f64 v[22:23], v[22:23], v[37:38]
	s_delay_alu instid0(VALU_DEP_2) | instskip(NEXT) | instid1(VALU_DEP_2)
	v_cvt_i32_f64_e32 v9, v[43:44]
	v_add_f64 v[20:21], v[22:23], v[20:21]
	s_delay_alu instid0(VALU_DEP_2) | instskip(NEXT) | instid1(VALU_DEP_2)
	v_cvt_f64_i32_e32 v[41:42], v9
	v_add_f64 v[18:19], v[18:19], v[20:21]
	s_delay_alu instid0(VALU_DEP_2) | instskip(NEXT) | instid1(VALU_DEP_2)
	v_add_f64 v[26:27], v[26:27], -v[41:42]
	v_add_f64 v[18:19], v[24:25], v[18:19]
	s_delay_alu instid0(VALU_DEP_2) | instskip(NEXT) | instid1(VALU_DEP_1)
	v_add_f64 v[22:23], v[31:32], v[26:27]
	v_add_f64 v[20:21], v[22:23], -v[26:27]
	v_cmp_le_f64_e32 vcc_lo, 0.5, v[22:23]
	s_delay_alu instid0(VALU_DEP_2) | instskip(SKIP_2) | instid1(VALU_DEP_3)
	v_add_f64 v[20:21], v[31:32], -v[20:21]
	v_add_co_ci_u32_e64 v31, s0, 0, v9, vcc_lo
	v_cndmask_b32_e64 v9, 0, 0x3ff00000, vcc_lo
	v_add_f64 v[18:19], v[18:19], v[20:21]
	s_delay_alu instid0(VALU_DEP_2) | instskip(NEXT) | instid1(VALU_DEP_1)
	v_add_f64 v[20:21], v[22:23], -v[8:9]
	v_add_f64 v[22:23], v[20:21], v[18:19]
	s_delay_alu instid0(VALU_DEP_1) | instskip(SKIP_1) | instid1(VALU_DEP_2)
	v_mul_f64 v[24:25], v[22:23], s[8:9]
	v_add_f64 v[20:21], v[22:23], -v[20:21]
	v_fma_f64 v[26:27], v[22:23], s[8:9], -v[24:25]
	s_delay_alu instid0(VALU_DEP_2) | instskip(NEXT) | instid1(VALU_DEP_2)
	v_add_f64 v[18:19], v[18:19], -v[20:21]
	v_fma_f64 v[20:21], v[22:23], s[52:53], v[26:27]
	s_delay_alu instid0(VALU_DEP_1) | instskip(NEXT) | instid1(VALU_DEP_1)
	v_fma_f64 v[18:19], v[18:19], s[8:9], v[20:21]
	v_add_f64 v[20:21], v[24:25], v[18:19]
	s_delay_alu instid0(VALU_DEP_1) | instskip(NEXT) | instid1(VALU_DEP_1)
	v_add_f64 v[22:23], v[20:21], -v[24:25]
	v_add_f64 v[18:19], v[18:19], -v[22:23]
.LBB98_47:                              ;   in Loop: Header=BB98_41 Depth=1
	s_and_not1_saveexec_b32 s0, s1
	s_cbranch_execz .LBB98_49
; %bb.48:                               ;   in Loop: Header=BB98_41 Depth=1
	v_mul_f64 v[18:19], |v[2:3]|, s[16:17]
	s_mov_b32 s50, s18
	s_delay_alu instid0(VALU_DEP_1) | instskip(NEXT) | instid1(VALU_DEP_1)
	v_rndne_f64_e32 v[22:23], v[18:19]
	v_fma_f64 v[18:19], v[22:23], s[14:15], |v[2:3]|
	v_mul_f64 v[20:21], v[22:23], s[18:19]
	v_cvt_i32_f64_e32 v31, v[22:23]
	s_delay_alu instid0(VALU_DEP_3) | instskip(NEXT) | instid1(VALU_DEP_3)
	v_fma_f64 v[26:27], v[22:23], s[18:19], v[18:19]
	v_add_f64 v[24:25], v[18:19], v[20:21]
	s_delay_alu instid0(VALU_DEP_1) | instskip(NEXT) | instid1(VALU_DEP_3)
	v_add_f64 v[18:19], v[18:19], -v[24:25]
	v_add_f64 v[24:25], v[24:25], -v[26:27]
	s_delay_alu instid0(VALU_DEP_2) | instskip(SKIP_1) | instid1(VALU_DEP_2)
	v_add_f64 v[18:19], v[18:19], v[20:21]
	v_fma_f64 v[20:21], v[22:23], s[50:51], v[20:21]
	v_add_f64 v[18:19], v[24:25], v[18:19]
	s_delay_alu instid0(VALU_DEP_1) | instskip(NEXT) | instid1(VALU_DEP_1)
	v_add_f64 v[18:19], v[18:19], -v[20:21]
	v_fma_f64 v[18:19], v[22:23], s[20:21], v[18:19]
	s_delay_alu instid0(VALU_DEP_1) | instskip(NEXT) | instid1(VALU_DEP_1)
	v_add_f64 v[20:21], v[26:27], v[18:19]
	v_add_f64 v[24:25], v[20:21], -v[26:27]
	s_delay_alu instid0(VALU_DEP_1)
	v_add_f64 v[18:19], v[18:19], -v[24:25]
.LBB98_49:                              ;   in Loop: Header=BB98_41 Depth=1
	s_or_b32 exec_lo, exec_lo, s0
	s_delay_alu instid0(SALU_CYCLE_1)
	s_mov_b32 s1, exec_lo
                                        ; implicit-def: $vgpr32
                                        ; implicit-def: $vgpr24_vgpr25
                                        ; implicit-def: $vgpr22_vgpr23
	s_waitcnt vmcnt(0)
	v_cmpx_ngt_f64_e64 0x41d00000, |v[4:5]|
	s_xor_b32 s1, exec_lo, s1
	s_cbranch_execz .LBB98_51
; %bb.50:                               ;   in Loop: Header=BB98_41 Depth=1
	v_ldexp_f64 v[22:23], |v[4:5]|, 0xffffff80
	v_cmp_le_f64_e64 vcc_lo, 0x7b000000, |v[4:5]|
	v_trig_preop_f64 v[24:25], |v[4:5]|, 0
	v_and_b32_e32 v9, 0x7fffffff, v5
	v_trig_preop_f64 v[26:27], |v[4:5]|, 1
	v_trig_preop_f64 v[38:39], |v[4:5]|, 2
	s_mov_b32 s8, s14
	s_mov_b32 s53, s51
	v_dual_cndmask_b32 v22, v4, v22 :: v_dual_cndmask_b32 v23, v9, v23
	s_delay_alu instid0(VALU_DEP_1) | instskip(NEXT) | instid1(VALU_DEP_4)
	v_mul_f64 v[28:29], v[24:25], v[22:23]
	v_mul_f64 v[32:33], v[26:27], v[22:23]
	s_delay_alu instid0(VALU_DEP_2) | instskip(NEXT) | instid1(VALU_DEP_2)
	v_fma_f64 v[24:25], v[24:25], v[22:23], -v[28:29]
	v_fma_f64 v[26:27], v[26:27], v[22:23], -v[32:33]
	s_delay_alu instid0(VALU_DEP_2) | instskip(NEXT) | instid1(VALU_DEP_1)
	v_add_f64 v[34:35], v[32:33], v[24:25]
	v_add_f64 v[36:37], v[34:35], -v[32:33]
	v_add_f64 v[42:43], v[28:29], v[34:35]
	s_delay_alu instid0(VALU_DEP_2) | instskip(SKIP_1) | instid1(VALU_DEP_3)
	v_add_f64 v[40:41], v[34:35], -v[36:37]
	v_add_f64 v[24:25], v[24:25], -v[36:37]
	v_ldexp_f64 v[36:37], v[42:43], -2
	v_add_f64 v[28:29], v[42:43], -v[28:29]
	s_delay_alu instid0(VALU_DEP_4) | instskip(NEXT) | instid1(VALU_DEP_3)
	v_add_f64 v[32:33], v[32:33], -v[40:41]
	v_cmp_neq_f64_e64 vcc_lo, 0x7ff00000, |v[36:37]|
	s_delay_alu instid0(VALU_DEP_3) | instskip(NEXT) | instid1(VALU_DEP_3)
	v_add_f64 v[28:29], v[34:35], -v[28:29]
	v_add_f64 v[24:25], v[24:25], v[32:33]
	v_fract_f64_e32 v[32:33], v[36:37]
	s_delay_alu instid0(VALU_DEP_1) | instskip(SKIP_1) | instid1(VALU_DEP_3)
	v_cndmask_b32_e32 v32, 0, v32, vcc_lo
	v_mul_f64 v[44:45], v[38:39], v[22:23]
	v_cndmask_b32_e32 v33, 0, v33, vcc_lo
	s_delay_alu instid0(VALU_DEP_1) | instskip(NEXT) | instid1(VALU_DEP_3)
	v_ldexp_f64 v[32:33], v[32:33], 2
	v_add_f64 v[40:41], v[44:45], v[26:27]
	v_fma_f64 v[22:23], v[38:39], v[22:23], -v[44:45]
	s_delay_alu instid0(VALU_DEP_2) | instskip(NEXT) | instid1(VALU_DEP_1)
	v_add_f64 v[34:35], v[40:41], v[24:25]
	v_add_f64 v[36:37], v[28:29], v[34:35]
	v_add_f64 v[46:47], v[34:35], -v[40:41]
	s_delay_alu instid0(VALU_DEP_2) | instskip(NEXT) | instid1(VALU_DEP_2)
	v_add_f64 v[42:43], v[36:37], v[32:33]
	v_add_f64 v[52:53], v[34:35], -v[46:47]
	v_add_f64 v[24:25], v[24:25], -v[46:47]
	;; [unrolled: 1-line block ×3, first 2 shown]
	s_delay_alu instid0(VALU_DEP_4) | instskip(SKIP_1) | instid1(VALU_DEP_3)
	v_cmp_gt_f64_e32 vcc_lo, 0, v[42:43]
	v_add_f64 v[42:43], v[40:41], -v[44:45]
	v_add_f64 v[28:29], v[34:35], -v[28:29]
	v_cndmask_b32_e64 v9, 0, 0x40100000, vcc_lo
	s_delay_alu instid0(VALU_DEP_3) | instskip(SKIP_2) | instid1(VALU_DEP_4)
	v_add_f64 v[50:51], v[40:41], -v[42:43]
	v_add_f64 v[26:27], v[26:27], -v[42:43]
	;; [unrolled: 1-line block ×3, first 2 shown]
	v_add_f64 v[32:33], v[32:33], v[8:9]
	s_delay_alu instid0(VALU_DEP_4) | instskip(NEXT) | instid1(VALU_DEP_3)
	v_add_f64 v[42:43], v[44:45], -v[50:51]
	v_add_f64 v[24:25], v[24:25], v[40:41]
	s_delay_alu instid0(VALU_DEP_3) | instskip(NEXT) | instid1(VALU_DEP_3)
	v_add_f64 v[48:49], v[36:37], v[32:33]
	v_add_f64 v[26:27], v[26:27], v[42:43]
	s_delay_alu instid0(VALU_DEP_2) | instskip(NEXT) | instid1(VALU_DEP_2)
	v_cvt_i32_f64_e32 v9, v[48:49]
	v_add_f64 v[24:25], v[26:27], v[24:25]
	s_delay_alu instid0(VALU_DEP_2) | instskip(NEXT) | instid1(VALU_DEP_2)
	v_cvt_f64_i32_e32 v[46:47], v9
	v_add_f64 v[22:23], v[22:23], v[24:25]
	s_delay_alu instid0(VALU_DEP_2) | instskip(NEXT) | instid1(VALU_DEP_2)
	v_add_f64 v[32:33], v[32:33], -v[46:47]
	v_add_f64 v[22:23], v[28:29], v[22:23]
	s_delay_alu instid0(VALU_DEP_2) | instskip(NEXT) | instid1(VALU_DEP_1)
	v_add_f64 v[26:27], v[36:37], v[32:33]
	v_add_f64 v[24:25], v[26:27], -v[32:33]
	v_cmp_le_f64_e32 vcc_lo, 0.5, v[26:27]
	s_delay_alu instid0(VALU_DEP_2) | instskip(SKIP_2) | instid1(VALU_DEP_3)
	v_add_f64 v[24:25], v[36:37], -v[24:25]
	v_add_co_ci_u32_e64 v32, s0, 0, v9, vcc_lo
	v_cndmask_b32_e64 v9, 0, 0x3ff00000, vcc_lo
	v_add_f64 v[22:23], v[22:23], v[24:25]
	s_delay_alu instid0(VALU_DEP_2) | instskip(NEXT) | instid1(VALU_DEP_1)
	v_add_f64 v[24:25], v[26:27], -v[8:9]
	v_add_f64 v[26:27], v[24:25], v[22:23]
	s_delay_alu instid0(VALU_DEP_1) | instskip(SKIP_1) | instid1(VALU_DEP_2)
	v_mul_f64 v[28:29], v[26:27], s[8:9]
	v_add_f64 v[24:25], v[26:27], -v[24:25]
	v_fma_f64 v[33:34], v[26:27], s[8:9], -v[28:29]
	s_delay_alu instid0(VALU_DEP_2) | instskip(NEXT) | instid1(VALU_DEP_2)
	v_add_f64 v[22:23], v[22:23], -v[24:25]
	v_fma_f64 v[24:25], v[26:27], s[52:53], v[33:34]
	s_delay_alu instid0(VALU_DEP_1) | instskip(NEXT) | instid1(VALU_DEP_1)
	v_fma_f64 v[22:23], v[22:23], s[8:9], v[24:25]
	v_add_f64 v[24:25], v[28:29], v[22:23]
	s_delay_alu instid0(VALU_DEP_1) | instskip(NEXT) | instid1(VALU_DEP_1)
	v_add_f64 v[26:27], v[24:25], -v[28:29]
	v_add_f64 v[22:23], v[22:23], -v[26:27]
.LBB98_51:                              ;   in Loop: Header=BB98_41 Depth=1
	s_and_not1_saveexec_b32 s0, s1
	s_cbranch_execz .LBB98_53
; %bb.52:                               ;   in Loop: Header=BB98_41 Depth=1
	v_mul_f64 v[22:23], |v[4:5]|, s[16:17]
	s_mov_b32 s50, s18
	s_delay_alu instid0(VALU_DEP_1) | instskip(NEXT) | instid1(VALU_DEP_1)
	v_rndne_f64_e32 v[26:27], v[22:23]
	v_fma_f64 v[22:23], v[26:27], s[14:15], |v[4:5]|
	v_mul_f64 v[24:25], v[26:27], s[18:19]
	s_delay_alu instid0(VALU_DEP_2) | instskip(NEXT) | instid1(VALU_DEP_2)
	v_fma_f64 v[32:33], v[26:27], s[18:19], v[22:23]
	v_add_f64 v[28:29], v[22:23], v[24:25]
	s_delay_alu instid0(VALU_DEP_1) | instskip(NEXT) | instid1(VALU_DEP_3)
	v_add_f64 v[22:23], v[22:23], -v[28:29]
	v_add_f64 v[28:29], v[28:29], -v[32:33]
	s_delay_alu instid0(VALU_DEP_2) | instskip(SKIP_1) | instid1(VALU_DEP_2)
	v_add_f64 v[22:23], v[22:23], v[24:25]
	v_fma_f64 v[24:25], v[26:27], s[50:51], v[24:25]
	v_add_f64 v[22:23], v[28:29], v[22:23]
	s_delay_alu instid0(VALU_DEP_1) | instskip(NEXT) | instid1(VALU_DEP_1)
	v_add_f64 v[22:23], v[22:23], -v[24:25]
	v_fma_f64 v[22:23], v[26:27], s[20:21], v[22:23]
	s_delay_alu instid0(VALU_DEP_1) | instskip(NEXT) | instid1(VALU_DEP_1)
	v_add_f64 v[24:25], v[32:33], v[22:23]
	v_add_f64 v[28:29], v[24:25], -v[32:33]
	v_cvt_i32_f64_e32 v32, v[26:27]
	s_delay_alu instid0(VALU_DEP_2)
	v_add_f64 v[22:23], v[22:23], -v[28:29]
.LBB98_53:                              ;   in Loop: Header=BB98_41 Depth=1
	s_or_b32 exec_lo, exec_lo, s0
	s_delay_alu instid0(SALU_CYCLE_1)
	s_mov_b32 s1, exec_lo
                                        ; implicit-def: $vgpr33
                                        ; implicit-def: $vgpr28_vgpr29
                                        ; implicit-def: $vgpr26_vgpr27
	v_cmpx_ngt_f64_e64 0x41d00000, |v[6:7]|
	s_xor_b32 s1, exec_lo, s1
	s_cbranch_execz .LBB98_55
; %bb.54:                               ;   in Loop: Header=BB98_41 Depth=1
	v_ldexp_f64 v[26:27], |v[6:7]|, 0xffffff80
	v_cmp_le_f64_e64 vcc_lo, 0x7b000000, |v[6:7]|
	v_trig_preop_f64 v[28:29], |v[6:7]|, 0
	v_and_b32_e32 v9, 0x7fffffff, v7
	v_trig_preop_f64 v[33:34], |v[6:7]|, 1
	v_trig_preop_f64 v[43:44], |v[6:7]|, 2
	s_mov_b32 s8, s14
	s_mov_b32 s53, s51
	v_dual_cndmask_b32 v26, v6, v26 :: v_dual_cndmask_b32 v27, v9, v27
	s_delay_alu instid0(VALU_DEP_1) | instskip(NEXT) | instid1(VALU_DEP_4)
	v_mul_f64 v[35:36], v[28:29], v[26:27]
	v_mul_f64 v[37:38], v[33:34], v[26:27]
	s_delay_alu instid0(VALU_DEP_2) | instskip(NEXT) | instid1(VALU_DEP_2)
	v_fma_f64 v[28:29], v[28:29], v[26:27], -v[35:36]
	v_fma_f64 v[33:34], v[33:34], v[26:27], -v[37:38]
	s_delay_alu instid0(VALU_DEP_2) | instskip(NEXT) | instid1(VALU_DEP_1)
	v_add_f64 v[39:40], v[37:38], v[28:29]
	v_add_f64 v[41:42], v[39:40], -v[37:38]
	v_add_f64 v[47:48], v[35:36], v[39:40]
	s_delay_alu instid0(VALU_DEP_2) | instskip(SKIP_1) | instid1(VALU_DEP_3)
	v_add_f64 v[45:46], v[39:40], -v[41:42]
	v_add_f64 v[28:29], v[28:29], -v[41:42]
	v_ldexp_f64 v[41:42], v[47:48], -2
	v_add_f64 v[35:36], v[47:48], -v[35:36]
	s_delay_alu instid0(VALU_DEP_4) | instskip(NEXT) | instid1(VALU_DEP_3)
	v_add_f64 v[37:38], v[37:38], -v[45:46]
	v_cmp_neq_f64_e64 vcc_lo, 0x7ff00000, |v[41:42]|
	s_delay_alu instid0(VALU_DEP_3) | instskip(NEXT) | instid1(VALU_DEP_3)
	v_add_f64 v[35:36], v[39:40], -v[35:36]
	v_add_f64 v[28:29], v[28:29], v[37:38]
	v_fract_f64_e32 v[37:38], v[41:42]
	s_delay_alu instid0(VALU_DEP_1) | instskip(SKIP_1) | instid1(VALU_DEP_3)
	v_cndmask_b32_e32 v38, 0, v38, vcc_lo
	v_mul_f64 v[49:50], v[43:44], v[26:27]
	v_cndmask_b32_e32 v37, 0, v37, vcc_lo
	s_delay_alu instid0(VALU_DEP_1) | instskip(NEXT) | instid1(VALU_DEP_3)
	v_ldexp_f64 v[37:38], v[37:38], 2
	v_add_f64 v[45:46], v[49:50], v[33:34]
	v_fma_f64 v[26:27], v[43:44], v[26:27], -v[49:50]
	s_delay_alu instid0(VALU_DEP_2) | instskip(NEXT) | instid1(VALU_DEP_1)
	v_add_f64 v[39:40], v[45:46], v[28:29]
	v_add_f64 v[41:42], v[35:36], v[39:40]
	v_add_f64 v[51:52], v[39:40], -v[45:46]
	s_delay_alu instid0(VALU_DEP_2) | instskip(NEXT) | instid1(VALU_DEP_2)
	v_add_f64 v[47:48], v[41:42], v[37:38]
	v_add_f64 v[57:58], v[39:40], -v[51:52]
	v_add_f64 v[28:29], v[28:29], -v[51:52]
	;; [unrolled: 1-line block ×3, first 2 shown]
	s_delay_alu instid0(VALU_DEP_4) | instskip(SKIP_2) | instid1(VALU_DEP_2)
	v_cmp_gt_f64_e32 vcc_lo, 0, v[47:48]
	v_add_f64 v[47:48], v[45:46], -v[49:50]
	v_cndmask_b32_e64 v9, 0, 0x40100000, vcc_lo
	v_add_f64 v[55:56], v[45:46], -v[47:48]
	v_add_f64 v[33:34], v[33:34], -v[47:48]
	;; [unrolled: 1-line block ×3, first 2 shown]
	s_delay_alu instid0(VALU_DEP_4) | instskip(NEXT) | instid1(VALU_DEP_4)
	v_add_f64 v[37:38], v[37:38], v[8:9]
	v_add_f64 v[47:48], v[49:50], -v[55:56]
	s_delay_alu instid0(VALU_DEP_3) | instskip(NEXT) | instid1(VALU_DEP_3)
	v_add_f64 v[28:29], v[28:29], v[45:46]
	v_add_f64 v[53:54], v[41:42], v[37:38]
	s_delay_alu instid0(VALU_DEP_3) | instskip(NEXT) | instid1(VALU_DEP_2)
	v_add_f64 v[33:34], v[33:34], v[47:48]
	v_cvt_i32_f64_e32 v9, v[53:54]
	s_delay_alu instid0(VALU_DEP_2) | instskip(SKIP_1) | instid1(VALU_DEP_3)
	v_add_f64 v[28:29], v[33:34], v[28:29]
	v_add_f64 v[33:34], v[39:40], -v[35:36]
	v_cvt_f64_i32_e32 v[51:52], v9
	s_delay_alu instid0(VALU_DEP_3) | instskip(NEXT) | instid1(VALU_DEP_2)
	v_add_f64 v[26:27], v[26:27], v[28:29]
	v_add_f64 v[37:38], v[37:38], -v[51:52]
	s_delay_alu instid0(VALU_DEP_2) | instskip(NEXT) | instid1(VALU_DEP_2)
	v_add_f64 v[26:27], v[33:34], v[26:27]
	v_add_f64 v[43:44], v[41:42], v[37:38]
	s_delay_alu instid0(VALU_DEP_1) | instskip(SKIP_1) | instid1(VALU_DEP_2)
	v_add_f64 v[28:29], v[43:44], -v[37:38]
	v_cmp_le_f64_e32 vcc_lo, 0.5, v[43:44]
	v_add_f64 v[28:29], v[41:42], -v[28:29]
	v_add_co_ci_u32_e64 v33, s0, 0, v9, vcc_lo
	v_cndmask_b32_e64 v9, 0, 0x3ff00000, vcc_lo
	s_delay_alu instid0(VALU_DEP_3) | instskip(NEXT) | instid1(VALU_DEP_2)
	v_add_f64 v[26:27], v[26:27], v[28:29]
	v_add_f64 v[28:29], v[43:44], -v[8:9]
	s_delay_alu instid0(VALU_DEP_1) | instskip(NEXT) | instid1(VALU_DEP_1)
	v_add_f64 v[34:35], v[28:29], v[26:27]
	v_mul_f64 v[36:37], v[34:35], s[8:9]
	v_add_f64 v[28:29], v[34:35], -v[28:29]
	s_delay_alu instid0(VALU_DEP_2) | instskip(NEXT) | instid1(VALU_DEP_2)
	v_fma_f64 v[38:39], v[34:35], s[8:9], -v[36:37]
	v_add_f64 v[26:27], v[26:27], -v[28:29]
	s_delay_alu instid0(VALU_DEP_2) | instskip(NEXT) | instid1(VALU_DEP_1)
	v_fma_f64 v[28:29], v[34:35], s[52:53], v[38:39]
	v_fma_f64 v[26:27], v[26:27], s[8:9], v[28:29]
	s_delay_alu instid0(VALU_DEP_1) | instskip(NEXT) | instid1(VALU_DEP_1)
	v_add_f64 v[28:29], v[36:37], v[26:27]
	v_add_f64 v[34:35], v[28:29], -v[36:37]
	s_delay_alu instid0(VALU_DEP_1)
	v_add_f64 v[26:27], v[26:27], -v[34:35]
.LBB98_55:                              ;   in Loop: Header=BB98_41 Depth=1
	s_and_not1_saveexec_b32 s0, s1
	s_cbranch_execz .LBB98_40
; %bb.56:                               ;   in Loop: Header=BB98_41 Depth=1
	v_mul_f64 v[26:27], |v[6:7]|, s[16:17]
	s_mov_b32 s50, s18
	s_delay_alu instid0(VALU_DEP_1) | instskip(NEXT) | instid1(VALU_DEP_1)
	v_rndne_f64_e32 v[33:34], v[26:27]
	v_fma_f64 v[26:27], v[33:34], s[14:15], |v[6:7]|
	v_mul_f64 v[28:29], v[33:34], s[18:19]
	s_delay_alu instid0(VALU_DEP_2) | instskip(NEXT) | instid1(VALU_DEP_2)
	v_fma_f64 v[37:38], v[33:34], s[18:19], v[26:27]
	v_add_f64 v[35:36], v[26:27], v[28:29]
	s_delay_alu instid0(VALU_DEP_1) | instskip(NEXT) | instid1(VALU_DEP_3)
	v_add_f64 v[26:27], v[26:27], -v[35:36]
	v_add_f64 v[35:36], v[35:36], -v[37:38]
	s_delay_alu instid0(VALU_DEP_2) | instskip(SKIP_1) | instid1(VALU_DEP_2)
	v_add_f64 v[26:27], v[26:27], v[28:29]
	v_fma_f64 v[28:29], v[33:34], s[50:51], v[28:29]
	v_add_f64 v[26:27], v[35:36], v[26:27]
	s_delay_alu instid0(VALU_DEP_1) | instskip(NEXT) | instid1(VALU_DEP_1)
	v_add_f64 v[26:27], v[26:27], -v[28:29]
	v_fma_f64 v[26:27], v[33:34], s[20:21], v[26:27]
	v_cvt_i32_f64_e32 v33, v[33:34]
	s_delay_alu instid0(VALU_DEP_2) | instskip(NEXT) | instid1(VALU_DEP_1)
	v_add_f64 v[28:29], v[37:38], v[26:27]
	v_add_f64 v[35:36], v[28:29], -v[37:38]
	s_delay_alu instid0(VALU_DEP_1)
	v_add_f64 v[26:27], v[26:27], -v[35:36]
	s_branch .LBB98_40
.LBB98_57:
	s_nop 0
	s_sendmsg sendmsg(MSG_DEALLOC_VGPRS)
	s_endpgm
	.section	.rodata,"a",@progbits
	.p2align	6, 0x0
	.amdhsa_kernel _ZN2at6native12_GLOBAL__N_125multi_tensor_apply_kernelINS1_18TensorListMetadataILi1EEENS1_14UnaryOpFunctorIdLi1ELi1ELi0EEEJNS0_3TanIdEEEEEvT_T0_DpT1_
		.amdhsa_group_segment_fixed_size 0
		.amdhsa_private_segment_fixed_size 0
		.amdhsa_kernarg_size 3632
		.amdhsa_user_sgpr_count 15
		.amdhsa_user_sgpr_dispatch_ptr 0
		.amdhsa_user_sgpr_queue_ptr 0
		.amdhsa_user_sgpr_kernarg_segment_ptr 1
		.amdhsa_user_sgpr_dispatch_id 0
		.amdhsa_user_sgpr_private_segment_size 0
		.amdhsa_wavefront_size32 1
		.amdhsa_uses_dynamic_stack 0
		.amdhsa_enable_private_segment 0
		.amdhsa_system_sgpr_workgroup_id_x 1
		.amdhsa_system_sgpr_workgroup_id_y 0
		.amdhsa_system_sgpr_workgroup_id_z 0
		.amdhsa_system_sgpr_workgroup_info 0
		.amdhsa_system_vgpr_workitem_id 0
		.amdhsa_next_free_vgpr 74
		.amdhsa_next_free_sgpr 63
		.amdhsa_reserve_vcc 1
		.amdhsa_float_round_mode_32 0
		.amdhsa_float_round_mode_16_64 0
		.amdhsa_float_denorm_mode_32 3
		.amdhsa_float_denorm_mode_16_64 3
		.amdhsa_dx10_clamp 1
		.amdhsa_ieee_mode 1
		.amdhsa_fp16_overflow 0
		.amdhsa_workgroup_processor_mode 1
		.amdhsa_memory_ordered 1
		.amdhsa_forward_progress 0
		.amdhsa_shared_vgpr_count 0
		.amdhsa_exception_fp_ieee_invalid_op 0
		.amdhsa_exception_fp_denorm_src 0
		.amdhsa_exception_fp_ieee_div_zero 0
		.amdhsa_exception_fp_ieee_overflow 0
		.amdhsa_exception_fp_ieee_underflow 0
		.amdhsa_exception_fp_ieee_inexact 0
		.amdhsa_exception_int_div_zero 0
	.end_amdhsa_kernel
	.section	.text._ZN2at6native12_GLOBAL__N_125multi_tensor_apply_kernelINS1_18TensorListMetadataILi1EEENS1_14UnaryOpFunctorIdLi1ELi1ELi0EEEJNS0_3TanIdEEEEEvT_T0_DpT1_,"axG",@progbits,_ZN2at6native12_GLOBAL__N_125multi_tensor_apply_kernelINS1_18TensorListMetadataILi1EEENS1_14UnaryOpFunctorIdLi1ELi1ELi0EEEJNS0_3TanIdEEEEEvT_T0_DpT1_,comdat
.Lfunc_end98:
	.size	_ZN2at6native12_GLOBAL__N_125multi_tensor_apply_kernelINS1_18TensorListMetadataILi1EEENS1_14UnaryOpFunctorIdLi1ELi1ELi0EEEJNS0_3TanIdEEEEEvT_T0_DpT1_, .Lfunc_end98-_ZN2at6native12_GLOBAL__N_125multi_tensor_apply_kernelINS1_18TensorListMetadataILi1EEENS1_14UnaryOpFunctorIdLi1ELi1ELi0EEEJNS0_3TanIdEEEEEvT_T0_DpT1_
                                        ; -- End function
	.section	.AMDGPU.csdata,"",@progbits
; Kernel info:
; codeLenInByte = 13064
; NumSgprs: 65
; NumVgprs: 74
; ScratchSize: 0
; MemoryBound: 0
; FloatMode: 240
; IeeeMode: 1
; LDSByteSize: 0 bytes/workgroup (compile time only)
; SGPRBlocks: 8
; VGPRBlocks: 9
; NumSGPRsForWavesPerEU: 65
; NumVGPRsForWavesPerEU: 74
; Occupancy: 16
; WaveLimiterHint : 0
; COMPUTE_PGM_RSRC2:SCRATCH_EN: 0
; COMPUTE_PGM_RSRC2:USER_SGPR: 15
; COMPUTE_PGM_RSRC2:TRAP_HANDLER: 0
; COMPUTE_PGM_RSRC2:TGID_X_EN: 1
; COMPUTE_PGM_RSRC2:TGID_Y_EN: 0
; COMPUTE_PGM_RSRC2:TGID_Z_EN: 0
; COMPUTE_PGM_RSRC2:TIDIG_COMP_CNT: 0
	.section	.text._ZN2at6native12_GLOBAL__N_125multi_tensor_apply_kernelINS1_18TensorListMetadataILi1EEENS1_14UnaryOpFunctorIfLi1ELi1ELi0EEEJNS0_3TanIfEEEEEvT_T0_DpT1_,"axG",@progbits,_ZN2at6native12_GLOBAL__N_125multi_tensor_apply_kernelINS1_18TensorListMetadataILi1EEENS1_14UnaryOpFunctorIfLi1ELi1ELi0EEEJNS0_3TanIfEEEEEvT_T0_DpT1_,comdat
	.globl	_ZN2at6native12_GLOBAL__N_125multi_tensor_apply_kernelINS1_18TensorListMetadataILi1EEENS1_14UnaryOpFunctorIfLi1ELi1ELi0EEEJNS0_3TanIfEEEEEvT_T0_DpT1_ ; -- Begin function _ZN2at6native12_GLOBAL__N_125multi_tensor_apply_kernelINS1_18TensorListMetadataILi1EEENS1_14UnaryOpFunctorIfLi1ELi1ELi0EEEJNS0_3TanIfEEEEEvT_T0_DpT1_
	.p2align	8
	.type	_ZN2at6native12_GLOBAL__N_125multi_tensor_apply_kernelINS1_18TensorListMetadataILi1EEENS1_14UnaryOpFunctorIfLi1ELi1ELi0EEEJNS0_3TanIfEEEEEvT_T0_DpT1_,@function
_ZN2at6native12_GLOBAL__N_125multi_tensor_apply_kernelINS1_18TensorListMetadataILi1EEENS1_14UnaryOpFunctorIfLi1ELi1ELi0EEEJNS0_3TanIfEEEEEvT_T0_DpT1_: ; @_ZN2at6native12_GLOBAL__N_125multi_tensor_apply_kernelINS1_18TensorListMetadataILi1EEENS1_14UnaryOpFunctorIfLi1ELi1ELi0EEEJNS0_3TanIfEEEEEvT_T0_DpT1_
; %bb.0:
	v_mov_b32_e32 v1, s15
	s_add_u32 s2, s0, s15
	s_mul_hi_u32 s3, s15, 3
	s_mul_i32 s15, s15, 3
	s_addc_u32 s4, s1, 0
	global_load_u8 v1, v1, s[0:1] offset:1760
	s_add_u32 s2, s2, s15
	s_addc_u32 s3, s4, s3
	s_mov_b32 s7, 0
	s_load_b32 s2, s[2:3], 0x820
	s_waitcnt vmcnt(0)
	v_readfirstlane_b32 s5, v1
	s_delay_alu instid0(VALU_DEP_1)
	s_lshl_b32 s3, s5, 3
	s_clause 0x1
	s_load_b64 s[12:13], s[0:1], s3 offset:0x0
	s_load_b64 s[4:5], s[0:1], s3 offset:0x370
	s_waitcnt lgkmcnt(0)
	s_ashr_i32 s3, s2, 31
	s_delay_alu instid0(SALU_CYCLE_1)
	s_lshl_b64 s[14:15], s[2:3], 18
	s_lshl_b64 s[2:3], s[2:3], 16
	s_and_b32 s6, s12, 15
	s_sub_u32 s10, s4, s2
	s_subb_u32 s11, s5, s3
	s_and_b32 s2, s4, 3
	s_mov_b32 s3, s7
	s_delay_alu instid0(SALU_CYCLE_1) | instskip(NEXT) | instid1(SALU_CYCLE_1)
	s_or_b64 s[2:3], s[6:7], s[2:3]
	s_cmp_eq_u64 s[2:3], 0
	s_cbranch_scc1 .LBB99_37
; %bb.1:
	v_cmp_lt_i64_e64 s2, s[10:11], 1
	s_delay_alu instid0(VALU_DEP_1)
	s_and_b32 vcc_lo, exec_lo, s2
	s_cbranch_vccnz .LBB99_36
; %bb.2:
	s_load_b32 s2, s[0:1], 0xd3c
	v_cmp_gt_u64_e64 s3, 0x10000, s[10:11]
	v_dual_mov_b32 v2, 0 :: v_dual_lshlrev_b32 v1, 2, v0
	s_mov_b64 s[18:19], 0
	s_mov_b32 s23, 0x7fffff
	s_mov_b32 s24, 0xbc8cedd3
	s_mov_b32 s25, 0x3c971480
	s_waitcnt lgkmcnt(0)
	s_and_b32 s2, s2, 0xffff
	s_and_b32 s3, s3, exec_lo
	v_add_co_u32 v7, s5, v0, s2
	s_cselect_b32 s17, s11, 0
	s_cselect_b32 s16, s10, 0x10000
	s_lshl_b32 s3, s2, 1
	s_lshl_b32 s9, s2, 2
	s_add_u32 s6, s12, s14
	s_mul_i32 s4, s2, 3
	s_mul_i32 s20, s2, 12
	s_addc_u32 s7, s13, s15
	s_lshl_b32 s21, s2, 4
	s_lshl_b32 s22, s2, 3
	v_add_co_u32 v3, s2, s6, v1
	v_lshlrev_b32_e32 v1, 2, v7
	v_add_co_ci_u32_e64 v4, null, s7, 0, s2
	v_add_co_u32 v11, s2, s3, v0
	v_add_co_u32 v8, s4, s4, v0
	v_add_co_ci_u32_e64 v12, null, 0, 0, s2
	v_add_co_u32 v5, s2, s6, v1
	v_add_co_ci_u32_e64 v9, null, 0, 0, s4
	v_add_co_ci_u32_e64 v10, null, 0, 0, s5
	;; [unrolled: 1-line block ×3, first 2 shown]
	s_branch .LBB99_4
.LBB99_3:                               ;   in Loop: Header=BB99_4 Depth=1
	s_or_b32 exec_lo, exec_lo, s2
	s_add_u32 s18, s18, s9
	s_addc_u32 s19, s19, 0
	v_add_co_u32 v3, vcc_lo, v3, s21
	v_cmp_ge_i64_e64 s2, s[18:19], s[10:11]
	v_cmp_lt_u64_e64 s3, 0xffff, s[18:19]
	v_add_co_ci_u32_e32 v4, vcc_lo, 0, v4, vcc_lo
	v_add_co_u32 v5, vcc_lo, v5, s21
	v_add_co_ci_u32_e32 v6, vcc_lo, 0, v6, vcc_lo
	s_delay_alu instid0(VALU_DEP_4) | instskip(NEXT) | instid1(SALU_CYCLE_1)
	s_or_b32 s2, s2, s3
	s_and_b32 vcc_lo, exec_lo, s2
	s_cbranch_vccnz .LBB99_36
.LBB99_4:                               ; =>This Inner Loop Header: Depth=1
	v_add_co_u32 v13, s2, v0, s18
	s_delay_alu instid0(VALU_DEP_1) | instskip(SKIP_1) | instid1(VALU_DEP_2)
	v_add_co_ci_u32_e64 v14, null, 0, s19, s2
	v_mov_b32_e32 v16, 0
	v_cmp_gt_u64_e64 s4, s[16:17], v[13:14]
	s_delay_alu instid0(VALU_DEP_1)
	s_and_saveexec_b32 s2, s4
	s_cbranch_execz .LBB99_6
; %bb.5:                                ;   in Loop: Header=BB99_4 Depth=1
	global_load_b32 v16, v[3:4], off
.LBB99_6:                               ;   in Loop: Header=BB99_4 Depth=1
	s_or_b32 exec_lo, exec_lo, s2
	v_add_co_u32 v13, vcc_lo, v7, s18
	v_add_co_ci_u32_e32 v14, vcc_lo, s19, v10, vcc_lo
	v_mov_b32_e32 v15, 0
	s_delay_alu instid0(VALU_DEP_2) | instskip(NEXT) | instid1(VALU_DEP_1)
	v_cmp_gt_u64_e64 s3, s[16:17], v[13:14]
	s_and_saveexec_b32 s2, s3
	s_cbranch_execz .LBB99_8
; %bb.7:                                ;   in Loop: Header=BB99_4 Depth=1
	global_load_b32 v15, v[5:6], off
.LBB99_8:                               ;   in Loop: Header=BB99_4 Depth=1
	s_or_b32 exec_lo, exec_lo, s2
	v_add_co_u32 v13, vcc_lo, v11, s18
	v_add_co_ci_u32_e32 v14, vcc_lo, s19, v12, vcc_lo
	s_delay_alu instid0(VALU_DEP_1) | instskip(SKIP_1) | instid1(VALU_DEP_2)
	v_cmp_gt_u64_e64 s2, s[16:17], v[13:14]
	v_dual_mov_b32 v13, 0 :: v_dual_mov_b32 v14, 0
	s_and_saveexec_b32 s5, s2
	s_cbranch_execz .LBB99_10
; %bb.9:                                ;   in Loop: Header=BB99_4 Depth=1
	v_add_co_u32 v17, vcc_lo, v3, s22
	v_add_co_ci_u32_e32 v18, vcc_lo, 0, v4, vcc_lo
	global_load_b32 v14, v[17:18], off
.LBB99_10:                              ;   in Loop: Header=BB99_4 Depth=1
	s_or_b32 exec_lo, exec_lo, s5
	v_add_co_u32 v17, vcc_lo, v8, s18
	v_add_co_ci_u32_e32 v18, vcc_lo, s19, v9, vcc_lo
	s_delay_alu instid0(VALU_DEP_1)
	v_cmp_gt_u64_e32 vcc_lo, s[16:17], v[17:18]
	s_and_saveexec_b32 s6, vcc_lo
	s_cbranch_execz .LBB99_12
; %bb.11:                               ;   in Loop: Header=BB99_4 Depth=1
	v_add_co_u32 v17, s5, v3, s20
	s_delay_alu instid0(VALU_DEP_1)
	v_add_co_ci_u32_e64 v18, s5, 0, v4, s5
	global_load_b32 v13, v[17:18], off
.LBB99_12:                              ;   in Loop: Header=BB99_4 Depth=1
	s_or_b32 exec_lo, exec_lo, s6
	s_waitcnt vmcnt(0)
	v_and_b32_e32 v17, 0x7fffffff, v16
                                        ; implicit-def: $vgpr19
                                        ; implicit-def: $vgpr18
	s_mov_b32 s6, exec_lo
	v_cmpx_ngt_f32_e64 0x48000000, |v16|
	s_xor_b32 s26, exec_lo, s6
	s_cbranch_execz .LBB99_14
; %bb.13:                               ;   in Loop: Header=BB99_4 Depth=1
	v_and_or_b32 v26, v17, s23, 0x800000
	v_lshrrev_b32_e32 v23, 23, v17
	s_delay_alu instid0(VALU_DEP_2) | instskip(NEXT) | instid1(VALU_DEP_2)
	v_mad_u64_u32 v[18:19], null, 0xfe5163ab, v26, 0
	v_add_nc_u32_e32 v24, 0xffffff88, v23
	s_delay_alu instid0(VALU_DEP_1) | instskip(NEXT) | instid1(VALU_DEP_3)
	v_cmp_lt_u32_e64 s5, 63, v24
	v_mov_b32_e32 v1, v19
	s_delay_alu instid0(VALU_DEP_2) | instskip(NEXT) | instid1(VALU_DEP_2)
	v_cndmask_b32_e64 v25, 0, 0xffffffc0, s5
	v_mad_u64_u32 v[19:20], null, 0x3c439041, v26, v[1:2]
	s_delay_alu instid0(VALU_DEP_2) | instskip(NEXT) | instid1(VALU_DEP_2)
	v_add_nc_u32_e32 v25, v25, v24
	v_mov_b32_e32 v1, v20
	s_delay_alu instid0(VALU_DEP_2) | instskip(NEXT) | instid1(VALU_DEP_2)
	v_cmp_lt_u32_e64 s6, 31, v25
	v_mad_u64_u32 v[20:21], null, 0xdb629599, v26, v[1:2]
	s_delay_alu instid0(VALU_DEP_2) | instskip(NEXT) | instid1(VALU_DEP_1)
	v_cndmask_b32_e64 v27, 0, 0xffffffe0, s6
	v_add_nc_u32_e32 v27, v27, v25
	s_delay_alu instid0(VALU_DEP_3) | instskip(NEXT) | instid1(VALU_DEP_4)
	v_mov_b32_e32 v1, v21
	v_cndmask_b32_e64 v18, v20, v18, s5
	s_delay_alu instid0(VALU_DEP_3) | instskip(NEXT) | instid1(VALU_DEP_3)
	v_cmp_lt_u32_e64 s7, 31, v27
	v_mad_u64_u32 v[21:22], null, 0xf534ddc0, v26, v[1:2]
	s_delay_alu instid0(VALU_DEP_1) | instskip(NEXT) | instid1(VALU_DEP_2)
	v_mov_b32_e32 v1, v22
	v_cndmask_b32_e64 v19, v21, v19, s5
	s_delay_alu instid0(VALU_DEP_2) | instskip(NEXT) | instid1(VALU_DEP_2)
	v_mad_u64_u32 v[22:23], null, 0xfc2757d1, v26, v[1:2]
	v_cndmask_b32_e64 v18, v19, v18, s6
	s_delay_alu instid0(VALU_DEP_2) | instskip(NEXT) | instid1(VALU_DEP_1)
	v_mov_b32_e32 v1, v23
	v_mad_u64_u32 v[23:24], null, 0x4e441529, v26, v[1:2]
	s_delay_alu instid0(VALU_DEP_1) | instskip(NEXT) | instid1(VALU_DEP_1)
	v_mov_b32_e32 v1, v24
	v_mad_u64_u32 v[24:25], null, 0xa2f9836e, v26, v[1:2]
	v_cndmask_b32_e64 v1, 0, 0xffffffe0, s7
	s_delay_alu instid0(VALU_DEP_4) | instskip(NEXT) | instid1(VALU_DEP_2)
	v_cndmask_b32_e64 v26, v23, v21, s5
	v_add_nc_u32_e32 v1, v1, v27
	s_delay_alu instid0(VALU_DEP_4) | instskip(SKIP_2) | instid1(VALU_DEP_4)
	v_cndmask_b32_e64 v24, v24, v22, s5
	v_cndmask_b32_e64 v23, v25, v23, s5
	;; [unrolled: 1-line block ×3, first 2 shown]
	v_sub_nc_u32_e32 v25, 32, v1
	s_delay_alu instid0(VALU_DEP_4) | instskip(NEXT) | instid1(VALU_DEP_4)
	v_cndmask_b32_e64 v21, v24, v26, s6
	v_cndmask_b32_e64 v23, v23, v24, s6
	s_delay_alu instid0(VALU_DEP_4) | instskip(SKIP_2) | instid1(VALU_DEP_4)
	v_cndmask_b32_e64 v24, v26, v22, s6
	v_cndmask_b32_e64 v22, v22, v19, s6
	v_cmp_eq_u32_e64 s8, 0, v1
	v_cndmask_b32_e64 v23, v23, v21, s7
	s_delay_alu instid0(VALU_DEP_4) | instskip(NEXT) | instid1(VALU_DEP_4)
	v_cndmask_b32_e64 v21, v21, v24, s7
	v_cndmask_b32_e64 v24, v24, v22, s7
	;; [unrolled: 1-line block ×3, first 2 shown]
	s_delay_alu instid0(VALU_DEP_3) | instskip(NEXT) | instid1(VALU_DEP_3)
	v_alignbit_b32 v26, v23, v21, v25
	v_alignbit_b32 v27, v21, v24, v25
	s_delay_alu instid0(VALU_DEP_3) | instskip(NEXT) | instid1(VALU_DEP_3)
	v_alignbit_b32 v25, v24, v18, v25
	v_cndmask_b32_e64 v1, v26, v23, s8
	s_delay_alu instid0(VALU_DEP_3) | instskip(NEXT) | instid1(VALU_DEP_3)
	v_cndmask_b32_e64 v20, v27, v21, s8
	v_cndmask_b32_e64 v24, v25, v24, s8
	s_delay_alu instid0(VALU_DEP_3) | instskip(NEXT) | instid1(VALU_DEP_3)
	v_bfe_u32 v21, v1, 29, 1
	v_alignbit_b32 v19, v1, v20, 30
	s_delay_alu instid0(VALU_DEP_3) | instskip(SKIP_1) | instid1(VALU_DEP_4)
	v_alignbit_b32 v20, v20, v24, 30
	v_alignbit_b32 v18, v24, v18, 30
	v_sub_nc_u32_e32 v23, 0, v21
	s_delay_alu instid0(VALU_DEP_1) | instskip(SKIP_3) | instid1(VALU_DEP_4)
	v_xor_b32_e32 v22, v19, v23
	v_cmp_ne_u32_e64 s5, v19, v23
	v_xor_b32_e32 v20, v20, v23
	v_xor_b32_e32 v18, v18, v23
	v_clz_i32_u32_e32 v26, v22
	s_delay_alu instid0(VALU_DEP_1) | instskip(NEXT) | instid1(VALU_DEP_1)
	v_add_nc_u32_e32 v25, 1, v26
	v_cndmask_b32_e64 v19, 33, v25, s5
	s_delay_alu instid0(VALU_DEP_1) | instskip(NEXT) | instid1(VALU_DEP_1)
	v_sub_nc_u32_e32 v24, 32, v19
	v_alignbit_b32 v22, v22, v20, v24
	v_alignbit_b32 v18, v20, v18, v24
	v_lshrrev_b32_e32 v20, 29, v1
	v_lshrrev_b32_e32 v1, 30, v1
	s_delay_alu instid0(VALU_DEP_3) | instskip(NEXT) | instid1(VALU_DEP_3)
	v_alignbit_b32 v23, v22, v18, 9
	v_lshlrev_b32_e32 v20, 31, v20
	v_alignbit_b32 v22, v19, v22, 9
	s_delay_alu instid0(VALU_DEP_3) | instskip(NEXT) | instid1(VALU_DEP_2)
	v_clz_i32_u32_e32 v24, v23
	v_or_b32_e32 v22, v22, v20
	v_or_b32_e32 v20, 0x33800000, v20
	s_delay_alu instid0(VALU_DEP_3) | instskip(NEXT) | instid1(VALU_DEP_3)
	v_min_u32_e32 v24, 32, v24
	v_xor_b32_e32 v22, 1.0, v22
	s_delay_alu instid0(VALU_DEP_2) | instskip(SKIP_1) | instid1(VALU_DEP_3)
	v_sub_nc_u32_e32 v25, 31, v24
	v_add_lshl_u32 v19, v24, v19, 23
	v_mul_f32_e32 v24, 0x3fc90fda, v22
	s_delay_alu instid0(VALU_DEP_3) | instskip(NEXT) | instid1(VALU_DEP_3)
	v_alignbit_b32 v18, v23, v18, v25
	v_sub_nc_u32_e32 v19, v20, v19
	s_delay_alu instid0(VALU_DEP_3) | instskip(NEXT) | instid1(VALU_DEP_3)
	v_fma_f32 v20, 0x3fc90fda, v22, -v24
	v_lshrrev_b32_e32 v18, 9, v18
	s_delay_alu instid0(VALU_DEP_2) | instskip(NEXT) | instid1(VALU_DEP_2)
	v_fmac_f32_e32 v20, 0x33a22168, v22
	v_or_b32_e32 v18, v19, v18
	s_delay_alu instid0(VALU_DEP_1) | instskip(NEXT) | instid1(VALU_DEP_1)
	v_dual_fmac_f32 v20, 0x3fc90fda, v18 :: v_dual_add_nc_u32 v19, v21, v1
	v_add_f32_e32 v18, v24, v20
.LBB99_14:                              ;   in Loop: Header=BB99_4 Depth=1
	s_and_not1_saveexec_b32 s5, s26
; %bb.15:                               ;   in Loop: Header=BB99_4 Depth=1
	v_mul_f32_e64 v1, 0x3f22f983, |v16|
	s_delay_alu instid0(VALU_DEP_1) | instskip(NEXT) | instid1(VALU_DEP_1)
	v_rndne_f32_e32 v1, v1
	v_fma_f32 v18, 0xbfc90fda, v1, |v16|
	v_cvt_i32_f32_e32 v19, v1
	s_delay_alu instid0(VALU_DEP_2) | instskip(NEXT) | instid1(VALU_DEP_1)
	v_fmac_f32_e32 v18, 0xb3a22168, v1
	v_fmac_f32_e32 v18, 0xa7c234c4, v1
; %bb.16:                               ;   in Loop: Header=BB99_4 Depth=1
	s_or_b32 exec_lo, exec_lo, s5
	v_and_b32_e32 v20, 0x7fffffff, v15
                                        ; implicit-def: $vgpr22
                                        ; implicit-def: $vgpr21
	s_mov_b32 s6, exec_lo
	v_cmpx_ngt_f32_e64 0x48000000, |v15|
	s_xor_b32 s26, exec_lo, s6
	s_cbranch_execz .LBB99_18
; %bb.17:                               ;   in Loop: Header=BB99_4 Depth=1
	v_lshrrev_b32_e32 v26, 23, v20
	v_and_or_b32 v29, v20, s23, 0x800000
	s_delay_alu instid0(VALU_DEP_2) | instskip(NEXT) | instid1(VALU_DEP_2)
	v_add_nc_u32_e32 v27, 0xffffff88, v26
	v_mad_u64_u32 v[21:22], null, 0xfe5163ab, v29, 0
	s_delay_alu instid0(VALU_DEP_2) | instskip(NEXT) | instid1(VALU_DEP_1)
	v_cmp_lt_u32_e64 s5, 63, v27
	v_cndmask_b32_e64 v28, 0, 0xffffffc0, s5
	s_delay_alu instid0(VALU_DEP_1) | instskip(NEXT) | instid1(VALU_DEP_1)
	v_dual_mov_b32 v1, v22 :: v_dual_add_nc_u32 v28, v28, v27
	v_mad_u64_u32 v[22:23], null, 0x3c439041, v29, v[1:2]
	s_delay_alu instid0(VALU_DEP_2) | instskip(NEXT) | instid1(VALU_DEP_1)
	v_cmp_lt_u32_e64 s6, 31, v28
	v_cndmask_b32_e64 v30, 0, 0xffffffe0, s6
	s_delay_alu instid0(VALU_DEP_1) | instskip(NEXT) | instid1(VALU_DEP_1)
	v_dual_mov_b32 v1, v23 :: v_dual_add_nc_u32 v30, v30, v28
	v_mad_u64_u32 v[23:24], null, 0xdb629599, v29, v[1:2]
	s_delay_alu instid0(VALU_DEP_2) | instskip(NEXT) | instid1(VALU_DEP_2)
	v_cmp_lt_u32_e64 s7, 31, v30
	v_mov_b32_e32 v1, v24
	s_delay_alu instid0(VALU_DEP_3) | instskip(NEXT) | instid1(VALU_DEP_2)
	v_cndmask_b32_e64 v21, v23, v21, s5
	v_mad_u64_u32 v[24:25], null, 0xf534ddc0, v29, v[1:2]
	s_delay_alu instid0(VALU_DEP_1) | instskip(NEXT) | instid1(VALU_DEP_2)
	v_mov_b32_e32 v1, v25
	v_cndmask_b32_e64 v22, v24, v22, s5
	s_delay_alu instid0(VALU_DEP_2) | instskip(NEXT) | instid1(VALU_DEP_2)
	v_mad_u64_u32 v[25:26], null, 0xfc2757d1, v29, v[1:2]
	v_cndmask_b32_e64 v21, v22, v21, s6
	s_delay_alu instid0(VALU_DEP_2) | instskip(NEXT) | instid1(VALU_DEP_1)
	v_mov_b32_e32 v1, v26
	v_mad_u64_u32 v[26:27], null, 0x4e441529, v29, v[1:2]
	s_delay_alu instid0(VALU_DEP_1) | instskip(NEXT) | instid1(VALU_DEP_1)
	v_mov_b32_e32 v1, v27
	v_mad_u64_u32 v[27:28], null, 0xa2f9836e, v29, v[1:2]
	v_cndmask_b32_e64 v1, 0, 0xffffffe0, s7
	s_delay_alu instid0(VALU_DEP_4) | instskip(NEXT) | instid1(VALU_DEP_2)
	v_cndmask_b32_e64 v29, v26, v24, s5
	v_add_nc_u32_e32 v1, v1, v30
	s_delay_alu instid0(VALU_DEP_4) | instskip(SKIP_2) | instid1(VALU_DEP_4)
	v_cndmask_b32_e64 v27, v27, v25, s5
	v_cndmask_b32_e64 v26, v28, v26, s5
	;; [unrolled: 1-line block ×3, first 2 shown]
	v_sub_nc_u32_e32 v28, 32, v1
	s_delay_alu instid0(VALU_DEP_4) | instskip(NEXT) | instid1(VALU_DEP_4)
	v_cndmask_b32_e64 v24, v27, v29, s6
	v_cndmask_b32_e64 v26, v26, v27, s6
	s_delay_alu instid0(VALU_DEP_4) | instskip(SKIP_2) | instid1(VALU_DEP_4)
	v_cndmask_b32_e64 v27, v29, v25, s6
	v_cndmask_b32_e64 v25, v25, v22, s6
	v_cmp_eq_u32_e64 s8, 0, v1
	v_cndmask_b32_e64 v26, v26, v24, s7
	s_delay_alu instid0(VALU_DEP_4) | instskip(NEXT) | instid1(VALU_DEP_4)
	v_cndmask_b32_e64 v24, v24, v27, s7
	v_cndmask_b32_e64 v27, v27, v25, s7
	;; [unrolled: 1-line block ×3, first 2 shown]
	s_delay_alu instid0(VALU_DEP_3) | instskip(NEXT) | instid1(VALU_DEP_3)
	v_alignbit_b32 v29, v26, v24, v28
	v_alignbit_b32 v30, v24, v27, v28
	s_delay_alu instid0(VALU_DEP_3) | instskip(NEXT) | instid1(VALU_DEP_3)
	v_alignbit_b32 v28, v27, v21, v28
	v_cndmask_b32_e64 v1, v29, v26, s8
	s_delay_alu instid0(VALU_DEP_3) | instskip(NEXT) | instid1(VALU_DEP_3)
	v_cndmask_b32_e64 v23, v30, v24, s8
	v_cndmask_b32_e64 v27, v28, v27, s8
	s_delay_alu instid0(VALU_DEP_3) | instskip(NEXT) | instid1(VALU_DEP_3)
	v_bfe_u32 v24, v1, 29, 1
	v_alignbit_b32 v22, v1, v23, 30
	s_delay_alu instid0(VALU_DEP_3) | instskip(SKIP_1) | instid1(VALU_DEP_4)
	v_alignbit_b32 v23, v23, v27, 30
	v_alignbit_b32 v21, v27, v21, 30
	v_sub_nc_u32_e32 v26, 0, v24
	s_delay_alu instid0(VALU_DEP_1) | instskip(SKIP_3) | instid1(VALU_DEP_4)
	v_xor_b32_e32 v25, v22, v26
	v_cmp_ne_u32_e64 s5, v22, v26
	v_xor_b32_e32 v23, v23, v26
	v_xor_b32_e32 v21, v21, v26
	v_clz_i32_u32_e32 v29, v25
	s_delay_alu instid0(VALU_DEP_1) | instskip(NEXT) | instid1(VALU_DEP_1)
	v_add_nc_u32_e32 v28, 1, v29
	v_cndmask_b32_e64 v22, 33, v28, s5
	s_delay_alu instid0(VALU_DEP_1) | instskip(NEXT) | instid1(VALU_DEP_1)
	v_sub_nc_u32_e32 v27, 32, v22
	v_alignbit_b32 v25, v25, v23, v27
	v_alignbit_b32 v21, v23, v21, v27
	v_lshrrev_b32_e32 v23, 29, v1
	v_lshrrev_b32_e32 v1, 30, v1
	s_delay_alu instid0(VALU_DEP_3) | instskip(NEXT) | instid1(VALU_DEP_3)
	v_alignbit_b32 v26, v25, v21, 9
	v_lshlrev_b32_e32 v23, 31, v23
	v_alignbit_b32 v25, v22, v25, 9
	s_delay_alu instid0(VALU_DEP_3) | instskip(NEXT) | instid1(VALU_DEP_2)
	v_clz_i32_u32_e32 v27, v26
	v_or_b32_e32 v25, v25, v23
	v_or_b32_e32 v23, 0x33800000, v23
	s_delay_alu instid0(VALU_DEP_3) | instskip(NEXT) | instid1(VALU_DEP_3)
	v_min_u32_e32 v27, 32, v27
	v_xor_b32_e32 v25, 1.0, v25
	s_delay_alu instid0(VALU_DEP_2) | instskip(SKIP_1) | instid1(VALU_DEP_3)
	v_sub_nc_u32_e32 v28, 31, v27
	v_add_lshl_u32 v22, v27, v22, 23
	v_mul_f32_e32 v27, 0x3fc90fda, v25
	s_delay_alu instid0(VALU_DEP_3) | instskip(NEXT) | instid1(VALU_DEP_3)
	v_alignbit_b32 v21, v26, v21, v28
	v_sub_nc_u32_e32 v22, v23, v22
	s_delay_alu instid0(VALU_DEP_3) | instskip(NEXT) | instid1(VALU_DEP_3)
	v_fma_f32 v23, 0x3fc90fda, v25, -v27
	v_lshrrev_b32_e32 v21, 9, v21
	s_delay_alu instid0(VALU_DEP_2) | instskip(NEXT) | instid1(VALU_DEP_2)
	v_fmac_f32_e32 v23, 0x33a22168, v25
	v_or_b32_e32 v21, v22, v21
	v_add_nc_u32_e32 v22, v24, v1
	s_delay_alu instid0(VALU_DEP_2) | instskip(NEXT) | instid1(VALU_DEP_1)
	v_fmac_f32_e32 v23, 0x3fc90fda, v21
	v_add_f32_e32 v21, v27, v23
.LBB99_18:                              ;   in Loop: Header=BB99_4 Depth=1
	s_and_not1_saveexec_b32 s5, s26
; %bb.19:                               ;   in Loop: Header=BB99_4 Depth=1
	v_mul_f32_e64 v1, 0x3f22f983, |v15|
	s_delay_alu instid0(VALU_DEP_1) | instskip(NEXT) | instid1(VALU_DEP_1)
	v_rndne_f32_e32 v1, v1
	v_fma_f32 v21, 0xbfc90fda, v1, |v15|
	v_cvt_i32_f32_e32 v22, v1
	s_delay_alu instid0(VALU_DEP_2) | instskip(NEXT) | instid1(VALU_DEP_1)
	v_fmac_f32_e32 v21, 0xb3a22168, v1
	v_fmac_f32_e32 v21, 0xa7c234c4, v1
; %bb.20:                               ;   in Loop: Header=BB99_4 Depth=1
	s_or_b32 exec_lo, exec_lo, s5
	v_and_b32_e32 v23, 0x7fffffff, v14
                                        ; implicit-def: $vgpr26
                                        ; implicit-def: $vgpr25
	s_mov_b32 s6, exec_lo
	v_cmpx_ngt_f32_e64 0x48000000, |v14|
	s_xor_b32 s26, exec_lo, s6
	s_cbranch_execz .LBB99_22
; %bb.21:                               ;   in Loop: Header=BB99_4 Depth=1
	v_and_or_b32 v32, v23, s23, 0x800000
	v_lshrrev_b32_e32 v29, 23, v23
	s_delay_alu instid0(VALU_DEP_2) | instskip(NEXT) | instid1(VALU_DEP_2)
	v_mad_u64_u32 v[24:25], null, 0xfe5163ab, v32, 0
	v_add_nc_u32_e32 v30, 0xffffff88, v29
	s_delay_alu instid0(VALU_DEP_1) | instskip(NEXT) | instid1(VALU_DEP_3)
	v_cmp_lt_u32_e64 s5, 63, v30
	v_mov_b32_e32 v1, v25
	s_delay_alu instid0(VALU_DEP_2) | instskip(NEXT) | instid1(VALU_DEP_2)
	v_cndmask_b32_e64 v31, 0, 0xffffffc0, s5
	v_mad_u64_u32 v[25:26], null, 0x3c439041, v32, v[1:2]
	s_delay_alu instid0(VALU_DEP_2) | instskip(NEXT) | instid1(VALU_DEP_2)
	v_add_nc_u32_e32 v31, v31, v30
	v_mov_b32_e32 v1, v26
	s_delay_alu instid0(VALU_DEP_2) | instskip(NEXT) | instid1(VALU_DEP_2)
	v_cmp_lt_u32_e64 s6, 31, v31
	v_mad_u64_u32 v[26:27], null, 0xdb629599, v32, v[1:2]
	s_delay_alu instid0(VALU_DEP_2) | instskip(NEXT) | instid1(VALU_DEP_1)
	v_cndmask_b32_e64 v33, 0, 0xffffffe0, s6
	v_add_nc_u32_e32 v33, v33, v31
	s_delay_alu instid0(VALU_DEP_3) | instskip(NEXT) | instid1(VALU_DEP_4)
	v_mov_b32_e32 v1, v27
	v_cndmask_b32_e64 v24, v26, v24, s5
	s_delay_alu instid0(VALU_DEP_3) | instskip(NEXT) | instid1(VALU_DEP_3)
	v_cmp_lt_u32_e64 s7, 31, v33
	v_mad_u64_u32 v[27:28], null, 0xf534ddc0, v32, v[1:2]
	s_delay_alu instid0(VALU_DEP_1) | instskip(NEXT) | instid1(VALU_DEP_2)
	v_mov_b32_e32 v1, v28
	v_cndmask_b32_e64 v25, v27, v25, s5
	s_delay_alu instid0(VALU_DEP_2) | instskip(NEXT) | instid1(VALU_DEP_2)
	v_mad_u64_u32 v[28:29], null, 0xfc2757d1, v32, v[1:2]
	v_cndmask_b32_e64 v24, v25, v24, s6
	s_delay_alu instid0(VALU_DEP_2) | instskip(NEXT) | instid1(VALU_DEP_1)
	v_mov_b32_e32 v1, v29
	v_mad_u64_u32 v[29:30], null, 0x4e441529, v32, v[1:2]
	s_delay_alu instid0(VALU_DEP_1) | instskip(NEXT) | instid1(VALU_DEP_1)
	v_mov_b32_e32 v1, v30
	v_mad_u64_u32 v[30:31], null, 0xa2f9836e, v32, v[1:2]
	v_cndmask_b32_e64 v1, 0, 0xffffffe0, s7
	s_delay_alu instid0(VALU_DEP_4) | instskip(NEXT) | instid1(VALU_DEP_2)
	v_cndmask_b32_e64 v32, v29, v27, s5
	v_add_nc_u32_e32 v1, v1, v33
	s_delay_alu instid0(VALU_DEP_4) | instskip(SKIP_2) | instid1(VALU_DEP_4)
	v_cndmask_b32_e64 v30, v30, v28, s5
	v_cndmask_b32_e64 v29, v31, v29, s5
	;; [unrolled: 1-line block ×3, first 2 shown]
	v_sub_nc_u32_e32 v31, 32, v1
	s_delay_alu instid0(VALU_DEP_4) | instskip(NEXT) | instid1(VALU_DEP_4)
	v_cndmask_b32_e64 v27, v30, v32, s6
	v_cndmask_b32_e64 v29, v29, v30, s6
	s_delay_alu instid0(VALU_DEP_4) | instskip(SKIP_2) | instid1(VALU_DEP_4)
	v_cndmask_b32_e64 v30, v32, v28, s6
	v_cndmask_b32_e64 v28, v28, v25, s6
	v_cmp_eq_u32_e64 s8, 0, v1
	v_cndmask_b32_e64 v29, v29, v27, s7
	s_delay_alu instid0(VALU_DEP_4) | instskip(NEXT) | instid1(VALU_DEP_4)
	v_cndmask_b32_e64 v27, v27, v30, s7
	v_cndmask_b32_e64 v30, v30, v28, s7
	;; [unrolled: 1-line block ×3, first 2 shown]
	s_delay_alu instid0(VALU_DEP_3) | instskip(NEXT) | instid1(VALU_DEP_3)
	v_alignbit_b32 v32, v29, v27, v31
	v_alignbit_b32 v33, v27, v30, v31
	s_delay_alu instid0(VALU_DEP_3) | instskip(NEXT) | instid1(VALU_DEP_3)
	v_alignbit_b32 v31, v30, v24, v31
	v_cndmask_b32_e64 v1, v32, v29, s8
	s_delay_alu instid0(VALU_DEP_3) | instskip(NEXT) | instid1(VALU_DEP_3)
	v_cndmask_b32_e64 v26, v33, v27, s8
	v_cndmask_b32_e64 v30, v31, v30, s8
	s_delay_alu instid0(VALU_DEP_3) | instskip(NEXT) | instid1(VALU_DEP_3)
	v_bfe_u32 v27, v1, 29, 1
	v_alignbit_b32 v25, v1, v26, 30
	s_delay_alu instid0(VALU_DEP_3) | instskip(SKIP_1) | instid1(VALU_DEP_4)
	v_alignbit_b32 v26, v26, v30, 30
	v_alignbit_b32 v24, v30, v24, 30
	v_sub_nc_u32_e32 v29, 0, v27
	s_delay_alu instid0(VALU_DEP_1) | instskip(SKIP_3) | instid1(VALU_DEP_4)
	v_xor_b32_e32 v28, v25, v29
	v_cmp_ne_u32_e64 s5, v25, v29
	v_xor_b32_e32 v26, v26, v29
	v_xor_b32_e32 v24, v24, v29
	v_clz_i32_u32_e32 v32, v28
	s_delay_alu instid0(VALU_DEP_1) | instskip(NEXT) | instid1(VALU_DEP_1)
	v_add_nc_u32_e32 v31, 1, v32
	v_cndmask_b32_e64 v25, 33, v31, s5
	s_delay_alu instid0(VALU_DEP_1) | instskip(NEXT) | instid1(VALU_DEP_1)
	v_sub_nc_u32_e32 v30, 32, v25
	v_alignbit_b32 v28, v28, v26, v30
	v_alignbit_b32 v24, v26, v24, v30
	v_lshrrev_b32_e32 v26, 29, v1
	v_lshrrev_b32_e32 v1, 30, v1
	s_delay_alu instid0(VALU_DEP_3) | instskip(NEXT) | instid1(VALU_DEP_3)
	v_alignbit_b32 v29, v28, v24, 9
	v_lshlrev_b32_e32 v26, 31, v26
	v_alignbit_b32 v28, v25, v28, 9
	s_delay_alu instid0(VALU_DEP_3) | instskip(NEXT) | instid1(VALU_DEP_2)
	v_clz_i32_u32_e32 v30, v29
	v_or_b32_e32 v28, v28, v26
	v_or_b32_e32 v26, 0x33800000, v26
	s_delay_alu instid0(VALU_DEP_3) | instskip(NEXT) | instid1(VALU_DEP_3)
	v_min_u32_e32 v30, 32, v30
	v_xor_b32_e32 v28, 1.0, v28
	s_delay_alu instid0(VALU_DEP_2) | instskip(SKIP_1) | instid1(VALU_DEP_3)
	v_sub_nc_u32_e32 v31, 31, v30
	v_add_lshl_u32 v25, v30, v25, 23
	v_mul_f32_e32 v30, 0x3fc90fda, v28
	s_delay_alu instid0(VALU_DEP_3) | instskip(NEXT) | instid1(VALU_DEP_3)
	v_alignbit_b32 v24, v29, v24, v31
	v_sub_nc_u32_e32 v25, v26, v25
	s_delay_alu instid0(VALU_DEP_3) | instskip(NEXT) | instid1(VALU_DEP_3)
	v_fma_f32 v26, 0x3fc90fda, v28, -v30
	v_lshrrev_b32_e32 v24, 9, v24
	s_delay_alu instid0(VALU_DEP_2) | instskip(NEXT) | instid1(VALU_DEP_2)
	v_fmac_f32_e32 v26, 0x33a22168, v28
	v_or_b32_e32 v24, v25, v24
	s_delay_alu instid0(VALU_DEP_1) | instskip(NEXT) | instid1(VALU_DEP_1)
	v_fmac_f32_e32 v26, 0x3fc90fda, v24
	v_dual_add_f32 v25, v30, v26 :: v_dual_add_nc_u32 v26, v27, v1
.LBB99_22:                              ;   in Loop: Header=BB99_4 Depth=1
	s_and_not1_saveexec_b32 s5, s26
; %bb.23:                               ;   in Loop: Header=BB99_4 Depth=1
	v_mul_f32_e64 v1, 0x3f22f983, |v14|
	s_delay_alu instid0(VALU_DEP_1) | instskip(NEXT) | instid1(VALU_DEP_1)
	v_rndne_f32_e32 v1, v1
	v_fma_f32 v25, 0xbfc90fda, v1, |v14|
	v_cvt_i32_f32_e32 v26, v1
	s_delay_alu instid0(VALU_DEP_2) | instskip(NEXT) | instid1(VALU_DEP_1)
	v_fmac_f32_e32 v25, 0xb3a22168, v1
	v_fmac_f32_e32 v25, 0xa7c234c4, v1
; %bb.24:                               ;   in Loop: Header=BB99_4 Depth=1
	s_or_b32 exec_lo, exec_lo, s5
	v_and_b32_e32 v24, 0x7fffffff, v13
                                        ; implicit-def: $vgpr27
                                        ; implicit-def: $vgpr1
	s_mov_b32 s6, exec_lo
	v_cmpx_ngt_f32_e64 0x48000000, |v13|
	s_xor_b32 s26, exec_lo, s6
	s_cbranch_execnz .LBB99_30
; %bb.25:                               ;   in Loop: Header=BB99_4 Depth=1
	s_and_not1_saveexec_b32 s5, s26
	s_cbranch_execnz .LBB99_31
.LBB99_26:                              ;   in Loop: Header=BB99_4 Depth=1
	s_or_b32 exec_lo, exec_lo, s5
	s_and_saveexec_b32 s5, s4
	s_delay_alu instid0(SALU_CYCLE_1)
	s_xor_b32 s5, exec_lo, s5
	s_cbranch_execnz .LBB99_32
.LBB99_27:                              ;   in Loop: Header=BB99_4 Depth=1
	s_or_b32 exec_lo, exec_lo, s5
	s_and_saveexec_b32 s4, s3
	s_cbranch_execnz .LBB99_33
.LBB99_28:                              ;   in Loop: Header=BB99_4 Depth=1
	s_or_b32 exec_lo, exec_lo, s4
	s_and_saveexec_b32 s3, s2
	s_cbranch_execnz .LBB99_34
.LBB99_29:                              ;   in Loop: Header=BB99_4 Depth=1
	s_or_b32 exec_lo, exec_lo, s3
	s_and_saveexec_b32 s2, vcc_lo
	s_cbranch_execz .LBB99_3
	s_branch .LBB99_35
.LBB99_30:                              ;   in Loop: Header=BB99_4 Depth=1
	v_lshrrev_b32_e32 v32, 23, v24
	v_and_or_b32 v35, v24, s23, 0x800000
	s_delay_alu instid0(VALU_DEP_2) | instskip(NEXT) | instid1(VALU_DEP_2)
	v_add_nc_u32_e32 v33, 0xffffff88, v32
	v_mad_u64_u32 v[27:28], null, 0xfe5163ab, v35, 0
	s_delay_alu instid0(VALU_DEP_2) | instskip(NEXT) | instid1(VALU_DEP_1)
	v_cmp_lt_u32_e64 s5, 63, v33
	v_cndmask_b32_e64 v34, 0, 0xffffffc0, s5
	s_delay_alu instid0(VALU_DEP_1) | instskip(NEXT) | instid1(VALU_DEP_1)
	v_dual_mov_b32 v1, v28 :: v_dual_add_nc_u32 v34, v34, v33
	v_mad_u64_u32 v[28:29], null, 0x3c439041, v35, v[1:2]
	s_delay_alu instid0(VALU_DEP_2) | instskip(NEXT) | instid1(VALU_DEP_1)
	v_cmp_lt_u32_e64 s6, 31, v34
	v_cndmask_b32_e64 v36, 0, 0xffffffe0, s6
	s_delay_alu instid0(VALU_DEP_1) | instskip(NEXT) | instid1(VALU_DEP_1)
	v_dual_mov_b32 v1, v29 :: v_dual_add_nc_u32 v36, v36, v34
	v_mad_u64_u32 v[29:30], null, 0xdb629599, v35, v[1:2]
	s_delay_alu instid0(VALU_DEP_2) | instskip(NEXT) | instid1(VALU_DEP_2)
	v_cmp_lt_u32_e64 s7, 31, v36
	v_mov_b32_e32 v1, v30
	s_delay_alu instid0(VALU_DEP_3) | instskip(NEXT) | instid1(VALU_DEP_2)
	v_cndmask_b32_e64 v27, v29, v27, s5
	v_mad_u64_u32 v[30:31], null, 0xf534ddc0, v35, v[1:2]
	s_delay_alu instid0(VALU_DEP_1) | instskip(NEXT) | instid1(VALU_DEP_2)
	v_mov_b32_e32 v1, v31
	v_cndmask_b32_e64 v28, v30, v28, s5
	s_delay_alu instid0(VALU_DEP_2) | instskip(NEXT) | instid1(VALU_DEP_2)
	v_mad_u64_u32 v[31:32], null, 0xfc2757d1, v35, v[1:2]
	v_cndmask_b32_e64 v27, v28, v27, s6
	s_delay_alu instid0(VALU_DEP_2) | instskip(NEXT) | instid1(VALU_DEP_1)
	v_mov_b32_e32 v1, v32
	v_mad_u64_u32 v[32:33], null, 0x4e441529, v35, v[1:2]
	s_delay_alu instid0(VALU_DEP_1) | instskip(NEXT) | instid1(VALU_DEP_1)
	v_mov_b32_e32 v1, v33
	v_mad_u64_u32 v[33:34], null, 0xa2f9836e, v35, v[1:2]
	v_cndmask_b32_e64 v1, 0, 0xffffffe0, s7
	s_delay_alu instid0(VALU_DEP_4) | instskip(NEXT) | instid1(VALU_DEP_2)
	v_cndmask_b32_e64 v35, v32, v30, s5
	v_add_nc_u32_e32 v1, v1, v36
	s_delay_alu instid0(VALU_DEP_4) | instskip(SKIP_2) | instid1(VALU_DEP_4)
	v_cndmask_b32_e64 v33, v33, v31, s5
	v_cndmask_b32_e64 v32, v34, v32, s5
	;; [unrolled: 1-line block ×3, first 2 shown]
	v_sub_nc_u32_e32 v34, 32, v1
	s_delay_alu instid0(VALU_DEP_4) | instskip(NEXT) | instid1(VALU_DEP_4)
	v_cndmask_b32_e64 v30, v33, v35, s6
	v_cndmask_b32_e64 v32, v32, v33, s6
	s_delay_alu instid0(VALU_DEP_4) | instskip(SKIP_2) | instid1(VALU_DEP_4)
	v_cndmask_b32_e64 v33, v35, v31, s6
	v_cndmask_b32_e64 v31, v31, v28, s6
	v_cmp_eq_u32_e64 s8, 0, v1
	v_cndmask_b32_e64 v32, v32, v30, s7
	s_delay_alu instid0(VALU_DEP_4) | instskip(NEXT) | instid1(VALU_DEP_4)
	v_cndmask_b32_e64 v30, v30, v33, s7
	v_cndmask_b32_e64 v33, v33, v31, s7
	;; [unrolled: 1-line block ×3, first 2 shown]
	s_delay_alu instid0(VALU_DEP_3) | instskip(NEXT) | instid1(VALU_DEP_3)
	v_alignbit_b32 v35, v32, v30, v34
	v_alignbit_b32 v36, v30, v33, v34
	s_delay_alu instid0(VALU_DEP_3) | instskip(NEXT) | instid1(VALU_DEP_3)
	v_alignbit_b32 v34, v33, v27, v34
	v_cndmask_b32_e64 v1, v35, v32, s8
	s_delay_alu instid0(VALU_DEP_3) | instskip(NEXT) | instid1(VALU_DEP_3)
	v_cndmask_b32_e64 v29, v36, v30, s8
	v_cndmask_b32_e64 v33, v34, v33, s8
	s_delay_alu instid0(VALU_DEP_3) | instskip(NEXT) | instid1(VALU_DEP_3)
	v_bfe_u32 v30, v1, 29, 1
	v_alignbit_b32 v28, v1, v29, 30
	s_delay_alu instid0(VALU_DEP_3) | instskip(SKIP_1) | instid1(VALU_DEP_4)
	v_alignbit_b32 v29, v29, v33, 30
	v_alignbit_b32 v27, v33, v27, 30
	v_sub_nc_u32_e32 v32, 0, v30
	s_delay_alu instid0(VALU_DEP_1) | instskip(SKIP_3) | instid1(VALU_DEP_4)
	v_xor_b32_e32 v31, v28, v32
	v_cmp_ne_u32_e64 s5, v28, v32
	v_xor_b32_e32 v29, v29, v32
	v_xor_b32_e32 v27, v27, v32
	v_clz_i32_u32_e32 v35, v31
	s_delay_alu instid0(VALU_DEP_1) | instskip(NEXT) | instid1(VALU_DEP_1)
	v_add_nc_u32_e32 v34, 1, v35
	v_cndmask_b32_e64 v28, 33, v34, s5
	s_delay_alu instid0(VALU_DEP_1) | instskip(NEXT) | instid1(VALU_DEP_1)
	v_sub_nc_u32_e32 v33, 32, v28
	v_alignbit_b32 v31, v31, v29, v33
	v_alignbit_b32 v27, v29, v27, v33
	v_lshrrev_b32_e32 v29, 29, v1
	s_delay_alu instid0(VALU_DEP_2) | instskip(NEXT) | instid1(VALU_DEP_2)
	v_alignbit_b32 v32, v31, v27, 9
	v_lshlrev_b32_e32 v29, 31, v29
	v_alignbit_b32 v31, v28, v31, 9
	s_delay_alu instid0(VALU_DEP_3) | instskip(NEXT) | instid1(VALU_DEP_2)
	v_clz_i32_u32_e32 v33, v32
	v_or_b32_e32 v31, v31, v29
	v_or_b32_e32 v29, 0x33800000, v29
	s_delay_alu instid0(VALU_DEP_3) | instskip(NEXT) | instid1(VALU_DEP_3)
	v_min_u32_e32 v33, 32, v33
	v_xor_b32_e32 v31, 1.0, v31
	s_delay_alu instid0(VALU_DEP_2) | instskip(SKIP_1) | instid1(VALU_DEP_3)
	v_sub_nc_u32_e32 v34, 31, v33
	v_add_lshl_u32 v28, v33, v28, 23
	v_mul_f32_e32 v33, 0x3fc90fda, v31
	s_delay_alu instid0(VALU_DEP_3) | instskip(NEXT) | instid1(VALU_DEP_3)
	v_alignbit_b32 v27, v32, v27, v34
	v_sub_nc_u32_e32 v28, v29, v28
	s_delay_alu instid0(VALU_DEP_3) | instskip(NEXT) | instid1(VALU_DEP_3)
	v_fma_f32 v29, 0x3fc90fda, v31, -v33
	v_lshrrev_b32_e32 v27, 9, v27
	s_delay_alu instid0(VALU_DEP_2) | instskip(NEXT) | instid1(VALU_DEP_2)
	v_fmac_f32_e32 v29, 0x33a22168, v31
	v_or_b32_e32 v27, v28, v27
	s_delay_alu instid0(VALU_DEP_1) | instskip(SKIP_1) | instid1(VALU_DEP_2)
	v_fmac_f32_e32 v29, 0x3fc90fda, v27
	v_lshrrev_b32_e32 v27, 30, v1
	v_add_f32_e32 v1, v33, v29
	s_delay_alu instid0(VALU_DEP_2)
	v_add_nc_u32_e32 v27, v30, v27
	s_and_not1_saveexec_b32 s5, s26
	s_cbranch_execz .LBB99_26
.LBB99_31:                              ;   in Loop: Header=BB99_4 Depth=1
	v_mul_f32_e64 v1, 0x3f22f983, |v13|
	s_delay_alu instid0(VALU_DEP_1) | instskip(NEXT) | instid1(VALU_DEP_1)
	v_rndne_f32_e32 v27, v1
	v_fma_f32 v1, 0xbfc90fda, v27, |v13|
	s_delay_alu instid0(VALU_DEP_1) | instskip(NEXT) | instid1(VALU_DEP_1)
	v_fmac_f32_e32 v1, 0xb3a22168, v27
	v_fmac_f32_e32 v1, 0xa7c234c4, v27
	v_cvt_i32_f32_e32 v27, v27
	s_or_b32 exec_lo, exec_lo, s5
	s_and_saveexec_b32 s5, s4
	s_delay_alu instid0(SALU_CYCLE_1)
	s_xor_b32 s5, exec_lo, s5
	s_cbranch_execz .LBB99_27
.LBB99_32:                              ;   in Loop: Header=BB99_4 Depth=1
	v_dual_mul_f32 v28, v18, v18 :: v_dual_and_b32 v19, 1, v19
	s_delay_alu instid0(VALU_DEP_1) | instskip(SKIP_1) | instid1(VALU_DEP_3)
	v_fmaak_f32 v29, s25, v28, 0xbf039337
	v_fmaak_f32 v30, s24, v28, 0x3ec54587
	v_cmp_eq_u32_e64 s4, 0, v19
	s_delay_alu instid0(VALU_DEP_3) | instskip(NEXT) | instid1(VALU_DEP_1)
	v_fmaak_f32 v29, v28, v29, 0x3f93f425
	v_rcp_f32_e32 v29, v29
	s_waitcnt_depctr 0xfff
	v_mul_f32_e32 v29, v30, v29
	s_delay_alu instid0(VALU_DEP_1) | instskip(NEXT) | instid1(VALU_DEP_1)
	v_mul_f32_e32 v28, v28, v29
	v_fma_f32 v29, v28, v18, v18
	s_delay_alu instid0(VALU_DEP_1) | instskip(SKIP_1) | instid1(VALU_DEP_1)
	v_sub_f32_e32 v31, v29, v18
	v_rcp_f32_e32 v30, v29
	v_fma_f32 v18, v28, v18, -v31
	s_waitcnt_depctr 0xfff
	v_fma_f32 v28, v29, -v30, 1.0
	s_delay_alu instid0(VALU_DEP_1) | instskip(NEXT) | instid1(VALU_DEP_1)
	v_fma_f32 v18, v18, -v30, v28
	v_fma_f32 v18, v18, -v30, -v30
	s_delay_alu instid0(VALU_DEP_1) | instskip(SKIP_1) | instid1(VALU_DEP_2)
	v_cndmask_b32_e64 v18, v18, v29, s4
	v_cmp_class_f32_e64 s4, v16, 0x1f8
	v_xor3_b32 v17, v17, v16, v18
	s_delay_alu instid0(VALU_DEP_1)
	v_cndmask_b32_e64 v16, 0x7fc00000, v17, s4
	global_store_b32 v[3:4], v16, off
	s_or_b32 exec_lo, exec_lo, s5
	s_and_saveexec_b32 s4, s3
	s_cbranch_execz .LBB99_28
.LBB99_33:                              ;   in Loop: Header=BB99_4 Depth=1
	v_mul_f32_e32 v16, v21, v21
	s_delay_alu instid0(VALU_DEP_1) | instskip(SKIP_1) | instid1(VALU_DEP_2)
	v_fmaak_f32 v17, s25, v16, 0xbf039337
	v_fmaak_f32 v18, s24, v16, 0x3ec54587
	;; [unrolled: 1-line block ×3, first 2 shown]
	s_delay_alu instid0(VALU_DEP_1) | instskip(SKIP_2) | instid1(VALU_DEP_1)
	v_rcp_f32_e32 v17, v17
	s_waitcnt_depctr 0xfff
	v_mul_f32_e32 v17, v18, v17
	v_mul_f32_e32 v16, v16, v17
	s_delay_alu instid0(VALU_DEP_1) | instskip(NEXT) | instid1(VALU_DEP_1)
	v_fma_f32 v17, v16, v21, v21
	v_sub_f32_e32 v19, v17, v21
	v_rcp_f32_e32 v18, v17
	s_delay_alu instid0(VALU_DEP_1) | instskip(SKIP_2) | instid1(VALU_DEP_1)
	v_fma_f32 v16, v16, v21, -v19
	s_waitcnt_depctr 0xfff
	v_fma_f32 v19, v17, -v18, 1.0
	v_fma_f32 v16, v16, -v18, v19
	v_and_b32_e32 v19, 1, v22
	s_delay_alu instid0(VALU_DEP_2) | instskip(NEXT) | instid1(VALU_DEP_2)
	v_fma_f32 v16, v16, -v18, -v18
	v_cmp_eq_u32_e64 s3, 0, v19
	s_delay_alu instid0(VALU_DEP_1) | instskip(SKIP_1) | instid1(VALU_DEP_2)
	v_cndmask_b32_e64 v16, v16, v17, s3
	v_cmp_class_f32_e64 s3, v15, 0x1f8
	v_xor3_b32 v16, v20, v15, v16
	s_delay_alu instid0(VALU_DEP_1)
	v_cndmask_b32_e64 v15, 0x7fc00000, v16, s3
	global_store_b32 v[5:6], v15, off
	s_or_b32 exec_lo, exec_lo, s4
	s_and_saveexec_b32 s3, s2
	s_cbranch_execz .LBB99_29
.LBB99_34:                              ;   in Loop: Header=BB99_4 Depth=1
	v_mul_f32_e32 v15, v25, v25
	s_delay_alu instid0(VALU_DEP_1) | instskip(SKIP_1) | instid1(VALU_DEP_2)
	v_fmaak_f32 v16, s25, v15, 0xbf039337
	v_fmaak_f32 v17, s24, v15, 0x3ec54587
	;; [unrolled: 1-line block ×3, first 2 shown]
	s_delay_alu instid0(VALU_DEP_1) | instskip(SKIP_2) | instid1(VALU_DEP_1)
	v_rcp_f32_e32 v16, v16
	s_waitcnt_depctr 0xfff
	v_mul_f32_e32 v16, v17, v16
	v_mul_f32_e32 v15, v15, v16
	s_delay_alu instid0(VALU_DEP_1) | instskip(NEXT) | instid1(VALU_DEP_1)
	v_fma_f32 v16, v15, v25, v25
	v_sub_f32_e32 v18, v16, v25
	v_rcp_f32_e32 v17, v16
	s_delay_alu instid0(VALU_DEP_1) | instskip(SKIP_2) | instid1(VALU_DEP_1)
	v_fma_f32 v15, v15, v25, -v18
	s_waitcnt_depctr 0xfff
	v_fma_f32 v18, v16, -v17, 1.0
	v_fma_f32 v15, v15, -v17, v18
	v_and_b32_e32 v18, 1, v26
	s_delay_alu instid0(VALU_DEP_2) | instskip(NEXT) | instid1(VALU_DEP_2)
	v_fma_f32 v15, v15, -v17, -v17
	v_cmp_eq_u32_e64 s2, 0, v18
	s_delay_alu instid0(VALU_DEP_1) | instskip(SKIP_1) | instid1(VALU_DEP_2)
	v_cndmask_b32_e64 v15, v15, v16, s2
	v_cmp_class_f32_e64 s2, v14, 0x1f8
	v_xor3_b32 v15, v23, v14, v15
	s_delay_alu instid0(VALU_DEP_1) | instskip(SKIP_1) | instid1(VALU_DEP_1)
	v_cndmask_b32_e64 v16, 0x7fc00000, v15, s2
	v_add_co_u32 v14, s2, v3, s22
	v_add_co_ci_u32_e64 v15, s2, 0, v4, s2
	global_store_b32 v[14:15], v16, off
	s_or_b32 exec_lo, exec_lo, s3
	s_and_saveexec_b32 s2, vcc_lo
	s_cbranch_execz .LBB99_3
.LBB99_35:                              ;   in Loop: Header=BB99_4 Depth=1
	v_mul_f32_e32 v14, v1, v1
	s_delay_alu instid0(VALU_DEP_1) | instskip(SKIP_1) | instid1(VALU_DEP_2)
	v_fmaak_f32 v15, s25, v14, 0xbf039337
	v_fmaak_f32 v16, s24, v14, 0x3ec54587
	;; [unrolled: 1-line block ×3, first 2 shown]
	s_delay_alu instid0(VALU_DEP_1) | instskip(SKIP_2) | instid1(VALU_DEP_1)
	v_rcp_f32_e32 v15, v15
	s_waitcnt_depctr 0xfff
	v_mul_f32_e32 v15, v16, v15
	v_mul_f32_e32 v14, v14, v15
	s_delay_alu instid0(VALU_DEP_1) | instskip(NEXT) | instid1(VALU_DEP_1)
	v_fma_f32 v15, v14, v1, v1
	v_rcp_f32_e32 v16, v15
	v_sub_f32_e32 v17, v15, v1
	s_delay_alu instid0(VALU_DEP_1) | instskip(SKIP_2) | instid1(VALU_DEP_1)
	v_fma_f32 v1, v14, v1, -v17
	s_waitcnt_depctr 0xfff
	v_fma_f32 v14, v15, -v16, 1.0
	v_fma_f32 v1, v1, -v16, v14
	v_and_b32_e32 v14, 1, v27
	s_delay_alu instid0(VALU_DEP_2) | instskip(NEXT) | instid1(VALU_DEP_2)
	v_fma_f32 v1, v1, -v16, -v16
	v_cmp_eq_u32_e32 vcc_lo, 0, v14
	s_delay_alu instid0(VALU_DEP_2) | instskip(SKIP_1) | instid1(VALU_DEP_2)
	v_cndmask_b32_e32 v1, v1, v15, vcc_lo
	v_cmp_class_f32_e64 vcc_lo, v13, 0x1f8
	v_xor3_b32 v1, v24, v13, v1
	s_delay_alu instid0(VALU_DEP_1)
	v_cndmask_b32_e32 v1, 0x7fc00000, v1, vcc_lo
	v_add_co_u32 v13, vcc_lo, v3, s20
	v_add_co_ci_u32_e32 v14, vcc_lo, 0, v4, vcc_lo
	global_store_b32 v[13:14], v1, off
	s_branch .LBB99_3
.LBB99_36:
	s_cbranch_execz .LBB99_38
	s_branch .LBB99_57
.LBB99_37:
.LBB99_38:
	v_dual_mov_b32 v5, 0 :: v_dual_lshlrev_b32 v4, 2, v0
	s_mov_b32 s3, 0
	s_mov_b32 s2, exec_lo
	s_delay_alu instid0(VALU_DEP_1)
	v_cmpx_gt_i64_e64 s[10:11], v[4:5]
	s_cbranch_execz .LBB99_57
; %bb.39:
	s_load_b32 s0, s[0:1], 0xd3c
	s_mov_b32 s6, 0x7fffff
	s_mov_b32 s7, 0xbc8cedd3
	;; [unrolled: 1-line block ×3, first 2 shown]
	s_waitcnt lgkmcnt(0)
	s_and_b32 s0, s0, 0xffff
	s_delay_alu instid0(SALU_CYCLE_1) | instskip(SKIP_3) | instid1(VALU_DEP_2)
	v_add_lshl_u32 v4, v0, s0, 2
	v_lshlrev_b32_e32 v1, 4, v0
	s_lshl_b32 s4, s0, 2
	s_add_u32 s1, s12, s14
	v_dual_mov_b32 v9, v5 :: v_dual_mov_b32 v8, v4
	s_addc_u32 s2, s13, s15
	v_add_co_u32 v0, s1, s1, v1
	s_delay_alu instid0(VALU_DEP_1) | instskip(SKIP_1) | instid1(VALU_DEP_2)
	v_add_co_ci_u32_e64 v1, null, s2, 0, s1
	s_lshl_b32 s5, s0, 4
	v_add_co_u32 v6, vcc_lo, v0, 8
	s_delay_alu instid0(VALU_DEP_2)
	v_add_co_ci_u32_e32 v7, vcc_lo, 0, v1, vcc_lo
	s_branch .LBB99_41
.LBB99_40:                              ;   in Loop: Header=BB99_41 Depth=1
	s_or_b32 exec_lo, exec_lo, s0
	v_dual_mul_f32 v21, v17, v17 :: v_dual_mul_f32 v22, v14, v14
	v_mul_f32_e32 v23, v12, v12
	v_dual_mul_f32 v24, v20, v20 :: v_dual_and_b32 v15, 1, v15
	s_delay_alu instid0(VALU_DEP_3) | instskip(NEXT) | instid1(VALU_DEP_2)
	v_dual_fmaak_f32 v25, s8, v21, 0xbf039337 :: v_dual_fmaak_f32 v26, s8, v22, 0xbf039337
	v_dual_fmaak_f32 v27, s8, v23, 0xbf039337 :: v_dual_fmaak_f32 v28, s8, v24, 0xbf039337
	;; [unrolled: 1-line block ×3, first 2 shown]
	s_delay_alu instid0(VALU_DEP_3) | instskip(NEXT) | instid1(VALU_DEP_3)
	v_dual_fmaak_f32 v25, v21, v25, 0x3f93f425 :: v_dual_fmaak_f32 v26, v22, v26, 0x3f93f425
	v_dual_fmaak_f32 v27, v23, v27, 0x3f93f425 :: v_dual_fmaak_f32 v28, v24, v28, 0x3f93f425
	;; [unrolled: 1-line block ×3, first 2 shown]
	s_delay_alu instid0(VALU_DEP_3) | instskip(NEXT) | instid1(VALU_DEP_2)
	v_rcp_f32_e32 v25, v25
	v_rcp_f32_e32 v27, v27
	s_delay_alu instid0(VALU_DEP_2)
	v_rcp_f32_e32 v28, v28
	v_rcp_f32_e32 v26, v26
	v_and_b32_e32 v11, 1, v11
	v_cmp_lt_u64_e64 s0, 0xffff, v[8:9]
	v_dual_mul_f32 v25, v29, v25 :: v_dual_and_b32 v4, 1, v4
	s_waitcnt_depctr 0xfff
	v_dual_mul_f32 v27, v31, v27 :: v_dual_mul_f32 v28, v32, v28
	v_dual_mul_f32 v26, v30, v26 :: v_dual_mul_f32 v21, v21, v25
	s_delay_alu instid0(VALU_DEP_2) | instskip(NEXT) | instid1(VALU_DEP_2)
	v_dual_mul_f32 v23, v23, v27 :: v_dual_mul_f32 v24, v24, v28
	v_mul_f32_e32 v22, v22, v26
	s_delay_alu instid0(VALU_DEP_3) | instskip(NEXT) | instid1(VALU_DEP_3)
	v_fma_f32 v25, v21, v17, v17
	v_fma_f32 v27, v23, v12, v12
	s_delay_alu instid0(VALU_DEP_4)
	v_fma_f32 v28, v24, v20, v20
	v_and_b32_e32 v19, 1, v19
	v_fma_f32 v26, v22, v14, v14
	v_rcp_f32_e32 v30, v25
	v_sub_f32_e32 v29, v25, v17
	v_rcp_f32_e32 v35, v28
	v_sub_f32_e32 v36, v28, v20
	v_rcp_f32_e32 v32, v26
	v_rcp_f32_e32 v34, v27
	v_fma_f32 v17, v21, v17, -v29
	v_cmp_eq_u32_e32 vcc_lo, 0, v19
	v_fma_f32 v20, v24, v20, -v36
	v_fma_f32 v21, v25, -v30, 1.0
	s_delay_alu instid0(TRANS32_DEP_3) | instskip(NEXT) | instid1(VALU_DEP_2)
	v_fma_f32 v24, v28, -v35, 1.0
	v_fma_f32 v17, v17, -v30, v21
	s_delay_alu instid0(VALU_DEP_2) | instskip(NEXT) | instid1(VALU_DEP_2)
	v_fma_f32 v20, v20, -v35, v24
	v_fma_f32 v17, v17, -v30, -v30
	s_delay_alu instid0(VALU_DEP_2) | instskip(SKIP_1) | instid1(VALU_DEP_3)
	v_fma_f32 v20, v20, -v35, -v35
	v_sub_f32_e32 v31, v26, v14
	v_cndmask_b32_e32 v17, v17, v25, vcc_lo
	v_cmp_eq_u32_e32 vcc_lo, 0, v15
	s_delay_alu instid0(VALU_DEP_3) | instskip(SKIP_1) | instid1(VALU_DEP_1)
	v_fma_f32 v14, v22, v14, -v31
	v_fma_f32 v22, v26, -v32, 1.0
	v_fma_f32 v14, v14, -v32, v22
	s_delay_alu instid0(VALU_DEP_1) | instskip(NEXT) | instid1(VALU_DEP_1)
	v_fma_f32 v14, v14, -v32, -v32
	v_dual_sub_f32 v33, v27, v12 :: v_dual_cndmask_b32 v14, v14, v26
	s_delay_alu instid0(VALU_DEP_1) | instskip(SKIP_2) | instid1(VALU_DEP_4)
	v_fma_f32 v12, v23, v12, -v33
	v_fma_f32 v23, v27, -v34, 1.0
	v_cmp_eq_u32_e32 vcc_lo, 0, v11
	v_xor3_b32 v13, v13, v1, v14
	s_delay_alu instid0(VALU_DEP_3) | instskip(NEXT) | instid1(VALU_DEP_1)
	v_fma_f32 v12, v12, -v34, v23
	v_fma_f32 v12, v12, -v34, -v34
	s_delay_alu instid0(VALU_DEP_1) | instskip(SKIP_2) | instid1(VALU_DEP_3)
	v_cndmask_b32_e32 v11, v12, v27, vcc_lo
	v_cmp_eq_u32_e32 vcc_lo, 0, v4
	v_xor3_b32 v12, v16, v2, v17
	v_xor3_b32 v10, v10, v0, v11
	v_cndmask_b32_e32 v4, v20, v28, vcc_lo
	v_cmp_class_f32_e64 vcc_lo, v2, 0x1f8
	s_delay_alu instid0(VALU_DEP_2)
	v_xor3_b32 v4, v18, v3, v4
	v_cndmask_b32_e32 v2, 0x7fc00000, v12, vcc_lo
	v_cmp_class_f32_e64 vcc_lo, v1, 0x1f8
	v_cndmask_b32_e32 v1, 0x7fc00000, v13, vcc_lo
	v_cmp_class_f32_e64 vcc_lo, v0, 0x1f8
	;; [unrolled: 2-line block ×3, first 2 shown]
	v_cndmask_b32_e32 v3, 0x7fc00000, v4, vcc_lo
	v_cmp_le_i64_e32 vcc_lo, s[10:11], v[8:9]
	global_store_b128 v[6:7], v[0:3], off offset:-8
	s_or_b32 s0, vcc_lo, s0
	v_add_co_u32 v8, vcc_lo, v8, s4
	v_add_co_ci_u32_e32 v9, vcc_lo, 0, v9, vcc_lo
	v_add_co_u32 v6, vcc_lo, v6, s5
	v_add_co_ci_u32_e32 v7, vcc_lo, 0, v7, vcc_lo
	s_and_b32 s0, exec_lo, s0
	s_delay_alu instid0(SALU_CYCLE_1) | instskip(NEXT) | instid1(SALU_CYCLE_1)
	s_or_b32 s3, s0, s3
	s_and_not1_b32 exec_lo, exec_lo, s3
	s_cbranch_execz .LBB99_57
.LBB99_41:                              ; =>This Inner Loop Header: Depth=1
	global_load_b128 v[0:3], v[6:7], off offset:-8
                                        ; implicit-def: $vgpr11
                                        ; implicit-def: $vgpr12
	s_mov_b32 s1, exec_lo
	s_waitcnt vmcnt(0)
	v_and_b32_e32 v10, 0x7fffffff, v0
	v_cmpx_ngt_f32_e64 0x48000000, |v0|
	s_xor_b32 s9, exec_lo, s1
	s_cbranch_execz .LBB99_43
; %bb.42:                               ;   in Loop: Header=BB99_41 Depth=1
	s_delay_alu instid0(VALU_DEP_2) | instskip(SKIP_1) | instid1(VALU_DEP_2)
	v_and_or_b32 v19, v10, s6, 0x800000
	v_lshrrev_b32_e32 v16, 23, v10
	v_mad_u64_u32 v[11:12], null, 0xfe5163ab, v19, 0
	s_delay_alu instid0(VALU_DEP_2) | instskip(NEXT) | instid1(VALU_DEP_1)
	v_add_nc_u32_e32 v17, 0xffffff88, v16
	v_cmp_lt_u32_e32 vcc_lo, 63, v17
	s_delay_alu instid0(VALU_DEP_3) | instskip(SKIP_1) | instid1(VALU_DEP_2)
	v_mov_b32_e32 v4, v12
	v_cndmask_b32_e64 v18, 0, 0xffffffc0, vcc_lo
	v_mad_u64_u32 v[12:13], null, 0x3c439041, v19, v[4:5]
	s_delay_alu instid0(VALU_DEP_2) | instskip(NEXT) | instid1(VALU_DEP_2)
	v_add_nc_u32_e32 v18, v18, v17
	v_mov_b32_e32 v4, v13
	s_delay_alu instid0(VALU_DEP_2) | instskip(NEXT) | instid1(VALU_DEP_2)
	v_cmp_lt_u32_e64 s0, 31, v18
	v_mad_u64_u32 v[13:14], null, 0xdb629599, v19, v[4:5]
	s_delay_alu instid0(VALU_DEP_2) | instskip(NEXT) | instid1(VALU_DEP_1)
	v_cndmask_b32_e64 v20, 0, 0xffffffe0, s0
	v_add_nc_u32_e32 v20, v20, v18
	s_delay_alu instid0(VALU_DEP_3) | instskip(NEXT) | instid1(VALU_DEP_2)
	v_dual_mov_b32 v4, v14 :: v_dual_cndmask_b32 v11, v13, v11
	v_cmp_lt_u32_e64 s1, 31, v20
	s_delay_alu instid0(VALU_DEP_2) | instskip(NEXT) | instid1(VALU_DEP_1)
	v_mad_u64_u32 v[14:15], null, 0xf534ddc0, v19, v[4:5]
	v_mov_b32_e32 v4, v15
	s_delay_alu instid0(VALU_DEP_2) | instskip(NEXT) | instid1(VALU_DEP_2)
	v_cndmask_b32_e32 v12, v14, v12, vcc_lo
	v_mad_u64_u32 v[15:16], null, 0xfc2757d1, v19, v[4:5]
	s_delay_alu instid0(VALU_DEP_2) | instskip(NEXT) | instid1(VALU_DEP_2)
	v_cndmask_b32_e64 v11, v12, v11, s0
	v_mov_b32_e32 v4, v16
	s_delay_alu instid0(VALU_DEP_1) | instskip(NEXT) | instid1(VALU_DEP_1)
	v_mad_u64_u32 v[16:17], null, 0x4e441529, v19, v[4:5]
	v_mov_b32_e32 v4, v17
	s_delay_alu instid0(VALU_DEP_1) | instskip(SKIP_1) | instid1(VALU_DEP_4)
	v_mad_u64_u32 v[17:18], null, 0xa2f9836e, v19, v[4:5]
	v_cndmask_b32_e64 v4, 0, 0xffffffe0, s1
	v_cndmask_b32_e32 v19, v16, v14, vcc_lo
	s_delay_alu instid0(VALU_DEP_2) | instskip(NEXT) | instid1(VALU_DEP_4)
	v_dual_cndmask_b32 v17, v17, v15 :: v_dual_add_nc_u32 v4, v4, v20
	v_dual_cndmask_b32 v16, v18, v16 :: v_dual_cndmask_b32 v15, v15, v13
	s_delay_alu instid0(VALU_DEP_2) | instskip(NEXT) | instid1(VALU_DEP_3)
	v_sub_nc_u32_e32 v18, 32, v4
	v_cndmask_b32_e64 v14, v17, v19, s0
	s_delay_alu instid0(VALU_DEP_3) | instskip(NEXT) | instid1(VALU_DEP_4)
	v_cndmask_b32_e64 v16, v16, v17, s0
	v_cndmask_b32_e64 v17, v19, v15, s0
	;; [unrolled: 1-line block ×3, first 2 shown]
	v_cmp_eq_u32_e64 s2, 0, v4
	s_delay_alu instid0(VALU_DEP_4) | instskip(NEXT) | instid1(VALU_DEP_4)
	v_cndmask_b32_e64 v16, v16, v14, s1
	v_cndmask_b32_e64 v14, v14, v17, s1
	s_delay_alu instid0(VALU_DEP_4) | instskip(SKIP_1) | instid1(VALU_DEP_3)
	v_cndmask_b32_e64 v17, v17, v15, s1
	v_cndmask_b32_e64 v11, v15, v11, s1
	v_alignbit_b32 v19, v16, v14, v18
	s_delay_alu instid0(VALU_DEP_3) | instskip(NEXT) | instid1(VALU_DEP_3)
	v_alignbit_b32 v20, v14, v17, v18
	v_alignbit_b32 v18, v17, v11, v18
	s_delay_alu instid0(VALU_DEP_3) | instskip(NEXT) | instid1(VALU_DEP_3)
	v_cndmask_b32_e64 v4, v19, v16, s2
	v_cndmask_b32_e64 v13, v20, v14, s2
	s_delay_alu instid0(VALU_DEP_3) | instskip(NEXT) | instid1(VALU_DEP_3)
	v_cndmask_b32_e64 v17, v18, v17, s2
	v_bfe_u32 v14, v4, 29, 1
	s_delay_alu instid0(VALU_DEP_3) | instskip(NEXT) | instid1(VALU_DEP_3)
	v_alignbit_b32 v12, v4, v13, 30
	v_alignbit_b32 v13, v13, v17, 30
	;; [unrolled: 1-line block ×3, first 2 shown]
	s_delay_alu instid0(VALU_DEP_4) | instskip(NEXT) | instid1(VALU_DEP_1)
	v_sub_nc_u32_e32 v16, 0, v14
	v_xor_b32_e32 v15, v12, v16
	v_cmp_ne_u32_e32 vcc_lo, v12, v16
	v_xor_b32_e32 v13, v13, v16
	v_xor_b32_e32 v11, v11, v16
	s_delay_alu instid0(VALU_DEP_4) | instskip(NEXT) | instid1(VALU_DEP_1)
	v_clz_i32_u32_e32 v19, v15
	v_add_nc_u32_e32 v18, 1, v19
	s_delay_alu instid0(VALU_DEP_1) | instskip(NEXT) | instid1(VALU_DEP_1)
	v_cndmask_b32_e32 v12, 33, v18, vcc_lo
	v_sub_nc_u32_e32 v17, 32, v12
	s_delay_alu instid0(VALU_DEP_1) | instskip(SKIP_3) | instid1(VALU_DEP_3)
	v_alignbit_b32 v15, v15, v13, v17
	v_alignbit_b32 v11, v13, v11, v17
	v_lshrrev_b32_e32 v13, 29, v4
	v_lshrrev_b32_e32 v4, 30, v4
	v_alignbit_b32 v16, v15, v11, 9
	s_delay_alu instid0(VALU_DEP_3) | instskip(SKIP_1) | instid1(VALU_DEP_3)
	v_lshlrev_b32_e32 v13, 31, v13
	v_alignbit_b32 v15, v12, v15, 9
	v_clz_i32_u32_e32 v17, v16
	s_delay_alu instid0(VALU_DEP_2) | instskip(SKIP_1) | instid1(VALU_DEP_3)
	v_or_b32_e32 v15, v15, v13
	v_or_b32_e32 v13, 0x33800000, v13
	v_min_u32_e32 v17, 32, v17
	s_delay_alu instid0(VALU_DEP_3) | instskip(NEXT) | instid1(VALU_DEP_2)
	v_xor_b32_e32 v15, 1.0, v15
	v_sub_nc_u32_e32 v18, 31, v17
	v_add_lshl_u32 v12, v17, v12, 23
	s_delay_alu instid0(VALU_DEP_3) | instskip(NEXT) | instid1(VALU_DEP_3)
	v_mul_f32_e32 v17, 0x3fc90fda, v15
	v_alignbit_b32 v11, v16, v11, v18
	s_delay_alu instid0(VALU_DEP_3) | instskip(NEXT) | instid1(VALU_DEP_3)
	v_sub_nc_u32_e32 v12, v13, v12
	v_fma_f32 v13, 0x3fc90fda, v15, -v17
	s_delay_alu instid0(VALU_DEP_3) | instskip(NEXT) | instid1(VALU_DEP_2)
	v_lshrrev_b32_e32 v11, 9, v11
	v_fmac_f32_e32 v13, 0x33a22168, v15
	s_delay_alu instid0(VALU_DEP_2) | instskip(NEXT) | instid1(VALU_DEP_1)
	v_or_b32_e32 v11, v12, v11
	v_fmac_f32_e32 v13, 0x3fc90fda, v11
	s_delay_alu instid0(VALU_DEP_1)
	v_dual_add_f32 v12, v17, v13 :: v_dual_add_nc_u32 v11, v14, v4
.LBB99_43:                              ;   in Loop: Header=BB99_41 Depth=1
	s_and_not1_saveexec_b32 s0, s9
; %bb.44:                               ;   in Loop: Header=BB99_41 Depth=1
	v_mul_f32_e64 v4, 0x3f22f983, |v0|
	s_delay_alu instid0(VALU_DEP_1) | instskip(NEXT) | instid1(VALU_DEP_1)
	v_rndne_f32_e32 v4, v4
	v_fma_f32 v12, 0xbfc90fda, v4, |v0|
	v_cvt_i32_f32_e32 v11, v4
	s_delay_alu instid0(VALU_DEP_2) | instskip(NEXT) | instid1(VALU_DEP_1)
	v_fmac_f32_e32 v12, 0xb3a22168, v4
	v_fmac_f32_e32 v12, 0xa7c234c4, v4
; %bb.45:                               ;   in Loop: Header=BB99_41 Depth=1
	s_or_b32 exec_lo, exec_lo, s0
	v_and_b32_e32 v13, 0x7fffffff, v1
                                        ; implicit-def: $vgpr15
                                        ; implicit-def: $vgpr14
	s_mov_b32 s1, exec_lo
	v_cmpx_ngt_f32_e64 0x48000000, |v1|
	s_xor_b32 s9, exec_lo, s1
	s_cbranch_execz .LBB99_47
; %bb.46:                               ;   in Loop: Header=BB99_41 Depth=1
	v_lshrrev_b32_e32 v19, 23, v13
	v_and_or_b32 v22, v13, s6, 0x800000
	s_delay_alu instid0(VALU_DEP_2) | instskip(NEXT) | instid1(VALU_DEP_2)
	v_add_nc_u32_e32 v20, 0xffffff88, v19
	v_mad_u64_u32 v[14:15], null, 0xfe5163ab, v22, 0
	s_delay_alu instid0(VALU_DEP_2) | instskip(SKIP_1) | instid1(VALU_DEP_1)
	v_cmp_lt_u32_e32 vcc_lo, 63, v20
	v_cndmask_b32_e64 v21, 0, 0xffffffc0, vcc_lo
	v_dual_mov_b32 v4, v15 :: v_dual_add_nc_u32 v21, v21, v20
	s_delay_alu instid0(VALU_DEP_1) | instskip(NEXT) | instid1(VALU_DEP_2)
	v_mad_u64_u32 v[15:16], null, 0x3c439041, v22, v[4:5]
	v_cmp_lt_u32_e64 s0, 31, v21
	s_delay_alu instid0(VALU_DEP_1) | instskip(NEXT) | instid1(VALU_DEP_1)
	v_cndmask_b32_e64 v23, 0, 0xffffffe0, s0
	v_dual_mov_b32 v4, v16 :: v_dual_add_nc_u32 v23, v23, v21
	s_delay_alu instid0(VALU_DEP_1) | instskip(NEXT) | instid1(VALU_DEP_2)
	v_mad_u64_u32 v[16:17], null, 0xdb629599, v22, v[4:5]
	v_cmp_lt_u32_e64 s1, 31, v23
	s_delay_alu instid0(VALU_DEP_2) | instskip(NEXT) | instid1(VALU_DEP_3)
	v_mov_b32_e32 v4, v17
	v_cndmask_b32_e32 v14, v16, v14, vcc_lo
	s_delay_alu instid0(VALU_DEP_2) | instskip(NEXT) | instid1(VALU_DEP_1)
	v_mad_u64_u32 v[17:18], null, 0xf534ddc0, v22, v[4:5]
	v_dual_mov_b32 v4, v18 :: v_dual_cndmask_b32 v15, v17, v15
	s_delay_alu instid0(VALU_DEP_1) | instskip(NEXT) | instid1(VALU_DEP_2)
	v_mad_u64_u32 v[18:19], null, 0xfc2757d1, v22, v[4:5]
	v_cndmask_b32_e64 v14, v15, v14, s0
	s_delay_alu instid0(VALU_DEP_2) | instskip(NEXT) | instid1(VALU_DEP_1)
	v_mov_b32_e32 v4, v19
	v_mad_u64_u32 v[19:20], null, 0x4e441529, v22, v[4:5]
	s_delay_alu instid0(VALU_DEP_1) | instskip(NEXT) | instid1(VALU_DEP_1)
	v_mov_b32_e32 v4, v20
	v_mad_u64_u32 v[20:21], null, 0xa2f9836e, v22, v[4:5]
	v_cndmask_b32_e64 v4, 0, 0xffffffe0, s1
	s_delay_alu instid0(VALU_DEP_4) | instskip(NEXT) | instid1(VALU_DEP_2)
	v_cndmask_b32_e32 v22, v19, v17, vcc_lo
	v_add_nc_u32_e32 v4, v4, v23
	s_delay_alu instid0(VALU_DEP_4) | instskip(SKIP_1) | instid1(VALU_DEP_3)
	v_dual_cndmask_b32 v20, v20, v18 :: v_dual_cndmask_b32 v19, v21, v19
	v_cndmask_b32_e32 v18, v18, v16, vcc_lo
	v_sub_nc_u32_e32 v21, 32, v4
	s_delay_alu instid0(VALU_DEP_3) | instskip(NEXT) | instid1(VALU_DEP_4)
	v_cndmask_b32_e64 v17, v20, v22, s0
	v_cndmask_b32_e64 v19, v19, v20, s0
	s_delay_alu instid0(VALU_DEP_4) | instskip(SKIP_2) | instid1(VALU_DEP_4)
	v_cndmask_b32_e64 v20, v22, v18, s0
	v_cndmask_b32_e64 v18, v18, v15, s0
	v_cmp_eq_u32_e64 s2, 0, v4
	v_cndmask_b32_e64 v19, v19, v17, s1
	s_delay_alu instid0(VALU_DEP_4) | instskip(NEXT) | instid1(VALU_DEP_4)
	v_cndmask_b32_e64 v17, v17, v20, s1
	v_cndmask_b32_e64 v20, v20, v18, s1
	;; [unrolled: 1-line block ×3, first 2 shown]
	s_delay_alu instid0(VALU_DEP_3) | instskip(NEXT) | instid1(VALU_DEP_3)
	v_alignbit_b32 v22, v19, v17, v21
	v_alignbit_b32 v23, v17, v20, v21
	s_delay_alu instid0(VALU_DEP_3) | instskip(NEXT) | instid1(VALU_DEP_3)
	v_alignbit_b32 v21, v20, v14, v21
	v_cndmask_b32_e64 v4, v22, v19, s2
	s_delay_alu instid0(VALU_DEP_3) | instskip(NEXT) | instid1(VALU_DEP_3)
	v_cndmask_b32_e64 v16, v23, v17, s2
	v_cndmask_b32_e64 v20, v21, v20, s2
	s_delay_alu instid0(VALU_DEP_3) | instskip(NEXT) | instid1(VALU_DEP_3)
	v_bfe_u32 v17, v4, 29, 1
	v_alignbit_b32 v15, v4, v16, 30
	s_delay_alu instid0(VALU_DEP_3) | instskip(SKIP_1) | instid1(VALU_DEP_4)
	v_alignbit_b32 v16, v16, v20, 30
	v_alignbit_b32 v14, v20, v14, 30
	v_sub_nc_u32_e32 v19, 0, v17
	s_delay_alu instid0(VALU_DEP_1) | instskip(SKIP_3) | instid1(VALU_DEP_4)
	v_xor_b32_e32 v18, v15, v19
	v_cmp_ne_u32_e32 vcc_lo, v15, v19
	v_xor_b32_e32 v16, v16, v19
	v_xor_b32_e32 v14, v14, v19
	v_clz_i32_u32_e32 v22, v18
	s_delay_alu instid0(VALU_DEP_1) | instskip(NEXT) | instid1(VALU_DEP_1)
	v_add_nc_u32_e32 v21, 1, v22
	v_cndmask_b32_e32 v15, 33, v21, vcc_lo
	s_delay_alu instid0(VALU_DEP_1) | instskip(NEXT) | instid1(VALU_DEP_1)
	v_sub_nc_u32_e32 v20, 32, v15
	v_alignbit_b32 v18, v18, v16, v20
	v_alignbit_b32 v14, v16, v14, v20
	v_lshrrev_b32_e32 v16, 29, v4
	v_lshrrev_b32_e32 v4, 30, v4
	s_delay_alu instid0(VALU_DEP_3) | instskip(NEXT) | instid1(VALU_DEP_3)
	v_alignbit_b32 v19, v18, v14, 9
	v_lshlrev_b32_e32 v16, 31, v16
	v_alignbit_b32 v18, v15, v18, 9
	s_delay_alu instid0(VALU_DEP_3) | instskip(NEXT) | instid1(VALU_DEP_2)
	v_clz_i32_u32_e32 v20, v19
	v_or_b32_e32 v18, v18, v16
	v_or_b32_e32 v16, 0x33800000, v16
	s_delay_alu instid0(VALU_DEP_3) | instskip(NEXT) | instid1(VALU_DEP_3)
	v_min_u32_e32 v20, 32, v20
	v_xor_b32_e32 v18, 1.0, v18
	s_delay_alu instid0(VALU_DEP_2) | instskip(SKIP_1) | instid1(VALU_DEP_3)
	v_sub_nc_u32_e32 v21, 31, v20
	v_add_lshl_u32 v15, v20, v15, 23
	v_mul_f32_e32 v20, 0x3fc90fda, v18
	s_delay_alu instid0(VALU_DEP_3) | instskip(NEXT) | instid1(VALU_DEP_3)
	v_alignbit_b32 v14, v19, v14, v21
	v_sub_nc_u32_e32 v15, v16, v15
	s_delay_alu instid0(VALU_DEP_3) | instskip(NEXT) | instid1(VALU_DEP_3)
	v_fma_f32 v16, 0x3fc90fda, v18, -v20
	v_lshrrev_b32_e32 v14, 9, v14
	s_delay_alu instid0(VALU_DEP_2) | instskip(NEXT) | instid1(VALU_DEP_2)
	v_fmac_f32_e32 v16, 0x33a22168, v18
	v_or_b32_e32 v14, v15, v14
	s_delay_alu instid0(VALU_DEP_1) | instskip(NEXT) | instid1(VALU_DEP_1)
	v_dual_fmac_f32 v16, 0x3fc90fda, v14 :: v_dual_add_nc_u32 v15, v17, v4
	v_add_f32_e32 v14, v20, v16
.LBB99_47:                              ;   in Loop: Header=BB99_41 Depth=1
	s_and_not1_saveexec_b32 s0, s9
; %bb.48:                               ;   in Loop: Header=BB99_41 Depth=1
	v_mul_f32_e64 v4, 0x3f22f983, |v1|
	s_delay_alu instid0(VALU_DEP_1) | instskip(NEXT) | instid1(VALU_DEP_1)
	v_rndne_f32_e32 v4, v4
	v_fma_f32 v14, 0xbfc90fda, v4, |v1|
	v_cvt_i32_f32_e32 v15, v4
	s_delay_alu instid0(VALU_DEP_2) | instskip(NEXT) | instid1(VALU_DEP_1)
	v_fmac_f32_e32 v14, 0xb3a22168, v4
	v_fmac_f32_e32 v14, 0xa7c234c4, v4
; %bb.49:                               ;   in Loop: Header=BB99_41 Depth=1
	s_or_b32 exec_lo, exec_lo, s0
	v_and_b32_e32 v16, 0x7fffffff, v2
                                        ; implicit-def: $vgpr19
                                        ; implicit-def: $vgpr17
	s_mov_b32 s1, exec_lo
	v_cmpx_ngt_f32_e64 0x48000000, |v2|
	s_xor_b32 s9, exec_lo, s1
	s_cbranch_execz .LBB99_51
; %bb.50:                               ;   in Loop: Header=BB99_41 Depth=1
	v_and_or_b32 v25, v16, s6, 0x800000
	v_lshrrev_b32_e32 v22, 23, v16
	s_delay_alu instid0(VALU_DEP_2) | instskip(NEXT) | instid1(VALU_DEP_2)
	v_mad_u64_u32 v[17:18], null, 0xfe5163ab, v25, 0
	v_add_nc_u32_e32 v23, 0xffffff88, v22
	s_delay_alu instid0(VALU_DEP_1) | instskip(NEXT) | instid1(VALU_DEP_3)
	v_cmp_lt_u32_e32 vcc_lo, 63, v23
	v_mov_b32_e32 v4, v18
	v_cndmask_b32_e64 v24, 0, 0xffffffc0, vcc_lo
	s_delay_alu instid0(VALU_DEP_2) | instskip(NEXT) | instid1(VALU_DEP_2)
	v_mad_u64_u32 v[18:19], null, 0x3c439041, v25, v[4:5]
	v_add_nc_u32_e32 v24, v24, v23
	s_delay_alu instid0(VALU_DEP_2) | instskip(NEXT) | instid1(VALU_DEP_2)
	v_mov_b32_e32 v4, v19
	v_cmp_lt_u32_e64 s0, 31, v24
	s_delay_alu instid0(VALU_DEP_2) | instskip(NEXT) | instid1(VALU_DEP_2)
	v_mad_u64_u32 v[19:20], null, 0xdb629599, v25, v[4:5]
	v_cndmask_b32_e64 v26, 0, 0xffffffe0, s0
	s_delay_alu instid0(VALU_DEP_1) | instskip(NEXT) | instid1(VALU_DEP_3)
	v_add_nc_u32_e32 v26, v26, v24
	v_dual_mov_b32 v4, v20 :: v_dual_cndmask_b32 v17, v19, v17
	s_delay_alu instid0(VALU_DEP_2) | instskip(NEXT) | instid1(VALU_DEP_2)
	v_cmp_lt_u32_e64 s1, 31, v26
	v_mad_u64_u32 v[20:21], null, 0xf534ddc0, v25, v[4:5]
	s_delay_alu instid0(VALU_DEP_1) | instskip(NEXT) | instid1(VALU_DEP_2)
	v_mov_b32_e32 v4, v21
	v_cndmask_b32_e32 v18, v20, v18, vcc_lo
	s_delay_alu instid0(VALU_DEP_2) | instskip(NEXT) | instid1(VALU_DEP_2)
	v_mad_u64_u32 v[21:22], null, 0xfc2757d1, v25, v[4:5]
	v_cndmask_b32_e64 v17, v18, v17, s0
	s_delay_alu instid0(VALU_DEP_2) | instskip(NEXT) | instid1(VALU_DEP_1)
	v_mov_b32_e32 v4, v22
	v_mad_u64_u32 v[22:23], null, 0x4e441529, v25, v[4:5]
	s_delay_alu instid0(VALU_DEP_1) | instskip(NEXT) | instid1(VALU_DEP_1)
	v_mov_b32_e32 v4, v23
	v_mad_u64_u32 v[23:24], null, 0xa2f9836e, v25, v[4:5]
	v_cndmask_b32_e64 v4, 0, 0xffffffe0, s1
	s_delay_alu instid0(VALU_DEP_1) | instskip(NEXT) | instid1(VALU_DEP_3)
	v_dual_cndmask_b32 v25, v22, v20 :: v_dual_add_nc_u32 v4, v4, v26
	v_dual_cndmask_b32 v23, v23, v21 :: v_dual_cndmask_b32 v22, v24, v22
	v_cndmask_b32_e32 v21, v21, v19, vcc_lo
	s_delay_alu instid0(VALU_DEP_3) | instskip(NEXT) | instid1(VALU_DEP_3)
	v_sub_nc_u32_e32 v24, 32, v4
	v_cndmask_b32_e64 v20, v23, v25, s0
	s_delay_alu instid0(VALU_DEP_4) | instskip(NEXT) | instid1(VALU_DEP_4)
	v_cndmask_b32_e64 v22, v22, v23, s0
	v_cndmask_b32_e64 v23, v25, v21, s0
	;; [unrolled: 1-line block ×3, first 2 shown]
	v_cmp_eq_u32_e64 s2, 0, v4
	s_delay_alu instid0(VALU_DEP_4) | instskip(NEXT) | instid1(VALU_DEP_4)
	v_cndmask_b32_e64 v22, v22, v20, s1
	v_cndmask_b32_e64 v20, v20, v23, s1
	s_delay_alu instid0(VALU_DEP_4) | instskip(SKIP_1) | instid1(VALU_DEP_3)
	v_cndmask_b32_e64 v23, v23, v21, s1
	v_cndmask_b32_e64 v17, v21, v17, s1
	v_alignbit_b32 v25, v22, v20, v24
	s_delay_alu instid0(VALU_DEP_3) | instskip(NEXT) | instid1(VALU_DEP_3)
	v_alignbit_b32 v26, v20, v23, v24
	v_alignbit_b32 v24, v23, v17, v24
	s_delay_alu instid0(VALU_DEP_3) | instskip(NEXT) | instid1(VALU_DEP_3)
	v_cndmask_b32_e64 v4, v25, v22, s2
	v_cndmask_b32_e64 v19, v26, v20, s2
	s_delay_alu instid0(VALU_DEP_3) | instskip(NEXT) | instid1(VALU_DEP_3)
	v_cndmask_b32_e64 v23, v24, v23, s2
	v_bfe_u32 v20, v4, 29, 1
	s_delay_alu instid0(VALU_DEP_3) | instskip(NEXT) | instid1(VALU_DEP_3)
	v_alignbit_b32 v18, v4, v19, 30
	v_alignbit_b32 v19, v19, v23, 30
	;; [unrolled: 1-line block ×3, first 2 shown]
	s_delay_alu instid0(VALU_DEP_4) | instskip(NEXT) | instid1(VALU_DEP_1)
	v_sub_nc_u32_e32 v22, 0, v20
	v_xor_b32_e32 v21, v18, v22
	v_cmp_ne_u32_e32 vcc_lo, v18, v22
	v_xor_b32_e32 v19, v19, v22
	v_xor_b32_e32 v17, v17, v22
	s_delay_alu instid0(VALU_DEP_4) | instskip(NEXT) | instid1(VALU_DEP_1)
	v_clz_i32_u32_e32 v25, v21
	v_add_nc_u32_e32 v24, 1, v25
	s_delay_alu instid0(VALU_DEP_1) | instskip(NEXT) | instid1(VALU_DEP_1)
	v_cndmask_b32_e32 v18, 33, v24, vcc_lo
	v_sub_nc_u32_e32 v23, 32, v18
	s_delay_alu instid0(VALU_DEP_1) | instskip(SKIP_3) | instid1(VALU_DEP_3)
	v_alignbit_b32 v21, v21, v19, v23
	v_alignbit_b32 v17, v19, v17, v23
	v_lshrrev_b32_e32 v19, 29, v4
	v_lshrrev_b32_e32 v4, 30, v4
	v_alignbit_b32 v22, v21, v17, 9
	s_delay_alu instid0(VALU_DEP_3) | instskip(SKIP_1) | instid1(VALU_DEP_3)
	v_lshlrev_b32_e32 v19, 31, v19
	v_alignbit_b32 v21, v18, v21, 9
	v_clz_i32_u32_e32 v23, v22
	s_delay_alu instid0(VALU_DEP_2) | instskip(SKIP_1) | instid1(VALU_DEP_3)
	v_or_b32_e32 v21, v21, v19
	v_or_b32_e32 v19, 0x33800000, v19
	v_min_u32_e32 v23, 32, v23
	s_delay_alu instid0(VALU_DEP_3) | instskip(NEXT) | instid1(VALU_DEP_2)
	v_xor_b32_e32 v21, 1.0, v21
	v_sub_nc_u32_e32 v24, 31, v23
	v_add_lshl_u32 v18, v23, v18, 23
	s_delay_alu instid0(VALU_DEP_3) | instskip(NEXT) | instid1(VALU_DEP_3)
	v_mul_f32_e32 v23, 0x3fc90fda, v21
	v_alignbit_b32 v17, v22, v17, v24
	s_delay_alu instid0(VALU_DEP_3) | instskip(NEXT) | instid1(VALU_DEP_3)
	v_sub_nc_u32_e32 v18, v19, v18
	v_fma_f32 v19, 0x3fc90fda, v21, -v23
	s_delay_alu instid0(VALU_DEP_3) | instskip(NEXT) | instid1(VALU_DEP_2)
	v_lshrrev_b32_e32 v17, 9, v17
	v_fmac_f32_e32 v19, 0x33a22168, v21
	s_delay_alu instid0(VALU_DEP_2) | instskip(NEXT) | instid1(VALU_DEP_1)
	v_or_b32_e32 v17, v18, v17
	v_fmac_f32_e32 v19, 0x3fc90fda, v17
	s_delay_alu instid0(VALU_DEP_1)
	v_add_f32_e32 v17, v23, v19
	v_add_nc_u32_e32 v19, v20, v4
.LBB99_51:                              ;   in Loop: Header=BB99_41 Depth=1
	s_and_not1_saveexec_b32 s0, s9
; %bb.52:                               ;   in Loop: Header=BB99_41 Depth=1
	v_mul_f32_e64 v4, 0x3f22f983, |v2|
	s_delay_alu instid0(VALU_DEP_1) | instskip(NEXT) | instid1(VALU_DEP_1)
	v_rndne_f32_e32 v4, v4
	v_fma_f32 v17, 0xbfc90fda, v4, |v2|
	v_cvt_i32_f32_e32 v19, v4
	s_delay_alu instid0(VALU_DEP_2) | instskip(NEXT) | instid1(VALU_DEP_1)
	v_fmac_f32_e32 v17, 0xb3a22168, v4
	v_fmac_f32_e32 v17, 0xa7c234c4, v4
; %bb.53:                               ;   in Loop: Header=BB99_41 Depth=1
	s_or_b32 exec_lo, exec_lo, s0
	v_and_b32_e32 v18, 0x7fffffff, v3
                                        ; implicit-def: $vgpr4
                                        ; implicit-def: $vgpr20
	s_mov_b32 s1, exec_lo
	v_cmpx_ngt_f32_e64 0x48000000, |v3|
	s_xor_b32 s9, exec_lo, s1
	s_cbranch_execz .LBB99_55
; %bb.54:                               ;   in Loop: Header=BB99_41 Depth=1
	v_lshrrev_b32_e32 v25, 23, v18
	v_and_or_b32 v28, v18, s6, 0x800000
	s_delay_alu instid0(VALU_DEP_2) | instskip(NEXT) | instid1(VALU_DEP_2)
	v_add_nc_u32_e32 v26, 0xffffff88, v25
	v_mad_u64_u32 v[20:21], null, 0xfe5163ab, v28, 0
	s_delay_alu instid0(VALU_DEP_2) | instskip(SKIP_1) | instid1(VALU_DEP_1)
	v_cmp_lt_u32_e32 vcc_lo, 63, v26
	v_cndmask_b32_e64 v27, 0, 0xffffffc0, vcc_lo
	v_dual_mov_b32 v4, v21 :: v_dual_add_nc_u32 v27, v27, v26
	s_delay_alu instid0(VALU_DEP_1) | instskip(NEXT) | instid1(VALU_DEP_2)
	v_mad_u64_u32 v[21:22], null, 0x3c439041, v28, v[4:5]
	v_cmp_lt_u32_e64 s0, 31, v27
	s_delay_alu instid0(VALU_DEP_1) | instskip(NEXT) | instid1(VALU_DEP_1)
	v_cndmask_b32_e64 v29, 0, 0xffffffe0, s0
	v_dual_mov_b32 v4, v22 :: v_dual_add_nc_u32 v29, v29, v27
	s_delay_alu instid0(VALU_DEP_1) | instskip(NEXT) | instid1(VALU_DEP_2)
	v_mad_u64_u32 v[22:23], null, 0xdb629599, v28, v[4:5]
	v_cmp_lt_u32_e64 s1, 31, v29
	s_delay_alu instid0(VALU_DEP_2) | instskip(NEXT) | instid1(VALU_DEP_3)
	v_mov_b32_e32 v4, v23
	v_cndmask_b32_e32 v20, v22, v20, vcc_lo
	s_delay_alu instid0(VALU_DEP_2) | instskip(NEXT) | instid1(VALU_DEP_1)
	v_mad_u64_u32 v[23:24], null, 0xf534ddc0, v28, v[4:5]
	v_dual_mov_b32 v4, v24 :: v_dual_cndmask_b32 v21, v23, v21
	s_delay_alu instid0(VALU_DEP_1) | instskip(NEXT) | instid1(VALU_DEP_2)
	v_mad_u64_u32 v[24:25], null, 0xfc2757d1, v28, v[4:5]
	v_cndmask_b32_e64 v20, v21, v20, s0
	s_delay_alu instid0(VALU_DEP_2) | instskip(NEXT) | instid1(VALU_DEP_1)
	v_mov_b32_e32 v4, v25
	v_mad_u64_u32 v[25:26], null, 0x4e441529, v28, v[4:5]
	s_delay_alu instid0(VALU_DEP_1) | instskip(NEXT) | instid1(VALU_DEP_1)
	v_mov_b32_e32 v4, v26
	v_mad_u64_u32 v[26:27], null, 0xa2f9836e, v28, v[4:5]
	v_cndmask_b32_e64 v4, 0, 0xffffffe0, s1
	s_delay_alu instid0(VALU_DEP_4) | instskip(NEXT) | instid1(VALU_DEP_2)
	v_cndmask_b32_e32 v28, v25, v23, vcc_lo
	v_add_nc_u32_e32 v4, v4, v29
	s_delay_alu instid0(VALU_DEP_4) | instskip(SKIP_1) | instid1(VALU_DEP_3)
	v_dual_cndmask_b32 v26, v26, v24 :: v_dual_cndmask_b32 v25, v27, v25
	v_cndmask_b32_e32 v24, v24, v22, vcc_lo
	v_sub_nc_u32_e32 v27, 32, v4
	s_delay_alu instid0(VALU_DEP_3) | instskip(NEXT) | instid1(VALU_DEP_4)
	v_cndmask_b32_e64 v23, v26, v28, s0
	v_cndmask_b32_e64 v25, v25, v26, s0
	s_delay_alu instid0(VALU_DEP_4) | instskip(SKIP_2) | instid1(VALU_DEP_4)
	v_cndmask_b32_e64 v26, v28, v24, s0
	v_cndmask_b32_e64 v24, v24, v21, s0
	v_cmp_eq_u32_e64 s2, 0, v4
	v_cndmask_b32_e64 v25, v25, v23, s1
	s_delay_alu instid0(VALU_DEP_4) | instskip(NEXT) | instid1(VALU_DEP_4)
	v_cndmask_b32_e64 v23, v23, v26, s1
	v_cndmask_b32_e64 v26, v26, v24, s1
	;; [unrolled: 1-line block ×3, first 2 shown]
	s_delay_alu instid0(VALU_DEP_3) | instskip(NEXT) | instid1(VALU_DEP_3)
	v_alignbit_b32 v28, v25, v23, v27
	v_alignbit_b32 v29, v23, v26, v27
	s_delay_alu instid0(VALU_DEP_3) | instskip(NEXT) | instid1(VALU_DEP_3)
	v_alignbit_b32 v27, v26, v20, v27
	v_cndmask_b32_e64 v4, v28, v25, s2
	s_delay_alu instid0(VALU_DEP_3) | instskip(NEXT) | instid1(VALU_DEP_3)
	v_cndmask_b32_e64 v22, v29, v23, s2
	v_cndmask_b32_e64 v26, v27, v26, s2
	s_delay_alu instid0(VALU_DEP_3) | instskip(NEXT) | instid1(VALU_DEP_3)
	v_bfe_u32 v23, v4, 29, 1
	v_alignbit_b32 v21, v4, v22, 30
	s_delay_alu instid0(VALU_DEP_3) | instskip(SKIP_1) | instid1(VALU_DEP_4)
	v_alignbit_b32 v22, v22, v26, 30
	v_alignbit_b32 v20, v26, v20, 30
	v_sub_nc_u32_e32 v25, 0, v23
	s_delay_alu instid0(VALU_DEP_1) | instskip(SKIP_3) | instid1(VALU_DEP_4)
	v_xor_b32_e32 v24, v21, v25
	v_cmp_ne_u32_e32 vcc_lo, v21, v25
	v_xor_b32_e32 v22, v22, v25
	v_xor_b32_e32 v20, v20, v25
	v_clz_i32_u32_e32 v28, v24
	s_delay_alu instid0(VALU_DEP_1) | instskip(NEXT) | instid1(VALU_DEP_1)
	v_add_nc_u32_e32 v27, 1, v28
	v_cndmask_b32_e32 v21, 33, v27, vcc_lo
	s_delay_alu instid0(VALU_DEP_1) | instskip(NEXT) | instid1(VALU_DEP_1)
	v_sub_nc_u32_e32 v26, 32, v21
	v_alignbit_b32 v24, v24, v22, v26
	v_alignbit_b32 v20, v22, v20, v26
	v_lshrrev_b32_e32 v22, 29, v4
	v_lshrrev_b32_e32 v4, 30, v4
	s_delay_alu instid0(VALU_DEP_3) | instskip(NEXT) | instid1(VALU_DEP_3)
	v_alignbit_b32 v25, v24, v20, 9
	v_lshlrev_b32_e32 v22, 31, v22
	v_alignbit_b32 v24, v21, v24, 9
	s_delay_alu instid0(VALU_DEP_4) | instskip(NEXT) | instid1(VALU_DEP_4)
	v_add_nc_u32_e32 v4, v23, v4
	v_clz_i32_u32_e32 v26, v25
	s_delay_alu instid0(VALU_DEP_3) | instskip(SKIP_1) | instid1(VALU_DEP_3)
	v_or_b32_e32 v24, v24, v22
	v_or_b32_e32 v22, 0x33800000, v22
	v_min_u32_e32 v26, 32, v26
	s_delay_alu instid0(VALU_DEP_3) | instskip(NEXT) | instid1(VALU_DEP_2)
	v_xor_b32_e32 v24, 1.0, v24
	v_sub_nc_u32_e32 v27, 31, v26
	v_add_lshl_u32 v21, v26, v21, 23
	s_delay_alu instid0(VALU_DEP_3) | instskip(NEXT) | instid1(VALU_DEP_3)
	v_mul_f32_e32 v26, 0x3fc90fda, v24
	v_alignbit_b32 v20, v25, v20, v27
	s_delay_alu instid0(VALU_DEP_3) | instskip(NEXT) | instid1(VALU_DEP_3)
	v_sub_nc_u32_e32 v21, v22, v21
	v_fma_f32 v22, 0x3fc90fda, v24, -v26
	s_delay_alu instid0(VALU_DEP_3) | instskip(NEXT) | instid1(VALU_DEP_2)
	v_lshrrev_b32_e32 v20, 9, v20
	v_fmac_f32_e32 v22, 0x33a22168, v24
	s_delay_alu instid0(VALU_DEP_2) | instskip(NEXT) | instid1(VALU_DEP_1)
	v_or_b32_e32 v20, v21, v20
	v_fmac_f32_e32 v22, 0x3fc90fda, v20
	s_delay_alu instid0(VALU_DEP_1)
	v_add_f32_e32 v20, v26, v22
.LBB99_55:                              ;   in Loop: Header=BB99_41 Depth=1
	s_and_not1_saveexec_b32 s0, s9
	s_cbranch_execz .LBB99_40
; %bb.56:                               ;   in Loop: Header=BB99_41 Depth=1
	v_mul_f32_e64 v4, 0x3f22f983, |v3|
	s_delay_alu instid0(VALU_DEP_1) | instskip(NEXT) | instid1(VALU_DEP_1)
	v_rndne_f32_e32 v4, v4
	v_fma_f32 v20, 0xbfc90fda, v4, |v3|
	s_delay_alu instid0(VALU_DEP_1) | instskip(NEXT) | instid1(VALU_DEP_1)
	v_fmac_f32_e32 v20, 0xb3a22168, v4
	v_fmac_f32_e32 v20, 0xa7c234c4, v4
	v_cvt_i32_f32_e32 v4, v4
	s_branch .LBB99_40
.LBB99_57:
	s_nop 0
	s_sendmsg sendmsg(MSG_DEALLOC_VGPRS)
	s_endpgm
	.section	.rodata,"a",@progbits
	.p2align	6, 0x0
	.amdhsa_kernel _ZN2at6native12_GLOBAL__N_125multi_tensor_apply_kernelINS1_18TensorListMetadataILi1EEENS1_14UnaryOpFunctorIfLi1ELi1ELi0EEEJNS0_3TanIfEEEEEvT_T0_DpT1_
		.amdhsa_group_segment_fixed_size 0
		.amdhsa_private_segment_fixed_size 0
		.amdhsa_kernarg_size 3632
		.amdhsa_user_sgpr_count 15
		.amdhsa_user_sgpr_dispatch_ptr 0
		.amdhsa_user_sgpr_queue_ptr 0
		.amdhsa_user_sgpr_kernarg_segment_ptr 1
		.amdhsa_user_sgpr_dispatch_id 0
		.amdhsa_user_sgpr_private_segment_size 0
		.amdhsa_wavefront_size32 1
		.amdhsa_uses_dynamic_stack 0
		.amdhsa_enable_private_segment 0
		.amdhsa_system_sgpr_workgroup_id_x 1
		.amdhsa_system_sgpr_workgroup_id_y 0
		.amdhsa_system_sgpr_workgroup_id_z 0
		.amdhsa_system_sgpr_workgroup_info 0
		.amdhsa_system_vgpr_workitem_id 0
		.amdhsa_next_free_vgpr 37
		.amdhsa_next_free_sgpr 27
		.amdhsa_reserve_vcc 1
		.amdhsa_float_round_mode_32 0
		.amdhsa_float_round_mode_16_64 0
		.amdhsa_float_denorm_mode_32 3
		.amdhsa_float_denorm_mode_16_64 3
		.amdhsa_dx10_clamp 1
		.amdhsa_ieee_mode 1
		.amdhsa_fp16_overflow 0
		.amdhsa_workgroup_processor_mode 1
		.amdhsa_memory_ordered 1
		.amdhsa_forward_progress 0
		.amdhsa_shared_vgpr_count 0
		.amdhsa_exception_fp_ieee_invalid_op 0
		.amdhsa_exception_fp_denorm_src 0
		.amdhsa_exception_fp_ieee_div_zero 0
		.amdhsa_exception_fp_ieee_overflow 0
		.amdhsa_exception_fp_ieee_underflow 0
		.amdhsa_exception_fp_ieee_inexact 0
		.amdhsa_exception_int_div_zero 0
	.end_amdhsa_kernel
	.section	.text._ZN2at6native12_GLOBAL__N_125multi_tensor_apply_kernelINS1_18TensorListMetadataILi1EEENS1_14UnaryOpFunctorIfLi1ELi1ELi0EEEJNS0_3TanIfEEEEEvT_T0_DpT1_,"axG",@progbits,_ZN2at6native12_GLOBAL__N_125multi_tensor_apply_kernelINS1_18TensorListMetadataILi1EEENS1_14UnaryOpFunctorIfLi1ELi1ELi0EEEJNS0_3TanIfEEEEEvT_T0_DpT1_,comdat
.Lfunc_end99:
	.size	_ZN2at6native12_GLOBAL__N_125multi_tensor_apply_kernelINS1_18TensorListMetadataILi1EEENS1_14UnaryOpFunctorIfLi1ELi1ELi0EEEJNS0_3TanIfEEEEEvT_T0_DpT1_, .Lfunc_end99-_ZN2at6native12_GLOBAL__N_125multi_tensor_apply_kernelINS1_18TensorListMetadataILi1EEENS1_14UnaryOpFunctorIfLi1ELi1ELi0EEEJNS0_3TanIfEEEEEvT_T0_DpT1_
                                        ; -- End function
	.section	.AMDGPU.csdata,"",@progbits
; Kernel info:
; codeLenInByte = 8864
; NumSgprs: 29
; NumVgprs: 37
; ScratchSize: 0
; MemoryBound: 0
; FloatMode: 240
; IeeeMode: 1
; LDSByteSize: 0 bytes/workgroup (compile time only)
; SGPRBlocks: 3
; VGPRBlocks: 4
; NumSGPRsForWavesPerEU: 29
; NumVGPRsForWavesPerEU: 37
; Occupancy: 16
; WaveLimiterHint : 0
; COMPUTE_PGM_RSRC2:SCRATCH_EN: 0
; COMPUTE_PGM_RSRC2:USER_SGPR: 15
; COMPUTE_PGM_RSRC2:TRAP_HANDLER: 0
; COMPUTE_PGM_RSRC2:TGID_X_EN: 1
; COMPUTE_PGM_RSRC2:TGID_Y_EN: 0
; COMPUTE_PGM_RSRC2:TGID_Z_EN: 0
; COMPUTE_PGM_RSRC2:TIDIG_COMP_CNT: 0
	.section	.text._ZN2at6native12_GLOBAL__N_125multi_tensor_apply_kernelINS1_18TensorListMetadataILi1EEENS1_14UnaryOpFunctorIN3c107complexIdEELi1ELi1ELi0EEEJNS0_3TanIS8_EEEEEvT_T0_DpT1_,"axG",@progbits,_ZN2at6native12_GLOBAL__N_125multi_tensor_apply_kernelINS1_18TensorListMetadataILi1EEENS1_14UnaryOpFunctorIN3c107complexIdEELi1ELi1ELi0EEEJNS0_3TanIS8_EEEEEvT_T0_DpT1_,comdat
	.globl	_ZN2at6native12_GLOBAL__N_125multi_tensor_apply_kernelINS1_18TensorListMetadataILi1EEENS1_14UnaryOpFunctorIN3c107complexIdEELi1ELi1ELi0EEEJNS0_3TanIS8_EEEEEvT_T0_DpT1_ ; -- Begin function _ZN2at6native12_GLOBAL__N_125multi_tensor_apply_kernelINS1_18TensorListMetadataILi1EEENS1_14UnaryOpFunctorIN3c107complexIdEELi1ELi1ELi0EEEJNS0_3TanIS8_EEEEEvT_T0_DpT1_
	.p2align	8
	.type	_ZN2at6native12_GLOBAL__N_125multi_tensor_apply_kernelINS1_18TensorListMetadataILi1EEENS1_14UnaryOpFunctorIN3c107complexIdEELi1ELi1ELi0EEEJNS0_3TanIS8_EEEEEvT_T0_DpT1_,@function
_ZN2at6native12_GLOBAL__N_125multi_tensor_apply_kernelINS1_18TensorListMetadataILi1EEENS1_14UnaryOpFunctorIN3c107complexIdEELi1ELi1ELi0EEEJNS0_3TanIS8_EEEEEvT_T0_DpT1_: ; @_ZN2at6native12_GLOBAL__N_125multi_tensor_apply_kernelINS1_18TensorListMetadataILi1EEENS1_14UnaryOpFunctorIN3c107complexIdEELi1ELi1ELi0EEEJNS0_3TanIS8_EEEEEvT_T0_DpT1_
; %bb.0:
	v_mov_b32_e32 v1, s15
	s_add_u32 s2, s0, s15
	s_mul_hi_u32 s3, s15, 3
	s_mul_i32 s15, s15, 3
	s_addc_u32 s4, s1, 0
	global_load_u8 v1, v1, s[0:1] offset:1760
	s_add_u32 s2, s2, s15
	s_addc_u32 s3, s4, s3
                                        ; implicit-def: $vgpr69 : SGPR spill to VGPR lane
	s_mov_b32 s7, 0
	s_load_b32 s2, s[2:3], 0x820
	s_waitcnt vmcnt(0)
	v_readfirstlane_b32 s5, v1
	s_delay_alu instid0(VALU_DEP_1)
	s_lshl_b32 s3, s5, 3
	s_clause 0x1
	s_load_b64 s[8:9], s[0:1], s3 offset:0x0
	s_load_b64 s[4:5], s[0:1], s3 offset:0x370
	s_waitcnt lgkmcnt(0)
	s_ashr_i32 s3, s2, 31
	s_delay_alu instid0(SALU_CYCLE_1) | instskip(NEXT) | instid1(SALU_CYCLE_1)
	s_lshl_b64 s[12:13], s[2:3], 20
	s_add_u32 s33, s8, s12
	v_writelane_b32 v69, s8, 0
	s_addc_u32 s104, s9, s13
	s_lshl_b64 s[2:3], s[2:3], 16
	s_and_b32 s6, s33, 63
	v_writelane_b32 v69, s9, 1
	s_sub_u32 s8, s4, s2
	s_subb_u32 s9, s5, s3
	s_and_b32 s2, s4, 3
	s_mov_b32 s3, s7
	s_delay_alu instid0(SALU_CYCLE_1) | instskip(NEXT) | instid1(SALU_CYCLE_1)
	s_or_b64 s[2:3], s[6:7], s[2:3]
	s_cmp_eq_u64 s[2:3], 0
	s_cbranch_scc1 .LBB100_173
; %bb.1:
	v_cmp_lt_i64_e64 s2, s[8:9], 1
	s_delay_alu instid0(VALU_DEP_1)
	s_and_b32 vcc_lo, exec_lo, s2
	s_cbranch_vccnz .LBB100_172
; %bb.2:
	s_load_b32 s2, s[0:1], 0xd3c
	v_cmp_gt_u64_e64 s3, 0x10000, s[8:9]
	s_mov_b32 s20, 0x54442d18
	s_mov_b32 s26, 0x6dc9c883
	;; [unrolled: 1-line block ×18, first 2 shown]
	s_waitcnt lgkmcnt(0)
	s_and_b32 s2, s2, 0xffff
	s_and_b32 s3, s3, exec_lo
	v_add_co_u32 v39, s5, v0, s2
	v_mov_b32_e32 v21, 0
	s_cselect_b32 s17, s9, 0
	s_cselect_b32 s16, s8, 0x10000
	s_delay_alu instid0(VALU_DEP_2) | instskip(NEXT) | instid1(VALU_DEP_2)
	v_lshlrev_b32_e32 v44, 4, v39
	v_dual_mov_b32 v24, v21 :: v_dual_lshlrev_b32 v23, 4, v0
	s_lshl_b32 s3, s2, 1
	s_mul_i32 s4, s2, 3
	s_lshl_b32 vcc_hi, s2, 2
	s_lshl_b32 s52, s2, 6
	v_mad_u64_u32 v[25:26], null, s2, 48, v[23:24]
	s_lshl_b32 s2, s2, 5
	v_add_co_u32 v40, s4, s4, v0
	v_add_co_u32 v1, s2, s2, v23
	s_delay_alu instid0(VALU_DEP_1)
	v_add_co_ci_u32_e64 v42, null, 0, 0, s2
	v_add_co_u32 v45, s2, s3, v0
	v_add_co_ci_u32_e64 v24, null, 0, 0, s5
	v_add_co_ci_u32_e64 v41, null, 0, 0, s4
	v_or_b32_e32 v43, 8, v1
	v_or_b32_e32 v25, 8, v25
	v_add_co_ci_u32_e64 v46, null, 0, 0, s2
	s_mov_b32 s50, 0x55555555
	s_mov_b32 s92, 0x55555511
	;; [unrolled: 1-line block ×13, first 2 shown]
	s_mov_b64 s[14:15], 0
	s_mov_b32 s19, 0x3ff921fb
	s_mov_b32 s21, 0xbff921fb
	;; [unrolled: 1-line block ×40, first 2 shown]
	s_branch .LBB100_4
.LBB100_3:                              ;   in Loop: Header=BB100_4 Depth=1
	s_or_b32 exec_lo, exec_lo, s2
	s_add_u32 s14, s14, vcc_hi
	s_addc_u32 s15, s15, 0
	s_delay_alu instid0(SALU_CYCLE_1) | instskip(SKIP_1) | instid1(VALU_DEP_1)
	v_cmp_ge_i64_e64 s2, s[14:15], s[8:9]
	v_cmp_lt_u64_e64 s3, 0xffff, s[14:15]
	s_or_b32 s2, s2, s3
	s_add_u32 s33, s33, s52
	s_addc_u32 s104, s104, 0
	s_and_b32 vcc_lo, exec_lo, s2
	s_cbranch_vccnz .LBB100_172
.LBB100_4:                              ; =>This Inner Loop Header: Depth=1
	v_add_co_u32 v1, s2, v0, s14
	v_mov_b32_e32 v19, 0
	v_add_co_ci_u32_e64 v2, null, 0, s15, s2
	v_mov_b32_e32 v20, 0
	s_delay_alu instid0(VALU_DEP_3) | instskip(SKIP_1) | instid1(VALU_DEP_4)
	v_mov_b32_e32 v11, v19
	v_mov_b32_e32 v9, v19
	v_cmp_gt_u64_e64 s2, s[16:17], v[1:2]
	s_delay_alu instid0(VALU_DEP_4) | instskip(SKIP_1) | instid1(VALU_DEP_3)
	v_mov_b32_e32 v10, v20
	v_mov_b32_e32 v12, v20
	s_and_saveexec_b32 s3, s2
	s_cbranch_execz .LBB100_6
; %bb.5:                                ;   in Loop: Header=BB100_4 Depth=1
	v_add_co_u32 v1, s4, s33, v23
	s_delay_alu instid0(VALU_DEP_1)
	v_add_co_ci_u32_e64 v2, null, s104, 0, s4
	global_load_b128 v[9:12], v[1:2], off
.LBB100_6:                              ;   in Loop: Header=BB100_4 Depth=1
	s_or_b32 exec_lo, exec_lo, s3
	v_add_co_u32 v1, vcc_lo, v39, s14
	v_add_co_ci_u32_e32 v2, vcc_lo, s15, v24, vcc_lo
	v_dual_mov_b32 v17, v19 :: v_dual_mov_b32 v18, v20
	s_delay_alu instid0(VALU_DEP_2) | instskip(NEXT) | instid1(VALU_DEP_1)
	v_cmp_gt_u64_e64 s3, s[16:17], v[1:2]
	s_and_saveexec_b32 s4, s3
	s_cbranch_execz .LBB100_8
; %bb.7:                                ;   in Loop: Header=BB100_4 Depth=1
	v_add_co_u32 v1, s5, s33, v44
	s_delay_alu instid0(VALU_DEP_1)
	v_add_co_ci_u32_e64 v2, null, s104, 0, s5
	global_load_b128 v[17:20], v[1:2], off
.LBB100_8:                              ;   in Loop: Header=BB100_4 Depth=1
	s_or_b32 exec_lo, exec_lo, s4
	v_add_co_u32 v1, vcc_lo, v45, s14
	v_mov_b32_e32 v7, 0
	v_add_co_ci_u32_e32 v2, vcc_lo, s15, v46, vcc_lo
	v_mov_b32_e32 v8, 0
	s_delay_alu instid0(VALU_DEP_2) | instskip(NEXT) | instid1(VALU_DEP_2)
	v_cmp_gt_u64_e64 s4, s[16:17], v[1:2]
	v_dual_mov_b32 v16, v8 :: v_dual_mov_b32 v15, v7
	v_dual_mov_b32 v14, v8 :: v_dual_mov_b32 v13, v7
	s_delay_alu instid0(VALU_DEP_3)
	s_and_saveexec_b32 s5, s4
	s_cbranch_execz .LBB100_10
; %bb.9:                                ;   in Loop: Header=BB100_4 Depth=1
	v_add_co_u32 v1, vcc_lo, s33, v43
	v_add_co_ci_u32_e32 v2, vcc_lo, s104, v42, vcc_lo
	global_load_b128 v[13:16], v[1:2], off offset:-8
.LBB100_10:                             ;   in Loop: Header=BB100_4 Depth=1
	s_or_b32 exec_lo, exec_lo, s5
	v_add_co_u32 v1, vcc_lo, v40, s14
	v_add_co_ci_u32_e32 v2, vcc_lo, s15, v41, vcc_lo
	v_dual_mov_b32 v5, v7 :: v_dual_mov_b32 v6, v8
	s_delay_alu instid0(VALU_DEP_2) | instskip(NEXT) | instid1(VALU_DEP_1)
	v_cmp_gt_u64_e64 s5, s[16:17], v[1:2]
	s_and_saveexec_b32 s6, s5
	s_cbranch_execz .LBB100_12
; %bb.11:                               ;   in Loop: Header=BB100_4 Depth=1
	v_add_co_u32 v1, vcc_lo, s33, v25
	v_add_co_ci_u32_e32 v2, vcc_lo, s104, v26, vcc_lo
	global_load_b128 v[5:8], v[1:2], off offset:-8
.LBB100_12:                             ;   in Loop: Header=BB100_4 Depth=1
	s_or_b32 exec_lo, exec_lo, s6
	s_waitcnt vmcnt(0)
	v_xor_b32_e32 v4, 0x80000000, v12
	v_mov_b32_e32 v3, v11
	s_mov_b32 s6, exec_lo
	s_delay_alu instid0(VALU_DEP_2) | instskip(NEXT) | instid1(VALU_DEP_1)
	v_and_b32_e32 v1, 0x7fffffff, v4
	v_cmpx_gt_u32_e32 0x7ff00000, v1
	s_xor_b32 s7, exec_lo, s6
	s_cbranch_execz .LBB100_34
; %bb.13:                               ;   in Loop: Header=BB100_4 Depth=1
	v_cmp_class_f64_e64 s6, v[9:10], 0x1f8
	s_delay_alu instid0(VALU_DEP_1) | instskip(NEXT) | instid1(SALU_CYCLE_1)
	s_and_saveexec_b32 s18, s6
	s_xor_b32 s53, exec_lo, s18
	s_cbranch_execz .LBB100_31
; %bb.14:                               ;   in Loop: Header=BB100_4 Depth=1
	s_mov_b32 s6, exec_lo
	v_cmpx_gt_u32_e32 0x40360000, v1
	s_xor_b32 s48, exec_lo, s6
	s_cbranch_execz .LBB100_20
; %bb.15:                               ;   in Loop: Header=BB100_4 Depth=1
	v_cmp_ngt_f64_e64 s6, 0x41d00000, |v[9:10]|
                                        ; implicit-def: $vgpr3
                                        ; implicit-def: $vgpr1_vgpr2
                                        ; implicit-def: $vgpr27_vgpr28
	s_delay_alu instid0(VALU_DEP_1) | instskip(NEXT) | instid1(SALU_CYCLE_1)
	s_and_saveexec_b32 s18, s6
	s_xor_b32 s6, exec_lo, s18
	s_cbranch_execz .LBB100_17
; %bb.16:                               ;   in Loop: Header=BB100_4 Depth=1
	v_ldexp_f64 v[1:2], |v[9:10]|, 0xffffff80
	v_cmp_le_f64_e64 vcc_lo, 0x7b000000, |v[9:10]|
	v_trig_preop_f64 v[27:28], |v[9:10]|, 0
	v_and_b32_e32 v3, 0x7fffffff, v10
	v_trig_preop_f64 v[31:32], |v[9:10]|, 1
	v_trig_preop_f64 v[35:36], |v[9:10]|, 2
	s_mov_b32 s18, s20
	s_mov_b32 s25, s23
	v_dual_cndmask_b32 v2, v3, v2 :: v_dual_cndmask_b32 v1, v9, v1
	s_delay_alu instid0(VALU_DEP_1) | instskip(NEXT) | instid1(VALU_DEP_4)
	v_mul_f64 v[29:30], v[27:28], v[1:2]
	v_mul_f64 v[33:34], v[31:32], v[1:2]
	s_delay_alu instid0(VALU_DEP_4) | instskip(NEXT) | instid1(VALU_DEP_3)
	v_mul_f64 v[37:38], v[35:36], v[1:2]
	v_fma_f64 v[27:28], v[27:28], v[1:2], -v[29:30]
	s_delay_alu instid0(VALU_DEP_3) | instskip(NEXT) | instid1(VALU_DEP_3)
	v_fma_f64 v[31:32], v[31:32], v[1:2], -v[33:34]
	v_fma_f64 v[1:2], v[35:36], v[1:2], -v[37:38]
	s_delay_alu instid0(VALU_DEP_3) | instskip(NEXT) | instid1(VALU_DEP_1)
	v_add_f64 v[35:36], v[33:34], v[27:28]
	v_add_f64 v[47:48], v[35:36], -v[33:34]
	s_delay_alu instid0(VALU_DEP_1) | instskip(SKIP_1) | instid1(VALU_DEP_1)
	v_add_f64 v[27:28], v[27:28], -v[47:48]
	v_add_f64 v[47:48], v[35:36], -v[47:48]
	v_add_f64 v[33:34], v[33:34], -v[47:48]
	v_add_f64 v[47:48], v[29:30], v[35:36]
	s_delay_alu instid0(VALU_DEP_2) | instskip(NEXT) | instid1(VALU_DEP_2)
	v_add_f64 v[27:28], v[27:28], v[33:34]
	v_add_f64 v[29:30], v[47:48], -v[29:30]
	v_add_f64 v[33:34], v[37:38], v[31:32]
	v_ldexp_f64 v[47:48], v[47:48], -2
	s_delay_alu instid0(VALU_DEP_3) | instskip(NEXT) | instid1(VALU_DEP_3)
	v_add_f64 v[29:30], v[35:36], -v[29:30]
	v_add_f64 v[35:36], v[33:34], -v[37:38]
	s_delay_alu instid0(VALU_DEP_3) | instskip(SKIP_1) | instid1(VALU_DEP_3)
	v_cmp_neq_f64_e64 vcc_lo, 0x7ff00000, |v[47:48]|
	v_fract_f64_e32 v[47:48], v[47:48]
	v_add_f64 v[31:32], v[31:32], -v[35:36]
	v_add_f64 v[35:36], v[33:34], -v[35:36]
	s_delay_alu instid0(VALU_DEP_3) | instskip(NEXT) | instid1(VALU_DEP_2)
	v_dual_cndmask_b32 v48, 0, v48 :: v_dual_cndmask_b32 v47, 0, v47
	v_add_f64 v[35:36], v[37:38], -v[35:36]
	v_add_f64 v[37:38], v[33:34], v[27:28]
	s_delay_alu instid0(VALU_DEP_2) | instskip(NEXT) | instid1(VALU_DEP_2)
	v_add_f64 v[31:32], v[31:32], v[35:36]
	v_add_f64 v[49:50], v[37:38], -v[33:34]
	v_add_f64 v[35:36], v[29:30], v[37:38]
	s_delay_alu instid0(VALU_DEP_2) | instskip(SKIP_1) | instid1(VALU_DEP_3)
	v_add_f64 v[27:28], v[27:28], -v[49:50]
	v_add_f64 v[49:50], v[37:38], -v[49:50]
	;; [unrolled: 1-line block ×3, first 2 shown]
	s_delay_alu instid0(VALU_DEP_2) | instskip(NEXT) | instid1(VALU_DEP_2)
	v_add_f64 v[33:34], v[33:34], -v[49:50]
	v_add_f64 v[29:30], v[37:38], -v[29:30]
	s_delay_alu instid0(VALU_DEP_2) | instskip(SKIP_1) | instid1(VALU_DEP_2)
	v_add_f64 v[27:28], v[27:28], v[33:34]
	v_ldexp_f64 v[33:34], v[47:48], 2
	v_add_f64 v[27:28], v[31:32], v[27:28]
	s_delay_alu instid0(VALU_DEP_2) | instskip(NEXT) | instid1(VALU_DEP_2)
	v_add_f64 v[47:48], v[35:36], v[33:34]
	v_add_f64 v[1:2], v[1:2], v[27:28]
	s_delay_alu instid0(VALU_DEP_2) | instskip(NEXT) | instid1(VALU_DEP_2)
	v_cmp_gt_f64_e32 vcc_lo, 0, v[47:48]
	v_add_f64 v[1:2], v[29:30], v[1:2]
	v_cndmask_b32_e64 v22, 0, 0x40100000, vcc_lo
	s_delay_alu instid0(VALU_DEP_1) | instskip(NEXT) | instid1(VALU_DEP_1)
	v_add_f64 v[27:28], v[33:34], v[21:22]
	v_add_f64 v[31:32], v[35:36], v[27:28]
	s_delay_alu instid0(VALU_DEP_1) | instskip(NEXT) | instid1(VALU_DEP_1)
	v_cvt_i32_f64_e32 v3, v[31:32]
	v_cvt_f64_i32_e32 v[31:32], v3
	s_delay_alu instid0(VALU_DEP_1) | instskip(NEXT) | instid1(VALU_DEP_1)
	v_add_f64 v[27:28], v[27:28], -v[31:32]
	v_add_f64 v[29:30], v[35:36], v[27:28]
	s_delay_alu instid0(VALU_DEP_1) | instskip(SKIP_1) | instid1(VALU_DEP_2)
	v_add_f64 v[27:28], v[29:30], -v[27:28]
	v_cmp_le_f64_e32 vcc_lo, 0.5, v[29:30]
	v_add_f64 v[27:28], v[35:36], -v[27:28]
	v_cndmask_b32_e64 v22, 0, 0x3ff00000, vcc_lo
	v_add_co_ci_u32_e32 v3, vcc_lo, 0, v3, vcc_lo
	s_delay_alu instid0(VALU_DEP_2) | instskip(NEXT) | instid1(VALU_DEP_4)
	v_add_f64 v[29:30], v[29:30], -v[21:22]
	v_add_f64 v[1:2], v[1:2], v[27:28]
	s_delay_alu instid0(VALU_DEP_1) | instskip(NEXT) | instid1(VALU_DEP_1)
	v_add_f64 v[27:28], v[29:30], v[1:2]
	v_add_f64 v[29:30], v[27:28], -v[29:30]
	s_delay_alu instid0(VALU_DEP_1) | instskip(SKIP_1) | instid1(VALU_DEP_1)
	v_add_f64 v[1:2], v[1:2], -v[29:30]
	v_mul_f64 v[29:30], v[27:28], s[18:19]
	v_fma_f64 v[31:32], v[27:28], s[18:19], -v[29:30]
	s_delay_alu instid0(VALU_DEP_1) | instskip(NEXT) | instid1(VALU_DEP_1)
	v_fma_f64 v[27:28], v[27:28], s[24:25], v[31:32]
	v_fma_f64 v[27:28], v[1:2], s[18:19], v[27:28]
	s_delay_alu instid0(VALU_DEP_1) | instskip(NEXT) | instid1(VALU_DEP_1)
	v_add_f64 v[1:2], v[29:30], v[27:28]
	v_add_f64 v[29:30], v[1:2], -v[29:30]
	s_delay_alu instid0(VALU_DEP_1)
	v_add_f64 v[27:28], v[27:28], -v[29:30]
.LBB100_17:                             ;   in Loop: Header=BB100_4 Depth=1
	s_and_not1_saveexec_b32 s6, s6
	s_cbranch_execz .LBB100_19
; %bb.18:                               ;   in Loop: Header=BB100_4 Depth=1
	v_mul_f64 v[1:2], |v[9:10]|, s[26:27]
	s_mov_b32 s22, s28
	s_delay_alu instid0(VALU_DEP_1) | instskip(NEXT) | instid1(VALU_DEP_1)
	v_rndne_f64_e32 v[29:30], v[1:2]
	v_fma_f64 v[1:2], v[29:30], s[20:21], |v[9:10]|
	v_mul_f64 v[27:28], v[29:30], s[28:29]
	v_cvt_i32_f64_e32 v3, v[29:30]
	s_delay_alu instid0(VALU_DEP_3) | instskip(NEXT) | instid1(VALU_DEP_3)
	v_fma_f64 v[33:34], v[29:30], s[28:29], v[1:2]
	v_add_f64 v[31:32], v[1:2], v[27:28]
	s_delay_alu instid0(VALU_DEP_1) | instskip(NEXT) | instid1(VALU_DEP_3)
	v_add_f64 v[1:2], v[1:2], -v[31:32]
	v_add_f64 v[31:32], v[31:32], -v[33:34]
	s_delay_alu instid0(VALU_DEP_2) | instskip(SKIP_1) | instid1(VALU_DEP_2)
	v_add_f64 v[1:2], v[1:2], v[27:28]
	v_fma_f64 v[27:28], v[29:30], s[22:23], v[27:28]
	v_add_f64 v[1:2], v[31:32], v[1:2]
	s_delay_alu instid0(VALU_DEP_1) | instskip(NEXT) | instid1(VALU_DEP_1)
	v_add_f64 v[1:2], v[1:2], -v[27:28]
	v_fma_f64 v[27:28], v[29:30], s[30:31], v[1:2]
	s_delay_alu instid0(VALU_DEP_1) | instskip(NEXT) | instid1(VALU_DEP_1)
	v_add_f64 v[1:2], v[33:34], v[27:28]
	v_add_f64 v[31:32], v[1:2], -v[33:34]
	s_delay_alu instid0(VALU_DEP_1)
	v_add_f64 v[27:28], v[27:28], -v[31:32]
.LBB100_19:                             ;   in Loop: Header=BB100_4 Depth=1
	s_or_b32 exec_lo, exec_lo, s6
	v_add_f64 v[29:30], |v[11:12]|, s[44:45]
	s_mov_b32 s64, s44
	s_mov_b32 s68, s70
	;; [unrolled: 1-line block ×5, first 2 shown]
	v_cmp_nge_f64_e64 vcc_lo, |v[11:12]|, s[96:97]
	v_cmp_gt_f64_e64 s6, 0x3e400000, |v[11:12]|
	s_mov_b32 s54, 0xa9a29f71
	s_mov_b32 s56, 0xc751c08c
	;; [unrolled: 1-line block ×4, first 2 shown]
	v_and_b32_e32 v3, 1, v3
	s_delay_alu instid0(VALU_DEP_4) | instskip(NEXT) | instid1(VALU_DEP_1)
	v_add_f64 v[31:32], v[29:30], -|v[11:12]|
	v_add_f64 v[33:34], v[31:32], -v[29:30]
	v_add_f64 v[31:32], v[31:32], s[64:65]
	s_delay_alu instid0(VALU_DEP_2) | instskip(NEXT) | instid1(VALU_DEP_1)
	v_add_f64 v[33:34], |v[11:12]|, v[33:34]
	v_add_f64 v[31:32], v[33:34], -v[31:32]
	s_delay_alu instid0(VALU_DEP_1) | instskip(NEXT) | instid1(VALU_DEP_1)
	v_add_f64 v[31:32], v[31:32], s[66:67]
	v_add_f64 v[33:34], v[29:30], v[31:32]
	s_delay_alu instid0(VALU_DEP_1) | instskip(NEXT) | instid1(VALU_DEP_1)
	v_add_f64 v[29:30], v[29:30], -v[33:34]
	v_add_f64 v[29:30], v[31:32], v[29:30]
	v_mul_f64 v[31:32], v[33:34], s[68:69]
	s_delay_alu instid0(VALU_DEP_1) | instskip(NEXT) | instid1(VALU_DEP_1)
	v_rndne_f64_e32 v[31:32], v[31:32]
	v_fma_f64 v[33:34], v[31:32], s[62:63], v[33:34]
	v_cvt_i32_f64_e32 v9, v[31:32]
	s_delay_alu instid0(VALU_DEP_2) | instskip(NEXT) | instid1(VALU_DEP_1)
	v_add_f64 v[35:36], v[29:30], v[33:34]
	v_add_f64 v[33:34], v[33:34], -v[35:36]
	s_delay_alu instid0(VALU_DEP_1) | instskip(SKIP_1) | instid1(VALU_DEP_1)
	v_add_f64 v[29:30], v[29:30], v[33:34]
	v_mul_f64 v[33:34], v[31:32], s[72:73]
	v_add_f64 v[37:38], v[35:36], v[33:34]
	s_delay_alu instid0(VALU_DEP_1) | instskip(NEXT) | instid1(VALU_DEP_1)
	v_add_f64 v[35:36], v[35:36], -v[37:38]
	v_add_f64 v[33:34], v[35:36], v[33:34]
	s_delay_alu instid0(VALU_DEP_1) | instskip(NEXT) | instid1(VALU_DEP_1)
	v_add_f64 v[29:30], v[29:30], v[33:34]
	v_add_f64 v[33:34], v[37:38], v[29:30]
	s_delay_alu instid0(VALU_DEP_1) | instskip(NEXT) | instid1(VALU_DEP_1)
	v_add_f64 v[35:36], v[37:38], -v[33:34]
	v_add_f64 v[29:30], v[29:30], v[35:36]
	v_mul_f64 v[35:36], v[31:32], s[74:75]
	s_delay_alu instid0(VALU_DEP_1) | instskip(NEXT) | instid1(VALU_DEP_1)
	v_add_f64 v[37:38], v[33:34], v[35:36]
	v_add_f64 v[33:34], v[33:34], -v[37:38]
	s_delay_alu instid0(VALU_DEP_1) | instskip(NEXT) | instid1(VALU_DEP_1)
	v_add_f64 v[33:34], v[33:34], v[35:36]
	v_add_f64 v[29:30], v[29:30], v[33:34]
	s_delay_alu instid0(VALU_DEP_1) | instskip(NEXT) | instid1(VALU_DEP_1)
	v_add_f64 v[33:34], v[37:38], v[29:30]
	v_add_f64 v[35:36], v[37:38], -v[33:34]
	s_delay_alu instid0(VALU_DEP_1) | instskip(SKIP_1) | instid1(VALU_DEP_2)
	v_add_f64 v[29:30], v[29:30], v[35:36]
	v_mul_f64 v[35:36], v[33:34], v[33:34]
	v_add_f64 v[47:48], v[29:30], v[29:30]
	s_delay_alu instid0(VALU_DEP_2) | instskip(NEXT) | instid1(VALU_DEP_1)
	v_fma_f64 v[37:38], v[33:34], v[33:34], -v[35:36]
	v_fma_f64 v[37:38], v[33:34], v[47:48], v[37:38]
	s_delay_alu instid0(VALU_DEP_1) | instskip(NEXT) | instid1(VALU_DEP_1)
	v_add_f64 v[47:48], v[35:36], v[37:38]
	v_add_f64 v[35:36], v[47:48], -v[35:36]
	s_delay_alu instid0(VALU_DEP_1) | instskip(SKIP_1) | instid1(VALU_DEP_1)
	v_add_f64 v[35:36], v[37:38], -v[35:36]
	v_fma_f64 v[37:38], v[33:34], s[78:79], s[76:77]
	v_fma_f64 v[37:38], v[33:34], v[37:38], s[80:81]
	s_delay_alu instid0(VALU_DEP_1) | instskip(NEXT) | instid1(VALU_DEP_1)
	v_fma_f64 v[37:38], v[33:34], v[37:38], s[82:83]
	v_fma_f64 v[37:38], v[33:34], v[37:38], s[84:85]
	s_delay_alu instid0(VALU_DEP_1) | instskip(NEXT) | instid1(VALU_DEP_1)
	;; [unrolled: 3-line block ×4, first 2 shown]
	v_fma_f64 v[37:38], v[33:34], v[37:38], s[94:95]
	v_mul_f64 v[49:50], v[47:48], v[37:38]
	s_delay_alu instid0(VALU_DEP_1) | instskip(NEXT) | instid1(VALU_DEP_1)
	v_fma_f64 v[47:48], v[47:48], v[37:38], -v[49:50]
	v_fma_f64 v[35:36], v[35:36], v[37:38], v[47:48]
	s_delay_alu instid0(VALU_DEP_1) | instskip(NEXT) | instid1(VALU_DEP_1)
	v_add_f64 v[37:38], v[49:50], v[35:36]
	v_add_f64 v[47:48], v[37:38], -v[49:50]
	s_delay_alu instid0(VALU_DEP_1) | instskip(SKIP_1) | instid1(VALU_DEP_2)
	v_add_f64 v[35:36], v[35:36], -v[47:48]
	v_add_f64 v[47:48], v[33:34], v[37:38]
	v_add_f64 v[29:30], v[29:30], v[35:36]
	s_delay_alu instid0(VALU_DEP_2) | instskip(NEXT) | instid1(VALU_DEP_1)
	v_add_f64 v[33:34], v[47:48], -v[33:34]
	v_add_f64 v[33:34], v[37:38], -v[33:34]
	s_delay_alu instid0(VALU_DEP_1) | instskip(NEXT) | instid1(VALU_DEP_1)
	v_add_f64 v[29:30], v[29:30], v[33:34]
	v_add_f64 v[33:34], v[47:48], v[29:30]
	s_delay_alu instid0(VALU_DEP_1) | instskip(NEXT) | instid1(VALU_DEP_1)
	v_add_f64 v[35:36], v[33:34], -v[47:48]
	v_add_f64 v[29:30], v[29:30], -v[35:36]
	v_add_f64 v[35:36], v[33:34], 1.0
	s_delay_alu instid0(VALU_DEP_1) | instskip(NEXT) | instid1(VALU_DEP_1)
	v_add_f64 v[37:38], v[35:36], -1.0
	v_add_f64 v[33:34], v[33:34], -v[37:38]
	s_delay_alu instid0(VALU_DEP_1) | instskip(NEXT) | instid1(VALU_DEP_1)
	v_add_f64 v[29:30], v[29:30], v[33:34]
	v_add_f64 v[31:32], v[35:36], v[29:30]
	s_delay_alu instid0(VALU_DEP_1) | instskip(SKIP_1) | instid1(VALU_DEP_2)
	v_add_f64 v[33:34], v[31:32], -v[35:36]
	v_ldexp_f64 v[31:32], v[31:32], v9
	v_add_f64 v[29:30], v[29:30], -v[33:34]
	s_delay_alu instid0(VALU_DEP_2) | instskip(NEXT) | instid1(VALU_DEP_1)
	v_rcp_f64_e32 v[35:36], v[31:32]
	v_ldexp_f64 v[29:30], v[29:30], v9
	s_waitcnt_depctr 0xfff
	v_fma_f64 v[37:38], -v[31:32], v[35:36], 1.0
	s_delay_alu instid0(VALU_DEP_1) | instskip(NEXT) | instid1(VALU_DEP_1)
	v_fma_f64 v[35:36], v[37:38], v[35:36], v[35:36]
	v_fma_f64 v[33:34], -v[31:32], v[35:36], 1.0
	s_delay_alu instid0(VALU_DEP_1) | instskip(NEXT) | instid1(VALU_DEP_1)
	v_fma_f64 v[33:34], v[33:34], v[35:36], v[35:36]
	v_mul_f64 v[35:36], v[31:32], v[33:34]
	s_delay_alu instid0(VALU_DEP_1) | instskip(NEXT) | instid1(VALU_DEP_1)
	v_fma_f64 v[37:38], v[33:34], v[31:32], -v[35:36]
	v_fma_f64 v[37:38], v[33:34], v[29:30], v[37:38]
	s_delay_alu instid0(VALU_DEP_1) | instskip(NEXT) | instid1(VALU_DEP_1)
	v_add_f64 v[47:48], v[35:36], v[37:38]
	v_add_f64 v[35:36], v[47:48], -v[35:36]
	s_delay_alu instid0(VALU_DEP_1) | instskip(SKIP_1) | instid1(VALU_DEP_1)
	v_add_f64 v[35:36], v[35:36], -v[37:38]
	v_add_f64 v[37:38], -v[47:48], 1.0
	v_add_f64 v[49:50], -v[37:38], 1.0
	s_delay_alu instid0(VALU_DEP_1) | instskip(NEXT) | instid1(VALU_DEP_1)
	v_add_f64 v[47:48], v[49:50], -v[47:48]
	v_add_f64 v[35:36], v[35:36], v[47:48]
	s_delay_alu instid0(VALU_DEP_1) | instskip(NEXT) | instid1(VALU_DEP_1)
	v_add_f64 v[47:48], v[37:38], v[35:36]
	v_add_f64 v[37:38], v[37:38], -v[47:48]
	s_delay_alu instid0(VALU_DEP_1) | instskip(SKIP_1) | instid1(VALU_DEP_1)
	v_add_f64 v[35:36], v[35:36], v[37:38]
	v_mul_f64 v[37:38], v[33:34], v[47:48]
	v_mul_f64 v[49:50], v[31:32], v[37:38]
	s_delay_alu instid0(VALU_DEP_1) | instskip(NEXT) | instid1(VALU_DEP_1)
	v_fma_f64 v[51:52], v[37:38], v[31:32], -v[49:50]
	v_fma_f64 v[51:52], v[37:38], v[29:30], v[51:52]
	s_delay_alu instid0(VALU_DEP_1) | instskip(NEXT) | instid1(VALU_DEP_1)
	v_add_f64 v[53:54], v[49:50], v[51:52]
	v_add_f64 v[55:56], v[47:48], -v[53:54]
	v_add_f64 v[49:50], v[53:54], -v[49:50]
	s_delay_alu instid0(VALU_DEP_2) | instskip(NEXT) | instid1(VALU_DEP_2)
	v_add_f64 v[47:48], v[47:48], -v[55:56]
	v_add_f64 v[49:50], v[49:50], -v[51:52]
	s_delay_alu instid0(VALU_DEP_2) | instskip(NEXT) | instid1(VALU_DEP_1)
	v_add_f64 v[47:48], v[47:48], -v[53:54]
	v_add_f64 v[35:36], v[35:36], v[47:48]
	v_add_f64 v[47:48], v[33:34], v[37:38]
	s_delay_alu instid0(VALU_DEP_2) | instskip(NEXT) | instid1(VALU_DEP_2)
	v_add_f64 v[35:36], v[49:50], v[35:36]
	v_add_f64 v[49:50], v[47:48], -v[33:34]
	s_delay_alu instid0(VALU_DEP_2) | instskip(NEXT) | instid1(VALU_DEP_2)
	v_add_f64 v[35:36], v[55:56], v[35:36]
	v_add_f64 v[37:38], v[37:38], -v[49:50]
	s_delay_alu instid0(VALU_DEP_2) | instskip(NEXT) | instid1(VALU_DEP_1)
	v_mul_f64 v[33:34], v[33:34], v[35:36]
	v_add_f64 v[33:34], v[37:38], v[33:34]
	s_delay_alu instid0(VALU_DEP_1) | instskip(NEXT) | instid1(VALU_DEP_1)
	v_add_f64 v[35:36], v[47:48], v[33:34]
	v_add_f64 v[37:38], v[35:36], -v[47:48]
	v_ldexp_f64 v[35:36], v[35:36], -2
	s_delay_alu instid0(VALU_DEP_2) | instskip(NEXT) | instid1(VALU_DEP_2)
	v_add_f64 v[33:34], v[33:34], -v[37:38]
	v_add_f64 v[47:48], v[31:32], -v[35:36]
	s_delay_alu instid0(VALU_DEP_1) | instskip(NEXT) | instid1(VALU_DEP_1)
	v_add_f64 v[31:32], v[31:32], -v[47:48]
	v_add_f64 v[31:32], v[31:32], -v[35:36]
	s_delay_alu instid0(VALU_DEP_1) | instskip(SKIP_1) | instid1(VALU_DEP_1)
	v_add_f64 v[29:30], v[29:30], v[31:32]
	v_ldexp_f64 v[31:32], v[33:34], -2
	v_add_f64 v[29:30], v[29:30], -v[31:32]
	s_delay_alu instid0(VALU_DEP_1) | instskip(SKIP_1) | instid1(VALU_DEP_2)
	v_add_f64 v[29:30], v[47:48], v[29:30]
	v_and_b32_e32 v9, 0x7fffffff, v12
	v_cndmask_b32_e32 v12, 0x7ff00000, v30, vcc_lo
	s_delay_alu instid0(VALU_DEP_1) | instskip(NEXT) | instid1(VALU_DEP_1)
	v_cndmask_b32_e64 v9, v12, v9, s6
	v_bfi_b32 v12, 0x7fffffff, v9, v4
	v_cndmask_b32_e32 v4, 0, v29, vcc_lo
	s_delay_alu instid0(VALU_DEP_1) | instskip(SKIP_1) | instid1(VALU_DEP_2)
	v_cndmask_b32_e64 v11, v4, v11, s6
	v_cmp_eq_u32_e64 s6, 0, v3
	v_fma_f64 v[29:30], v[11:12], v[11:12], 1.0
	s_delay_alu instid0(VALU_DEP_1) | instskip(SKIP_2) | instid1(VALU_DEP_2)
	v_cmp_gt_f64_e32 vcc_lo, 0x10000000, v[29:30]
	v_cndmask_b32_e64 v4, 0, 1, vcc_lo
	v_cndmask_b32_e64 v3, 0, 0xffffff80, vcc_lo
	v_lshlrev_b32_e32 v4, 8, v4
	s_delay_alu instid0(VALU_DEP_1) | instskip(SKIP_2) | instid1(VALU_DEP_3)
	v_ldexp_f64 v[29:30], v[29:30], v4
	v_and_b32_e32 v4, 0x80000000, v10
	v_mul_f64 v[9:10], v[1:2], v[1:2]
	v_rsq_f64_e32 v[31:32], v[29:30]
	v_cmp_class_f64_e64 vcc_lo, v[29:30], 0x260
	s_waitcnt_depctr 0xfff
	v_mul_f64 v[33:34], v[29:30], v[31:32]
	v_mul_f64 v[31:32], v[31:32], 0.5
	s_delay_alu instid0(VALU_DEP_1) | instskip(NEXT) | instid1(VALU_DEP_1)
	v_fma_f64 v[35:36], -v[31:32], v[33:34], 0.5
	v_fma_f64 v[33:34], v[33:34], v[35:36], v[33:34]
	v_fma_f64 v[31:32], v[31:32], v[35:36], v[31:32]
	s_delay_alu instid0(VALU_DEP_2) | instskip(NEXT) | instid1(VALU_DEP_1)
	v_fma_f64 v[35:36], -v[33:34], v[33:34], v[29:30]
	v_fma_f64 v[33:34], v[35:36], v[31:32], v[33:34]
	s_delay_alu instid0(VALU_DEP_1) | instskip(NEXT) | instid1(VALU_DEP_1)
	v_fma_f64 v[35:36], -v[33:34], v[33:34], v[29:30]
	v_fma_f64 v[31:32], v[35:36], v[31:32], v[33:34]
	v_add_f64 v[33:34], v[27:28], v[27:28]
	v_fma_f64 v[35:36], v[1:2], v[1:2], -v[9:10]
	s_delay_alu instid0(VALU_DEP_1) | instskip(NEXT) | instid1(VALU_DEP_1)
	v_fma_f64 v[33:34], v[1:2], v[33:34], v[35:36]
	v_add_f64 v[9:10], v[9:10], v[33:34]
	s_delay_alu instid0(VALU_DEP_1)
	v_fma_f64 v[33:34], v[9:10], s[56:57], s[54:55]
	s_mov_b32 s54, 0x90a8aae0
	s_mov_b32 s55, 0x3f17746f
	s_delay_alu instid0(VALU_DEP_1) | instid1(SALU_CYCLE_1)
	v_fma_f64 v[33:34], v[9:10], v[33:34], s[54:55]
	s_mov_b32 s54, 0xa6fbf144
	s_mov_b32 s55, 0xbefbb44d
	s_delay_alu instid0(VALU_DEP_1) | instid1(SALU_CYCLE_1)
	v_fma_f64 v[33:34], v[9:10], v[33:34], s[54:55]
	s_mov_b32 s54, 0xa7943acf
	s_mov_b32 s55, 0x3f21e634
	s_delay_alu instid0(VALU_DEP_1) | instid1(SALU_CYCLE_1)
	v_fma_f64 v[33:34], v[9:10], v[33:34], s[54:55]
	s_mov_b32 s54, 0xdeb68feb
	s_mov_b32 s55, 0x3f2d250f
	s_delay_alu instid0(VALU_DEP_1) | instid1(SALU_CYCLE_1)
	v_fma_f64 v[33:34], v[9:10], v[33:34], s[54:55]
	s_mov_b32 s54, 0xb58c4d95
	s_mov_b32 s55, 0x3f437fd9
	s_delay_alu instid0(VALU_DEP_1) | instid1(SALU_CYCLE_1)
	v_fma_f64 v[33:34], v[9:10], v[33:34], s[54:55]
	s_mov_b32 s54, 0x15120e2c
	s_mov_b32 s55, 0x3f57d5af
	s_delay_alu instid0(VALU_DEP_1) | instid1(SALU_CYCLE_1)
	v_fma_f64 v[33:34], v[9:10], v[33:34], s[54:55]
	s_mov_b32 s54, 0xe09491df
	s_mov_b32 s55, 0x3f6d6d93
	s_delay_alu instid0(VALU_DEP_1) | instid1(SALU_CYCLE_1)
	v_fma_f64 v[33:34], v[9:10], v[33:34], s[54:55]
	s_mov_b32 s54, 0x2033784d
	s_mov_b32 s55, 0x3f8226e1
	s_delay_alu instid0(VALU_DEP_1) | instid1(SALU_CYCLE_1)
	v_fma_f64 v[33:34], v[9:10], v[33:34], s[54:55]
	s_mov_b32 s54, 0x9ac36ae2
	s_mov_b32 s55, 0x3f9664f4
	s_delay_alu instid0(VALU_DEP_1) | instid1(SALU_CYCLE_1)
	v_fma_f64 v[33:34], v[9:10], v[33:34], s[54:55]
	s_mov_b32 s54, 0x1b451c21
	s_mov_b32 s55, 0x3faba1ba
	s_delay_alu instid0(VALU_DEP_1) | instid1(SALU_CYCLE_1)
	v_fma_f64 v[33:34], v[9:10], v[33:34], s[54:55]
	s_delay_alu instid0(VALU_DEP_1) | instskip(NEXT) | instid1(VALU_DEP_1)
	v_fma_f64 v[33:34], v[9:10], v[33:34], s[58:59]
	v_fma_f64 v[33:34], v[9:10], v[33:34], s[60:61]
	s_delay_alu instid0(VALU_DEP_1) | instskip(NEXT) | instid1(VALU_DEP_1)
	v_mul_f64 v[9:10], v[9:10], v[33:34]
	v_mul_f64 v[33:34], v[1:2], v[9:10]
	s_delay_alu instid0(VALU_DEP_1) | instskip(NEXT) | instid1(VALU_DEP_1)
	v_fma_f64 v[9:10], v[1:2], v[9:10], -v[33:34]
	v_add_f64 v[9:10], v[27:28], v[9:10]
	v_add_f64 v[27:28], v[1:2], v[33:34]
	s_delay_alu instid0(VALU_DEP_1) | instskip(NEXT) | instid1(VALU_DEP_1)
	v_add_f64 v[1:2], v[27:28], -v[1:2]
	v_add_f64 v[1:2], v[33:34], -v[1:2]
	s_delay_alu instid0(VALU_DEP_1) | instskip(NEXT) | instid1(VALU_DEP_1)
	v_add_f64 v[1:2], v[9:10], v[1:2]
	v_add_f64 v[9:10], v[27:28], v[1:2]
	s_delay_alu instid0(VALU_DEP_1) | instskip(SKIP_1) | instid1(VALU_DEP_1)
	v_rcp_f64_e32 v[33:34], v[9:10]
	v_add_f64 v[27:28], v[9:10], -v[27:28]
	v_add_f64 v[1:2], v[1:2], -v[27:28]
	s_waitcnt_depctr 0xfff
	v_fma_f64 v[35:36], -v[9:10], v[33:34], 1.0
	s_delay_alu instid0(VALU_DEP_1) | instskip(NEXT) | instid1(VALU_DEP_1)
	v_fma_f64 v[33:34], v[35:36], v[33:34], v[33:34]
	v_fma_f64 v[35:36], -v[9:10], v[33:34], 1.0
	s_delay_alu instid0(VALU_DEP_1) | instskip(NEXT) | instid1(VALU_DEP_1)
	v_fma_f64 v[33:34], v[35:36], v[33:34], v[33:34]
	v_mul_f64 v[27:28], v[9:10], v[33:34]
	s_delay_alu instid0(VALU_DEP_1) | instskip(NEXT) | instid1(VALU_DEP_1)
	v_fma_f64 v[35:36], v[33:34], v[9:10], -v[27:28]
	v_fma_f64 v[1:2], v[33:34], v[1:2], v[35:36]
	s_delay_alu instid0(VALU_DEP_1) | instskip(NEXT) | instid1(VALU_DEP_1)
	v_add_f64 v[35:36], v[27:28], v[1:2]
	v_add_f64 v[27:28], v[35:36], -v[27:28]
	s_delay_alu instid0(VALU_DEP_1) | instskip(SKIP_1) | instid1(VALU_DEP_1)
	v_add_f64 v[1:2], v[27:28], -v[1:2]
	v_add_f64 v[27:28], -v[35:36], 1.0
	v_add_f64 v[37:38], -v[27:28], 1.0
	s_delay_alu instid0(VALU_DEP_1) | instskip(NEXT) | instid1(VALU_DEP_1)
	v_add_f64 v[35:36], v[37:38], -v[35:36]
	v_add_f64 v[1:2], v[1:2], v[35:36]
	s_delay_alu instid0(VALU_DEP_1) | instskip(NEXT) | instid1(VALU_DEP_1)
	v_add_f64 v[1:2], v[27:28], v[1:2]
	v_mul_f64 v[1:2], v[33:34], v[1:2]
	s_delay_alu instid0(VALU_DEP_1) | instskip(NEXT) | instid1(VALU_DEP_1)
	v_add_f64 v[1:2], v[33:34], v[1:2]
	v_xor_b32_e32 v2, 0x80000000, v2
	s_delay_alu instid0(VALU_DEP_2) | instskip(NEXT) | instid1(VALU_DEP_2)
	v_cndmask_b32_e64 v1, v1, v9, s6
	v_cndmask_b32_e64 v2, v2, v10, s6
	s_delay_alu instid0(VALU_DEP_1) | instskip(SKIP_1) | instid1(VALU_DEP_2)
	v_xor_b32_e32 v2, v2, v4
	v_ldexp_f64 v[3:4], v[31:32], v3
	v_fma_f64 v[9:10], v[1:2], v[1:2], 1.0
	s_delay_alu instid0(VALU_DEP_2) | instskip(NEXT) | instid1(VALU_DEP_2)
	v_dual_cndmask_b32 v3, v3, v29 :: v_dual_cndmask_b32 v4, v4, v30
	v_mul_f64 v[27:28], v[11:12], v[9:10]
	s_delay_alu instid0(VALU_DEP_2) | instskip(NEXT) | instid1(VALU_DEP_2)
	v_mul_f64 v[3:4], v[3:4], v[9:10]
	v_fma_f64 v[9:10], v[11:12], v[27:28], 1.0
	s_delay_alu instid0(VALU_DEP_2) | instskip(NEXT) | instid1(VALU_DEP_1)
	v_mul_f64 v[3:4], v[11:12], v[3:4]
	v_div_scale_f64 v[11:12], null, v[9:10], v[9:10], v[3:4]
	s_delay_alu instid0(VALU_DEP_1) | instskip(SKIP_2) | instid1(VALU_DEP_1)
	v_rcp_f64_e32 v[27:28], v[11:12]
	s_waitcnt_depctr 0xfff
	v_fma_f64 v[29:30], -v[11:12], v[27:28], 1.0
	v_fma_f64 v[27:28], v[27:28], v[29:30], v[27:28]
	s_delay_alu instid0(VALU_DEP_1) | instskip(NEXT) | instid1(VALU_DEP_1)
	v_fma_f64 v[29:30], -v[11:12], v[27:28], 1.0
	v_fma_f64 v[27:28], v[27:28], v[29:30], v[27:28]
	v_div_scale_f64 v[29:30], vcc_lo, v[3:4], v[9:10], v[3:4]
	s_delay_alu instid0(VALU_DEP_1) | instskip(NEXT) | instid1(VALU_DEP_1)
	v_mul_f64 v[31:32], v[29:30], v[27:28]
	v_fma_f64 v[11:12], -v[11:12], v[31:32], v[29:30]
	s_delay_alu instid0(VALU_DEP_1) | instskip(SKIP_1) | instid1(VALU_DEP_2)
	v_div_fmas_f64 v[11:12], v[11:12], v[27:28], v[31:32]
	v_div_scale_f64 v[27:28], null, v[9:10], v[9:10], v[1:2]
	v_div_fixup_f64 v[3:4], v[11:12], v[9:10], v[3:4]
	s_delay_alu instid0(VALU_DEP_2) | instskip(SKIP_2) | instid1(VALU_DEP_1)
	v_rcp_f64_e32 v[29:30], v[27:28]
	s_waitcnt_depctr 0xfff
	v_fma_f64 v[31:32], -v[27:28], v[29:30], 1.0
	v_fma_f64 v[29:30], v[29:30], v[31:32], v[29:30]
	s_delay_alu instid0(VALU_DEP_1) | instskip(NEXT) | instid1(VALU_DEP_1)
	v_fma_f64 v[31:32], -v[27:28], v[29:30], 1.0
	v_fma_f64 v[29:30], v[29:30], v[31:32], v[29:30]
	v_div_scale_f64 v[31:32], vcc_lo, v[1:2], v[9:10], v[1:2]
	s_delay_alu instid0(VALU_DEP_1) | instskip(NEXT) | instid1(VALU_DEP_1)
	v_mul_f64 v[33:34], v[31:32], v[29:30]
	v_fma_f64 v[27:28], -v[27:28], v[33:34], v[31:32]
	s_delay_alu instid0(VALU_DEP_1) | instskip(NEXT) | instid1(VALU_DEP_1)
	v_div_fmas_f64 v[27:28], v[27:28], v[29:30], v[33:34]
	v_div_fixup_f64 v[1:2], v[27:28], v[9:10], v[1:2]
                                        ; implicit-def: $vgpr9_vgpr10
.LBB100_20:                             ;   in Loop: Header=BB100_4 Depth=1
	s_and_not1_saveexec_b32 s63, s48
	s_cbranch_execz .LBB100_23
; %bb.21:                               ;   in Loop: Header=BB100_4 Depth=1
	v_cmp_ngt_f64_e64 s6, 0x41d00000, |v[9:10]|
                                        ; implicit-def: $vgpr3
                                        ; implicit-def: $vgpr1_vgpr2
                                        ; implicit-def: $vgpr27_vgpr28
	s_delay_alu instid0(VALU_DEP_1) | instskip(NEXT) | instid1(SALU_CYCLE_1)
	s_and_saveexec_b32 s18, s6
	s_xor_b32 s22, exec_lo, s18
	s_cbranch_execz .LBB100_24
; %bb.22:                               ;   in Loop: Header=BB100_4 Depth=1
	v_ldexp_f64 v[1:2], |v[9:10]|, 0xffffff80
	v_cmp_le_f64_e64 vcc_lo, 0x7b000000, |v[9:10]|
	v_trig_preop_f64 v[27:28], |v[9:10]|, 0
	v_and_b32_e32 v3, 0x7fffffff, v10
	v_trig_preop_f64 v[31:32], |v[9:10]|, 1
	v_trig_preop_f64 v[35:36], |v[9:10]|, 2
	s_mov_b32 s18, s20
	s_mov_b32 s25, s23
	v_dual_cndmask_b32 v2, v3, v2 :: v_dual_cndmask_b32 v1, v9, v1
	s_delay_alu instid0(VALU_DEP_1) | instskip(NEXT) | instid1(VALU_DEP_4)
	v_mul_f64 v[29:30], v[27:28], v[1:2]
	v_mul_f64 v[33:34], v[31:32], v[1:2]
	s_delay_alu instid0(VALU_DEP_4) | instskip(NEXT) | instid1(VALU_DEP_3)
	v_mul_f64 v[37:38], v[35:36], v[1:2]
	v_fma_f64 v[27:28], v[27:28], v[1:2], -v[29:30]
	s_delay_alu instid0(VALU_DEP_3) | instskip(NEXT) | instid1(VALU_DEP_3)
	v_fma_f64 v[31:32], v[31:32], v[1:2], -v[33:34]
	v_fma_f64 v[1:2], v[35:36], v[1:2], -v[37:38]
	s_delay_alu instid0(VALU_DEP_3) | instskip(NEXT) | instid1(VALU_DEP_1)
	v_add_f64 v[35:36], v[33:34], v[27:28]
	v_add_f64 v[47:48], v[35:36], -v[33:34]
	s_delay_alu instid0(VALU_DEP_1) | instskip(SKIP_1) | instid1(VALU_DEP_1)
	v_add_f64 v[27:28], v[27:28], -v[47:48]
	v_add_f64 v[47:48], v[35:36], -v[47:48]
	;; [unrolled: 1-line block ×3, first 2 shown]
	v_add_f64 v[47:48], v[29:30], v[35:36]
	s_delay_alu instid0(VALU_DEP_2) | instskip(NEXT) | instid1(VALU_DEP_2)
	v_add_f64 v[27:28], v[27:28], v[33:34]
	v_add_f64 v[29:30], v[47:48], -v[29:30]
	v_add_f64 v[33:34], v[37:38], v[31:32]
	v_ldexp_f64 v[47:48], v[47:48], -2
	s_delay_alu instid0(VALU_DEP_3) | instskip(NEXT) | instid1(VALU_DEP_3)
	v_add_f64 v[29:30], v[35:36], -v[29:30]
	v_add_f64 v[35:36], v[33:34], -v[37:38]
	s_delay_alu instid0(VALU_DEP_3) | instskip(SKIP_1) | instid1(VALU_DEP_3)
	v_cmp_neq_f64_e64 vcc_lo, 0x7ff00000, |v[47:48]|
	v_fract_f64_e32 v[47:48], v[47:48]
	v_add_f64 v[31:32], v[31:32], -v[35:36]
	v_add_f64 v[35:36], v[33:34], -v[35:36]
	s_delay_alu instid0(VALU_DEP_3) | instskip(NEXT) | instid1(VALU_DEP_2)
	v_dual_cndmask_b32 v48, 0, v48 :: v_dual_cndmask_b32 v47, 0, v47
	v_add_f64 v[35:36], v[37:38], -v[35:36]
	v_add_f64 v[37:38], v[33:34], v[27:28]
	s_delay_alu instid0(VALU_DEP_2) | instskip(NEXT) | instid1(VALU_DEP_2)
	v_add_f64 v[31:32], v[31:32], v[35:36]
	v_add_f64 v[49:50], v[37:38], -v[33:34]
	v_add_f64 v[35:36], v[29:30], v[37:38]
	s_delay_alu instid0(VALU_DEP_2) | instskip(SKIP_1) | instid1(VALU_DEP_3)
	v_add_f64 v[27:28], v[27:28], -v[49:50]
	v_add_f64 v[49:50], v[37:38], -v[49:50]
	;; [unrolled: 1-line block ×3, first 2 shown]
	s_delay_alu instid0(VALU_DEP_2) | instskip(NEXT) | instid1(VALU_DEP_2)
	v_add_f64 v[33:34], v[33:34], -v[49:50]
	v_add_f64 v[29:30], v[37:38], -v[29:30]
	s_delay_alu instid0(VALU_DEP_2) | instskip(SKIP_1) | instid1(VALU_DEP_2)
	v_add_f64 v[27:28], v[27:28], v[33:34]
	v_ldexp_f64 v[33:34], v[47:48], 2
	v_add_f64 v[27:28], v[31:32], v[27:28]
	s_delay_alu instid0(VALU_DEP_2) | instskip(NEXT) | instid1(VALU_DEP_2)
	v_add_f64 v[47:48], v[35:36], v[33:34]
	v_add_f64 v[1:2], v[1:2], v[27:28]
	s_delay_alu instid0(VALU_DEP_2) | instskip(NEXT) | instid1(VALU_DEP_2)
	v_cmp_gt_f64_e32 vcc_lo, 0, v[47:48]
	v_add_f64 v[1:2], v[29:30], v[1:2]
	v_cndmask_b32_e64 v22, 0, 0x40100000, vcc_lo
	s_delay_alu instid0(VALU_DEP_1) | instskip(NEXT) | instid1(VALU_DEP_1)
	v_add_f64 v[27:28], v[33:34], v[21:22]
	v_add_f64 v[31:32], v[35:36], v[27:28]
	s_delay_alu instid0(VALU_DEP_1) | instskip(NEXT) | instid1(VALU_DEP_1)
	v_cvt_i32_f64_e32 v3, v[31:32]
	v_cvt_f64_i32_e32 v[31:32], v3
	s_delay_alu instid0(VALU_DEP_1) | instskip(NEXT) | instid1(VALU_DEP_1)
	v_add_f64 v[27:28], v[27:28], -v[31:32]
	v_add_f64 v[29:30], v[35:36], v[27:28]
	s_delay_alu instid0(VALU_DEP_1) | instskip(SKIP_1) | instid1(VALU_DEP_2)
	v_add_f64 v[27:28], v[29:30], -v[27:28]
	v_cmp_le_f64_e32 vcc_lo, 0.5, v[29:30]
	v_add_f64 v[27:28], v[35:36], -v[27:28]
	v_cndmask_b32_e64 v22, 0, 0x3ff00000, vcc_lo
	v_add_co_ci_u32_e32 v3, vcc_lo, 0, v3, vcc_lo
	s_delay_alu instid0(VALU_DEP_2) | instskip(NEXT) | instid1(VALU_DEP_4)
	v_add_f64 v[29:30], v[29:30], -v[21:22]
	v_add_f64 v[1:2], v[1:2], v[27:28]
	s_delay_alu instid0(VALU_DEP_1) | instskip(NEXT) | instid1(VALU_DEP_1)
	v_add_f64 v[27:28], v[29:30], v[1:2]
	v_add_f64 v[29:30], v[27:28], -v[29:30]
	s_delay_alu instid0(VALU_DEP_1) | instskip(SKIP_1) | instid1(VALU_DEP_1)
	v_add_f64 v[1:2], v[1:2], -v[29:30]
	v_mul_f64 v[29:30], v[27:28], s[18:19]
	v_fma_f64 v[31:32], v[27:28], s[18:19], -v[29:30]
	s_delay_alu instid0(VALU_DEP_1) | instskip(NEXT) | instid1(VALU_DEP_1)
	v_fma_f64 v[27:28], v[27:28], s[24:25], v[31:32]
	v_fma_f64 v[27:28], v[1:2], s[18:19], v[27:28]
	s_delay_alu instid0(VALU_DEP_1) | instskip(NEXT) | instid1(VALU_DEP_1)
	v_add_f64 v[1:2], v[29:30], v[27:28]
	v_add_f64 v[29:30], v[1:2], -v[29:30]
	s_delay_alu instid0(VALU_DEP_1)
	v_add_f64 v[27:28], v[27:28], -v[29:30]
	s_and_not1_saveexec_b32 s18, s22
	s_cbranch_execz .LBB100_26
	s_branch .LBB100_25
.LBB100_23:                             ;   in Loop: Header=BB100_4 Depth=1
	s_or_b32 exec_lo, exec_lo, s63
                                        ; implicit-def: $vgpr9_vgpr10
	s_and_not1_saveexec_b32 s6, s53
	s_cbranch_execnz .LBB100_32
	s_branch .LBB100_33
.LBB100_24:                             ;   in Loop: Header=BB100_4 Depth=1
	s_and_not1_saveexec_b32 s18, s22
	s_cbranch_execz .LBB100_26
.LBB100_25:                             ;   in Loop: Header=BB100_4 Depth=1
	v_mul_f64 v[1:2], |v[9:10]|, s[26:27]
	s_mov_b32 s22, s28
	s_delay_alu instid0(VALU_DEP_1) | instskip(NEXT) | instid1(VALU_DEP_1)
	v_rndne_f64_e32 v[29:30], v[1:2]
	v_fma_f64 v[1:2], v[29:30], s[20:21], |v[9:10]|
	v_mul_f64 v[27:28], v[29:30], s[28:29]
	v_cvt_i32_f64_e32 v3, v[29:30]
	s_delay_alu instid0(VALU_DEP_3) | instskip(NEXT) | instid1(VALU_DEP_3)
	v_fma_f64 v[33:34], v[29:30], s[28:29], v[1:2]
	v_add_f64 v[31:32], v[1:2], v[27:28]
	s_delay_alu instid0(VALU_DEP_1) | instskip(NEXT) | instid1(VALU_DEP_3)
	v_add_f64 v[1:2], v[1:2], -v[31:32]
	v_add_f64 v[31:32], v[31:32], -v[33:34]
	s_delay_alu instid0(VALU_DEP_2) | instskip(SKIP_1) | instid1(VALU_DEP_2)
	v_add_f64 v[1:2], v[1:2], v[27:28]
	v_fma_f64 v[27:28], v[29:30], s[22:23], v[27:28]
	v_add_f64 v[1:2], v[31:32], v[1:2]
	s_delay_alu instid0(VALU_DEP_1) | instskip(NEXT) | instid1(VALU_DEP_1)
	v_add_f64 v[1:2], v[1:2], -v[27:28]
	v_fma_f64 v[27:28], v[29:30], s[30:31], v[1:2]
	s_delay_alu instid0(VALU_DEP_1) | instskip(NEXT) | instid1(VALU_DEP_1)
	v_add_f64 v[1:2], v[33:34], v[27:28]
	v_add_f64 v[31:32], v[1:2], -v[33:34]
	s_delay_alu instid0(VALU_DEP_1)
	v_add_f64 v[27:28], v[27:28], -v[31:32]
.LBB100_26:                             ;   in Loop: Header=BB100_4 Depth=1
	s_or_b32 exec_lo, exec_lo, s18
                                        ; implicit-def: $vgpr22
                                        ; implicit-def: $vgpr29_vgpr30
                                        ; implicit-def: $vgpr31_vgpr32
	s_and_saveexec_b32 s18, s6
	s_delay_alu instid0(SALU_CYCLE_1)
	s_xor_b32 s6, exec_lo, s18
	s_cbranch_execz .LBB100_28
; %bb.27:                               ;   in Loop: Header=BB100_4 Depth=1
	v_ldexp_f64 v[29:30], |v[9:10]|, 0xffffff80
	v_cmp_le_f64_e64 vcc_lo, 0x7b000000, |v[9:10]|
	v_trig_preop_f64 v[31:32], |v[9:10]|, 0
	v_and_b32_e32 v22, 0x7fffffff, v10
	v_trig_preop_f64 v[35:36], |v[9:10]|, 1
	v_trig_preop_f64 v[47:48], |v[9:10]|, 2
	s_mov_b32 s18, s20
	s_mov_b32 s25, s23
	v_dual_cndmask_b32 v29, v9, v29 :: v_dual_cndmask_b32 v30, v22, v30
	s_delay_alu instid0(VALU_DEP_1) | instskip(NEXT) | instid1(VALU_DEP_4)
	v_mul_f64 v[33:34], v[31:32], v[29:30]
	v_mul_f64 v[37:38], v[35:36], v[29:30]
	s_delay_alu instid0(VALU_DEP_4) | instskip(NEXT) | instid1(VALU_DEP_3)
	v_mul_f64 v[49:50], v[47:48], v[29:30]
	v_fma_f64 v[31:32], v[31:32], v[29:30], -v[33:34]
	s_delay_alu instid0(VALU_DEP_3) | instskip(NEXT) | instid1(VALU_DEP_3)
	v_fma_f64 v[35:36], v[35:36], v[29:30], -v[37:38]
	v_fma_f64 v[29:30], v[47:48], v[29:30], -v[49:50]
	s_delay_alu instid0(VALU_DEP_3) | instskip(NEXT) | instid1(VALU_DEP_1)
	v_add_f64 v[47:48], v[37:38], v[31:32]
	v_add_f64 v[51:52], v[47:48], -v[37:38]
	s_delay_alu instid0(VALU_DEP_1) | instskip(SKIP_1) | instid1(VALU_DEP_1)
	v_add_f64 v[31:32], v[31:32], -v[51:52]
	v_add_f64 v[51:52], v[47:48], -v[51:52]
	v_add_f64 v[37:38], v[37:38], -v[51:52]
	v_add_f64 v[51:52], v[33:34], v[47:48]
	s_delay_alu instid0(VALU_DEP_2) | instskip(NEXT) | instid1(VALU_DEP_2)
	v_add_f64 v[31:32], v[31:32], v[37:38]
	v_add_f64 v[33:34], v[51:52], -v[33:34]
	v_add_f64 v[37:38], v[49:50], v[35:36]
	v_ldexp_f64 v[51:52], v[51:52], -2
	s_delay_alu instid0(VALU_DEP_3) | instskip(NEXT) | instid1(VALU_DEP_3)
	v_add_f64 v[33:34], v[47:48], -v[33:34]
	v_add_f64 v[47:48], v[37:38], -v[49:50]
	s_delay_alu instid0(VALU_DEP_3) | instskip(SKIP_1) | instid1(VALU_DEP_3)
	v_cmp_neq_f64_e64 vcc_lo, 0x7ff00000, |v[51:52]|
	v_fract_f64_e32 v[51:52], v[51:52]
	v_add_f64 v[35:36], v[35:36], -v[47:48]
	v_add_f64 v[47:48], v[37:38], -v[47:48]
	s_delay_alu instid0(VALU_DEP_3) | instskip(NEXT) | instid1(VALU_DEP_2)
	v_dual_cndmask_b32 v51, 0, v51 :: v_dual_cndmask_b32 v52, 0, v52
	v_add_f64 v[47:48], v[49:50], -v[47:48]
	v_add_f64 v[49:50], v[37:38], v[31:32]
	s_delay_alu instid0(VALU_DEP_2) | instskip(NEXT) | instid1(VALU_DEP_2)
	v_add_f64 v[35:36], v[35:36], v[47:48]
	v_add_f64 v[53:54], v[49:50], -v[37:38]
	v_add_f64 v[47:48], v[33:34], v[49:50]
	s_delay_alu instid0(VALU_DEP_2) | instskip(SKIP_1) | instid1(VALU_DEP_3)
	v_add_f64 v[31:32], v[31:32], -v[53:54]
	v_add_f64 v[53:54], v[49:50], -v[53:54]
	;; [unrolled: 1-line block ×3, first 2 shown]
	s_delay_alu instid0(VALU_DEP_2) | instskip(NEXT) | instid1(VALU_DEP_2)
	v_add_f64 v[37:38], v[37:38], -v[53:54]
	v_add_f64 v[33:34], v[49:50], -v[33:34]
	s_delay_alu instid0(VALU_DEP_2) | instskip(SKIP_1) | instid1(VALU_DEP_2)
	v_add_f64 v[31:32], v[31:32], v[37:38]
	v_ldexp_f64 v[37:38], v[51:52], 2
	v_add_f64 v[31:32], v[35:36], v[31:32]
	s_delay_alu instid0(VALU_DEP_2) | instskip(NEXT) | instid1(VALU_DEP_2)
	v_add_f64 v[51:52], v[47:48], v[37:38]
	v_add_f64 v[29:30], v[29:30], v[31:32]
	s_delay_alu instid0(VALU_DEP_2) | instskip(NEXT) | instid1(VALU_DEP_2)
	v_cmp_gt_f64_e32 vcc_lo, 0, v[51:52]
	v_add_f64 v[29:30], v[33:34], v[29:30]
	v_cndmask_b32_e64 v22, 0, 0x40100000, vcc_lo
	s_delay_alu instid0(VALU_DEP_1) | instskip(NEXT) | instid1(VALU_DEP_1)
	v_add_f64 v[31:32], v[37:38], v[21:22]
	v_add_f64 v[35:36], v[47:48], v[31:32]
	s_delay_alu instid0(VALU_DEP_1) | instskip(NEXT) | instid1(VALU_DEP_1)
	v_cvt_i32_f64_e32 v37, v[35:36]
	v_cvt_f64_i32_e32 v[35:36], v37
	s_delay_alu instid0(VALU_DEP_1) | instskip(NEXT) | instid1(VALU_DEP_1)
	v_add_f64 v[31:32], v[31:32], -v[35:36]
	v_add_f64 v[33:34], v[47:48], v[31:32]
	s_delay_alu instid0(VALU_DEP_1) | instskip(SKIP_1) | instid1(VALU_DEP_2)
	v_add_f64 v[31:32], v[33:34], -v[31:32]
	v_cmp_le_f64_e32 vcc_lo, 0.5, v[33:34]
	v_add_f64 v[31:32], v[47:48], -v[31:32]
	v_cndmask_b32_e64 v22, 0, 0x3ff00000, vcc_lo
	s_delay_alu instid0(VALU_DEP_1) | instskip(SKIP_1) | instid1(VALU_DEP_4)
	v_add_f64 v[33:34], v[33:34], -v[21:22]
	v_add_co_ci_u32_e32 v22, vcc_lo, 0, v37, vcc_lo
	v_add_f64 v[29:30], v[29:30], v[31:32]
	s_delay_alu instid0(VALU_DEP_1) | instskip(NEXT) | instid1(VALU_DEP_1)
	v_add_f64 v[31:32], v[33:34], v[29:30]
	v_add_f64 v[33:34], v[31:32], -v[33:34]
	s_delay_alu instid0(VALU_DEP_1) | instskip(SKIP_1) | instid1(VALU_DEP_1)
	v_add_f64 v[29:30], v[29:30], -v[33:34]
	v_mul_f64 v[33:34], v[31:32], s[18:19]
	v_fma_f64 v[35:36], v[31:32], s[18:19], -v[33:34]
	s_delay_alu instid0(VALU_DEP_1) | instskip(NEXT) | instid1(VALU_DEP_1)
	v_fma_f64 v[31:32], v[31:32], s[24:25], v[35:36]
	v_fma_f64 v[31:32], v[29:30], s[18:19], v[31:32]
	s_delay_alu instid0(VALU_DEP_1) | instskip(NEXT) | instid1(VALU_DEP_1)
	v_add_f64 v[29:30], v[33:34], v[31:32]
	v_add_f64 v[33:34], v[29:30], -v[33:34]
	s_delay_alu instid0(VALU_DEP_1)
	v_add_f64 v[31:32], v[31:32], -v[33:34]
	s_and_not1_saveexec_b32 s6, s6
	s_cbranch_execnz .LBB100_29
	s_branch .LBB100_30
.LBB100_28:                             ;   in Loop: Header=BB100_4 Depth=1
	s_and_not1_saveexec_b32 s6, s6
	s_cbranch_execz .LBB100_30
.LBB100_29:                             ;   in Loop: Header=BB100_4 Depth=1
	v_mul_f64 v[29:30], |v[9:10]|, s[26:27]
	s_mov_b32 s22, s28
	s_delay_alu instid0(VALU_DEP_1) | instskip(NEXT) | instid1(VALU_DEP_1)
	v_rndne_f64_e32 v[33:34], v[29:30]
	v_fma_f64 v[29:30], v[33:34], s[20:21], |v[9:10]|
	v_mul_f64 v[31:32], v[33:34], s[28:29]
	v_cvt_i32_f64_e32 v22, v[33:34]
	s_delay_alu instid0(VALU_DEP_3) | instskip(NEXT) | instid1(VALU_DEP_3)
	v_fma_f64 v[37:38], v[33:34], s[28:29], v[29:30]
	v_add_f64 v[35:36], v[29:30], v[31:32]
	s_delay_alu instid0(VALU_DEP_1) | instskip(NEXT) | instid1(VALU_DEP_3)
	v_add_f64 v[29:30], v[29:30], -v[35:36]
	v_add_f64 v[35:36], v[35:36], -v[37:38]
	s_delay_alu instid0(VALU_DEP_2) | instskip(SKIP_1) | instid1(VALU_DEP_2)
	v_add_f64 v[29:30], v[29:30], v[31:32]
	v_fma_f64 v[31:32], v[33:34], s[22:23], v[31:32]
	v_add_f64 v[29:30], v[35:36], v[29:30]
	s_delay_alu instid0(VALU_DEP_1) | instskip(NEXT) | instid1(VALU_DEP_1)
	v_add_f64 v[29:30], v[29:30], -v[31:32]
	v_fma_f64 v[31:32], v[33:34], s[30:31], v[29:30]
	s_delay_alu instid0(VALU_DEP_1) | instskip(NEXT) | instid1(VALU_DEP_1)
	v_add_f64 v[29:30], v[37:38], v[31:32]
	v_add_f64 v[35:36], v[29:30], -v[37:38]
	s_delay_alu instid0(VALU_DEP_1)
	v_add_f64 v[31:32], v[31:32], -v[35:36]
.LBB100_30:                             ;   in Loop: Header=BB100_4 Depth=1
	s_or_b32 exec_lo, exec_lo, s6
	s_delay_alu instid0(VALU_DEP_2) | instskip(NEXT) | instid1(VALU_DEP_2)
	v_mul_f64 v[33:34], v[1:2], v[1:2]
	v_mul_f64 v[49:50], v[27:28], 0.5
	s_delay_alu instid0(VALU_DEP_3)
	v_mul_f64 v[55:56], v[31:32], 0.5
	s_mov_b32 s48, s50
	v_cmp_nlt_f64_e64 vcc_lo, 0x4090cc00, |v[11:12]|
	v_lshlrev_b32_e32 v9, 30, v3
	v_and_b32_e32 v3, 1, v3
	s_mov_b32 s89, s47
	s_mov_b32 s91, s51
	s_delay_alu instid0(VALU_DEP_1) | instskip(SKIP_2) | instid1(VALU_DEP_2)
	v_cmp_eq_u32_e64 s6, 0, v3
	v_mul_f64 v[35:36], v[33:34], 0.5
	v_mul_f64 v[51:52], v[1:2], -v[33:34]
	v_add_f64 v[37:38], -v[35:36], 1.0
	s_delay_alu instid0(VALU_DEP_1) | instskip(NEXT) | instid1(VALU_DEP_1)
	v_add_f64 v[47:48], -v[37:38], 1.0
	v_add_f64 v[35:36], v[47:48], -v[35:36]
	v_fma_f64 v[47:48], v[33:34], s[38:39], s[36:37]
	s_delay_alu instid0(VALU_DEP_2) | instskip(NEXT) | instid1(VALU_DEP_2)
	v_fma_f64 v[35:36], v[1:2], -v[27:28], v[35:36]
	v_fma_f64 v[47:48], v[33:34], v[47:48], s[40:41]
	s_delay_alu instid0(VALU_DEP_1) | instskip(NEXT) | instid1(VALU_DEP_1)
	v_fma_f64 v[47:48], v[33:34], v[47:48], s[42:43]
	v_fma_f64 v[47:48], v[33:34], v[47:48], s[46:47]
	s_delay_alu instid0(VALU_DEP_1) | instskip(NEXT) | instid1(VALU_DEP_1)
	v_fma_f64 v[47:48], v[51:52], v[47:48], v[49:50]
	v_fma_f64 v[27:28], v[33:34], v[47:48], -v[27:28]
	v_fma_f64 v[47:48], v[33:34], s[100:101], s[98:99]
	s_delay_alu instid0(VALU_DEP_2) | instskip(NEXT) | instid1(VALU_DEP_2)
	v_fma_f64 v[27:28], v[51:52], s[48:49], v[27:28]
	v_fma_f64 v[47:48], v[33:34], v[47:48], s[102:103]
	s_delay_alu instid0(VALU_DEP_2) | instskip(NEXT) | instid1(VALU_DEP_2)
	v_add_f64 v[1:2], v[1:2], -v[27:28]
	v_fma_f64 v[47:48], v[33:34], v[47:48], s[10:11]
	s_delay_alu instid0(VALU_DEP_1) | instskip(NEXT) | instid1(VALU_DEP_1)
	v_fma_f64 v[47:48], v[33:34], v[47:48], s[34:35]
	v_fma_f64 v[47:48], v[33:34], v[47:48], s[50:51]
	v_mul_f64 v[33:34], v[33:34], v[33:34]
	s_delay_alu instid0(VALU_DEP_1) | instskip(SKIP_1) | instid1(VALU_DEP_2)
	v_fma_f64 v[33:34], v[33:34], v[47:48], v[35:36]
	v_mul_f64 v[35:36], v[29:30], v[29:30]
	v_add_f64 v[33:34], v[37:38], v[33:34]
	s_delay_alu instid0(VALU_DEP_2) | instskip(SKIP_1) | instid1(VALU_DEP_3)
	v_mul_f64 v[47:48], v[35:36], 0.5
	v_mul_f64 v[57:58], v[29:30], -v[35:36]
	v_cndmask_b32_e64 v2, v34, v2, s6
	s_delay_alu instid0(VALU_DEP_3) | instskip(SKIP_1) | instid1(VALU_DEP_2)
	v_add_f64 v[49:50], -v[47:48], 1.0
	v_cndmask_b32_e64 v1, v33, v1, s6
	v_add_f64 v[53:54], -v[49:50], 1.0
	s_delay_alu instid0(VALU_DEP_1) | instskip(SKIP_1) | instid1(VALU_DEP_2)
	v_add_f64 v[47:48], v[53:54], -v[47:48]
	v_fma_f64 v[53:54], v[35:36], s[38:39], s[36:37]
	v_fma_f64 v[47:48], v[29:30], -v[31:32], v[47:48]
	s_delay_alu instid0(VALU_DEP_2) | instskip(NEXT) | instid1(VALU_DEP_1)
	v_fma_f64 v[53:54], v[35:36], v[53:54], s[40:41]
	v_fma_f64 v[53:54], v[35:36], v[53:54], s[42:43]
	s_delay_alu instid0(VALU_DEP_1) | instskip(NEXT) | instid1(VALU_DEP_1)
	v_fma_f64 v[53:54], v[35:36], v[53:54], s[46:47]
	v_fma_f64 v[53:54], v[57:58], v[53:54], v[55:56]
	s_delay_alu instid0(VALU_DEP_1) | instskip(SKIP_1) | instid1(VALU_DEP_2)
	v_fma_f64 v[31:32], v[35:36], v[53:54], -v[31:32]
	v_fma_f64 v[53:54], v[35:36], s[100:101], s[98:99]
	v_fma_f64 v[31:32], v[57:58], s[48:49], v[31:32]
	s_delay_alu instid0(VALU_DEP_2) | instskip(NEXT) | instid1(VALU_DEP_2)
	v_fma_f64 v[53:54], v[35:36], v[53:54], s[102:103]
	v_add_f64 v[27:28], v[29:30], -v[31:32]
	s_delay_alu instid0(VALU_DEP_2) | instskip(SKIP_2) | instid1(VALU_DEP_1)
	v_fma_f64 v[53:54], v[35:36], v[53:54], s[10:11]
	v_mul_f64 v[29:30], |v[11:12]|, s[70:71]
	v_xor_b32_e32 v31, v9, v10
	v_and_b32_e32 v3, 0x80000000, v31
	s_delay_alu instid0(VALU_DEP_1) | instskip(SKIP_1) | instid1(VALU_DEP_2)
	v_xor_b32_e32 v2, v2, v3
	v_and_b32_e32 v3, 1, v22
	v_mul_f64 v[1:2], v[1:2], 4.0
	s_delay_alu instid0(VALU_DEP_2) | instskip(SKIP_3) | instid1(VALU_DEP_2)
	v_cmp_eq_u32_e64 s6, 0, v3
	v_xor_b32_e32 v3, 0x80000000, v28
	v_fma_f64 v[53:54], v[35:36], v[53:54], s[34:35]
	v_rndne_f64_e32 v[29:30], v[29:30]
	v_fma_f64 v[53:54], v[35:36], v[53:54], s[50:51]
	v_mul_f64 v[35:36], v[35:36], v[35:36]
	s_delay_alu instid0(VALU_DEP_3) | instskip(SKIP_1) | instid1(VALU_DEP_3)
	v_fma_f64 v[9:10], v[29:30], s[44:45], -|v[11:12]|
	v_lshlrev_b32_e32 v12, 30, v22
	v_fma_f64 v[35:36], v[35:36], v[53:54], v[47:48]
	s_delay_alu instid0(VALU_DEP_3) | instskip(NEXT) | instid1(VALU_DEP_2)
	v_fma_f64 v[9:10], v[29:30], s[66:67], v[9:10]
	v_add_f64 v[35:36], v[49:50], v[35:36]
	s_delay_alu instid0(VALU_DEP_1) | instskip(NEXT) | instid1(VALU_DEP_3)
	v_cndmask_b32_e64 v11, v27, v35, s6
	v_fma_f64 v[27:28], v[9:10], s[78:79], s[76:77]
	s_delay_alu instid0(VALU_DEP_3) | instskip(SKIP_1) | instid1(SALU_CYCLE_1)
	v_cndmask_b32_e64 v3, v3, v36, s6
	s_mov_b32 s6, 0x3ff00000
	v_bfi_b32 v22, 0x7fffffff, s6, v4
	v_and_b32_e32 v12, 0x80000000, v12
	s_delay_alu instid0(VALU_DEP_1) | instskip(SKIP_1) | instid1(VALU_DEP_2)
	v_xor_b32_e32 v12, v3, v12
	v_cvt_i32_f64_e32 v3, v[29:30]
	v_mul_f64 v[1:2], v[1:2], v[11:12]
	v_fma_f64 v[27:28], v[9:10], v[27:28], s[80:81]
	s_delay_alu instid0(VALU_DEP_1) | instskip(NEXT) | instid1(VALU_DEP_1)
	v_fma_f64 v[27:28], v[9:10], v[27:28], s[82:83]
	v_fma_f64 v[27:28], v[9:10], v[27:28], s[84:85]
	s_delay_alu instid0(VALU_DEP_1) | instskip(NEXT) | instid1(VALU_DEP_1)
	v_fma_f64 v[27:28], v[9:10], v[27:28], s[86:87]
	;; [unrolled: 3-line block ×4, first 2 shown]
	v_fma_f64 v[27:28], v[9:10], v[27:28], 1.0
	s_delay_alu instid0(VALU_DEP_1) | instskip(NEXT) | instid1(VALU_DEP_1)
	v_fma_f64 v[9:10], v[9:10], v[27:28], 1.0
	v_ldexp_f64 v[9:10], v[9:10], v3
	v_dual_mov_b32 v3, v21 :: v_dual_mov_b32 v4, v22
	s_delay_alu instid0(VALU_DEP_2) | instskip(NEXT) | instid1(VALU_DEP_1)
	v_dual_cndmask_b32 v10, 0, v10 :: v_dual_cndmask_b32 v9, 0, v9
	v_mul_f64 v[1:2], v[9:10], v[1:2]
	s_delay_alu instid0(VALU_DEP_1)
	v_mul_f64 v[1:2], v[9:10], v[1:2]
	s_or_b32 exec_lo, exec_lo, s63
                                        ; implicit-def: $vgpr9_vgpr10
.LBB100_31:                             ;   in Loop: Header=BB100_4 Depth=1
	s_and_not1_saveexec_b32 s6, s53
.LBB100_32:                             ;   in Loop: Header=BB100_4 Depth=1
	v_add_f64 v[1:2], v[9:10], -v[9:10]
	s_delay_alu instid0(VALU_DEP_1)
	v_dual_mov_b32 v4, v2 :: v_dual_mov_b32 v3, v1
.LBB100_33:                             ;   in Loop: Header=BB100_4 Depth=1
	s_or_b32 exec_lo, exec_lo, s6
                                        ; implicit-def: $vgpr9_vgpr10
.LBB100_34:                             ;   in Loop: Header=BB100_4 Depth=1
	s_and_not1_saveexec_b32 s53, s7
	s_cbranch_execz .LBB100_50
; %bb.35:                               ;   in Loop: Header=BB100_4 Depth=1
	s_delay_alu instid0(VALU_DEP_1) | instskip(SKIP_1) | instid1(VALU_DEP_1)
	v_and_or_b32 v1, 0xfffff, v4, v3
	s_mov_b32 s6, exec_lo
	v_cmpx_ne_u32_e32 0, v1
	s_xor_b32 s6, exec_lo, s6
; %bb.36:                               ;   in Loop: Header=BB100_4 Depth=1
	v_mul_f64 v[1:2], v[9:10], -v[11:12]
	v_cmp_eq_f64_e32 vcc_lo, 0, v[9:10]
	s_delay_alu instid0(VALU_DEP_2)
	v_dual_cndmask_b32 v2, v2, v10 :: v_dual_cndmask_b32 v1, v1, v9
                                        ; implicit-def: $vgpr9_vgpr10
; %bb.37:                               ;   in Loop: Header=BB100_4 Depth=1
	s_and_not1_saveexec_b32 s63, s6
	s_cbranch_execz .LBB100_49
; %bb.38:                               ;   in Loop: Header=BB100_4 Depth=1
	s_mov_b32 s64, exec_lo
	v_cmpx_neq_f64_e64 0x7ff00000, |v[9:10]|
	s_cbranch_execz .LBB100_48
; %bb.39:                               ;   in Loop: Header=BB100_4 Depth=1
	v_cmp_ngt_f64_e64 s6, 0x41d00000, |v[9:10]|
	v_trig_preop_f64 v[31:32], |v[9:10]|, 0
	v_trig_preop_f64 v[29:30], |v[9:10]|, 1
	v_ldexp_f64 v[33:34], |v[9:10]|, 0xffffff80
	v_trig_preop_f64 v[27:28], |v[9:10]|, 2
	v_and_b32_e32 v48, 0x7fffffff, v10
                                        ; implicit-def: $vgpr47
                                        ; implicit-def: $vgpr1_vgpr2
                                        ; implicit-def: $vgpr11_vgpr12
	s_and_saveexec_b32 s7, s6
	s_delay_alu instid0(SALU_CYCLE_1)
	s_xor_b32 s7, exec_lo, s7
	s_cbranch_execz .LBB100_41
; %bb.40:                               ;   in Loop: Header=BB100_4 Depth=1
	v_cmp_le_f64_e64 vcc_lo, 0x7b000000, |v[9:10]|
	s_mov_b32 s18, s20
	s_mov_b32 s25, s23
	s_delay_alu instid0(VALU_DEP_4) | instskip(NEXT) | instid1(VALU_DEP_1)
	v_dual_cndmask_b32 v2, v48, v34 :: v_dual_cndmask_b32 v1, v9, v33
	v_mul_f64 v[11:12], v[31:32], v[1:2]
	v_mul_f64 v[35:36], v[29:30], v[1:2]
	s_delay_alu instid0(VALU_DEP_2) | instskip(NEXT) | instid1(VALU_DEP_1)
	v_fma_f64 v[37:38], v[31:32], v[1:2], -v[11:12]
	v_add_f64 v[49:50], v[35:36], v[37:38]
	s_delay_alu instid0(VALU_DEP_1) | instskip(SKIP_1) | instid1(VALU_DEP_2)
	v_add_f64 v[51:52], v[49:50], -v[35:36]
	v_add_f64 v[53:54], v[11:12], v[49:50]
	v_add_f64 v[37:38], v[37:38], -v[51:52]
	s_delay_alu instid0(VALU_DEP_2) | instskip(SKIP_1) | instid1(VALU_DEP_2)
	v_add_f64 v[11:12], v[53:54], -v[11:12]
	v_add_f64 v[51:52], v[49:50], -v[51:52]
	;; [unrolled: 1-line block ×3, first 2 shown]
	s_delay_alu instid0(VALU_DEP_2) | instskip(SKIP_2) | instid1(VALU_DEP_3)
	v_add_f64 v[49:50], v[35:36], -v[51:52]
	v_fma_f64 v[35:36], v[29:30], v[1:2], -v[35:36]
	v_mul_f64 v[51:52], v[27:28], v[1:2]
	v_add_f64 v[37:38], v[37:38], v[49:50]
	v_ldexp_f64 v[49:50], v[53:54], -2
	s_delay_alu instid0(VALU_DEP_3) | instskip(SKIP_1) | instid1(VALU_DEP_3)
	v_add_f64 v[53:54], v[51:52], v[35:36]
	v_fma_f64 v[1:2], v[27:28], v[1:2], -v[51:52]
	v_cmp_neq_f64_e64 vcc_lo, 0x7ff00000, |v[49:50]|
	s_delay_alu instid0(VALU_DEP_3) | instskip(SKIP_2) | instid1(VALU_DEP_3)
	v_add_f64 v[57:58], v[53:54], v[37:38]
	v_add_f64 v[55:56], v[53:54], -v[51:52]
	v_fract_f64_e32 v[49:50], v[49:50]
	v_add_f64 v[59:60], v[57:58], -v[53:54]
	s_delay_alu instid0(VALU_DEP_3) | instskip(SKIP_1) | instid1(VALU_DEP_4)
	v_add_f64 v[35:36], v[35:36], -v[55:56]
	v_add_f64 v[55:56], v[53:54], -v[55:56]
	v_dual_cndmask_b32 v50, 0, v50 :: v_dual_cndmask_b32 v49, 0, v49
	s_delay_alu instid0(VALU_DEP_1) | instskip(SKIP_4) | instid1(VALU_DEP_3)
	v_ldexp_f64 v[49:50], v[49:50], 2
	v_add_f64 v[37:38], v[37:38], -v[59:60]
	v_add_f64 v[59:60], v[57:58], -v[59:60]
	;; [unrolled: 1-line block ×3, first 2 shown]
	v_add_f64 v[51:52], v[11:12], v[57:58]
	v_add_f64 v[53:54], v[53:54], -v[59:60]
	s_delay_alu instid0(VALU_DEP_3) | instskip(NEXT) | instid1(VALU_DEP_3)
	v_add_f64 v[35:36], v[35:36], v[55:56]
	v_add_f64 v[11:12], v[51:52], -v[11:12]
	s_delay_alu instid0(VALU_DEP_3) | instskip(SKIP_1) | instid1(VALU_DEP_3)
	v_add_f64 v[37:38], v[37:38], v[53:54]
	v_add_f64 v[53:54], v[51:52], v[49:50]
	v_add_f64 v[11:12], v[57:58], -v[11:12]
	s_delay_alu instid0(VALU_DEP_3) | instskip(NEXT) | instid1(VALU_DEP_3)
	v_add_f64 v[35:36], v[35:36], v[37:38]
	v_cmp_gt_f64_e32 vcc_lo, 0, v[53:54]
	s_delay_alu instid0(VALU_DEP_2) | instskip(SKIP_1) | instid1(VALU_DEP_1)
	v_add_f64 v[1:2], v[1:2], v[35:36]
	v_cndmask_b32_e64 v22, 0, 0x40100000, vcc_lo
	v_add_f64 v[35:36], v[49:50], v[21:22]
	s_delay_alu instid0(VALU_DEP_3) | instskip(NEXT) | instid1(VALU_DEP_2)
	v_add_f64 v[1:2], v[11:12], v[1:2]
	v_add_f64 v[37:38], v[51:52], v[35:36]
	s_delay_alu instid0(VALU_DEP_1) | instskip(NEXT) | instid1(VALU_DEP_1)
	v_cvt_i32_f64_e32 v47, v[37:38]
	v_cvt_f64_i32_e32 v[37:38], v47
	s_delay_alu instid0(VALU_DEP_1) | instskip(NEXT) | instid1(VALU_DEP_1)
	v_add_f64 v[35:36], v[35:36], -v[37:38]
	v_add_f64 v[11:12], v[51:52], v[35:36]
	s_delay_alu instid0(VALU_DEP_1) | instskip(SKIP_1) | instid1(VALU_DEP_2)
	v_add_f64 v[35:36], v[11:12], -v[35:36]
	v_cmp_le_f64_e32 vcc_lo, 0.5, v[11:12]
	v_add_f64 v[35:36], v[51:52], -v[35:36]
	v_cndmask_b32_e64 v22, 0, 0x3ff00000, vcc_lo
	v_add_co_ci_u32_e32 v47, vcc_lo, 0, v47, vcc_lo
	s_delay_alu instid0(VALU_DEP_2) | instskip(NEXT) | instid1(VALU_DEP_4)
	v_add_f64 v[11:12], v[11:12], -v[21:22]
	v_add_f64 v[1:2], v[1:2], v[35:36]
	s_delay_alu instid0(VALU_DEP_1) | instskip(NEXT) | instid1(VALU_DEP_1)
	v_add_f64 v[35:36], v[11:12], v[1:2]
	v_add_f64 v[11:12], v[35:36], -v[11:12]
	s_delay_alu instid0(VALU_DEP_1) | instskip(SKIP_1) | instid1(VALU_DEP_1)
	v_add_f64 v[1:2], v[1:2], -v[11:12]
	v_mul_f64 v[11:12], v[35:36], s[18:19]
	v_fma_f64 v[37:38], v[35:36], s[18:19], -v[11:12]
	s_delay_alu instid0(VALU_DEP_1) | instskip(NEXT) | instid1(VALU_DEP_1)
	v_fma_f64 v[35:36], v[35:36], s[24:25], v[37:38]
	v_fma_f64 v[35:36], v[1:2], s[18:19], v[35:36]
	s_delay_alu instid0(VALU_DEP_1) | instskip(NEXT) | instid1(VALU_DEP_1)
	v_add_f64 v[1:2], v[11:12], v[35:36]
	v_add_f64 v[11:12], v[1:2], -v[11:12]
	s_delay_alu instid0(VALU_DEP_1)
	v_add_f64 v[11:12], v[35:36], -v[11:12]
	s_and_not1_saveexec_b32 s7, s7
	s_cbranch_execz .LBB100_43
	s_branch .LBB100_42
.LBB100_41:                             ;   in Loop: Header=BB100_4 Depth=1
	s_and_not1_saveexec_b32 s7, s7
	s_cbranch_execz .LBB100_43
.LBB100_42:                             ;   in Loop: Header=BB100_4 Depth=1
	v_mul_f64 v[1:2], |v[9:10]|, s[26:27]
	s_mov_b32 s22, s28
	s_delay_alu instid0(VALU_DEP_1) | instskip(NEXT) | instid1(VALU_DEP_1)
	v_rndne_f64_e32 v[35:36], v[1:2]
	v_fma_f64 v[1:2], v[35:36], s[20:21], |v[9:10]|
	v_mul_f64 v[11:12], v[35:36], s[28:29]
	v_cvt_i32_f64_e32 v47, v[35:36]
	s_delay_alu instid0(VALU_DEP_3) | instskip(NEXT) | instid1(VALU_DEP_3)
	v_fma_f64 v[49:50], v[35:36], s[28:29], v[1:2]
	v_add_f64 v[37:38], v[1:2], v[11:12]
	s_delay_alu instid0(VALU_DEP_1) | instskip(NEXT) | instid1(VALU_DEP_3)
	v_add_f64 v[1:2], v[1:2], -v[37:38]
	v_add_f64 v[37:38], v[37:38], -v[49:50]
	s_delay_alu instid0(VALU_DEP_2) | instskip(SKIP_1) | instid1(VALU_DEP_2)
	v_add_f64 v[1:2], v[1:2], v[11:12]
	v_fma_f64 v[11:12], v[35:36], s[22:23], v[11:12]
	v_add_f64 v[1:2], v[37:38], v[1:2]
	s_delay_alu instid0(VALU_DEP_1) | instskip(NEXT) | instid1(VALU_DEP_1)
	v_add_f64 v[1:2], v[1:2], -v[11:12]
	v_fma_f64 v[11:12], v[35:36], s[30:31], v[1:2]
	s_delay_alu instid0(VALU_DEP_1) | instskip(NEXT) | instid1(VALU_DEP_1)
	v_add_f64 v[1:2], v[49:50], v[11:12]
	v_add_f64 v[37:38], v[1:2], -v[49:50]
	s_delay_alu instid0(VALU_DEP_1)
	v_add_f64 v[11:12], v[11:12], -v[37:38]
.LBB100_43:                             ;   in Loop: Header=BB100_4 Depth=1
	s_or_b32 exec_lo, exec_lo, s7
                                        ; implicit-def: $vgpr22
                                        ; implicit-def: $vgpr35_vgpr36
                                        ; implicit-def: $vgpr37_vgpr38
	s_and_saveexec_b32 s7, s6
	s_delay_alu instid0(SALU_CYCLE_1)
	s_xor_b32 s6, exec_lo, s7
	s_cbranch_execz .LBB100_45
; %bb.44:                               ;   in Loop: Header=BB100_4 Depth=1
	v_cmp_le_f64_e64 vcc_lo, 0x7b000000, |v[9:10]|
	s_mov_b32 s18, s20
	s_mov_b32 s25, s23
	s_delay_alu instid0(VALU_DEP_4) | instskip(NEXT) | instid1(VALU_DEP_1)
	v_dual_cndmask_b32 v34, v48, v34 :: v_dual_cndmask_b32 v33, v9, v33
	v_mul_f64 v[35:36], v[31:32], v[33:34]
	v_mul_f64 v[37:38], v[29:30], v[33:34]
	;; [unrolled: 1-line block ×3, first 2 shown]
	s_delay_alu instid0(VALU_DEP_3) | instskip(NEXT) | instid1(VALU_DEP_3)
	v_fma_f64 v[31:32], v[31:32], v[33:34], -v[35:36]
	v_fma_f64 v[29:30], v[29:30], v[33:34], -v[37:38]
	s_delay_alu instid0(VALU_DEP_3) | instskip(NEXT) | instid1(VALU_DEP_3)
	v_fma_f64 v[27:28], v[27:28], v[33:34], -v[48:49]
	v_add_f64 v[33:34], v[37:38], v[31:32]
	s_delay_alu instid0(VALU_DEP_1) | instskip(NEXT) | instid1(VALU_DEP_1)
	v_add_f64 v[50:51], v[33:34], -v[37:38]
	v_add_f64 v[31:32], v[31:32], -v[50:51]
	;; [unrolled: 1-line block ×3, first 2 shown]
	s_delay_alu instid0(VALU_DEP_1) | instskip(SKIP_1) | instid1(VALU_DEP_2)
	v_add_f64 v[37:38], v[37:38], -v[50:51]
	v_add_f64 v[50:51], v[35:36], v[33:34]
	v_add_f64 v[31:32], v[31:32], v[37:38]
	s_delay_alu instid0(VALU_DEP_2) | instskip(SKIP_1) | instid1(VALU_DEP_2)
	v_add_f64 v[35:36], v[50:51], -v[35:36]
	v_ldexp_f64 v[50:51], v[50:51], -2
	v_add_f64 v[33:34], v[33:34], -v[35:36]
	v_add_f64 v[35:36], v[48:49], v[29:30]
	s_delay_alu instid0(VALU_DEP_3) | instskip(SKIP_1) | instid1(VALU_DEP_3)
	v_cmp_neq_f64_e64 vcc_lo, 0x7ff00000, |v[50:51]|
	v_fract_f64_e32 v[50:51], v[50:51]
	v_add_f64 v[37:38], v[35:36], -v[48:49]
	s_delay_alu instid0(VALU_DEP_2) | instskip(NEXT) | instid1(VALU_DEP_2)
	v_dual_cndmask_b32 v51, 0, v51 :: v_dual_cndmask_b32 v50, 0, v50
	v_add_f64 v[29:30], v[29:30], -v[37:38]
	v_add_f64 v[37:38], v[35:36], -v[37:38]
	s_delay_alu instid0(VALU_DEP_1) | instskip(SKIP_1) | instid1(VALU_DEP_2)
	v_add_f64 v[37:38], v[48:49], -v[37:38]
	v_add_f64 v[48:49], v[35:36], v[31:32]
	v_add_f64 v[29:30], v[29:30], v[37:38]
	s_delay_alu instid0(VALU_DEP_2) | instskip(SKIP_1) | instid1(VALU_DEP_2)
	v_add_f64 v[52:53], v[48:49], -v[35:36]
	v_add_f64 v[37:38], v[33:34], v[48:49]
	v_add_f64 v[31:32], v[31:32], -v[52:53]
	v_add_f64 v[52:53], v[48:49], -v[52:53]
	s_delay_alu instid0(VALU_DEP_1) | instskip(NEXT) | instid1(VALU_DEP_1)
	v_add_f64 v[35:36], v[35:36], -v[52:53]
	v_add_f64 v[31:32], v[31:32], v[35:36]
	v_ldexp_f64 v[35:36], v[50:51], 2
	s_delay_alu instid0(VALU_DEP_2) | instskip(NEXT) | instid1(VALU_DEP_2)
	v_add_f64 v[29:30], v[29:30], v[31:32]
	v_add_f64 v[50:51], v[37:38], v[35:36]
	v_add_f64 v[31:32], v[37:38], -v[33:34]
	s_delay_alu instid0(VALU_DEP_3) | instskip(NEXT) | instid1(VALU_DEP_3)
	v_add_f64 v[27:28], v[27:28], v[29:30]
	v_cmp_gt_f64_e32 vcc_lo, 0, v[50:51]
	s_delay_alu instid0(VALU_DEP_3) | instskip(SKIP_1) | instid1(VALU_DEP_2)
	v_add_f64 v[31:32], v[48:49], -v[31:32]
	v_cndmask_b32_e64 v22, 0, 0x40100000, vcc_lo
	v_add_f64 v[27:28], v[31:32], v[27:28]
	s_delay_alu instid0(VALU_DEP_2) | instskip(NEXT) | instid1(VALU_DEP_1)
	v_add_f64 v[29:30], v[35:36], v[21:22]
	v_add_f64 v[33:34], v[37:38], v[29:30]
	s_delay_alu instid0(VALU_DEP_1) | instskip(NEXT) | instid1(VALU_DEP_1)
	v_cvt_i32_f64_e32 v48, v[33:34]
	v_cvt_f64_i32_e32 v[33:34], v48
	s_delay_alu instid0(VALU_DEP_1) | instskip(NEXT) | instid1(VALU_DEP_1)
	v_add_f64 v[29:30], v[29:30], -v[33:34]
	v_add_f64 v[31:32], v[37:38], v[29:30]
	s_delay_alu instid0(VALU_DEP_1) | instskip(SKIP_1) | instid1(VALU_DEP_2)
	v_add_f64 v[29:30], v[31:32], -v[29:30]
	v_cmp_le_f64_e32 vcc_lo, 0.5, v[31:32]
	v_add_f64 v[29:30], v[37:38], -v[29:30]
	v_cndmask_b32_e64 v22, 0, 0x3ff00000, vcc_lo
	s_delay_alu instid0(VALU_DEP_1) | instskip(SKIP_1) | instid1(VALU_DEP_4)
	v_add_f64 v[31:32], v[31:32], -v[21:22]
	v_add_co_ci_u32_e32 v22, vcc_lo, 0, v48, vcc_lo
	v_add_f64 v[27:28], v[27:28], v[29:30]
	s_delay_alu instid0(VALU_DEP_1) | instskip(NEXT) | instid1(VALU_DEP_1)
	v_add_f64 v[29:30], v[31:32], v[27:28]
	v_add_f64 v[31:32], v[29:30], -v[31:32]
	s_delay_alu instid0(VALU_DEP_1) | instskip(SKIP_1) | instid1(VALU_DEP_1)
	v_add_f64 v[27:28], v[27:28], -v[31:32]
	v_mul_f64 v[31:32], v[29:30], s[18:19]
	v_fma_f64 v[33:34], v[29:30], s[18:19], -v[31:32]
	s_delay_alu instid0(VALU_DEP_1) | instskip(NEXT) | instid1(VALU_DEP_1)
	v_fma_f64 v[29:30], v[29:30], s[24:25], v[33:34]
	v_fma_f64 v[27:28], v[27:28], s[18:19], v[29:30]
	s_delay_alu instid0(VALU_DEP_1) | instskip(NEXT) | instid1(VALU_DEP_1)
	v_add_f64 v[35:36], v[31:32], v[27:28]
	v_add_f64 v[29:30], v[35:36], -v[31:32]
	s_delay_alu instid0(VALU_DEP_1)
	v_add_f64 v[37:38], v[27:28], -v[29:30]
	s_and_not1_saveexec_b32 s6, s6
	s_cbranch_execnz .LBB100_46
	s_branch .LBB100_47
.LBB100_45:                             ;   in Loop: Header=BB100_4 Depth=1
	s_and_not1_saveexec_b32 s6, s6
	s_cbranch_execz .LBB100_47
.LBB100_46:                             ;   in Loop: Header=BB100_4 Depth=1
	v_mul_f64 v[27:28], |v[9:10]|, s[26:27]
	s_mov_b32 s22, s28
	s_delay_alu instid0(VALU_DEP_1) | instskip(NEXT) | instid1(VALU_DEP_1)
	v_rndne_f64_e32 v[27:28], v[27:28]
	v_fma_f64 v[29:30], v[27:28], s[20:21], |v[9:10]|
	v_mul_f64 v[31:32], v[27:28], s[28:29]
	v_cvt_i32_f64_e32 v22, v[27:28]
	s_delay_alu instid0(VALU_DEP_3) | instskip(NEXT) | instid1(VALU_DEP_3)
	v_fma_f64 v[37:38], v[27:28], s[28:29], v[29:30]
	v_add_f64 v[33:34], v[29:30], v[31:32]
	s_delay_alu instid0(VALU_DEP_1) | instskip(NEXT) | instid1(VALU_DEP_3)
	v_add_f64 v[29:30], v[29:30], -v[33:34]
	v_add_f64 v[33:34], v[33:34], -v[37:38]
	s_delay_alu instid0(VALU_DEP_2) | instskip(SKIP_1) | instid1(VALU_DEP_2)
	v_add_f64 v[29:30], v[29:30], v[31:32]
	v_fma_f64 v[31:32], v[27:28], s[22:23], v[31:32]
	v_add_f64 v[29:30], v[33:34], v[29:30]
	s_delay_alu instid0(VALU_DEP_1) | instskip(NEXT) | instid1(VALU_DEP_1)
	v_add_f64 v[29:30], v[29:30], -v[31:32]
	v_fma_f64 v[29:30], v[27:28], s[30:31], v[29:30]
	s_delay_alu instid0(VALU_DEP_1) | instskip(NEXT) | instid1(VALU_DEP_1)
	v_add_f64 v[35:36], v[37:38], v[29:30]
	v_add_f64 v[31:32], v[35:36], -v[37:38]
	s_delay_alu instid0(VALU_DEP_1)
	v_add_f64 v[37:38], v[29:30], -v[31:32]
.LBB100_47:                             ;   in Loop: Header=BB100_4 Depth=1
	s_or_b32 exec_lo, exec_lo, s6
	v_cmp_class_f64_e64 vcc_lo, v[9:10], 0x1f8
	v_lshlrev_b32_e32 v9, 30, v47
	s_delay_alu instid0(VALU_DEP_3) | instskip(NEXT) | instid1(VALU_DEP_4)
	v_mul_f64 v[33:34], v[11:12], 0.5
	v_mul_f64 v[52:53], v[37:38], 0.5
	s_mov_b32 s48, s50
	s_delay_alu instid0(VALU_DEP_3) | instskip(SKIP_1) | instid1(VALU_DEP_1)
	v_xor_b32_e32 v56, v9, v10
	v_mul_f64 v[9:10], v[1:2], v[1:2]
	v_mul_f64 v[27:28], v[9:10], 0.5
	v_mul_f64 v[48:49], v[1:2], -v[9:10]
	s_delay_alu instid0(VALU_DEP_2) | instskip(NEXT) | instid1(VALU_DEP_1)
	v_add_f64 v[29:30], -v[27:28], 1.0
	v_add_f64 v[31:32], -v[29:30], 1.0
	s_delay_alu instid0(VALU_DEP_1) | instskip(SKIP_1) | instid1(VALU_DEP_2)
	v_add_f64 v[27:28], v[31:32], -v[27:28]
	v_fma_f64 v[31:32], v[9:10], s[38:39], s[36:37]
	v_fma_f64 v[27:28], v[1:2], -v[11:12], v[27:28]
	s_delay_alu instid0(VALU_DEP_2) | instskip(NEXT) | instid1(VALU_DEP_1)
	v_fma_f64 v[31:32], v[9:10], v[31:32], s[40:41]
	v_fma_f64 v[31:32], v[9:10], v[31:32], s[42:43]
	s_delay_alu instid0(VALU_DEP_1) | instskip(NEXT) | instid1(VALU_DEP_1)
	v_fma_f64 v[31:32], v[9:10], v[31:32], s[46:47]
	v_fma_f64 v[31:32], v[48:49], v[31:32], v[33:34]
	s_delay_alu instid0(VALU_DEP_1) | instskip(SKIP_1) | instid1(VALU_DEP_2)
	v_fma_f64 v[11:12], v[9:10], v[31:32], -v[11:12]
	v_fma_f64 v[31:32], v[9:10], s[100:101], s[98:99]
	v_fma_f64 v[11:12], v[48:49], s[48:49], v[11:12]
	s_delay_alu instid0(VALU_DEP_2) | instskip(NEXT) | instid1(VALU_DEP_2)
	v_fma_f64 v[31:32], v[9:10], v[31:32], s[102:103]
	v_add_f64 v[1:2], v[1:2], -v[11:12]
	s_delay_alu instid0(VALU_DEP_2) | instskip(NEXT) | instid1(VALU_DEP_1)
	v_fma_f64 v[31:32], v[9:10], v[31:32], s[10:11]
	v_fma_f64 v[31:32], v[9:10], v[31:32], s[34:35]
	s_delay_alu instid0(VALU_DEP_1) | instskip(SKIP_1) | instid1(VALU_DEP_1)
	v_fma_f64 v[31:32], v[9:10], v[31:32], s[50:51]
	v_mul_f64 v[9:10], v[9:10], v[9:10]
	v_fma_f64 v[9:10], v[9:10], v[31:32], v[27:28]
	v_mul_f64 v[27:28], v[35:36], v[35:36]
	s_delay_alu instid0(VALU_DEP_2) | instskip(NEXT) | instid1(VALU_DEP_2)
	v_add_f64 v[9:10], v[29:30], v[9:10]
	v_mul_f64 v[31:32], v[27:28], 0.5
	v_mul_f64 v[54:55], v[35:36], -v[27:28]
	s_delay_alu instid0(VALU_DEP_2) | instskip(NEXT) | instid1(VALU_DEP_1)
	v_add_f64 v[33:34], -v[31:32], 1.0
	v_add_f64 v[50:51], -v[33:34], 1.0
	s_delay_alu instid0(VALU_DEP_1) | instskip(SKIP_1) | instid1(VALU_DEP_2)
	v_add_f64 v[31:32], v[50:51], -v[31:32]
	v_fma_f64 v[50:51], v[27:28], s[38:39], s[36:37]
	v_fma_f64 v[31:32], v[35:36], -v[37:38], v[31:32]
	s_delay_alu instid0(VALU_DEP_2) | instskip(NEXT) | instid1(VALU_DEP_1)
	v_fma_f64 v[50:51], v[27:28], v[50:51], s[40:41]
	v_fma_f64 v[50:51], v[27:28], v[50:51], s[42:43]
	s_delay_alu instid0(VALU_DEP_1) | instskip(NEXT) | instid1(VALU_DEP_1)
	v_fma_f64 v[50:51], v[27:28], v[50:51], s[46:47]
	v_fma_f64 v[50:51], v[54:55], v[50:51], v[52:53]
	s_delay_alu instid0(VALU_DEP_1) | instskip(SKIP_1) | instid1(VALU_DEP_1)
	v_fma_f64 v[37:38], v[27:28], v[50:51], -v[37:38]
	v_fma_f64 v[50:51], v[27:28], s[100:101], s[98:99]
	v_fma_f64 v[50:51], v[27:28], v[50:51], s[102:103]
	s_delay_alu instid0(VALU_DEP_1) | instskip(NEXT) | instid1(VALU_DEP_1)
	v_fma_f64 v[50:51], v[27:28], v[50:51], s[10:11]
	v_fma_f64 v[50:51], v[27:28], v[50:51], s[34:35]
	s_delay_alu instid0(VALU_DEP_1) | instskip(SKIP_1) | instid1(VALU_DEP_1)
	v_fma_f64 v[50:51], v[27:28], v[50:51], s[50:51]
	v_mul_f64 v[27:28], v[27:28], v[27:28]
	v_fma_f64 v[27:28], v[27:28], v[50:51], v[31:32]
	v_fma_f64 v[31:32], v[54:55], s[48:49], v[37:38]
	s_delay_alu instid0(VALU_DEP_2) | instskip(NEXT) | instid1(VALU_DEP_2)
	v_add_f64 v[11:12], v[33:34], v[27:28]
	v_add_f64 v[31:32], v[35:36], -v[31:32]
	v_and_b32_e32 v27, 1, v47
	s_delay_alu instid0(VALU_DEP_1) | instskip(NEXT) | instid1(VALU_DEP_1)
	v_cmp_eq_u32_e64 s6, 0, v27
	v_cndmask_b32_e64 v1, v9, v1, s6
	v_and_b32_e32 v28, 1, v22
	v_cndmask_b32_e64 v2, v10, v2, s6
	s_delay_alu instid0(VALU_DEP_3) | instskip(NEXT) | instid1(VALU_DEP_3)
	v_cndmask_b32_e32 v1, 0, v1, vcc_lo
	v_cmp_eq_u32_e64 s7, 0, v28
	v_and_b32_e32 v28, 0x80000000, v56
	s_delay_alu instid0(VALU_DEP_1) | instskip(NEXT) | instid1(VALU_DEP_1)
	v_xor_b32_e32 v2, v2, v28
	v_cndmask_b32_e32 v2, 0x7ff80000, v2, vcc_lo
	v_xor_b32_e32 v27, 0x80000000, v32
	v_cndmask_b32_e64 v9, v31, v11, s7
	v_lshlrev_b32_e32 v22, 30, v22
	s_delay_alu instid0(VALU_DEP_3) | instskip(NEXT) | instid1(VALU_DEP_2)
	v_cndmask_b32_e64 v12, v27, v12, s7
	v_dual_cndmask_b32 v9, 0, v9 :: v_dual_and_b32 v10, 0x80000000, v22
	s_delay_alu instid0(VALU_DEP_1) | instskip(NEXT) | instid1(VALU_DEP_1)
	v_xor_b32_e32 v10, v12, v10
	v_cndmask_b32_e32 v10, 0x7ff80000, v10, vcc_lo
	s_delay_alu instid0(VALU_DEP_1)
	v_mul_f64 v[9:10], v[1:2], v[9:10]
.LBB100_48:                             ;   in Loop: Header=BB100_4 Depth=1
	s_or_b32 exec_lo, exec_lo, s64
	s_delay_alu instid0(VALU_DEP_1) | instskip(SKIP_2) | instid1(VALU_DEP_3)
	v_bfi_b32 v22, 0x7fffffff, 0, v10
	v_add_co_u32 v3, vcc_lo, v3, 0
	v_add_co_ci_u32_e32 v4, vcc_lo, -2.0, v4, vcc_lo
	v_dual_mov_b32 v1, v21 :: v_dual_mov_b32 v2, v22
.LBB100_49:                             ;   in Loop: Header=BB100_4 Depth=1
	s_or_b32 exec_lo, exec_lo, s63
.LBB100_50:                             ;   in Loop: Header=BB100_4 Depth=1
	s_delay_alu instid0(SALU_CYCLE_1) | instskip(SKIP_3) | instid1(VALU_DEP_2)
	s_or_b32 exec_lo, exec_lo, s53
	v_xor_b32_e32 v12, 0x80000000, v20
	v_mov_b32_e32 v11, v19
	s_mov_b32 s6, exec_lo
	v_and_b32_e32 v9, 0x7fffffff, v12
	s_delay_alu instid0(VALU_DEP_1)
	v_cmpx_gt_u32_e32 0x7ff00000, v9
	s_xor_b32 s7, exec_lo, s6
	s_cbranch_execz .LBB100_72
; %bb.51:                               ;   in Loop: Header=BB100_4 Depth=1
	v_cmp_class_f64_e64 s6, v[17:18], 0x1f8
	s_delay_alu instid0(VALU_DEP_1) | instskip(NEXT) | instid1(SALU_CYCLE_1)
	s_and_saveexec_b32 s18, s6
	s_xor_b32 s53, exec_lo, s18
	s_cbranch_execz .LBB100_69
; %bb.52:                               ;   in Loop: Header=BB100_4 Depth=1
	s_mov_b32 s6, exec_lo
	v_cmpx_gt_u32_e32 0x40360000, v9
	s_xor_b32 s48, exec_lo, s6
	s_cbranch_execz .LBB100_58
; %bb.53:                               ;   in Loop: Header=BB100_4 Depth=1
	v_cmp_ngt_f64_e64 s6, 0x41d00000, |v[17:18]|
                                        ; implicit-def: $vgpr11
                                        ; implicit-def: $vgpr9_vgpr10
                                        ; implicit-def: $vgpr27_vgpr28
	s_delay_alu instid0(VALU_DEP_1) | instskip(NEXT) | instid1(SALU_CYCLE_1)
	s_and_saveexec_b32 s18, s6
	s_xor_b32 s6, exec_lo, s18
	s_cbranch_execz .LBB100_55
; %bb.54:                               ;   in Loop: Header=BB100_4 Depth=1
	v_ldexp_f64 v[9:10], |v[17:18]|, 0xffffff80
	v_cmp_le_f64_e64 vcc_lo, 0x7b000000, |v[17:18]|
	v_trig_preop_f64 v[27:28], |v[17:18]|, 0
	v_and_b32_e32 v11, 0x7fffffff, v18
	v_trig_preop_f64 v[31:32], |v[17:18]|, 1
	v_trig_preop_f64 v[35:36], |v[17:18]|, 2
	s_mov_b32 s18, s20
	s_mov_b32 s25, s23
	v_dual_cndmask_b32 v10, v11, v10 :: v_dual_cndmask_b32 v9, v17, v9
	s_delay_alu instid0(VALU_DEP_1) | instskip(NEXT) | instid1(VALU_DEP_4)
	v_mul_f64 v[29:30], v[27:28], v[9:10]
	v_mul_f64 v[33:34], v[31:32], v[9:10]
	s_delay_alu instid0(VALU_DEP_4) | instskip(NEXT) | instid1(VALU_DEP_3)
	v_mul_f64 v[37:38], v[35:36], v[9:10]
	v_fma_f64 v[27:28], v[27:28], v[9:10], -v[29:30]
	s_delay_alu instid0(VALU_DEP_3) | instskip(NEXT) | instid1(VALU_DEP_3)
	v_fma_f64 v[31:32], v[31:32], v[9:10], -v[33:34]
	v_fma_f64 v[9:10], v[35:36], v[9:10], -v[37:38]
	s_delay_alu instid0(VALU_DEP_3) | instskip(NEXT) | instid1(VALU_DEP_1)
	v_add_f64 v[35:36], v[33:34], v[27:28]
	v_add_f64 v[47:48], v[35:36], -v[33:34]
	s_delay_alu instid0(VALU_DEP_1) | instskip(SKIP_1) | instid1(VALU_DEP_1)
	v_add_f64 v[27:28], v[27:28], -v[47:48]
	v_add_f64 v[47:48], v[35:36], -v[47:48]
	;; [unrolled: 1-line block ×3, first 2 shown]
	v_add_f64 v[47:48], v[29:30], v[35:36]
	s_delay_alu instid0(VALU_DEP_2) | instskip(NEXT) | instid1(VALU_DEP_2)
	v_add_f64 v[27:28], v[27:28], v[33:34]
	v_add_f64 v[29:30], v[47:48], -v[29:30]
	v_add_f64 v[33:34], v[37:38], v[31:32]
	v_ldexp_f64 v[47:48], v[47:48], -2
	s_delay_alu instid0(VALU_DEP_3) | instskip(NEXT) | instid1(VALU_DEP_3)
	v_add_f64 v[29:30], v[35:36], -v[29:30]
	v_add_f64 v[35:36], v[33:34], -v[37:38]
	s_delay_alu instid0(VALU_DEP_3) | instskip(SKIP_1) | instid1(VALU_DEP_3)
	v_cmp_neq_f64_e64 vcc_lo, 0x7ff00000, |v[47:48]|
	v_fract_f64_e32 v[47:48], v[47:48]
	v_add_f64 v[31:32], v[31:32], -v[35:36]
	v_add_f64 v[35:36], v[33:34], -v[35:36]
	s_delay_alu instid0(VALU_DEP_3) | instskip(NEXT) | instid1(VALU_DEP_2)
	v_dual_cndmask_b32 v48, 0, v48 :: v_dual_cndmask_b32 v47, 0, v47
	v_add_f64 v[35:36], v[37:38], -v[35:36]
	v_add_f64 v[37:38], v[33:34], v[27:28]
	s_delay_alu instid0(VALU_DEP_2) | instskip(NEXT) | instid1(VALU_DEP_2)
	v_add_f64 v[31:32], v[31:32], v[35:36]
	v_add_f64 v[49:50], v[37:38], -v[33:34]
	v_add_f64 v[35:36], v[29:30], v[37:38]
	s_delay_alu instid0(VALU_DEP_2) | instskip(SKIP_1) | instid1(VALU_DEP_3)
	v_add_f64 v[27:28], v[27:28], -v[49:50]
	v_add_f64 v[49:50], v[37:38], -v[49:50]
	v_add_f64 v[29:30], v[35:36], -v[29:30]
	s_delay_alu instid0(VALU_DEP_2) | instskip(NEXT) | instid1(VALU_DEP_2)
	v_add_f64 v[33:34], v[33:34], -v[49:50]
	v_add_f64 v[29:30], v[37:38], -v[29:30]
	s_delay_alu instid0(VALU_DEP_2) | instskip(SKIP_1) | instid1(VALU_DEP_2)
	v_add_f64 v[27:28], v[27:28], v[33:34]
	v_ldexp_f64 v[33:34], v[47:48], 2
	v_add_f64 v[27:28], v[31:32], v[27:28]
	s_delay_alu instid0(VALU_DEP_2) | instskip(NEXT) | instid1(VALU_DEP_2)
	v_add_f64 v[47:48], v[35:36], v[33:34]
	v_add_f64 v[9:10], v[9:10], v[27:28]
	s_delay_alu instid0(VALU_DEP_2) | instskip(NEXT) | instid1(VALU_DEP_2)
	v_cmp_gt_f64_e32 vcc_lo, 0, v[47:48]
	v_add_f64 v[9:10], v[29:30], v[9:10]
	v_cndmask_b32_e64 v22, 0, 0x40100000, vcc_lo
	s_delay_alu instid0(VALU_DEP_1) | instskip(NEXT) | instid1(VALU_DEP_1)
	v_add_f64 v[27:28], v[33:34], v[21:22]
	v_add_f64 v[31:32], v[35:36], v[27:28]
	s_delay_alu instid0(VALU_DEP_1) | instskip(NEXT) | instid1(VALU_DEP_1)
	v_cvt_i32_f64_e32 v11, v[31:32]
	v_cvt_f64_i32_e32 v[31:32], v11
	s_delay_alu instid0(VALU_DEP_1) | instskip(NEXT) | instid1(VALU_DEP_1)
	v_add_f64 v[27:28], v[27:28], -v[31:32]
	v_add_f64 v[29:30], v[35:36], v[27:28]
	s_delay_alu instid0(VALU_DEP_1) | instskip(SKIP_1) | instid1(VALU_DEP_2)
	v_add_f64 v[27:28], v[29:30], -v[27:28]
	v_cmp_le_f64_e32 vcc_lo, 0.5, v[29:30]
	v_add_f64 v[27:28], v[35:36], -v[27:28]
	v_cndmask_b32_e64 v22, 0, 0x3ff00000, vcc_lo
	v_add_co_ci_u32_e32 v11, vcc_lo, 0, v11, vcc_lo
	s_delay_alu instid0(VALU_DEP_2) | instskip(NEXT) | instid1(VALU_DEP_4)
	v_add_f64 v[29:30], v[29:30], -v[21:22]
	v_add_f64 v[9:10], v[9:10], v[27:28]
	s_delay_alu instid0(VALU_DEP_1) | instskip(NEXT) | instid1(VALU_DEP_1)
	v_add_f64 v[27:28], v[29:30], v[9:10]
	v_add_f64 v[29:30], v[27:28], -v[29:30]
	s_delay_alu instid0(VALU_DEP_1) | instskip(SKIP_1) | instid1(VALU_DEP_1)
	v_add_f64 v[9:10], v[9:10], -v[29:30]
	v_mul_f64 v[29:30], v[27:28], s[18:19]
	v_fma_f64 v[31:32], v[27:28], s[18:19], -v[29:30]
	s_delay_alu instid0(VALU_DEP_1) | instskip(NEXT) | instid1(VALU_DEP_1)
	v_fma_f64 v[27:28], v[27:28], s[24:25], v[31:32]
	v_fma_f64 v[27:28], v[9:10], s[18:19], v[27:28]
	s_delay_alu instid0(VALU_DEP_1) | instskip(NEXT) | instid1(VALU_DEP_1)
	v_add_f64 v[9:10], v[29:30], v[27:28]
	v_add_f64 v[29:30], v[9:10], -v[29:30]
	s_delay_alu instid0(VALU_DEP_1)
	v_add_f64 v[27:28], v[27:28], -v[29:30]
.LBB100_55:                             ;   in Loop: Header=BB100_4 Depth=1
	s_and_not1_saveexec_b32 s6, s6
	s_cbranch_execz .LBB100_57
; %bb.56:                               ;   in Loop: Header=BB100_4 Depth=1
	v_mul_f64 v[9:10], |v[17:18]|, s[26:27]
	s_mov_b32 s22, s28
	s_delay_alu instid0(VALU_DEP_1) | instskip(NEXT) | instid1(VALU_DEP_1)
	v_rndne_f64_e32 v[29:30], v[9:10]
	v_fma_f64 v[9:10], v[29:30], s[20:21], |v[17:18]|
	v_mul_f64 v[27:28], v[29:30], s[28:29]
	v_cvt_i32_f64_e32 v11, v[29:30]
	s_delay_alu instid0(VALU_DEP_3) | instskip(NEXT) | instid1(VALU_DEP_3)
	v_fma_f64 v[33:34], v[29:30], s[28:29], v[9:10]
	v_add_f64 v[31:32], v[9:10], v[27:28]
	s_delay_alu instid0(VALU_DEP_1) | instskip(NEXT) | instid1(VALU_DEP_3)
	v_add_f64 v[9:10], v[9:10], -v[31:32]
	v_add_f64 v[31:32], v[31:32], -v[33:34]
	s_delay_alu instid0(VALU_DEP_2) | instskip(SKIP_1) | instid1(VALU_DEP_2)
	v_add_f64 v[9:10], v[9:10], v[27:28]
	v_fma_f64 v[27:28], v[29:30], s[22:23], v[27:28]
	v_add_f64 v[9:10], v[31:32], v[9:10]
	s_delay_alu instid0(VALU_DEP_1) | instskip(NEXT) | instid1(VALU_DEP_1)
	v_add_f64 v[9:10], v[9:10], -v[27:28]
	v_fma_f64 v[27:28], v[29:30], s[30:31], v[9:10]
	s_delay_alu instid0(VALU_DEP_1) | instskip(NEXT) | instid1(VALU_DEP_1)
	v_add_f64 v[9:10], v[33:34], v[27:28]
	v_add_f64 v[31:32], v[9:10], -v[33:34]
	s_delay_alu instid0(VALU_DEP_1)
	v_add_f64 v[27:28], v[27:28], -v[31:32]
.LBB100_57:                             ;   in Loop: Header=BB100_4 Depth=1
	s_or_b32 exec_lo, exec_lo, s6
	v_add_f64 v[29:30], |v[19:20]|, s[44:45]
	s_mov_b32 s64, s44
	s_mov_b32 s68, s70
	;; [unrolled: 1-line block ×5, first 2 shown]
	v_cmp_nge_f64_e64 vcc_lo, |v[19:20]|, s[96:97]
	v_cmp_gt_f64_e64 s6, 0x3e400000, |v[19:20]|
	s_mov_b32 s54, 0xa9a29f71
	s_mov_b32 s56, 0xc751c08c
	;; [unrolled: 1-line block ×4, first 2 shown]
	v_and_b32_e32 v11, 1, v11
	s_delay_alu instid0(VALU_DEP_4) | instskip(NEXT) | instid1(VALU_DEP_1)
	v_add_f64 v[31:32], v[29:30], -|v[19:20]|
	v_add_f64 v[33:34], v[31:32], -v[29:30]
	v_add_f64 v[31:32], v[31:32], s[64:65]
	s_delay_alu instid0(VALU_DEP_2) | instskip(NEXT) | instid1(VALU_DEP_1)
	v_add_f64 v[33:34], |v[19:20]|, v[33:34]
	v_add_f64 v[31:32], v[33:34], -v[31:32]
	s_delay_alu instid0(VALU_DEP_1) | instskip(NEXT) | instid1(VALU_DEP_1)
	v_add_f64 v[31:32], v[31:32], s[66:67]
	v_add_f64 v[33:34], v[29:30], v[31:32]
	s_delay_alu instid0(VALU_DEP_1) | instskip(NEXT) | instid1(VALU_DEP_1)
	v_add_f64 v[29:30], v[29:30], -v[33:34]
	v_add_f64 v[29:30], v[31:32], v[29:30]
	v_mul_f64 v[31:32], v[33:34], s[68:69]
	s_delay_alu instid0(VALU_DEP_1) | instskip(NEXT) | instid1(VALU_DEP_1)
	v_rndne_f64_e32 v[31:32], v[31:32]
	v_fma_f64 v[33:34], v[31:32], s[62:63], v[33:34]
	v_cvt_i32_f64_e32 v17, v[31:32]
	s_delay_alu instid0(VALU_DEP_2) | instskip(NEXT) | instid1(VALU_DEP_1)
	v_add_f64 v[35:36], v[29:30], v[33:34]
	v_add_f64 v[33:34], v[33:34], -v[35:36]
	s_delay_alu instid0(VALU_DEP_1) | instskip(SKIP_1) | instid1(VALU_DEP_1)
	v_add_f64 v[29:30], v[29:30], v[33:34]
	v_mul_f64 v[33:34], v[31:32], s[72:73]
	v_add_f64 v[37:38], v[35:36], v[33:34]
	s_delay_alu instid0(VALU_DEP_1) | instskip(NEXT) | instid1(VALU_DEP_1)
	v_add_f64 v[35:36], v[35:36], -v[37:38]
	v_add_f64 v[33:34], v[35:36], v[33:34]
	s_delay_alu instid0(VALU_DEP_1) | instskip(NEXT) | instid1(VALU_DEP_1)
	v_add_f64 v[29:30], v[29:30], v[33:34]
	v_add_f64 v[33:34], v[37:38], v[29:30]
	s_delay_alu instid0(VALU_DEP_1) | instskip(NEXT) | instid1(VALU_DEP_1)
	v_add_f64 v[35:36], v[37:38], -v[33:34]
	v_add_f64 v[29:30], v[29:30], v[35:36]
	v_mul_f64 v[35:36], v[31:32], s[74:75]
	s_delay_alu instid0(VALU_DEP_1) | instskip(NEXT) | instid1(VALU_DEP_1)
	v_add_f64 v[37:38], v[33:34], v[35:36]
	v_add_f64 v[33:34], v[33:34], -v[37:38]
	s_delay_alu instid0(VALU_DEP_1) | instskip(NEXT) | instid1(VALU_DEP_1)
	v_add_f64 v[33:34], v[33:34], v[35:36]
	v_add_f64 v[29:30], v[29:30], v[33:34]
	s_delay_alu instid0(VALU_DEP_1) | instskip(NEXT) | instid1(VALU_DEP_1)
	v_add_f64 v[33:34], v[37:38], v[29:30]
	v_add_f64 v[35:36], v[37:38], -v[33:34]
	s_delay_alu instid0(VALU_DEP_1) | instskip(SKIP_1) | instid1(VALU_DEP_2)
	v_add_f64 v[29:30], v[29:30], v[35:36]
	v_mul_f64 v[35:36], v[33:34], v[33:34]
	v_add_f64 v[47:48], v[29:30], v[29:30]
	s_delay_alu instid0(VALU_DEP_2) | instskip(NEXT) | instid1(VALU_DEP_1)
	v_fma_f64 v[37:38], v[33:34], v[33:34], -v[35:36]
	v_fma_f64 v[37:38], v[33:34], v[47:48], v[37:38]
	s_delay_alu instid0(VALU_DEP_1) | instskip(NEXT) | instid1(VALU_DEP_1)
	v_add_f64 v[47:48], v[35:36], v[37:38]
	v_add_f64 v[35:36], v[47:48], -v[35:36]
	s_delay_alu instid0(VALU_DEP_1) | instskip(SKIP_1) | instid1(VALU_DEP_1)
	v_add_f64 v[35:36], v[37:38], -v[35:36]
	v_fma_f64 v[37:38], v[33:34], s[78:79], s[76:77]
	v_fma_f64 v[37:38], v[33:34], v[37:38], s[80:81]
	s_delay_alu instid0(VALU_DEP_1) | instskip(NEXT) | instid1(VALU_DEP_1)
	v_fma_f64 v[37:38], v[33:34], v[37:38], s[82:83]
	v_fma_f64 v[37:38], v[33:34], v[37:38], s[84:85]
	s_delay_alu instid0(VALU_DEP_1) | instskip(NEXT) | instid1(VALU_DEP_1)
	;; [unrolled: 3-line block ×4, first 2 shown]
	v_fma_f64 v[37:38], v[33:34], v[37:38], s[94:95]
	v_mul_f64 v[49:50], v[47:48], v[37:38]
	s_delay_alu instid0(VALU_DEP_1) | instskip(NEXT) | instid1(VALU_DEP_1)
	v_fma_f64 v[47:48], v[47:48], v[37:38], -v[49:50]
	v_fma_f64 v[35:36], v[35:36], v[37:38], v[47:48]
	s_delay_alu instid0(VALU_DEP_1) | instskip(NEXT) | instid1(VALU_DEP_1)
	v_add_f64 v[37:38], v[49:50], v[35:36]
	v_add_f64 v[47:48], v[37:38], -v[49:50]
	s_delay_alu instid0(VALU_DEP_1) | instskip(SKIP_1) | instid1(VALU_DEP_2)
	v_add_f64 v[35:36], v[35:36], -v[47:48]
	v_add_f64 v[47:48], v[33:34], v[37:38]
	v_add_f64 v[29:30], v[29:30], v[35:36]
	s_delay_alu instid0(VALU_DEP_2) | instskip(NEXT) | instid1(VALU_DEP_1)
	v_add_f64 v[33:34], v[47:48], -v[33:34]
	v_add_f64 v[33:34], v[37:38], -v[33:34]
	s_delay_alu instid0(VALU_DEP_1) | instskip(NEXT) | instid1(VALU_DEP_1)
	v_add_f64 v[29:30], v[29:30], v[33:34]
	v_add_f64 v[33:34], v[47:48], v[29:30]
	s_delay_alu instid0(VALU_DEP_1) | instskip(NEXT) | instid1(VALU_DEP_1)
	v_add_f64 v[35:36], v[33:34], -v[47:48]
	v_add_f64 v[29:30], v[29:30], -v[35:36]
	v_add_f64 v[35:36], v[33:34], 1.0
	s_delay_alu instid0(VALU_DEP_1) | instskip(NEXT) | instid1(VALU_DEP_1)
	v_add_f64 v[37:38], v[35:36], -1.0
	v_add_f64 v[33:34], v[33:34], -v[37:38]
	s_delay_alu instid0(VALU_DEP_1) | instskip(NEXT) | instid1(VALU_DEP_1)
	v_add_f64 v[29:30], v[29:30], v[33:34]
	v_add_f64 v[31:32], v[35:36], v[29:30]
	s_delay_alu instid0(VALU_DEP_1) | instskip(SKIP_1) | instid1(VALU_DEP_2)
	v_add_f64 v[33:34], v[31:32], -v[35:36]
	v_ldexp_f64 v[31:32], v[31:32], v17
	v_add_f64 v[29:30], v[29:30], -v[33:34]
	s_delay_alu instid0(VALU_DEP_2) | instskip(NEXT) | instid1(VALU_DEP_1)
	v_rcp_f64_e32 v[35:36], v[31:32]
	v_ldexp_f64 v[29:30], v[29:30], v17
	s_waitcnt_depctr 0xfff
	v_fma_f64 v[37:38], -v[31:32], v[35:36], 1.0
	s_delay_alu instid0(VALU_DEP_1) | instskip(NEXT) | instid1(VALU_DEP_1)
	v_fma_f64 v[35:36], v[37:38], v[35:36], v[35:36]
	v_fma_f64 v[33:34], -v[31:32], v[35:36], 1.0
	s_delay_alu instid0(VALU_DEP_1) | instskip(NEXT) | instid1(VALU_DEP_1)
	v_fma_f64 v[33:34], v[33:34], v[35:36], v[35:36]
	v_mul_f64 v[35:36], v[31:32], v[33:34]
	s_delay_alu instid0(VALU_DEP_1) | instskip(NEXT) | instid1(VALU_DEP_1)
	v_fma_f64 v[37:38], v[33:34], v[31:32], -v[35:36]
	v_fma_f64 v[37:38], v[33:34], v[29:30], v[37:38]
	s_delay_alu instid0(VALU_DEP_1) | instskip(NEXT) | instid1(VALU_DEP_1)
	v_add_f64 v[47:48], v[35:36], v[37:38]
	v_add_f64 v[35:36], v[47:48], -v[35:36]
	s_delay_alu instid0(VALU_DEP_1) | instskip(SKIP_1) | instid1(VALU_DEP_1)
	v_add_f64 v[35:36], v[35:36], -v[37:38]
	v_add_f64 v[37:38], -v[47:48], 1.0
	v_add_f64 v[49:50], -v[37:38], 1.0
	s_delay_alu instid0(VALU_DEP_1) | instskip(NEXT) | instid1(VALU_DEP_1)
	v_add_f64 v[47:48], v[49:50], -v[47:48]
	v_add_f64 v[35:36], v[35:36], v[47:48]
	s_delay_alu instid0(VALU_DEP_1) | instskip(NEXT) | instid1(VALU_DEP_1)
	v_add_f64 v[47:48], v[37:38], v[35:36]
	v_add_f64 v[37:38], v[37:38], -v[47:48]
	s_delay_alu instid0(VALU_DEP_1) | instskip(SKIP_1) | instid1(VALU_DEP_1)
	v_add_f64 v[35:36], v[35:36], v[37:38]
	v_mul_f64 v[37:38], v[33:34], v[47:48]
	v_mul_f64 v[49:50], v[31:32], v[37:38]
	s_delay_alu instid0(VALU_DEP_1) | instskip(NEXT) | instid1(VALU_DEP_1)
	v_fma_f64 v[51:52], v[37:38], v[31:32], -v[49:50]
	v_fma_f64 v[51:52], v[37:38], v[29:30], v[51:52]
	s_delay_alu instid0(VALU_DEP_1) | instskip(NEXT) | instid1(VALU_DEP_1)
	v_add_f64 v[53:54], v[49:50], v[51:52]
	v_add_f64 v[55:56], v[47:48], -v[53:54]
	v_add_f64 v[49:50], v[53:54], -v[49:50]
	s_delay_alu instid0(VALU_DEP_2) | instskip(NEXT) | instid1(VALU_DEP_2)
	v_add_f64 v[47:48], v[47:48], -v[55:56]
	v_add_f64 v[49:50], v[49:50], -v[51:52]
	s_delay_alu instid0(VALU_DEP_2) | instskip(NEXT) | instid1(VALU_DEP_1)
	v_add_f64 v[47:48], v[47:48], -v[53:54]
	v_add_f64 v[35:36], v[35:36], v[47:48]
	v_add_f64 v[47:48], v[33:34], v[37:38]
	s_delay_alu instid0(VALU_DEP_2) | instskip(NEXT) | instid1(VALU_DEP_2)
	v_add_f64 v[35:36], v[49:50], v[35:36]
	v_add_f64 v[49:50], v[47:48], -v[33:34]
	s_delay_alu instid0(VALU_DEP_2) | instskip(NEXT) | instid1(VALU_DEP_2)
	v_add_f64 v[35:36], v[55:56], v[35:36]
	v_add_f64 v[37:38], v[37:38], -v[49:50]
	s_delay_alu instid0(VALU_DEP_2) | instskip(NEXT) | instid1(VALU_DEP_1)
	v_mul_f64 v[33:34], v[33:34], v[35:36]
	v_add_f64 v[33:34], v[37:38], v[33:34]
	s_delay_alu instid0(VALU_DEP_1) | instskip(NEXT) | instid1(VALU_DEP_1)
	v_add_f64 v[35:36], v[47:48], v[33:34]
	v_add_f64 v[37:38], v[35:36], -v[47:48]
	v_ldexp_f64 v[35:36], v[35:36], -2
	s_delay_alu instid0(VALU_DEP_2) | instskip(NEXT) | instid1(VALU_DEP_2)
	v_add_f64 v[33:34], v[33:34], -v[37:38]
	v_add_f64 v[47:48], v[31:32], -v[35:36]
	s_delay_alu instid0(VALU_DEP_1) | instskip(NEXT) | instid1(VALU_DEP_1)
	v_add_f64 v[31:32], v[31:32], -v[47:48]
	v_add_f64 v[31:32], v[31:32], -v[35:36]
	s_delay_alu instid0(VALU_DEP_1) | instskip(SKIP_1) | instid1(VALU_DEP_1)
	v_add_f64 v[29:30], v[29:30], v[31:32]
	v_ldexp_f64 v[31:32], v[33:34], -2
	v_add_f64 v[29:30], v[29:30], -v[31:32]
	s_delay_alu instid0(VALU_DEP_1) | instskip(SKIP_1) | instid1(VALU_DEP_2)
	v_add_f64 v[29:30], v[47:48], v[29:30]
	v_and_b32_e32 v17, 0x7fffffff, v20
	v_cndmask_b32_e32 v20, 0x7ff00000, v30, vcc_lo
	s_delay_alu instid0(VALU_DEP_1) | instskip(NEXT) | instid1(VALU_DEP_1)
	v_cndmask_b32_e64 v17, v20, v17, s6
	v_bfi_b32 v20, 0x7fffffff, v17, v12
	v_cndmask_b32_e32 v12, 0, v29, vcc_lo
	s_delay_alu instid0(VALU_DEP_1) | instskip(SKIP_1) | instid1(VALU_DEP_2)
	v_cndmask_b32_e64 v19, v12, v19, s6
	v_cmp_eq_u32_e64 s6, 0, v11
	v_fma_f64 v[29:30], v[19:20], v[19:20], 1.0
	s_delay_alu instid0(VALU_DEP_1) | instskip(SKIP_2) | instid1(VALU_DEP_2)
	v_cmp_gt_f64_e32 vcc_lo, 0x10000000, v[29:30]
	v_cndmask_b32_e64 v12, 0, 1, vcc_lo
	v_cndmask_b32_e64 v11, 0, 0xffffff80, vcc_lo
	v_lshlrev_b32_e32 v12, 8, v12
	s_delay_alu instid0(VALU_DEP_1) | instskip(SKIP_2) | instid1(VALU_DEP_3)
	v_ldexp_f64 v[29:30], v[29:30], v12
	v_and_b32_e32 v12, 0x80000000, v18
	v_mul_f64 v[17:18], v[9:10], v[9:10]
	v_rsq_f64_e32 v[31:32], v[29:30]
	v_cmp_class_f64_e64 vcc_lo, v[29:30], 0x260
	s_waitcnt_depctr 0xfff
	v_mul_f64 v[33:34], v[29:30], v[31:32]
	v_mul_f64 v[31:32], v[31:32], 0.5
	s_delay_alu instid0(VALU_DEP_1) | instskip(NEXT) | instid1(VALU_DEP_1)
	v_fma_f64 v[35:36], -v[31:32], v[33:34], 0.5
	v_fma_f64 v[33:34], v[33:34], v[35:36], v[33:34]
	v_fma_f64 v[31:32], v[31:32], v[35:36], v[31:32]
	s_delay_alu instid0(VALU_DEP_2) | instskip(NEXT) | instid1(VALU_DEP_1)
	v_fma_f64 v[35:36], -v[33:34], v[33:34], v[29:30]
	v_fma_f64 v[33:34], v[35:36], v[31:32], v[33:34]
	s_delay_alu instid0(VALU_DEP_1) | instskip(NEXT) | instid1(VALU_DEP_1)
	v_fma_f64 v[35:36], -v[33:34], v[33:34], v[29:30]
	v_fma_f64 v[31:32], v[35:36], v[31:32], v[33:34]
	v_add_f64 v[33:34], v[27:28], v[27:28]
	v_fma_f64 v[35:36], v[9:10], v[9:10], -v[17:18]
	s_delay_alu instid0(VALU_DEP_1) | instskip(NEXT) | instid1(VALU_DEP_1)
	v_fma_f64 v[33:34], v[9:10], v[33:34], v[35:36]
	v_add_f64 v[17:18], v[17:18], v[33:34]
	s_delay_alu instid0(VALU_DEP_1)
	v_fma_f64 v[33:34], v[17:18], s[56:57], s[54:55]
	s_mov_b32 s54, 0x90a8aae0
	s_mov_b32 s55, 0x3f17746f
	s_delay_alu instid0(VALU_DEP_1) | instid1(SALU_CYCLE_1)
	v_fma_f64 v[33:34], v[17:18], v[33:34], s[54:55]
	s_mov_b32 s54, 0xa6fbf144
	s_mov_b32 s55, 0xbefbb44d
	s_delay_alu instid0(VALU_DEP_1) | instid1(SALU_CYCLE_1)
	;; [unrolled: 4-line block ×10, first 2 shown]
	v_fma_f64 v[33:34], v[17:18], v[33:34], s[54:55]
	s_delay_alu instid0(VALU_DEP_1) | instskip(NEXT) | instid1(VALU_DEP_1)
	v_fma_f64 v[33:34], v[17:18], v[33:34], s[58:59]
	v_fma_f64 v[33:34], v[17:18], v[33:34], s[60:61]
	s_delay_alu instid0(VALU_DEP_1) | instskip(NEXT) | instid1(VALU_DEP_1)
	v_mul_f64 v[17:18], v[17:18], v[33:34]
	v_mul_f64 v[33:34], v[9:10], v[17:18]
	s_delay_alu instid0(VALU_DEP_1) | instskip(NEXT) | instid1(VALU_DEP_1)
	v_fma_f64 v[17:18], v[9:10], v[17:18], -v[33:34]
	v_add_f64 v[17:18], v[27:28], v[17:18]
	v_add_f64 v[27:28], v[9:10], v[33:34]
	s_delay_alu instid0(VALU_DEP_1) | instskip(NEXT) | instid1(VALU_DEP_1)
	v_add_f64 v[9:10], v[27:28], -v[9:10]
	v_add_f64 v[9:10], v[33:34], -v[9:10]
	s_delay_alu instid0(VALU_DEP_1) | instskip(NEXT) | instid1(VALU_DEP_1)
	v_add_f64 v[9:10], v[17:18], v[9:10]
	v_add_f64 v[17:18], v[27:28], v[9:10]
	s_delay_alu instid0(VALU_DEP_1) | instskip(SKIP_1) | instid1(VALU_DEP_1)
	v_rcp_f64_e32 v[33:34], v[17:18]
	v_add_f64 v[27:28], v[17:18], -v[27:28]
	v_add_f64 v[9:10], v[9:10], -v[27:28]
	s_waitcnt_depctr 0xfff
	v_fma_f64 v[35:36], -v[17:18], v[33:34], 1.0
	s_delay_alu instid0(VALU_DEP_1) | instskip(NEXT) | instid1(VALU_DEP_1)
	v_fma_f64 v[33:34], v[35:36], v[33:34], v[33:34]
	v_fma_f64 v[35:36], -v[17:18], v[33:34], 1.0
	s_delay_alu instid0(VALU_DEP_1) | instskip(NEXT) | instid1(VALU_DEP_1)
	v_fma_f64 v[33:34], v[35:36], v[33:34], v[33:34]
	v_mul_f64 v[27:28], v[17:18], v[33:34]
	s_delay_alu instid0(VALU_DEP_1) | instskip(NEXT) | instid1(VALU_DEP_1)
	v_fma_f64 v[35:36], v[33:34], v[17:18], -v[27:28]
	v_fma_f64 v[9:10], v[33:34], v[9:10], v[35:36]
	s_delay_alu instid0(VALU_DEP_1) | instskip(NEXT) | instid1(VALU_DEP_1)
	v_add_f64 v[35:36], v[27:28], v[9:10]
	v_add_f64 v[27:28], v[35:36], -v[27:28]
	s_delay_alu instid0(VALU_DEP_1) | instskip(SKIP_1) | instid1(VALU_DEP_1)
	v_add_f64 v[9:10], v[27:28], -v[9:10]
	v_add_f64 v[27:28], -v[35:36], 1.0
	v_add_f64 v[37:38], -v[27:28], 1.0
	s_delay_alu instid0(VALU_DEP_1) | instskip(NEXT) | instid1(VALU_DEP_1)
	v_add_f64 v[35:36], v[37:38], -v[35:36]
	v_add_f64 v[9:10], v[9:10], v[35:36]
	s_delay_alu instid0(VALU_DEP_1) | instskip(NEXT) | instid1(VALU_DEP_1)
	v_add_f64 v[9:10], v[27:28], v[9:10]
	v_mul_f64 v[9:10], v[33:34], v[9:10]
	s_delay_alu instid0(VALU_DEP_1) | instskip(NEXT) | instid1(VALU_DEP_1)
	v_add_f64 v[9:10], v[33:34], v[9:10]
	v_xor_b32_e32 v10, 0x80000000, v10
	s_delay_alu instid0(VALU_DEP_2) | instskip(NEXT) | instid1(VALU_DEP_2)
	v_cndmask_b32_e64 v9, v9, v17, s6
	v_cndmask_b32_e64 v10, v10, v18, s6
	s_delay_alu instid0(VALU_DEP_1) | instskip(SKIP_1) | instid1(VALU_DEP_2)
	v_xor_b32_e32 v10, v10, v12
	v_ldexp_f64 v[11:12], v[31:32], v11
	v_fma_f64 v[17:18], v[9:10], v[9:10], 1.0
	s_delay_alu instid0(VALU_DEP_2) | instskip(NEXT) | instid1(VALU_DEP_2)
	v_dual_cndmask_b32 v11, v11, v29 :: v_dual_cndmask_b32 v12, v12, v30
	v_mul_f64 v[27:28], v[19:20], v[17:18]
	s_delay_alu instid0(VALU_DEP_2) | instskip(NEXT) | instid1(VALU_DEP_2)
	v_mul_f64 v[11:12], v[11:12], v[17:18]
	v_fma_f64 v[17:18], v[19:20], v[27:28], 1.0
	s_delay_alu instid0(VALU_DEP_2) | instskip(NEXT) | instid1(VALU_DEP_1)
	v_mul_f64 v[11:12], v[19:20], v[11:12]
	v_div_scale_f64 v[19:20], null, v[17:18], v[17:18], v[11:12]
	s_delay_alu instid0(VALU_DEP_1) | instskip(SKIP_2) | instid1(VALU_DEP_1)
	v_rcp_f64_e32 v[27:28], v[19:20]
	s_waitcnt_depctr 0xfff
	v_fma_f64 v[29:30], -v[19:20], v[27:28], 1.0
	v_fma_f64 v[27:28], v[27:28], v[29:30], v[27:28]
	s_delay_alu instid0(VALU_DEP_1) | instskip(NEXT) | instid1(VALU_DEP_1)
	v_fma_f64 v[29:30], -v[19:20], v[27:28], 1.0
	v_fma_f64 v[27:28], v[27:28], v[29:30], v[27:28]
	v_div_scale_f64 v[29:30], vcc_lo, v[11:12], v[17:18], v[11:12]
	s_delay_alu instid0(VALU_DEP_1) | instskip(NEXT) | instid1(VALU_DEP_1)
	v_mul_f64 v[31:32], v[29:30], v[27:28]
	v_fma_f64 v[19:20], -v[19:20], v[31:32], v[29:30]
	s_delay_alu instid0(VALU_DEP_1) | instskip(SKIP_1) | instid1(VALU_DEP_2)
	v_div_fmas_f64 v[19:20], v[19:20], v[27:28], v[31:32]
	v_div_scale_f64 v[27:28], null, v[17:18], v[17:18], v[9:10]
	v_div_fixup_f64 v[11:12], v[19:20], v[17:18], v[11:12]
	s_delay_alu instid0(VALU_DEP_2) | instskip(SKIP_2) | instid1(VALU_DEP_1)
	v_rcp_f64_e32 v[29:30], v[27:28]
	s_waitcnt_depctr 0xfff
	v_fma_f64 v[31:32], -v[27:28], v[29:30], 1.0
	v_fma_f64 v[29:30], v[29:30], v[31:32], v[29:30]
	s_delay_alu instid0(VALU_DEP_1) | instskip(NEXT) | instid1(VALU_DEP_1)
	v_fma_f64 v[31:32], -v[27:28], v[29:30], 1.0
	v_fma_f64 v[29:30], v[29:30], v[31:32], v[29:30]
	v_div_scale_f64 v[31:32], vcc_lo, v[9:10], v[17:18], v[9:10]
	s_delay_alu instid0(VALU_DEP_1) | instskip(NEXT) | instid1(VALU_DEP_1)
	v_mul_f64 v[33:34], v[31:32], v[29:30]
	v_fma_f64 v[27:28], -v[27:28], v[33:34], v[31:32]
	s_delay_alu instid0(VALU_DEP_1) | instskip(NEXT) | instid1(VALU_DEP_1)
	v_div_fmas_f64 v[27:28], v[27:28], v[29:30], v[33:34]
	v_div_fixup_f64 v[9:10], v[27:28], v[17:18], v[9:10]
                                        ; implicit-def: $vgpr17_vgpr18
.LBB100_58:                             ;   in Loop: Header=BB100_4 Depth=1
	s_and_not1_saveexec_b32 s63, s48
	s_cbranch_execz .LBB100_68
; %bb.59:                               ;   in Loop: Header=BB100_4 Depth=1
	v_cmp_ngt_f64_e64 s6, 0x41d00000, |v[17:18]|
                                        ; implicit-def: $vgpr11
                                        ; implicit-def: $vgpr9_vgpr10
                                        ; implicit-def: $vgpr27_vgpr28
	s_delay_alu instid0(VALU_DEP_1) | instskip(NEXT) | instid1(SALU_CYCLE_1)
	s_and_saveexec_b32 s18, s6
	s_xor_b32 s22, exec_lo, s18
	s_cbranch_execz .LBB100_61
; %bb.60:                               ;   in Loop: Header=BB100_4 Depth=1
	v_ldexp_f64 v[9:10], |v[17:18]|, 0xffffff80
	v_cmp_le_f64_e64 vcc_lo, 0x7b000000, |v[17:18]|
	v_trig_preop_f64 v[27:28], |v[17:18]|, 0
	v_and_b32_e32 v11, 0x7fffffff, v18
	v_trig_preop_f64 v[31:32], |v[17:18]|, 1
	v_trig_preop_f64 v[35:36], |v[17:18]|, 2
	s_mov_b32 s18, s20
	s_mov_b32 s25, s23
	v_dual_cndmask_b32 v10, v11, v10 :: v_dual_cndmask_b32 v9, v17, v9
	s_delay_alu instid0(VALU_DEP_1) | instskip(NEXT) | instid1(VALU_DEP_4)
	v_mul_f64 v[29:30], v[27:28], v[9:10]
	v_mul_f64 v[33:34], v[31:32], v[9:10]
	s_delay_alu instid0(VALU_DEP_4) | instskip(NEXT) | instid1(VALU_DEP_3)
	v_mul_f64 v[37:38], v[35:36], v[9:10]
	v_fma_f64 v[27:28], v[27:28], v[9:10], -v[29:30]
	s_delay_alu instid0(VALU_DEP_3) | instskip(NEXT) | instid1(VALU_DEP_3)
	v_fma_f64 v[31:32], v[31:32], v[9:10], -v[33:34]
	v_fma_f64 v[9:10], v[35:36], v[9:10], -v[37:38]
	s_delay_alu instid0(VALU_DEP_3) | instskip(NEXT) | instid1(VALU_DEP_1)
	v_add_f64 v[35:36], v[33:34], v[27:28]
	v_add_f64 v[47:48], v[35:36], -v[33:34]
	s_delay_alu instid0(VALU_DEP_1) | instskip(SKIP_1) | instid1(VALU_DEP_1)
	v_add_f64 v[27:28], v[27:28], -v[47:48]
	v_add_f64 v[47:48], v[35:36], -v[47:48]
	;; [unrolled: 1-line block ×3, first 2 shown]
	v_add_f64 v[47:48], v[29:30], v[35:36]
	s_delay_alu instid0(VALU_DEP_2) | instskip(NEXT) | instid1(VALU_DEP_2)
	v_add_f64 v[27:28], v[27:28], v[33:34]
	v_add_f64 v[29:30], v[47:48], -v[29:30]
	v_add_f64 v[33:34], v[37:38], v[31:32]
	v_ldexp_f64 v[47:48], v[47:48], -2
	s_delay_alu instid0(VALU_DEP_3) | instskip(NEXT) | instid1(VALU_DEP_3)
	v_add_f64 v[29:30], v[35:36], -v[29:30]
	v_add_f64 v[35:36], v[33:34], -v[37:38]
	s_delay_alu instid0(VALU_DEP_3) | instskip(SKIP_1) | instid1(VALU_DEP_3)
	v_cmp_neq_f64_e64 vcc_lo, 0x7ff00000, |v[47:48]|
	v_fract_f64_e32 v[47:48], v[47:48]
	v_add_f64 v[31:32], v[31:32], -v[35:36]
	v_add_f64 v[35:36], v[33:34], -v[35:36]
	s_delay_alu instid0(VALU_DEP_3) | instskip(NEXT) | instid1(VALU_DEP_2)
	v_dual_cndmask_b32 v48, 0, v48 :: v_dual_cndmask_b32 v47, 0, v47
	v_add_f64 v[35:36], v[37:38], -v[35:36]
	v_add_f64 v[37:38], v[33:34], v[27:28]
	s_delay_alu instid0(VALU_DEP_2) | instskip(NEXT) | instid1(VALU_DEP_2)
	v_add_f64 v[31:32], v[31:32], v[35:36]
	v_add_f64 v[49:50], v[37:38], -v[33:34]
	v_add_f64 v[35:36], v[29:30], v[37:38]
	s_delay_alu instid0(VALU_DEP_2) | instskip(SKIP_1) | instid1(VALU_DEP_3)
	v_add_f64 v[27:28], v[27:28], -v[49:50]
	v_add_f64 v[49:50], v[37:38], -v[49:50]
	;; [unrolled: 1-line block ×3, first 2 shown]
	s_delay_alu instid0(VALU_DEP_2) | instskip(NEXT) | instid1(VALU_DEP_2)
	v_add_f64 v[33:34], v[33:34], -v[49:50]
	v_add_f64 v[29:30], v[37:38], -v[29:30]
	s_delay_alu instid0(VALU_DEP_2) | instskip(SKIP_1) | instid1(VALU_DEP_2)
	v_add_f64 v[27:28], v[27:28], v[33:34]
	v_ldexp_f64 v[33:34], v[47:48], 2
	v_add_f64 v[27:28], v[31:32], v[27:28]
	s_delay_alu instid0(VALU_DEP_2) | instskip(NEXT) | instid1(VALU_DEP_2)
	v_add_f64 v[47:48], v[35:36], v[33:34]
	v_add_f64 v[9:10], v[9:10], v[27:28]
	s_delay_alu instid0(VALU_DEP_2) | instskip(NEXT) | instid1(VALU_DEP_2)
	v_cmp_gt_f64_e32 vcc_lo, 0, v[47:48]
	v_add_f64 v[9:10], v[29:30], v[9:10]
	v_cndmask_b32_e64 v22, 0, 0x40100000, vcc_lo
	s_delay_alu instid0(VALU_DEP_1) | instskip(NEXT) | instid1(VALU_DEP_1)
	v_add_f64 v[27:28], v[33:34], v[21:22]
	v_add_f64 v[31:32], v[35:36], v[27:28]
	s_delay_alu instid0(VALU_DEP_1) | instskip(NEXT) | instid1(VALU_DEP_1)
	v_cvt_i32_f64_e32 v11, v[31:32]
	v_cvt_f64_i32_e32 v[31:32], v11
	s_delay_alu instid0(VALU_DEP_1) | instskip(NEXT) | instid1(VALU_DEP_1)
	v_add_f64 v[27:28], v[27:28], -v[31:32]
	v_add_f64 v[29:30], v[35:36], v[27:28]
	s_delay_alu instid0(VALU_DEP_1) | instskip(SKIP_1) | instid1(VALU_DEP_2)
	v_add_f64 v[27:28], v[29:30], -v[27:28]
	v_cmp_le_f64_e32 vcc_lo, 0.5, v[29:30]
	v_add_f64 v[27:28], v[35:36], -v[27:28]
	v_cndmask_b32_e64 v22, 0, 0x3ff00000, vcc_lo
	v_add_co_ci_u32_e32 v11, vcc_lo, 0, v11, vcc_lo
	s_delay_alu instid0(VALU_DEP_2) | instskip(NEXT) | instid1(VALU_DEP_4)
	v_add_f64 v[29:30], v[29:30], -v[21:22]
	v_add_f64 v[9:10], v[9:10], v[27:28]
	s_delay_alu instid0(VALU_DEP_1) | instskip(NEXT) | instid1(VALU_DEP_1)
	v_add_f64 v[27:28], v[29:30], v[9:10]
	v_add_f64 v[29:30], v[27:28], -v[29:30]
	s_delay_alu instid0(VALU_DEP_1) | instskip(SKIP_1) | instid1(VALU_DEP_1)
	v_add_f64 v[9:10], v[9:10], -v[29:30]
	v_mul_f64 v[29:30], v[27:28], s[18:19]
	v_fma_f64 v[31:32], v[27:28], s[18:19], -v[29:30]
	s_delay_alu instid0(VALU_DEP_1) | instskip(NEXT) | instid1(VALU_DEP_1)
	v_fma_f64 v[27:28], v[27:28], s[24:25], v[31:32]
	v_fma_f64 v[27:28], v[9:10], s[18:19], v[27:28]
	s_delay_alu instid0(VALU_DEP_1) | instskip(NEXT) | instid1(VALU_DEP_1)
	v_add_f64 v[9:10], v[29:30], v[27:28]
	v_add_f64 v[29:30], v[9:10], -v[29:30]
	s_delay_alu instid0(VALU_DEP_1)
	v_add_f64 v[27:28], v[27:28], -v[29:30]
	s_and_not1_saveexec_b32 s18, s22
	s_cbranch_execz .LBB100_63
	s_branch .LBB100_62
.LBB100_61:                             ;   in Loop: Header=BB100_4 Depth=1
	s_and_not1_saveexec_b32 s18, s22
	s_cbranch_execz .LBB100_63
.LBB100_62:                             ;   in Loop: Header=BB100_4 Depth=1
	v_mul_f64 v[9:10], |v[17:18]|, s[26:27]
	s_mov_b32 s22, s28
	s_delay_alu instid0(VALU_DEP_1) | instskip(NEXT) | instid1(VALU_DEP_1)
	v_rndne_f64_e32 v[29:30], v[9:10]
	v_fma_f64 v[9:10], v[29:30], s[20:21], |v[17:18]|
	v_mul_f64 v[27:28], v[29:30], s[28:29]
	v_cvt_i32_f64_e32 v11, v[29:30]
	s_delay_alu instid0(VALU_DEP_3) | instskip(NEXT) | instid1(VALU_DEP_3)
	v_fma_f64 v[33:34], v[29:30], s[28:29], v[9:10]
	v_add_f64 v[31:32], v[9:10], v[27:28]
	s_delay_alu instid0(VALU_DEP_1) | instskip(NEXT) | instid1(VALU_DEP_3)
	v_add_f64 v[9:10], v[9:10], -v[31:32]
	v_add_f64 v[31:32], v[31:32], -v[33:34]
	s_delay_alu instid0(VALU_DEP_2) | instskip(SKIP_1) | instid1(VALU_DEP_2)
	v_add_f64 v[9:10], v[9:10], v[27:28]
	v_fma_f64 v[27:28], v[29:30], s[22:23], v[27:28]
	v_add_f64 v[9:10], v[31:32], v[9:10]
	s_delay_alu instid0(VALU_DEP_1) | instskip(NEXT) | instid1(VALU_DEP_1)
	v_add_f64 v[9:10], v[9:10], -v[27:28]
	v_fma_f64 v[27:28], v[29:30], s[30:31], v[9:10]
	s_delay_alu instid0(VALU_DEP_1) | instskip(NEXT) | instid1(VALU_DEP_1)
	v_add_f64 v[9:10], v[33:34], v[27:28]
	v_add_f64 v[31:32], v[9:10], -v[33:34]
	s_delay_alu instid0(VALU_DEP_1)
	v_add_f64 v[27:28], v[27:28], -v[31:32]
.LBB100_63:                             ;   in Loop: Header=BB100_4 Depth=1
	s_or_b32 exec_lo, exec_lo, s18
                                        ; implicit-def: $vgpr22
                                        ; implicit-def: $vgpr29_vgpr30
                                        ; implicit-def: $vgpr31_vgpr32
	s_and_saveexec_b32 s18, s6
	s_delay_alu instid0(SALU_CYCLE_1)
	s_xor_b32 s6, exec_lo, s18
	s_cbranch_execz .LBB100_65
; %bb.64:                               ;   in Loop: Header=BB100_4 Depth=1
	v_ldexp_f64 v[29:30], |v[17:18]|, 0xffffff80
	v_cmp_le_f64_e64 vcc_lo, 0x7b000000, |v[17:18]|
	v_trig_preop_f64 v[31:32], |v[17:18]|, 0
	v_and_b32_e32 v22, 0x7fffffff, v18
	v_trig_preop_f64 v[35:36], |v[17:18]|, 1
	v_trig_preop_f64 v[47:48], |v[17:18]|, 2
	s_mov_b32 s18, s20
	s_mov_b32 s25, s23
	v_dual_cndmask_b32 v29, v17, v29 :: v_dual_cndmask_b32 v30, v22, v30
	s_delay_alu instid0(VALU_DEP_1) | instskip(NEXT) | instid1(VALU_DEP_4)
	v_mul_f64 v[33:34], v[31:32], v[29:30]
	v_mul_f64 v[37:38], v[35:36], v[29:30]
	s_delay_alu instid0(VALU_DEP_4) | instskip(NEXT) | instid1(VALU_DEP_3)
	v_mul_f64 v[49:50], v[47:48], v[29:30]
	v_fma_f64 v[31:32], v[31:32], v[29:30], -v[33:34]
	s_delay_alu instid0(VALU_DEP_3) | instskip(NEXT) | instid1(VALU_DEP_3)
	v_fma_f64 v[35:36], v[35:36], v[29:30], -v[37:38]
	v_fma_f64 v[29:30], v[47:48], v[29:30], -v[49:50]
	s_delay_alu instid0(VALU_DEP_3) | instskip(NEXT) | instid1(VALU_DEP_1)
	v_add_f64 v[47:48], v[37:38], v[31:32]
	v_add_f64 v[51:52], v[47:48], -v[37:38]
	s_delay_alu instid0(VALU_DEP_1) | instskip(SKIP_1) | instid1(VALU_DEP_1)
	v_add_f64 v[31:32], v[31:32], -v[51:52]
	v_add_f64 v[51:52], v[47:48], -v[51:52]
	v_add_f64 v[37:38], v[37:38], -v[51:52]
	v_add_f64 v[51:52], v[33:34], v[47:48]
	s_delay_alu instid0(VALU_DEP_2) | instskip(NEXT) | instid1(VALU_DEP_2)
	v_add_f64 v[31:32], v[31:32], v[37:38]
	v_add_f64 v[33:34], v[51:52], -v[33:34]
	v_add_f64 v[37:38], v[49:50], v[35:36]
	v_ldexp_f64 v[51:52], v[51:52], -2
	s_delay_alu instid0(VALU_DEP_3) | instskip(NEXT) | instid1(VALU_DEP_3)
	v_add_f64 v[33:34], v[47:48], -v[33:34]
	v_add_f64 v[47:48], v[37:38], -v[49:50]
	s_delay_alu instid0(VALU_DEP_3) | instskip(SKIP_1) | instid1(VALU_DEP_3)
	v_cmp_neq_f64_e64 vcc_lo, 0x7ff00000, |v[51:52]|
	v_fract_f64_e32 v[51:52], v[51:52]
	v_add_f64 v[35:36], v[35:36], -v[47:48]
	v_add_f64 v[47:48], v[37:38], -v[47:48]
	s_delay_alu instid0(VALU_DEP_3) | instskip(NEXT) | instid1(VALU_DEP_2)
	v_dual_cndmask_b32 v51, 0, v51 :: v_dual_cndmask_b32 v52, 0, v52
	v_add_f64 v[47:48], v[49:50], -v[47:48]
	v_add_f64 v[49:50], v[37:38], v[31:32]
	s_delay_alu instid0(VALU_DEP_2) | instskip(NEXT) | instid1(VALU_DEP_2)
	v_add_f64 v[35:36], v[35:36], v[47:48]
	v_add_f64 v[53:54], v[49:50], -v[37:38]
	v_add_f64 v[47:48], v[33:34], v[49:50]
	s_delay_alu instid0(VALU_DEP_2) | instskip(SKIP_1) | instid1(VALU_DEP_3)
	v_add_f64 v[31:32], v[31:32], -v[53:54]
	v_add_f64 v[53:54], v[49:50], -v[53:54]
	;; [unrolled: 1-line block ×3, first 2 shown]
	s_delay_alu instid0(VALU_DEP_2) | instskip(NEXT) | instid1(VALU_DEP_2)
	v_add_f64 v[37:38], v[37:38], -v[53:54]
	v_add_f64 v[33:34], v[49:50], -v[33:34]
	s_delay_alu instid0(VALU_DEP_2) | instskip(SKIP_1) | instid1(VALU_DEP_2)
	v_add_f64 v[31:32], v[31:32], v[37:38]
	v_ldexp_f64 v[37:38], v[51:52], 2
	v_add_f64 v[31:32], v[35:36], v[31:32]
	s_delay_alu instid0(VALU_DEP_2) | instskip(NEXT) | instid1(VALU_DEP_2)
	v_add_f64 v[51:52], v[47:48], v[37:38]
	v_add_f64 v[29:30], v[29:30], v[31:32]
	s_delay_alu instid0(VALU_DEP_2) | instskip(NEXT) | instid1(VALU_DEP_2)
	v_cmp_gt_f64_e32 vcc_lo, 0, v[51:52]
	v_add_f64 v[29:30], v[33:34], v[29:30]
	v_cndmask_b32_e64 v22, 0, 0x40100000, vcc_lo
	s_delay_alu instid0(VALU_DEP_1) | instskip(NEXT) | instid1(VALU_DEP_1)
	v_add_f64 v[31:32], v[37:38], v[21:22]
	v_add_f64 v[35:36], v[47:48], v[31:32]
	s_delay_alu instid0(VALU_DEP_1) | instskip(NEXT) | instid1(VALU_DEP_1)
	v_cvt_i32_f64_e32 v37, v[35:36]
	v_cvt_f64_i32_e32 v[35:36], v37
	s_delay_alu instid0(VALU_DEP_1) | instskip(NEXT) | instid1(VALU_DEP_1)
	v_add_f64 v[31:32], v[31:32], -v[35:36]
	v_add_f64 v[33:34], v[47:48], v[31:32]
	s_delay_alu instid0(VALU_DEP_1) | instskip(SKIP_1) | instid1(VALU_DEP_2)
	v_add_f64 v[31:32], v[33:34], -v[31:32]
	v_cmp_le_f64_e32 vcc_lo, 0.5, v[33:34]
	v_add_f64 v[31:32], v[47:48], -v[31:32]
	v_cndmask_b32_e64 v22, 0, 0x3ff00000, vcc_lo
	s_delay_alu instid0(VALU_DEP_1) | instskip(SKIP_1) | instid1(VALU_DEP_4)
	v_add_f64 v[33:34], v[33:34], -v[21:22]
	v_add_co_ci_u32_e32 v22, vcc_lo, 0, v37, vcc_lo
	v_add_f64 v[29:30], v[29:30], v[31:32]
	s_delay_alu instid0(VALU_DEP_1) | instskip(NEXT) | instid1(VALU_DEP_1)
	v_add_f64 v[31:32], v[33:34], v[29:30]
	v_add_f64 v[33:34], v[31:32], -v[33:34]
	s_delay_alu instid0(VALU_DEP_1) | instskip(SKIP_1) | instid1(VALU_DEP_1)
	v_add_f64 v[29:30], v[29:30], -v[33:34]
	v_mul_f64 v[33:34], v[31:32], s[18:19]
	v_fma_f64 v[35:36], v[31:32], s[18:19], -v[33:34]
	s_delay_alu instid0(VALU_DEP_1) | instskip(NEXT) | instid1(VALU_DEP_1)
	v_fma_f64 v[31:32], v[31:32], s[24:25], v[35:36]
	v_fma_f64 v[31:32], v[29:30], s[18:19], v[31:32]
	s_delay_alu instid0(VALU_DEP_1) | instskip(NEXT) | instid1(VALU_DEP_1)
	v_add_f64 v[29:30], v[33:34], v[31:32]
	v_add_f64 v[33:34], v[29:30], -v[33:34]
	s_delay_alu instid0(VALU_DEP_1)
	v_add_f64 v[31:32], v[31:32], -v[33:34]
	s_and_not1_saveexec_b32 s6, s6
	s_cbranch_execnz .LBB100_66
	s_branch .LBB100_67
.LBB100_65:                             ;   in Loop: Header=BB100_4 Depth=1
	s_and_not1_saveexec_b32 s6, s6
	s_cbranch_execz .LBB100_67
.LBB100_66:                             ;   in Loop: Header=BB100_4 Depth=1
	v_mul_f64 v[29:30], |v[17:18]|, s[26:27]
	s_mov_b32 s22, s28
	s_delay_alu instid0(VALU_DEP_1) | instskip(NEXT) | instid1(VALU_DEP_1)
	v_rndne_f64_e32 v[33:34], v[29:30]
	v_fma_f64 v[29:30], v[33:34], s[20:21], |v[17:18]|
	v_mul_f64 v[31:32], v[33:34], s[28:29]
	v_cvt_i32_f64_e32 v22, v[33:34]
	s_delay_alu instid0(VALU_DEP_3) | instskip(NEXT) | instid1(VALU_DEP_3)
	v_fma_f64 v[37:38], v[33:34], s[28:29], v[29:30]
	v_add_f64 v[35:36], v[29:30], v[31:32]
	s_delay_alu instid0(VALU_DEP_1) | instskip(NEXT) | instid1(VALU_DEP_3)
	v_add_f64 v[29:30], v[29:30], -v[35:36]
	v_add_f64 v[35:36], v[35:36], -v[37:38]
	s_delay_alu instid0(VALU_DEP_2) | instskip(SKIP_1) | instid1(VALU_DEP_2)
	v_add_f64 v[29:30], v[29:30], v[31:32]
	v_fma_f64 v[31:32], v[33:34], s[22:23], v[31:32]
	v_add_f64 v[29:30], v[35:36], v[29:30]
	s_delay_alu instid0(VALU_DEP_1) | instskip(NEXT) | instid1(VALU_DEP_1)
	v_add_f64 v[29:30], v[29:30], -v[31:32]
	v_fma_f64 v[31:32], v[33:34], s[30:31], v[29:30]
	s_delay_alu instid0(VALU_DEP_1) | instskip(NEXT) | instid1(VALU_DEP_1)
	v_add_f64 v[29:30], v[37:38], v[31:32]
	v_add_f64 v[35:36], v[29:30], -v[37:38]
	s_delay_alu instid0(VALU_DEP_1)
	v_add_f64 v[31:32], v[31:32], -v[35:36]
.LBB100_67:                             ;   in Loop: Header=BB100_4 Depth=1
	s_or_b32 exec_lo, exec_lo, s6
	s_delay_alu instid0(VALU_DEP_2) | instskip(NEXT) | instid1(VALU_DEP_2)
	v_mul_f64 v[33:34], v[9:10], v[9:10]
	v_mul_f64 v[49:50], v[27:28], 0.5
	s_delay_alu instid0(VALU_DEP_3)
	v_mul_f64 v[55:56], v[31:32], 0.5
	s_mov_b32 s48, s50
	v_cmp_nlt_f64_e64 vcc_lo, 0x4090cc00, |v[19:20]|
	v_lshlrev_b32_e32 v17, 30, v11
	v_and_b32_e32 v11, 1, v11
	s_mov_b32 s89, s47
	s_mov_b32 s91, s51
	s_delay_alu instid0(VALU_DEP_1) | instskip(SKIP_2) | instid1(VALU_DEP_2)
	v_cmp_eq_u32_e64 s6, 0, v11
	v_mul_f64 v[35:36], v[33:34], 0.5
	v_mul_f64 v[51:52], v[9:10], -v[33:34]
	v_add_f64 v[37:38], -v[35:36], 1.0
	s_delay_alu instid0(VALU_DEP_1) | instskip(NEXT) | instid1(VALU_DEP_1)
	v_add_f64 v[47:48], -v[37:38], 1.0
	v_add_f64 v[35:36], v[47:48], -v[35:36]
	v_fma_f64 v[47:48], v[33:34], s[38:39], s[36:37]
	s_delay_alu instid0(VALU_DEP_2) | instskip(NEXT) | instid1(VALU_DEP_2)
	v_fma_f64 v[35:36], v[9:10], -v[27:28], v[35:36]
	v_fma_f64 v[47:48], v[33:34], v[47:48], s[40:41]
	s_delay_alu instid0(VALU_DEP_1) | instskip(NEXT) | instid1(VALU_DEP_1)
	v_fma_f64 v[47:48], v[33:34], v[47:48], s[42:43]
	v_fma_f64 v[47:48], v[33:34], v[47:48], s[46:47]
	s_delay_alu instid0(VALU_DEP_1) | instskip(NEXT) | instid1(VALU_DEP_1)
	v_fma_f64 v[47:48], v[51:52], v[47:48], v[49:50]
	v_fma_f64 v[27:28], v[33:34], v[47:48], -v[27:28]
	v_fma_f64 v[47:48], v[33:34], s[100:101], s[98:99]
	s_delay_alu instid0(VALU_DEP_2) | instskip(NEXT) | instid1(VALU_DEP_2)
	v_fma_f64 v[27:28], v[51:52], s[48:49], v[27:28]
	v_fma_f64 v[47:48], v[33:34], v[47:48], s[102:103]
	s_delay_alu instid0(VALU_DEP_2) | instskip(NEXT) | instid1(VALU_DEP_2)
	v_add_f64 v[9:10], v[9:10], -v[27:28]
	v_fma_f64 v[47:48], v[33:34], v[47:48], s[10:11]
	s_delay_alu instid0(VALU_DEP_1) | instskip(NEXT) | instid1(VALU_DEP_1)
	v_fma_f64 v[47:48], v[33:34], v[47:48], s[34:35]
	v_fma_f64 v[47:48], v[33:34], v[47:48], s[50:51]
	v_mul_f64 v[33:34], v[33:34], v[33:34]
	s_delay_alu instid0(VALU_DEP_1) | instskip(SKIP_1) | instid1(VALU_DEP_2)
	v_fma_f64 v[33:34], v[33:34], v[47:48], v[35:36]
	v_mul_f64 v[35:36], v[29:30], v[29:30]
	v_add_f64 v[33:34], v[37:38], v[33:34]
	s_delay_alu instid0(VALU_DEP_2) | instskip(SKIP_1) | instid1(VALU_DEP_3)
	v_mul_f64 v[47:48], v[35:36], 0.5
	v_mul_f64 v[57:58], v[29:30], -v[35:36]
	v_cndmask_b32_e64 v10, v34, v10, s6
	s_delay_alu instid0(VALU_DEP_3) | instskip(SKIP_1) | instid1(VALU_DEP_2)
	v_add_f64 v[49:50], -v[47:48], 1.0
	v_cndmask_b32_e64 v9, v33, v9, s6
	v_add_f64 v[53:54], -v[49:50], 1.0
	s_delay_alu instid0(VALU_DEP_1) | instskip(SKIP_1) | instid1(VALU_DEP_2)
	v_add_f64 v[47:48], v[53:54], -v[47:48]
	v_fma_f64 v[53:54], v[35:36], s[38:39], s[36:37]
	v_fma_f64 v[47:48], v[29:30], -v[31:32], v[47:48]
	s_delay_alu instid0(VALU_DEP_2) | instskip(NEXT) | instid1(VALU_DEP_1)
	v_fma_f64 v[53:54], v[35:36], v[53:54], s[40:41]
	v_fma_f64 v[53:54], v[35:36], v[53:54], s[42:43]
	s_delay_alu instid0(VALU_DEP_1) | instskip(NEXT) | instid1(VALU_DEP_1)
	v_fma_f64 v[53:54], v[35:36], v[53:54], s[46:47]
	v_fma_f64 v[53:54], v[57:58], v[53:54], v[55:56]
	s_delay_alu instid0(VALU_DEP_1) | instskip(SKIP_1) | instid1(VALU_DEP_2)
	v_fma_f64 v[31:32], v[35:36], v[53:54], -v[31:32]
	v_fma_f64 v[53:54], v[35:36], s[100:101], s[98:99]
	v_fma_f64 v[31:32], v[57:58], s[48:49], v[31:32]
	s_delay_alu instid0(VALU_DEP_2) | instskip(NEXT) | instid1(VALU_DEP_2)
	v_fma_f64 v[53:54], v[35:36], v[53:54], s[102:103]
	v_add_f64 v[27:28], v[29:30], -v[31:32]
	s_delay_alu instid0(VALU_DEP_2) | instskip(SKIP_2) | instid1(VALU_DEP_1)
	v_fma_f64 v[53:54], v[35:36], v[53:54], s[10:11]
	v_mul_f64 v[29:30], |v[19:20]|, s[70:71]
	v_xor_b32_e32 v31, v17, v18
	v_and_b32_e32 v11, 0x80000000, v31
	s_delay_alu instid0(VALU_DEP_1) | instskip(SKIP_1) | instid1(VALU_DEP_2)
	v_xor_b32_e32 v10, v10, v11
	v_and_b32_e32 v11, 1, v22
	v_mul_f64 v[9:10], v[9:10], 4.0
	s_delay_alu instid0(VALU_DEP_2) | instskip(SKIP_3) | instid1(VALU_DEP_2)
	v_cmp_eq_u32_e64 s6, 0, v11
	v_xor_b32_e32 v11, 0x80000000, v28
	v_fma_f64 v[53:54], v[35:36], v[53:54], s[34:35]
	v_rndne_f64_e32 v[29:30], v[29:30]
	v_fma_f64 v[53:54], v[35:36], v[53:54], s[50:51]
	v_mul_f64 v[35:36], v[35:36], v[35:36]
	s_delay_alu instid0(VALU_DEP_3) | instskip(SKIP_1) | instid1(VALU_DEP_3)
	v_fma_f64 v[17:18], v[29:30], s[44:45], -|v[19:20]|
	v_lshlrev_b32_e32 v20, 30, v22
	v_fma_f64 v[35:36], v[35:36], v[53:54], v[47:48]
	s_delay_alu instid0(VALU_DEP_3) | instskip(NEXT) | instid1(VALU_DEP_2)
	v_fma_f64 v[17:18], v[29:30], s[66:67], v[17:18]
	v_add_f64 v[35:36], v[49:50], v[35:36]
	s_delay_alu instid0(VALU_DEP_1) | instskip(NEXT) | instid1(VALU_DEP_3)
	v_cndmask_b32_e64 v19, v27, v35, s6
	v_fma_f64 v[27:28], v[17:18], s[78:79], s[76:77]
	s_delay_alu instid0(VALU_DEP_3) | instskip(SKIP_1) | instid1(SALU_CYCLE_1)
	v_cndmask_b32_e64 v11, v11, v36, s6
	s_mov_b32 s6, 0x3ff00000
	v_bfi_b32 v22, 0x7fffffff, s6, v12
	v_and_b32_e32 v20, 0x80000000, v20
	s_delay_alu instid0(VALU_DEP_1) | instskip(SKIP_1) | instid1(VALU_DEP_2)
	v_xor_b32_e32 v20, v11, v20
	v_cvt_i32_f64_e32 v11, v[29:30]
	v_mul_f64 v[9:10], v[9:10], v[19:20]
	v_fma_f64 v[27:28], v[17:18], v[27:28], s[80:81]
	s_delay_alu instid0(VALU_DEP_1) | instskip(NEXT) | instid1(VALU_DEP_1)
	v_fma_f64 v[27:28], v[17:18], v[27:28], s[82:83]
	v_fma_f64 v[27:28], v[17:18], v[27:28], s[84:85]
	s_delay_alu instid0(VALU_DEP_1) | instskip(NEXT) | instid1(VALU_DEP_1)
	v_fma_f64 v[27:28], v[17:18], v[27:28], s[86:87]
	;; [unrolled: 3-line block ×4, first 2 shown]
	v_fma_f64 v[27:28], v[17:18], v[27:28], 1.0
	s_delay_alu instid0(VALU_DEP_1) | instskip(NEXT) | instid1(VALU_DEP_1)
	v_fma_f64 v[17:18], v[17:18], v[27:28], 1.0
	v_ldexp_f64 v[17:18], v[17:18], v11
	v_dual_mov_b32 v11, v21 :: v_dual_mov_b32 v12, v22
	s_delay_alu instid0(VALU_DEP_2) | instskip(NEXT) | instid1(VALU_DEP_1)
	v_dual_cndmask_b32 v18, 0, v18 :: v_dual_cndmask_b32 v17, 0, v17
	v_mul_f64 v[9:10], v[17:18], v[9:10]
	s_delay_alu instid0(VALU_DEP_1)
	v_mul_f64 v[9:10], v[17:18], v[9:10]
.LBB100_68:                             ;   in Loop: Header=BB100_4 Depth=1
	s_or_b32 exec_lo, exec_lo, s63
                                        ; implicit-def: $vgpr17_vgpr18
.LBB100_69:                             ;   in Loop: Header=BB100_4 Depth=1
	s_and_not1_saveexec_b32 s6, s53
; %bb.70:                               ;   in Loop: Header=BB100_4 Depth=1
	v_add_f64 v[9:10], v[17:18], -v[17:18]
	s_delay_alu instid0(VALU_DEP_1)
	v_dual_mov_b32 v12, v10 :: v_dual_mov_b32 v11, v9
; %bb.71:                               ;   in Loop: Header=BB100_4 Depth=1
	s_or_b32 exec_lo, exec_lo, s6
                                        ; implicit-def: $vgpr17_vgpr18
.LBB100_72:                             ;   in Loop: Header=BB100_4 Depth=1
	s_and_not1_saveexec_b32 s53, s7
	s_cbranch_execz .LBB100_88
; %bb.73:                               ;   in Loop: Header=BB100_4 Depth=1
	s_delay_alu instid0(VALU_DEP_1) | instskip(SKIP_1) | instid1(VALU_DEP_1)
	v_and_or_b32 v9, 0xfffff, v12, v11
	s_mov_b32 s6, exec_lo
	v_cmpx_ne_u32_e32 0, v9
	s_xor_b32 s6, exec_lo, s6
; %bb.74:                               ;   in Loop: Header=BB100_4 Depth=1
	v_mul_f64 v[9:10], v[17:18], -v[19:20]
	v_cmp_eq_f64_e32 vcc_lo, 0, v[17:18]
	s_delay_alu instid0(VALU_DEP_2)
	v_dual_cndmask_b32 v10, v10, v18 :: v_dual_cndmask_b32 v9, v9, v17
                                        ; implicit-def: $vgpr17_vgpr18
; %bb.75:                               ;   in Loop: Header=BB100_4 Depth=1
	s_and_not1_saveexec_b32 s63, s6
	s_cbranch_execz .LBB100_87
; %bb.76:                               ;   in Loop: Header=BB100_4 Depth=1
	s_mov_b32 s64, exec_lo
	v_cmpx_neq_f64_e64 0x7ff00000, |v[17:18]|
	s_cbranch_execz .LBB100_86
; %bb.77:                               ;   in Loop: Header=BB100_4 Depth=1
	v_cmp_ngt_f64_e64 s6, 0x41d00000, |v[17:18]|
	v_trig_preop_f64 v[31:32], |v[17:18]|, 0
	v_trig_preop_f64 v[29:30], |v[17:18]|, 1
	v_ldexp_f64 v[33:34], |v[17:18]|, 0xffffff80
	v_trig_preop_f64 v[27:28], |v[17:18]|, 2
	v_and_b32_e32 v48, 0x7fffffff, v18
                                        ; implicit-def: $vgpr47
                                        ; implicit-def: $vgpr9_vgpr10
                                        ; implicit-def: $vgpr19_vgpr20
	s_and_saveexec_b32 s7, s6
	s_delay_alu instid0(SALU_CYCLE_1)
	s_xor_b32 s7, exec_lo, s7
	s_cbranch_execz .LBB100_79
; %bb.78:                               ;   in Loop: Header=BB100_4 Depth=1
	v_cmp_le_f64_e64 vcc_lo, 0x7b000000, |v[17:18]|
	s_mov_b32 s18, s20
	s_mov_b32 s25, s23
	s_delay_alu instid0(VALU_DEP_4) | instskip(NEXT) | instid1(VALU_DEP_1)
	v_dual_cndmask_b32 v10, v48, v34 :: v_dual_cndmask_b32 v9, v17, v33
	v_mul_f64 v[19:20], v[31:32], v[9:10]
	v_mul_f64 v[35:36], v[29:30], v[9:10]
	s_delay_alu instid0(VALU_DEP_2) | instskip(NEXT) | instid1(VALU_DEP_1)
	v_fma_f64 v[37:38], v[31:32], v[9:10], -v[19:20]
	v_add_f64 v[49:50], v[35:36], v[37:38]
	s_delay_alu instid0(VALU_DEP_1) | instskip(SKIP_1) | instid1(VALU_DEP_2)
	v_add_f64 v[51:52], v[49:50], -v[35:36]
	v_add_f64 v[53:54], v[19:20], v[49:50]
	v_add_f64 v[37:38], v[37:38], -v[51:52]
	s_delay_alu instid0(VALU_DEP_2) | instskip(SKIP_1) | instid1(VALU_DEP_2)
	v_add_f64 v[19:20], v[53:54], -v[19:20]
	v_add_f64 v[51:52], v[49:50], -v[51:52]
	;; [unrolled: 1-line block ×3, first 2 shown]
	s_delay_alu instid0(VALU_DEP_2) | instskip(SKIP_2) | instid1(VALU_DEP_3)
	v_add_f64 v[49:50], v[35:36], -v[51:52]
	v_fma_f64 v[35:36], v[29:30], v[9:10], -v[35:36]
	v_mul_f64 v[51:52], v[27:28], v[9:10]
	v_add_f64 v[37:38], v[37:38], v[49:50]
	v_ldexp_f64 v[49:50], v[53:54], -2
	s_delay_alu instid0(VALU_DEP_3) | instskip(SKIP_1) | instid1(VALU_DEP_3)
	v_add_f64 v[53:54], v[51:52], v[35:36]
	v_fma_f64 v[9:10], v[27:28], v[9:10], -v[51:52]
	v_cmp_neq_f64_e64 vcc_lo, 0x7ff00000, |v[49:50]|
	s_delay_alu instid0(VALU_DEP_3) | instskip(SKIP_2) | instid1(VALU_DEP_3)
	v_add_f64 v[57:58], v[53:54], v[37:38]
	v_add_f64 v[55:56], v[53:54], -v[51:52]
	v_fract_f64_e32 v[49:50], v[49:50]
	v_add_f64 v[59:60], v[57:58], -v[53:54]
	s_delay_alu instid0(VALU_DEP_3) | instskip(SKIP_1) | instid1(VALU_DEP_4)
	v_add_f64 v[35:36], v[35:36], -v[55:56]
	v_add_f64 v[55:56], v[53:54], -v[55:56]
	v_dual_cndmask_b32 v50, 0, v50 :: v_dual_cndmask_b32 v49, 0, v49
	s_delay_alu instid0(VALU_DEP_1) | instskip(SKIP_4) | instid1(VALU_DEP_3)
	v_ldexp_f64 v[49:50], v[49:50], 2
	v_add_f64 v[37:38], v[37:38], -v[59:60]
	v_add_f64 v[59:60], v[57:58], -v[59:60]
	v_add_f64 v[55:56], v[51:52], -v[55:56]
	v_add_f64 v[51:52], v[19:20], v[57:58]
	v_add_f64 v[53:54], v[53:54], -v[59:60]
	s_delay_alu instid0(VALU_DEP_3) | instskip(NEXT) | instid1(VALU_DEP_3)
	v_add_f64 v[35:36], v[35:36], v[55:56]
	v_add_f64 v[19:20], v[51:52], -v[19:20]
	s_delay_alu instid0(VALU_DEP_3) | instskip(SKIP_1) | instid1(VALU_DEP_3)
	v_add_f64 v[37:38], v[37:38], v[53:54]
	v_add_f64 v[53:54], v[51:52], v[49:50]
	v_add_f64 v[19:20], v[57:58], -v[19:20]
	s_delay_alu instid0(VALU_DEP_3) | instskip(NEXT) | instid1(VALU_DEP_3)
	v_add_f64 v[35:36], v[35:36], v[37:38]
	v_cmp_gt_f64_e32 vcc_lo, 0, v[53:54]
	s_delay_alu instid0(VALU_DEP_2) | instskip(SKIP_1) | instid1(VALU_DEP_1)
	v_add_f64 v[9:10], v[9:10], v[35:36]
	v_cndmask_b32_e64 v22, 0, 0x40100000, vcc_lo
	v_add_f64 v[35:36], v[49:50], v[21:22]
	s_delay_alu instid0(VALU_DEP_3) | instskip(NEXT) | instid1(VALU_DEP_2)
	v_add_f64 v[9:10], v[19:20], v[9:10]
	v_add_f64 v[37:38], v[51:52], v[35:36]
	s_delay_alu instid0(VALU_DEP_1) | instskip(NEXT) | instid1(VALU_DEP_1)
	v_cvt_i32_f64_e32 v47, v[37:38]
	v_cvt_f64_i32_e32 v[37:38], v47
	s_delay_alu instid0(VALU_DEP_1) | instskip(NEXT) | instid1(VALU_DEP_1)
	v_add_f64 v[35:36], v[35:36], -v[37:38]
	v_add_f64 v[19:20], v[51:52], v[35:36]
	s_delay_alu instid0(VALU_DEP_1) | instskip(SKIP_1) | instid1(VALU_DEP_2)
	v_add_f64 v[35:36], v[19:20], -v[35:36]
	v_cmp_le_f64_e32 vcc_lo, 0.5, v[19:20]
	v_add_f64 v[35:36], v[51:52], -v[35:36]
	v_cndmask_b32_e64 v22, 0, 0x3ff00000, vcc_lo
	v_add_co_ci_u32_e32 v47, vcc_lo, 0, v47, vcc_lo
	s_delay_alu instid0(VALU_DEP_2) | instskip(NEXT) | instid1(VALU_DEP_4)
	v_add_f64 v[19:20], v[19:20], -v[21:22]
	v_add_f64 v[9:10], v[9:10], v[35:36]
	s_delay_alu instid0(VALU_DEP_1) | instskip(NEXT) | instid1(VALU_DEP_1)
	v_add_f64 v[35:36], v[19:20], v[9:10]
	v_add_f64 v[19:20], v[35:36], -v[19:20]
	s_delay_alu instid0(VALU_DEP_1) | instskip(SKIP_1) | instid1(VALU_DEP_1)
	v_add_f64 v[9:10], v[9:10], -v[19:20]
	v_mul_f64 v[19:20], v[35:36], s[18:19]
	v_fma_f64 v[37:38], v[35:36], s[18:19], -v[19:20]
	s_delay_alu instid0(VALU_DEP_1) | instskip(NEXT) | instid1(VALU_DEP_1)
	v_fma_f64 v[35:36], v[35:36], s[24:25], v[37:38]
	v_fma_f64 v[35:36], v[9:10], s[18:19], v[35:36]
	s_delay_alu instid0(VALU_DEP_1) | instskip(NEXT) | instid1(VALU_DEP_1)
	v_add_f64 v[9:10], v[19:20], v[35:36]
	v_add_f64 v[19:20], v[9:10], -v[19:20]
	s_delay_alu instid0(VALU_DEP_1)
	v_add_f64 v[19:20], v[35:36], -v[19:20]
	s_and_not1_saveexec_b32 s7, s7
	s_cbranch_execz .LBB100_81
	s_branch .LBB100_80
.LBB100_79:                             ;   in Loop: Header=BB100_4 Depth=1
	s_and_not1_saveexec_b32 s7, s7
	s_cbranch_execz .LBB100_81
.LBB100_80:                             ;   in Loop: Header=BB100_4 Depth=1
	v_mul_f64 v[9:10], |v[17:18]|, s[26:27]
	s_mov_b32 s22, s28
	s_delay_alu instid0(VALU_DEP_1) | instskip(NEXT) | instid1(VALU_DEP_1)
	v_rndne_f64_e32 v[35:36], v[9:10]
	v_fma_f64 v[9:10], v[35:36], s[20:21], |v[17:18]|
	v_mul_f64 v[19:20], v[35:36], s[28:29]
	v_cvt_i32_f64_e32 v47, v[35:36]
	s_delay_alu instid0(VALU_DEP_3) | instskip(NEXT) | instid1(VALU_DEP_3)
	v_fma_f64 v[49:50], v[35:36], s[28:29], v[9:10]
	v_add_f64 v[37:38], v[9:10], v[19:20]
	s_delay_alu instid0(VALU_DEP_1) | instskip(NEXT) | instid1(VALU_DEP_3)
	v_add_f64 v[9:10], v[9:10], -v[37:38]
	v_add_f64 v[37:38], v[37:38], -v[49:50]
	s_delay_alu instid0(VALU_DEP_2) | instskip(SKIP_1) | instid1(VALU_DEP_2)
	v_add_f64 v[9:10], v[9:10], v[19:20]
	v_fma_f64 v[19:20], v[35:36], s[22:23], v[19:20]
	v_add_f64 v[9:10], v[37:38], v[9:10]
	s_delay_alu instid0(VALU_DEP_1) | instskip(NEXT) | instid1(VALU_DEP_1)
	v_add_f64 v[9:10], v[9:10], -v[19:20]
	v_fma_f64 v[19:20], v[35:36], s[30:31], v[9:10]
	s_delay_alu instid0(VALU_DEP_1) | instskip(NEXT) | instid1(VALU_DEP_1)
	v_add_f64 v[9:10], v[49:50], v[19:20]
	v_add_f64 v[37:38], v[9:10], -v[49:50]
	s_delay_alu instid0(VALU_DEP_1)
	v_add_f64 v[19:20], v[19:20], -v[37:38]
.LBB100_81:                             ;   in Loop: Header=BB100_4 Depth=1
	s_or_b32 exec_lo, exec_lo, s7
                                        ; implicit-def: $vgpr22
                                        ; implicit-def: $vgpr35_vgpr36
                                        ; implicit-def: $vgpr37_vgpr38
	s_and_saveexec_b32 s7, s6
	s_delay_alu instid0(SALU_CYCLE_1)
	s_xor_b32 s6, exec_lo, s7
	s_cbranch_execz .LBB100_83
; %bb.82:                               ;   in Loop: Header=BB100_4 Depth=1
	v_cmp_le_f64_e64 vcc_lo, 0x7b000000, |v[17:18]|
	s_mov_b32 s18, s20
	s_mov_b32 s25, s23
	s_delay_alu instid0(VALU_DEP_4) | instskip(NEXT) | instid1(VALU_DEP_1)
	v_dual_cndmask_b32 v34, v48, v34 :: v_dual_cndmask_b32 v33, v17, v33
	v_mul_f64 v[35:36], v[31:32], v[33:34]
	v_mul_f64 v[37:38], v[29:30], v[33:34]
	;; [unrolled: 1-line block ×3, first 2 shown]
	s_delay_alu instid0(VALU_DEP_3) | instskip(NEXT) | instid1(VALU_DEP_3)
	v_fma_f64 v[31:32], v[31:32], v[33:34], -v[35:36]
	v_fma_f64 v[29:30], v[29:30], v[33:34], -v[37:38]
	s_delay_alu instid0(VALU_DEP_3) | instskip(NEXT) | instid1(VALU_DEP_3)
	v_fma_f64 v[27:28], v[27:28], v[33:34], -v[48:49]
	v_add_f64 v[33:34], v[37:38], v[31:32]
	s_delay_alu instid0(VALU_DEP_1) | instskip(NEXT) | instid1(VALU_DEP_1)
	v_add_f64 v[50:51], v[33:34], -v[37:38]
	v_add_f64 v[31:32], v[31:32], -v[50:51]
	;; [unrolled: 1-line block ×3, first 2 shown]
	s_delay_alu instid0(VALU_DEP_1) | instskip(SKIP_1) | instid1(VALU_DEP_2)
	v_add_f64 v[37:38], v[37:38], -v[50:51]
	v_add_f64 v[50:51], v[35:36], v[33:34]
	v_add_f64 v[31:32], v[31:32], v[37:38]
	s_delay_alu instid0(VALU_DEP_2) | instskip(SKIP_1) | instid1(VALU_DEP_2)
	v_add_f64 v[35:36], v[50:51], -v[35:36]
	v_ldexp_f64 v[50:51], v[50:51], -2
	v_add_f64 v[33:34], v[33:34], -v[35:36]
	v_add_f64 v[35:36], v[48:49], v[29:30]
	s_delay_alu instid0(VALU_DEP_3) | instskip(SKIP_1) | instid1(VALU_DEP_3)
	v_cmp_neq_f64_e64 vcc_lo, 0x7ff00000, |v[50:51]|
	v_fract_f64_e32 v[50:51], v[50:51]
	v_add_f64 v[37:38], v[35:36], -v[48:49]
	s_delay_alu instid0(VALU_DEP_2) | instskip(NEXT) | instid1(VALU_DEP_2)
	v_dual_cndmask_b32 v51, 0, v51 :: v_dual_cndmask_b32 v50, 0, v50
	v_add_f64 v[29:30], v[29:30], -v[37:38]
	v_add_f64 v[37:38], v[35:36], -v[37:38]
	s_delay_alu instid0(VALU_DEP_1) | instskip(SKIP_1) | instid1(VALU_DEP_2)
	v_add_f64 v[37:38], v[48:49], -v[37:38]
	v_add_f64 v[48:49], v[35:36], v[31:32]
	v_add_f64 v[29:30], v[29:30], v[37:38]
	s_delay_alu instid0(VALU_DEP_2) | instskip(SKIP_1) | instid1(VALU_DEP_2)
	v_add_f64 v[52:53], v[48:49], -v[35:36]
	v_add_f64 v[37:38], v[33:34], v[48:49]
	v_add_f64 v[31:32], v[31:32], -v[52:53]
	v_add_f64 v[52:53], v[48:49], -v[52:53]
	s_delay_alu instid0(VALU_DEP_1) | instskip(NEXT) | instid1(VALU_DEP_1)
	v_add_f64 v[35:36], v[35:36], -v[52:53]
	v_add_f64 v[31:32], v[31:32], v[35:36]
	v_ldexp_f64 v[35:36], v[50:51], 2
	s_delay_alu instid0(VALU_DEP_2) | instskip(NEXT) | instid1(VALU_DEP_2)
	v_add_f64 v[29:30], v[29:30], v[31:32]
	v_add_f64 v[50:51], v[37:38], v[35:36]
	v_add_f64 v[31:32], v[37:38], -v[33:34]
	s_delay_alu instid0(VALU_DEP_3) | instskip(NEXT) | instid1(VALU_DEP_3)
	v_add_f64 v[27:28], v[27:28], v[29:30]
	v_cmp_gt_f64_e32 vcc_lo, 0, v[50:51]
	s_delay_alu instid0(VALU_DEP_3) | instskip(SKIP_1) | instid1(VALU_DEP_2)
	v_add_f64 v[31:32], v[48:49], -v[31:32]
	v_cndmask_b32_e64 v22, 0, 0x40100000, vcc_lo
	v_add_f64 v[27:28], v[31:32], v[27:28]
	s_delay_alu instid0(VALU_DEP_2) | instskip(NEXT) | instid1(VALU_DEP_1)
	v_add_f64 v[29:30], v[35:36], v[21:22]
	v_add_f64 v[33:34], v[37:38], v[29:30]
	s_delay_alu instid0(VALU_DEP_1) | instskip(NEXT) | instid1(VALU_DEP_1)
	v_cvt_i32_f64_e32 v48, v[33:34]
	v_cvt_f64_i32_e32 v[33:34], v48
	s_delay_alu instid0(VALU_DEP_1) | instskip(NEXT) | instid1(VALU_DEP_1)
	v_add_f64 v[29:30], v[29:30], -v[33:34]
	v_add_f64 v[31:32], v[37:38], v[29:30]
	s_delay_alu instid0(VALU_DEP_1) | instskip(SKIP_1) | instid1(VALU_DEP_2)
	v_add_f64 v[29:30], v[31:32], -v[29:30]
	v_cmp_le_f64_e32 vcc_lo, 0.5, v[31:32]
	v_add_f64 v[29:30], v[37:38], -v[29:30]
	v_cndmask_b32_e64 v22, 0, 0x3ff00000, vcc_lo
	s_delay_alu instid0(VALU_DEP_1) | instskip(SKIP_1) | instid1(VALU_DEP_4)
	v_add_f64 v[31:32], v[31:32], -v[21:22]
	v_add_co_ci_u32_e32 v22, vcc_lo, 0, v48, vcc_lo
	v_add_f64 v[27:28], v[27:28], v[29:30]
	s_delay_alu instid0(VALU_DEP_1) | instskip(NEXT) | instid1(VALU_DEP_1)
	v_add_f64 v[29:30], v[31:32], v[27:28]
	v_add_f64 v[31:32], v[29:30], -v[31:32]
	s_delay_alu instid0(VALU_DEP_1) | instskip(SKIP_1) | instid1(VALU_DEP_1)
	v_add_f64 v[27:28], v[27:28], -v[31:32]
	v_mul_f64 v[31:32], v[29:30], s[18:19]
	v_fma_f64 v[33:34], v[29:30], s[18:19], -v[31:32]
	s_delay_alu instid0(VALU_DEP_1) | instskip(NEXT) | instid1(VALU_DEP_1)
	v_fma_f64 v[29:30], v[29:30], s[24:25], v[33:34]
	v_fma_f64 v[27:28], v[27:28], s[18:19], v[29:30]
	s_delay_alu instid0(VALU_DEP_1) | instskip(NEXT) | instid1(VALU_DEP_1)
	v_add_f64 v[35:36], v[31:32], v[27:28]
	v_add_f64 v[29:30], v[35:36], -v[31:32]
	s_delay_alu instid0(VALU_DEP_1)
	v_add_f64 v[37:38], v[27:28], -v[29:30]
	s_and_not1_saveexec_b32 s6, s6
	s_cbranch_execnz .LBB100_84
	s_branch .LBB100_85
.LBB100_83:                             ;   in Loop: Header=BB100_4 Depth=1
	s_and_not1_saveexec_b32 s6, s6
	s_cbranch_execz .LBB100_85
.LBB100_84:                             ;   in Loop: Header=BB100_4 Depth=1
	v_mul_f64 v[27:28], |v[17:18]|, s[26:27]
	s_mov_b32 s22, s28
	s_delay_alu instid0(VALU_DEP_1) | instskip(NEXT) | instid1(VALU_DEP_1)
	v_rndne_f64_e32 v[27:28], v[27:28]
	v_fma_f64 v[29:30], v[27:28], s[20:21], |v[17:18]|
	v_mul_f64 v[31:32], v[27:28], s[28:29]
	v_cvt_i32_f64_e32 v22, v[27:28]
	s_delay_alu instid0(VALU_DEP_3) | instskip(NEXT) | instid1(VALU_DEP_3)
	v_fma_f64 v[37:38], v[27:28], s[28:29], v[29:30]
	v_add_f64 v[33:34], v[29:30], v[31:32]
	s_delay_alu instid0(VALU_DEP_1) | instskip(NEXT) | instid1(VALU_DEP_3)
	v_add_f64 v[29:30], v[29:30], -v[33:34]
	v_add_f64 v[33:34], v[33:34], -v[37:38]
	s_delay_alu instid0(VALU_DEP_2) | instskip(SKIP_1) | instid1(VALU_DEP_2)
	v_add_f64 v[29:30], v[29:30], v[31:32]
	v_fma_f64 v[31:32], v[27:28], s[22:23], v[31:32]
	v_add_f64 v[29:30], v[33:34], v[29:30]
	s_delay_alu instid0(VALU_DEP_1) | instskip(NEXT) | instid1(VALU_DEP_1)
	v_add_f64 v[29:30], v[29:30], -v[31:32]
	v_fma_f64 v[29:30], v[27:28], s[30:31], v[29:30]
	s_delay_alu instid0(VALU_DEP_1) | instskip(NEXT) | instid1(VALU_DEP_1)
	v_add_f64 v[35:36], v[37:38], v[29:30]
	v_add_f64 v[31:32], v[35:36], -v[37:38]
	s_delay_alu instid0(VALU_DEP_1)
	v_add_f64 v[37:38], v[29:30], -v[31:32]
.LBB100_85:                             ;   in Loop: Header=BB100_4 Depth=1
	s_or_b32 exec_lo, exec_lo, s6
	v_cmp_class_f64_e64 vcc_lo, v[17:18], 0x1f8
	v_lshlrev_b32_e32 v17, 30, v47
	s_delay_alu instid0(VALU_DEP_3) | instskip(NEXT) | instid1(VALU_DEP_4)
	v_mul_f64 v[33:34], v[19:20], 0.5
	v_mul_f64 v[52:53], v[37:38], 0.5
	s_mov_b32 s48, s50
	s_delay_alu instid0(VALU_DEP_3) | instskip(SKIP_1) | instid1(VALU_DEP_1)
	v_xor_b32_e32 v56, v17, v18
	v_mul_f64 v[17:18], v[9:10], v[9:10]
	v_mul_f64 v[27:28], v[17:18], 0.5
	v_mul_f64 v[48:49], v[9:10], -v[17:18]
	s_delay_alu instid0(VALU_DEP_2) | instskip(NEXT) | instid1(VALU_DEP_1)
	v_add_f64 v[29:30], -v[27:28], 1.0
	v_add_f64 v[31:32], -v[29:30], 1.0
	s_delay_alu instid0(VALU_DEP_1) | instskip(SKIP_1) | instid1(VALU_DEP_2)
	v_add_f64 v[27:28], v[31:32], -v[27:28]
	v_fma_f64 v[31:32], v[17:18], s[38:39], s[36:37]
	v_fma_f64 v[27:28], v[9:10], -v[19:20], v[27:28]
	s_delay_alu instid0(VALU_DEP_2) | instskip(NEXT) | instid1(VALU_DEP_1)
	v_fma_f64 v[31:32], v[17:18], v[31:32], s[40:41]
	v_fma_f64 v[31:32], v[17:18], v[31:32], s[42:43]
	s_delay_alu instid0(VALU_DEP_1) | instskip(NEXT) | instid1(VALU_DEP_1)
	v_fma_f64 v[31:32], v[17:18], v[31:32], s[46:47]
	v_fma_f64 v[31:32], v[48:49], v[31:32], v[33:34]
	s_delay_alu instid0(VALU_DEP_1) | instskip(SKIP_1) | instid1(VALU_DEP_2)
	v_fma_f64 v[19:20], v[17:18], v[31:32], -v[19:20]
	v_fma_f64 v[31:32], v[17:18], s[100:101], s[98:99]
	v_fma_f64 v[19:20], v[48:49], s[48:49], v[19:20]
	s_delay_alu instid0(VALU_DEP_2) | instskip(NEXT) | instid1(VALU_DEP_2)
	v_fma_f64 v[31:32], v[17:18], v[31:32], s[102:103]
	v_add_f64 v[9:10], v[9:10], -v[19:20]
	s_delay_alu instid0(VALU_DEP_2) | instskip(NEXT) | instid1(VALU_DEP_1)
	v_fma_f64 v[31:32], v[17:18], v[31:32], s[10:11]
	v_fma_f64 v[31:32], v[17:18], v[31:32], s[34:35]
	s_delay_alu instid0(VALU_DEP_1) | instskip(SKIP_1) | instid1(VALU_DEP_1)
	v_fma_f64 v[31:32], v[17:18], v[31:32], s[50:51]
	v_mul_f64 v[17:18], v[17:18], v[17:18]
	v_fma_f64 v[17:18], v[17:18], v[31:32], v[27:28]
	v_mul_f64 v[27:28], v[35:36], v[35:36]
	s_delay_alu instid0(VALU_DEP_2) | instskip(NEXT) | instid1(VALU_DEP_2)
	v_add_f64 v[17:18], v[29:30], v[17:18]
	v_mul_f64 v[31:32], v[27:28], 0.5
	v_mul_f64 v[54:55], v[35:36], -v[27:28]
	s_delay_alu instid0(VALU_DEP_2) | instskip(NEXT) | instid1(VALU_DEP_1)
	v_add_f64 v[33:34], -v[31:32], 1.0
	v_add_f64 v[50:51], -v[33:34], 1.0
	s_delay_alu instid0(VALU_DEP_1) | instskip(SKIP_1) | instid1(VALU_DEP_2)
	v_add_f64 v[31:32], v[50:51], -v[31:32]
	v_fma_f64 v[50:51], v[27:28], s[38:39], s[36:37]
	v_fma_f64 v[31:32], v[35:36], -v[37:38], v[31:32]
	s_delay_alu instid0(VALU_DEP_2) | instskip(NEXT) | instid1(VALU_DEP_1)
	v_fma_f64 v[50:51], v[27:28], v[50:51], s[40:41]
	v_fma_f64 v[50:51], v[27:28], v[50:51], s[42:43]
	s_delay_alu instid0(VALU_DEP_1) | instskip(NEXT) | instid1(VALU_DEP_1)
	v_fma_f64 v[50:51], v[27:28], v[50:51], s[46:47]
	v_fma_f64 v[50:51], v[54:55], v[50:51], v[52:53]
	s_delay_alu instid0(VALU_DEP_1) | instskip(SKIP_1) | instid1(VALU_DEP_1)
	v_fma_f64 v[37:38], v[27:28], v[50:51], -v[37:38]
	v_fma_f64 v[50:51], v[27:28], s[100:101], s[98:99]
	v_fma_f64 v[50:51], v[27:28], v[50:51], s[102:103]
	s_delay_alu instid0(VALU_DEP_1) | instskip(NEXT) | instid1(VALU_DEP_1)
	v_fma_f64 v[50:51], v[27:28], v[50:51], s[10:11]
	v_fma_f64 v[50:51], v[27:28], v[50:51], s[34:35]
	s_delay_alu instid0(VALU_DEP_1) | instskip(SKIP_1) | instid1(VALU_DEP_1)
	v_fma_f64 v[50:51], v[27:28], v[50:51], s[50:51]
	v_mul_f64 v[27:28], v[27:28], v[27:28]
	v_fma_f64 v[27:28], v[27:28], v[50:51], v[31:32]
	v_fma_f64 v[31:32], v[54:55], s[48:49], v[37:38]
	s_delay_alu instid0(VALU_DEP_2) | instskip(NEXT) | instid1(VALU_DEP_2)
	v_add_f64 v[19:20], v[33:34], v[27:28]
	v_add_f64 v[31:32], v[35:36], -v[31:32]
	v_and_b32_e32 v27, 1, v47
	s_delay_alu instid0(VALU_DEP_1) | instskip(NEXT) | instid1(VALU_DEP_1)
	v_cmp_eq_u32_e64 s6, 0, v27
	v_cndmask_b32_e64 v9, v17, v9, s6
	v_and_b32_e32 v28, 1, v22
	v_cndmask_b32_e64 v10, v18, v10, s6
	s_delay_alu instid0(VALU_DEP_3) | instskip(NEXT) | instid1(VALU_DEP_3)
	v_cndmask_b32_e32 v9, 0, v9, vcc_lo
	v_cmp_eq_u32_e64 s7, 0, v28
	v_and_b32_e32 v28, 0x80000000, v56
	s_delay_alu instid0(VALU_DEP_1) | instskip(NEXT) | instid1(VALU_DEP_1)
	v_xor_b32_e32 v10, v10, v28
	v_cndmask_b32_e32 v10, 0x7ff80000, v10, vcc_lo
	v_xor_b32_e32 v27, 0x80000000, v32
	v_cndmask_b32_e64 v17, v31, v19, s7
	v_lshlrev_b32_e32 v22, 30, v22
	s_delay_alu instid0(VALU_DEP_3) | instskip(NEXT) | instid1(VALU_DEP_2)
	v_cndmask_b32_e64 v20, v27, v20, s7
	v_dual_cndmask_b32 v17, 0, v17 :: v_dual_and_b32 v18, 0x80000000, v22
	s_delay_alu instid0(VALU_DEP_1) | instskip(NEXT) | instid1(VALU_DEP_1)
	v_xor_b32_e32 v18, v20, v18
	v_cndmask_b32_e32 v18, 0x7ff80000, v18, vcc_lo
	s_delay_alu instid0(VALU_DEP_1)
	v_mul_f64 v[17:18], v[9:10], v[17:18]
.LBB100_86:                             ;   in Loop: Header=BB100_4 Depth=1
	s_or_b32 exec_lo, exec_lo, s64
	s_delay_alu instid0(VALU_DEP_1) | instskip(SKIP_2) | instid1(VALU_DEP_3)
	v_bfi_b32 v22, 0x7fffffff, 0, v18
	v_add_co_u32 v11, vcc_lo, v11, 0
	v_add_co_ci_u32_e32 v12, vcc_lo, -2.0, v12, vcc_lo
	v_dual_mov_b32 v9, v21 :: v_dual_mov_b32 v10, v22
.LBB100_87:                             ;   in Loop: Header=BB100_4 Depth=1
	s_or_b32 exec_lo, exec_lo, s63
.LBB100_88:                             ;   in Loop: Header=BB100_4 Depth=1
	s_delay_alu instid0(SALU_CYCLE_1) | instskip(SKIP_3) | instid1(VALU_DEP_2)
	s_or_b32 exec_lo, exec_lo, s53
	v_xor_b32_e32 v20, 0x80000000, v16
	v_mov_b32_e32 v19, v15
	s_mov_b32 s6, exec_lo
	v_and_b32_e32 v17, 0x7fffffff, v20
	s_delay_alu instid0(VALU_DEP_1)
	v_cmpx_gt_u32_e32 0x7ff00000, v17
	s_xor_b32 s7, exec_lo, s6
	s_cbranch_execz .LBB100_110
; %bb.89:                               ;   in Loop: Header=BB100_4 Depth=1
	v_cmp_class_f64_e64 s6, v[13:14], 0x1f8
	s_delay_alu instid0(VALU_DEP_1) | instskip(NEXT) | instid1(SALU_CYCLE_1)
	s_and_saveexec_b32 s18, s6
	s_xor_b32 s53, exec_lo, s18
	s_cbranch_execz .LBB100_107
; %bb.90:                               ;   in Loop: Header=BB100_4 Depth=1
	s_mov_b32 s6, exec_lo
	v_cmpx_gt_u32_e32 0x40360000, v17
	s_xor_b32 s48, exec_lo, s6
	s_cbranch_execz .LBB100_96
; %bb.91:                               ;   in Loop: Header=BB100_4 Depth=1
	v_cmp_ngt_f64_e64 s6, 0x41d00000, |v[13:14]|
                                        ; implicit-def: $vgpr19
                                        ; implicit-def: $vgpr17_vgpr18
                                        ; implicit-def: $vgpr27_vgpr28
	s_delay_alu instid0(VALU_DEP_1) | instskip(NEXT) | instid1(SALU_CYCLE_1)
	s_and_saveexec_b32 s18, s6
	s_xor_b32 s6, exec_lo, s18
	s_cbranch_execz .LBB100_93
; %bb.92:                               ;   in Loop: Header=BB100_4 Depth=1
	v_ldexp_f64 v[17:18], |v[13:14]|, 0xffffff80
	v_cmp_le_f64_e64 vcc_lo, 0x7b000000, |v[13:14]|
	v_trig_preop_f64 v[27:28], |v[13:14]|, 0
	v_and_b32_e32 v19, 0x7fffffff, v14
	v_trig_preop_f64 v[31:32], |v[13:14]|, 1
	v_trig_preop_f64 v[35:36], |v[13:14]|, 2
	s_mov_b32 s18, s20
	s_mov_b32 s25, s23
	v_dual_cndmask_b32 v18, v19, v18 :: v_dual_cndmask_b32 v17, v13, v17
	s_delay_alu instid0(VALU_DEP_1) | instskip(NEXT) | instid1(VALU_DEP_4)
	v_mul_f64 v[29:30], v[27:28], v[17:18]
	v_mul_f64 v[33:34], v[31:32], v[17:18]
	s_delay_alu instid0(VALU_DEP_4) | instskip(NEXT) | instid1(VALU_DEP_3)
	v_mul_f64 v[37:38], v[35:36], v[17:18]
	v_fma_f64 v[27:28], v[27:28], v[17:18], -v[29:30]
	s_delay_alu instid0(VALU_DEP_3) | instskip(NEXT) | instid1(VALU_DEP_3)
	v_fma_f64 v[31:32], v[31:32], v[17:18], -v[33:34]
	v_fma_f64 v[17:18], v[35:36], v[17:18], -v[37:38]
	s_delay_alu instid0(VALU_DEP_3) | instskip(NEXT) | instid1(VALU_DEP_1)
	v_add_f64 v[35:36], v[33:34], v[27:28]
	v_add_f64 v[47:48], v[35:36], -v[33:34]
	s_delay_alu instid0(VALU_DEP_1) | instskip(SKIP_1) | instid1(VALU_DEP_1)
	v_add_f64 v[27:28], v[27:28], -v[47:48]
	v_add_f64 v[47:48], v[35:36], -v[47:48]
	;; [unrolled: 1-line block ×3, first 2 shown]
	v_add_f64 v[47:48], v[29:30], v[35:36]
	s_delay_alu instid0(VALU_DEP_2) | instskip(NEXT) | instid1(VALU_DEP_2)
	v_add_f64 v[27:28], v[27:28], v[33:34]
	v_add_f64 v[29:30], v[47:48], -v[29:30]
	v_add_f64 v[33:34], v[37:38], v[31:32]
	v_ldexp_f64 v[47:48], v[47:48], -2
	s_delay_alu instid0(VALU_DEP_3) | instskip(NEXT) | instid1(VALU_DEP_3)
	v_add_f64 v[29:30], v[35:36], -v[29:30]
	v_add_f64 v[35:36], v[33:34], -v[37:38]
	s_delay_alu instid0(VALU_DEP_3) | instskip(SKIP_1) | instid1(VALU_DEP_3)
	v_cmp_neq_f64_e64 vcc_lo, 0x7ff00000, |v[47:48]|
	v_fract_f64_e32 v[47:48], v[47:48]
	v_add_f64 v[31:32], v[31:32], -v[35:36]
	v_add_f64 v[35:36], v[33:34], -v[35:36]
	s_delay_alu instid0(VALU_DEP_3) | instskip(NEXT) | instid1(VALU_DEP_2)
	v_dual_cndmask_b32 v48, 0, v48 :: v_dual_cndmask_b32 v47, 0, v47
	v_add_f64 v[35:36], v[37:38], -v[35:36]
	v_add_f64 v[37:38], v[33:34], v[27:28]
	s_delay_alu instid0(VALU_DEP_2) | instskip(NEXT) | instid1(VALU_DEP_2)
	v_add_f64 v[31:32], v[31:32], v[35:36]
	v_add_f64 v[49:50], v[37:38], -v[33:34]
	v_add_f64 v[35:36], v[29:30], v[37:38]
	s_delay_alu instid0(VALU_DEP_2) | instskip(SKIP_1) | instid1(VALU_DEP_3)
	v_add_f64 v[27:28], v[27:28], -v[49:50]
	v_add_f64 v[49:50], v[37:38], -v[49:50]
	;; [unrolled: 1-line block ×3, first 2 shown]
	s_delay_alu instid0(VALU_DEP_2) | instskip(NEXT) | instid1(VALU_DEP_2)
	v_add_f64 v[33:34], v[33:34], -v[49:50]
	v_add_f64 v[29:30], v[37:38], -v[29:30]
	s_delay_alu instid0(VALU_DEP_2) | instskip(SKIP_1) | instid1(VALU_DEP_2)
	v_add_f64 v[27:28], v[27:28], v[33:34]
	v_ldexp_f64 v[33:34], v[47:48], 2
	v_add_f64 v[27:28], v[31:32], v[27:28]
	s_delay_alu instid0(VALU_DEP_2) | instskip(NEXT) | instid1(VALU_DEP_2)
	v_add_f64 v[47:48], v[35:36], v[33:34]
	v_add_f64 v[17:18], v[17:18], v[27:28]
	s_delay_alu instid0(VALU_DEP_2) | instskip(NEXT) | instid1(VALU_DEP_2)
	v_cmp_gt_f64_e32 vcc_lo, 0, v[47:48]
	v_add_f64 v[17:18], v[29:30], v[17:18]
	v_cndmask_b32_e64 v22, 0, 0x40100000, vcc_lo
	s_delay_alu instid0(VALU_DEP_1) | instskip(NEXT) | instid1(VALU_DEP_1)
	v_add_f64 v[27:28], v[33:34], v[21:22]
	v_add_f64 v[31:32], v[35:36], v[27:28]
	s_delay_alu instid0(VALU_DEP_1) | instskip(NEXT) | instid1(VALU_DEP_1)
	v_cvt_i32_f64_e32 v19, v[31:32]
	v_cvt_f64_i32_e32 v[31:32], v19
	s_delay_alu instid0(VALU_DEP_1) | instskip(NEXT) | instid1(VALU_DEP_1)
	v_add_f64 v[27:28], v[27:28], -v[31:32]
	v_add_f64 v[29:30], v[35:36], v[27:28]
	s_delay_alu instid0(VALU_DEP_1) | instskip(SKIP_1) | instid1(VALU_DEP_2)
	v_add_f64 v[27:28], v[29:30], -v[27:28]
	v_cmp_le_f64_e32 vcc_lo, 0.5, v[29:30]
	v_add_f64 v[27:28], v[35:36], -v[27:28]
	v_cndmask_b32_e64 v22, 0, 0x3ff00000, vcc_lo
	v_add_co_ci_u32_e32 v19, vcc_lo, 0, v19, vcc_lo
	s_delay_alu instid0(VALU_DEP_2) | instskip(NEXT) | instid1(VALU_DEP_4)
	v_add_f64 v[29:30], v[29:30], -v[21:22]
	v_add_f64 v[17:18], v[17:18], v[27:28]
	s_delay_alu instid0(VALU_DEP_1) | instskip(NEXT) | instid1(VALU_DEP_1)
	v_add_f64 v[27:28], v[29:30], v[17:18]
	v_add_f64 v[29:30], v[27:28], -v[29:30]
	s_delay_alu instid0(VALU_DEP_1) | instskip(SKIP_1) | instid1(VALU_DEP_1)
	v_add_f64 v[17:18], v[17:18], -v[29:30]
	v_mul_f64 v[29:30], v[27:28], s[18:19]
	v_fma_f64 v[31:32], v[27:28], s[18:19], -v[29:30]
	s_delay_alu instid0(VALU_DEP_1) | instskip(NEXT) | instid1(VALU_DEP_1)
	v_fma_f64 v[27:28], v[27:28], s[24:25], v[31:32]
	v_fma_f64 v[27:28], v[17:18], s[18:19], v[27:28]
	s_delay_alu instid0(VALU_DEP_1) | instskip(NEXT) | instid1(VALU_DEP_1)
	v_add_f64 v[17:18], v[29:30], v[27:28]
	v_add_f64 v[29:30], v[17:18], -v[29:30]
	s_delay_alu instid0(VALU_DEP_1)
	v_add_f64 v[27:28], v[27:28], -v[29:30]
.LBB100_93:                             ;   in Loop: Header=BB100_4 Depth=1
	s_and_not1_saveexec_b32 s6, s6
	s_cbranch_execz .LBB100_95
; %bb.94:                               ;   in Loop: Header=BB100_4 Depth=1
	v_mul_f64 v[17:18], |v[13:14]|, s[26:27]
	s_mov_b32 s22, s28
	s_delay_alu instid0(VALU_DEP_1) | instskip(NEXT) | instid1(VALU_DEP_1)
	v_rndne_f64_e32 v[29:30], v[17:18]
	v_fma_f64 v[17:18], v[29:30], s[20:21], |v[13:14]|
	v_mul_f64 v[27:28], v[29:30], s[28:29]
	v_cvt_i32_f64_e32 v19, v[29:30]
	s_delay_alu instid0(VALU_DEP_3) | instskip(NEXT) | instid1(VALU_DEP_3)
	v_fma_f64 v[33:34], v[29:30], s[28:29], v[17:18]
	v_add_f64 v[31:32], v[17:18], v[27:28]
	s_delay_alu instid0(VALU_DEP_1) | instskip(NEXT) | instid1(VALU_DEP_3)
	v_add_f64 v[17:18], v[17:18], -v[31:32]
	v_add_f64 v[31:32], v[31:32], -v[33:34]
	s_delay_alu instid0(VALU_DEP_2) | instskip(SKIP_1) | instid1(VALU_DEP_2)
	v_add_f64 v[17:18], v[17:18], v[27:28]
	v_fma_f64 v[27:28], v[29:30], s[22:23], v[27:28]
	v_add_f64 v[17:18], v[31:32], v[17:18]
	s_delay_alu instid0(VALU_DEP_1) | instskip(NEXT) | instid1(VALU_DEP_1)
	v_add_f64 v[17:18], v[17:18], -v[27:28]
	v_fma_f64 v[27:28], v[29:30], s[30:31], v[17:18]
	s_delay_alu instid0(VALU_DEP_1) | instskip(NEXT) | instid1(VALU_DEP_1)
	v_add_f64 v[17:18], v[33:34], v[27:28]
	v_add_f64 v[31:32], v[17:18], -v[33:34]
	s_delay_alu instid0(VALU_DEP_1)
	v_add_f64 v[27:28], v[27:28], -v[31:32]
.LBB100_95:                             ;   in Loop: Header=BB100_4 Depth=1
	s_or_b32 exec_lo, exec_lo, s6
	v_add_f64 v[29:30], |v[15:16]|, s[44:45]
	s_mov_b32 s64, s44
	s_mov_b32 s68, s70
	;; [unrolled: 1-line block ×5, first 2 shown]
	v_cmp_nge_f64_e64 vcc_lo, |v[15:16]|, s[96:97]
	v_cmp_gt_f64_e64 s6, 0x3e400000, |v[15:16]|
	s_mov_b32 s54, 0xa9a29f71
	s_mov_b32 s56, 0xc751c08c
	;; [unrolled: 1-line block ×4, first 2 shown]
	v_and_b32_e32 v19, 1, v19
	s_delay_alu instid0(VALU_DEP_4) | instskip(NEXT) | instid1(VALU_DEP_1)
	v_add_f64 v[31:32], v[29:30], -|v[15:16]|
	v_add_f64 v[33:34], v[31:32], -v[29:30]
	v_add_f64 v[31:32], v[31:32], s[64:65]
	s_delay_alu instid0(VALU_DEP_2) | instskip(NEXT) | instid1(VALU_DEP_1)
	v_add_f64 v[33:34], |v[15:16]|, v[33:34]
	v_add_f64 v[31:32], v[33:34], -v[31:32]
	s_delay_alu instid0(VALU_DEP_1) | instskip(NEXT) | instid1(VALU_DEP_1)
	v_add_f64 v[31:32], v[31:32], s[66:67]
	v_add_f64 v[33:34], v[29:30], v[31:32]
	s_delay_alu instid0(VALU_DEP_1) | instskip(NEXT) | instid1(VALU_DEP_1)
	v_add_f64 v[29:30], v[29:30], -v[33:34]
	v_add_f64 v[29:30], v[31:32], v[29:30]
	v_mul_f64 v[31:32], v[33:34], s[68:69]
	s_delay_alu instid0(VALU_DEP_1) | instskip(NEXT) | instid1(VALU_DEP_1)
	v_rndne_f64_e32 v[31:32], v[31:32]
	v_fma_f64 v[33:34], v[31:32], s[62:63], v[33:34]
	v_cvt_i32_f64_e32 v13, v[31:32]
	s_delay_alu instid0(VALU_DEP_2) | instskip(NEXT) | instid1(VALU_DEP_1)
	v_add_f64 v[35:36], v[29:30], v[33:34]
	v_add_f64 v[33:34], v[33:34], -v[35:36]
	s_delay_alu instid0(VALU_DEP_1) | instskip(SKIP_1) | instid1(VALU_DEP_1)
	v_add_f64 v[29:30], v[29:30], v[33:34]
	v_mul_f64 v[33:34], v[31:32], s[72:73]
	v_add_f64 v[37:38], v[35:36], v[33:34]
	s_delay_alu instid0(VALU_DEP_1) | instskip(NEXT) | instid1(VALU_DEP_1)
	v_add_f64 v[35:36], v[35:36], -v[37:38]
	v_add_f64 v[33:34], v[35:36], v[33:34]
	s_delay_alu instid0(VALU_DEP_1) | instskip(NEXT) | instid1(VALU_DEP_1)
	v_add_f64 v[29:30], v[29:30], v[33:34]
	v_add_f64 v[33:34], v[37:38], v[29:30]
	s_delay_alu instid0(VALU_DEP_1) | instskip(NEXT) | instid1(VALU_DEP_1)
	v_add_f64 v[35:36], v[37:38], -v[33:34]
	v_add_f64 v[29:30], v[29:30], v[35:36]
	v_mul_f64 v[35:36], v[31:32], s[74:75]
	s_delay_alu instid0(VALU_DEP_1) | instskip(NEXT) | instid1(VALU_DEP_1)
	v_add_f64 v[37:38], v[33:34], v[35:36]
	v_add_f64 v[33:34], v[33:34], -v[37:38]
	s_delay_alu instid0(VALU_DEP_1) | instskip(NEXT) | instid1(VALU_DEP_1)
	v_add_f64 v[33:34], v[33:34], v[35:36]
	v_add_f64 v[29:30], v[29:30], v[33:34]
	s_delay_alu instid0(VALU_DEP_1) | instskip(NEXT) | instid1(VALU_DEP_1)
	v_add_f64 v[33:34], v[37:38], v[29:30]
	v_add_f64 v[35:36], v[37:38], -v[33:34]
	s_delay_alu instid0(VALU_DEP_1) | instskip(SKIP_1) | instid1(VALU_DEP_2)
	v_add_f64 v[29:30], v[29:30], v[35:36]
	v_mul_f64 v[35:36], v[33:34], v[33:34]
	v_add_f64 v[47:48], v[29:30], v[29:30]
	s_delay_alu instid0(VALU_DEP_2) | instskip(NEXT) | instid1(VALU_DEP_1)
	v_fma_f64 v[37:38], v[33:34], v[33:34], -v[35:36]
	v_fma_f64 v[37:38], v[33:34], v[47:48], v[37:38]
	s_delay_alu instid0(VALU_DEP_1) | instskip(NEXT) | instid1(VALU_DEP_1)
	v_add_f64 v[47:48], v[35:36], v[37:38]
	v_add_f64 v[35:36], v[47:48], -v[35:36]
	s_delay_alu instid0(VALU_DEP_1) | instskip(SKIP_1) | instid1(VALU_DEP_1)
	v_add_f64 v[35:36], v[37:38], -v[35:36]
	v_fma_f64 v[37:38], v[33:34], s[78:79], s[76:77]
	v_fma_f64 v[37:38], v[33:34], v[37:38], s[80:81]
	s_delay_alu instid0(VALU_DEP_1) | instskip(NEXT) | instid1(VALU_DEP_1)
	v_fma_f64 v[37:38], v[33:34], v[37:38], s[82:83]
	v_fma_f64 v[37:38], v[33:34], v[37:38], s[84:85]
	s_delay_alu instid0(VALU_DEP_1) | instskip(NEXT) | instid1(VALU_DEP_1)
	;; [unrolled: 3-line block ×4, first 2 shown]
	v_fma_f64 v[37:38], v[33:34], v[37:38], s[94:95]
	v_mul_f64 v[49:50], v[47:48], v[37:38]
	s_delay_alu instid0(VALU_DEP_1) | instskip(NEXT) | instid1(VALU_DEP_1)
	v_fma_f64 v[47:48], v[47:48], v[37:38], -v[49:50]
	v_fma_f64 v[35:36], v[35:36], v[37:38], v[47:48]
	s_delay_alu instid0(VALU_DEP_1) | instskip(NEXT) | instid1(VALU_DEP_1)
	v_add_f64 v[37:38], v[49:50], v[35:36]
	v_add_f64 v[47:48], v[37:38], -v[49:50]
	s_delay_alu instid0(VALU_DEP_1) | instskip(SKIP_1) | instid1(VALU_DEP_2)
	v_add_f64 v[35:36], v[35:36], -v[47:48]
	v_add_f64 v[47:48], v[33:34], v[37:38]
	v_add_f64 v[29:30], v[29:30], v[35:36]
	s_delay_alu instid0(VALU_DEP_2) | instskip(NEXT) | instid1(VALU_DEP_1)
	v_add_f64 v[33:34], v[47:48], -v[33:34]
	v_add_f64 v[33:34], v[37:38], -v[33:34]
	s_delay_alu instid0(VALU_DEP_1) | instskip(NEXT) | instid1(VALU_DEP_1)
	v_add_f64 v[29:30], v[29:30], v[33:34]
	v_add_f64 v[33:34], v[47:48], v[29:30]
	s_delay_alu instid0(VALU_DEP_1) | instskip(NEXT) | instid1(VALU_DEP_1)
	v_add_f64 v[35:36], v[33:34], -v[47:48]
	v_add_f64 v[29:30], v[29:30], -v[35:36]
	v_add_f64 v[35:36], v[33:34], 1.0
	s_delay_alu instid0(VALU_DEP_1) | instskip(NEXT) | instid1(VALU_DEP_1)
	v_add_f64 v[37:38], v[35:36], -1.0
	v_add_f64 v[33:34], v[33:34], -v[37:38]
	s_delay_alu instid0(VALU_DEP_1) | instskip(NEXT) | instid1(VALU_DEP_1)
	v_add_f64 v[29:30], v[29:30], v[33:34]
	v_add_f64 v[31:32], v[35:36], v[29:30]
	s_delay_alu instid0(VALU_DEP_1) | instskip(SKIP_1) | instid1(VALU_DEP_2)
	v_add_f64 v[33:34], v[31:32], -v[35:36]
	v_ldexp_f64 v[31:32], v[31:32], v13
	v_add_f64 v[29:30], v[29:30], -v[33:34]
	s_delay_alu instid0(VALU_DEP_2) | instskip(NEXT) | instid1(VALU_DEP_1)
	v_rcp_f64_e32 v[35:36], v[31:32]
	v_ldexp_f64 v[29:30], v[29:30], v13
	v_and_b32_e32 v13, 0x7fffffff, v16
	s_waitcnt_depctr 0xfff
	v_fma_f64 v[37:38], -v[31:32], v[35:36], 1.0
	s_delay_alu instid0(VALU_DEP_1) | instskip(NEXT) | instid1(VALU_DEP_1)
	v_fma_f64 v[35:36], v[37:38], v[35:36], v[35:36]
	v_fma_f64 v[33:34], -v[31:32], v[35:36], 1.0
	s_delay_alu instid0(VALU_DEP_1) | instskip(NEXT) | instid1(VALU_DEP_1)
	v_fma_f64 v[33:34], v[33:34], v[35:36], v[35:36]
	v_mul_f64 v[35:36], v[31:32], v[33:34]
	s_delay_alu instid0(VALU_DEP_1) | instskip(NEXT) | instid1(VALU_DEP_1)
	v_fma_f64 v[37:38], v[33:34], v[31:32], -v[35:36]
	v_fma_f64 v[37:38], v[33:34], v[29:30], v[37:38]
	s_delay_alu instid0(VALU_DEP_1) | instskip(NEXT) | instid1(VALU_DEP_1)
	v_add_f64 v[47:48], v[35:36], v[37:38]
	v_add_f64 v[35:36], v[47:48], -v[35:36]
	s_delay_alu instid0(VALU_DEP_1) | instskip(SKIP_1) | instid1(VALU_DEP_1)
	v_add_f64 v[35:36], v[35:36], -v[37:38]
	v_add_f64 v[37:38], -v[47:48], 1.0
	v_add_f64 v[49:50], -v[37:38], 1.0
	s_delay_alu instid0(VALU_DEP_1) | instskip(NEXT) | instid1(VALU_DEP_1)
	v_add_f64 v[47:48], v[49:50], -v[47:48]
	v_add_f64 v[35:36], v[35:36], v[47:48]
	s_delay_alu instid0(VALU_DEP_1) | instskip(NEXT) | instid1(VALU_DEP_1)
	v_add_f64 v[47:48], v[37:38], v[35:36]
	v_add_f64 v[37:38], v[37:38], -v[47:48]
	s_delay_alu instid0(VALU_DEP_1) | instskip(SKIP_1) | instid1(VALU_DEP_1)
	v_add_f64 v[35:36], v[35:36], v[37:38]
	v_mul_f64 v[37:38], v[33:34], v[47:48]
	v_mul_f64 v[49:50], v[31:32], v[37:38]
	s_delay_alu instid0(VALU_DEP_1) | instskip(NEXT) | instid1(VALU_DEP_1)
	v_fma_f64 v[51:52], v[37:38], v[31:32], -v[49:50]
	v_fma_f64 v[51:52], v[37:38], v[29:30], v[51:52]
	s_delay_alu instid0(VALU_DEP_1) | instskip(NEXT) | instid1(VALU_DEP_1)
	v_add_f64 v[53:54], v[49:50], v[51:52]
	v_add_f64 v[55:56], v[47:48], -v[53:54]
	v_add_f64 v[49:50], v[53:54], -v[49:50]
	s_delay_alu instid0(VALU_DEP_2) | instskip(NEXT) | instid1(VALU_DEP_2)
	v_add_f64 v[47:48], v[47:48], -v[55:56]
	v_add_f64 v[49:50], v[49:50], -v[51:52]
	s_delay_alu instid0(VALU_DEP_2) | instskip(NEXT) | instid1(VALU_DEP_1)
	v_add_f64 v[47:48], v[47:48], -v[53:54]
	v_add_f64 v[35:36], v[35:36], v[47:48]
	v_add_f64 v[47:48], v[33:34], v[37:38]
	s_delay_alu instid0(VALU_DEP_2) | instskip(NEXT) | instid1(VALU_DEP_2)
	v_add_f64 v[35:36], v[49:50], v[35:36]
	v_add_f64 v[49:50], v[47:48], -v[33:34]
	s_delay_alu instid0(VALU_DEP_2) | instskip(NEXT) | instid1(VALU_DEP_2)
	v_add_f64 v[35:36], v[55:56], v[35:36]
	v_add_f64 v[37:38], v[37:38], -v[49:50]
	s_delay_alu instid0(VALU_DEP_2) | instskip(NEXT) | instid1(VALU_DEP_1)
	v_mul_f64 v[33:34], v[33:34], v[35:36]
	v_add_f64 v[33:34], v[37:38], v[33:34]
	s_delay_alu instid0(VALU_DEP_1) | instskip(NEXT) | instid1(VALU_DEP_1)
	v_add_f64 v[35:36], v[47:48], v[33:34]
	v_add_f64 v[37:38], v[35:36], -v[47:48]
	v_ldexp_f64 v[35:36], v[35:36], -2
	s_delay_alu instid0(VALU_DEP_2) | instskip(NEXT) | instid1(VALU_DEP_2)
	v_add_f64 v[33:34], v[33:34], -v[37:38]
	v_add_f64 v[47:48], v[31:32], -v[35:36]
	s_delay_alu instid0(VALU_DEP_1) | instskip(NEXT) | instid1(VALU_DEP_1)
	v_add_f64 v[31:32], v[31:32], -v[47:48]
	v_add_f64 v[31:32], v[31:32], -v[35:36]
	s_delay_alu instid0(VALU_DEP_1) | instskip(SKIP_1) | instid1(VALU_DEP_1)
	v_add_f64 v[29:30], v[29:30], v[31:32]
	v_ldexp_f64 v[31:32], v[33:34], -2
	v_add_f64 v[29:30], v[29:30], -v[31:32]
	s_delay_alu instid0(VALU_DEP_1) | instskip(NEXT) | instid1(VALU_DEP_1)
	v_add_f64 v[29:30], v[47:48], v[29:30]
	v_cndmask_b32_e32 v16, 0x7ff00000, v30, vcc_lo
	s_delay_alu instid0(VALU_DEP_1) | instskip(NEXT) | instid1(VALU_DEP_1)
	v_cndmask_b32_e64 v13, v16, v13, s6
	v_bfi_b32 v16, 0x7fffffff, v13, v20
	s_delay_alu instid0(VALU_DEP_4) | instskip(NEXT) | instid1(VALU_DEP_1)
	v_dual_cndmask_b32 v13, 0, v29 :: v_dual_and_b32 v20, 0x80000000, v14
	v_cndmask_b32_e64 v15, v13, v15, s6
	v_cmp_eq_u32_e64 s6, 0, v19
	s_delay_alu instid0(VALU_DEP_2) | instskip(NEXT) | instid1(VALU_DEP_1)
	v_fma_f64 v[29:30], v[15:16], v[15:16], 1.0
	v_cmp_gt_f64_e32 vcc_lo, 0x10000000, v[29:30]
	v_cndmask_b32_e64 v13, 0, 1, vcc_lo
	s_delay_alu instid0(VALU_DEP_1) | instskip(NEXT) | instid1(VALU_DEP_1)
	v_lshlrev_b32_e32 v13, 8, v13
	v_ldexp_f64 v[29:30], v[29:30], v13
	v_mul_f64 v[13:14], v[17:18], v[17:18]
	s_delay_alu instid0(VALU_DEP_2) | instskip(SKIP_3) | instid1(VALU_DEP_1)
	v_rsq_f64_e32 v[31:32], v[29:30]
	s_waitcnt_depctr 0xfff
	v_mul_f64 v[33:34], v[29:30], v[31:32]
	v_mul_f64 v[31:32], v[31:32], 0.5
	v_fma_f64 v[35:36], -v[31:32], v[33:34], 0.5
	s_delay_alu instid0(VALU_DEP_1) | instskip(SKIP_1) | instid1(VALU_DEP_2)
	v_fma_f64 v[33:34], v[33:34], v[35:36], v[33:34]
	v_fma_f64 v[31:32], v[31:32], v[35:36], v[31:32]
	v_fma_f64 v[35:36], -v[33:34], v[33:34], v[29:30]
	s_delay_alu instid0(VALU_DEP_1) | instskip(NEXT) | instid1(VALU_DEP_1)
	v_fma_f64 v[33:34], v[35:36], v[31:32], v[33:34]
	v_fma_f64 v[35:36], -v[33:34], v[33:34], v[29:30]
	s_delay_alu instid0(VALU_DEP_1) | instskip(SKIP_2) | instid1(VALU_DEP_1)
	v_fma_f64 v[31:32], v[35:36], v[31:32], v[33:34]
	v_add_f64 v[33:34], v[27:28], v[27:28]
	v_fma_f64 v[35:36], v[17:18], v[17:18], -v[13:14]
	v_fma_f64 v[33:34], v[17:18], v[33:34], v[35:36]
	s_delay_alu instid0(VALU_DEP_1) | instskip(NEXT) | instid1(VALU_DEP_1)
	v_add_f64 v[13:14], v[13:14], v[33:34]
	v_fma_f64 v[33:34], v[13:14], s[56:57], s[54:55]
	s_mov_b32 s54, 0x90a8aae0
	s_mov_b32 s55, 0x3f17746f
	s_delay_alu instid0(VALU_DEP_1) | instid1(SALU_CYCLE_1)
	v_fma_f64 v[33:34], v[13:14], v[33:34], s[54:55]
	s_mov_b32 s54, 0xa6fbf144
	s_mov_b32 s55, 0xbefbb44d
	s_delay_alu instid0(VALU_DEP_1) | instid1(SALU_CYCLE_1)
	;; [unrolled: 4-line block ×10, first 2 shown]
	v_fma_f64 v[33:34], v[13:14], v[33:34], s[54:55]
	s_delay_alu instid0(VALU_DEP_1) | instskip(NEXT) | instid1(VALU_DEP_1)
	v_fma_f64 v[33:34], v[13:14], v[33:34], s[58:59]
	v_fma_f64 v[33:34], v[13:14], v[33:34], s[60:61]
	s_delay_alu instid0(VALU_DEP_1) | instskip(NEXT) | instid1(VALU_DEP_1)
	v_mul_f64 v[13:14], v[13:14], v[33:34]
	v_mul_f64 v[33:34], v[17:18], v[13:14]
	s_delay_alu instid0(VALU_DEP_1) | instskip(NEXT) | instid1(VALU_DEP_1)
	v_fma_f64 v[13:14], v[17:18], v[13:14], -v[33:34]
	v_add_f64 v[13:14], v[27:28], v[13:14]
	v_add_f64 v[27:28], v[17:18], v[33:34]
	s_delay_alu instid0(VALU_DEP_1) | instskip(NEXT) | instid1(VALU_DEP_1)
	v_add_f64 v[17:18], v[27:28], -v[17:18]
	v_add_f64 v[17:18], v[33:34], -v[17:18]
	s_delay_alu instid0(VALU_DEP_1) | instskip(NEXT) | instid1(VALU_DEP_1)
	v_add_f64 v[13:14], v[13:14], v[17:18]
	v_add_f64 v[17:18], v[27:28], v[13:14]
	s_delay_alu instid0(VALU_DEP_1) | instskip(SKIP_1) | instid1(VALU_DEP_1)
	v_rcp_f64_e32 v[33:34], v[17:18]
	v_add_f64 v[27:28], v[17:18], -v[27:28]
	v_add_f64 v[13:14], v[13:14], -v[27:28]
	s_waitcnt_depctr 0xfff
	v_fma_f64 v[35:36], -v[17:18], v[33:34], 1.0
	s_delay_alu instid0(VALU_DEP_1) | instskip(NEXT) | instid1(VALU_DEP_1)
	v_fma_f64 v[33:34], v[35:36], v[33:34], v[33:34]
	v_fma_f64 v[35:36], -v[17:18], v[33:34], 1.0
	s_delay_alu instid0(VALU_DEP_1) | instskip(NEXT) | instid1(VALU_DEP_1)
	v_fma_f64 v[33:34], v[35:36], v[33:34], v[33:34]
	v_mul_f64 v[27:28], v[17:18], v[33:34]
	s_delay_alu instid0(VALU_DEP_1) | instskip(NEXT) | instid1(VALU_DEP_1)
	v_fma_f64 v[35:36], v[33:34], v[17:18], -v[27:28]
	v_fma_f64 v[13:14], v[33:34], v[13:14], v[35:36]
	s_delay_alu instid0(VALU_DEP_1) | instskip(NEXT) | instid1(VALU_DEP_1)
	v_add_f64 v[35:36], v[27:28], v[13:14]
	v_add_f64 v[27:28], v[35:36], -v[27:28]
	s_delay_alu instid0(VALU_DEP_1) | instskip(SKIP_1) | instid1(VALU_DEP_1)
	v_add_f64 v[13:14], v[27:28], -v[13:14]
	v_add_f64 v[27:28], -v[35:36], 1.0
	v_add_f64 v[37:38], -v[27:28], 1.0
	s_delay_alu instid0(VALU_DEP_1) | instskip(NEXT) | instid1(VALU_DEP_1)
	v_add_f64 v[35:36], v[37:38], -v[35:36]
	v_add_f64 v[13:14], v[13:14], v[35:36]
	s_delay_alu instid0(VALU_DEP_1) | instskip(NEXT) | instid1(VALU_DEP_1)
	v_add_f64 v[13:14], v[27:28], v[13:14]
	v_mul_f64 v[13:14], v[33:34], v[13:14]
	s_delay_alu instid0(VALU_DEP_1) | instskip(NEXT) | instid1(VALU_DEP_1)
	v_add_f64 v[13:14], v[33:34], v[13:14]
	v_xor_b32_e32 v14, 0x80000000, v14
	s_delay_alu instid0(VALU_DEP_2) | instskip(NEXT) | instid1(VALU_DEP_2)
	v_cndmask_b32_e64 v13, v13, v17, s6
	v_cndmask_b32_e64 v14, v14, v18, s6
	v_cndmask_b32_e64 v18, 0, 0xffffff80, vcc_lo
	v_cmp_class_f64_e64 vcc_lo, v[29:30], 0x260
	s_delay_alu instid0(VALU_DEP_3) | instskip(NEXT) | instid1(VALU_DEP_3)
	v_xor_b32_e32 v14, v14, v20
	v_ldexp_f64 v[17:18], v[31:32], v18
	s_delay_alu instid0(VALU_DEP_2) | instskip(NEXT) | instid1(VALU_DEP_2)
	v_fma_f64 v[19:20], v[13:14], v[13:14], 1.0
	v_dual_cndmask_b32 v18, v18, v30 :: v_dual_cndmask_b32 v17, v17, v29
	s_delay_alu instid0(VALU_DEP_2) | instskip(NEXT) | instid1(VALU_DEP_2)
	v_mul_f64 v[27:28], v[15:16], v[19:20]
	v_mul_f64 v[17:18], v[17:18], v[19:20]
	s_delay_alu instid0(VALU_DEP_2) | instskip(NEXT) | instid1(VALU_DEP_2)
	v_fma_f64 v[27:28], v[15:16], v[27:28], 1.0
	v_mul_f64 v[15:16], v[15:16], v[17:18]
	s_delay_alu instid0(VALU_DEP_1) | instskip(NEXT) | instid1(VALU_DEP_1)
	v_div_scale_f64 v[17:18], null, v[27:28], v[27:28], v[15:16]
	v_rcp_f64_e32 v[19:20], v[17:18]
	s_waitcnt_depctr 0xfff
	v_fma_f64 v[29:30], -v[17:18], v[19:20], 1.0
	s_delay_alu instid0(VALU_DEP_1) | instskip(NEXT) | instid1(VALU_DEP_1)
	v_fma_f64 v[19:20], v[19:20], v[29:30], v[19:20]
	v_fma_f64 v[29:30], -v[17:18], v[19:20], 1.0
	s_delay_alu instid0(VALU_DEP_1) | instskip(SKIP_1) | instid1(VALU_DEP_1)
	v_fma_f64 v[19:20], v[19:20], v[29:30], v[19:20]
	v_div_scale_f64 v[29:30], vcc_lo, v[15:16], v[27:28], v[15:16]
	v_mul_f64 v[31:32], v[29:30], v[19:20]
	s_delay_alu instid0(VALU_DEP_1) | instskip(NEXT) | instid1(VALU_DEP_1)
	v_fma_f64 v[17:18], -v[17:18], v[31:32], v[29:30]
	v_div_fmas_f64 v[17:18], v[17:18], v[19:20], v[31:32]
	v_div_scale_f64 v[19:20], null, v[27:28], v[27:28], v[13:14]
	s_delay_alu instid0(VALU_DEP_1) | instskip(SKIP_2) | instid1(VALU_DEP_1)
	v_rcp_f64_e32 v[29:30], v[19:20]
	s_waitcnt_depctr 0xfff
	v_fma_f64 v[31:32], -v[19:20], v[29:30], 1.0
	v_fma_f64 v[29:30], v[29:30], v[31:32], v[29:30]
	s_delay_alu instid0(VALU_DEP_1) | instskip(NEXT) | instid1(VALU_DEP_1)
	v_fma_f64 v[31:32], -v[19:20], v[29:30], 1.0
	v_fma_f64 v[29:30], v[29:30], v[31:32], v[29:30]
	v_div_scale_f64 v[31:32], vcc_lo, v[13:14], v[27:28], v[13:14]
	s_delay_alu instid0(VALU_DEP_1) | instskip(NEXT) | instid1(VALU_DEP_1)
	v_mul_f64 v[33:34], v[31:32], v[29:30]
	v_fma_f64 v[19:20], -v[19:20], v[33:34], v[31:32]
	s_delay_alu instid0(VALU_DEP_1) | instskip(SKIP_1) | instid1(VALU_DEP_2)
	v_div_fmas_f64 v[29:30], v[19:20], v[29:30], v[33:34]
	v_div_fixup_f64 v[19:20], v[17:18], v[27:28], v[15:16]
	v_div_fixup_f64 v[17:18], v[29:30], v[27:28], v[13:14]
                                        ; implicit-def: $vgpr13_vgpr14
.LBB100_96:                             ;   in Loop: Header=BB100_4 Depth=1
	s_and_not1_saveexec_b32 s63, s48
	s_cbranch_execz .LBB100_106
; %bb.97:                               ;   in Loop: Header=BB100_4 Depth=1
	v_cmp_ngt_f64_e64 s6, 0x41d00000, |v[13:14]|
                                        ; implicit-def: $vgpr19
                                        ; implicit-def: $vgpr17_vgpr18
                                        ; implicit-def: $vgpr27_vgpr28
	s_delay_alu instid0(VALU_DEP_1) | instskip(NEXT) | instid1(SALU_CYCLE_1)
	s_and_saveexec_b32 s18, s6
	s_xor_b32 s22, exec_lo, s18
	s_cbranch_execz .LBB100_99
; %bb.98:                               ;   in Loop: Header=BB100_4 Depth=1
	v_ldexp_f64 v[17:18], |v[13:14]|, 0xffffff80
	v_cmp_le_f64_e64 vcc_lo, 0x7b000000, |v[13:14]|
	v_trig_preop_f64 v[27:28], |v[13:14]|, 0
	v_and_b32_e32 v19, 0x7fffffff, v14
	v_trig_preop_f64 v[31:32], |v[13:14]|, 1
	v_trig_preop_f64 v[35:36], |v[13:14]|, 2
	s_mov_b32 s18, s20
	s_mov_b32 s25, s23
	v_dual_cndmask_b32 v18, v19, v18 :: v_dual_cndmask_b32 v17, v13, v17
	s_delay_alu instid0(VALU_DEP_1) | instskip(NEXT) | instid1(VALU_DEP_4)
	v_mul_f64 v[29:30], v[27:28], v[17:18]
	v_mul_f64 v[33:34], v[31:32], v[17:18]
	s_delay_alu instid0(VALU_DEP_4) | instskip(NEXT) | instid1(VALU_DEP_3)
	v_mul_f64 v[37:38], v[35:36], v[17:18]
	v_fma_f64 v[27:28], v[27:28], v[17:18], -v[29:30]
	s_delay_alu instid0(VALU_DEP_3) | instskip(NEXT) | instid1(VALU_DEP_3)
	v_fma_f64 v[31:32], v[31:32], v[17:18], -v[33:34]
	v_fma_f64 v[17:18], v[35:36], v[17:18], -v[37:38]
	s_delay_alu instid0(VALU_DEP_3) | instskip(NEXT) | instid1(VALU_DEP_1)
	v_add_f64 v[35:36], v[33:34], v[27:28]
	v_add_f64 v[47:48], v[35:36], -v[33:34]
	s_delay_alu instid0(VALU_DEP_1) | instskip(SKIP_1) | instid1(VALU_DEP_1)
	v_add_f64 v[27:28], v[27:28], -v[47:48]
	v_add_f64 v[47:48], v[35:36], -v[47:48]
	;; [unrolled: 1-line block ×3, first 2 shown]
	v_add_f64 v[47:48], v[29:30], v[35:36]
	s_delay_alu instid0(VALU_DEP_2) | instskip(NEXT) | instid1(VALU_DEP_2)
	v_add_f64 v[27:28], v[27:28], v[33:34]
	v_add_f64 v[29:30], v[47:48], -v[29:30]
	v_add_f64 v[33:34], v[37:38], v[31:32]
	v_ldexp_f64 v[47:48], v[47:48], -2
	s_delay_alu instid0(VALU_DEP_3) | instskip(NEXT) | instid1(VALU_DEP_3)
	v_add_f64 v[29:30], v[35:36], -v[29:30]
	v_add_f64 v[35:36], v[33:34], -v[37:38]
	s_delay_alu instid0(VALU_DEP_3) | instskip(SKIP_1) | instid1(VALU_DEP_3)
	v_cmp_neq_f64_e64 vcc_lo, 0x7ff00000, |v[47:48]|
	v_fract_f64_e32 v[47:48], v[47:48]
	v_add_f64 v[31:32], v[31:32], -v[35:36]
	v_add_f64 v[35:36], v[33:34], -v[35:36]
	s_delay_alu instid0(VALU_DEP_3) | instskip(NEXT) | instid1(VALU_DEP_2)
	v_dual_cndmask_b32 v48, 0, v48 :: v_dual_cndmask_b32 v47, 0, v47
	v_add_f64 v[35:36], v[37:38], -v[35:36]
	v_add_f64 v[37:38], v[33:34], v[27:28]
	s_delay_alu instid0(VALU_DEP_2) | instskip(NEXT) | instid1(VALU_DEP_2)
	v_add_f64 v[31:32], v[31:32], v[35:36]
	v_add_f64 v[49:50], v[37:38], -v[33:34]
	v_add_f64 v[35:36], v[29:30], v[37:38]
	s_delay_alu instid0(VALU_DEP_2) | instskip(SKIP_1) | instid1(VALU_DEP_3)
	v_add_f64 v[27:28], v[27:28], -v[49:50]
	v_add_f64 v[49:50], v[37:38], -v[49:50]
	;; [unrolled: 1-line block ×3, first 2 shown]
	s_delay_alu instid0(VALU_DEP_2) | instskip(NEXT) | instid1(VALU_DEP_2)
	v_add_f64 v[33:34], v[33:34], -v[49:50]
	v_add_f64 v[29:30], v[37:38], -v[29:30]
	s_delay_alu instid0(VALU_DEP_2) | instskip(SKIP_1) | instid1(VALU_DEP_2)
	v_add_f64 v[27:28], v[27:28], v[33:34]
	v_ldexp_f64 v[33:34], v[47:48], 2
	v_add_f64 v[27:28], v[31:32], v[27:28]
	s_delay_alu instid0(VALU_DEP_2) | instskip(NEXT) | instid1(VALU_DEP_2)
	v_add_f64 v[47:48], v[35:36], v[33:34]
	v_add_f64 v[17:18], v[17:18], v[27:28]
	s_delay_alu instid0(VALU_DEP_2) | instskip(NEXT) | instid1(VALU_DEP_2)
	v_cmp_gt_f64_e32 vcc_lo, 0, v[47:48]
	v_add_f64 v[17:18], v[29:30], v[17:18]
	v_cndmask_b32_e64 v22, 0, 0x40100000, vcc_lo
	s_delay_alu instid0(VALU_DEP_1) | instskip(NEXT) | instid1(VALU_DEP_1)
	v_add_f64 v[27:28], v[33:34], v[21:22]
	v_add_f64 v[31:32], v[35:36], v[27:28]
	s_delay_alu instid0(VALU_DEP_1) | instskip(NEXT) | instid1(VALU_DEP_1)
	v_cvt_i32_f64_e32 v19, v[31:32]
	v_cvt_f64_i32_e32 v[31:32], v19
	s_delay_alu instid0(VALU_DEP_1) | instskip(NEXT) | instid1(VALU_DEP_1)
	v_add_f64 v[27:28], v[27:28], -v[31:32]
	v_add_f64 v[29:30], v[35:36], v[27:28]
	s_delay_alu instid0(VALU_DEP_1) | instskip(SKIP_1) | instid1(VALU_DEP_2)
	v_add_f64 v[27:28], v[29:30], -v[27:28]
	v_cmp_le_f64_e32 vcc_lo, 0.5, v[29:30]
	v_add_f64 v[27:28], v[35:36], -v[27:28]
	v_cndmask_b32_e64 v22, 0, 0x3ff00000, vcc_lo
	v_add_co_ci_u32_e32 v19, vcc_lo, 0, v19, vcc_lo
	s_delay_alu instid0(VALU_DEP_2) | instskip(NEXT) | instid1(VALU_DEP_4)
	v_add_f64 v[29:30], v[29:30], -v[21:22]
	v_add_f64 v[17:18], v[17:18], v[27:28]
	s_delay_alu instid0(VALU_DEP_1) | instskip(NEXT) | instid1(VALU_DEP_1)
	v_add_f64 v[27:28], v[29:30], v[17:18]
	v_add_f64 v[29:30], v[27:28], -v[29:30]
	s_delay_alu instid0(VALU_DEP_1) | instskip(SKIP_1) | instid1(VALU_DEP_1)
	v_add_f64 v[17:18], v[17:18], -v[29:30]
	v_mul_f64 v[29:30], v[27:28], s[18:19]
	v_fma_f64 v[31:32], v[27:28], s[18:19], -v[29:30]
	s_delay_alu instid0(VALU_DEP_1) | instskip(NEXT) | instid1(VALU_DEP_1)
	v_fma_f64 v[27:28], v[27:28], s[24:25], v[31:32]
	v_fma_f64 v[27:28], v[17:18], s[18:19], v[27:28]
	s_delay_alu instid0(VALU_DEP_1) | instskip(NEXT) | instid1(VALU_DEP_1)
	v_add_f64 v[17:18], v[29:30], v[27:28]
	v_add_f64 v[29:30], v[17:18], -v[29:30]
	s_delay_alu instid0(VALU_DEP_1)
	v_add_f64 v[27:28], v[27:28], -v[29:30]
	s_and_not1_saveexec_b32 s18, s22
	s_cbranch_execz .LBB100_101
	s_branch .LBB100_100
.LBB100_99:                             ;   in Loop: Header=BB100_4 Depth=1
	s_and_not1_saveexec_b32 s18, s22
	s_cbranch_execz .LBB100_101
.LBB100_100:                            ;   in Loop: Header=BB100_4 Depth=1
	v_mul_f64 v[17:18], |v[13:14]|, s[26:27]
	s_mov_b32 s22, s28
	s_delay_alu instid0(VALU_DEP_1) | instskip(NEXT) | instid1(VALU_DEP_1)
	v_rndne_f64_e32 v[29:30], v[17:18]
	v_fma_f64 v[17:18], v[29:30], s[20:21], |v[13:14]|
	v_mul_f64 v[27:28], v[29:30], s[28:29]
	v_cvt_i32_f64_e32 v19, v[29:30]
	s_delay_alu instid0(VALU_DEP_3) | instskip(NEXT) | instid1(VALU_DEP_3)
	v_fma_f64 v[33:34], v[29:30], s[28:29], v[17:18]
	v_add_f64 v[31:32], v[17:18], v[27:28]
	s_delay_alu instid0(VALU_DEP_1) | instskip(NEXT) | instid1(VALU_DEP_3)
	v_add_f64 v[17:18], v[17:18], -v[31:32]
	v_add_f64 v[31:32], v[31:32], -v[33:34]
	s_delay_alu instid0(VALU_DEP_2) | instskip(SKIP_1) | instid1(VALU_DEP_2)
	v_add_f64 v[17:18], v[17:18], v[27:28]
	v_fma_f64 v[27:28], v[29:30], s[22:23], v[27:28]
	v_add_f64 v[17:18], v[31:32], v[17:18]
	s_delay_alu instid0(VALU_DEP_1) | instskip(NEXT) | instid1(VALU_DEP_1)
	v_add_f64 v[17:18], v[17:18], -v[27:28]
	v_fma_f64 v[27:28], v[29:30], s[30:31], v[17:18]
	s_delay_alu instid0(VALU_DEP_1) | instskip(NEXT) | instid1(VALU_DEP_1)
	v_add_f64 v[17:18], v[33:34], v[27:28]
	v_add_f64 v[31:32], v[17:18], -v[33:34]
	s_delay_alu instid0(VALU_DEP_1)
	v_add_f64 v[27:28], v[27:28], -v[31:32]
.LBB100_101:                            ;   in Loop: Header=BB100_4 Depth=1
	s_or_b32 exec_lo, exec_lo, s18
                                        ; implicit-def: $vgpr22
                                        ; implicit-def: $vgpr29_vgpr30
                                        ; implicit-def: $vgpr31_vgpr32
	s_and_saveexec_b32 s18, s6
	s_delay_alu instid0(SALU_CYCLE_1)
	s_xor_b32 s6, exec_lo, s18
	s_cbranch_execz .LBB100_103
; %bb.102:                              ;   in Loop: Header=BB100_4 Depth=1
	v_ldexp_f64 v[29:30], |v[13:14]|, 0xffffff80
	v_cmp_le_f64_e64 vcc_lo, 0x7b000000, |v[13:14]|
	v_trig_preop_f64 v[31:32], |v[13:14]|, 0
	v_and_b32_e32 v22, 0x7fffffff, v14
	v_trig_preop_f64 v[35:36], |v[13:14]|, 1
	v_trig_preop_f64 v[47:48], |v[13:14]|, 2
	s_mov_b32 s18, s20
	s_mov_b32 s25, s23
	v_dual_cndmask_b32 v29, v13, v29 :: v_dual_cndmask_b32 v30, v22, v30
	s_delay_alu instid0(VALU_DEP_1) | instskip(NEXT) | instid1(VALU_DEP_4)
	v_mul_f64 v[33:34], v[31:32], v[29:30]
	v_mul_f64 v[37:38], v[35:36], v[29:30]
	s_delay_alu instid0(VALU_DEP_4) | instskip(NEXT) | instid1(VALU_DEP_3)
	v_mul_f64 v[49:50], v[47:48], v[29:30]
	v_fma_f64 v[31:32], v[31:32], v[29:30], -v[33:34]
	s_delay_alu instid0(VALU_DEP_3) | instskip(NEXT) | instid1(VALU_DEP_3)
	v_fma_f64 v[35:36], v[35:36], v[29:30], -v[37:38]
	v_fma_f64 v[29:30], v[47:48], v[29:30], -v[49:50]
	s_delay_alu instid0(VALU_DEP_3) | instskip(NEXT) | instid1(VALU_DEP_1)
	v_add_f64 v[47:48], v[37:38], v[31:32]
	v_add_f64 v[51:52], v[47:48], -v[37:38]
	s_delay_alu instid0(VALU_DEP_1) | instskip(SKIP_1) | instid1(VALU_DEP_1)
	v_add_f64 v[31:32], v[31:32], -v[51:52]
	v_add_f64 v[51:52], v[47:48], -v[51:52]
	;; [unrolled: 1-line block ×3, first 2 shown]
	v_add_f64 v[51:52], v[33:34], v[47:48]
	s_delay_alu instid0(VALU_DEP_2) | instskip(NEXT) | instid1(VALU_DEP_2)
	v_add_f64 v[31:32], v[31:32], v[37:38]
	v_add_f64 v[33:34], v[51:52], -v[33:34]
	v_add_f64 v[37:38], v[49:50], v[35:36]
	v_ldexp_f64 v[51:52], v[51:52], -2
	s_delay_alu instid0(VALU_DEP_3) | instskip(NEXT) | instid1(VALU_DEP_3)
	v_add_f64 v[33:34], v[47:48], -v[33:34]
	v_add_f64 v[47:48], v[37:38], -v[49:50]
	s_delay_alu instid0(VALU_DEP_3) | instskip(SKIP_1) | instid1(VALU_DEP_3)
	v_cmp_neq_f64_e64 vcc_lo, 0x7ff00000, |v[51:52]|
	v_fract_f64_e32 v[51:52], v[51:52]
	v_add_f64 v[35:36], v[35:36], -v[47:48]
	v_add_f64 v[47:48], v[37:38], -v[47:48]
	s_delay_alu instid0(VALU_DEP_3) | instskip(NEXT) | instid1(VALU_DEP_2)
	v_dual_cndmask_b32 v51, 0, v51 :: v_dual_cndmask_b32 v52, 0, v52
	v_add_f64 v[47:48], v[49:50], -v[47:48]
	v_add_f64 v[49:50], v[37:38], v[31:32]
	s_delay_alu instid0(VALU_DEP_2) | instskip(NEXT) | instid1(VALU_DEP_2)
	v_add_f64 v[35:36], v[35:36], v[47:48]
	v_add_f64 v[53:54], v[49:50], -v[37:38]
	v_add_f64 v[47:48], v[33:34], v[49:50]
	s_delay_alu instid0(VALU_DEP_2) | instskip(SKIP_1) | instid1(VALU_DEP_3)
	v_add_f64 v[31:32], v[31:32], -v[53:54]
	v_add_f64 v[53:54], v[49:50], -v[53:54]
	;; [unrolled: 1-line block ×3, first 2 shown]
	s_delay_alu instid0(VALU_DEP_2) | instskip(NEXT) | instid1(VALU_DEP_2)
	v_add_f64 v[37:38], v[37:38], -v[53:54]
	v_add_f64 v[33:34], v[49:50], -v[33:34]
	s_delay_alu instid0(VALU_DEP_2) | instskip(SKIP_1) | instid1(VALU_DEP_2)
	v_add_f64 v[31:32], v[31:32], v[37:38]
	v_ldexp_f64 v[37:38], v[51:52], 2
	v_add_f64 v[31:32], v[35:36], v[31:32]
	s_delay_alu instid0(VALU_DEP_2) | instskip(NEXT) | instid1(VALU_DEP_2)
	v_add_f64 v[51:52], v[47:48], v[37:38]
	v_add_f64 v[29:30], v[29:30], v[31:32]
	s_delay_alu instid0(VALU_DEP_2) | instskip(NEXT) | instid1(VALU_DEP_2)
	v_cmp_gt_f64_e32 vcc_lo, 0, v[51:52]
	v_add_f64 v[29:30], v[33:34], v[29:30]
	v_cndmask_b32_e64 v22, 0, 0x40100000, vcc_lo
	s_delay_alu instid0(VALU_DEP_1) | instskip(NEXT) | instid1(VALU_DEP_1)
	v_add_f64 v[31:32], v[37:38], v[21:22]
	v_add_f64 v[35:36], v[47:48], v[31:32]
	s_delay_alu instid0(VALU_DEP_1) | instskip(NEXT) | instid1(VALU_DEP_1)
	v_cvt_i32_f64_e32 v37, v[35:36]
	v_cvt_f64_i32_e32 v[35:36], v37
	s_delay_alu instid0(VALU_DEP_1) | instskip(NEXT) | instid1(VALU_DEP_1)
	v_add_f64 v[31:32], v[31:32], -v[35:36]
	v_add_f64 v[33:34], v[47:48], v[31:32]
	s_delay_alu instid0(VALU_DEP_1) | instskip(SKIP_1) | instid1(VALU_DEP_2)
	v_add_f64 v[31:32], v[33:34], -v[31:32]
	v_cmp_le_f64_e32 vcc_lo, 0.5, v[33:34]
	v_add_f64 v[31:32], v[47:48], -v[31:32]
	v_cndmask_b32_e64 v22, 0, 0x3ff00000, vcc_lo
	s_delay_alu instid0(VALU_DEP_1) | instskip(SKIP_1) | instid1(VALU_DEP_4)
	v_add_f64 v[33:34], v[33:34], -v[21:22]
	v_add_co_ci_u32_e32 v22, vcc_lo, 0, v37, vcc_lo
	v_add_f64 v[29:30], v[29:30], v[31:32]
	s_delay_alu instid0(VALU_DEP_1) | instskip(NEXT) | instid1(VALU_DEP_1)
	v_add_f64 v[31:32], v[33:34], v[29:30]
	v_add_f64 v[33:34], v[31:32], -v[33:34]
	s_delay_alu instid0(VALU_DEP_1) | instskip(SKIP_1) | instid1(VALU_DEP_1)
	v_add_f64 v[29:30], v[29:30], -v[33:34]
	v_mul_f64 v[33:34], v[31:32], s[18:19]
	v_fma_f64 v[35:36], v[31:32], s[18:19], -v[33:34]
	s_delay_alu instid0(VALU_DEP_1) | instskip(NEXT) | instid1(VALU_DEP_1)
	v_fma_f64 v[31:32], v[31:32], s[24:25], v[35:36]
	v_fma_f64 v[31:32], v[29:30], s[18:19], v[31:32]
	s_delay_alu instid0(VALU_DEP_1) | instskip(NEXT) | instid1(VALU_DEP_1)
	v_add_f64 v[29:30], v[33:34], v[31:32]
	v_add_f64 v[33:34], v[29:30], -v[33:34]
	s_delay_alu instid0(VALU_DEP_1)
	v_add_f64 v[31:32], v[31:32], -v[33:34]
	s_and_not1_saveexec_b32 s6, s6
	s_cbranch_execnz .LBB100_104
	s_branch .LBB100_105
.LBB100_103:                            ;   in Loop: Header=BB100_4 Depth=1
	s_and_not1_saveexec_b32 s6, s6
	s_cbranch_execz .LBB100_105
.LBB100_104:                            ;   in Loop: Header=BB100_4 Depth=1
	v_mul_f64 v[29:30], |v[13:14]|, s[26:27]
	s_mov_b32 s22, s28
	s_delay_alu instid0(VALU_DEP_1) | instskip(NEXT) | instid1(VALU_DEP_1)
	v_rndne_f64_e32 v[33:34], v[29:30]
	v_fma_f64 v[29:30], v[33:34], s[20:21], |v[13:14]|
	v_mul_f64 v[31:32], v[33:34], s[28:29]
	v_cvt_i32_f64_e32 v22, v[33:34]
	s_delay_alu instid0(VALU_DEP_3) | instskip(NEXT) | instid1(VALU_DEP_3)
	v_fma_f64 v[37:38], v[33:34], s[28:29], v[29:30]
	v_add_f64 v[35:36], v[29:30], v[31:32]
	s_delay_alu instid0(VALU_DEP_1) | instskip(NEXT) | instid1(VALU_DEP_3)
	v_add_f64 v[29:30], v[29:30], -v[35:36]
	v_add_f64 v[35:36], v[35:36], -v[37:38]
	s_delay_alu instid0(VALU_DEP_2) | instskip(SKIP_1) | instid1(VALU_DEP_2)
	v_add_f64 v[29:30], v[29:30], v[31:32]
	v_fma_f64 v[31:32], v[33:34], s[22:23], v[31:32]
	v_add_f64 v[29:30], v[35:36], v[29:30]
	s_delay_alu instid0(VALU_DEP_1) | instskip(NEXT) | instid1(VALU_DEP_1)
	v_add_f64 v[29:30], v[29:30], -v[31:32]
	v_fma_f64 v[31:32], v[33:34], s[30:31], v[29:30]
	s_delay_alu instid0(VALU_DEP_1) | instskip(NEXT) | instid1(VALU_DEP_1)
	v_add_f64 v[29:30], v[37:38], v[31:32]
	v_add_f64 v[35:36], v[29:30], -v[37:38]
	s_delay_alu instid0(VALU_DEP_1)
	v_add_f64 v[31:32], v[31:32], -v[35:36]
.LBB100_105:                            ;   in Loop: Header=BB100_4 Depth=1
	s_or_b32 exec_lo, exec_lo, s6
	s_delay_alu instid0(VALU_DEP_2) | instskip(NEXT) | instid1(VALU_DEP_2)
	v_mul_f64 v[33:34], v[17:18], v[17:18]
	v_mul_f64 v[49:50], v[27:28], 0.5
	s_delay_alu instid0(VALU_DEP_3)
	v_mul_f64 v[55:56], v[31:32], 0.5
	s_mov_b32 s48, s50
	v_cmp_nlt_f64_e64 vcc_lo, 0x4090cc00, |v[15:16]|
	v_lshlrev_b32_e32 v13, 30, v19
	s_mov_b32 s89, s47
	s_mov_b32 s91, s51
	v_mul_f64 v[35:36], v[33:34], 0.5
	v_mul_f64 v[51:52], v[17:18], -v[33:34]
	s_delay_alu instid0(VALU_DEP_2) | instskip(NEXT) | instid1(VALU_DEP_1)
	v_add_f64 v[37:38], -v[35:36], 1.0
	v_add_f64 v[47:48], -v[37:38], 1.0
	s_delay_alu instid0(VALU_DEP_1) | instskip(SKIP_1) | instid1(VALU_DEP_2)
	v_add_f64 v[35:36], v[47:48], -v[35:36]
	v_fma_f64 v[47:48], v[33:34], s[38:39], s[36:37]
	v_fma_f64 v[35:36], v[17:18], -v[27:28], v[35:36]
	s_delay_alu instid0(VALU_DEP_2) | instskip(NEXT) | instid1(VALU_DEP_1)
	v_fma_f64 v[47:48], v[33:34], v[47:48], s[40:41]
	v_fma_f64 v[47:48], v[33:34], v[47:48], s[42:43]
	s_delay_alu instid0(VALU_DEP_1) | instskip(NEXT) | instid1(VALU_DEP_1)
	v_fma_f64 v[47:48], v[33:34], v[47:48], s[46:47]
	v_fma_f64 v[47:48], v[51:52], v[47:48], v[49:50]
	s_delay_alu instid0(VALU_DEP_1) | instskip(SKIP_1) | instid1(VALU_DEP_2)
	v_fma_f64 v[27:28], v[33:34], v[47:48], -v[27:28]
	v_fma_f64 v[47:48], v[33:34], s[100:101], s[98:99]
	v_fma_f64 v[27:28], v[51:52], s[48:49], v[27:28]
	s_delay_alu instid0(VALU_DEP_2) | instskip(NEXT) | instid1(VALU_DEP_2)
	v_fma_f64 v[47:48], v[33:34], v[47:48], s[102:103]
	v_add_f64 v[17:18], v[17:18], -v[27:28]
	s_delay_alu instid0(VALU_DEP_2) | instskip(NEXT) | instid1(VALU_DEP_1)
	v_fma_f64 v[47:48], v[33:34], v[47:48], s[10:11]
	v_fma_f64 v[47:48], v[33:34], v[47:48], s[34:35]
	s_delay_alu instid0(VALU_DEP_1) | instskip(SKIP_1) | instid1(VALU_DEP_1)
	v_fma_f64 v[47:48], v[33:34], v[47:48], s[50:51]
	v_mul_f64 v[33:34], v[33:34], v[33:34]
	v_fma_f64 v[33:34], v[33:34], v[47:48], v[35:36]
	v_mul_f64 v[35:36], v[29:30], v[29:30]
	s_delay_alu instid0(VALU_DEP_2) | instskip(NEXT) | instid1(VALU_DEP_2)
	v_add_f64 v[33:34], v[37:38], v[33:34]
	v_mul_f64 v[47:48], v[35:36], 0.5
	v_mul_f64 v[57:58], v[29:30], -v[35:36]
	s_delay_alu instid0(VALU_DEP_2) | instskip(NEXT) | instid1(VALU_DEP_1)
	v_add_f64 v[49:50], -v[47:48], 1.0
	v_add_f64 v[53:54], -v[49:50], 1.0
	s_delay_alu instid0(VALU_DEP_1) | instskip(SKIP_1) | instid1(VALU_DEP_2)
	v_add_f64 v[47:48], v[53:54], -v[47:48]
	v_fma_f64 v[53:54], v[35:36], s[38:39], s[36:37]
	v_fma_f64 v[47:48], v[29:30], -v[31:32], v[47:48]
	s_delay_alu instid0(VALU_DEP_2) | instskip(NEXT) | instid1(VALU_DEP_1)
	v_fma_f64 v[53:54], v[35:36], v[53:54], s[40:41]
	v_fma_f64 v[53:54], v[35:36], v[53:54], s[42:43]
	s_delay_alu instid0(VALU_DEP_1) | instskip(NEXT) | instid1(VALU_DEP_1)
	v_fma_f64 v[53:54], v[35:36], v[53:54], s[46:47]
	v_fma_f64 v[53:54], v[57:58], v[53:54], v[55:56]
	s_delay_alu instid0(VALU_DEP_1) | instskip(SKIP_1) | instid1(VALU_DEP_2)
	v_fma_f64 v[31:32], v[35:36], v[53:54], -v[31:32]
	v_fma_f64 v[53:54], v[35:36], s[100:101], s[98:99]
	v_fma_f64 v[31:32], v[57:58], s[48:49], v[31:32]
	s_delay_alu instid0(VALU_DEP_2) | instskip(NEXT) | instid1(VALU_DEP_2)
	v_fma_f64 v[53:54], v[35:36], v[53:54], s[102:103]
	v_add_f64 v[27:28], v[29:30], -v[31:32]
	s_delay_alu instid0(VALU_DEP_2) | instskip(SKIP_2) | instid1(VALU_DEP_3)
	v_fma_f64 v[53:54], v[35:36], v[53:54], s[10:11]
	v_mul_f64 v[29:30], |v[15:16]|, s[70:71]
	v_xor_b32_e32 v31, v13, v14
	v_fma_f64 v[53:54], v[35:36], v[53:54], s[34:35]
	s_delay_alu instid0(VALU_DEP_3) | instskip(NEXT) | instid1(VALU_DEP_2)
	v_rndne_f64_e32 v[29:30], v[29:30]
	v_fma_f64 v[53:54], v[35:36], v[53:54], s[50:51]
	v_mul_f64 v[35:36], v[35:36], v[35:36]
	s_delay_alu instid0(VALU_DEP_3) | instskip(SKIP_2) | instid1(VALU_DEP_2)
	v_fma_f64 v[13:14], v[29:30], s[44:45], -|v[15:16]|
	v_and_b32_e32 v15, 1, v19
	v_lshlrev_b32_e32 v19, 30, v22
	v_cmp_eq_u32_e64 s6, 0, v15
	s_delay_alu instid0(VALU_DEP_2) | instskip(NEXT) | instid1(VALU_DEP_2)
	v_and_b32_e32 v19, 0x80000000, v19
	v_cndmask_b32_e64 v16, v34, v18, s6
	v_cndmask_b32_e64 v15, v33, v17, s6
	v_and_b32_e32 v17, 0x80000000, v31
	v_xor_b32_e32 v18, 0x80000000, v28
	s_delay_alu instid0(VALU_DEP_2) | instskip(SKIP_1) | instid1(VALU_DEP_2)
	v_xor_b32_e32 v16, v16, v17
	v_and_b32_e32 v17, 1, v22
	v_mul_f64 v[15:16], v[15:16], 4.0
	s_delay_alu instid0(VALU_DEP_2) | instskip(SKIP_2) | instid1(VALU_DEP_2)
	v_cmp_eq_u32_e64 s6, 0, v17
	v_fma_f64 v[35:36], v[35:36], v[53:54], v[47:48]
	v_fma_f64 v[13:14], v[29:30], s[66:67], v[13:14]
	v_add_f64 v[35:36], v[49:50], v[35:36]
	s_delay_alu instid0(VALU_DEP_1) | instskip(NEXT) | instid1(VALU_DEP_3)
	v_cndmask_b32_e64 v17, v27, v35, s6
	v_fma_f64 v[27:28], v[13:14], s[78:79], s[76:77]
	s_delay_alu instid0(VALU_DEP_3) | instskip(SKIP_1) | instid1(SALU_CYCLE_1)
	v_cndmask_b32_e64 v18, v18, v36, s6
	s_mov_b32 s6, 0x3ff00000
	v_bfi_b32 v22, 0x7fffffff, s6, v20
	s_delay_alu instid0(VALU_DEP_2) | instskip(SKIP_1) | instid1(VALU_DEP_2)
	v_xor_b32_e32 v18, v18, v19
	v_cvt_i32_f64_e32 v19, v[29:30]
	v_mul_f64 v[15:16], v[15:16], v[17:18]
	v_fma_f64 v[27:28], v[13:14], v[27:28], s[80:81]
	s_delay_alu instid0(VALU_DEP_1) | instskip(NEXT) | instid1(VALU_DEP_1)
	v_fma_f64 v[27:28], v[13:14], v[27:28], s[82:83]
	v_fma_f64 v[27:28], v[13:14], v[27:28], s[84:85]
	s_delay_alu instid0(VALU_DEP_1) | instskip(NEXT) | instid1(VALU_DEP_1)
	v_fma_f64 v[27:28], v[13:14], v[27:28], s[86:87]
	;; [unrolled: 3-line block ×4, first 2 shown]
	v_fma_f64 v[27:28], v[13:14], v[27:28], 1.0
	s_delay_alu instid0(VALU_DEP_1) | instskip(NEXT) | instid1(VALU_DEP_1)
	v_fma_f64 v[13:14], v[13:14], v[27:28], 1.0
	v_ldexp_f64 v[13:14], v[13:14], v19
	v_dual_mov_b32 v19, v21 :: v_dual_mov_b32 v20, v22
	s_delay_alu instid0(VALU_DEP_2) | instskip(NEXT) | instid1(VALU_DEP_1)
	v_dual_cndmask_b32 v14, 0, v14 :: v_dual_cndmask_b32 v13, 0, v13
	v_mul_f64 v[15:16], v[13:14], v[15:16]
	s_delay_alu instid0(VALU_DEP_1)
	v_mul_f64 v[17:18], v[13:14], v[15:16]
.LBB100_106:                            ;   in Loop: Header=BB100_4 Depth=1
	s_or_b32 exec_lo, exec_lo, s63
                                        ; implicit-def: $vgpr13_vgpr14
.LBB100_107:                            ;   in Loop: Header=BB100_4 Depth=1
	s_and_not1_saveexec_b32 s6, s53
; %bb.108:                              ;   in Loop: Header=BB100_4 Depth=1
	v_add_f64 v[17:18], v[13:14], -v[13:14]
	s_delay_alu instid0(VALU_DEP_1)
	v_dual_mov_b32 v20, v18 :: v_dual_mov_b32 v19, v17
; %bb.109:                              ;   in Loop: Header=BB100_4 Depth=1
	s_or_b32 exec_lo, exec_lo, s6
                                        ; implicit-def: $vgpr13_vgpr14
.LBB100_110:                            ;   in Loop: Header=BB100_4 Depth=1
	s_and_not1_saveexec_b32 s53, s7
	s_cbranch_execz .LBB100_126
; %bb.111:                              ;   in Loop: Header=BB100_4 Depth=1
	s_delay_alu instid0(VALU_DEP_1) | instskip(SKIP_1) | instid1(VALU_DEP_1)
	v_and_or_b32 v17, 0xfffff, v20, v19
	s_mov_b32 s6, exec_lo
	v_cmpx_ne_u32_e32 0, v17
	s_xor_b32 s6, exec_lo, s6
; %bb.112:                              ;   in Loop: Header=BB100_4 Depth=1
	v_mul_f64 v[15:16], v[13:14], -v[15:16]
	v_cmp_eq_f64_e32 vcc_lo, 0, v[13:14]
	s_delay_alu instid0(VALU_DEP_2)
	v_dual_cndmask_b32 v18, v16, v14 :: v_dual_cndmask_b32 v17, v15, v13
                                        ; implicit-def: $vgpr13_vgpr14
; %bb.113:                              ;   in Loop: Header=BB100_4 Depth=1
	s_and_not1_saveexec_b32 s63, s6
	s_cbranch_execz .LBB100_125
; %bb.114:                              ;   in Loop: Header=BB100_4 Depth=1
	s_mov_b32 s64, exec_lo
	v_cmpx_neq_f64_e64 0x7ff00000, |v[13:14]|
	s_cbranch_execz .LBB100_124
; %bb.115:                              ;   in Loop: Header=BB100_4 Depth=1
	v_cmp_ngt_f64_e64 s6, 0x41d00000, |v[13:14]|
	v_trig_preop_f64 v[31:32], |v[13:14]|, 0
	v_trig_preop_f64 v[29:30], |v[13:14]|, 1
	v_ldexp_f64 v[33:34], |v[13:14]|, 0xffffff80
	v_trig_preop_f64 v[27:28], |v[13:14]|, 2
	v_and_b32_e32 v48, 0x7fffffff, v14
                                        ; implicit-def: $vgpr47
                                        ; implicit-def: $vgpr15_vgpr16
                                        ; implicit-def: $vgpr17_vgpr18
	s_and_saveexec_b32 s7, s6
	s_delay_alu instid0(SALU_CYCLE_1)
	s_xor_b32 s7, exec_lo, s7
	s_cbranch_execz .LBB100_117
; %bb.116:                              ;   in Loop: Header=BB100_4 Depth=1
	v_cmp_le_f64_e64 vcc_lo, 0x7b000000, |v[13:14]|
	s_mov_b32 s18, s20
	s_mov_b32 s25, s23
	s_delay_alu instid0(VALU_DEP_4) | instskip(NEXT) | instid1(VALU_DEP_1)
	v_dual_cndmask_b32 v16, v48, v34 :: v_dual_cndmask_b32 v15, v13, v33
	v_mul_f64 v[17:18], v[31:32], v[15:16]
	v_mul_f64 v[35:36], v[29:30], v[15:16]
	s_delay_alu instid0(VALU_DEP_2) | instskip(NEXT) | instid1(VALU_DEP_1)
	v_fma_f64 v[37:38], v[31:32], v[15:16], -v[17:18]
	v_add_f64 v[49:50], v[35:36], v[37:38]
	s_delay_alu instid0(VALU_DEP_1) | instskip(SKIP_1) | instid1(VALU_DEP_2)
	v_add_f64 v[51:52], v[49:50], -v[35:36]
	v_add_f64 v[53:54], v[17:18], v[49:50]
	v_add_f64 v[37:38], v[37:38], -v[51:52]
	s_delay_alu instid0(VALU_DEP_2) | instskip(SKIP_1) | instid1(VALU_DEP_2)
	v_add_f64 v[17:18], v[53:54], -v[17:18]
	v_add_f64 v[51:52], v[49:50], -v[51:52]
	;; [unrolled: 1-line block ×3, first 2 shown]
	s_delay_alu instid0(VALU_DEP_2) | instskip(SKIP_2) | instid1(VALU_DEP_3)
	v_add_f64 v[49:50], v[35:36], -v[51:52]
	v_fma_f64 v[35:36], v[29:30], v[15:16], -v[35:36]
	v_mul_f64 v[51:52], v[27:28], v[15:16]
	v_add_f64 v[37:38], v[37:38], v[49:50]
	v_ldexp_f64 v[49:50], v[53:54], -2
	s_delay_alu instid0(VALU_DEP_3) | instskip(SKIP_1) | instid1(VALU_DEP_3)
	v_add_f64 v[53:54], v[51:52], v[35:36]
	v_fma_f64 v[15:16], v[27:28], v[15:16], -v[51:52]
	v_cmp_neq_f64_e64 vcc_lo, 0x7ff00000, |v[49:50]|
	s_delay_alu instid0(VALU_DEP_3) | instskip(SKIP_2) | instid1(VALU_DEP_3)
	v_add_f64 v[57:58], v[53:54], v[37:38]
	v_add_f64 v[55:56], v[53:54], -v[51:52]
	v_fract_f64_e32 v[49:50], v[49:50]
	v_add_f64 v[59:60], v[57:58], -v[53:54]
	s_delay_alu instid0(VALU_DEP_3) | instskip(SKIP_1) | instid1(VALU_DEP_4)
	v_add_f64 v[35:36], v[35:36], -v[55:56]
	v_add_f64 v[55:56], v[53:54], -v[55:56]
	v_dual_cndmask_b32 v50, 0, v50 :: v_dual_cndmask_b32 v49, 0, v49
	s_delay_alu instid0(VALU_DEP_1) | instskip(SKIP_4) | instid1(VALU_DEP_3)
	v_ldexp_f64 v[49:50], v[49:50], 2
	v_add_f64 v[37:38], v[37:38], -v[59:60]
	v_add_f64 v[59:60], v[57:58], -v[59:60]
	;; [unrolled: 1-line block ×3, first 2 shown]
	v_add_f64 v[51:52], v[17:18], v[57:58]
	v_add_f64 v[53:54], v[53:54], -v[59:60]
	s_delay_alu instid0(VALU_DEP_3) | instskip(NEXT) | instid1(VALU_DEP_3)
	v_add_f64 v[35:36], v[35:36], v[55:56]
	v_add_f64 v[17:18], v[51:52], -v[17:18]
	s_delay_alu instid0(VALU_DEP_3) | instskip(SKIP_1) | instid1(VALU_DEP_3)
	v_add_f64 v[37:38], v[37:38], v[53:54]
	v_add_f64 v[53:54], v[51:52], v[49:50]
	v_add_f64 v[17:18], v[57:58], -v[17:18]
	s_delay_alu instid0(VALU_DEP_3) | instskip(NEXT) | instid1(VALU_DEP_3)
	v_add_f64 v[35:36], v[35:36], v[37:38]
	v_cmp_gt_f64_e32 vcc_lo, 0, v[53:54]
	s_delay_alu instid0(VALU_DEP_2) | instskip(SKIP_1) | instid1(VALU_DEP_1)
	v_add_f64 v[15:16], v[15:16], v[35:36]
	v_cndmask_b32_e64 v22, 0, 0x40100000, vcc_lo
	v_add_f64 v[35:36], v[49:50], v[21:22]
	s_delay_alu instid0(VALU_DEP_3) | instskip(NEXT) | instid1(VALU_DEP_2)
	v_add_f64 v[15:16], v[17:18], v[15:16]
	v_add_f64 v[37:38], v[51:52], v[35:36]
	s_delay_alu instid0(VALU_DEP_1) | instskip(NEXT) | instid1(VALU_DEP_1)
	v_cvt_i32_f64_e32 v47, v[37:38]
	v_cvt_f64_i32_e32 v[37:38], v47
	s_delay_alu instid0(VALU_DEP_1) | instskip(NEXT) | instid1(VALU_DEP_1)
	v_add_f64 v[35:36], v[35:36], -v[37:38]
	v_add_f64 v[17:18], v[51:52], v[35:36]
	s_delay_alu instid0(VALU_DEP_1) | instskip(SKIP_1) | instid1(VALU_DEP_2)
	v_add_f64 v[35:36], v[17:18], -v[35:36]
	v_cmp_le_f64_e32 vcc_lo, 0.5, v[17:18]
	v_add_f64 v[35:36], v[51:52], -v[35:36]
	v_cndmask_b32_e64 v22, 0, 0x3ff00000, vcc_lo
	v_add_co_ci_u32_e32 v47, vcc_lo, 0, v47, vcc_lo
	s_delay_alu instid0(VALU_DEP_2) | instskip(NEXT) | instid1(VALU_DEP_4)
	v_add_f64 v[17:18], v[17:18], -v[21:22]
	v_add_f64 v[15:16], v[15:16], v[35:36]
	s_delay_alu instid0(VALU_DEP_1) | instskip(NEXT) | instid1(VALU_DEP_1)
	v_add_f64 v[35:36], v[17:18], v[15:16]
	v_add_f64 v[17:18], v[35:36], -v[17:18]
	s_delay_alu instid0(VALU_DEP_1) | instskip(SKIP_1) | instid1(VALU_DEP_1)
	v_add_f64 v[15:16], v[15:16], -v[17:18]
	v_mul_f64 v[17:18], v[35:36], s[18:19]
	v_fma_f64 v[37:38], v[35:36], s[18:19], -v[17:18]
	s_delay_alu instid0(VALU_DEP_1) | instskip(NEXT) | instid1(VALU_DEP_1)
	v_fma_f64 v[35:36], v[35:36], s[24:25], v[37:38]
	v_fma_f64 v[35:36], v[15:16], s[18:19], v[35:36]
	s_delay_alu instid0(VALU_DEP_1) | instskip(NEXT) | instid1(VALU_DEP_1)
	v_add_f64 v[15:16], v[17:18], v[35:36]
	v_add_f64 v[17:18], v[15:16], -v[17:18]
	s_delay_alu instid0(VALU_DEP_1)
	v_add_f64 v[17:18], v[35:36], -v[17:18]
	s_and_not1_saveexec_b32 s7, s7
	s_cbranch_execz .LBB100_119
	s_branch .LBB100_118
.LBB100_117:                            ;   in Loop: Header=BB100_4 Depth=1
	s_and_not1_saveexec_b32 s7, s7
	s_cbranch_execz .LBB100_119
.LBB100_118:                            ;   in Loop: Header=BB100_4 Depth=1
	v_mul_f64 v[15:16], |v[13:14]|, s[26:27]
	s_mov_b32 s22, s28
	s_delay_alu instid0(VALU_DEP_1) | instskip(NEXT) | instid1(VALU_DEP_1)
	v_rndne_f64_e32 v[35:36], v[15:16]
	v_fma_f64 v[15:16], v[35:36], s[20:21], |v[13:14]|
	v_mul_f64 v[17:18], v[35:36], s[28:29]
	v_cvt_i32_f64_e32 v47, v[35:36]
	s_delay_alu instid0(VALU_DEP_3) | instskip(NEXT) | instid1(VALU_DEP_3)
	v_fma_f64 v[49:50], v[35:36], s[28:29], v[15:16]
	v_add_f64 v[37:38], v[15:16], v[17:18]
	s_delay_alu instid0(VALU_DEP_1) | instskip(NEXT) | instid1(VALU_DEP_3)
	v_add_f64 v[15:16], v[15:16], -v[37:38]
	v_add_f64 v[37:38], v[37:38], -v[49:50]
	s_delay_alu instid0(VALU_DEP_2) | instskip(SKIP_1) | instid1(VALU_DEP_2)
	v_add_f64 v[15:16], v[15:16], v[17:18]
	v_fma_f64 v[17:18], v[35:36], s[22:23], v[17:18]
	v_add_f64 v[15:16], v[37:38], v[15:16]
	s_delay_alu instid0(VALU_DEP_1) | instskip(NEXT) | instid1(VALU_DEP_1)
	v_add_f64 v[15:16], v[15:16], -v[17:18]
	v_fma_f64 v[17:18], v[35:36], s[30:31], v[15:16]
	s_delay_alu instid0(VALU_DEP_1) | instskip(NEXT) | instid1(VALU_DEP_1)
	v_add_f64 v[15:16], v[49:50], v[17:18]
	v_add_f64 v[37:38], v[15:16], -v[49:50]
	s_delay_alu instid0(VALU_DEP_1)
	v_add_f64 v[17:18], v[17:18], -v[37:38]
.LBB100_119:                            ;   in Loop: Header=BB100_4 Depth=1
	s_or_b32 exec_lo, exec_lo, s7
                                        ; implicit-def: $vgpr22
                                        ; implicit-def: $vgpr35_vgpr36
                                        ; implicit-def: $vgpr37_vgpr38
	s_and_saveexec_b32 s7, s6
	s_delay_alu instid0(SALU_CYCLE_1)
	s_xor_b32 s6, exec_lo, s7
	s_cbranch_execz .LBB100_121
; %bb.120:                              ;   in Loop: Header=BB100_4 Depth=1
	v_cmp_le_f64_e64 vcc_lo, 0x7b000000, |v[13:14]|
	s_mov_b32 s18, s20
	s_mov_b32 s25, s23
	s_delay_alu instid0(VALU_DEP_4) | instskip(NEXT) | instid1(VALU_DEP_1)
	v_dual_cndmask_b32 v34, v48, v34 :: v_dual_cndmask_b32 v33, v13, v33
	v_mul_f64 v[35:36], v[31:32], v[33:34]
	v_mul_f64 v[37:38], v[29:30], v[33:34]
	;; [unrolled: 1-line block ×3, first 2 shown]
	s_delay_alu instid0(VALU_DEP_3) | instskip(NEXT) | instid1(VALU_DEP_3)
	v_fma_f64 v[31:32], v[31:32], v[33:34], -v[35:36]
	v_fma_f64 v[29:30], v[29:30], v[33:34], -v[37:38]
	s_delay_alu instid0(VALU_DEP_3) | instskip(NEXT) | instid1(VALU_DEP_3)
	v_fma_f64 v[27:28], v[27:28], v[33:34], -v[48:49]
	v_add_f64 v[33:34], v[37:38], v[31:32]
	s_delay_alu instid0(VALU_DEP_1) | instskip(NEXT) | instid1(VALU_DEP_1)
	v_add_f64 v[50:51], v[33:34], -v[37:38]
	v_add_f64 v[31:32], v[31:32], -v[50:51]
	;; [unrolled: 1-line block ×3, first 2 shown]
	s_delay_alu instid0(VALU_DEP_1) | instskip(SKIP_1) | instid1(VALU_DEP_2)
	v_add_f64 v[37:38], v[37:38], -v[50:51]
	v_add_f64 v[50:51], v[35:36], v[33:34]
	v_add_f64 v[31:32], v[31:32], v[37:38]
	s_delay_alu instid0(VALU_DEP_2) | instskip(SKIP_1) | instid1(VALU_DEP_2)
	v_add_f64 v[35:36], v[50:51], -v[35:36]
	v_ldexp_f64 v[50:51], v[50:51], -2
	v_add_f64 v[33:34], v[33:34], -v[35:36]
	v_add_f64 v[35:36], v[48:49], v[29:30]
	s_delay_alu instid0(VALU_DEP_3) | instskip(SKIP_1) | instid1(VALU_DEP_3)
	v_cmp_neq_f64_e64 vcc_lo, 0x7ff00000, |v[50:51]|
	v_fract_f64_e32 v[50:51], v[50:51]
	v_add_f64 v[37:38], v[35:36], -v[48:49]
	s_delay_alu instid0(VALU_DEP_2) | instskip(NEXT) | instid1(VALU_DEP_2)
	v_dual_cndmask_b32 v51, 0, v51 :: v_dual_cndmask_b32 v50, 0, v50
	v_add_f64 v[29:30], v[29:30], -v[37:38]
	v_add_f64 v[37:38], v[35:36], -v[37:38]
	s_delay_alu instid0(VALU_DEP_1) | instskip(SKIP_1) | instid1(VALU_DEP_2)
	v_add_f64 v[37:38], v[48:49], -v[37:38]
	v_add_f64 v[48:49], v[35:36], v[31:32]
	v_add_f64 v[29:30], v[29:30], v[37:38]
	s_delay_alu instid0(VALU_DEP_2) | instskip(SKIP_1) | instid1(VALU_DEP_2)
	v_add_f64 v[52:53], v[48:49], -v[35:36]
	v_add_f64 v[37:38], v[33:34], v[48:49]
	v_add_f64 v[31:32], v[31:32], -v[52:53]
	v_add_f64 v[52:53], v[48:49], -v[52:53]
	s_delay_alu instid0(VALU_DEP_1) | instskip(NEXT) | instid1(VALU_DEP_1)
	v_add_f64 v[35:36], v[35:36], -v[52:53]
	v_add_f64 v[31:32], v[31:32], v[35:36]
	v_ldexp_f64 v[35:36], v[50:51], 2
	s_delay_alu instid0(VALU_DEP_2) | instskip(NEXT) | instid1(VALU_DEP_2)
	v_add_f64 v[29:30], v[29:30], v[31:32]
	v_add_f64 v[50:51], v[37:38], v[35:36]
	v_add_f64 v[31:32], v[37:38], -v[33:34]
	s_delay_alu instid0(VALU_DEP_3) | instskip(NEXT) | instid1(VALU_DEP_3)
	v_add_f64 v[27:28], v[27:28], v[29:30]
	v_cmp_gt_f64_e32 vcc_lo, 0, v[50:51]
	s_delay_alu instid0(VALU_DEP_3) | instskip(SKIP_1) | instid1(VALU_DEP_2)
	v_add_f64 v[31:32], v[48:49], -v[31:32]
	v_cndmask_b32_e64 v22, 0, 0x40100000, vcc_lo
	v_add_f64 v[27:28], v[31:32], v[27:28]
	s_delay_alu instid0(VALU_DEP_2) | instskip(NEXT) | instid1(VALU_DEP_1)
	v_add_f64 v[29:30], v[35:36], v[21:22]
	v_add_f64 v[33:34], v[37:38], v[29:30]
	s_delay_alu instid0(VALU_DEP_1) | instskip(NEXT) | instid1(VALU_DEP_1)
	v_cvt_i32_f64_e32 v48, v[33:34]
	v_cvt_f64_i32_e32 v[33:34], v48
	s_delay_alu instid0(VALU_DEP_1) | instskip(NEXT) | instid1(VALU_DEP_1)
	v_add_f64 v[29:30], v[29:30], -v[33:34]
	v_add_f64 v[31:32], v[37:38], v[29:30]
	s_delay_alu instid0(VALU_DEP_1) | instskip(SKIP_1) | instid1(VALU_DEP_2)
	v_add_f64 v[29:30], v[31:32], -v[29:30]
	v_cmp_le_f64_e32 vcc_lo, 0.5, v[31:32]
	v_add_f64 v[29:30], v[37:38], -v[29:30]
	v_cndmask_b32_e64 v22, 0, 0x3ff00000, vcc_lo
	s_delay_alu instid0(VALU_DEP_1) | instskip(SKIP_1) | instid1(VALU_DEP_4)
	v_add_f64 v[31:32], v[31:32], -v[21:22]
	v_add_co_ci_u32_e32 v22, vcc_lo, 0, v48, vcc_lo
	v_add_f64 v[27:28], v[27:28], v[29:30]
	s_delay_alu instid0(VALU_DEP_1) | instskip(NEXT) | instid1(VALU_DEP_1)
	v_add_f64 v[29:30], v[31:32], v[27:28]
	v_add_f64 v[31:32], v[29:30], -v[31:32]
	s_delay_alu instid0(VALU_DEP_1) | instskip(SKIP_1) | instid1(VALU_DEP_1)
	v_add_f64 v[27:28], v[27:28], -v[31:32]
	v_mul_f64 v[31:32], v[29:30], s[18:19]
	v_fma_f64 v[33:34], v[29:30], s[18:19], -v[31:32]
	s_delay_alu instid0(VALU_DEP_1) | instskip(NEXT) | instid1(VALU_DEP_1)
	v_fma_f64 v[29:30], v[29:30], s[24:25], v[33:34]
	v_fma_f64 v[27:28], v[27:28], s[18:19], v[29:30]
	s_delay_alu instid0(VALU_DEP_1) | instskip(NEXT) | instid1(VALU_DEP_1)
	v_add_f64 v[35:36], v[31:32], v[27:28]
	v_add_f64 v[29:30], v[35:36], -v[31:32]
	s_delay_alu instid0(VALU_DEP_1)
	v_add_f64 v[37:38], v[27:28], -v[29:30]
	s_and_not1_saveexec_b32 s6, s6
	s_cbranch_execnz .LBB100_122
	s_branch .LBB100_123
.LBB100_121:                            ;   in Loop: Header=BB100_4 Depth=1
	s_and_not1_saveexec_b32 s6, s6
	s_cbranch_execz .LBB100_123
.LBB100_122:                            ;   in Loop: Header=BB100_4 Depth=1
	v_mul_f64 v[27:28], |v[13:14]|, s[26:27]
	s_mov_b32 s22, s28
	s_delay_alu instid0(VALU_DEP_1) | instskip(NEXT) | instid1(VALU_DEP_1)
	v_rndne_f64_e32 v[27:28], v[27:28]
	v_fma_f64 v[29:30], v[27:28], s[20:21], |v[13:14]|
	v_mul_f64 v[31:32], v[27:28], s[28:29]
	v_cvt_i32_f64_e32 v22, v[27:28]
	s_delay_alu instid0(VALU_DEP_3) | instskip(NEXT) | instid1(VALU_DEP_3)
	v_fma_f64 v[37:38], v[27:28], s[28:29], v[29:30]
	v_add_f64 v[33:34], v[29:30], v[31:32]
	s_delay_alu instid0(VALU_DEP_1) | instskip(NEXT) | instid1(VALU_DEP_3)
	v_add_f64 v[29:30], v[29:30], -v[33:34]
	v_add_f64 v[33:34], v[33:34], -v[37:38]
	s_delay_alu instid0(VALU_DEP_2) | instskip(SKIP_1) | instid1(VALU_DEP_2)
	v_add_f64 v[29:30], v[29:30], v[31:32]
	v_fma_f64 v[31:32], v[27:28], s[22:23], v[31:32]
	v_add_f64 v[29:30], v[33:34], v[29:30]
	s_delay_alu instid0(VALU_DEP_1) | instskip(NEXT) | instid1(VALU_DEP_1)
	v_add_f64 v[29:30], v[29:30], -v[31:32]
	v_fma_f64 v[29:30], v[27:28], s[30:31], v[29:30]
	s_delay_alu instid0(VALU_DEP_1) | instskip(NEXT) | instid1(VALU_DEP_1)
	v_add_f64 v[35:36], v[37:38], v[29:30]
	v_add_f64 v[31:32], v[35:36], -v[37:38]
	s_delay_alu instid0(VALU_DEP_1)
	v_add_f64 v[37:38], v[29:30], -v[31:32]
.LBB100_123:                            ;   in Loop: Header=BB100_4 Depth=1
	s_or_b32 exec_lo, exec_lo, s6
	v_cmp_class_f64_e64 vcc_lo, v[13:14], 0x1f8
	v_lshlrev_b32_e32 v13, 30, v47
	s_delay_alu instid0(VALU_DEP_3) | instskip(NEXT) | instid1(VALU_DEP_4)
	v_mul_f64 v[33:34], v[17:18], 0.5
	v_mul_f64 v[52:53], v[37:38], 0.5
	s_mov_b32 s48, s50
	s_delay_alu instid0(VALU_DEP_3) | instskip(SKIP_1) | instid1(VALU_DEP_1)
	v_xor_b32_e32 v56, v13, v14
	v_mul_f64 v[13:14], v[15:16], v[15:16]
	v_mul_f64 v[27:28], v[13:14], 0.5
	v_mul_f64 v[48:49], v[15:16], -v[13:14]
	s_delay_alu instid0(VALU_DEP_2) | instskip(NEXT) | instid1(VALU_DEP_1)
	v_add_f64 v[29:30], -v[27:28], 1.0
	v_add_f64 v[31:32], -v[29:30], 1.0
	s_delay_alu instid0(VALU_DEP_1) | instskip(SKIP_1) | instid1(VALU_DEP_2)
	v_add_f64 v[27:28], v[31:32], -v[27:28]
	v_fma_f64 v[31:32], v[13:14], s[38:39], s[36:37]
	v_fma_f64 v[27:28], v[15:16], -v[17:18], v[27:28]
	s_delay_alu instid0(VALU_DEP_2) | instskip(NEXT) | instid1(VALU_DEP_1)
	v_fma_f64 v[31:32], v[13:14], v[31:32], s[40:41]
	v_fma_f64 v[31:32], v[13:14], v[31:32], s[42:43]
	s_delay_alu instid0(VALU_DEP_1) | instskip(NEXT) | instid1(VALU_DEP_1)
	v_fma_f64 v[31:32], v[13:14], v[31:32], s[46:47]
	v_fma_f64 v[31:32], v[48:49], v[31:32], v[33:34]
	s_delay_alu instid0(VALU_DEP_1) | instskip(SKIP_1) | instid1(VALU_DEP_2)
	v_fma_f64 v[17:18], v[13:14], v[31:32], -v[17:18]
	v_fma_f64 v[31:32], v[13:14], s[100:101], s[98:99]
	v_fma_f64 v[17:18], v[48:49], s[48:49], v[17:18]
	s_delay_alu instid0(VALU_DEP_2) | instskip(NEXT) | instid1(VALU_DEP_2)
	v_fma_f64 v[31:32], v[13:14], v[31:32], s[102:103]
	v_add_f64 v[15:16], v[15:16], -v[17:18]
	s_delay_alu instid0(VALU_DEP_2) | instskip(NEXT) | instid1(VALU_DEP_1)
	v_fma_f64 v[31:32], v[13:14], v[31:32], s[10:11]
	v_fma_f64 v[31:32], v[13:14], v[31:32], s[34:35]
	s_delay_alu instid0(VALU_DEP_1) | instskip(SKIP_1) | instid1(VALU_DEP_1)
	v_fma_f64 v[31:32], v[13:14], v[31:32], s[50:51]
	v_mul_f64 v[13:14], v[13:14], v[13:14]
	v_fma_f64 v[13:14], v[13:14], v[31:32], v[27:28]
	v_mul_f64 v[27:28], v[35:36], v[35:36]
	s_delay_alu instid0(VALU_DEP_2) | instskip(NEXT) | instid1(VALU_DEP_2)
	v_add_f64 v[13:14], v[29:30], v[13:14]
	v_mul_f64 v[31:32], v[27:28], 0.5
	v_mul_f64 v[54:55], v[35:36], -v[27:28]
	s_delay_alu instid0(VALU_DEP_2) | instskip(NEXT) | instid1(VALU_DEP_1)
	v_add_f64 v[33:34], -v[31:32], 1.0
	v_add_f64 v[50:51], -v[33:34], 1.0
	s_delay_alu instid0(VALU_DEP_1) | instskip(SKIP_1) | instid1(VALU_DEP_2)
	v_add_f64 v[31:32], v[50:51], -v[31:32]
	v_fma_f64 v[50:51], v[27:28], s[38:39], s[36:37]
	v_fma_f64 v[31:32], v[35:36], -v[37:38], v[31:32]
	s_delay_alu instid0(VALU_DEP_2) | instskip(NEXT) | instid1(VALU_DEP_1)
	v_fma_f64 v[50:51], v[27:28], v[50:51], s[40:41]
	v_fma_f64 v[50:51], v[27:28], v[50:51], s[42:43]
	s_delay_alu instid0(VALU_DEP_1) | instskip(NEXT) | instid1(VALU_DEP_1)
	v_fma_f64 v[50:51], v[27:28], v[50:51], s[46:47]
	v_fma_f64 v[50:51], v[54:55], v[50:51], v[52:53]
	s_delay_alu instid0(VALU_DEP_1) | instskip(SKIP_1) | instid1(VALU_DEP_1)
	v_fma_f64 v[37:38], v[27:28], v[50:51], -v[37:38]
	v_fma_f64 v[50:51], v[27:28], s[100:101], s[98:99]
	v_fma_f64 v[50:51], v[27:28], v[50:51], s[102:103]
	s_delay_alu instid0(VALU_DEP_1) | instskip(NEXT) | instid1(VALU_DEP_1)
	v_fma_f64 v[50:51], v[27:28], v[50:51], s[10:11]
	v_fma_f64 v[50:51], v[27:28], v[50:51], s[34:35]
	s_delay_alu instid0(VALU_DEP_1) | instskip(SKIP_1) | instid1(VALU_DEP_1)
	v_fma_f64 v[50:51], v[27:28], v[50:51], s[50:51]
	v_mul_f64 v[27:28], v[27:28], v[27:28]
	v_fma_f64 v[27:28], v[27:28], v[50:51], v[31:32]
	v_fma_f64 v[31:32], v[54:55], s[48:49], v[37:38]
	s_delay_alu instid0(VALU_DEP_2) | instskip(NEXT) | instid1(VALU_DEP_2)
	v_add_f64 v[17:18], v[33:34], v[27:28]
	v_add_f64 v[31:32], v[35:36], -v[31:32]
	v_and_b32_e32 v27, 1, v47
	s_delay_alu instid0(VALU_DEP_1) | instskip(NEXT) | instid1(VALU_DEP_1)
	v_cmp_eq_u32_e64 s6, 0, v27
	v_cndmask_b32_e64 v13, v13, v15, s6
	v_and_b32_e32 v28, 1, v22
	v_cndmask_b32_e64 v14, v14, v16, s6
	s_delay_alu instid0(VALU_DEP_3) | instskip(NEXT) | instid1(VALU_DEP_3)
	v_cndmask_b32_e32 v13, 0, v13, vcc_lo
	v_cmp_eq_u32_e64 s7, 0, v28
	v_and_b32_e32 v28, 0x80000000, v56
	s_delay_alu instid0(VALU_DEP_1) | instskip(NEXT) | instid1(VALU_DEP_1)
	v_xor_b32_e32 v14, v14, v28
	v_cndmask_b32_e32 v14, 0x7ff80000, v14, vcc_lo
	v_xor_b32_e32 v27, 0x80000000, v32
	v_cndmask_b32_e64 v15, v31, v17, s7
	v_lshlrev_b32_e32 v22, 30, v22
	s_delay_alu instid0(VALU_DEP_3) | instskip(NEXT) | instid1(VALU_DEP_2)
	v_cndmask_b32_e64 v18, v27, v18, s7
	v_dual_cndmask_b32 v15, 0, v15 :: v_dual_and_b32 v16, 0x80000000, v22
	s_delay_alu instid0(VALU_DEP_1) | instskip(NEXT) | instid1(VALU_DEP_1)
	v_xor_b32_e32 v16, v18, v16
	v_cndmask_b32_e32 v16, 0x7ff80000, v16, vcc_lo
	s_delay_alu instid0(VALU_DEP_1)
	v_mul_f64 v[13:14], v[13:14], v[15:16]
.LBB100_124:                            ;   in Loop: Header=BB100_4 Depth=1
	s_or_b32 exec_lo, exec_lo, s64
	s_delay_alu instid0(VALU_DEP_1) | instskip(SKIP_2) | instid1(VALU_DEP_3)
	v_bfi_b32 v22, 0x7fffffff, 0, v14
	v_add_co_u32 v19, vcc_lo, v19, 0
	v_add_co_ci_u32_e32 v20, vcc_lo, -2.0, v20, vcc_lo
	v_dual_mov_b32 v17, v21 :: v_dual_mov_b32 v18, v22
.LBB100_125:                            ;   in Loop: Header=BB100_4 Depth=1
	s_or_b32 exec_lo, exec_lo, s63
.LBB100_126:                            ;   in Loop: Header=BB100_4 Depth=1
	s_delay_alu instid0(SALU_CYCLE_1) | instskip(SKIP_3) | instid1(VALU_DEP_2)
	s_or_b32 exec_lo, exec_lo, s53
	v_xor_b32_e32 v16, 0x80000000, v8
	v_mov_b32_e32 v15, v7
	s_mov_b32 s6, exec_lo
	v_and_b32_e32 v13, 0x7fffffff, v16
	s_delay_alu instid0(VALU_DEP_1)
	v_cmpx_gt_u32_e32 0x7ff00000, v13
	s_xor_b32 s7, exec_lo, s6
	s_cbranch_execz .LBB100_137
; %bb.127:                              ;   in Loop: Header=BB100_4 Depth=1
	v_cmp_class_f64_e64 s6, v[5:6], 0x1f8
	s_delay_alu instid0(VALU_DEP_1) | instskip(NEXT) | instid1(SALU_CYCLE_1)
	s_and_saveexec_b32 s18, s6
	s_xor_b32 s53, exec_lo, s18
	s_cbranch_execz .LBB100_156
; %bb.128:                              ;   in Loop: Header=BB100_4 Depth=1
	s_mov_b32 s6, exec_lo
	v_cmpx_gt_u32_e32 0x40360000, v13
	s_xor_b32 s48, exec_lo, s6
	s_cbranch_execz .LBB100_134
; %bb.129:                              ;   in Loop: Header=BB100_4 Depth=1
	v_cmp_ngt_f64_e64 s6, 0x41d00000, |v[5:6]|
                                        ; implicit-def: $vgpr15
                                        ; implicit-def: $vgpr13_vgpr14
                                        ; implicit-def: $vgpr27_vgpr28
	s_delay_alu instid0(VALU_DEP_1) | instskip(NEXT) | instid1(SALU_CYCLE_1)
	s_and_saveexec_b32 s18, s6
	s_xor_b32 s6, exec_lo, s18
	s_cbranch_execz .LBB100_131
; %bb.130:                              ;   in Loop: Header=BB100_4 Depth=1
	v_ldexp_f64 v[13:14], |v[5:6]|, 0xffffff80
	v_cmp_le_f64_e64 vcc_lo, 0x7b000000, |v[5:6]|
	v_trig_preop_f64 v[27:28], |v[5:6]|, 0
	v_and_b32_e32 v15, 0x7fffffff, v6
	v_trig_preop_f64 v[31:32], |v[5:6]|, 1
	v_trig_preop_f64 v[35:36], |v[5:6]|, 2
	s_mov_b32 s18, s20
	s_mov_b32 s25, s23
	v_dual_cndmask_b32 v14, v15, v14 :: v_dual_cndmask_b32 v13, v5, v13
	s_delay_alu instid0(VALU_DEP_1) | instskip(NEXT) | instid1(VALU_DEP_4)
	v_mul_f64 v[29:30], v[27:28], v[13:14]
	v_mul_f64 v[33:34], v[31:32], v[13:14]
	s_delay_alu instid0(VALU_DEP_4) | instskip(NEXT) | instid1(VALU_DEP_3)
	v_mul_f64 v[37:38], v[35:36], v[13:14]
	v_fma_f64 v[27:28], v[27:28], v[13:14], -v[29:30]
	s_delay_alu instid0(VALU_DEP_3) | instskip(NEXT) | instid1(VALU_DEP_3)
	v_fma_f64 v[31:32], v[31:32], v[13:14], -v[33:34]
	v_fma_f64 v[13:14], v[35:36], v[13:14], -v[37:38]
	s_delay_alu instid0(VALU_DEP_3) | instskip(NEXT) | instid1(VALU_DEP_1)
	v_add_f64 v[35:36], v[33:34], v[27:28]
	v_add_f64 v[47:48], v[35:36], -v[33:34]
	s_delay_alu instid0(VALU_DEP_1) | instskip(SKIP_1) | instid1(VALU_DEP_1)
	v_add_f64 v[27:28], v[27:28], -v[47:48]
	v_add_f64 v[47:48], v[35:36], -v[47:48]
	;; [unrolled: 1-line block ×3, first 2 shown]
	v_add_f64 v[47:48], v[29:30], v[35:36]
	s_delay_alu instid0(VALU_DEP_2) | instskip(NEXT) | instid1(VALU_DEP_2)
	v_add_f64 v[27:28], v[27:28], v[33:34]
	v_add_f64 v[29:30], v[47:48], -v[29:30]
	v_add_f64 v[33:34], v[37:38], v[31:32]
	v_ldexp_f64 v[47:48], v[47:48], -2
	s_delay_alu instid0(VALU_DEP_3) | instskip(NEXT) | instid1(VALU_DEP_3)
	v_add_f64 v[29:30], v[35:36], -v[29:30]
	v_add_f64 v[35:36], v[33:34], -v[37:38]
	s_delay_alu instid0(VALU_DEP_3) | instskip(SKIP_1) | instid1(VALU_DEP_3)
	v_cmp_neq_f64_e64 vcc_lo, 0x7ff00000, |v[47:48]|
	v_fract_f64_e32 v[47:48], v[47:48]
	v_add_f64 v[31:32], v[31:32], -v[35:36]
	v_add_f64 v[35:36], v[33:34], -v[35:36]
	s_delay_alu instid0(VALU_DEP_3) | instskip(NEXT) | instid1(VALU_DEP_2)
	v_dual_cndmask_b32 v48, 0, v48 :: v_dual_cndmask_b32 v47, 0, v47
	v_add_f64 v[35:36], v[37:38], -v[35:36]
	v_add_f64 v[37:38], v[33:34], v[27:28]
	s_delay_alu instid0(VALU_DEP_2) | instskip(NEXT) | instid1(VALU_DEP_2)
	v_add_f64 v[31:32], v[31:32], v[35:36]
	v_add_f64 v[49:50], v[37:38], -v[33:34]
	v_add_f64 v[35:36], v[29:30], v[37:38]
	s_delay_alu instid0(VALU_DEP_2) | instskip(SKIP_1) | instid1(VALU_DEP_3)
	v_add_f64 v[27:28], v[27:28], -v[49:50]
	v_add_f64 v[49:50], v[37:38], -v[49:50]
	;; [unrolled: 1-line block ×3, first 2 shown]
	s_delay_alu instid0(VALU_DEP_2) | instskip(NEXT) | instid1(VALU_DEP_2)
	v_add_f64 v[33:34], v[33:34], -v[49:50]
	v_add_f64 v[29:30], v[37:38], -v[29:30]
	s_delay_alu instid0(VALU_DEP_2) | instskip(SKIP_1) | instid1(VALU_DEP_2)
	v_add_f64 v[27:28], v[27:28], v[33:34]
	v_ldexp_f64 v[33:34], v[47:48], 2
	v_add_f64 v[27:28], v[31:32], v[27:28]
	s_delay_alu instid0(VALU_DEP_2) | instskip(NEXT) | instid1(VALU_DEP_2)
	v_add_f64 v[47:48], v[35:36], v[33:34]
	v_add_f64 v[13:14], v[13:14], v[27:28]
	s_delay_alu instid0(VALU_DEP_2) | instskip(NEXT) | instid1(VALU_DEP_2)
	v_cmp_gt_f64_e32 vcc_lo, 0, v[47:48]
	v_add_f64 v[13:14], v[29:30], v[13:14]
	v_cndmask_b32_e64 v22, 0, 0x40100000, vcc_lo
	s_delay_alu instid0(VALU_DEP_1) | instskip(NEXT) | instid1(VALU_DEP_1)
	v_add_f64 v[27:28], v[33:34], v[21:22]
	v_add_f64 v[31:32], v[35:36], v[27:28]
	s_delay_alu instid0(VALU_DEP_1) | instskip(NEXT) | instid1(VALU_DEP_1)
	v_cvt_i32_f64_e32 v15, v[31:32]
	v_cvt_f64_i32_e32 v[31:32], v15
	s_delay_alu instid0(VALU_DEP_1) | instskip(NEXT) | instid1(VALU_DEP_1)
	v_add_f64 v[27:28], v[27:28], -v[31:32]
	v_add_f64 v[29:30], v[35:36], v[27:28]
	s_delay_alu instid0(VALU_DEP_1) | instskip(SKIP_1) | instid1(VALU_DEP_2)
	v_add_f64 v[27:28], v[29:30], -v[27:28]
	v_cmp_le_f64_e32 vcc_lo, 0.5, v[29:30]
	v_add_f64 v[27:28], v[35:36], -v[27:28]
	v_cndmask_b32_e64 v22, 0, 0x3ff00000, vcc_lo
	v_add_co_ci_u32_e32 v15, vcc_lo, 0, v15, vcc_lo
	s_delay_alu instid0(VALU_DEP_2) | instskip(NEXT) | instid1(VALU_DEP_4)
	v_add_f64 v[29:30], v[29:30], -v[21:22]
	v_add_f64 v[13:14], v[13:14], v[27:28]
	s_delay_alu instid0(VALU_DEP_1) | instskip(NEXT) | instid1(VALU_DEP_1)
	v_add_f64 v[27:28], v[29:30], v[13:14]
	v_add_f64 v[29:30], v[27:28], -v[29:30]
	s_delay_alu instid0(VALU_DEP_1) | instskip(SKIP_1) | instid1(VALU_DEP_1)
	v_add_f64 v[13:14], v[13:14], -v[29:30]
	v_mul_f64 v[29:30], v[27:28], s[18:19]
	v_fma_f64 v[31:32], v[27:28], s[18:19], -v[29:30]
	s_delay_alu instid0(VALU_DEP_1) | instskip(NEXT) | instid1(VALU_DEP_1)
	v_fma_f64 v[27:28], v[27:28], s[24:25], v[31:32]
	v_fma_f64 v[27:28], v[13:14], s[18:19], v[27:28]
	s_delay_alu instid0(VALU_DEP_1) | instskip(NEXT) | instid1(VALU_DEP_1)
	v_add_f64 v[13:14], v[29:30], v[27:28]
	v_add_f64 v[29:30], v[13:14], -v[29:30]
	s_delay_alu instid0(VALU_DEP_1)
	v_add_f64 v[27:28], v[27:28], -v[29:30]
.LBB100_131:                            ;   in Loop: Header=BB100_4 Depth=1
	s_and_not1_saveexec_b32 s6, s6
	s_cbranch_execz .LBB100_133
; %bb.132:                              ;   in Loop: Header=BB100_4 Depth=1
	v_mul_f64 v[13:14], |v[5:6]|, s[26:27]
	s_mov_b32 s22, s28
	s_delay_alu instid0(VALU_DEP_1) | instskip(NEXT) | instid1(VALU_DEP_1)
	v_rndne_f64_e32 v[29:30], v[13:14]
	v_fma_f64 v[13:14], v[29:30], s[20:21], |v[5:6]|
	v_mul_f64 v[27:28], v[29:30], s[28:29]
	v_cvt_i32_f64_e32 v15, v[29:30]
	s_delay_alu instid0(VALU_DEP_3) | instskip(NEXT) | instid1(VALU_DEP_3)
	v_fma_f64 v[33:34], v[29:30], s[28:29], v[13:14]
	v_add_f64 v[31:32], v[13:14], v[27:28]
	s_delay_alu instid0(VALU_DEP_1) | instskip(NEXT) | instid1(VALU_DEP_3)
	v_add_f64 v[13:14], v[13:14], -v[31:32]
	v_add_f64 v[31:32], v[31:32], -v[33:34]
	s_delay_alu instid0(VALU_DEP_2) | instskip(SKIP_1) | instid1(VALU_DEP_2)
	v_add_f64 v[13:14], v[13:14], v[27:28]
	v_fma_f64 v[27:28], v[29:30], s[22:23], v[27:28]
	v_add_f64 v[13:14], v[31:32], v[13:14]
	s_delay_alu instid0(VALU_DEP_1) | instskip(NEXT) | instid1(VALU_DEP_1)
	v_add_f64 v[13:14], v[13:14], -v[27:28]
	v_fma_f64 v[27:28], v[29:30], s[30:31], v[13:14]
	s_delay_alu instid0(VALU_DEP_1) | instskip(NEXT) | instid1(VALU_DEP_1)
	v_add_f64 v[13:14], v[33:34], v[27:28]
	v_add_f64 v[31:32], v[13:14], -v[33:34]
	s_delay_alu instid0(VALU_DEP_1)
	v_add_f64 v[27:28], v[27:28], -v[31:32]
.LBB100_133:                            ;   in Loop: Header=BB100_4 Depth=1
	s_or_b32 exec_lo, exec_lo, s6
	v_add_f64 v[29:30], |v[7:8]|, s[44:45]
	s_mov_b32 s64, s44
	s_mov_b32 s68, s70
	;; [unrolled: 1-line block ×5, first 2 shown]
	v_cmp_nge_f64_e64 vcc_lo, |v[7:8]|, s[96:97]
	v_cmp_gt_f64_e64 s6, 0x3e400000, |v[7:8]|
	s_mov_b32 s54, 0xa9a29f71
	s_mov_b32 s56, 0xc751c08c
	;; [unrolled: 1-line block ×4, first 2 shown]
	v_and_b32_e32 v15, 1, v15
	s_delay_alu instid0(VALU_DEP_4) | instskip(NEXT) | instid1(VALU_DEP_1)
	v_add_f64 v[31:32], v[29:30], -|v[7:8]|
	v_add_f64 v[33:34], v[31:32], -v[29:30]
	v_add_f64 v[31:32], v[31:32], s[64:65]
	s_delay_alu instid0(VALU_DEP_2) | instskip(NEXT) | instid1(VALU_DEP_1)
	v_add_f64 v[33:34], |v[7:8]|, v[33:34]
	v_add_f64 v[31:32], v[33:34], -v[31:32]
	s_delay_alu instid0(VALU_DEP_1) | instskip(NEXT) | instid1(VALU_DEP_1)
	v_add_f64 v[31:32], v[31:32], s[66:67]
	v_add_f64 v[33:34], v[29:30], v[31:32]
	s_delay_alu instid0(VALU_DEP_1) | instskip(NEXT) | instid1(VALU_DEP_1)
	v_add_f64 v[29:30], v[29:30], -v[33:34]
	v_add_f64 v[29:30], v[31:32], v[29:30]
	v_mul_f64 v[31:32], v[33:34], s[68:69]
	s_delay_alu instid0(VALU_DEP_1) | instskip(NEXT) | instid1(VALU_DEP_1)
	v_rndne_f64_e32 v[31:32], v[31:32]
	v_fma_f64 v[33:34], v[31:32], s[62:63], v[33:34]
	v_cvt_i32_f64_e32 v5, v[31:32]
	s_delay_alu instid0(VALU_DEP_2) | instskip(NEXT) | instid1(VALU_DEP_1)
	v_add_f64 v[35:36], v[29:30], v[33:34]
	v_add_f64 v[33:34], v[33:34], -v[35:36]
	s_delay_alu instid0(VALU_DEP_1) | instskip(SKIP_1) | instid1(VALU_DEP_1)
	v_add_f64 v[29:30], v[29:30], v[33:34]
	v_mul_f64 v[33:34], v[31:32], s[72:73]
	v_add_f64 v[37:38], v[35:36], v[33:34]
	s_delay_alu instid0(VALU_DEP_1) | instskip(NEXT) | instid1(VALU_DEP_1)
	v_add_f64 v[35:36], v[35:36], -v[37:38]
	v_add_f64 v[33:34], v[35:36], v[33:34]
	s_delay_alu instid0(VALU_DEP_1) | instskip(NEXT) | instid1(VALU_DEP_1)
	v_add_f64 v[29:30], v[29:30], v[33:34]
	v_add_f64 v[33:34], v[37:38], v[29:30]
	s_delay_alu instid0(VALU_DEP_1) | instskip(NEXT) | instid1(VALU_DEP_1)
	v_add_f64 v[35:36], v[37:38], -v[33:34]
	v_add_f64 v[29:30], v[29:30], v[35:36]
	v_mul_f64 v[35:36], v[31:32], s[74:75]
	s_delay_alu instid0(VALU_DEP_1) | instskip(NEXT) | instid1(VALU_DEP_1)
	v_add_f64 v[37:38], v[33:34], v[35:36]
	v_add_f64 v[33:34], v[33:34], -v[37:38]
	s_delay_alu instid0(VALU_DEP_1) | instskip(NEXT) | instid1(VALU_DEP_1)
	v_add_f64 v[33:34], v[33:34], v[35:36]
	v_add_f64 v[29:30], v[29:30], v[33:34]
	s_delay_alu instid0(VALU_DEP_1) | instskip(NEXT) | instid1(VALU_DEP_1)
	v_add_f64 v[33:34], v[37:38], v[29:30]
	v_add_f64 v[35:36], v[37:38], -v[33:34]
	s_delay_alu instid0(VALU_DEP_1) | instskip(SKIP_1) | instid1(VALU_DEP_2)
	v_add_f64 v[29:30], v[29:30], v[35:36]
	v_mul_f64 v[35:36], v[33:34], v[33:34]
	v_add_f64 v[47:48], v[29:30], v[29:30]
	s_delay_alu instid0(VALU_DEP_2) | instskip(NEXT) | instid1(VALU_DEP_1)
	v_fma_f64 v[37:38], v[33:34], v[33:34], -v[35:36]
	v_fma_f64 v[37:38], v[33:34], v[47:48], v[37:38]
	s_delay_alu instid0(VALU_DEP_1) | instskip(NEXT) | instid1(VALU_DEP_1)
	v_add_f64 v[47:48], v[35:36], v[37:38]
	v_add_f64 v[35:36], v[47:48], -v[35:36]
	s_delay_alu instid0(VALU_DEP_1) | instskip(SKIP_1) | instid1(VALU_DEP_1)
	v_add_f64 v[35:36], v[37:38], -v[35:36]
	v_fma_f64 v[37:38], v[33:34], s[78:79], s[76:77]
	v_fma_f64 v[37:38], v[33:34], v[37:38], s[80:81]
	s_delay_alu instid0(VALU_DEP_1) | instskip(NEXT) | instid1(VALU_DEP_1)
	v_fma_f64 v[37:38], v[33:34], v[37:38], s[82:83]
	v_fma_f64 v[37:38], v[33:34], v[37:38], s[84:85]
	s_delay_alu instid0(VALU_DEP_1) | instskip(NEXT) | instid1(VALU_DEP_1)
	;; [unrolled: 3-line block ×4, first 2 shown]
	v_fma_f64 v[37:38], v[33:34], v[37:38], s[94:95]
	v_mul_f64 v[49:50], v[47:48], v[37:38]
	s_delay_alu instid0(VALU_DEP_1) | instskip(NEXT) | instid1(VALU_DEP_1)
	v_fma_f64 v[47:48], v[47:48], v[37:38], -v[49:50]
	v_fma_f64 v[35:36], v[35:36], v[37:38], v[47:48]
	s_delay_alu instid0(VALU_DEP_1) | instskip(NEXT) | instid1(VALU_DEP_1)
	v_add_f64 v[37:38], v[49:50], v[35:36]
	v_add_f64 v[47:48], v[37:38], -v[49:50]
	s_delay_alu instid0(VALU_DEP_1) | instskip(SKIP_1) | instid1(VALU_DEP_2)
	v_add_f64 v[35:36], v[35:36], -v[47:48]
	v_add_f64 v[47:48], v[33:34], v[37:38]
	v_add_f64 v[29:30], v[29:30], v[35:36]
	s_delay_alu instid0(VALU_DEP_2) | instskip(NEXT) | instid1(VALU_DEP_1)
	v_add_f64 v[33:34], v[47:48], -v[33:34]
	v_add_f64 v[33:34], v[37:38], -v[33:34]
	s_delay_alu instid0(VALU_DEP_1) | instskip(NEXT) | instid1(VALU_DEP_1)
	v_add_f64 v[29:30], v[29:30], v[33:34]
	v_add_f64 v[33:34], v[47:48], v[29:30]
	s_delay_alu instid0(VALU_DEP_1) | instskip(NEXT) | instid1(VALU_DEP_1)
	v_add_f64 v[35:36], v[33:34], -v[47:48]
	v_add_f64 v[29:30], v[29:30], -v[35:36]
	v_add_f64 v[35:36], v[33:34], 1.0
	s_delay_alu instid0(VALU_DEP_1) | instskip(NEXT) | instid1(VALU_DEP_1)
	v_add_f64 v[37:38], v[35:36], -1.0
	v_add_f64 v[33:34], v[33:34], -v[37:38]
	s_delay_alu instid0(VALU_DEP_1) | instskip(NEXT) | instid1(VALU_DEP_1)
	v_add_f64 v[29:30], v[29:30], v[33:34]
	v_add_f64 v[31:32], v[35:36], v[29:30]
	s_delay_alu instid0(VALU_DEP_1) | instskip(SKIP_1) | instid1(VALU_DEP_2)
	v_add_f64 v[33:34], v[31:32], -v[35:36]
	v_ldexp_f64 v[31:32], v[31:32], v5
	v_add_f64 v[29:30], v[29:30], -v[33:34]
	s_delay_alu instid0(VALU_DEP_2) | instskip(NEXT) | instid1(VALU_DEP_1)
	v_rcp_f64_e32 v[35:36], v[31:32]
	v_ldexp_f64 v[29:30], v[29:30], v5
	v_and_b32_e32 v5, 0x7fffffff, v8
	s_waitcnt_depctr 0xfff
	v_fma_f64 v[37:38], -v[31:32], v[35:36], 1.0
	s_delay_alu instid0(VALU_DEP_1) | instskip(NEXT) | instid1(VALU_DEP_1)
	v_fma_f64 v[35:36], v[37:38], v[35:36], v[35:36]
	v_fma_f64 v[33:34], -v[31:32], v[35:36], 1.0
	s_delay_alu instid0(VALU_DEP_1) | instskip(NEXT) | instid1(VALU_DEP_1)
	v_fma_f64 v[33:34], v[33:34], v[35:36], v[35:36]
	v_mul_f64 v[35:36], v[31:32], v[33:34]
	s_delay_alu instid0(VALU_DEP_1) | instskip(NEXT) | instid1(VALU_DEP_1)
	v_fma_f64 v[37:38], v[33:34], v[31:32], -v[35:36]
	v_fma_f64 v[37:38], v[33:34], v[29:30], v[37:38]
	s_delay_alu instid0(VALU_DEP_1) | instskip(NEXT) | instid1(VALU_DEP_1)
	v_add_f64 v[47:48], v[35:36], v[37:38]
	v_add_f64 v[35:36], v[47:48], -v[35:36]
	s_delay_alu instid0(VALU_DEP_1) | instskip(SKIP_1) | instid1(VALU_DEP_1)
	v_add_f64 v[35:36], v[35:36], -v[37:38]
	v_add_f64 v[37:38], -v[47:48], 1.0
	v_add_f64 v[49:50], -v[37:38], 1.0
	s_delay_alu instid0(VALU_DEP_1) | instskip(NEXT) | instid1(VALU_DEP_1)
	v_add_f64 v[47:48], v[49:50], -v[47:48]
	v_add_f64 v[35:36], v[35:36], v[47:48]
	s_delay_alu instid0(VALU_DEP_1) | instskip(NEXT) | instid1(VALU_DEP_1)
	v_add_f64 v[47:48], v[37:38], v[35:36]
	v_add_f64 v[37:38], v[37:38], -v[47:48]
	s_delay_alu instid0(VALU_DEP_1) | instskip(SKIP_1) | instid1(VALU_DEP_1)
	v_add_f64 v[35:36], v[35:36], v[37:38]
	v_mul_f64 v[37:38], v[33:34], v[47:48]
	v_mul_f64 v[49:50], v[31:32], v[37:38]
	s_delay_alu instid0(VALU_DEP_1) | instskip(NEXT) | instid1(VALU_DEP_1)
	v_fma_f64 v[51:52], v[37:38], v[31:32], -v[49:50]
	v_fma_f64 v[51:52], v[37:38], v[29:30], v[51:52]
	s_delay_alu instid0(VALU_DEP_1) | instskip(NEXT) | instid1(VALU_DEP_1)
	v_add_f64 v[53:54], v[49:50], v[51:52]
	v_add_f64 v[55:56], v[47:48], -v[53:54]
	v_add_f64 v[49:50], v[53:54], -v[49:50]
	s_delay_alu instid0(VALU_DEP_2) | instskip(NEXT) | instid1(VALU_DEP_2)
	v_add_f64 v[47:48], v[47:48], -v[55:56]
	v_add_f64 v[49:50], v[49:50], -v[51:52]
	s_delay_alu instid0(VALU_DEP_2) | instskip(NEXT) | instid1(VALU_DEP_1)
	v_add_f64 v[47:48], v[47:48], -v[53:54]
	v_add_f64 v[35:36], v[35:36], v[47:48]
	v_add_f64 v[47:48], v[33:34], v[37:38]
	s_delay_alu instid0(VALU_DEP_2) | instskip(NEXT) | instid1(VALU_DEP_2)
	v_add_f64 v[35:36], v[49:50], v[35:36]
	v_add_f64 v[49:50], v[47:48], -v[33:34]
	s_delay_alu instid0(VALU_DEP_2) | instskip(NEXT) | instid1(VALU_DEP_2)
	v_add_f64 v[35:36], v[55:56], v[35:36]
	v_add_f64 v[37:38], v[37:38], -v[49:50]
	s_delay_alu instid0(VALU_DEP_2) | instskip(NEXT) | instid1(VALU_DEP_1)
	v_mul_f64 v[33:34], v[33:34], v[35:36]
	v_add_f64 v[33:34], v[37:38], v[33:34]
	s_delay_alu instid0(VALU_DEP_1) | instskip(NEXT) | instid1(VALU_DEP_1)
	v_add_f64 v[35:36], v[47:48], v[33:34]
	v_add_f64 v[37:38], v[35:36], -v[47:48]
	v_ldexp_f64 v[35:36], v[35:36], -2
	s_delay_alu instid0(VALU_DEP_2) | instskip(NEXT) | instid1(VALU_DEP_2)
	v_add_f64 v[33:34], v[33:34], -v[37:38]
	v_add_f64 v[47:48], v[31:32], -v[35:36]
	s_delay_alu instid0(VALU_DEP_1) | instskip(NEXT) | instid1(VALU_DEP_1)
	v_add_f64 v[31:32], v[31:32], -v[47:48]
	v_add_f64 v[31:32], v[31:32], -v[35:36]
	s_delay_alu instid0(VALU_DEP_1) | instskip(SKIP_1) | instid1(VALU_DEP_1)
	v_add_f64 v[29:30], v[29:30], v[31:32]
	v_ldexp_f64 v[31:32], v[33:34], -2
	v_add_f64 v[29:30], v[29:30], -v[31:32]
	s_delay_alu instid0(VALU_DEP_1) | instskip(NEXT) | instid1(VALU_DEP_1)
	v_add_f64 v[29:30], v[47:48], v[29:30]
	v_cndmask_b32_e32 v8, 0x7ff00000, v30, vcc_lo
	s_delay_alu instid0(VALU_DEP_1) | instskip(NEXT) | instid1(VALU_DEP_1)
	v_cndmask_b32_e64 v5, v8, v5, s6
	v_bfi_b32 v8, 0x7fffffff, v5, v16
	s_delay_alu instid0(VALU_DEP_4) | instskip(NEXT) | instid1(VALU_DEP_1)
	v_dual_cndmask_b32 v5, 0, v29 :: v_dual_and_b32 v16, 0x80000000, v6
	v_cndmask_b32_e64 v7, v5, v7, s6
	v_cmp_eq_u32_e64 s6, 0, v15
	s_delay_alu instid0(VALU_DEP_2) | instskip(NEXT) | instid1(VALU_DEP_1)
	v_fma_f64 v[29:30], v[7:8], v[7:8], 1.0
	v_cmp_gt_f64_e32 vcc_lo, 0x10000000, v[29:30]
	v_cndmask_b32_e64 v5, 0, 1, vcc_lo
	s_delay_alu instid0(VALU_DEP_1) | instskip(NEXT) | instid1(VALU_DEP_1)
	v_lshlrev_b32_e32 v5, 8, v5
	v_ldexp_f64 v[29:30], v[29:30], v5
	v_mul_f64 v[5:6], v[13:14], v[13:14]
	s_delay_alu instid0(VALU_DEP_2) | instskip(SKIP_3) | instid1(VALU_DEP_1)
	v_rsq_f64_e32 v[31:32], v[29:30]
	s_waitcnt_depctr 0xfff
	v_mul_f64 v[33:34], v[29:30], v[31:32]
	v_mul_f64 v[31:32], v[31:32], 0.5
	v_fma_f64 v[35:36], -v[31:32], v[33:34], 0.5
	s_delay_alu instid0(VALU_DEP_1) | instskip(SKIP_1) | instid1(VALU_DEP_2)
	v_fma_f64 v[33:34], v[33:34], v[35:36], v[33:34]
	v_fma_f64 v[31:32], v[31:32], v[35:36], v[31:32]
	v_fma_f64 v[35:36], -v[33:34], v[33:34], v[29:30]
	s_delay_alu instid0(VALU_DEP_1) | instskip(NEXT) | instid1(VALU_DEP_1)
	v_fma_f64 v[33:34], v[35:36], v[31:32], v[33:34]
	v_fma_f64 v[35:36], -v[33:34], v[33:34], v[29:30]
	s_delay_alu instid0(VALU_DEP_1) | instskip(SKIP_2) | instid1(VALU_DEP_1)
	v_fma_f64 v[31:32], v[35:36], v[31:32], v[33:34]
	v_add_f64 v[33:34], v[27:28], v[27:28]
	v_fma_f64 v[35:36], v[13:14], v[13:14], -v[5:6]
	v_fma_f64 v[33:34], v[13:14], v[33:34], v[35:36]
	s_delay_alu instid0(VALU_DEP_1) | instskip(NEXT) | instid1(VALU_DEP_1)
	v_add_f64 v[5:6], v[5:6], v[33:34]
	v_fma_f64 v[33:34], v[5:6], s[56:57], s[54:55]
	s_mov_b32 s54, 0x90a8aae0
	s_mov_b32 s55, 0x3f17746f
	s_delay_alu instid0(VALU_DEP_1) | instid1(SALU_CYCLE_1)
	v_fma_f64 v[33:34], v[5:6], v[33:34], s[54:55]
	s_mov_b32 s54, 0xa6fbf144
	s_mov_b32 s55, 0xbefbb44d
	s_delay_alu instid0(VALU_DEP_1) | instid1(SALU_CYCLE_1)
	;; [unrolled: 4-line block ×10, first 2 shown]
	v_fma_f64 v[33:34], v[5:6], v[33:34], s[54:55]
	s_delay_alu instid0(VALU_DEP_1) | instskip(NEXT) | instid1(VALU_DEP_1)
	v_fma_f64 v[33:34], v[5:6], v[33:34], s[58:59]
	v_fma_f64 v[33:34], v[5:6], v[33:34], s[60:61]
	s_delay_alu instid0(VALU_DEP_1) | instskip(NEXT) | instid1(VALU_DEP_1)
	v_mul_f64 v[5:6], v[5:6], v[33:34]
	v_mul_f64 v[33:34], v[13:14], v[5:6]
	s_delay_alu instid0(VALU_DEP_1) | instskip(NEXT) | instid1(VALU_DEP_1)
	v_fma_f64 v[5:6], v[13:14], v[5:6], -v[33:34]
	v_add_f64 v[5:6], v[27:28], v[5:6]
	v_add_f64 v[27:28], v[13:14], v[33:34]
	s_delay_alu instid0(VALU_DEP_1) | instskip(NEXT) | instid1(VALU_DEP_1)
	v_add_f64 v[13:14], v[27:28], -v[13:14]
	v_add_f64 v[13:14], v[33:34], -v[13:14]
	s_delay_alu instid0(VALU_DEP_1) | instskip(NEXT) | instid1(VALU_DEP_1)
	v_add_f64 v[5:6], v[5:6], v[13:14]
	v_add_f64 v[13:14], v[27:28], v[5:6]
	s_delay_alu instid0(VALU_DEP_1) | instskip(SKIP_1) | instid1(VALU_DEP_1)
	v_rcp_f64_e32 v[33:34], v[13:14]
	v_add_f64 v[27:28], v[13:14], -v[27:28]
	v_add_f64 v[5:6], v[5:6], -v[27:28]
	s_waitcnt_depctr 0xfff
	v_fma_f64 v[35:36], -v[13:14], v[33:34], 1.0
	s_delay_alu instid0(VALU_DEP_1) | instskip(NEXT) | instid1(VALU_DEP_1)
	v_fma_f64 v[33:34], v[35:36], v[33:34], v[33:34]
	v_fma_f64 v[35:36], -v[13:14], v[33:34], 1.0
	s_delay_alu instid0(VALU_DEP_1) | instskip(NEXT) | instid1(VALU_DEP_1)
	v_fma_f64 v[33:34], v[35:36], v[33:34], v[33:34]
	v_mul_f64 v[27:28], v[13:14], v[33:34]
	s_delay_alu instid0(VALU_DEP_1) | instskip(NEXT) | instid1(VALU_DEP_1)
	v_fma_f64 v[35:36], v[33:34], v[13:14], -v[27:28]
	v_fma_f64 v[5:6], v[33:34], v[5:6], v[35:36]
	s_delay_alu instid0(VALU_DEP_1) | instskip(NEXT) | instid1(VALU_DEP_1)
	v_add_f64 v[35:36], v[27:28], v[5:6]
	v_add_f64 v[27:28], v[35:36], -v[27:28]
	s_delay_alu instid0(VALU_DEP_1) | instskip(SKIP_1) | instid1(VALU_DEP_1)
	v_add_f64 v[5:6], v[27:28], -v[5:6]
	v_add_f64 v[27:28], -v[35:36], 1.0
	v_add_f64 v[37:38], -v[27:28], 1.0
	s_delay_alu instid0(VALU_DEP_1) | instskip(NEXT) | instid1(VALU_DEP_1)
	v_add_f64 v[35:36], v[37:38], -v[35:36]
	v_add_f64 v[5:6], v[5:6], v[35:36]
	s_delay_alu instid0(VALU_DEP_1) | instskip(NEXT) | instid1(VALU_DEP_1)
	v_add_f64 v[5:6], v[27:28], v[5:6]
	v_mul_f64 v[5:6], v[33:34], v[5:6]
	s_delay_alu instid0(VALU_DEP_1) | instskip(NEXT) | instid1(VALU_DEP_1)
	v_add_f64 v[5:6], v[33:34], v[5:6]
	v_xor_b32_e32 v6, 0x80000000, v6
	s_delay_alu instid0(VALU_DEP_2) | instskip(NEXT) | instid1(VALU_DEP_2)
	v_cndmask_b32_e64 v5, v5, v13, s6
	v_cndmask_b32_e64 v6, v6, v14, s6
	v_cndmask_b32_e64 v14, 0, 0xffffff80, vcc_lo
	v_cmp_class_f64_e64 vcc_lo, v[29:30], 0x260
	s_delay_alu instid0(VALU_DEP_3) | instskip(NEXT) | instid1(VALU_DEP_3)
	v_xor_b32_e32 v6, v6, v16
	v_ldexp_f64 v[13:14], v[31:32], v14
	s_delay_alu instid0(VALU_DEP_2) | instskip(NEXT) | instid1(VALU_DEP_2)
	v_fma_f64 v[15:16], v[5:6], v[5:6], 1.0
	v_dual_cndmask_b32 v14, v14, v30 :: v_dual_cndmask_b32 v13, v13, v29
	s_delay_alu instid0(VALU_DEP_2) | instskip(NEXT) | instid1(VALU_DEP_2)
	v_mul_f64 v[27:28], v[7:8], v[15:16]
	v_mul_f64 v[13:14], v[13:14], v[15:16]
	s_delay_alu instid0(VALU_DEP_2) | instskip(NEXT) | instid1(VALU_DEP_2)
	v_fma_f64 v[27:28], v[7:8], v[27:28], 1.0
	v_mul_f64 v[7:8], v[7:8], v[13:14]
	s_delay_alu instid0(VALU_DEP_1) | instskip(NEXT) | instid1(VALU_DEP_1)
	v_div_scale_f64 v[13:14], null, v[27:28], v[27:28], v[7:8]
	v_rcp_f64_e32 v[15:16], v[13:14]
	s_waitcnt_depctr 0xfff
	v_fma_f64 v[29:30], -v[13:14], v[15:16], 1.0
	s_delay_alu instid0(VALU_DEP_1) | instskip(NEXT) | instid1(VALU_DEP_1)
	v_fma_f64 v[15:16], v[15:16], v[29:30], v[15:16]
	v_fma_f64 v[29:30], -v[13:14], v[15:16], 1.0
	s_delay_alu instid0(VALU_DEP_1) | instskip(SKIP_1) | instid1(VALU_DEP_1)
	v_fma_f64 v[15:16], v[15:16], v[29:30], v[15:16]
	v_div_scale_f64 v[29:30], vcc_lo, v[7:8], v[27:28], v[7:8]
	v_mul_f64 v[31:32], v[29:30], v[15:16]
	s_delay_alu instid0(VALU_DEP_1) | instskip(NEXT) | instid1(VALU_DEP_1)
	v_fma_f64 v[13:14], -v[13:14], v[31:32], v[29:30]
	v_div_fmas_f64 v[13:14], v[13:14], v[15:16], v[31:32]
	v_div_scale_f64 v[15:16], null, v[27:28], v[27:28], v[5:6]
	s_delay_alu instid0(VALU_DEP_1) | instskip(SKIP_2) | instid1(VALU_DEP_1)
	v_rcp_f64_e32 v[29:30], v[15:16]
	s_waitcnt_depctr 0xfff
	v_fma_f64 v[31:32], -v[15:16], v[29:30], 1.0
	v_fma_f64 v[29:30], v[29:30], v[31:32], v[29:30]
	s_delay_alu instid0(VALU_DEP_1) | instskip(NEXT) | instid1(VALU_DEP_1)
	v_fma_f64 v[31:32], -v[15:16], v[29:30], 1.0
	v_fma_f64 v[29:30], v[29:30], v[31:32], v[29:30]
	v_div_scale_f64 v[31:32], vcc_lo, v[5:6], v[27:28], v[5:6]
	s_delay_alu instid0(VALU_DEP_1) | instskip(NEXT) | instid1(VALU_DEP_1)
	v_mul_f64 v[33:34], v[31:32], v[29:30]
	v_fma_f64 v[15:16], -v[15:16], v[33:34], v[31:32]
	s_delay_alu instid0(VALU_DEP_1) | instskip(SKIP_1) | instid1(VALU_DEP_2)
	v_div_fmas_f64 v[29:30], v[15:16], v[29:30], v[33:34]
	v_div_fixup_f64 v[15:16], v[13:14], v[27:28], v[7:8]
	v_div_fixup_f64 v[13:14], v[29:30], v[27:28], v[5:6]
                                        ; implicit-def: $vgpr5_vgpr6
.LBB100_134:                            ;   in Loop: Header=BB100_4 Depth=1
	s_and_not1_saveexec_b32 s63, s48
	s_cbranch_execz .LBB100_155
; %bb.135:                              ;   in Loop: Header=BB100_4 Depth=1
	v_cmp_ngt_f64_e64 s6, 0x41d00000, |v[5:6]|
                                        ; implicit-def: $vgpr15
                                        ; implicit-def: $vgpr13_vgpr14
                                        ; implicit-def: $vgpr27_vgpr28
	s_delay_alu instid0(VALU_DEP_1) | instskip(NEXT) | instid1(SALU_CYCLE_1)
	s_and_saveexec_b32 s18, s6
	s_xor_b32 s22, exec_lo, s18
	s_cbranch_execz .LBB100_144
; %bb.136:                              ;   in Loop: Header=BB100_4 Depth=1
	v_ldexp_f64 v[13:14], |v[5:6]|, 0xffffff80
	v_cmp_le_f64_e64 vcc_lo, 0x7b000000, |v[5:6]|
	v_trig_preop_f64 v[27:28], |v[5:6]|, 0
	v_and_b32_e32 v15, 0x7fffffff, v6
	v_trig_preop_f64 v[31:32], |v[5:6]|, 1
	v_trig_preop_f64 v[35:36], |v[5:6]|, 2
	s_mov_b32 s18, s20
	s_mov_b32 s25, s23
	v_dual_cndmask_b32 v14, v15, v14 :: v_dual_cndmask_b32 v13, v5, v13
	s_delay_alu instid0(VALU_DEP_1) | instskip(NEXT) | instid1(VALU_DEP_4)
	v_mul_f64 v[29:30], v[27:28], v[13:14]
	v_mul_f64 v[33:34], v[31:32], v[13:14]
	s_delay_alu instid0(VALU_DEP_4) | instskip(NEXT) | instid1(VALU_DEP_3)
	v_mul_f64 v[37:38], v[35:36], v[13:14]
	v_fma_f64 v[27:28], v[27:28], v[13:14], -v[29:30]
	s_delay_alu instid0(VALU_DEP_3) | instskip(NEXT) | instid1(VALU_DEP_3)
	v_fma_f64 v[31:32], v[31:32], v[13:14], -v[33:34]
	v_fma_f64 v[13:14], v[35:36], v[13:14], -v[37:38]
	s_delay_alu instid0(VALU_DEP_3) | instskip(NEXT) | instid1(VALU_DEP_1)
	v_add_f64 v[35:36], v[33:34], v[27:28]
	v_add_f64 v[47:48], v[35:36], -v[33:34]
	s_delay_alu instid0(VALU_DEP_1) | instskip(SKIP_1) | instid1(VALU_DEP_1)
	v_add_f64 v[27:28], v[27:28], -v[47:48]
	v_add_f64 v[47:48], v[35:36], -v[47:48]
	;; [unrolled: 1-line block ×3, first 2 shown]
	v_add_f64 v[47:48], v[29:30], v[35:36]
	s_delay_alu instid0(VALU_DEP_2) | instskip(NEXT) | instid1(VALU_DEP_2)
	v_add_f64 v[27:28], v[27:28], v[33:34]
	v_add_f64 v[29:30], v[47:48], -v[29:30]
	v_add_f64 v[33:34], v[37:38], v[31:32]
	v_ldexp_f64 v[47:48], v[47:48], -2
	s_delay_alu instid0(VALU_DEP_3) | instskip(NEXT) | instid1(VALU_DEP_3)
	v_add_f64 v[29:30], v[35:36], -v[29:30]
	v_add_f64 v[35:36], v[33:34], -v[37:38]
	s_delay_alu instid0(VALU_DEP_3) | instskip(SKIP_1) | instid1(VALU_DEP_3)
	v_cmp_neq_f64_e64 vcc_lo, 0x7ff00000, |v[47:48]|
	v_fract_f64_e32 v[47:48], v[47:48]
	v_add_f64 v[31:32], v[31:32], -v[35:36]
	v_add_f64 v[35:36], v[33:34], -v[35:36]
	s_delay_alu instid0(VALU_DEP_3) | instskip(NEXT) | instid1(VALU_DEP_2)
	v_dual_cndmask_b32 v48, 0, v48 :: v_dual_cndmask_b32 v47, 0, v47
	v_add_f64 v[35:36], v[37:38], -v[35:36]
	v_add_f64 v[37:38], v[33:34], v[27:28]
	s_delay_alu instid0(VALU_DEP_2) | instskip(NEXT) | instid1(VALU_DEP_2)
	v_add_f64 v[31:32], v[31:32], v[35:36]
	v_add_f64 v[49:50], v[37:38], -v[33:34]
	v_add_f64 v[35:36], v[29:30], v[37:38]
	s_delay_alu instid0(VALU_DEP_2) | instskip(SKIP_1) | instid1(VALU_DEP_3)
	v_add_f64 v[27:28], v[27:28], -v[49:50]
	v_add_f64 v[49:50], v[37:38], -v[49:50]
	;; [unrolled: 1-line block ×3, first 2 shown]
	s_delay_alu instid0(VALU_DEP_2) | instskip(NEXT) | instid1(VALU_DEP_2)
	v_add_f64 v[33:34], v[33:34], -v[49:50]
	v_add_f64 v[29:30], v[37:38], -v[29:30]
	s_delay_alu instid0(VALU_DEP_2) | instskip(SKIP_1) | instid1(VALU_DEP_2)
	v_add_f64 v[27:28], v[27:28], v[33:34]
	v_ldexp_f64 v[33:34], v[47:48], 2
	v_add_f64 v[27:28], v[31:32], v[27:28]
	s_delay_alu instid0(VALU_DEP_2) | instskip(NEXT) | instid1(VALU_DEP_2)
	v_add_f64 v[47:48], v[35:36], v[33:34]
	v_add_f64 v[13:14], v[13:14], v[27:28]
	s_delay_alu instid0(VALU_DEP_2) | instskip(NEXT) | instid1(VALU_DEP_2)
	v_cmp_gt_f64_e32 vcc_lo, 0, v[47:48]
	v_add_f64 v[13:14], v[29:30], v[13:14]
	v_cndmask_b32_e64 v22, 0, 0x40100000, vcc_lo
	s_delay_alu instid0(VALU_DEP_1) | instskip(NEXT) | instid1(VALU_DEP_1)
	v_add_f64 v[27:28], v[33:34], v[21:22]
	v_add_f64 v[31:32], v[35:36], v[27:28]
	s_delay_alu instid0(VALU_DEP_1) | instskip(NEXT) | instid1(VALU_DEP_1)
	v_cvt_i32_f64_e32 v15, v[31:32]
	v_cvt_f64_i32_e32 v[31:32], v15
	s_delay_alu instid0(VALU_DEP_1) | instskip(NEXT) | instid1(VALU_DEP_1)
	v_add_f64 v[27:28], v[27:28], -v[31:32]
	v_add_f64 v[29:30], v[35:36], v[27:28]
	s_delay_alu instid0(VALU_DEP_1) | instskip(SKIP_1) | instid1(VALU_DEP_2)
	v_add_f64 v[27:28], v[29:30], -v[27:28]
	v_cmp_le_f64_e32 vcc_lo, 0.5, v[29:30]
	v_add_f64 v[27:28], v[35:36], -v[27:28]
	v_cndmask_b32_e64 v22, 0, 0x3ff00000, vcc_lo
	v_add_co_ci_u32_e32 v15, vcc_lo, 0, v15, vcc_lo
	s_delay_alu instid0(VALU_DEP_2) | instskip(NEXT) | instid1(VALU_DEP_4)
	v_add_f64 v[29:30], v[29:30], -v[21:22]
	v_add_f64 v[13:14], v[13:14], v[27:28]
	s_delay_alu instid0(VALU_DEP_1) | instskip(NEXT) | instid1(VALU_DEP_1)
	v_add_f64 v[27:28], v[29:30], v[13:14]
	v_add_f64 v[29:30], v[27:28], -v[29:30]
	s_delay_alu instid0(VALU_DEP_1) | instskip(SKIP_1) | instid1(VALU_DEP_1)
	v_add_f64 v[13:14], v[13:14], -v[29:30]
	v_mul_f64 v[29:30], v[27:28], s[18:19]
	v_fma_f64 v[31:32], v[27:28], s[18:19], -v[29:30]
	s_delay_alu instid0(VALU_DEP_1) | instskip(NEXT) | instid1(VALU_DEP_1)
	v_fma_f64 v[27:28], v[27:28], s[24:25], v[31:32]
	v_fma_f64 v[27:28], v[13:14], s[18:19], v[27:28]
	s_delay_alu instid0(VALU_DEP_1) | instskip(NEXT) | instid1(VALU_DEP_1)
	v_add_f64 v[13:14], v[29:30], v[27:28]
	v_add_f64 v[29:30], v[13:14], -v[29:30]
	s_delay_alu instid0(VALU_DEP_1)
	v_add_f64 v[27:28], v[27:28], -v[29:30]
	s_and_not1_saveexec_b32 s18, s22
	s_cbranch_execz .LBB100_146
	s_branch .LBB100_145
.LBB100_137:                            ;   in Loop: Header=BB100_4 Depth=1
	s_and_not1_saveexec_b32 s53, s7
	s_cbranch_execz .LBB100_159
.LBB100_138:                            ;   in Loop: Header=BB100_4 Depth=1
	s_delay_alu instid0(VALU_DEP_1) | instskip(SKIP_1) | instid1(VALU_DEP_1)
	v_and_or_b32 v13, 0xfffff, v16, v15
	s_mov_b32 s6, exec_lo
	v_cmpx_ne_u32_e32 0, v13
	s_xor_b32 s6, exec_lo, s6
; %bb.139:                              ;   in Loop: Header=BB100_4 Depth=1
	v_mul_f64 v[7:8], v[5:6], -v[7:8]
	v_cmp_eq_f64_e32 vcc_lo, 0, v[5:6]
	s_delay_alu instid0(VALU_DEP_2)
	v_dual_cndmask_b32 v14, v8, v6 :: v_dual_cndmask_b32 v13, v7, v5
                                        ; implicit-def: $vgpr5_vgpr6
; %bb.140:                              ;   in Loop: Header=BB100_4 Depth=1
	s_and_not1_saveexec_b32 s63, s6
	s_cbranch_execz .LBB100_167
; %bb.141:                              ;   in Loop: Header=BB100_4 Depth=1
	s_mov_b32 s64, exec_lo
	v_cmpx_neq_f64_e64 0x7ff00000, |v[5:6]|
	s_cbranch_execz .LBB100_166
; %bb.142:                              ;   in Loop: Header=BB100_4 Depth=1
	v_cmp_ngt_f64_e64 s6, 0x41d00000, |v[5:6]|
	v_trig_preop_f64 v[31:32], |v[5:6]|, 0
	v_trig_preop_f64 v[29:30], |v[5:6]|, 1
	v_ldexp_f64 v[33:34], |v[5:6]|, 0xffffff80
	v_trig_preop_f64 v[27:28], |v[5:6]|, 2
	v_and_b32_e32 v48, 0x7fffffff, v6
                                        ; implicit-def: $vgpr47
                                        ; implicit-def: $vgpr7_vgpr8
                                        ; implicit-def: $vgpr13_vgpr14
	s_and_saveexec_b32 s7, s6
	s_delay_alu instid0(SALU_CYCLE_1)
	s_xor_b32 s7, exec_lo, s7
	s_cbranch_execz .LBB100_148
; %bb.143:                              ;   in Loop: Header=BB100_4 Depth=1
	v_cmp_le_f64_e64 vcc_lo, 0x7b000000, |v[5:6]|
	s_mov_b32 s18, s20
	s_mov_b32 s25, s23
	s_delay_alu instid0(VALU_DEP_4) | instskip(NEXT) | instid1(VALU_DEP_1)
	v_dual_cndmask_b32 v8, v48, v34 :: v_dual_cndmask_b32 v7, v5, v33
	v_mul_f64 v[13:14], v[31:32], v[7:8]
	v_mul_f64 v[35:36], v[29:30], v[7:8]
	s_delay_alu instid0(VALU_DEP_2) | instskip(NEXT) | instid1(VALU_DEP_1)
	v_fma_f64 v[37:38], v[31:32], v[7:8], -v[13:14]
	v_add_f64 v[49:50], v[35:36], v[37:38]
	s_delay_alu instid0(VALU_DEP_1) | instskip(SKIP_1) | instid1(VALU_DEP_2)
	v_add_f64 v[51:52], v[49:50], -v[35:36]
	v_add_f64 v[53:54], v[13:14], v[49:50]
	v_add_f64 v[37:38], v[37:38], -v[51:52]
	s_delay_alu instid0(VALU_DEP_2) | instskip(SKIP_1) | instid1(VALU_DEP_2)
	v_add_f64 v[13:14], v[53:54], -v[13:14]
	v_add_f64 v[51:52], v[49:50], -v[51:52]
	;; [unrolled: 1-line block ×3, first 2 shown]
	s_delay_alu instid0(VALU_DEP_2) | instskip(SKIP_2) | instid1(VALU_DEP_3)
	v_add_f64 v[49:50], v[35:36], -v[51:52]
	v_fma_f64 v[35:36], v[29:30], v[7:8], -v[35:36]
	v_mul_f64 v[51:52], v[27:28], v[7:8]
	v_add_f64 v[37:38], v[37:38], v[49:50]
	v_ldexp_f64 v[49:50], v[53:54], -2
	s_delay_alu instid0(VALU_DEP_3) | instskip(SKIP_1) | instid1(VALU_DEP_3)
	v_add_f64 v[53:54], v[51:52], v[35:36]
	v_fma_f64 v[7:8], v[27:28], v[7:8], -v[51:52]
	v_cmp_neq_f64_e64 vcc_lo, 0x7ff00000, |v[49:50]|
	s_delay_alu instid0(VALU_DEP_3) | instskip(SKIP_2) | instid1(VALU_DEP_3)
	v_add_f64 v[57:58], v[53:54], v[37:38]
	v_add_f64 v[55:56], v[53:54], -v[51:52]
	v_fract_f64_e32 v[49:50], v[49:50]
	v_add_f64 v[59:60], v[57:58], -v[53:54]
	s_delay_alu instid0(VALU_DEP_3) | instskip(SKIP_1) | instid1(VALU_DEP_4)
	v_add_f64 v[35:36], v[35:36], -v[55:56]
	v_add_f64 v[55:56], v[53:54], -v[55:56]
	v_dual_cndmask_b32 v50, 0, v50 :: v_dual_cndmask_b32 v49, 0, v49
	s_delay_alu instid0(VALU_DEP_1) | instskip(SKIP_4) | instid1(VALU_DEP_3)
	v_ldexp_f64 v[49:50], v[49:50], 2
	v_add_f64 v[37:38], v[37:38], -v[59:60]
	v_add_f64 v[59:60], v[57:58], -v[59:60]
	;; [unrolled: 1-line block ×3, first 2 shown]
	v_add_f64 v[51:52], v[13:14], v[57:58]
	v_add_f64 v[53:54], v[53:54], -v[59:60]
	s_delay_alu instid0(VALU_DEP_3) | instskip(NEXT) | instid1(VALU_DEP_3)
	v_add_f64 v[35:36], v[35:36], v[55:56]
	v_add_f64 v[13:14], v[51:52], -v[13:14]
	s_delay_alu instid0(VALU_DEP_3) | instskip(SKIP_1) | instid1(VALU_DEP_3)
	v_add_f64 v[37:38], v[37:38], v[53:54]
	v_add_f64 v[53:54], v[51:52], v[49:50]
	v_add_f64 v[13:14], v[57:58], -v[13:14]
	s_delay_alu instid0(VALU_DEP_3) | instskip(NEXT) | instid1(VALU_DEP_3)
	v_add_f64 v[35:36], v[35:36], v[37:38]
	v_cmp_gt_f64_e32 vcc_lo, 0, v[53:54]
	s_delay_alu instid0(VALU_DEP_2) | instskip(SKIP_1) | instid1(VALU_DEP_1)
	v_add_f64 v[7:8], v[7:8], v[35:36]
	v_cndmask_b32_e64 v22, 0, 0x40100000, vcc_lo
	v_add_f64 v[35:36], v[49:50], v[21:22]
	s_delay_alu instid0(VALU_DEP_3) | instskip(NEXT) | instid1(VALU_DEP_2)
	v_add_f64 v[7:8], v[13:14], v[7:8]
	v_add_f64 v[37:38], v[51:52], v[35:36]
	s_delay_alu instid0(VALU_DEP_1) | instskip(NEXT) | instid1(VALU_DEP_1)
	v_cvt_i32_f64_e32 v47, v[37:38]
	v_cvt_f64_i32_e32 v[37:38], v47
	s_delay_alu instid0(VALU_DEP_1) | instskip(NEXT) | instid1(VALU_DEP_1)
	v_add_f64 v[35:36], v[35:36], -v[37:38]
	v_add_f64 v[13:14], v[51:52], v[35:36]
	s_delay_alu instid0(VALU_DEP_1) | instskip(SKIP_1) | instid1(VALU_DEP_2)
	v_add_f64 v[35:36], v[13:14], -v[35:36]
	v_cmp_le_f64_e32 vcc_lo, 0.5, v[13:14]
	v_add_f64 v[35:36], v[51:52], -v[35:36]
	v_cndmask_b32_e64 v22, 0, 0x3ff00000, vcc_lo
	v_add_co_ci_u32_e32 v47, vcc_lo, 0, v47, vcc_lo
	s_delay_alu instid0(VALU_DEP_2) | instskip(NEXT) | instid1(VALU_DEP_4)
	v_add_f64 v[13:14], v[13:14], -v[21:22]
	v_add_f64 v[7:8], v[7:8], v[35:36]
	s_delay_alu instid0(VALU_DEP_1) | instskip(NEXT) | instid1(VALU_DEP_1)
	v_add_f64 v[35:36], v[13:14], v[7:8]
	v_add_f64 v[13:14], v[35:36], -v[13:14]
	s_delay_alu instid0(VALU_DEP_1) | instskip(SKIP_1) | instid1(VALU_DEP_1)
	v_add_f64 v[7:8], v[7:8], -v[13:14]
	v_mul_f64 v[13:14], v[35:36], s[18:19]
	v_fma_f64 v[37:38], v[35:36], s[18:19], -v[13:14]
	s_delay_alu instid0(VALU_DEP_1) | instskip(NEXT) | instid1(VALU_DEP_1)
	v_fma_f64 v[35:36], v[35:36], s[24:25], v[37:38]
	v_fma_f64 v[35:36], v[7:8], s[18:19], v[35:36]
	s_delay_alu instid0(VALU_DEP_1) | instskip(NEXT) | instid1(VALU_DEP_1)
	v_add_f64 v[7:8], v[13:14], v[35:36]
	v_add_f64 v[13:14], v[7:8], -v[13:14]
	s_delay_alu instid0(VALU_DEP_1)
	v_add_f64 v[13:14], v[35:36], -v[13:14]
	s_and_not1_saveexec_b32 s7, s7
	s_cbranch_execz .LBB100_150
	s_branch .LBB100_149
.LBB100_144:                            ;   in Loop: Header=BB100_4 Depth=1
	s_and_not1_saveexec_b32 s18, s22
	s_cbranch_execz .LBB100_146
.LBB100_145:                            ;   in Loop: Header=BB100_4 Depth=1
	v_mul_f64 v[13:14], |v[5:6]|, s[26:27]
	s_mov_b32 s22, s28
	s_delay_alu instid0(VALU_DEP_1) | instskip(NEXT) | instid1(VALU_DEP_1)
	v_rndne_f64_e32 v[29:30], v[13:14]
	v_fma_f64 v[13:14], v[29:30], s[20:21], |v[5:6]|
	v_mul_f64 v[27:28], v[29:30], s[28:29]
	v_cvt_i32_f64_e32 v15, v[29:30]
	s_delay_alu instid0(VALU_DEP_3) | instskip(NEXT) | instid1(VALU_DEP_3)
	v_fma_f64 v[33:34], v[29:30], s[28:29], v[13:14]
	v_add_f64 v[31:32], v[13:14], v[27:28]
	s_delay_alu instid0(VALU_DEP_1) | instskip(NEXT) | instid1(VALU_DEP_3)
	v_add_f64 v[13:14], v[13:14], -v[31:32]
	v_add_f64 v[31:32], v[31:32], -v[33:34]
	s_delay_alu instid0(VALU_DEP_2) | instskip(SKIP_1) | instid1(VALU_DEP_2)
	v_add_f64 v[13:14], v[13:14], v[27:28]
	v_fma_f64 v[27:28], v[29:30], s[22:23], v[27:28]
	v_add_f64 v[13:14], v[31:32], v[13:14]
	s_delay_alu instid0(VALU_DEP_1) | instskip(NEXT) | instid1(VALU_DEP_1)
	v_add_f64 v[13:14], v[13:14], -v[27:28]
	v_fma_f64 v[27:28], v[29:30], s[30:31], v[13:14]
	s_delay_alu instid0(VALU_DEP_1) | instskip(NEXT) | instid1(VALU_DEP_1)
	v_add_f64 v[13:14], v[33:34], v[27:28]
	v_add_f64 v[31:32], v[13:14], -v[33:34]
	s_delay_alu instid0(VALU_DEP_1)
	v_add_f64 v[27:28], v[27:28], -v[31:32]
.LBB100_146:                            ;   in Loop: Header=BB100_4 Depth=1
	s_or_b32 exec_lo, exec_lo, s18
                                        ; implicit-def: $vgpr22
                                        ; implicit-def: $vgpr29_vgpr30
                                        ; implicit-def: $vgpr31_vgpr32
	s_and_saveexec_b32 s18, s6
	s_delay_alu instid0(SALU_CYCLE_1)
	s_xor_b32 s6, exec_lo, s18
	s_cbranch_execz .LBB100_152
; %bb.147:                              ;   in Loop: Header=BB100_4 Depth=1
	v_ldexp_f64 v[29:30], |v[5:6]|, 0xffffff80
	v_cmp_le_f64_e64 vcc_lo, 0x7b000000, |v[5:6]|
	v_trig_preop_f64 v[31:32], |v[5:6]|, 0
	v_and_b32_e32 v22, 0x7fffffff, v6
	v_trig_preop_f64 v[35:36], |v[5:6]|, 1
	v_trig_preop_f64 v[47:48], |v[5:6]|, 2
	s_mov_b32 s18, s20
	s_mov_b32 s25, s23
	v_dual_cndmask_b32 v29, v5, v29 :: v_dual_cndmask_b32 v30, v22, v30
	s_delay_alu instid0(VALU_DEP_1) | instskip(NEXT) | instid1(VALU_DEP_4)
	v_mul_f64 v[33:34], v[31:32], v[29:30]
	v_mul_f64 v[37:38], v[35:36], v[29:30]
	s_delay_alu instid0(VALU_DEP_4) | instskip(NEXT) | instid1(VALU_DEP_3)
	v_mul_f64 v[49:50], v[47:48], v[29:30]
	v_fma_f64 v[31:32], v[31:32], v[29:30], -v[33:34]
	s_delay_alu instid0(VALU_DEP_3) | instskip(NEXT) | instid1(VALU_DEP_3)
	v_fma_f64 v[35:36], v[35:36], v[29:30], -v[37:38]
	v_fma_f64 v[29:30], v[47:48], v[29:30], -v[49:50]
	s_delay_alu instid0(VALU_DEP_3) | instskip(NEXT) | instid1(VALU_DEP_1)
	v_add_f64 v[47:48], v[37:38], v[31:32]
	v_add_f64 v[51:52], v[47:48], -v[37:38]
	s_delay_alu instid0(VALU_DEP_1) | instskip(SKIP_1) | instid1(VALU_DEP_1)
	v_add_f64 v[31:32], v[31:32], -v[51:52]
	v_add_f64 v[51:52], v[47:48], -v[51:52]
	;; [unrolled: 1-line block ×3, first 2 shown]
	v_add_f64 v[51:52], v[33:34], v[47:48]
	s_delay_alu instid0(VALU_DEP_2) | instskip(NEXT) | instid1(VALU_DEP_2)
	v_add_f64 v[31:32], v[31:32], v[37:38]
	v_add_f64 v[33:34], v[51:52], -v[33:34]
	v_add_f64 v[37:38], v[49:50], v[35:36]
	v_ldexp_f64 v[51:52], v[51:52], -2
	s_delay_alu instid0(VALU_DEP_3) | instskip(NEXT) | instid1(VALU_DEP_3)
	v_add_f64 v[33:34], v[47:48], -v[33:34]
	v_add_f64 v[47:48], v[37:38], -v[49:50]
	s_delay_alu instid0(VALU_DEP_3) | instskip(SKIP_1) | instid1(VALU_DEP_3)
	v_cmp_neq_f64_e64 vcc_lo, 0x7ff00000, |v[51:52]|
	v_fract_f64_e32 v[51:52], v[51:52]
	v_add_f64 v[35:36], v[35:36], -v[47:48]
	v_add_f64 v[47:48], v[37:38], -v[47:48]
	s_delay_alu instid0(VALU_DEP_3) | instskip(NEXT) | instid1(VALU_DEP_2)
	v_dual_cndmask_b32 v51, 0, v51 :: v_dual_cndmask_b32 v52, 0, v52
	v_add_f64 v[47:48], v[49:50], -v[47:48]
	v_add_f64 v[49:50], v[37:38], v[31:32]
	s_delay_alu instid0(VALU_DEP_2) | instskip(NEXT) | instid1(VALU_DEP_2)
	v_add_f64 v[35:36], v[35:36], v[47:48]
	v_add_f64 v[53:54], v[49:50], -v[37:38]
	v_add_f64 v[47:48], v[33:34], v[49:50]
	s_delay_alu instid0(VALU_DEP_2) | instskip(SKIP_1) | instid1(VALU_DEP_3)
	v_add_f64 v[31:32], v[31:32], -v[53:54]
	v_add_f64 v[53:54], v[49:50], -v[53:54]
	;; [unrolled: 1-line block ×3, first 2 shown]
	s_delay_alu instid0(VALU_DEP_2) | instskip(NEXT) | instid1(VALU_DEP_2)
	v_add_f64 v[37:38], v[37:38], -v[53:54]
	v_add_f64 v[33:34], v[49:50], -v[33:34]
	s_delay_alu instid0(VALU_DEP_2) | instskip(SKIP_1) | instid1(VALU_DEP_2)
	v_add_f64 v[31:32], v[31:32], v[37:38]
	v_ldexp_f64 v[37:38], v[51:52], 2
	v_add_f64 v[31:32], v[35:36], v[31:32]
	s_delay_alu instid0(VALU_DEP_2) | instskip(NEXT) | instid1(VALU_DEP_2)
	v_add_f64 v[51:52], v[47:48], v[37:38]
	v_add_f64 v[29:30], v[29:30], v[31:32]
	s_delay_alu instid0(VALU_DEP_2) | instskip(NEXT) | instid1(VALU_DEP_2)
	v_cmp_gt_f64_e32 vcc_lo, 0, v[51:52]
	v_add_f64 v[29:30], v[33:34], v[29:30]
	v_cndmask_b32_e64 v22, 0, 0x40100000, vcc_lo
	s_delay_alu instid0(VALU_DEP_1) | instskip(NEXT) | instid1(VALU_DEP_1)
	v_add_f64 v[31:32], v[37:38], v[21:22]
	v_add_f64 v[35:36], v[47:48], v[31:32]
	s_delay_alu instid0(VALU_DEP_1) | instskip(NEXT) | instid1(VALU_DEP_1)
	v_cvt_i32_f64_e32 v37, v[35:36]
	v_cvt_f64_i32_e32 v[35:36], v37
	s_delay_alu instid0(VALU_DEP_1) | instskip(NEXT) | instid1(VALU_DEP_1)
	v_add_f64 v[31:32], v[31:32], -v[35:36]
	v_add_f64 v[33:34], v[47:48], v[31:32]
	s_delay_alu instid0(VALU_DEP_1) | instskip(SKIP_1) | instid1(VALU_DEP_2)
	v_add_f64 v[31:32], v[33:34], -v[31:32]
	v_cmp_le_f64_e32 vcc_lo, 0.5, v[33:34]
	v_add_f64 v[31:32], v[47:48], -v[31:32]
	v_cndmask_b32_e64 v22, 0, 0x3ff00000, vcc_lo
	s_delay_alu instid0(VALU_DEP_1) | instskip(SKIP_1) | instid1(VALU_DEP_4)
	v_add_f64 v[33:34], v[33:34], -v[21:22]
	v_add_co_ci_u32_e32 v22, vcc_lo, 0, v37, vcc_lo
	v_add_f64 v[29:30], v[29:30], v[31:32]
	s_delay_alu instid0(VALU_DEP_1) | instskip(NEXT) | instid1(VALU_DEP_1)
	v_add_f64 v[31:32], v[33:34], v[29:30]
	v_add_f64 v[33:34], v[31:32], -v[33:34]
	s_delay_alu instid0(VALU_DEP_1) | instskip(SKIP_1) | instid1(VALU_DEP_1)
	v_add_f64 v[29:30], v[29:30], -v[33:34]
	v_mul_f64 v[33:34], v[31:32], s[18:19]
	v_fma_f64 v[35:36], v[31:32], s[18:19], -v[33:34]
	s_delay_alu instid0(VALU_DEP_1) | instskip(NEXT) | instid1(VALU_DEP_1)
	v_fma_f64 v[31:32], v[31:32], s[24:25], v[35:36]
	v_fma_f64 v[31:32], v[29:30], s[18:19], v[31:32]
	s_delay_alu instid0(VALU_DEP_1) | instskip(NEXT) | instid1(VALU_DEP_1)
	v_add_f64 v[29:30], v[33:34], v[31:32]
	v_add_f64 v[33:34], v[29:30], -v[33:34]
	s_delay_alu instid0(VALU_DEP_1)
	v_add_f64 v[31:32], v[31:32], -v[33:34]
	s_and_not1_saveexec_b32 s6, s6
	s_cbranch_execnz .LBB100_153
	s_branch .LBB100_154
.LBB100_148:                            ;   in Loop: Header=BB100_4 Depth=1
	s_and_not1_saveexec_b32 s7, s7
	s_cbranch_execz .LBB100_150
.LBB100_149:                            ;   in Loop: Header=BB100_4 Depth=1
	v_mul_f64 v[7:8], |v[5:6]|, s[26:27]
	s_mov_b32 s22, s28
	s_delay_alu instid0(VALU_DEP_1) | instskip(NEXT) | instid1(VALU_DEP_1)
	v_rndne_f64_e32 v[35:36], v[7:8]
	v_fma_f64 v[7:8], v[35:36], s[20:21], |v[5:6]|
	v_mul_f64 v[13:14], v[35:36], s[28:29]
	v_cvt_i32_f64_e32 v47, v[35:36]
	s_delay_alu instid0(VALU_DEP_3) | instskip(NEXT) | instid1(VALU_DEP_3)
	v_fma_f64 v[49:50], v[35:36], s[28:29], v[7:8]
	v_add_f64 v[37:38], v[7:8], v[13:14]
	s_delay_alu instid0(VALU_DEP_1) | instskip(NEXT) | instid1(VALU_DEP_3)
	v_add_f64 v[7:8], v[7:8], -v[37:38]
	v_add_f64 v[37:38], v[37:38], -v[49:50]
	s_delay_alu instid0(VALU_DEP_2) | instskip(SKIP_1) | instid1(VALU_DEP_2)
	v_add_f64 v[7:8], v[7:8], v[13:14]
	v_fma_f64 v[13:14], v[35:36], s[22:23], v[13:14]
	v_add_f64 v[7:8], v[37:38], v[7:8]
	s_delay_alu instid0(VALU_DEP_1) | instskip(NEXT) | instid1(VALU_DEP_1)
	v_add_f64 v[7:8], v[7:8], -v[13:14]
	v_fma_f64 v[13:14], v[35:36], s[30:31], v[7:8]
	s_delay_alu instid0(VALU_DEP_1) | instskip(NEXT) | instid1(VALU_DEP_1)
	v_add_f64 v[7:8], v[49:50], v[13:14]
	v_add_f64 v[37:38], v[7:8], -v[49:50]
	s_delay_alu instid0(VALU_DEP_1)
	v_add_f64 v[13:14], v[13:14], -v[37:38]
.LBB100_150:                            ;   in Loop: Header=BB100_4 Depth=1
	s_or_b32 exec_lo, exec_lo, s7
                                        ; implicit-def: $vgpr22
                                        ; implicit-def: $vgpr35_vgpr36
                                        ; implicit-def: $vgpr37_vgpr38
	s_and_saveexec_b32 s7, s6
	s_delay_alu instid0(SALU_CYCLE_1)
	s_xor_b32 s6, exec_lo, s7
	s_cbranch_execz .LBB100_163
; %bb.151:                              ;   in Loop: Header=BB100_4 Depth=1
	v_cmp_le_f64_e64 vcc_lo, 0x7b000000, |v[5:6]|
	s_mov_b32 s18, s20
	s_mov_b32 s25, s23
	s_delay_alu instid0(VALU_DEP_4) | instskip(NEXT) | instid1(VALU_DEP_1)
	v_dual_cndmask_b32 v34, v48, v34 :: v_dual_cndmask_b32 v33, v5, v33
	v_mul_f64 v[35:36], v[31:32], v[33:34]
	v_mul_f64 v[37:38], v[29:30], v[33:34]
	;; [unrolled: 1-line block ×3, first 2 shown]
	s_delay_alu instid0(VALU_DEP_3) | instskip(NEXT) | instid1(VALU_DEP_3)
	v_fma_f64 v[31:32], v[31:32], v[33:34], -v[35:36]
	v_fma_f64 v[29:30], v[29:30], v[33:34], -v[37:38]
	s_delay_alu instid0(VALU_DEP_3) | instskip(NEXT) | instid1(VALU_DEP_3)
	v_fma_f64 v[27:28], v[27:28], v[33:34], -v[48:49]
	v_add_f64 v[33:34], v[37:38], v[31:32]
	s_delay_alu instid0(VALU_DEP_1) | instskip(NEXT) | instid1(VALU_DEP_1)
	v_add_f64 v[50:51], v[33:34], -v[37:38]
	v_add_f64 v[31:32], v[31:32], -v[50:51]
	;; [unrolled: 1-line block ×3, first 2 shown]
	s_delay_alu instid0(VALU_DEP_1) | instskip(SKIP_1) | instid1(VALU_DEP_2)
	v_add_f64 v[37:38], v[37:38], -v[50:51]
	v_add_f64 v[50:51], v[35:36], v[33:34]
	v_add_f64 v[31:32], v[31:32], v[37:38]
	s_delay_alu instid0(VALU_DEP_2) | instskip(SKIP_1) | instid1(VALU_DEP_2)
	v_add_f64 v[35:36], v[50:51], -v[35:36]
	v_ldexp_f64 v[50:51], v[50:51], -2
	v_add_f64 v[33:34], v[33:34], -v[35:36]
	v_add_f64 v[35:36], v[48:49], v[29:30]
	s_delay_alu instid0(VALU_DEP_3) | instskip(SKIP_1) | instid1(VALU_DEP_3)
	v_cmp_neq_f64_e64 vcc_lo, 0x7ff00000, |v[50:51]|
	v_fract_f64_e32 v[50:51], v[50:51]
	v_add_f64 v[37:38], v[35:36], -v[48:49]
	s_delay_alu instid0(VALU_DEP_2) | instskip(NEXT) | instid1(VALU_DEP_2)
	v_dual_cndmask_b32 v51, 0, v51 :: v_dual_cndmask_b32 v50, 0, v50
	v_add_f64 v[29:30], v[29:30], -v[37:38]
	v_add_f64 v[37:38], v[35:36], -v[37:38]
	s_delay_alu instid0(VALU_DEP_1) | instskip(SKIP_1) | instid1(VALU_DEP_2)
	v_add_f64 v[37:38], v[48:49], -v[37:38]
	v_add_f64 v[48:49], v[35:36], v[31:32]
	v_add_f64 v[29:30], v[29:30], v[37:38]
	s_delay_alu instid0(VALU_DEP_2) | instskip(SKIP_1) | instid1(VALU_DEP_2)
	v_add_f64 v[52:53], v[48:49], -v[35:36]
	v_add_f64 v[37:38], v[33:34], v[48:49]
	v_add_f64 v[31:32], v[31:32], -v[52:53]
	v_add_f64 v[52:53], v[48:49], -v[52:53]
	s_delay_alu instid0(VALU_DEP_1) | instskip(NEXT) | instid1(VALU_DEP_1)
	v_add_f64 v[35:36], v[35:36], -v[52:53]
	v_add_f64 v[31:32], v[31:32], v[35:36]
	v_ldexp_f64 v[35:36], v[50:51], 2
	s_delay_alu instid0(VALU_DEP_2) | instskip(NEXT) | instid1(VALU_DEP_2)
	v_add_f64 v[29:30], v[29:30], v[31:32]
	v_add_f64 v[50:51], v[37:38], v[35:36]
	v_add_f64 v[31:32], v[37:38], -v[33:34]
	s_delay_alu instid0(VALU_DEP_3) | instskip(NEXT) | instid1(VALU_DEP_3)
	v_add_f64 v[27:28], v[27:28], v[29:30]
	v_cmp_gt_f64_e32 vcc_lo, 0, v[50:51]
	s_delay_alu instid0(VALU_DEP_3) | instskip(SKIP_1) | instid1(VALU_DEP_2)
	v_add_f64 v[31:32], v[48:49], -v[31:32]
	v_cndmask_b32_e64 v22, 0, 0x40100000, vcc_lo
	v_add_f64 v[27:28], v[31:32], v[27:28]
	s_delay_alu instid0(VALU_DEP_2) | instskip(NEXT) | instid1(VALU_DEP_1)
	v_add_f64 v[29:30], v[35:36], v[21:22]
	v_add_f64 v[33:34], v[37:38], v[29:30]
	s_delay_alu instid0(VALU_DEP_1) | instskip(NEXT) | instid1(VALU_DEP_1)
	v_cvt_i32_f64_e32 v48, v[33:34]
	v_cvt_f64_i32_e32 v[33:34], v48
	s_delay_alu instid0(VALU_DEP_1) | instskip(NEXT) | instid1(VALU_DEP_1)
	v_add_f64 v[29:30], v[29:30], -v[33:34]
	v_add_f64 v[31:32], v[37:38], v[29:30]
	s_delay_alu instid0(VALU_DEP_1) | instskip(SKIP_1) | instid1(VALU_DEP_2)
	v_add_f64 v[29:30], v[31:32], -v[29:30]
	v_cmp_le_f64_e32 vcc_lo, 0.5, v[31:32]
	v_add_f64 v[29:30], v[37:38], -v[29:30]
	v_cndmask_b32_e64 v22, 0, 0x3ff00000, vcc_lo
	s_delay_alu instid0(VALU_DEP_1) | instskip(SKIP_1) | instid1(VALU_DEP_4)
	v_add_f64 v[31:32], v[31:32], -v[21:22]
	v_add_co_ci_u32_e32 v22, vcc_lo, 0, v48, vcc_lo
	v_add_f64 v[27:28], v[27:28], v[29:30]
	s_delay_alu instid0(VALU_DEP_1) | instskip(NEXT) | instid1(VALU_DEP_1)
	v_add_f64 v[29:30], v[31:32], v[27:28]
	v_add_f64 v[31:32], v[29:30], -v[31:32]
	s_delay_alu instid0(VALU_DEP_1) | instskip(SKIP_1) | instid1(VALU_DEP_1)
	v_add_f64 v[27:28], v[27:28], -v[31:32]
	v_mul_f64 v[31:32], v[29:30], s[18:19]
	v_fma_f64 v[33:34], v[29:30], s[18:19], -v[31:32]
	s_delay_alu instid0(VALU_DEP_1) | instskip(NEXT) | instid1(VALU_DEP_1)
	v_fma_f64 v[29:30], v[29:30], s[24:25], v[33:34]
	v_fma_f64 v[27:28], v[27:28], s[18:19], v[29:30]
	s_delay_alu instid0(VALU_DEP_1) | instskip(NEXT) | instid1(VALU_DEP_1)
	v_add_f64 v[35:36], v[31:32], v[27:28]
	v_add_f64 v[29:30], v[35:36], -v[31:32]
	s_delay_alu instid0(VALU_DEP_1)
	v_add_f64 v[37:38], v[27:28], -v[29:30]
	s_and_not1_saveexec_b32 s6, s6
	s_cbranch_execnz .LBB100_164
	s_branch .LBB100_165
.LBB100_152:                            ;   in Loop: Header=BB100_4 Depth=1
	s_and_not1_saveexec_b32 s6, s6
	s_cbranch_execz .LBB100_154
.LBB100_153:                            ;   in Loop: Header=BB100_4 Depth=1
	v_mul_f64 v[29:30], |v[5:6]|, s[26:27]
	s_mov_b32 s22, s28
	s_delay_alu instid0(VALU_DEP_1) | instskip(NEXT) | instid1(VALU_DEP_1)
	v_rndne_f64_e32 v[33:34], v[29:30]
	v_fma_f64 v[29:30], v[33:34], s[20:21], |v[5:6]|
	v_mul_f64 v[31:32], v[33:34], s[28:29]
	v_cvt_i32_f64_e32 v22, v[33:34]
	s_delay_alu instid0(VALU_DEP_3) | instskip(NEXT) | instid1(VALU_DEP_3)
	v_fma_f64 v[37:38], v[33:34], s[28:29], v[29:30]
	v_add_f64 v[35:36], v[29:30], v[31:32]
	s_delay_alu instid0(VALU_DEP_1) | instskip(NEXT) | instid1(VALU_DEP_3)
	v_add_f64 v[29:30], v[29:30], -v[35:36]
	v_add_f64 v[35:36], v[35:36], -v[37:38]
	s_delay_alu instid0(VALU_DEP_2) | instskip(SKIP_1) | instid1(VALU_DEP_2)
	v_add_f64 v[29:30], v[29:30], v[31:32]
	v_fma_f64 v[31:32], v[33:34], s[22:23], v[31:32]
	v_add_f64 v[29:30], v[35:36], v[29:30]
	s_delay_alu instid0(VALU_DEP_1) | instskip(NEXT) | instid1(VALU_DEP_1)
	v_add_f64 v[29:30], v[29:30], -v[31:32]
	v_fma_f64 v[31:32], v[33:34], s[30:31], v[29:30]
	s_delay_alu instid0(VALU_DEP_1) | instskip(NEXT) | instid1(VALU_DEP_1)
	v_add_f64 v[29:30], v[37:38], v[31:32]
	v_add_f64 v[35:36], v[29:30], -v[37:38]
	s_delay_alu instid0(VALU_DEP_1)
	v_add_f64 v[31:32], v[31:32], -v[35:36]
.LBB100_154:                            ;   in Loop: Header=BB100_4 Depth=1
	s_or_b32 exec_lo, exec_lo, s6
	s_delay_alu instid0(VALU_DEP_2) | instskip(NEXT) | instid1(VALU_DEP_2)
	v_mul_f64 v[33:34], v[13:14], v[13:14]
	v_mul_f64 v[49:50], v[27:28], 0.5
	s_delay_alu instid0(VALU_DEP_3)
	v_mul_f64 v[55:56], v[31:32], 0.5
	s_mov_b32 s48, s50
	v_cmp_nlt_f64_e64 vcc_lo, 0x4090cc00, |v[7:8]|
	v_lshlrev_b32_e32 v5, 30, v15
	s_mov_b32 s89, s47
	s_mov_b32 s91, s51
	v_mul_f64 v[35:36], v[33:34], 0.5
	v_mul_f64 v[51:52], v[13:14], -v[33:34]
	s_delay_alu instid0(VALU_DEP_2) | instskip(NEXT) | instid1(VALU_DEP_1)
	v_add_f64 v[37:38], -v[35:36], 1.0
	v_add_f64 v[47:48], -v[37:38], 1.0
	s_delay_alu instid0(VALU_DEP_1) | instskip(SKIP_1) | instid1(VALU_DEP_2)
	v_add_f64 v[35:36], v[47:48], -v[35:36]
	v_fma_f64 v[47:48], v[33:34], s[38:39], s[36:37]
	v_fma_f64 v[35:36], v[13:14], -v[27:28], v[35:36]
	s_delay_alu instid0(VALU_DEP_2) | instskip(NEXT) | instid1(VALU_DEP_1)
	v_fma_f64 v[47:48], v[33:34], v[47:48], s[40:41]
	v_fma_f64 v[47:48], v[33:34], v[47:48], s[42:43]
	s_delay_alu instid0(VALU_DEP_1) | instskip(NEXT) | instid1(VALU_DEP_1)
	v_fma_f64 v[47:48], v[33:34], v[47:48], s[46:47]
	v_fma_f64 v[47:48], v[51:52], v[47:48], v[49:50]
	s_delay_alu instid0(VALU_DEP_1) | instskip(SKIP_1) | instid1(VALU_DEP_2)
	v_fma_f64 v[27:28], v[33:34], v[47:48], -v[27:28]
	v_fma_f64 v[47:48], v[33:34], s[100:101], s[98:99]
	v_fma_f64 v[27:28], v[51:52], s[48:49], v[27:28]
	s_delay_alu instid0(VALU_DEP_2) | instskip(NEXT) | instid1(VALU_DEP_2)
	v_fma_f64 v[47:48], v[33:34], v[47:48], s[102:103]
	v_add_f64 v[13:14], v[13:14], -v[27:28]
	s_delay_alu instid0(VALU_DEP_2) | instskip(NEXT) | instid1(VALU_DEP_1)
	v_fma_f64 v[47:48], v[33:34], v[47:48], s[10:11]
	v_fma_f64 v[47:48], v[33:34], v[47:48], s[34:35]
	s_delay_alu instid0(VALU_DEP_1) | instskip(SKIP_1) | instid1(VALU_DEP_1)
	v_fma_f64 v[47:48], v[33:34], v[47:48], s[50:51]
	v_mul_f64 v[33:34], v[33:34], v[33:34]
	v_fma_f64 v[33:34], v[33:34], v[47:48], v[35:36]
	v_mul_f64 v[35:36], v[29:30], v[29:30]
	s_delay_alu instid0(VALU_DEP_2) | instskip(NEXT) | instid1(VALU_DEP_2)
	v_add_f64 v[33:34], v[37:38], v[33:34]
	v_mul_f64 v[47:48], v[35:36], 0.5
	v_mul_f64 v[57:58], v[29:30], -v[35:36]
	s_delay_alu instid0(VALU_DEP_2) | instskip(NEXT) | instid1(VALU_DEP_1)
	v_add_f64 v[49:50], -v[47:48], 1.0
	v_add_f64 v[53:54], -v[49:50], 1.0
	s_delay_alu instid0(VALU_DEP_1) | instskip(SKIP_1) | instid1(VALU_DEP_2)
	v_add_f64 v[47:48], v[53:54], -v[47:48]
	v_fma_f64 v[53:54], v[35:36], s[38:39], s[36:37]
	v_fma_f64 v[47:48], v[29:30], -v[31:32], v[47:48]
	s_delay_alu instid0(VALU_DEP_2) | instskip(NEXT) | instid1(VALU_DEP_1)
	v_fma_f64 v[53:54], v[35:36], v[53:54], s[40:41]
	v_fma_f64 v[53:54], v[35:36], v[53:54], s[42:43]
	s_delay_alu instid0(VALU_DEP_1) | instskip(NEXT) | instid1(VALU_DEP_1)
	v_fma_f64 v[53:54], v[35:36], v[53:54], s[46:47]
	v_fma_f64 v[53:54], v[57:58], v[53:54], v[55:56]
	s_delay_alu instid0(VALU_DEP_1) | instskip(SKIP_1) | instid1(VALU_DEP_2)
	v_fma_f64 v[31:32], v[35:36], v[53:54], -v[31:32]
	v_fma_f64 v[53:54], v[35:36], s[100:101], s[98:99]
	v_fma_f64 v[31:32], v[57:58], s[48:49], v[31:32]
	s_delay_alu instid0(VALU_DEP_2) | instskip(NEXT) | instid1(VALU_DEP_2)
	v_fma_f64 v[53:54], v[35:36], v[53:54], s[102:103]
	v_add_f64 v[27:28], v[29:30], -v[31:32]
	s_delay_alu instid0(VALU_DEP_2) | instskip(SKIP_2) | instid1(VALU_DEP_3)
	v_fma_f64 v[53:54], v[35:36], v[53:54], s[10:11]
	v_mul_f64 v[29:30], |v[7:8]|, s[70:71]
	v_xor_b32_e32 v31, v5, v6
	v_fma_f64 v[53:54], v[35:36], v[53:54], s[34:35]
	s_delay_alu instid0(VALU_DEP_3) | instskip(NEXT) | instid1(VALU_DEP_2)
	v_rndne_f64_e32 v[29:30], v[29:30]
	v_fma_f64 v[53:54], v[35:36], v[53:54], s[50:51]
	v_mul_f64 v[35:36], v[35:36], v[35:36]
	s_delay_alu instid0(VALU_DEP_3) | instskip(SKIP_2) | instid1(VALU_DEP_2)
	v_fma_f64 v[5:6], v[29:30], s[44:45], -|v[7:8]|
	v_and_b32_e32 v7, 1, v15
	v_lshlrev_b32_e32 v15, 30, v22
	v_cmp_eq_u32_e64 s6, 0, v7
	s_delay_alu instid0(VALU_DEP_2) | instskip(NEXT) | instid1(VALU_DEP_2)
	v_and_b32_e32 v15, 0x80000000, v15
	v_cndmask_b32_e64 v8, v34, v14, s6
	v_cndmask_b32_e64 v7, v33, v13, s6
	v_and_b32_e32 v13, 0x80000000, v31
	v_xor_b32_e32 v14, 0x80000000, v28
	s_delay_alu instid0(VALU_DEP_2) | instskip(SKIP_1) | instid1(VALU_DEP_2)
	v_xor_b32_e32 v8, v8, v13
	v_and_b32_e32 v13, 1, v22
	v_mul_f64 v[7:8], v[7:8], 4.0
	s_delay_alu instid0(VALU_DEP_2) | instskip(SKIP_2) | instid1(VALU_DEP_2)
	v_cmp_eq_u32_e64 s6, 0, v13
	v_fma_f64 v[35:36], v[35:36], v[53:54], v[47:48]
	v_fma_f64 v[5:6], v[29:30], s[66:67], v[5:6]
	v_add_f64 v[35:36], v[49:50], v[35:36]
	s_delay_alu instid0(VALU_DEP_1) | instskip(NEXT) | instid1(VALU_DEP_3)
	v_cndmask_b32_e64 v13, v27, v35, s6
	v_fma_f64 v[27:28], v[5:6], s[78:79], s[76:77]
	s_delay_alu instid0(VALU_DEP_3) | instskip(SKIP_1) | instid1(SALU_CYCLE_1)
	v_cndmask_b32_e64 v14, v14, v36, s6
	s_mov_b32 s6, 0x3ff00000
	v_bfi_b32 v22, 0x7fffffff, s6, v16
	s_delay_alu instid0(VALU_DEP_2) | instskip(SKIP_1) | instid1(VALU_DEP_2)
	v_xor_b32_e32 v14, v14, v15
	v_cvt_i32_f64_e32 v15, v[29:30]
	v_mul_f64 v[7:8], v[7:8], v[13:14]
	v_fma_f64 v[27:28], v[5:6], v[27:28], s[80:81]
	s_delay_alu instid0(VALU_DEP_1) | instskip(NEXT) | instid1(VALU_DEP_1)
	v_fma_f64 v[27:28], v[5:6], v[27:28], s[82:83]
	v_fma_f64 v[27:28], v[5:6], v[27:28], s[84:85]
	s_delay_alu instid0(VALU_DEP_1) | instskip(NEXT) | instid1(VALU_DEP_1)
	v_fma_f64 v[27:28], v[5:6], v[27:28], s[86:87]
	;; [unrolled: 3-line block ×4, first 2 shown]
	v_fma_f64 v[27:28], v[5:6], v[27:28], 1.0
	s_delay_alu instid0(VALU_DEP_1) | instskip(NEXT) | instid1(VALU_DEP_1)
	v_fma_f64 v[5:6], v[5:6], v[27:28], 1.0
	v_ldexp_f64 v[5:6], v[5:6], v15
	v_dual_mov_b32 v15, v21 :: v_dual_mov_b32 v16, v22
	s_delay_alu instid0(VALU_DEP_2) | instskip(NEXT) | instid1(VALU_DEP_1)
	v_dual_cndmask_b32 v6, 0, v6 :: v_dual_cndmask_b32 v5, 0, v5
	v_mul_f64 v[7:8], v[5:6], v[7:8]
	s_delay_alu instid0(VALU_DEP_1)
	v_mul_f64 v[13:14], v[5:6], v[7:8]
.LBB100_155:                            ;   in Loop: Header=BB100_4 Depth=1
	s_or_b32 exec_lo, exec_lo, s63
                                        ; implicit-def: $vgpr5_vgpr6
.LBB100_156:                            ;   in Loop: Header=BB100_4 Depth=1
	s_and_not1_saveexec_b32 s6, s53
; %bb.157:                              ;   in Loop: Header=BB100_4 Depth=1
	v_add_f64 v[13:14], v[5:6], -v[5:6]
	s_delay_alu instid0(VALU_DEP_1)
	v_dual_mov_b32 v16, v14 :: v_dual_mov_b32 v15, v13
; %bb.158:                              ;   in Loop: Header=BB100_4 Depth=1
	s_or_b32 exec_lo, exec_lo, s6
                                        ; implicit-def: $vgpr5_vgpr6
	s_and_not1_saveexec_b32 s53, s7
	s_cbranch_execnz .LBB100_138
.LBB100_159:                            ;   in Loop: Header=BB100_4 Depth=1
	s_or_b32 exec_lo, exec_lo, s53
	s_and_saveexec_b32 s6, s2
	s_delay_alu instid0(SALU_CYCLE_1)
	s_xor_b32 s2, exec_lo, s6
	s_cbranch_execz .LBB100_168
.LBB100_160:                            ;   in Loop: Header=BB100_4 Depth=1
	v_add_co_u32 v5, s6, s33, v23
	v_xor_b32_e32 v4, 0x80000000, v4
	v_add_co_ci_u32_e64 v6, null, s104, 0, s6
	global_store_b128 v[5:6], v[1:4], off
	s_or_b32 exec_lo, exec_lo, s2
	s_and_saveexec_b32 s2, s3
	s_cbranch_execnz .LBB100_169
.LBB100_161:                            ;   in Loop: Header=BB100_4 Depth=1
	s_or_b32 exec_lo, exec_lo, s2
	s_and_saveexec_b32 s2, s4
	s_cbranch_execz .LBB100_170
.LBB100_162:                            ;   in Loop: Header=BB100_4 Depth=1
	v_add_co_u32 v1, vcc_lo, s33, v43
	v_xor_b32_e32 v20, 0x80000000, v20
	v_add_co_ci_u32_e32 v2, vcc_lo, s104, v42, vcc_lo
	global_store_b128 v[1:2], v[17:20], off offset:-8
	s_or_b32 exec_lo, exec_lo, s2
	s_and_saveexec_b32 s2, s5
	s_cbranch_execz .LBB100_3
	s_branch .LBB100_171
.LBB100_163:                            ;   in Loop: Header=BB100_4 Depth=1
	s_and_not1_saveexec_b32 s6, s6
	s_cbranch_execz .LBB100_165
.LBB100_164:                            ;   in Loop: Header=BB100_4 Depth=1
	v_mul_f64 v[27:28], |v[5:6]|, s[26:27]
	s_mov_b32 s22, s28
	s_delay_alu instid0(VALU_DEP_1) | instskip(NEXT) | instid1(VALU_DEP_1)
	v_rndne_f64_e32 v[27:28], v[27:28]
	v_fma_f64 v[29:30], v[27:28], s[20:21], |v[5:6]|
	v_mul_f64 v[31:32], v[27:28], s[28:29]
	v_cvt_i32_f64_e32 v22, v[27:28]
	s_delay_alu instid0(VALU_DEP_3) | instskip(NEXT) | instid1(VALU_DEP_3)
	v_fma_f64 v[37:38], v[27:28], s[28:29], v[29:30]
	v_add_f64 v[33:34], v[29:30], v[31:32]
	s_delay_alu instid0(VALU_DEP_1) | instskip(NEXT) | instid1(VALU_DEP_3)
	v_add_f64 v[29:30], v[29:30], -v[33:34]
	v_add_f64 v[33:34], v[33:34], -v[37:38]
	s_delay_alu instid0(VALU_DEP_2) | instskip(SKIP_1) | instid1(VALU_DEP_2)
	v_add_f64 v[29:30], v[29:30], v[31:32]
	v_fma_f64 v[31:32], v[27:28], s[22:23], v[31:32]
	v_add_f64 v[29:30], v[33:34], v[29:30]
	s_delay_alu instid0(VALU_DEP_1) | instskip(NEXT) | instid1(VALU_DEP_1)
	v_add_f64 v[29:30], v[29:30], -v[31:32]
	v_fma_f64 v[29:30], v[27:28], s[30:31], v[29:30]
	s_delay_alu instid0(VALU_DEP_1) | instskip(NEXT) | instid1(VALU_DEP_1)
	v_add_f64 v[35:36], v[37:38], v[29:30]
	v_add_f64 v[31:32], v[35:36], -v[37:38]
	s_delay_alu instid0(VALU_DEP_1)
	v_add_f64 v[37:38], v[29:30], -v[31:32]
.LBB100_165:                            ;   in Loop: Header=BB100_4 Depth=1
	s_or_b32 exec_lo, exec_lo, s6
	v_cmp_class_f64_e64 vcc_lo, v[5:6], 0x1f8
	v_lshlrev_b32_e32 v5, 30, v47
	s_delay_alu instid0(VALU_DEP_3) | instskip(NEXT) | instid1(VALU_DEP_4)
	v_mul_f64 v[33:34], v[13:14], 0.5
	v_mul_f64 v[52:53], v[37:38], 0.5
	s_mov_b32 s48, s50
	s_delay_alu instid0(VALU_DEP_3) | instskip(SKIP_1) | instid1(VALU_DEP_1)
	v_xor_b32_e32 v56, v5, v6
	v_mul_f64 v[5:6], v[7:8], v[7:8]
	v_mul_f64 v[27:28], v[5:6], 0.5
	v_mul_f64 v[48:49], v[7:8], -v[5:6]
	s_delay_alu instid0(VALU_DEP_2) | instskip(NEXT) | instid1(VALU_DEP_1)
	v_add_f64 v[29:30], -v[27:28], 1.0
	v_add_f64 v[31:32], -v[29:30], 1.0
	s_delay_alu instid0(VALU_DEP_1) | instskip(SKIP_1) | instid1(VALU_DEP_2)
	v_add_f64 v[27:28], v[31:32], -v[27:28]
	v_fma_f64 v[31:32], v[5:6], s[38:39], s[36:37]
	v_fma_f64 v[27:28], v[7:8], -v[13:14], v[27:28]
	s_delay_alu instid0(VALU_DEP_2) | instskip(NEXT) | instid1(VALU_DEP_1)
	v_fma_f64 v[31:32], v[5:6], v[31:32], s[40:41]
	v_fma_f64 v[31:32], v[5:6], v[31:32], s[42:43]
	s_delay_alu instid0(VALU_DEP_1) | instskip(NEXT) | instid1(VALU_DEP_1)
	v_fma_f64 v[31:32], v[5:6], v[31:32], s[46:47]
	v_fma_f64 v[31:32], v[48:49], v[31:32], v[33:34]
	s_delay_alu instid0(VALU_DEP_1) | instskip(SKIP_1) | instid1(VALU_DEP_2)
	v_fma_f64 v[13:14], v[5:6], v[31:32], -v[13:14]
	v_fma_f64 v[31:32], v[5:6], s[100:101], s[98:99]
	v_fma_f64 v[13:14], v[48:49], s[48:49], v[13:14]
	s_delay_alu instid0(VALU_DEP_2) | instskip(NEXT) | instid1(VALU_DEP_2)
	v_fma_f64 v[31:32], v[5:6], v[31:32], s[102:103]
	v_add_f64 v[7:8], v[7:8], -v[13:14]
	s_delay_alu instid0(VALU_DEP_2) | instskip(NEXT) | instid1(VALU_DEP_1)
	v_fma_f64 v[31:32], v[5:6], v[31:32], s[10:11]
	v_fma_f64 v[31:32], v[5:6], v[31:32], s[34:35]
	s_delay_alu instid0(VALU_DEP_1) | instskip(SKIP_1) | instid1(VALU_DEP_1)
	v_fma_f64 v[31:32], v[5:6], v[31:32], s[50:51]
	v_mul_f64 v[5:6], v[5:6], v[5:6]
	v_fma_f64 v[5:6], v[5:6], v[31:32], v[27:28]
	v_mul_f64 v[27:28], v[35:36], v[35:36]
	s_delay_alu instid0(VALU_DEP_2) | instskip(NEXT) | instid1(VALU_DEP_2)
	v_add_f64 v[5:6], v[29:30], v[5:6]
	v_mul_f64 v[31:32], v[27:28], 0.5
	v_mul_f64 v[54:55], v[35:36], -v[27:28]
	s_delay_alu instid0(VALU_DEP_2) | instskip(NEXT) | instid1(VALU_DEP_1)
	v_add_f64 v[33:34], -v[31:32], 1.0
	v_add_f64 v[50:51], -v[33:34], 1.0
	s_delay_alu instid0(VALU_DEP_1) | instskip(SKIP_1) | instid1(VALU_DEP_2)
	v_add_f64 v[31:32], v[50:51], -v[31:32]
	v_fma_f64 v[50:51], v[27:28], s[38:39], s[36:37]
	v_fma_f64 v[31:32], v[35:36], -v[37:38], v[31:32]
	s_delay_alu instid0(VALU_DEP_2) | instskip(NEXT) | instid1(VALU_DEP_1)
	v_fma_f64 v[50:51], v[27:28], v[50:51], s[40:41]
	v_fma_f64 v[50:51], v[27:28], v[50:51], s[42:43]
	s_delay_alu instid0(VALU_DEP_1) | instskip(NEXT) | instid1(VALU_DEP_1)
	v_fma_f64 v[50:51], v[27:28], v[50:51], s[46:47]
	v_fma_f64 v[50:51], v[54:55], v[50:51], v[52:53]
	s_delay_alu instid0(VALU_DEP_1) | instskip(SKIP_1) | instid1(VALU_DEP_1)
	v_fma_f64 v[37:38], v[27:28], v[50:51], -v[37:38]
	v_fma_f64 v[50:51], v[27:28], s[100:101], s[98:99]
	v_fma_f64 v[50:51], v[27:28], v[50:51], s[102:103]
	s_delay_alu instid0(VALU_DEP_1) | instskip(NEXT) | instid1(VALU_DEP_1)
	v_fma_f64 v[50:51], v[27:28], v[50:51], s[10:11]
	v_fma_f64 v[50:51], v[27:28], v[50:51], s[34:35]
	s_delay_alu instid0(VALU_DEP_1) | instskip(SKIP_1) | instid1(VALU_DEP_1)
	v_fma_f64 v[50:51], v[27:28], v[50:51], s[50:51]
	v_mul_f64 v[27:28], v[27:28], v[27:28]
	v_fma_f64 v[27:28], v[27:28], v[50:51], v[31:32]
	v_fma_f64 v[31:32], v[54:55], s[48:49], v[37:38]
	s_delay_alu instid0(VALU_DEP_2) | instskip(NEXT) | instid1(VALU_DEP_2)
	v_add_f64 v[13:14], v[33:34], v[27:28]
	v_add_f64 v[31:32], v[35:36], -v[31:32]
	v_and_b32_e32 v27, 1, v47
	s_delay_alu instid0(VALU_DEP_1) | instskip(NEXT) | instid1(VALU_DEP_1)
	v_cmp_eq_u32_e64 s6, 0, v27
	v_cndmask_b32_e64 v5, v5, v7, s6
	v_and_b32_e32 v28, 1, v22
	v_cndmask_b32_e64 v6, v6, v8, s6
	s_delay_alu instid0(VALU_DEP_3) | instskip(NEXT) | instid1(VALU_DEP_3)
	v_cndmask_b32_e32 v5, 0, v5, vcc_lo
	v_cmp_eq_u32_e64 s7, 0, v28
	v_and_b32_e32 v28, 0x80000000, v56
	s_delay_alu instid0(VALU_DEP_1) | instskip(NEXT) | instid1(VALU_DEP_1)
	v_xor_b32_e32 v6, v6, v28
	v_cndmask_b32_e32 v6, 0x7ff80000, v6, vcc_lo
	v_xor_b32_e32 v27, 0x80000000, v32
	v_cndmask_b32_e64 v7, v31, v13, s7
	v_lshlrev_b32_e32 v22, 30, v22
	s_delay_alu instid0(VALU_DEP_3) | instskip(NEXT) | instid1(VALU_DEP_2)
	v_cndmask_b32_e64 v14, v27, v14, s7
	v_dual_cndmask_b32 v7, 0, v7 :: v_dual_and_b32 v8, 0x80000000, v22
	s_delay_alu instid0(VALU_DEP_1) | instskip(NEXT) | instid1(VALU_DEP_1)
	v_xor_b32_e32 v8, v14, v8
	v_cndmask_b32_e32 v8, 0x7ff80000, v8, vcc_lo
	s_delay_alu instid0(VALU_DEP_1)
	v_mul_f64 v[5:6], v[5:6], v[7:8]
.LBB100_166:                            ;   in Loop: Header=BB100_4 Depth=1
	s_or_b32 exec_lo, exec_lo, s64
	s_delay_alu instid0(VALU_DEP_1) | instskip(SKIP_2) | instid1(VALU_DEP_3)
	v_bfi_b32 v22, 0x7fffffff, 0, v6
	v_add_co_u32 v15, vcc_lo, v15, 0
	v_add_co_ci_u32_e32 v16, vcc_lo, -2.0, v16, vcc_lo
	v_dual_mov_b32 v13, v21 :: v_dual_mov_b32 v14, v22
.LBB100_167:                            ;   in Loop: Header=BB100_4 Depth=1
	s_or_b32 exec_lo, exec_lo, s63
	s_delay_alu instid0(SALU_CYCLE_1) | instskip(SKIP_1) | instid1(SALU_CYCLE_1)
	s_or_b32 exec_lo, exec_lo, s53
	s_and_saveexec_b32 s6, s2
	s_xor_b32 s2, exec_lo, s6
	s_cbranch_execnz .LBB100_160
.LBB100_168:                            ;   in Loop: Header=BB100_4 Depth=1
	s_or_b32 exec_lo, exec_lo, s2
	s_and_saveexec_b32 s2, s3
	s_cbranch_execz .LBB100_161
.LBB100_169:                            ;   in Loop: Header=BB100_4 Depth=1
	v_add_co_u32 v1, s3, s33, v44
	v_xor_b32_e32 v12, 0x80000000, v12
	v_add_co_ci_u32_e64 v2, null, s104, 0, s3
	global_store_b128 v[1:2], v[9:12], off
	s_or_b32 exec_lo, exec_lo, s2
	s_and_saveexec_b32 s2, s4
	s_cbranch_execnz .LBB100_162
.LBB100_170:                            ;   in Loop: Header=BB100_4 Depth=1
	s_or_b32 exec_lo, exec_lo, s2
	s_and_saveexec_b32 s2, s5
	s_cbranch_execz .LBB100_3
.LBB100_171:                            ;   in Loop: Header=BB100_4 Depth=1
	v_add_co_u32 v1, vcc_lo, s33, v25
	v_xor_b32_e32 v16, 0x80000000, v16
	v_add_co_ci_u32_e32 v2, vcc_lo, s104, v26, vcc_lo
	global_store_b128 v[1:2], v[13:16], off offset:-8
	s_branch .LBB100_3
.LBB100_172:
	s_cbranch_execz .LBB100_174
	s_branch .LBB100_329
.LBB100_173:
.LBB100_174:
	v_dual_mov_b32 v20, 0 :: v_dual_lshlrev_b32 v1, 2, v0
	s_mov_b32 s33, 0
	s_mov_b32 s2, exec_lo
	s_delay_alu instid0(VALU_DEP_1) | instskip(NEXT) | instid1(VALU_DEP_1)
	v_mov_b32_e32 v2, v20
	v_cmpx_gt_i64_e64 s[8:9], v[1:2]
	s_cbranch_execz .LBB100_329
; %bb.175:
	s_load_b32 s0, s[0:1], 0xd3c
	v_readlane_b32 s20, v69, 0
	v_lshlrev_b32_e32 v1, 6, v0
	v_readlane_b32 s21, v69, 1
	v_mov_b32_e32 v23, v20
	s_mov_b32 s4, 0x54442d18
	s_mov_b32 s14, 0x6dc9c883
	;; [unrolled: 1-line block ×15, first 2 shown]
	s_waitcnt lgkmcnt(0)
	s_and_b32 s0, s0, 0xffff
	s_mov_b32 s58, 0xf278e000
	s_lshl_b32 vcc_hi, s0, 2
	s_add_u32 s1, s20, s12
	v_add_lshl_u32 v22, v0, s0, 2
	s_addc_u32 s2, s21, s13
	s_lshl_b32 s104, s0, 6
	v_add_co_u32 v24, s0, s1, v1
	s_delay_alu instid0(VALU_DEP_1)
	v_add_co_ci_u32_e64 v25, null, s2, 0, s0
	s_mov_b32 s60, 0xf97b57a0
	s_mov_b32 s62, 0xfca7ab0c
	;; [unrolled: 1-line block ×67, first 2 shown]
	s_branch .LBB100_180
.LBB100_176:                            ;   in Loop: Header=BB100_180 Depth=1
	s_or_b32 exec_lo, exec_lo, s0
	v_cmp_class_f64_e64 vcc_lo, v[0:1], 0x1f8
	v_lshlrev_b32_e32 v0, 30, v38
	s_delay_alu instid0(VALU_DEP_3) | instskip(NEXT) | instid1(VALU_DEP_4)
	v_mul_f64 v[32:33], v[8:9], 0.5
	v_mul_f64 v[43:44], v[36:37], 0.5
	s_mov_b32 s12, s22
	s_delay_alu instid0(VALU_DEP_3) | instskip(SKIP_1) | instid1(VALU_DEP_1)
	v_xor_b32_e32 v47, v0, v1
	v_mul_f64 v[0:1], v[2:3], v[2:3]
	v_mul_f64 v[26:27], v[0:1], 0.5
	v_mul_f64 v[39:40], v[2:3], -v[0:1]
	s_delay_alu instid0(VALU_DEP_2) | instskip(NEXT) | instid1(VALU_DEP_1)
	v_add_f64 v[28:29], -v[26:27], 1.0
	v_add_f64 v[30:31], -v[28:29], 1.0
	s_delay_alu instid0(VALU_DEP_1) | instskip(SKIP_1) | instid1(VALU_DEP_2)
	v_add_f64 v[26:27], v[30:31], -v[26:27]
	v_fma_f64 v[30:31], v[0:1], s[96:97], s[94:95]
	v_fma_f64 v[26:27], v[2:3], -v[8:9], v[26:27]
	s_delay_alu instid0(VALU_DEP_2) | instskip(NEXT) | instid1(VALU_DEP_1)
	v_fma_f64 v[30:31], v[0:1], v[30:31], s[98:99]
	v_fma_f64 v[30:31], v[0:1], v[30:31], s[100:101]
	s_delay_alu instid0(VALU_DEP_1) | instskip(NEXT) | instid1(VALU_DEP_1)
	v_fma_f64 v[30:31], v[0:1], v[30:31], s[20:21]
	v_fma_f64 v[30:31], v[39:40], v[30:31], v[32:33]
	s_delay_alu instid0(VALU_DEP_1) | instskip(SKIP_1) | instid1(VALU_DEP_2)
	v_fma_f64 v[8:9], v[0:1], v[30:31], -v[8:9]
	v_fma_f64 v[30:31], v[0:1], s[86:87], s[84:85]
	v_fma_f64 v[8:9], v[39:40], s[12:13], v[8:9]
	s_delay_alu instid0(VALU_DEP_2) | instskip(NEXT) | instid1(VALU_DEP_2)
	v_fma_f64 v[30:31], v[0:1], v[30:31], s[88:89]
	v_add_f64 v[2:3], v[2:3], -v[8:9]
	s_delay_alu instid0(VALU_DEP_2) | instskip(NEXT) | instid1(VALU_DEP_1)
	v_fma_f64 v[30:31], v[0:1], v[30:31], s[90:91]
	v_fma_f64 v[30:31], v[0:1], v[30:31], s[92:93]
	s_delay_alu instid0(VALU_DEP_1) | instskip(SKIP_1) | instid1(VALU_DEP_1)
	v_fma_f64 v[30:31], v[0:1], v[30:31], s[22:23]
	v_mul_f64 v[0:1], v[0:1], v[0:1]
	v_fma_f64 v[0:1], v[0:1], v[30:31], v[26:27]
	v_mul_f64 v[26:27], v[34:35], v[34:35]
	s_delay_alu instid0(VALU_DEP_2) | instskip(NEXT) | instid1(VALU_DEP_2)
	v_add_f64 v[0:1], v[28:29], v[0:1]
	v_mul_f64 v[30:31], v[26:27], 0.5
	v_mul_f64 v[45:46], v[34:35], -v[26:27]
	s_delay_alu instid0(VALU_DEP_2) | instskip(NEXT) | instid1(VALU_DEP_1)
	v_add_f64 v[32:33], -v[30:31], 1.0
	v_add_f64 v[41:42], -v[32:33], 1.0
	s_delay_alu instid0(VALU_DEP_1) | instskip(SKIP_1) | instid1(VALU_DEP_2)
	v_add_f64 v[30:31], v[41:42], -v[30:31]
	v_fma_f64 v[41:42], v[26:27], s[96:97], s[94:95]
	v_fma_f64 v[30:31], v[34:35], -v[36:37], v[30:31]
	s_delay_alu instid0(VALU_DEP_2) | instskip(NEXT) | instid1(VALU_DEP_1)
	v_fma_f64 v[41:42], v[26:27], v[41:42], s[98:99]
	v_fma_f64 v[41:42], v[26:27], v[41:42], s[100:101]
	s_delay_alu instid0(VALU_DEP_1) | instskip(NEXT) | instid1(VALU_DEP_1)
	v_fma_f64 v[41:42], v[26:27], v[41:42], s[20:21]
	v_fma_f64 v[41:42], v[45:46], v[41:42], v[43:44]
	s_delay_alu instid0(VALU_DEP_1) | instskip(SKIP_1) | instid1(VALU_DEP_1)
	v_fma_f64 v[36:37], v[26:27], v[41:42], -v[36:37]
	v_fma_f64 v[41:42], v[26:27], s[86:87], s[84:85]
	v_fma_f64 v[41:42], v[26:27], v[41:42], s[88:89]
	s_delay_alu instid0(VALU_DEP_1) | instskip(NEXT) | instid1(VALU_DEP_1)
	v_fma_f64 v[41:42], v[26:27], v[41:42], s[90:91]
	v_fma_f64 v[41:42], v[26:27], v[41:42], s[92:93]
	s_delay_alu instid0(VALU_DEP_1) | instskip(SKIP_1) | instid1(VALU_DEP_1)
	v_fma_f64 v[41:42], v[26:27], v[41:42], s[22:23]
	v_mul_f64 v[26:27], v[26:27], v[26:27]
	v_fma_f64 v[26:27], v[26:27], v[41:42], v[30:31]
	v_fma_f64 v[30:31], v[45:46], s[12:13], v[36:37]
	s_delay_alu instid0(VALU_DEP_2) | instskip(NEXT) | instid1(VALU_DEP_2)
	v_add_f64 v[8:9], v[32:33], v[26:27]
	v_add_f64 v[30:31], v[34:35], -v[30:31]
	v_and_b32_e32 v26, 1, v38
	s_delay_alu instid0(VALU_DEP_1) | instskip(NEXT) | instid1(VALU_DEP_1)
	v_cmp_eq_u32_e64 s0, 0, v26
	v_cndmask_b32_e64 v0, v0, v2, s0
	v_and_b32_e32 v27, 1, v21
	v_cndmask_b32_e64 v1, v1, v3, s0
	s_delay_alu instid0(VALU_DEP_3) | instskip(NEXT) | instid1(VALU_DEP_3)
	v_cndmask_b32_e32 v0, 0, v0, vcc_lo
	v_cmp_eq_u32_e64 s1, 0, v27
	v_and_b32_e32 v27, 0x80000000, v47
	s_delay_alu instid0(VALU_DEP_1) | instskip(NEXT) | instid1(VALU_DEP_1)
	v_xor_b32_e32 v1, v1, v27
	v_cndmask_b32_e32 v1, 0x7ff80000, v1, vcc_lo
	v_xor_b32_e32 v26, 0x80000000, v31
	v_cndmask_b32_e64 v2, v30, v8, s1
	v_lshlrev_b32_e32 v21, 30, v21
	s_delay_alu instid0(VALU_DEP_3) | instskip(NEXT) | instid1(VALU_DEP_2)
	v_cndmask_b32_e64 v9, v26, v9, s1
	v_dual_cndmask_b32 v2, 0, v2 :: v_dual_and_b32 v3, 0x80000000, v21
	s_delay_alu instid0(VALU_DEP_1) | instskip(NEXT) | instid1(VALU_DEP_1)
	v_xor_b32_e32 v3, v9, v3
	v_cndmask_b32_e32 v3, 0x7ff80000, v3, vcc_lo
	s_delay_alu instid0(VALU_DEP_1)
	v_mul_f64 v[0:1], v[0:1], v[2:3]
.LBB100_177:                            ;   in Loop: Header=BB100_180 Depth=1
	s_or_b32 exec_lo, exec_lo, s50
	s_delay_alu instid0(VALU_DEP_1) | instskip(SKIP_2) | instid1(VALU_DEP_3)
	v_bfi_b32 v21, 0x7fffffff, 0, v1
	v_add_co_u32 v10, vcc_lo, v10, 0
	v_add_co_ci_u32_e32 v11, vcc_lo, -2.0, v11, vcc_lo
	v_dual_mov_b32 v8, v20 :: v_dual_mov_b32 v9, v21
.LBB100_178:                            ;   in Loop: Header=BB100_180 Depth=1
	s_or_b32 exec_lo, exec_lo, s25
.LBB100_179:                            ;   in Loop: Header=BB100_180 Depth=1
	s_delay_alu instid0(SALU_CYCLE_1)
	s_or_b32 exec_lo, exec_lo, s24
	v_cmp_le_i64_e32 vcc_lo, s[8:9], v[22:23]
	v_cmp_lt_u64_e64 s0, 0xffff, v[22:23]
	v_xor_b32_e32 v7, 0x80000000, v7
	v_xor_b32_e32 v15, 0x80000000, v15
	v_xor_b32_e32 v19, 0x80000000, v19
	v_xor_b32_e32 v11, 0x80000000, v11
	s_clause 0x3
	global_store_b128 v[24:25], v[4:7], off
	global_store_b128 v[24:25], v[12:15], off offset:16
	global_store_b128 v[24:25], v[16:19], off offset:32
	;; [unrolled: 1-line block ×3, first 2 shown]
	s_or_b32 s0, vcc_lo, s0
	v_add_co_u32 v22, vcc_lo, v22, vcc_hi
	v_add_co_ci_u32_e32 v23, vcc_lo, 0, v23, vcc_lo
	v_add_co_u32 v24, vcc_lo, v24, s104
	v_add_co_ci_u32_e32 v25, vcc_lo, 0, v25, vcc_lo
	s_and_b32 s0, exec_lo, s0
	s_delay_alu instid0(SALU_CYCLE_1) | instskip(NEXT) | instid1(SALU_CYCLE_1)
	s_or_b32 s33, s0, s33
	s_and_not1_b32 exec_lo, exec_lo, s33
	s_cbranch_execz .LBB100_329
.LBB100_180:                            ; =>This Inner Loop Header: Depth=1
	s_clause 0x3
	global_load_b128 v[12:15], v[24:25], off
	global_load_b128 v[16:19], v[24:25], off offset:16
	global_load_b128 v[0:3], v[24:25], off offset:48
	;; [unrolled: 1-line block ×3, first 2 shown]
	s_mov_b32 s0, exec_lo
	s_waitcnt vmcnt(3)
	v_xor_b32_e32 v7, 0x80000000, v15
	s_delay_alu instid0(VALU_DEP_1) | instskip(NEXT) | instid1(VALU_DEP_1)
	v_dual_mov_b32 v6, v14 :: v_dual_and_b32 v21, 0x7fffffff, v7
	v_cmpx_gt_u32_e32 0x7ff00000, v21
	s_xor_b32 s1, exec_lo, s0
	s_cbranch_execz .LBB100_202
; %bb.181:                              ;   in Loop: Header=BB100_180 Depth=1
	v_cmp_class_f64_e64 s0, v[12:13], 0x1f8
                                        ; implicit-def: $vgpr4_vgpr5
	s_delay_alu instid0(VALU_DEP_1) | instskip(NEXT) | instid1(SALU_CYCLE_1)
	s_and_saveexec_b32 s2, s0
	s_xor_b32 s24, exec_lo, s2
	s_cbranch_execz .LBB100_199
; %bb.182:                              ;   in Loop: Header=BB100_180 Depth=1
                                        ; implicit-def: $vgpr4_vgpr5
	s_mov_b32 s0, exec_lo
	v_cmpx_gt_u32_e32 0x40360000, v21
	s_xor_b32 s12, exec_lo, s0
	s_cbranch_execz .LBB100_188
; %bb.183:                              ;   in Loop: Header=BB100_180 Depth=1
	v_cmp_ngt_f64_e64 s0, 0x41d00000, |v[12:13]|
                                        ; implicit-def: $vgpr21
                                        ; implicit-def: $vgpr4_vgpr5
                                        ; implicit-def: $vgpr6_vgpr7
	s_delay_alu instid0(VALU_DEP_1) | instskip(NEXT) | instid1(SALU_CYCLE_1)
	s_and_saveexec_b32 s2, s0
	s_xor_b32 s0, exec_lo, s2
	s_cbranch_execz .LBB100_185
; %bb.184:                              ;   in Loop: Header=BB100_180 Depth=1
	v_ldexp_f64 v[4:5], |v[12:13]|, 0xffffff80
	v_cmp_le_f64_e64 vcc_lo, 0x7b000000, |v[12:13]|
	v_trig_preop_f64 v[6:7], |v[12:13]|, 0
	v_and_b32_e32 v21, 0x7fffffff, v13
	v_trig_preop_f64 v[28:29], |v[12:13]|, 1
	v_trig_preop_f64 v[32:33], |v[12:13]|, 2
	s_mov_b32 s2, s4
	s_mov_b32 s11, s7
	v_dual_cndmask_b32 v4, v12, v4 :: v_dual_cndmask_b32 v5, v21, v5
	s_delay_alu instid0(VALU_DEP_1) | instskip(NEXT) | instid1(VALU_DEP_4)
	v_mul_f64 v[26:27], v[6:7], v[4:5]
	v_mul_f64 v[30:31], v[28:29], v[4:5]
	s_delay_alu instid0(VALU_DEP_4) | instskip(NEXT) | instid1(VALU_DEP_3)
	v_mul_f64 v[34:35], v[32:33], v[4:5]
	v_fma_f64 v[6:7], v[6:7], v[4:5], -v[26:27]
	s_delay_alu instid0(VALU_DEP_3) | instskip(NEXT) | instid1(VALU_DEP_3)
	v_fma_f64 v[28:29], v[28:29], v[4:5], -v[30:31]
	v_fma_f64 v[4:5], v[32:33], v[4:5], -v[34:35]
	s_delay_alu instid0(VALU_DEP_3) | instskip(NEXT) | instid1(VALU_DEP_1)
	v_add_f64 v[32:33], v[30:31], v[6:7]
	v_add_f64 v[36:37], v[32:33], -v[30:31]
	s_delay_alu instid0(VALU_DEP_1) | instskip(SKIP_1) | instid1(VALU_DEP_1)
	v_add_f64 v[6:7], v[6:7], -v[36:37]
	v_add_f64 v[36:37], v[32:33], -v[36:37]
	;; [unrolled: 1-line block ×3, first 2 shown]
	v_add_f64 v[36:37], v[26:27], v[32:33]
	s_delay_alu instid0(VALU_DEP_2) | instskip(NEXT) | instid1(VALU_DEP_2)
	v_add_f64 v[6:7], v[6:7], v[30:31]
	v_add_f64 v[26:27], v[36:37], -v[26:27]
	v_add_f64 v[30:31], v[34:35], v[28:29]
	v_ldexp_f64 v[36:37], v[36:37], -2
	s_delay_alu instid0(VALU_DEP_3) | instskip(NEXT) | instid1(VALU_DEP_3)
	v_add_f64 v[26:27], v[32:33], -v[26:27]
	v_add_f64 v[32:33], v[30:31], -v[34:35]
	s_delay_alu instid0(VALU_DEP_3) | instskip(SKIP_1) | instid1(VALU_DEP_3)
	v_cmp_neq_f64_e64 vcc_lo, 0x7ff00000, |v[36:37]|
	v_fract_f64_e32 v[36:37], v[36:37]
	v_add_f64 v[28:29], v[28:29], -v[32:33]
	v_add_f64 v[32:33], v[30:31], -v[32:33]
	s_delay_alu instid0(VALU_DEP_3) | instskip(NEXT) | instid1(VALU_DEP_2)
	v_dual_cndmask_b32 v36, 0, v36 :: v_dual_cndmask_b32 v37, 0, v37
	v_add_f64 v[32:33], v[34:35], -v[32:33]
	v_add_f64 v[34:35], v[30:31], v[6:7]
	s_delay_alu instid0(VALU_DEP_2) | instskip(NEXT) | instid1(VALU_DEP_2)
	v_add_f64 v[28:29], v[28:29], v[32:33]
	v_add_f64 v[38:39], v[34:35], -v[30:31]
	v_add_f64 v[32:33], v[26:27], v[34:35]
	s_delay_alu instid0(VALU_DEP_2) | instskip(SKIP_1) | instid1(VALU_DEP_3)
	v_add_f64 v[6:7], v[6:7], -v[38:39]
	v_add_f64 v[38:39], v[34:35], -v[38:39]
	v_add_f64 v[26:27], v[32:33], -v[26:27]
	s_delay_alu instid0(VALU_DEP_2) | instskip(NEXT) | instid1(VALU_DEP_2)
	v_add_f64 v[30:31], v[30:31], -v[38:39]
	v_add_f64 v[26:27], v[34:35], -v[26:27]
	s_delay_alu instid0(VALU_DEP_2) | instskip(SKIP_1) | instid1(VALU_DEP_2)
	v_add_f64 v[6:7], v[6:7], v[30:31]
	v_ldexp_f64 v[30:31], v[36:37], 2
	v_add_f64 v[6:7], v[28:29], v[6:7]
	s_delay_alu instid0(VALU_DEP_2) | instskip(NEXT) | instid1(VALU_DEP_2)
	v_add_f64 v[36:37], v[32:33], v[30:31]
	v_add_f64 v[4:5], v[4:5], v[6:7]
	s_delay_alu instid0(VALU_DEP_2) | instskip(NEXT) | instid1(VALU_DEP_2)
	v_cmp_gt_f64_e32 vcc_lo, 0, v[36:37]
	v_add_f64 v[4:5], v[26:27], v[4:5]
	v_cndmask_b32_e64 v21, 0, 0x40100000, vcc_lo
	s_delay_alu instid0(VALU_DEP_1) | instskip(NEXT) | instid1(VALU_DEP_1)
	v_add_f64 v[6:7], v[30:31], v[20:21]
	v_add_f64 v[28:29], v[32:33], v[6:7]
	s_delay_alu instid0(VALU_DEP_1) | instskip(NEXT) | instid1(VALU_DEP_1)
	v_cvt_i32_f64_e32 v30, v[28:29]
	v_cvt_f64_i32_e32 v[28:29], v30
	s_delay_alu instid0(VALU_DEP_1) | instskip(NEXT) | instid1(VALU_DEP_1)
	v_add_f64 v[6:7], v[6:7], -v[28:29]
	v_add_f64 v[26:27], v[32:33], v[6:7]
	s_delay_alu instid0(VALU_DEP_1) | instskip(SKIP_1) | instid1(VALU_DEP_2)
	v_add_f64 v[6:7], v[26:27], -v[6:7]
	v_cmp_le_f64_e32 vcc_lo, 0.5, v[26:27]
	v_add_f64 v[6:7], v[32:33], -v[6:7]
	v_cndmask_b32_e64 v21, 0, 0x3ff00000, vcc_lo
	s_delay_alu instid0(VALU_DEP_1) | instskip(SKIP_1) | instid1(VALU_DEP_4)
	v_add_f64 v[26:27], v[26:27], -v[20:21]
	v_add_co_ci_u32_e32 v21, vcc_lo, 0, v30, vcc_lo
	v_add_f64 v[4:5], v[4:5], v[6:7]
	s_delay_alu instid0(VALU_DEP_1) | instskip(NEXT) | instid1(VALU_DEP_1)
	v_add_f64 v[6:7], v[26:27], v[4:5]
	v_add_f64 v[26:27], v[6:7], -v[26:27]
	s_delay_alu instid0(VALU_DEP_1) | instskip(SKIP_1) | instid1(VALU_DEP_1)
	v_add_f64 v[4:5], v[4:5], -v[26:27]
	v_mul_f64 v[26:27], v[6:7], s[2:3]
	v_fma_f64 v[28:29], v[6:7], s[2:3], -v[26:27]
	s_delay_alu instid0(VALU_DEP_1) | instskip(NEXT) | instid1(VALU_DEP_1)
	v_fma_f64 v[6:7], v[6:7], s[10:11], v[28:29]
	v_fma_f64 v[6:7], v[4:5], s[2:3], v[6:7]
	s_delay_alu instid0(VALU_DEP_1) | instskip(NEXT) | instid1(VALU_DEP_1)
	v_add_f64 v[4:5], v[26:27], v[6:7]
	v_add_f64 v[26:27], v[4:5], -v[26:27]
	s_delay_alu instid0(VALU_DEP_1)
	v_add_f64 v[6:7], v[6:7], -v[26:27]
.LBB100_185:                            ;   in Loop: Header=BB100_180 Depth=1
	s_and_not1_saveexec_b32 s0, s0
	s_cbranch_execz .LBB100_187
; %bb.186:                              ;   in Loop: Header=BB100_180 Depth=1
	v_mul_f64 v[4:5], |v[12:13]|, s[14:15]
	s_mov_b32 s6, s16
	s_delay_alu instid0(VALU_DEP_1) | instskip(NEXT) | instid1(VALU_DEP_1)
	v_rndne_f64_e32 v[26:27], v[4:5]
	v_fma_f64 v[4:5], v[26:27], s[4:5], |v[12:13]|
	v_mul_f64 v[6:7], v[26:27], s[16:17]
	v_cvt_i32_f64_e32 v21, v[26:27]
	s_delay_alu instid0(VALU_DEP_3) | instskip(NEXT) | instid1(VALU_DEP_3)
	v_fma_f64 v[30:31], v[26:27], s[16:17], v[4:5]
	v_add_f64 v[28:29], v[4:5], v[6:7]
	s_delay_alu instid0(VALU_DEP_1) | instskip(NEXT) | instid1(VALU_DEP_3)
	v_add_f64 v[4:5], v[4:5], -v[28:29]
	v_add_f64 v[28:29], v[28:29], -v[30:31]
	s_delay_alu instid0(VALU_DEP_2) | instskip(SKIP_1) | instid1(VALU_DEP_2)
	v_add_f64 v[4:5], v[4:5], v[6:7]
	v_fma_f64 v[6:7], v[26:27], s[6:7], v[6:7]
	v_add_f64 v[4:5], v[28:29], v[4:5]
	s_delay_alu instid0(VALU_DEP_1) | instskip(NEXT) | instid1(VALU_DEP_1)
	v_add_f64 v[4:5], v[4:5], -v[6:7]
	v_fma_f64 v[6:7], v[26:27], s[18:19], v[4:5]
	s_delay_alu instid0(VALU_DEP_1) | instskip(NEXT) | instid1(VALU_DEP_1)
	v_add_f64 v[4:5], v[30:31], v[6:7]
	v_add_f64 v[28:29], v[4:5], -v[30:31]
	s_delay_alu instid0(VALU_DEP_1)
	v_add_f64 v[6:7], v[6:7], -v[28:29]
.LBB100_187:                            ;   in Loop: Header=BB100_180 Depth=1
	s_or_b32 exec_lo, exec_lo, s0
	v_add_f64 v[26:27], |v[14:15]|, s[48:49]
	s_mov_b32 s50, s48
	s_mov_b32 s54, s56
	;; [unrolled: 1-line block ×5, first 2 shown]
	v_cmp_nge_f64_e64 vcc_lo, |v[14:15]|, s[82:83]
	v_cmp_gt_f64_e64 s0, 0x3e400000, |v[14:15]|
	s_mov_b32 s26, 0xa9a29f71
	s_mov_b32 s28, 0xc751c08c
	;; [unrolled: 1-line block ×4, first 2 shown]
	s_delay_alu instid0(VALU_DEP_3) | instskip(NEXT) | instid1(VALU_DEP_1)
	v_add_f64 v[28:29], v[26:27], -|v[14:15]|
	v_add_f64 v[30:31], v[28:29], -v[26:27]
	v_add_f64 v[28:29], v[28:29], s[50:51]
	s_delay_alu instid0(VALU_DEP_2) | instskip(NEXT) | instid1(VALU_DEP_1)
	v_add_f64 v[30:31], |v[14:15]|, v[30:31]
	v_add_f64 v[28:29], v[30:31], -v[28:29]
	s_delay_alu instid0(VALU_DEP_1) | instskip(NEXT) | instid1(VALU_DEP_1)
	v_add_f64 v[28:29], v[28:29], s[52:53]
	v_add_f64 v[30:31], v[26:27], v[28:29]
	s_delay_alu instid0(VALU_DEP_1) | instskip(NEXT) | instid1(VALU_DEP_1)
	v_add_f64 v[26:27], v[26:27], -v[30:31]
	v_add_f64 v[26:27], v[28:29], v[26:27]
	v_mul_f64 v[28:29], v[30:31], s[54:55]
	s_delay_alu instid0(VALU_DEP_1) | instskip(NEXT) | instid1(VALU_DEP_1)
	v_rndne_f64_e32 v[28:29], v[28:29]
	v_fma_f64 v[30:31], v[28:29], s[102:103], v[30:31]
	v_cvt_i32_f64_e32 v12, v[28:29]
	s_delay_alu instid0(VALU_DEP_2) | instskip(NEXT) | instid1(VALU_DEP_1)
	v_add_f64 v[32:33], v[26:27], v[30:31]
	v_add_f64 v[30:31], v[30:31], -v[32:33]
	s_delay_alu instid0(VALU_DEP_1) | instskip(SKIP_1) | instid1(VALU_DEP_1)
	v_add_f64 v[26:27], v[26:27], v[30:31]
	v_mul_f64 v[30:31], v[28:29], s[58:59]
	v_add_f64 v[34:35], v[32:33], v[30:31]
	s_delay_alu instid0(VALU_DEP_1) | instskip(NEXT) | instid1(VALU_DEP_1)
	v_add_f64 v[32:33], v[32:33], -v[34:35]
	v_add_f64 v[30:31], v[32:33], v[30:31]
	s_delay_alu instid0(VALU_DEP_1) | instskip(NEXT) | instid1(VALU_DEP_1)
	v_add_f64 v[26:27], v[26:27], v[30:31]
	v_add_f64 v[30:31], v[34:35], v[26:27]
	s_delay_alu instid0(VALU_DEP_1) | instskip(NEXT) | instid1(VALU_DEP_1)
	v_add_f64 v[32:33], v[34:35], -v[30:31]
	v_add_f64 v[26:27], v[26:27], v[32:33]
	v_mul_f64 v[32:33], v[28:29], s[60:61]
	s_delay_alu instid0(VALU_DEP_1) | instskip(NEXT) | instid1(VALU_DEP_1)
	v_add_f64 v[34:35], v[30:31], v[32:33]
	v_add_f64 v[30:31], v[30:31], -v[34:35]
	s_delay_alu instid0(VALU_DEP_1) | instskip(NEXT) | instid1(VALU_DEP_1)
	v_add_f64 v[30:31], v[30:31], v[32:33]
	v_add_f64 v[26:27], v[26:27], v[30:31]
	s_delay_alu instid0(VALU_DEP_1) | instskip(NEXT) | instid1(VALU_DEP_1)
	v_add_f64 v[30:31], v[34:35], v[26:27]
	v_add_f64 v[32:33], v[34:35], -v[30:31]
	s_delay_alu instid0(VALU_DEP_1) | instskip(SKIP_1) | instid1(VALU_DEP_2)
	v_add_f64 v[26:27], v[26:27], v[32:33]
	v_mul_f64 v[32:33], v[30:31], v[30:31]
	v_add_f64 v[36:37], v[26:27], v[26:27]
	s_delay_alu instid0(VALU_DEP_2) | instskip(NEXT) | instid1(VALU_DEP_1)
	v_fma_f64 v[34:35], v[30:31], v[30:31], -v[32:33]
	v_fma_f64 v[34:35], v[30:31], v[36:37], v[34:35]
	s_delay_alu instid0(VALU_DEP_1) | instskip(NEXT) | instid1(VALU_DEP_1)
	v_add_f64 v[36:37], v[32:33], v[34:35]
	v_add_f64 v[32:33], v[36:37], -v[32:33]
	s_delay_alu instid0(VALU_DEP_1) | instskip(SKIP_1) | instid1(VALU_DEP_1)
	v_add_f64 v[32:33], v[34:35], -v[32:33]
	v_fma_f64 v[34:35], v[30:31], s[64:65], s[62:63]
	v_fma_f64 v[34:35], v[30:31], v[34:35], s[66:67]
	s_delay_alu instid0(VALU_DEP_1) | instskip(NEXT) | instid1(VALU_DEP_1)
	v_fma_f64 v[34:35], v[30:31], v[34:35], s[68:69]
	v_fma_f64 v[34:35], v[30:31], v[34:35], s[70:71]
	s_delay_alu instid0(VALU_DEP_1) | instskip(NEXT) | instid1(VALU_DEP_1)
	;; [unrolled: 3-line block ×4, first 2 shown]
	v_fma_f64 v[34:35], v[30:31], v[34:35], s[80:81]
	v_mul_f64 v[38:39], v[36:37], v[34:35]
	s_delay_alu instid0(VALU_DEP_1) | instskip(NEXT) | instid1(VALU_DEP_1)
	v_fma_f64 v[36:37], v[36:37], v[34:35], -v[38:39]
	v_fma_f64 v[32:33], v[32:33], v[34:35], v[36:37]
	s_delay_alu instid0(VALU_DEP_1) | instskip(NEXT) | instid1(VALU_DEP_1)
	v_add_f64 v[34:35], v[38:39], v[32:33]
	v_add_f64 v[36:37], v[34:35], -v[38:39]
	s_delay_alu instid0(VALU_DEP_1) | instskip(SKIP_1) | instid1(VALU_DEP_2)
	v_add_f64 v[32:33], v[32:33], -v[36:37]
	v_add_f64 v[36:37], v[30:31], v[34:35]
	v_add_f64 v[26:27], v[26:27], v[32:33]
	s_delay_alu instid0(VALU_DEP_2) | instskip(NEXT) | instid1(VALU_DEP_1)
	v_add_f64 v[30:31], v[36:37], -v[30:31]
	v_add_f64 v[30:31], v[34:35], -v[30:31]
	s_delay_alu instid0(VALU_DEP_1) | instskip(NEXT) | instid1(VALU_DEP_1)
	v_add_f64 v[26:27], v[26:27], v[30:31]
	v_add_f64 v[30:31], v[36:37], v[26:27]
	s_delay_alu instid0(VALU_DEP_1) | instskip(NEXT) | instid1(VALU_DEP_1)
	v_add_f64 v[32:33], v[30:31], -v[36:37]
	v_add_f64 v[26:27], v[26:27], -v[32:33]
	v_add_f64 v[32:33], v[30:31], 1.0
	s_delay_alu instid0(VALU_DEP_1) | instskip(NEXT) | instid1(VALU_DEP_1)
	v_add_f64 v[34:35], v[32:33], -1.0
	v_add_f64 v[30:31], v[30:31], -v[34:35]
	s_delay_alu instid0(VALU_DEP_1) | instskip(NEXT) | instid1(VALU_DEP_1)
	v_add_f64 v[26:27], v[26:27], v[30:31]
	v_add_f64 v[28:29], v[32:33], v[26:27]
	s_delay_alu instid0(VALU_DEP_1) | instskip(SKIP_1) | instid1(VALU_DEP_2)
	v_add_f64 v[30:31], v[28:29], -v[32:33]
	v_ldexp_f64 v[28:29], v[28:29], v12
	v_add_f64 v[26:27], v[26:27], -v[30:31]
	s_delay_alu instid0(VALU_DEP_2) | instskip(NEXT) | instid1(VALU_DEP_1)
	v_rcp_f64_e32 v[32:33], v[28:29]
	v_ldexp_f64 v[26:27], v[26:27], v12
	v_and_b32_e32 v12, 0x7fffffff, v15
	v_xor_b32_e32 v15, 0x80000000, v15
	s_waitcnt_depctr 0xfff
	v_fma_f64 v[34:35], -v[28:29], v[32:33], 1.0
	s_delay_alu instid0(VALU_DEP_1) | instskip(NEXT) | instid1(VALU_DEP_1)
	v_fma_f64 v[32:33], v[34:35], v[32:33], v[32:33]
	v_fma_f64 v[30:31], -v[28:29], v[32:33], 1.0
	s_delay_alu instid0(VALU_DEP_1) | instskip(NEXT) | instid1(VALU_DEP_1)
	v_fma_f64 v[30:31], v[30:31], v[32:33], v[32:33]
	v_mul_f64 v[32:33], v[28:29], v[30:31]
	s_delay_alu instid0(VALU_DEP_1) | instskip(NEXT) | instid1(VALU_DEP_1)
	v_fma_f64 v[34:35], v[30:31], v[28:29], -v[32:33]
	v_fma_f64 v[34:35], v[30:31], v[26:27], v[34:35]
	s_delay_alu instid0(VALU_DEP_1) | instskip(NEXT) | instid1(VALU_DEP_1)
	v_add_f64 v[36:37], v[32:33], v[34:35]
	v_add_f64 v[32:33], v[36:37], -v[32:33]
	s_delay_alu instid0(VALU_DEP_1) | instskip(SKIP_1) | instid1(VALU_DEP_1)
	v_add_f64 v[32:33], v[32:33], -v[34:35]
	v_add_f64 v[34:35], -v[36:37], 1.0
	v_add_f64 v[38:39], -v[34:35], 1.0
	s_delay_alu instid0(VALU_DEP_1) | instskip(NEXT) | instid1(VALU_DEP_1)
	v_add_f64 v[36:37], v[38:39], -v[36:37]
	v_add_f64 v[32:33], v[32:33], v[36:37]
	s_delay_alu instid0(VALU_DEP_1) | instskip(NEXT) | instid1(VALU_DEP_1)
	v_add_f64 v[36:37], v[34:35], v[32:33]
	v_add_f64 v[34:35], v[34:35], -v[36:37]
	s_delay_alu instid0(VALU_DEP_1) | instskip(SKIP_1) | instid1(VALU_DEP_1)
	v_add_f64 v[32:33], v[32:33], v[34:35]
	v_mul_f64 v[34:35], v[30:31], v[36:37]
	v_mul_f64 v[38:39], v[28:29], v[34:35]
	s_delay_alu instid0(VALU_DEP_1) | instskip(NEXT) | instid1(VALU_DEP_1)
	v_fma_f64 v[40:41], v[34:35], v[28:29], -v[38:39]
	v_fma_f64 v[40:41], v[34:35], v[26:27], v[40:41]
	s_delay_alu instid0(VALU_DEP_1) | instskip(NEXT) | instid1(VALU_DEP_1)
	v_add_f64 v[42:43], v[38:39], v[40:41]
	v_add_f64 v[44:45], v[36:37], -v[42:43]
	v_add_f64 v[38:39], v[42:43], -v[38:39]
	s_delay_alu instid0(VALU_DEP_2) | instskip(NEXT) | instid1(VALU_DEP_2)
	v_add_f64 v[36:37], v[36:37], -v[44:45]
	v_add_f64 v[38:39], v[38:39], -v[40:41]
	s_delay_alu instid0(VALU_DEP_2) | instskip(NEXT) | instid1(VALU_DEP_1)
	v_add_f64 v[36:37], v[36:37], -v[42:43]
	v_add_f64 v[32:33], v[32:33], v[36:37]
	v_add_f64 v[36:37], v[30:31], v[34:35]
	s_delay_alu instid0(VALU_DEP_2) | instskip(NEXT) | instid1(VALU_DEP_2)
	v_add_f64 v[32:33], v[38:39], v[32:33]
	v_add_f64 v[38:39], v[36:37], -v[30:31]
	s_delay_alu instid0(VALU_DEP_2) | instskip(NEXT) | instid1(VALU_DEP_2)
	v_add_f64 v[32:33], v[44:45], v[32:33]
	v_add_f64 v[34:35], v[34:35], -v[38:39]
	s_delay_alu instid0(VALU_DEP_2) | instskip(NEXT) | instid1(VALU_DEP_1)
	v_mul_f64 v[30:31], v[30:31], v[32:33]
	v_add_f64 v[30:31], v[34:35], v[30:31]
	s_delay_alu instid0(VALU_DEP_1) | instskip(NEXT) | instid1(VALU_DEP_1)
	v_add_f64 v[32:33], v[36:37], v[30:31]
	v_add_f64 v[34:35], v[32:33], -v[36:37]
	v_ldexp_f64 v[32:33], v[32:33], -2
	s_delay_alu instid0(VALU_DEP_2) | instskip(NEXT) | instid1(VALU_DEP_2)
	v_add_f64 v[30:31], v[30:31], -v[34:35]
	v_add_f64 v[36:37], v[28:29], -v[32:33]
	s_delay_alu instid0(VALU_DEP_1) | instskip(NEXT) | instid1(VALU_DEP_1)
	v_add_f64 v[28:29], v[28:29], -v[36:37]
	v_add_f64 v[28:29], v[28:29], -v[32:33]
	s_delay_alu instid0(VALU_DEP_1) | instskip(SKIP_1) | instid1(VALU_DEP_1)
	v_add_f64 v[26:27], v[26:27], v[28:29]
	v_ldexp_f64 v[28:29], v[30:31], -2
	v_add_f64 v[26:27], v[26:27], -v[28:29]
	s_delay_alu instid0(VALU_DEP_1) | instskip(SKIP_1) | instid1(VALU_DEP_2)
	v_add_f64 v[26:27], v[36:37], v[26:27]
	v_and_b32_e32 v36, 0x80000000, v13
	v_cndmask_b32_e32 v27, 0x7ff00000, v27, vcc_lo
	s_delay_alu instid0(VALU_DEP_3) | instskip(NEXT) | instid1(VALU_DEP_2)
	v_cndmask_b32_e32 v26, 0, v26, vcc_lo
	v_cndmask_b32_e64 v12, v27, v12, s0
	s_delay_alu instid0(VALU_DEP_2) | instskip(NEXT) | instid1(VALU_DEP_2)
	v_cndmask_b32_e64 v14, v26, v14, s0
	v_bfi_b32 v15, 0x7fffffff, v12, v15
	s_delay_alu instid0(VALU_DEP_1) | instskip(NEXT) | instid1(VALU_DEP_1)
	v_fma_f64 v[26:27], v[14:15], v[14:15], 1.0
	v_cmp_gt_f64_e32 vcc_lo, 0x10000000, v[26:27]
	v_cndmask_b32_e64 v12, 0, 1, vcc_lo
	s_delay_alu instid0(VALU_DEP_1) | instskip(NEXT) | instid1(VALU_DEP_1)
	v_lshlrev_b32_e32 v12, 8, v12
	v_ldexp_f64 v[26:27], v[26:27], v12
	v_mul_f64 v[12:13], v[4:5], v[4:5]
	s_delay_alu instid0(VALU_DEP_2) | instskip(SKIP_3) | instid1(VALU_DEP_1)
	v_rsq_f64_e32 v[28:29], v[26:27]
	s_waitcnt_depctr 0xfff
	v_mul_f64 v[30:31], v[26:27], v[28:29]
	v_mul_f64 v[28:29], v[28:29], 0.5
	v_fma_f64 v[32:33], -v[28:29], v[30:31], 0.5
	s_delay_alu instid0(VALU_DEP_1) | instskip(SKIP_1) | instid1(VALU_DEP_2)
	v_fma_f64 v[30:31], v[30:31], v[32:33], v[30:31]
	v_fma_f64 v[28:29], v[28:29], v[32:33], v[28:29]
	v_fma_f64 v[32:33], -v[30:31], v[30:31], v[26:27]
	s_delay_alu instid0(VALU_DEP_1) | instskip(NEXT) | instid1(VALU_DEP_1)
	v_fma_f64 v[30:31], v[32:33], v[28:29], v[30:31]
	v_fma_f64 v[32:33], -v[30:31], v[30:31], v[26:27]
	s_delay_alu instid0(VALU_DEP_1) | instskip(SKIP_2) | instid1(VALU_DEP_1)
	v_fma_f64 v[28:29], v[32:33], v[28:29], v[30:31]
	v_add_f64 v[30:31], v[6:7], v[6:7]
	v_fma_f64 v[32:33], v[4:5], v[4:5], -v[12:13]
	v_fma_f64 v[30:31], v[4:5], v[30:31], v[32:33]
	s_delay_alu instid0(VALU_DEP_1) | instskip(NEXT) | instid1(VALU_DEP_1)
	v_add_f64 v[12:13], v[12:13], v[30:31]
	v_fma_f64 v[30:31], v[12:13], s[28:29], s[26:27]
	s_mov_b32 s26, 0x90a8aae0
	s_mov_b32 s27, 0x3f17746f
	s_delay_alu instid0(VALU_DEP_1) | instid1(SALU_CYCLE_1)
	v_fma_f64 v[30:31], v[12:13], v[30:31], s[26:27]
	s_mov_b32 s26, 0xa6fbf144
	s_mov_b32 s27, 0xbefbb44d
	s_delay_alu instid0(VALU_DEP_1) | instid1(SALU_CYCLE_1)
	;; [unrolled: 4-line block ×4, first 2 shown]
	v_fma_f64 v[30:31], v[12:13], v[30:31], s[26:27]
	s_delay_alu instid0(VALU_DEP_1) | instskip(NEXT) | instid1(VALU_DEP_1)
	v_fma_f64 v[30:31], v[12:13], v[30:31], s[30:31]
	v_fma_f64 v[30:31], v[12:13], v[30:31], s[34:35]
	s_delay_alu instid0(VALU_DEP_1) | instskip(NEXT) | instid1(VALU_DEP_1)
	v_fma_f64 v[30:31], v[12:13], v[30:31], s[36:37]
	;; [unrolled: 3-line block ×4, first 2 shown]
	v_fma_f64 v[30:31], v[12:13], v[30:31], s[46:47]
	s_delay_alu instid0(VALU_DEP_1) | instskip(NEXT) | instid1(VALU_DEP_1)
	v_mul_f64 v[12:13], v[12:13], v[30:31]
	v_mul_f64 v[30:31], v[4:5], v[12:13]
	s_delay_alu instid0(VALU_DEP_1) | instskip(NEXT) | instid1(VALU_DEP_1)
	v_fma_f64 v[12:13], v[4:5], v[12:13], -v[30:31]
	v_add_f64 v[6:7], v[6:7], v[12:13]
	v_add_f64 v[12:13], v[4:5], v[30:31]
	s_delay_alu instid0(VALU_DEP_1) | instskip(NEXT) | instid1(VALU_DEP_1)
	v_add_f64 v[4:5], v[12:13], -v[4:5]
	v_add_f64 v[4:5], v[30:31], -v[4:5]
	s_delay_alu instid0(VALU_DEP_1) | instskip(NEXT) | instid1(VALU_DEP_1)
	v_add_f64 v[4:5], v[6:7], v[4:5]
	v_add_f64 v[6:7], v[12:13], v[4:5]
	s_delay_alu instid0(VALU_DEP_1) | instskip(SKIP_1) | instid1(VALU_DEP_1)
	v_rcp_f64_e32 v[30:31], v[6:7]
	v_add_f64 v[12:13], v[6:7], -v[12:13]
	v_add_f64 v[4:5], v[4:5], -v[12:13]
	s_waitcnt_depctr 0xfff
	v_fma_f64 v[32:33], -v[6:7], v[30:31], 1.0
	s_delay_alu instid0(VALU_DEP_1) | instskip(NEXT) | instid1(VALU_DEP_1)
	v_fma_f64 v[30:31], v[32:33], v[30:31], v[30:31]
	v_fma_f64 v[32:33], -v[6:7], v[30:31], 1.0
	s_delay_alu instid0(VALU_DEP_1) | instskip(NEXT) | instid1(VALU_DEP_1)
	v_fma_f64 v[30:31], v[32:33], v[30:31], v[30:31]
	v_mul_f64 v[12:13], v[6:7], v[30:31]
	s_delay_alu instid0(VALU_DEP_1) | instskip(NEXT) | instid1(VALU_DEP_1)
	v_fma_f64 v[32:33], v[30:31], v[6:7], -v[12:13]
	v_fma_f64 v[4:5], v[30:31], v[4:5], v[32:33]
	s_delay_alu instid0(VALU_DEP_1) | instskip(NEXT) | instid1(VALU_DEP_1)
	v_add_f64 v[32:33], v[12:13], v[4:5]
	v_add_f64 v[12:13], v[32:33], -v[12:13]
	s_delay_alu instid0(VALU_DEP_1) | instskip(SKIP_1) | instid1(VALU_DEP_1)
	v_add_f64 v[4:5], v[12:13], -v[4:5]
	v_add_f64 v[12:13], -v[32:33], 1.0
	v_add_f64 v[34:35], -v[12:13], 1.0
	s_delay_alu instid0(VALU_DEP_1) | instskip(NEXT) | instid1(VALU_DEP_1)
	v_add_f64 v[32:33], v[34:35], -v[32:33]
	v_add_f64 v[4:5], v[4:5], v[32:33]
	s_delay_alu instid0(VALU_DEP_1) | instskip(SKIP_1) | instid1(VALU_DEP_1)
	v_add_f64 v[4:5], v[12:13], v[4:5]
	v_and_b32_e32 v12, 1, v21
	v_cmp_eq_u32_e64 s0, 0, v12
	s_delay_alu instid0(VALU_DEP_3) | instskip(NEXT) | instid1(VALU_DEP_1)
	v_mul_f64 v[4:5], v[30:31], v[4:5]
	v_add_f64 v[4:5], v[30:31], v[4:5]
	s_delay_alu instid0(VALU_DEP_1) | instskip(NEXT) | instid1(VALU_DEP_2)
	v_xor_b32_e32 v5, 0x80000000, v5
	v_cndmask_b32_e64 v4, v4, v6, s0
	s_delay_alu instid0(VALU_DEP_2) | instskip(SKIP_2) | instid1(VALU_DEP_3)
	v_cndmask_b32_e64 v5, v5, v7, s0
	v_cndmask_b32_e64 v7, 0, 0xffffff80, vcc_lo
	v_cmp_class_f64_e64 vcc_lo, v[26:27], 0x260
	v_xor_b32_e32 v5, v5, v36
	s_delay_alu instid0(VALU_DEP_3) | instskip(NEXT) | instid1(VALU_DEP_2)
	v_ldexp_f64 v[6:7], v[28:29], v7
	v_fma_f64 v[12:13], v[4:5], v[4:5], 1.0
	s_delay_alu instid0(VALU_DEP_2) | instskip(NEXT) | instid1(VALU_DEP_2)
	v_dual_cndmask_b32 v7, v7, v27 :: v_dual_cndmask_b32 v6, v6, v26
	v_mul_f64 v[26:27], v[14:15], v[12:13]
	s_delay_alu instid0(VALU_DEP_2) | instskip(NEXT) | instid1(VALU_DEP_2)
	v_mul_f64 v[6:7], v[6:7], v[12:13]
	v_fma_f64 v[12:13], v[14:15], v[26:27], 1.0
	s_delay_alu instid0(VALU_DEP_2) | instskip(NEXT) | instid1(VALU_DEP_1)
	v_mul_f64 v[6:7], v[14:15], v[6:7]
	v_div_scale_f64 v[14:15], null, v[12:13], v[12:13], v[6:7]
	s_delay_alu instid0(VALU_DEP_1) | instskip(SKIP_2) | instid1(VALU_DEP_1)
	v_rcp_f64_e32 v[26:27], v[14:15]
	s_waitcnt_depctr 0xfff
	v_fma_f64 v[28:29], -v[14:15], v[26:27], 1.0
	v_fma_f64 v[26:27], v[26:27], v[28:29], v[26:27]
	s_delay_alu instid0(VALU_DEP_1) | instskip(NEXT) | instid1(VALU_DEP_1)
	v_fma_f64 v[28:29], -v[14:15], v[26:27], 1.0
	v_fma_f64 v[26:27], v[26:27], v[28:29], v[26:27]
	v_div_scale_f64 v[28:29], vcc_lo, v[6:7], v[12:13], v[6:7]
	s_delay_alu instid0(VALU_DEP_1) | instskip(NEXT) | instid1(VALU_DEP_1)
	v_mul_f64 v[30:31], v[28:29], v[26:27]
	v_fma_f64 v[14:15], -v[14:15], v[30:31], v[28:29]
	s_delay_alu instid0(VALU_DEP_1) | instskip(SKIP_1) | instid1(VALU_DEP_2)
	v_div_fmas_f64 v[14:15], v[14:15], v[26:27], v[30:31]
	v_div_scale_f64 v[26:27], null, v[12:13], v[12:13], v[4:5]
	v_div_fixup_f64 v[6:7], v[14:15], v[12:13], v[6:7]
	s_delay_alu instid0(VALU_DEP_2) | instskip(SKIP_2) | instid1(VALU_DEP_1)
	v_rcp_f64_e32 v[28:29], v[26:27]
	s_waitcnt_depctr 0xfff
	v_fma_f64 v[30:31], -v[26:27], v[28:29], 1.0
	v_fma_f64 v[28:29], v[28:29], v[30:31], v[28:29]
	s_delay_alu instid0(VALU_DEP_1) | instskip(NEXT) | instid1(VALU_DEP_1)
	v_fma_f64 v[30:31], -v[26:27], v[28:29], 1.0
	v_fma_f64 v[28:29], v[28:29], v[30:31], v[28:29]
	v_div_scale_f64 v[30:31], vcc_lo, v[4:5], v[12:13], v[4:5]
	s_delay_alu instid0(VALU_DEP_1) | instskip(NEXT) | instid1(VALU_DEP_1)
	v_mul_f64 v[32:33], v[30:31], v[28:29]
	v_fma_f64 v[26:27], -v[26:27], v[32:33], v[30:31]
	s_delay_alu instid0(VALU_DEP_1) | instskip(NEXT) | instid1(VALU_DEP_1)
	v_div_fmas_f64 v[26:27], v[26:27], v[28:29], v[32:33]
	v_div_fixup_f64 v[4:5], v[26:27], v[12:13], v[4:5]
                                        ; implicit-def: $vgpr12_vgpr13
.LBB100_188:                            ;   in Loop: Header=BB100_180 Depth=1
	s_and_not1_saveexec_b32 s0, s12
	s_cbranch_execz .LBB100_191
; %bb.189:                              ;   in Loop: Header=BB100_180 Depth=1
	v_cmp_ngt_f64_e64 s12, 0x41d00000, |v[12:13]|
                                        ; implicit-def: $vgpr30
                                        ; implicit-def: $vgpr4_vgpr5
                                        ; implicit-def: $vgpr6_vgpr7
	s_delay_alu instid0(VALU_DEP_1) | instskip(NEXT) | instid1(SALU_CYCLE_1)
	s_and_saveexec_b32 s2, s12
	s_xor_b32 s6, exec_lo, s2
	s_cbranch_execz .LBB100_192
; %bb.190:                              ;   in Loop: Header=BB100_180 Depth=1
	v_ldexp_f64 v[4:5], |v[12:13]|, 0xffffff80
	v_cmp_le_f64_e64 vcc_lo, 0x7b000000, |v[12:13]|
	v_trig_preop_f64 v[6:7], |v[12:13]|, 0
	v_and_b32_e32 v21, 0x7fffffff, v13
	v_trig_preop_f64 v[28:29], |v[12:13]|, 1
	v_trig_preop_f64 v[32:33], |v[12:13]|, 2
	s_mov_b32 s2, s4
	s_mov_b32 s11, s7
	v_dual_cndmask_b32 v4, v12, v4 :: v_dual_cndmask_b32 v5, v21, v5
	s_delay_alu instid0(VALU_DEP_1) | instskip(NEXT) | instid1(VALU_DEP_4)
	v_mul_f64 v[26:27], v[6:7], v[4:5]
	v_mul_f64 v[30:31], v[28:29], v[4:5]
	s_delay_alu instid0(VALU_DEP_4) | instskip(NEXT) | instid1(VALU_DEP_3)
	v_mul_f64 v[34:35], v[32:33], v[4:5]
	v_fma_f64 v[6:7], v[6:7], v[4:5], -v[26:27]
	s_delay_alu instid0(VALU_DEP_3) | instskip(NEXT) | instid1(VALU_DEP_3)
	v_fma_f64 v[28:29], v[28:29], v[4:5], -v[30:31]
	v_fma_f64 v[4:5], v[32:33], v[4:5], -v[34:35]
	s_delay_alu instid0(VALU_DEP_3) | instskip(NEXT) | instid1(VALU_DEP_1)
	v_add_f64 v[32:33], v[30:31], v[6:7]
	v_add_f64 v[36:37], v[32:33], -v[30:31]
	s_delay_alu instid0(VALU_DEP_1) | instskip(SKIP_1) | instid1(VALU_DEP_1)
	v_add_f64 v[6:7], v[6:7], -v[36:37]
	v_add_f64 v[36:37], v[32:33], -v[36:37]
	;; [unrolled: 1-line block ×3, first 2 shown]
	v_add_f64 v[36:37], v[26:27], v[32:33]
	s_delay_alu instid0(VALU_DEP_2) | instskip(NEXT) | instid1(VALU_DEP_2)
	v_add_f64 v[6:7], v[6:7], v[30:31]
	v_add_f64 v[26:27], v[36:37], -v[26:27]
	v_add_f64 v[30:31], v[34:35], v[28:29]
	v_ldexp_f64 v[36:37], v[36:37], -2
	s_delay_alu instid0(VALU_DEP_3) | instskip(NEXT) | instid1(VALU_DEP_3)
	v_add_f64 v[26:27], v[32:33], -v[26:27]
	v_add_f64 v[32:33], v[30:31], -v[34:35]
	s_delay_alu instid0(VALU_DEP_3) | instskip(SKIP_1) | instid1(VALU_DEP_3)
	v_cmp_neq_f64_e64 vcc_lo, 0x7ff00000, |v[36:37]|
	v_fract_f64_e32 v[36:37], v[36:37]
	v_add_f64 v[28:29], v[28:29], -v[32:33]
	v_add_f64 v[32:33], v[30:31], -v[32:33]
	s_delay_alu instid0(VALU_DEP_3) | instskip(NEXT) | instid1(VALU_DEP_2)
	v_dual_cndmask_b32 v36, 0, v36 :: v_dual_cndmask_b32 v37, 0, v37
	v_add_f64 v[32:33], v[34:35], -v[32:33]
	v_add_f64 v[34:35], v[30:31], v[6:7]
	s_delay_alu instid0(VALU_DEP_2) | instskip(NEXT) | instid1(VALU_DEP_2)
	v_add_f64 v[28:29], v[28:29], v[32:33]
	v_add_f64 v[38:39], v[34:35], -v[30:31]
	v_add_f64 v[32:33], v[26:27], v[34:35]
	s_delay_alu instid0(VALU_DEP_2) | instskip(SKIP_1) | instid1(VALU_DEP_3)
	v_add_f64 v[6:7], v[6:7], -v[38:39]
	v_add_f64 v[38:39], v[34:35], -v[38:39]
	;; [unrolled: 1-line block ×3, first 2 shown]
	s_delay_alu instid0(VALU_DEP_2) | instskip(NEXT) | instid1(VALU_DEP_2)
	v_add_f64 v[30:31], v[30:31], -v[38:39]
	v_add_f64 v[26:27], v[34:35], -v[26:27]
	s_delay_alu instid0(VALU_DEP_2) | instskip(SKIP_1) | instid1(VALU_DEP_2)
	v_add_f64 v[6:7], v[6:7], v[30:31]
	v_ldexp_f64 v[30:31], v[36:37], 2
	v_add_f64 v[6:7], v[28:29], v[6:7]
	s_delay_alu instid0(VALU_DEP_2) | instskip(NEXT) | instid1(VALU_DEP_2)
	v_add_f64 v[36:37], v[32:33], v[30:31]
	v_add_f64 v[4:5], v[4:5], v[6:7]
	s_delay_alu instid0(VALU_DEP_2) | instskip(NEXT) | instid1(VALU_DEP_2)
	v_cmp_gt_f64_e32 vcc_lo, 0, v[36:37]
	v_add_f64 v[4:5], v[26:27], v[4:5]
	v_cndmask_b32_e64 v21, 0, 0x40100000, vcc_lo
	s_delay_alu instid0(VALU_DEP_1) | instskip(NEXT) | instid1(VALU_DEP_1)
	v_add_f64 v[6:7], v[30:31], v[20:21]
	v_add_f64 v[28:29], v[32:33], v[6:7]
	s_delay_alu instid0(VALU_DEP_1) | instskip(NEXT) | instid1(VALU_DEP_1)
	v_cvt_i32_f64_e32 v30, v[28:29]
	v_cvt_f64_i32_e32 v[28:29], v30
	s_delay_alu instid0(VALU_DEP_1) | instskip(NEXT) | instid1(VALU_DEP_1)
	v_add_f64 v[6:7], v[6:7], -v[28:29]
	v_add_f64 v[26:27], v[32:33], v[6:7]
	s_delay_alu instid0(VALU_DEP_1) | instskip(SKIP_1) | instid1(VALU_DEP_2)
	v_add_f64 v[6:7], v[26:27], -v[6:7]
	v_cmp_le_f64_e32 vcc_lo, 0.5, v[26:27]
	v_add_f64 v[6:7], v[32:33], -v[6:7]
	v_cndmask_b32_e64 v21, 0, 0x3ff00000, vcc_lo
	v_add_co_ci_u32_e32 v30, vcc_lo, 0, v30, vcc_lo
	s_delay_alu instid0(VALU_DEP_2) | instskip(NEXT) | instid1(VALU_DEP_4)
	v_add_f64 v[26:27], v[26:27], -v[20:21]
	v_add_f64 v[4:5], v[4:5], v[6:7]
	s_delay_alu instid0(VALU_DEP_1) | instskip(NEXT) | instid1(VALU_DEP_1)
	v_add_f64 v[6:7], v[26:27], v[4:5]
	v_add_f64 v[26:27], v[6:7], -v[26:27]
	s_delay_alu instid0(VALU_DEP_1) | instskip(SKIP_1) | instid1(VALU_DEP_1)
	v_add_f64 v[4:5], v[4:5], -v[26:27]
	v_mul_f64 v[26:27], v[6:7], s[2:3]
	v_fma_f64 v[28:29], v[6:7], s[2:3], -v[26:27]
	s_delay_alu instid0(VALU_DEP_1) | instskip(NEXT) | instid1(VALU_DEP_1)
	v_fma_f64 v[6:7], v[6:7], s[10:11], v[28:29]
	v_fma_f64 v[6:7], v[4:5], s[2:3], v[6:7]
	s_delay_alu instid0(VALU_DEP_1) | instskip(NEXT) | instid1(VALU_DEP_1)
	v_add_f64 v[4:5], v[26:27], v[6:7]
	v_add_f64 v[26:27], v[4:5], -v[26:27]
	s_delay_alu instid0(VALU_DEP_1)
	v_add_f64 v[6:7], v[6:7], -v[26:27]
	s_and_not1_saveexec_b32 s2, s6
	s_cbranch_execz .LBB100_194
	s_branch .LBB100_193
.LBB100_191:                            ;   in Loop: Header=BB100_180 Depth=1
	s_or_b32 exec_lo, exec_lo, s0
                                        ; implicit-def: $vgpr12_vgpr13
	s_and_not1_saveexec_b32 s0, s24
	s_cbranch_execnz .LBB100_200
	s_branch .LBB100_201
.LBB100_192:                            ;   in Loop: Header=BB100_180 Depth=1
	s_and_not1_saveexec_b32 s2, s6
	s_cbranch_execz .LBB100_194
.LBB100_193:                            ;   in Loop: Header=BB100_180 Depth=1
	v_mul_f64 v[4:5], |v[12:13]|, s[14:15]
	s_mov_b32 s6, s16
	s_delay_alu instid0(VALU_DEP_1) | instskip(NEXT) | instid1(VALU_DEP_1)
	v_rndne_f64_e32 v[26:27], v[4:5]
	v_fma_f64 v[4:5], v[26:27], s[4:5], |v[12:13]|
	v_mul_f64 v[6:7], v[26:27], s[16:17]
	s_delay_alu instid0(VALU_DEP_2) | instskip(NEXT) | instid1(VALU_DEP_2)
	v_fma_f64 v[30:31], v[26:27], s[16:17], v[4:5]
	v_add_f64 v[28:29], v[4:5], v[6:7]
	s_delay_alu instid0(VALU_DEP_1) | instskip(NEXT) | instid1(VALU_DEP_3)
	v_add_f64 v[4:5], v[4:5], -v[28:29]
	v_add_f64 v[28:29], v[28:29], -v[30:31]
	s_delay_alu instid0(VALU_DEP_2) | instskip(SKIP_1) | instid1(VALU_DEP_2)
	v_add_f64 v[4:5], v[4:5], v[6:7]
	v_fma_f64 v[6:7], v[26:27], s[6:7], v[6:7]
	v_add_f64 v[4:5], v[28:29], v[4:5]
	s_delay_alu instid0(VALU_DEP_1) | instskip(NEXT) | instid1(VALU_DEP_1)
	v_add_f64 v[4:5], v[4:5], -v[6:7]
	v_fma_f64 v[6:7], v[26:27], s[18:19], v[4:5]
	s_delay_alu instid0(VALU_DEP_1) | instskip(NEXT) | instid1(VALU_DEP_1)
	v_add_f64 v[4:5], v[30:31], v[6:7]
	v_add_f64 v[28:29], v[4:5], -v[30:31]
	v_cvt_i32_f64_e32 v30, v[26:27]
	s_delay_alu instid0(VALU_DEP_2)
	v_add_f64 v[6:7], v[6:7], -v[28:29]
.LBB100_194:                            ;   in Loop: Header=BB100_180 Depth=1
	s_or_b32 exec_lo, exec_lo, s2
                                        ; implicit-def: $vgpr21
                                        ; implicit-def: $vgpr26_vgpr27
                                        ; implicit-def: $vgpr28_vgpr29
	s_and_saveexec_b32 s2, s12
	s_delay_alu instid0(SALU_CYCLE_1)
	s_xor_b32 s6, exec_lo, s2
	s_cbranch_execz .LBB100_196
; %bb.195:                              ;   in Loop: Header=BB100_180 Depth=1
	v_ldexp_f64 v[26:27], |v[12:13]|, 0xffffff80
	v_cmp_le_f64_e64 vcc_lo, 0x7b000000, |v[12:13]|
	v_trig_preop_f64 v[28:29], |v[12:13]|, 0
	v_and_b32_e32 v21, 0x7fffffff, v13
	v_trig_preop_f64 v[33:34], |v[12:13]|, 1
	v_trig_preop_f64 v[37:38], |v[12:13]|, 2
	s_mov_b32 s2, s4
	s_mov_b32 s11, s7
	v_dual_cndmask_b32 v26, v12, v26 :: v_dual_cndmask_b32 v27, v21, v27
	s_delay_alu instid0(VALU_DEP_1) | instskip(NEXT) | instid1(VALU_DEP_4)
	v_mul_f64 v[31:32], v[28:29], v[26:27]
	v_mul_f64 v[35:36], v[33:34], v[26:27]
	s_delay_alu instid0(VALU_DEP_4) | instskip(NEXT) | instid1(VALU_DEP_3)
	v_mul_f64 v[39:40], v[37:38], v[26:27]
	v_fma_f64 v[28:29], v[28:29], v[26:27], -v[31:32]
	s_delay_alu instid0(VALU_DEP_3) | instskip(NEXT) | instid1(VALU_DEP_3)
	v_fma_f64 v[33:34], v[33:34], v[26:27], -v[35:36]
	v_fma_f64 v[26:27], v[37:38], v[26:27], -v[39:40]
	s_delay_alu instid0(VALU_DEP_3) | instskip(NEXT) | instid1(VALU_DEP_1)
	v_add_f64 v[37:38], v[35:36], v[28:29]
	v_add_f64 v[41:42], v[37:38], -v[35:36]
	s_delay_alu instid0(VALU_DEP_1) | instskip(SKIP_1) | instid1(VALU_DEP_1)
	v_add_f64 v[28:29], v[28:29], -v[41:42]
	v_add_f64 v[41:42], v[37:38], -v[41:42]
	;; [unrolled: 1-line block ×3, first 2 shown]
	v_add_f64 v[41:42], v[31:32], v[37:38]
	s_delay_alu instid0(VALU_DEP_2) | instskip(NEXT) | instid1(VALU_DEP_2)
	v_add_f64 v[28:29], v[28:29], v[35:36]
	v_add_f64 v[31:32], v[41:42], -v[31:32]
	v_add_f64 v[35:36], v[39:40], v[33:34]
	v_ldexp_f64 v[41:42], v[41:42], -2
	s_delay_alu instid0(VALU_DEP_3) | instskip(NEXT) | instid1(VALU_DEP_3)
	v_add_f64 v[31:32], v[37:38], -v[31:32]
	v_add_f64 v[37:38], v[35:36], -v[39:40]
	s_delay_alu instid0(VALU_DEP_3) | instskip(SKIP_1) | instid1(VALU_DEP_3)
	v_cmp_neq_f64_e64 vcc_lo, 0x7ff00000, |v[41:42]|
	v_fract_f64_e32 v[41:42], v[41:42]
	v_add_f64 v[33:34], v[33:34], -v[37:38]
	v_add_f64 v[37:38], v[35:36], -v[37:38]
	s_delay_alu instid0(VALU_DEP_3) | instskip(NEXT) | instid1(VALU_DEP_2)
	v_dual_cndmask_b32 v42, 0, v42 :: v_dual_cndmask_b32 v41, 0, v41
	v_add_f64 v[37:38], v[39:40], -v[37:38]
	v_add_f64 v[39:40], v[35:36], v[28:29]
	s_delay_alu instid0(VALU_DEP_2) | instskip(NEXT) | instid1(VALU_DEP_2)
	v_add_f64 v[33:34], v[33:34], v[37:38]
	v_add_f64 v[43:44], v[39:40], -v[35:36]
	v_add_f64 v[37:38], v[31:32], v[39:40]
	s_delay_alu instid0(VALU_DEP_2) | instskip(SKIP_1) | instid1(VALU_DEP_3)
	v_add_f64 v[28:29], v[28:29], -v[43:44]
	v_add_f64 v[43:44], v[39:40], -v[43:44]
	;; [unrolled: 1-line block ×3, first 2 shown]
	s_delay_alu instid0(VALU_DEP_2) | instskip(NEXT) | instid1(VALU_DEP_2)
	v_add_f64 v[35:36], v[35:36], -v[43:44]
	v_add_f64 v[31:32], v[39:40], -v[31:32]
	s_delay_alu instid0(VALU_DEP_2) | instskip(SKIP_1) | instid1(VALU_DEP_2)
	v_add_f64 v[28:29], v[28:29], v[35:36]
	v_ldexp_f64 v[35:36], v[41:42], 2
	v_add_f64 v[28:29], v[33:34], v[28:29]
	s_delay_alu instid0(VALU_DEP_2) | instskip(NEXT) | instid1(VALU_DEP_2)
	v_add_f64 v[41:42], v[37:38], v[35:36]
	v_add_f64 v[26:27], v[26:27], v[28:29]
	s_delay_alu instid0(VALU_DEP_2) | instskip(NEXT) | instid1(VALU_DEP_2)
	v_cmp_gt_f64_e32 vcc_lo, 0, v[41:42]
	v_add_f64 v[26:27], v[31:32], v[26:27]
	v_cndmask_b32_e64 v21, 0, 0x40100000, vcc_lo
	s_delay_alu instid0(VALU_DEP_1) | instskip(NEXT) | instid1(VALU_DEP_1)
	v_add_f64 v[28:29], v[35:36], v[20:21]
	v_add_f64 v[33:34], v[37:38], v[28:29]
	s_delay_alu instid0(VALU_DEP_1) | instskip(NEXT) | instid1(VALU_DEP_1)
	v_cvt_i32_f64_e32 v35, v[33:34]
	v_cvt_f64_i32_e32 v[33:34], v35
	s_delay_alu instid0(VALU_DEP_1) | instskip(NEXT) | instid1(VALU_DEP_1)
	v_add_f64 v[28:29], v[28:29], -v[33:34]
	v_add_f64 v[31:32], v[37:38], v[28:29]
	s_delay_alu instid0(VALU_DEP_1) | instskip(SKIP_1) | instid1(VALU_DEP_2)
	v_add_f64 v[28:29], v[31:32], -v[28:29]
	v_cmp_le_f64_e32 vcc_lo, 0.5, v[31:32]
	v_add_f64 v[28:29], v[37:38], -v[28:29]
	v_cndmask_b32_e64 v21, 0, 0x3ff00000, vcc_lo
	s_delay_alu instid0(VALU_DEP_1) | instskip(SKIP_1) | instid1(VALU_DEP_4)
	v_add_f64 v[31:32], v[31:32], -v[20:21]
	v_add_co_ci_u32_e32 v21, vcc_lo, 0, v35, vcc_lo
	v_add_f64 v[26:27], v[26:27], v[28:29]
	s_delay_alu instid0(VALU_DEP_1) | instskip(NEXT) | instid1(VALU_DEP_1)
	v_add_f64 v[28:29], v[31:32], v[26:27]
	v_add_f64 v[31:32], v[28:29], -v[31:32]
	s_delay_alu instid0(VALU_DEP_1) | instskip(SKIP_1) | instid1(VALU_DEP_1)
	v_add_f64 v[26:27], v[26:27], -v[31:32]
	v_mul_f64 v[31:32], v[28:29], s[2:3]
	v_fma_f64 v[33:34], v[28:29], s[2:3], -v[31:32]
	s_delay_alu instid0(VALU_DEP_1) | instskip(NEXT) | instid1(VALU_DEP_1)
	v_fma_f64 v[28:29], v[28:29], s[10:11], v[33:34]
	v_fma_f64 v[28:29], v[26:27], s[2:3], v[28:29]
	s_delay_alu instid0(VALU_DEP_1) | instskip(NEXT) | instid1(VALU_DEP_1)
	v_add_f64 v[26:27], v[31:32], v[28:29]
	v_add_f64 v[31:32], v[26:27], -v[31:32]
	s_delay_alu instid0(VALU_DEP_1)
	v_add_f64 v[28:29], v[28:29], -v[31:32]
	s_and_not1_saveexec_b32 s2, s6
	s_cbranch_execnz .LBB100_197
	s_branch .LBB100_198
.LBB100_196:                            ;   in Loop: Header=BB100_180 Depth=1
	s_and_not1_saveexec_b32 s2, s6
	s_cbranch_execz .LBB100_198
.LBB100_197:                            ;   in Loop: Header=BB100_180 Depth=1
	v_mul_f64 v[26:27], |v[12:13]|, s[14:15]
	s_mov_b32 s6, s16
	s_delay_alu instid0(VALU_DEP_1) | instskip(NEXT) | instid1(VALU_DEP_1)
	v_rndne_f64_e32 v[31:32], v[26:27]
	v_fma_f64 v[26:27], v[31:32], s[4:5], |v[12:13]|
	v_mul_f64 v[28:29], v[31:32], s[16:17]
	v_cvt_i32_f64_e32 v21, v[31:32]
	s_delay_alu instid0(VALU_DEP_3) | instskip(NEXT) | instid1(VALU_DEP_3)
	v_fma_f64 v[35:36], v[31:32], s[16:17], v[26:27]
	v_add_f64 v[33:34], v[26:27], v[28:29]
	s_delay_alu instid0(VALU_DEP_1) | instskip(NEXT) | instid1(VALU_DEP_3)
	v_add_f64 v[26:27], v[26:27], -v[33:34]
	v_add_f64 v[33:34], v[33:34], -v[35:36]
	s_delay_alu instid0(VALU_DEP_2) | instskip(SKIP_1) | instid1(VALU_DEP_2)
	v_add_f64 v[26:27], v[26:27], v[28:29]
	v_fma_f64 v[28:29], v[31:32], s[6:7], v[28:29]
	v_add_f64 v[26:27], v[33:34], v[26:27]
	s_delay_alu instid0(VALU_DEP_1) | instskip(NEXT) | instid1(VALU_DEP_1)
	v_add_f64 v[26:27], v[26:27], -v[28:29]
	v_fma_f64 v[28:29], v[31:32], s[18:19], v[26:27]
	s_delay_alu instid0(VALU_DEP_1) | instskip(NEXT) | instid1(VALU_DEP_1)
	v_add_f64 v[26:27], v[35:36], v[28:29]
	v_add_f64 v[33:34], v[26:27], -v[35:36]
	s_delay_alu instid0(VALU_DEP_1)
	v_add_f64 v[28:29], v[28:29], -v[33:34]
.LBB100_198:                            ;   in Loop: Header=BB100_180 Depth=1
	s_or_b32 exec_lo, exec_lo, s2
	v_mul_f64 v[31:32], |v[14:15]|, s[56:57]
	s_delay_alu instid0(VALU_DEP_3) | instskip(SKIP_1) | instid1(VALU_DEP_4)
	v_mul_f64 v[37:38], v[4:5], v[4:5]
	v_mul_f64 v[39:40], v[26:27], v[26:27]
	v_mul_f64 v[55:56], v[6:7], 0.5
	v_mul_f64 v[63:64], v[28:29], 0.5
	s_mov_b32 s75, s21
	s_mov_b32 s77, s23
	;; [unrolled: 1-line block ×4, first 2 shown]
	v_rndne_f64_e32 v[31:32], v[31:32]
	v_fma_f64 v[41:42], v[37:38], s[96:97], s[94:95]
	v_fma_f64 v[43:44], v[39:40], s[96:97], s[94:95]
	;; [unrolled: 1-line block ×3, first 2 shown]
	v_mul_f64 v[47:48], v[37:38], 0.5
	v_mul_f64 v[49:50], v[39:40], 0.5
	v_fma_f64 v[51:52], v[39:40], s[86:87], s[84:85]
	v_mul_f64 v[57:58], v[4:5], -v[37:38]
	v_mul_f64 v[65:66], v[26:27], -v[39:40]
	v_fma_f64 v[33:34], v[31:32], s[48:49], -|v[14:15]|
	v_fma_f64 v[41:42], v[37:38], v[41:42], s[98:99]
	v_fma_f64 v[43:44], v[39:40], v[43:44], s[98:99]
	;; [unrolled: 1-line block ×3, first 2 shown]
	v_add_f64 v[53:54], -v[47:48], 1.0
	v_add_f64 v[59:60], -v[49:50], 1.0
	v_fma_f64 v[51:52], v[39:40], v[51:52], s[88:89]
	v_fma_f64 v[33:34], v[31:32], s[52:53], v[33:34]
	;; [unrolled: 1-line block ×5, first 2 shown]
	v_add_f64 v[61:62], -v[53:54], 1.0
	v_add_f64 v[67:68], -v[59:60], 1.0
	v_fma_f64 v[51:52], v[39:40], v[51:52], s[90:91]
	v_fma_f64 v[35:36], v[33:34], s[64:65], s[62:63]
	;; [unrolled: 1-line block ×5, first 2 shown]
	v_add_f64 v[47:48], v[61:62], -v[47:48]
	v_add_f64 v[49:50], v[67:68], -v[49:50]
	v_fma_f64 v[51:52], v[39:40], v[51:52], s[92:93]
	v_fma_f64 v[35:36], v[33:34], v[35:36], s[66:67]
	;; [unrolled: 1-line block ×4, first 2 shown]
	v_mul_f64 v[55:56], v[37:38], v[37:38]
	v_fma_f64 v[45:46], v[37:38], v[45:46], s[22:23]
	v_fma_f64 v[47:48], v[4:5], -v[6:7], v[47:48]
	v_fma_f64 v[35:36], v[33:34], v[35:36], s[68:69]
	v_fma_f64 v[6:7], v[37:38], v[41:42], -v[6:7]
	v_fma_f64 v[37:38], v[39:40], v[43:44], -v[28:29]
	v_mul_f64 v[41:42], v[39:40], v[39:40]
	v_fma_f64 v[39:40], v[39:40], v[51:52], s[22:23]
	v_fma_f64 v[28:29], v[26:27], -v[28:29], v[49:50]
	v_fma_f64 v[43:44], v[55:56], v[45:46], v[47:48]
	v_fma_f64 v[35:36], v[33:34], v[35:36], s[70:71]
	;; [unrolled: 1-line block ×5, first 2 shown]
	v_add_f64 v[39:40], v[53:54], v[43:44]
	v_fma_f64 v[35:36], v[33:34], v[35:36], s[72:73]
	v_add_f64 v[4:5], v[4:5], -v[6:7]
	v_add_f64 v[26:27], v[26:27], -v[37:38]
	v_lshlrev_b32_e32 v12, 30, v30
	s_delay_alu instid0(VALU_DEP_4) | instskip(NEXT) | instid1(VALU_DEP_3)
	v_fma_f64 v[35:36], v[33:34], v[35:36], s[74:75]
	v_xor_b32_e32 v27, 0x80000000, v27
	v_and_b32_e32 v30, 1, v30
	s_delay_alu instid0(VALU_DEP_1) | instskip(SKIP_2) | instid1(VALU_DEP_1)
	v_cmp_eq_u32_e32 vcc_lo, 0, v30
	v_dual_cndmask_b32 v5, v40, v5 :: v_dual_cndmask_b32 v4, v39, v4
	v_fma_f64 v[35:36], v[33:34], v[35:36], s[76:77]
	v_fma_f64 v[35:36], v[33:34], v[35:36], s[78:79]
	s_delay_alu instid0(VALU_DEP_1) | instskip(NEXT) | instid1(VALU_DEP_1)
	v_fma_f64 v[35:36], v[33:34], v[35:36], s[80:81]
	v_fma_f64 v[6:7], v[33:34], v[35:36], 1.0
	v_xor_b32_e32 v35, v12, v13
	v_add_f64 v[12:13], v[59:60], v[28:29]
	v_cvt_i32_f64_e32 v29, v[31:32]
	s_delay_alu instid0(VALU_DEP_3) | instskip(NEXT) | instid1(VALU_DEP_1)
	v_and_b32_e32 v28, 0x80000000, v35
	v_xor_b32_e32 v5, v5, v28
	v_fma_f64 v[6:7], v[33:34], v[6:7], 1.0
	s_delay_alu instid0(VALU_DEP_1) | instskip(SKIP_3) | instid1(VALU_DEP_3)
	v_ldexp_f64 v[6:7], v[6:7], v29
	v_and_b32_e32 v28, 1, v21
	v_lshlrev_b32_e32 v21, 30, v21
	v_mul_f64 v[4:5], v[4:5], 4.0
	v_cmp_eq_u32_e32 vcc_lo, 0, v28
	s_delay_alu instid0(VALU_DEP_3) | instskip(SKIP_2) | instid1(VALU_DEP_2)
	v_dual_cndmask_b32 v12, v26, v12 :: v_dual_and_b32 v21, 0x80000000, v21
	v_cndmask_b32_e32 v13, v27, v13, vcc_lo
	v_cmp_nlt_f64_e64 vcc_lo, 0x4090cc00, |v[14:15]|
	v_xor_b32_e32 v13, v13, v21
	s_delay_alu instid0(VALU_DEP_1) | instskip(SKIP_1) | instid1(VALU_DEP_1)
	v_mul_f64 v[4:5], v[4:5], v[12:13]
	v_dual_cndmask_b32 v7, 0, v7 :: v_dual_cndmask_b32 v6, 0, v6
	v_mul_f64 v[4:5], v[6:7], v[4:5]
	s_delay_alu instid0(VALU_DEP_1) | instskip(SKIP_1) | instid1(VALU_DEP_1)
	v_mul_f64 v[4:5], v[6:7], v[4:5]
	v_xor_b32_e32 v6, 0x80000000, v15
	v_bfi_b32 v21, 0x7fffffff, s2, v6
	s_delay_alu instid0(VALU_DEP_1)
	v_dual_mov_b32 v6, v20 :: v_dual_mov_b32 v7, v21
	s_or_b32 exec_lo, exec_lo, s0
                                        ; implicit-def: $vgpr12_vgpr13
.LBB100_199:                            ;   in Loop: Header=BB100_180 Depth=1
	s_and_not1_saveexec_b32 s0, s24
.LBB100_200:                            ;   in Loop: Header=BB100_180 Depth=1
	v_add_f64 v[4:5], v[12:13], -v[12:13]
	s_delay_alu instid0(VALU_DEP_1)
	v_dual_mov_b32 v7, v5 :: v_dual_mov_b32 v6, v4
.LBB100_201:                            ;   in Loop: Header=BB100_180 Depth=1
	s_or_b32 exec_lo, exec_lo, s0
                                        ; implicit-def: $vgpr12_vgpr13
.LBB100_202:                            ;   in Loop: Header=BB100_180 Depth=1
	s_and_not1_saveexec_b32 s24, s1
	s_cbranch_execz .LBB100_218
; %bb.203:                              ;   in Loop: Header=BB100_180 Depth=1
	s_delay_alu instid0(VALU_DEP_1) | instskip(SKIP_1) | instid1(VALU_DEP_1)
	v_and_or_b32 v4, 0xfffff, v7, v6
	s_mov_b32 s0, exec_lo
	v_cmpx_ne_u32_e32 0, v4
	s_xor_b32 s0, exec_lo, s0
; %bb.204:                              ;   in Loop: Header=BB100_180 Depth=1
	v_mul_f64 v[4:5], v[12:13], -v[14:15]
	v_cmp_eq_f64_e32 vcc_lo, 0, v[12:13]
	s_delay_alu instid0(VALU_DEP_2)
	v_dual_cndmask_b32 v5, v5, v13 :: v_dual_cndmask_b32 v4, v4, v12
                                        ; implicit-def: $vgpr12_vgpr13
; %bb.205:                              ;   in Loop: Header=BB100_180 Depth=1
	s_and_not1_saveexec_b32 s25, s0
	s_cbranch_execz .LBB100_217
; %bb.206:                              ;   in Loop: Header=BB100_180 Depth=1
	s_mov_b32 s50, exec_lo
	v_cmpx_neq_f64_e64 0x7ff00000, |v[12:13]|
	s_cbranch_execz .LBB100_216
; %bb.207:                              ;   in Loop: Header=BB100_180 Depth=1
	v_cmp_ngt_f64_e64 s0, 0x41d00000, |v[12:13]|
	v_trig_preop_f64 v[30:31], |v[12:13]|, 0
	v_trig_preop_f64 v[28:29], |v[12:13]|, 1
	v_ldexp_f64 v[32:33], |v[12:13]|, 0xffffff80
	v_trig_preop_f64 v[26:27], |v[12:13]|, 2
	v_and_b32_e32 v39, 0x7fffffff, v13
                                        ; implicit-def: $vgpr38
                                        ; implicit-def: $vgpr4_vgpr5
                                        ; implicit-def: $vgpr14_vgpr15
	s_and_saveexec_b32 s1, s0
	s_delay_alu instid0(SALU_CYCLE_1)
	s_xor_b32 s1, exec_lo, s1
	s_cbranch_execz .LBB100_209
; %bb.208:                              ;   in Loop: Header=BB100_180 Depth=1
	v_cmp_le_f64_e64 vcc_lo, 0x7b000000, |v[12:13]|
	s_mov_b32 s2, s4
	s_mov_b32 s11, s7
	s_delay_alu instid0(VALU_DEP_4) | instskip(NEXT) | instid1(VALU_DEP_1)
	v_dual_cndmask_b32 v5, v39, v33 :: v_dual_cndmask_b32 v4, v12, v32
	v_mul_f64 v[14:15], v[30:31], v[4:5]
	v_mul_f64 v[34:35], v[28:29], v[4:5]
	s_delay_alu instid0(VALU_DEP_2) | instskip(NEXT) | instid1(VALU_DEP_1)
	v_fma_f64 v[36:37], v[30:31], v[4:5], -v[14:15]
	v_add_f64 v[40:41], v[34:35], v[36:37]
	s_delay_alu instid0(VALU_DEP_1) | instskip(SKIP_1) | instid1(VALU_DEP_2)
	v_add_f64 v[42:43], v[40:41], -v[34:35]
	v_add_f64 v[44:45], v[14:15], v[40:41]
	v_add_f64 v[36:37], v[36:37], -v[42:43]
	s_delay_alu instid0(VALU_DEP_2) | instskip(SKIP_1) | instid1(VALU_DEP_2)
	v_add_f64 v[14:15], v[44:45], -v[14:15]
	v_add_f64 v[42:43], v[40:41], -v[42:43]
	;; [unrolled: 1-line block ×3, first 2 shown]
	s_delay_alu instid0(VALU_DEP_2) | instskip(SKIP_2) | instid1(VALU_DEP_3)
	v_add_f64 v[40:41], v[34:35], -v[42:43]
	v_fma_f64 v[34:35], v[28:29], v[4:5], -v[34:35]
	v_mul_f64 v[42:43], v[26:27], v[4:5]
	v_add_f64 v[36:37], v[36:37], v[40:41]
	v_ldexp_f64 v[40:41], v[44:45], -2
	s_delay_alu instid0(VALU_DEP_3) | instskip(SKIP_1) | instid1(VALU_DEP_3)
	v_add_f64 v[44:45], v[42:43], v[34:35]
	v_fma_f64 v[4:5], v[26:27], v[4:5], -v[42:43]
	v_cmp_neq_f64_e64 vcc_lo, 0x7ff00000, |v[40:41]|
	s_delay_alu instid0(VALU_DEP_3) | instskip(SKIP_2) | instid1(VALU_DEP_3)
	v_add_f64 v[48:49], v[44:45], v[36:37]
	v_add_f64 v[46:47], v[44:45], -v[42:43]
	v_fract_f64_e32 v[40:41], v[40:41]
	v_add_f64 v[50:51], v[48:49], -v[44:45]
	s_delay_alu instid0(VALU_DEP_3) | instskip(SKIP_1) | instid1(VALU_DEP_4)
	v_add_f64 v[34:35], v[34:35], -v[46:47]
	v_add_f64 v[46:47], v[44:45], -v[46:47]
	v_dual_cndmask_b32 v41, 0, v41 :: v_dual_cndmask_b32 v40, 0, v40
	s_delay_alu instid0(VALU_DEP_1) | instskip(SKIP_4) | instid1(VALU_DEP_3)
	v_ldexp_f64 v[40:41], v[40:41], 2
	v_add_f64 v[36:37], v[36:37], -v[50:51]
	v_add_f64 v[50:51], v[48:49], -v[50:51]
	;; [unrolled: 1-line block ×3, first 2 shown]
	v_add_f64 v[42:43], v[14:15], v[48:49]
	v_add_f64 v[44:45], v[44:45], -v[50:51]
	s_delay_alu instid0(VALU_DEP_3) | instskip(NEXT) | instid1(VALU_DEP_3)
	v_add_f64 v[34:35], v[34:35], v[46:47]
	v_add_f64 v[14:15], v[42:43], -v[14:15]
	s_delay_alu instid0(VALU_DEP_3) | instskip(SKIP_1) | instid1(VALU_DEP_3)
	v_add_f64 v[36:37], v[36:37], v[44:45]
	v_add_f64 v[44:45], v[42:43], v[40:41]
	v_add_f64 v[14:15], v[48:49], -v[14:15]
	s_delay_alu instid0(VALU_DEP_3) | instskip(NEXT) | instid1(VALU_DEP_3)
	v_add_f64 v[34:35], v[34:35], v[36:37]
	v_cmp_gt_f64_e32 vcc_lo, 0, v[44:45]
	s_delay_alu instid0(VALU_DEP_2) | instskip(SKIP_1) | instid1(VALU_DEP_1)
	v_add_f64 v[4:5], v[4:5], v[34:35]
	v_cndmask_b32_e64 v21, 0, 0x40100000, vcc_lo
	v_add_f64 v[34:35], v[40:41], v[20:21]
	s_delay_alu instid0(VALU_DEP_3) | instskip(NEXT) | instid1(VALU_DEP_2)
	v_add_f64 v[4:5], v[14:15], v[4:5]
	v_add_f64 v[36:37], v[42:43], v[34:35]
	s_delay_alu instid0(VALU_DEP_1) | instskip(NEXT) | instid1(VALU_DEP_1)
	v_cvt_i32_f64_e32 v38, v[36:37]
	v_cvt_f64_i32_e32 v[36:37], v38
	s_delay_alu instid0(VALU_DEP_1) | instskip(NEXT) | instid1(VALU_DEP_1)
	v_add_f64 v[34:35], v[34:35], -v[36:37]
	v_add_f64 v[14:15], v[42:43], v[34:35]
	s_delay_alu instid0(VALU_DEP_1) | instskip(SKIP_1) | instid1(VALU_DEP_2)
	v_add_f64 v[34:35], v[14:15], -v[34:35]
	v_cmp_le_f64_e32 vcc_lo, 0.5, v[14:15]
	v_add_f64 v[34:35], v[42:43], -v[34:35]
	v_cndmask_b32_e64 v21, 0, 0x3ff00000, vcc_lo
	v_add_co_ci_u32_e32 v38, vcc_lo, 0, v38, vcc_lo
	s_delay_alu instid0(VALU_DEP_2) | instskip(NEXT) | instid1(VALU_DEP_4)
	v_add_f64 v[14:15], v[14:15], -v[20:21]
	v_add_f64 v[4:5], v[4:5], v[34:35]
	s_delay_alu instid0(VALU_DEP_1) | instskip(NEXT) | instid1(VALU_DEP_1)
	v_add_f64 v[34:35], v[14:15], v[4:5]
	v_add_f64 v[14:15], v[34:35], -v[14:15]
	s_delay_alu instid0(VALU_DEP_1) | instskip(SKIP_1) | instid1(VALU_DEP_1)
	v_add_f64 v[4:5], v[4:5], -v[14:15]
	v_mul_f64 v[14:15], v[34:35], s[2:3]
	v_fma_f64 v[36:37], v[34:35], s[2:3], -v[14:15]
	s_delay_alu instid0(VALU_DEP_1) | instskip(NEXT) | instid1(VALU_DEP_1)
	v_fma_f64 v[34:35], v[34:35], s[10:11], v[36:37]
	v_fma_f64 v[34:35], v[4:5], s[2:3], v[34:35]
	s_delay_alu instid0(VALU_DEP_1) | instskip(NEXT) | instid1(VALU_DEP_1)
	v_add_f64 v[4:5], v[14:15], v[34:35]
	v_add_f64 v[14:15], v[4:5], -v[14:15]
	s_delay_alu instid0(VALU_DEP_1)
	v_add_f64 v[14:15], v[34:35], -v[14:15]
	s_and_not1_saveexec_b32 s1, s1
	s_cbranch_execz .LBB100_211
	s_branch .LBB100_210
.LBB100_209:                            ;   in Loop: Header=BB100_180 Depth=1
	s_and_not1_saveexec_b32 s1, s1
	s_cbranch_execz .LBB100_211
.LBB100_210:                            ;   in Loop: Header=BB100_180 Depth=1
	v_mul_f64 v[4:5], |v[12:13]|, s[14:15]
	s_mov_b32 s6, s16
	s_delay_alu instid0(VALU_DEP_1) | instskip(NEXT) | instid1(VALU_DEP_1)
	v_rndne_f64_e32 v[34:35], v[4:5]
	v_fma_f64 v[4:5], v[34:35], s[4:5], |v[12:13]|
	v_mul_f64 v[14:15], v[34:35], s[16:17]
	v_cvt_i32_f64_e32 v38, v[34:35]
	s_delay_alu instid0(VALU_DEP_3) | instskip(NEXT) | instid1(VALU_DEP_3)
	v_fma_f64 v[40:41], v[34:35], s[16:17], v[4:5]
	v_add_f64 v[36:37], v[4:5], v[14:15]
	s_delay_alu instid0(VALU_DEP_1) | instskip(NEXT) | instid1(VALU_DEP_3)
	v_add_f64 v[4:5], v[4:5], -v[36:37]
	v_add_f64 v[36:37], v[36:37], -v[40:41]
	s_delay_alu instid0(VALU_DEP_2) | instskip(SKIP_1) | instid1(VALU_DEP_2)
	v_add_f64 v[4:5], v[4:5], v[14:15]
	v_fma_f64 v[14:15], v[34:35], s[6:7], v[14:15]
	v_add_f64 v[4:5], v[36:37], v[4:5]
	s_delay_alu instid0(VALU_DEP_1) | instskip(NEXT) | instid1(VALU_DEP_1)
	v_add_f64 v[4:5], v[4:5], -v[14:15]
	v_fma_f64 v[14:15], v[34:35], s[18:19], v[4:5]
	s_delay_alu instid0(VALU_DEP_1) | instskip(NEXT) | instid1(VALU_DEP_1)
	v_add_f64 v[4:5], v[40:41], v[14:15]
	v_add_f64 v[36:37], v[4:5], -v[40:41]
	s_delay_alu instid0(VALU_DEP_1)
	v_add_f64 v[14:15], v[14:15], -v[36:37]
.LBB100_211:                            ;   in Loop: Header=BB100_180 Depth=1
	s_or_b32 exec_lo, exec_lo, s1
                                        ; implicit-def: $vgpr21
                                        ; implicit-def: $vgpr34_vgpr35
                                        ; implicit-def: $vgpr36_vgpr37
	s_and_saveexec_b32 s1, s0
	s_delay_alu instid0(SALU_CYCLE_1)
	s_xor_b32 s0, exec_lo, s1
	s_cbranch_execz .LBB100_213
; %bb.212:                              ;   in Loop: Header=BB100_180 Depth=1
	v_cmp_le_f64_e64 vcc_lo, 0x7b000000, |v[12:13]|
	s_mov_b32 s2, s4
	s_mov_b32 s11, s7
	s_delay_alu instid0(VALU_DEP_4) | instskip(NEXT) | instid1(VALU_DEP_1)
	v_dual_cndmask_b32 v33, v39, v33 :: v_dual_cndmask_b32 v32, v12, v32
	v_mul_f64 v[34:35], v[30:31], v[32:33]
	v_mul_f64 v[36:37], v[28:29], v[32:33]
	;; [unrolled: 1-line block ×3, first 2 shown]
	s_delay_alu instid0(VALU_DEP_3) | instskip(NEXT) | instid1(VALU_DEP_3)
	v_fma_f64 v[30:31], v[30:31], v[32:33], -v[34:35]
	v_fma_f64 v[28:29], v[28:29], v[32:33], -v[36:37]
	s_delay_alu instid0(VALU_DEP_3) | instskip(NEXT) | instid1(VALU_DEP_3)
	v_fma_f64 v[26:27], v[26:27], v[32:33], -v[39:40]
	v_add_f64 v[32:33], v[36:37], v[30:31]
	s_delay_alu instid0(VALU_DEP_1) | instskip(NEXT) | instid1(VALU_DEP_1)
	v_add_f64 v[41:42], v[32:33], -v[36:37]
	v_add_f64 v[30:31], v[30:31], -v[41:42]
	;; [unrolled: 1-line block ×3, first 2 shown]
	s_delay_alu instid0(VALU_DEP_1) | instskip(SKIP_1) | instid1(VALU_DEP_2)
	v_add_f64 v[36:37], v[36:37], -v[41:42]
	v_add_f64 v[41:42], v[34:35], v[32:33]
	v_add_f64 v[30:31], v[30:31], v[36:37]
	s_delay_alu instid0(VALU_DEP_2) | instskip(SKIP_1) | instid1(VALU_DEP_2)
	v_add_f64 v[34:35], v[41:42], -v[34:35]
	v_ldexp_f64 v[41:42], v[41:42], -2
	v_add_f64 v[32:33], v[32:33], -v[34:35]
	v_add_f64 v[34:35], v[39:40], v[28:29]
	s_delay_alu instid0(VALU_DEP_3) | instskip(SKIP_1) | instid1(VALU_DEP_3)
	v_cmp_neq_f64_e64 vcc_lo, 0x7ff00000, |v[41:42]|
	v_fract_f64_e32 v[41:42], v[41:42]
	v_add_f64 v[36:37], v[34:35], -v[39:40]
	s_delay_alu instid0(VALU_DEP_2) | instskip(NEXT) | instid1(VALU_DEP_2)
	v_dual_cndmask_b32 v42, 0, v42 :: v_dual_cndmask_b32 v41, 0, v41
	v_add_f64 v[28:29], v[28:29], -v[36:37]
	v_add_f64 v[36:37], v[34:35], -v[36:37]
	s_delay_alu instid0(VALU_DEP_1) | instskip(SKIP_1) | instid1(VALU_DEP_2)
	v_add_f64 v[36:37], v[39:40], -v[36:37]
	v_add_f64 v[39:40], v[34:35], v[30:31]
	v_add_f64 v[28:29], v[28:29], v[36:37]
	s_delay_alu instid0(VALU_DEP_2) | instskip(SKIP_1) | instid1(VALU_DEP_2)
	v_add_f64 v[43:44], v[39:40], -v[34:35]
	v_add_f64 v[36:37], v[32:33], v[39:40]
	v_add_f64 v[30:31], v[30:31], -v[43:44]
	v_add_f64 v[43:44], v[39:40], -v[43:44]
	s_delay_alu instid0(VALU_DEP_1) | instskip(NEXT) | instid1(VALU_DEP_1)
	v_add_f64 v[34:35], v[34:35], -v[43:44]
	v_add_f64 v[30:31], v[30:31], v[34:35]
	v_ldexp_f64 v[34:35], v[41:42], 2
	s_delay_alu instid0(VALU_DEP_2) | instskip(NEXT) | instid1(VALU_DEP_2)
	v_add_f64 v[28:29], v[28:29], v[30:31]
	v_add_f64 v[41:42], v[36:37], v[34:35]
	v_add_f64 v[30:31], v[36:37], -v[32:33]
	s_delay_alu instid0(VALU_DEP_3) | instskip(NEXT) | instid1(VALU_DEP_3)
	v_add_f64 v[26:27], v[26:27], v[28:29]
	v_cmp_gt_f64_e32 vcc_lo, 0, v[41:42]
	s_delay_alu instid0(VALU_DEP_3) | instskip(SKIP_1) | instid1(VALU_DEP_2)
	v_add_f64 v[30:31], v[39:40], -v[30:31]
	v_cndmask_b32_e64 v21, 0, 0x40100000, vcc_lo
	v_add_f64 v[26:27], v[30:31], v[26:27]
	s_delay_alu instid0(VALU_DEP_2) | instskip(NEXT) | instid1(VALU_DEP_1)
	v_add_f64 v[28:29], v[34:35], v[20:21]
	v_add_f64 v[32:33], v[36:37], v[28:29]
	s_delay_alu instid0(VALU_DEP_1) | instskip(NEXT) | instid1(VALU_DEP_1)
	v_cvt_i32_f64_e32 v39, v[32:33]
	v_cvt_f64_i32_e32 v[32:33], v39
	s_delay_alu instid0(VALU_DEP_1) | instskip(NEXT) | instid1(VALU_DEP_1)
	v_add_f64 v[28:29], v[28:29], -v[32:33]
	v_add_f64 v[30:31], v[36:37], v[28:29]
	s_delay_alu instid0(VALU_DEP_1) | instskip(SKIP_1) | instid1(VALU_DEP_2)
	v_add_f64 v[28:29], v[30:31], -v[28:29]
	v_cmp_le_f64_e32 vcc_lo, 0.5, v[30:31]
	v_add_f64 v[28:29], v[36:37], -v[28:29]
	v_cndmask_b32_e64 v21, 0, 0x3ff00000, vcc_lo
	s_delay_alu instid0(VALU_DEP_1) | instskip(SKIP_1) | instid1(VALU_DEP_4)
	v_add_f64 v[30:31], v[30:31], -v[20:21]
	v_add_co_ci_u32_e32 v21, vcc_lo, 0, v39, vcc_lo
	v_add_f64 v[26:27], v[26:27], v[28:29]
	s_delay_alu instid0(VALU_DEP_1) | instskip(NEXT) | instid1(VALU_DEP_1)
	v_add_f64 v[28:29], v[30:31], v[26:27]
	v_add_f64 v[30:31], v[28:29], -v[30:31]
	s_delay_alu instid0(VALU_DEP_1) | instskip(SKIP_1) | instid1(VALU_DEP_1)
	v_add_f64 v[26:27], v[26:27], -v[30:31]
	v_mul_f64 v[30:31], v[28:29], s[2:3]
	v_fma_f64 v[32:33], v[28:29], s[2:3], -v[30:31]
	s_delay_alu instid0(VALU_DEP_1) | instskip(NEXT) | instid1(VALU_DEP_1)
	v_fma_f64 v[28:29], v[28:29], s[10:11], v[32:33]
	v_fma_f64 v[26:27], v[26:27], s[2:3], v[28:29]
	s_delay_alu instid0(VALU_DEP_1) | instskip(NEXT) | instid1(VALU_DEP_1)
	v_add_f64 v[34:35], v[30:31], v[26:27]
	v_add_f64 v[28:29], v[34:35], -v[30:31]
	s_delay_alu instid0(VALU_DEP_1)
	v_add_f64 v[36:37], v[26:27], -v[28:29]
	s_and_not1_saveexec_b32 s0, s0
	s_cbranch_execnz .LBB100_214
	s_branch .LBB100_215
.LBB100_213:                            ;   in Loop: Header=BB100_180 Depth=1
	s_and_not1_saveexec_b32 s0, s0
	s_cbranch_execz .LBB100_215
.LBB100_214:                            ;   in Loop: Header=BB100_180 Depth=1
	v_mul_f64 v[26:27], |v[12:13]|, s[14:15]
	s_mov_b32 s6, s16
	s_delay_alu instid0(VALU_DEP_1) | instskip(NEXT) | instid1(VALU_DEP_1)
	v_rndne_f64_e32 v[26:27], v[26:27]
	v_fma_f64 v[28:29], v[26:27], s[4:5], |v[12:13]|
	v_mul_f64 v[30:31], v[26:27], s[16:17]
	v_cvt_i32_f64_e32 v21, v[26:27]
	s_delay_alu instid0(VALU_DEP_3) | instskip(NEXT) | instid1(VALU_DEP_3)
	v_fma_f64 v[36:37], v[26:27], s[16:17], v[28:29]
	v_add_f64 v[32:33], v[28:29], v[30:31]
	s_delay_alu instid0(VALU_DEP_1) | instskip(NEXT) | instid1(VALU_DEP_3)
	v_add_f64 v[28:29], v[28:29], -v[32:33]
	v_add_f64 v[32:33], v[32:33], -v[36:37]
	s_delay_alu instid0(VALU_DEP_2) | instskip(SKIP_1) | instid1(VALU_DEP_2)
	v_add_f64 v[28:29], v[28:29], v[30:31]
	v_fma_f64 v[30:31], v[26:27], s[6:7], v[30:31]
	v_add_f64 v[28:29], v[32:33], v[28:29]
	s_delay_alu instid0(VALU_DEP_1) | instskip(NEXT) | instid1(VALU_DEP_1)
	v_add_f64 v[28:29], v[28:29], -v[30:31]
	v_fma_f64 v[28:29], v[26:27], s[18:19], v[28:29]
	s_delay_alu instid0(VALU_DEP_1) | instskip(NEXT) | instid1(VALU_DEP_1)
	v_add_f64 v[34:35], v[36:37], v[28:29]
	v_add_f64 v[30:31], v[34:35], -v[36:37]
	s_delay_alu instid0(VALU_DEP_1)
	v_add_f64 v[36:37], v[28:29], -v[30:31]
.LBB100_215:                            ;   in Loop: Header=BB100_180 Depth=1
	s_or_b32 exec_lo, exec_lo, s0
	v_cmp_class_f64_e64 vcc_lo, v[12:13], 0x1f8
	v_lshlrev_b32_e32 v12, 30, v38
	s_delay_alu instid0(VALU_DEP_3) | instskip(NEXT) | instid1(VALU_DEP_4)
	v_mul_f64 v[32:33], v[14:15], 0.5
	v_mul_f64 v[43:44], v[36:37], 0.5
	s_mov_b32 s12, s22
	s_delay_alu instid0(VALU_DEP_3) | instskip(SKIP_1) | instid1(VALU_DEP_1)
	v_xor_b32_e32 v47, v12, v13
	v_mul_f64 v[12:13], v[4:5], v[4:5]
	v_mul_f64 v[26:27], v[12:13], 0.5
	v_mul_f64 v[39:40], v[4:5], -v[12:13]
	s_delay_alu instid0(VALU_DEP_2) | instskip(NEXT) | instid1(VALU_DEP_1)
	v_add_f64 v[28:29], -v[26:27], 1.0
	v_add_f64 v[30:31], -v[28:29], 1.0
	s_delay_alu instid0(VALU_DEP_1) | instskip(SKIP_1) | instid1(VALU_DEP_2)
	v_add_f64 v[26:27], v[30:31], -v[26:27]
	v_fma_f64 v[30:31], v[12:13], s[96:97], s[94:95]
	v_fma_f64 v[26:27], v[4:5], -v[14:15], v[26:27]
	s_delay_alu instid0(VALU_DEP_2) | instskip(NEXT) | instid1(VALU_DEP_1)
	v_fma_f64 v[30:31], v[12:13], v[30:31], s[98:99]
	v_fma_f64 v[30:31], v[12:13], v[30:31], s[100:101]
	s_delay_alu instid0(VALU_DEP_1) | instskip(NEXT) | instid1(VALU_DEP_1)
	v_fma_f64 v[30:31], v[12:13], v[30:31], s[20:21]
	v_fma_f64 v[30:31], v[39:40], v[30:31], v[32:33]
	s_delay_alu instid0(VALU_DEP_1) | instskip(SKIP_1) | instid1(VALU_DEP_2)
	v_fma_f64 v[14:15], v[12:13], v[30:31], -v[14:15]
	v_fma_f64 v[30:31], v[12:13], s[86:87], s[84:85]
	v_fma_f64 v[14:15], v[39:40], s[12:13], v[14:15]
	s_delay_alu instid0(VALU_DEP_2) | instskip(NEXT) | instid1(VALU_DEP_2)
	v_fma_f64 v[30:31], v[12:13], v[30:31], s[88:89]
	v_add_f64 v[4:5], v[4:5], -v[14:15]
	s_delay_alu instid0(VALU_DEP_2) | instskip(NEXT) | instid1(VALU_DEP_1)
	v_fma_f64 v[30:31], v[12:13], v[30:31], s[90:91]
	v_fma_f64 v[30:31], v[12:13], v[30:31], s[92:93]
	s_delay_alu instid0(VALU_DEP_1) | instskip(SKIP_1) | instid1(VALU_DEP_1)
	v_fma_f64 v[30:31], v[12:13], v[30:31], s[22:23]
	v_mul_f64 v[12:13], v[12:13], v[12:13]
	v_fma_f64 v[12:13], v[12:13], v[30:31], v[26:27]
	v_mul_f64 v[26:27], v[34:35], v[34:35]
	s_delay_alu instid0(VALU_DEP_2) | instskip(NEXT) | instid1(VALU_DEP_2)
	v_add_f64 v[12:13], v[28:29], v[12:13]
	v_mul_f64 v[30:31], v[26:27], 0.5
	v_mul_f64 v[45:46], v[34:35], -v[26:27]
	s_delay_alu instid0(VALU_DEP_2) | instskip(NEXT) | instid1(VALU_DEP_1)
	v_add_f64 v[32:33], -v[30:31], 1.0
	v_add_f64 v[41:42], -v[32:33], 1.0
	s_delay_alu instid0(VALU_DEP_1) | instskip(SKIP_1) | instid1(VALU_DEP_2)
	v_add_f64 v[30:31], v[41:42], -v[30:31]
	v_fma_f64 v[41:42], v[26:27], s[96:97], s[94:95]
	v_fma_f64 v[30:31], v[34:35], -v[36:37], v[30:31]
	s_delay_alu instid0(VALU_DEP_2) | instskip(NEXT) | instid1(VALU_DEP_1)
	v_fma_f64 v[41:42], v[26:27], v[41:42], s[98:99]
	v_fma_f64 v[41:42], v[26:27], v[41:42], s[100:101]
	s_delay_alu instid0(VALU_DEP_1) | instskip(NEXT) | instid1(VALU_DEP_1)
	v_fma_f64 v[41:42], v[26:27], v[41:42], s[20:21]
	v_fma_f64 v[41:42], v[45:46], v[41:42], v[43:44]
	s_delay_alu instid0(VALU_DEP_1) | instskip(SKIP_1) | instid1(VALU_DEP_1)
	v_fma_f64 v[36:37], v[26:27], v[41:42], -v[36:37]
	v_fma_f64 v[41:42], v[26:27], s[86:87], s[84:85]
	v_fma_f64 v[41:42], v[26:27], v[41:42], s[88:89]
	s_delay_alu instid0(VALU_DEP_1) | instskip(NEXT) | instid1(VALU_DEP_1)
	v_fma_f64 v[41:42], v[26:27], v[41:42], s[90:91]
	v_fma_f64 v[41:42], v[26:27], v[41:42], s[92:93]
	s_delay_alu instid0(VALU_DEP_1) | instskip(SKIP_1) | instid1(VALU_DEP_1)
	v_fma_f64 v[41:42], v[26:27], v[41:42], s[22:23]
	v_mul_f64 v[26:27], v[26:27], v[26:27]
	v_fma_f64 v[26:27], v[26:27], v[41:42], v[30:31]
	v_fma_f64 v[30:31], v[45:46], s[12:13], v[36:37]
	s_delay_alu instid0(VALU_DEP_2) | instskip(NEXT) | instid1(VALU_DEP_2)
	v_add_f64 v[14:15], v[32:33], v[26:27]
	v_add_f64 v[30:31], v[34:35], -v[30:31]
	v_and_b32_e32 v26, 1, v38
	s_delay_alu instid0(VALU_DEP_1) | instskip(NEXT) | instid1(VALU_DEP_1)
	v_cmp_eq_u32_e64 s0, 0, v26
	v_cndmask_b32_e64 v4, v12, v4, s0
	v_and_b32_e32 v27, 1, v21
	v_cndmask_b32_e64 v5, v13, v5, s0
	s_delay_alu instid0(VALU_DEP_3) | instskip(NEXT) | instid1(VALU_DEP_3)
	v_cndmask_b32_e32 v4, 0, v4, vcc_lo
	v_cmp_eq_u32_e64 s1, 0, v27
	v_and_b32_e32 v27, 0x80000000, v47
	s_delay_alu instid0(VALU_DEP_1) | instskip(NEXT) | instid1(VALU_DEP_1)
	v_xor_b32_e32 v5, v5, v27
	v_cndmask_b32_e32 v5, 0x7ff80000, v5, vcc_lo
	v_xor_b32_e32 v26, 0x80000000, v31
	v_cndmask_b32_e64 v12, v30, v14, s1
	v_lshlrev_b32_e32 v21, 30, v21
	s_delay_alu instid0(VALU_DEP_3) | instskip(NEXT) | instid1(VALU_DEP_2)
	v_cndmask_b32_e64 v15, v26, v15, s1
	v_dual_cndmask_b32 v12, 0, v12 :: v_dual_and_b32 v13, 0x80000000, v21
	s_delay_alu instid0(VALU_DEP_1) | instskip(NEXT) | instid1(VALU_DEP_1)
	v_xor_b32_e32 v13, v15, v13
	v_cndmask_b32_e32 v13, 0x7ff80000, v13, vcc_lo
	s_delay_alu instid0(VALU_DEP_1)
	v_mul_f64 v[12:13], v[4:5], v[12:13]
.LBB100_216:                            ;   in Loop: Header=BB100_180 Depth=1
	s_or_b32 exec_lo, exec_lo, s50
	s_delay_alu instid0(VALU_DEP_1) | instskip(SKIP_2) | instid1(VALU_DEP_3)
	v_bfi_b32 v21, 0x7fffffff, 0, v13
	v_add_co_u32 v6, vcc_lo, v6, 0
	v_add_co_ci_u32_e32 v7, vcc_lo, -2.0, v7, vcc_lo
	v_dual_mov_b32 v4, v20 :: v_dual_mov_b32 v5, v21
.LBB100_217:                            ;   in Loop: Header=BB100_180 Depth=1
	s_or_b32 exec_lo, exec_lo, s25
.LBB100_218:                            ;   in Loop: Header=BB100_180 Depth=1
	s_delay_alu instid0(SALU_CYCLE_1) | instskip(SKIP_3) | instid1(VALU_DEP_1)
	s_or_b32 exec_lo, exec_lo, s24
	s_waitcnt vmcnt(2)
	v_xor_b32_e32 v15, 0x80000000, v19
	s_mov_b32 s0, exec_lo
	v_dual_mov_b32 v14, v18 :: v_dual_and_b32 v21, 0x7fffffff, v15
	s_delay_alu instid0(VALU_DEP_1)
	v_cmpx_gt_u32_e32 0x7ff00000, v21
	s_xor_b32 s1, exec_lo, s0
	s_cbranch_execz .LBB100_240
; %bb.219:                              ;   in Loop: Header=BB100_180 Depth=1
	v_cmp_class_f64_e64 s0, v[16:17], 0x1f8
                                        ; implicit-def: $vgpr12_vgpr13
	s_delay_alu instid0(VALU_DEP_1) | instskip(NEXT) | instid1(SALU_CYCLE_1)
	s_and_saveexec_b32 s2, s0
	s_xor_b32 s24, exec_lo, s2
	s_cbranch_execz .LBB100_237
; %bb.220:                              ;   in Loop: Header=BB100_180 Depth=1
                                        ; implicit-def: $vgpr12_vgpr13
	s_mov_b32 s0, exec_lo
	v_cmpx_gt_u32_e32 0x40360000, v21
	s_xor_b32 s12, exec_lo, s0
	s_cbranch_execz .LBB100_226
; %bb.221:                              ;   in Loop: Header=BB100_180 Depth=1
	v_cmp_ngt_f64_e64 s0, 0x41d00000, |v[16:17]|
                                        ; implicit-def: $vgpr21
                                        ; implicit-def: $vgpr12_vgpr13
                                        ; implicit-def: $vgpr14_vgpr15
	s_delay_alu instid0(VALU_DEP_1) | instskip(NEXT) | instid1(SALU_CYCLE_1)
	s_and_saveexec_b32 s2, s0
	s_xor_b32 s0, exec_lo, s2
	s_cbranch_execz .LBB100_223
; %bb.222:                              ;   in Loop: Header=BB100_180 Depth=1
	v_ldexp_f64 v[12:13], |v[16:17]|, 0xffffff80
	v_cmp_le_f64_e64 vcc_lo, 0x7b000000, |v[16:17]|
	v_trig_preop_f64 v[14:15], |v[16:17]|, 0
	v_and_b32_e32 v21, 0x7fffffff, v17
	v_trig_preop_f64 v[28:29], |v[16:17]|, 1
	v_trig_preop_f64 v[32:33], |v[16:17]|, 2
	s_mov_b32 s2, s4
	s_mov_b32 s11, s7
	v_dual_cndmask_b32 v12, v16, v12 :: v_dual_cndmask_b32 v13, v21, v13
	s_delay_alu instid0(VALU_DEP_1) | instskip(NEXT) | instid1(VALU_DEP_4)
	v_mul_f64 v[26:27], v[14:15], v[12:13]
	v_mul_f64 v[30:31], v[28:29], v[12:13]
	s_delay_alu instid0(VALU_DEP_4) | instskip(NEXT) | instid1(VALU_DEP_3)
	v_mul_f64 v[34:35], v[32:33], v[12:13]
	v_fma_f64 v[14:15], v[14:15], v[12:13], -v[26:27]
	s_delay_alu instid0(VALU_DEP_3) | instskip(NEXT) | instid1(VALU_DEP_3)
	v_fma_f64 v[28:29], v[28:29], v[12:13], -v[30:31]
	v_fma_f64 v[12:13], v[32:33], v[12:13], -v[34:35]
	s_delay_alu instid0(VALU_DEP_3) | instskip(NEXT) | instid1(VALU_DEP_1)
	v_add_f64 v[32:33], v[30:31], v[14:15]
	v_add_f64 v[36:37], v[32:33], -v[30:31]
	s_delay_alu instid0(VALU_DEP_1) | instskip(SKIP_1) | instid1(VALU_DEP_1)
	v_add_f64 v[14:15], v[14:15], -v[36:37]
	v_add_f64 v[36:37], v[32:33], -v[36:37]
	v_add_f64 v[30:31], v[30:31], -v[36:37]
	v_add_f64 v[36:37], v[26:27], v[32:33]
	s_delay_alu instid0(VALU_DEP_2) | instskip(NEXT) | instid1(VALU_DEP_2)
	v_add_f64 v[14:15], v[14:15], v[30:31]
	v_add_f64 v[26:27], v[36:37], -v[26:27]
	v_add_f64 v[30:31], v[34:35], v[28:29]
	v_ldexp_f64 v[36:37], v[36:37], -2
	s_delay_alu instid0(VALU_DEP_3) | instskip(NEXT) | instid1(VALU_DEP_3)
	v_add_f64 v[26:27], v[32:33], -v[26:27]
	v_add_f64 v[32:33], v[30:31], -v[34:35]
	s_delay_alu instid0(VALU_DEP_3) | instskip(SKIP_1) | instid1(VALU_DEP_3)
	v_cmp_neq_f64_e64 vcc_lo, 0x7ff00000, |v[36:37]|
	v_fract_f64_e32 v[36:37], v[36:37]
	v_add_f64 v[28:29], v[28:29], -v[32:33]
	v_add_f64 v[32:33], v[30:31], -v[32:33]
	s_delay_alu instid0(VALU_DEP_3) | instskip(NEXT) | instid1(VALU_DEP_2)
	v_dual_cndmask_b32 v36, 0, v36 :: v_dual_cndmask_b32 v37, 0, v37
	v_add_f64 v[32:33], v[34:35], -v[32:33]
	v_add_f64 v[34:35], v[30:31], v[14:15]
	s_delay_alu instid0(VALU_DEP_2) | instskip(NEXT) | instid1(VALU_DEP_2)
	v_add_f64 v[28:29], v[28:29], v[32:33]
	v_add_f64 v[38:39], v[34:35], -v[30:31]
	v_add_f64 v[32:33], v[26:27], v[34:35]
	s_delay_alu instid0(VALU_DEP_2) | instskip(SKIP_1) | instid1(VALU_DEP_3)
	v_add_f64 v[14:15], v[14:15], -v[38:39]
	v_add_f64 v[38:39], v[34:35], -v[38:39]
	;; [unrolled: 1-line block ×3, first 2 shown]
	s_delay_alu instid0(VALU_DEP_2) | instskip(NEXT) | instid1(VALU_DEP_2)
	v_add_f64 v[30:31], v[30:31], -v[38:39]
	v_add_f64 v[26:27], v[34:35], -v[26:27]
	s_delay_alu instid0(VALU_DEP_2) | instskip(SKIP_1) | instid1(VALU_DEP_2)
	v_add_f64 v[14:15], v[14:15], v[30:31]
	v_ldexp_f64 v[30:31], v[36:37], 2
	v_add_f64 v[14:15], v[28:29], v[14:15]
	s_delay_alu instid0(VALU_DEP_2) | instskip(NEXT) | instid1(VALU_DEP_2)
	v_add_f64 v[36:37], v[32:33], v[30:31]
	v_add_f64 v[12:13], v[12:13], v[14:15]
	s_delay_alu instid0(VALU_DEP_2) | instskip(NEXT) | instid1(VALU_DEP_2)
	v_cmp_gt_f64_e32 vcc_lo, 0, v[36:37]
	v_add_f64 v[12:13], v[26:27], v[12:13]
	v_cndmask_b32_e64 v21, 0, 0x40100000, vcc_lo
	s_delay_alu instid0(VALU_DEP_1) | instskip(NEXT) | instid1(VALU_DEP_1)
	v_add_f64 v[14:15], v[30:31], v[20:21]
	v_add_f64 v[28:29], v[32:33], v[14:15]
	s_delay_alu instid0(VALU_DEP_1) | instskip(NEXT) | instid1(VALU_DEP_1)
	v_cvt_i32_f64_e32 v30, v[28:29]
	v_cvt_f64_i32_e32 v[28:29], v30
	s_delay_alu instid0(VALU_DEP_1) | instskip(NEXT) | instid1(VALU_DEP_1)
	v_add_f64 v[14:15], v[14:15], -v[28:29]
	v_add_f64 v[26:27], v[32:33], v[14:15]
	s_delay_alu instid0(VALU_DEP_1) | instskip(SKIP_1) | instid1(VALU_DEP_2)
	v_add_f64 v[14:15], v[26:27], -v[14:15]
	v_cmp_le_f64_e32 vcc_lo, 0.5, v[26:27]
	v_add_f64 v[14:15], v[32:33], -v[14:15]
	v_cndmask_b32_e64 v21, 0, 0x3ff00000, vcc_lo
	s_delay_alu instid0(VALU_DEP_1) | instskip(SKIP_1) | instid1(VALU_DEP_4)
	v_add_f64 v[26:27], v[26:27], -v[20:21]
	v_add_co_ci_u32_e32 v21, vcc_lo, 0, v30, vcc_lo
	v_add_f64 v[12:13], v[12:13], v[14:15]
	s_delay_alu instid0(VALU_DEP_1) | instskip(NEXT) | instid1(VALU_DEP_1)
	v_add_f64 v[14:15], v[26:27], v[12:13]
	v_add_f64 v[26:27], v[14:15], -v[26:27]
	s_delay_alu instid0(VALU_DEP_1) | instskip(SKIP_1) | instid1(VALU_DEP_1)
	v_add_f64 v[12:13], v[12:13], -v[26:27]
	v_mul_f64 v[26:27], v[14:15], s[2:3]
	v_fma_f64 v[28:29], v[14:15], s[2:3], -v[26:27]
	s_delay_alu instid0(VALU_DEP_1) | instskip(NEXT) | instid1(VALU_DEP_1)
	v_fma_f64 v[14:15], v[14:15], s[10:11], v[28:29]
	v_fma_f64 v[14:15], v[12:13], s[2:3], v[14:15]
	s_delay_alu instid0(VALU_DEP_1) | instskip(NEXT) | instid1(VALU_DEP_1)
	v_add_f64 v[12:13], v[26:27], v[14:15]
	v_add_f64 v[26:27], v[12:13], -v[26:27]
	s_delay_alu instid0(VALU_DEP_1)
	v_add_f64 v[14:15], v[14:15], -v[26:27]
.LBB100_223:                            ;   in Loop: Header=BB100_180 Depth=1
	s_and_not1_saveexec_b32 s0, s0
	s_cbranch_execz .LBB100_225
; %bb.224:                              ;   in Loop: Header=BB100_180 Depth=1
	v_mul_f64 v[12:13], |v[16:17]|, s[14:15]
	s_mov_b32 s6, s16
	s_delay_alu instid0(VALU_DEP_1) | instskip(NEXT) | instid1(VALU_DEP_1)
	v_rndne_f64_e32 v[26:27], v[12:13]
	v_fma_f64 v[12:13], v[26:27], s[4:5], |v[16:17]|
	v_mul_f64 v[14:15], v[26:27], s[16:17]
	v_cvt_i32_f64_e32 v21, v[26:27]
	s_delay_alu instid0(VALU_DEP_3) | instskip(NEXT) | instid1(VALU_DEP_3)
	v_fma_f64 v[30:31], v[26:27], s[16:17], v[12:13]
	v_add_f64 v[28:29], v[12:13], v[14:15]
	s_delay_alu instid0(VALU_DEP_1) | instskip(NEXT) | instid1(VALU_DEP_3)
	v_add_f64 v[12:13], v[12:13], -v[28:29]
	v_add_f64 v[28:29], v[28:29], -v[30:31]
	s_delay_alu instid0(VALU_DEP_2) | instskip(SKIP_1) | instid1(VALU_DEP_2)
	v_add_f64 v[12:13], v[12:13], v[14:15]
	v_fma_f64 v[14:15], v[26:27], s[6:7], v[14:15]
	v_add_f64 v[12:13], v[28:29], v[12:13]
	s_delay_alu instid0(VALU_DEP_1) | instskip(NEXT) | instid1(VALU_DEP_1)
	v_add_f64 v[12:13], v[12:13], -v[14:15]
	v_fma_f64 v[14:15], v[26:27], s[18:19], v[12:13]
	s_delay_alu instid0(VALU_DEP_1) | instskip(NEXT) | instid1(VALU_DEP_1)
	v_add_f64 v[12:13], v[30:31], v[14:15]
	v_add_f64 v[28:29], v[12:13], -v[30:31]
	s_delay_alu instid0(VALU_DEP_1)
	v_add_f64 v[14:15], v[14:15], -v[28:29]
.LBB100_225:                            ;   in Loop: Header=BB100_180 Depth=1
	s_or_b32 exec_lo, exec_lo, s0
	v_add_f64 v[26:27], |v[18:19]|, s[48:49]
	s_mov_b32 s50, s48
	s_mov_b32 s54, s56
	;; [unrolled: 1-line block ×5, first 2 shown]
	v_cmp_nge_f64_e64 vcc_lo, |v[18:19]|, s[82:83]
	v_cmp_gt_f64_e64 s0, 0x3e400000, |v[18:19]|
	s_mov_b32 s26, 0xa9a29f71
	s_mov_b32 s28, 0xc751c08c
	;; [unrolled: 1-line block ×4, first 2 shown]
	s_delay_alu instid0(VALU_DEP_3) | instskip(NEXT) | instid1(VALU_DEP_1)
	v_add_f64 v[28:29], v[26:27], -|v[18:19]|
	v_add_f64 v[30:31], v[28:29], -v[26:27]
	v_add_f64 v[28:29], v[28:29], s[50:51]
	s_delay_alu instid0(VALU_DEP_2) | instskip(NEXT) | instid1(VALU_DEP_1)
	v_add_f64 v[30:31], |v[18:19]|, v[30:31]
	v_add_f64 v[28:29], v[30:31], -v[28:29]
	s_delay_alu instid0(VALU_DEP_1) | instskip(NEXT) | instid1(VALU_DEP_1)
	v_add_f64 v[28:29], v[28:29], s[52:53]
	v_add_f64 v[30:31], v[26:27], v[28:29]
	s_delay_alu instid0(VALU_DEP_1) | instskip(NEXT) | instid1(VALU_DEP_1)
	v_add_f64 v[26:27], v[26:27], -v[30:31]
	v_add_f64 v[26:27], v[28:29], v[26:27]
	v_mul_f64 v[28:29], v[30:31], s[54:55]
	s_delay_alu instid0(VALU_DEP_1) | instskip(NEXT) | instid1(VALU_DEP_1)
	v_rndne_f64_e32 v[28:29], v[28:29]
	v_fma_f64 v[30:31], v[28:29], s[102:103], v[30:31]
	v_cvt_i32_f64_e32 v16, v[28:29]
	s_delay_alu instid0(VALU_DEP_2) | instskip(NEXT) | instid1(VALU_DEP_1)
	v_add_f64 v[32:33], v[26:27], v[30:31]
	v_add_f64 v[30:31], v[30:31], -v[32:33]
	s_delay_alu instid0(VALU_DEP_1) | instskip(SKIP_1) | instid1(VALU_DEP_1)
	v_add_f64 v[26:27], v[26:27], v[30:31]
	v_mul_f64 v[30:31], v[28:29], s[58:59]
	v_add_f64 v[34:35], v[32:33], v[30:31]
	s_delay_alu instid0(VALU_DEP_1) | instskip(NEXT) | instid1(VALU_DEP_1)
	v_add_f64 v[32:33], v[32:33], -v[34:35]
	v_add_f64 v[30:31], v[32:33], v[30:31]
	s_delay_alu instid0(VALU_DEP_1) | instskip(NEXT) | instid1(VALU_DEP_1)
	v_add_f64 v[26:27], v[26:27], v[30:31]
	v_add_f64 v[30:31], v[34:35], v[26:27]
	s_delay_alu instid0(VALU_DEP_1) | instskip(NEXT) | instid1(VALU_DEP_1)
	v_add_f64 v[32:33], v[34:35], -v[30:31]
	v_add_f64 v[26:27], v[26:27], v[32:33]
	v_mul_f64 v[32:33], v[28:29], s[60:61]
	s_delay_alu instid0(VALU_DEP_1) | instskip(NEXT) | instid1(VALU_DEP_1)
	v_add_f64 v[34:35], v[30:31], v[32:33]
	v_add_f64 v[30:31], v[30:31], -v[34:35]
	s_delay_alu instid0(VALU_DEP_1) | instskip(NEXT) | instid1(VALU_DEP_1)
	v_add_f64 v[30:31], v[30:31], v[32:33]
	v_add_f64 v[26:27], v[26:27], v[30:31]
	s_delay_alu instid0(VALU_DEP_1) | instskip(NEXT) | instid1(VALU_DEP_1)
	v_add_f64 v[30:31], v[34:35], v[26:27]
	v_add_f64 v[32:33], v[34:35], -v[30:31]
	s_delay_alu instid0(VALU_DEP_1) | instskip(SKIP_1) | instid1(VALU_DEP_2)
	v_add_f64 v[26:27], v[26:27], v[32:33]
	v_mul_f64 v[32:33], v[30:31], v[30:31]
	v_add_f64 v[36:37], v[26:27], v[26:27]
	s_delay_alu instid0(VALU_DEP_2) | instskip(NEXT) | instid1(VALU_DEP_1)
	v_fma_f64 v[34:35], v[30:31], v[30:31], -v[32:33]
	v_fma_f64 v[34:35], v[30:31], v[36:37], v[34:35]
	s_delay_alu instid0(VALU_DEP_1) | instskip(NEXT) | instid1(VALU_DEP_1)
	v_add_f64 v[36:37], v[32:33], v[34:35]
	v_add_f64 v[32:33], v[36:37], -v[32:33]
	s_delay_alu instid0(VALU_DEP_1) | instskip(SKIP_1) | instid1(VALU_DEP_1)
	v_add_f64 v[32:33], v[34:35], -v[32:33]
	v_fma_f64 v[34:35], v[30:31], s[64:65], s[62:63]
	v_fma_f64 v[34:35], v[30:31], v[34:35], s[66:67]
	s_delay_alu instid0(VALU_DEP_1) | instskip(NEXT) | instid1(VALU_DEP_1)
	v_fma_f64 v[34:35], v[30:31], v[34:35], s[68:69]
	v_fma_f64 v[34:35], v[30:31], v[34:35], s[70:71]
	s_delay_alu instid0(VALU_DEP_1) | instskip(NEXT) | instid1(VALU_DEP_1)
	;; [unrolled: 3-line block ×4, first 2 shown]
	v_fma_f64 v[34:35], v[30:31], v[34:35], s[80:81]
	v_mul_f64 v[38:39], v[36:37], v[34:35]
	s_delay_alu instid0(VALU_DEP_1) | instskip(NEXT) | instid1(VALU_DEP_1)
	v_fma_f64 v[36:37], v[36:37], v[34:35], -v[38:39]
	v_fma_f64 v[32:33], v[32:33], v[34:35], v[36:37]
	s_delay_alu instid0(VALU_DEP_1) | instskip(NEXT) | instid1(VALU_DEP_1)
	v_add_f64 v[34:35], v[38:39], v[32:33]
	v_add_f64 v[36:37], v[34:35], -v[38:39]
	s_delay_alu instid0(VALU_DEP_1) | instskip(SKIP_1) | instid1(VALU_DEP_2)
	v_add_f64 v[32:33], v[32:33], -v[36:37]
	v_add_f64 v[36:37], v[30:31], v[34:35]
	v_add_f64 v[26:27], v[26:27], v[32:33]
	s_delay_alu instid0(VALU_DEP_2) | instskip(NEXT) | instid1(VALU_DEP_1)
	v_add_f64 v[30:31], v[36:37], -v[30:31]
	v_add_f64 v[30:31], v[34:35], -v[30:31]
	s_delay_alu instid0(VALU_DEP_1) | instskip(NEXT) | instid1(VALU_DEP_1)
	v_add_f64 v[26:27], v[26:27], v[30:31]
	v_add_f64 v[30:31], v[36:37], v[26:27]
	s_delay_alu instid0(VALU_DEP_1) | instskip(NEXT) | instid1(VALU_DEP_1)
	v_add_f64 v[32:33], v[30:31], -v[36:37]
	v_add_f64 v[26:27], v[26:27], -v[32:33]
	v_add_f64 v[32:33], v[30:31], 1.0
	s_delay_alu instid0(VALU_DEP_1) | instskip(NEXT) | instid1(VALU_DEP_1)
	v_add_f64 v[34:35], v[32:33], -1.0
	v_add_f64 v[30:31], v[30:31], -v[34:35]
	s_delay_alu instid0(VALU_DEP_1) | instskip(NEXT) | instid1(VALU_DEP_1)
	v_add_f64 v[26:27], v[26:27], v[30:31]
	v_add_f64 v[28:29], v[32:33], v[26:27]
	s_delay_alu instid0(VALU_DEP_1) | instskip(SKIP_1) | instid1(VALU_DEP_2)
	v_add_f64 v[30:31], v[28:29], -v[32:33]
	v_ldexp_f64 v[28:29], v[28:29], v16
	v_add_f64 v[26:27], v[26:27], -v[30:31]
	s_delay_alu instid0(VALU_DEP_2) | instskip(NEXT) | instid1(VALU_DEP_1)
	v_rcp_f64_e32 v[32:33], v[28:29]
	v_ldexp_f64 v[26:27], v[26:27], v16
	v_and_b32_e32 v16, 0x7fffffff, v19
	v_xor_b32_e32 v19, 0x80000000, v19
	s_waitcnt_depctr 0xfff
	v_fma_f64 v[34:35], -v[28:29], v[32:33], 1.0
	s_delay_alu instid0(VALU_DEP_1) | instskip(NEXT) | instid1(VALU_DEP_1)
	v_fma_f64 v[32:33], v[34:35], v[32:33], v[32:33]
	v_fma_f64 v[30:31], -v[28:29], v[32:33], 1.0
	s_delay_alu instid0(VALU_DEP_1) | instskip(NEXT) | instid1(VALU_DEP_1)
	v_fma_f64 v[30:31], v[30:31], v[32:33], v[32:33]
	v_mul_f64 v[32:33], v[28:29], v[30:31]
	s_delay_alu instid0(VALU_DEP_1) | instskip(NEXT) | instid1(VALU_DEP_1)
	v_fma_f64 v[34:35], v[30:31], v[28:29], -v[32:33]
	v_fma_f64 v[34:35], v[30:31], v[26:27], v[34:35]
	s_delay_alu instid0(VALU_DEP_1) | instskip(NEXT) | instid1(VALU_DEP_1)
	v_add_f64 v[36:37], v[32:33], v[34:35]
	v_add_f64 v[32:33], v[36:37], -v[32:33]
	s_delay_alu instid0(VALU_DEP_1) | instskip(SKIP_1) | instid1(VALU_DEP_1)
	v_add_f64 v[32:33], v[32:33], -v[34:35]
	v_add_f64 v[34:35], -v[36:37], 1.0
	v_add_f64 v[38:39], -v[34:35], 1.0
	s_delay_alu instid0(VALU_DEP_1) | instskip(NEXT) | instid1(VALU_DEP_1)
	v_add_f64 v[36:37], v[38:39], -v[36:37]
	v_add_f64 v[32:33], v[32:33], v[36:37]
	s_delay_alu instid0(VALU_DEP_1) | instskip(NEXT) | instid1(VALU_DEP_1)
	v_add_f64 v[36:37], v[34:35], v[32:33]
	v_add_f64 v[34:35], v[34:35], -v[36:37]
	s_delay_alu instid0(VALU_DEP_1) | instskip(SKIP_1) | instid1(VALU_DEP_1)
	v_add_f64 v[32:33], v[32:33], v[34:35]
	v_mul_f64 v[34:35], v[30:31], v[36:37]
	v_mul_f64 v[38:39], v[28:29], v[34:35]
	s_delay_alu instid0(VALU_DEP_1) | instskip(NEXT) | instid1(VALU_DEP_1)
	v_fma_f64 v[40:41], v[34:35], v[28:29], -v[38:39]
	v_fma_f64 v[40:41], v[34:35], v[26:27], v[40:41]
	s_delay_alu instid0(VALU_DEP_1) | instskip(NEXT) | instid1(VALU_DEP_1)
	v_add_f64 v[42:43], v[38:39], v[40:41]
	v_add_f64 v[44:45], v[36:37], -v[42:43]
	v_add_f64 v[38:39], v[42:43], -v[38:39]
	s_delay_alu instid0(VALU_DEP_2) | instskip(NEXT) | instid1(VALU_DEP_2)
	v_add_f64 v[36:37], v[36:37], -v[44:45]
	v_add_f64 v[38:39], v[38:39], -v[40:41]
	s_delay_alu instid0(VALU_DEP_2) | instskip(NEXT) | instid1(VALU_DEP_1)
	v_add_f64 v[36:37], v[36:37], -v[42:43]
	v_add_f64 v[32:33], v[32:33], v[36:37]
	v_add_f64 v[36:37], v[30:31], v[34:35]
	s_delay_alu instid0(VALU_DEP_2) | instskip(NEXT) | instid1(VALU_DEP_2)
	v_add_f64 v[32:33], v[38:39], v[32:33]
	v_add_f64 v[38:39], v[36:37], -v[30:31]
	s_delay_alu instid0(VALU_DEP_2) | instskip(NEXT) | instid1(VALU_DEP_2)
	v_add_f64 v[32:33], v[44:45], v[32:33]
	v_add_f64 v[34:35], v[34:35], -v[38:39]
	s_delay_alu instid0(VALU_DEP_2) | instskip(NEXT) | instid1(VALU_DEP_1)
	v_mul_f64 v[30:31], v[30:31], v[32:33]
	v_add_f64 v[30:31], v[34:35], v[30:31]
	s_delay_alu instid0(VALU_DEP_1) | instskip(NEXT) | instid1(VALU_DEP_1)
	v_add_f64 v[32:33], v[36:37], v[30:31]
	v_add_f64 v[34:35], v[32:33], -v[36:37]
	v_ldexp_f64 v[32:33], v[32:33], -2
	s_delay_alu instid0(VALU_DEP_2) | instskip(NEXT) | instid1(VALU_DEP_2)
	v_add_f64 v[30:31], v[30:31], -v[34:35]
	v_add_f64 v[36:37], v[28:29], -v[32:33]
	s_delay_alu instid0(VALU_DEP_1) | instskip(NEXT) | instid1(VALU_DEP_1)
	v_add_f64 v[28:29], v[28:29], -v[36:37]
	v_add_f64 v[28:29], v[28:29], -v[32:33]
	s_delay_alu instid0(VALU_DEP_1) | instskip(SKIP_1) | instid1(VALU_DEP_1)
	v_add_f64 v[26:27], v[26:27], v[28:29]
	v_ldexp_f64 v[28:29], v[30:31], -2
	v_add_f64 v[26:27], v[26:27], -v[28:29]
	s_delay_alu instid0(VALU_DEP_1) | instskip(SKIP_1) | instid1(VALU_DEP_2)
	v_add_f64 v[26:27], v[36:37], v[26:27]
	v_and_b32_e32 v36, 0x80000000, v17
	v_cndmask_b32_e32 v27, 0x7ff00000, v27, vcc_lo
	s_delay_alu instid0(VALU_DEP_3) | instskip(NEXT) | instid1(VALU_DEP_2)
	v_cndmask_b32_e32 v26, 0, v26, vcc_lo
	v_cndmask_b32_e64 v16, v27, v16, s0
	s_delay_alu instid0(VALU_DEP_2) | instskip(NEXT) | instid1(VALU_DEP_2)
	v_cndmask_b32_e64 v18, v26, v18, s0
	v_bfi_b32 v19, 0x7fffffff, v16, v19
	s_delay_alu instid0(VALU_DEP_1) | instskip(NEXT) | instid1(VALU_DEP_1)
	v_fma_f64 v[26:27], v[18:19], v[18:19], 1.0
	v_cmp_gt_f64_e32 vcc_lo, 0x10000000, v[26:27]
	v_cndmask_b32_e64 v16, 0, 1, vcc_lo
	s_delay_alu instid0(VALU_DEP_1) | instskip(NEXT) | instid1(VALU_DEP_1)
	v_lshlrev_b32_e32 v16, 8, v16
	v_ldexp_f64 v[26:27], v[26:27], v16
	v_mul_f64 v[16:17], v[12:13], v[12:13]
	s_delay_alu instid0(VALU_DEP_2) | instskip(SKIP_3) | instid1(VALU_DEP_1)
	v_rsq_f64_e32 v[28:29], v[26:27]
	s_waitcnt_depctr 0xfff
	v_mul_f64 v[30:31], v[26:27], v[28:29]
	v_mul_f64 v[28:29], v[28:29], 0.5
	v_fma_f64 v[32:33], -v[28:29], v[30:31], 0.5
	s_delay_alu instid0(VALU_DEP_1) | instskip(SKIP_1) | instid1(VALU_DEP_2)
	v_fma_f64 v[30:31], v[30:31], v[32:33], v[30:31]
	v_fma_f64 v[28:29], v[28:29], v[32:33], v[28:29]
	v_fma_f64 v[32:33], -v[30:31], v[30:31], v[26:27]
	s_delay_alu instid0(VALU_DEP_1) | instskip(NEXT) | instid1(VALU_DEP_1)
	v_fma_f64 v[30:31], v[32:33], v[28:29], v[30:31]
	v_fma_f64 v[32:33], -v[30:31], v[30:31], v[26:27]
	s_delay_alu instid0(VALU_DEP_1) | instskip(SKIP_2) | instid1(VALU_DEP_1)
	v_fma_f64 v[28:29], v[32:33], v[28:29], v[30:31]
	v_add_f64 v[30:31], v[14:15], v[14:15]
	v_fma_f64 v[32:33], v[12:13], v[12:13], -v[16:17]
	v_fma_f64 v[30:31], v[12:13], v[30:31], v[32:33]
	s_delay_alu instid0(VALU_DEP_1) | instskip(NEXT) | instid1(VALU_DEP_1)
	v_add_f64 v[16:17], v[16:17], v[30:31]
	v_fma_f64 v[30:31], v[16:17], s[28:29], s[26:27]
	s_mov_b32 s26, 0x90a8aae0
	s_mov_b32 s27, 0x3f17746f
	s_delay_alu instid0(VALU_DEP_1) | instid1(SALU_CYCLE_1)
	v_fma_f64 v[30:31], v[16:17], v[30:31], s[26:27]
	s_mov_b32 s26, 0xa6fbf144
	s_mov_b32 s27, 0xbefbb44d
	s_delay_alu instid0(VALU_DEP_1) | instid1(SALU_CYCLE_1)
	v_fma_f64 v[30:31], v[16:17], v[30:31], s[26:27]
	s_mov_b32 s26, 0xa7943acf
	s_mov_b32 s27, 0x3f21e634
	s_delay_alu instid0(VALU_DEP_1) | instid1(SALU_CYCLE_1)
	v_fma_f64 v[30:31], v[16:17], v[30:31], s[26:27]
	s_mov_b32 s26, 0xdeb68feb
	s_mov_b32 s27, 0x3f2d250f
	s_delay_alu instid0(VALU_DEP_1) | instid1(SALU_CYCLE_1)
	v_fma_f64 v[30:31], v[16:17], v[30:31], s[26:27]
	s_delay_alu instid0(VALU_DEP_1) | instskip(NEXT) | instid1(VALU_DEP_1)
	v_fma_f64 v[30:31], v[16:17], v[30:31], s[30:31]
	v_fma_f64 v[30:31], v[16:17], v[30:31], s[34:35]
	s_delay_alu instid0(VALU_DEP_1) | instskip(NEXT) | instid1(VALU_DEP_1)
	v_fma_f64 v[30:31], v[16:17], v[30:31], s[36:37]
	;; [unrolled: 3-line block ×4, first 2 shown]
	v_fma_f64 v[30:31], v[16:17], v[30:31], s[46:47]
	s_delay_alu instid0(VALU_DEP_1) | instskip(NEXT) | instid1(VALU_DEP_1)
	v_mul_f64 v[16:17], v[16:17], v[30:31]
	v_mul_f64 v[30:31], v[12:13], v[16:17]
	s_delay_alu instid0(VALU_DEP_1) | instskip(NEXT) | instid1(VALU_DEP_1)
	v_fma_f64 v[16:17], v[12:13], v[16:17], -v[30:31]
	v_add_f64 v[14:15], v[14:15], v[16:17]
	v_add_f64 v[16:17], v[12:13], v[30:31]
	s_delay_alu instid0(VALU_DEP_1) | instskip(NEXT) | instid1(VALU_DEP_1)
	v_add_f64 v[12:13], v[16:17], -v[12:13]
	v_add_f64 v[12:13], v[30:31], -v[12:13]
	s_delay_alu instid0(VALU_DEP_1) | instskip(NEXT) | instid1(VALU_DEP_1)
	v_add_f64 v[12:13], v[14:15], v[12:13]
	v_add_f64 v[14:15], v[16:17], v[12:13]
	s_delay_alu instid0(VALU_DEP_1) | instskip(SKIP_1) | instid1(VALU_DEP_1)
	v_rcp_f64_e32 v[30:31], v[14:15]
	v_add_f64 v[16:17], v[14:15], -v[16:17]
	v_add_f64 v[12:13], v[12:13], -v[16:17]
	s_waitcnt_depctr 0xfff
	v_fma_f64 v[32:33], -v[14:15], v[30:31], 1.0
	s_delay_alu instid0(VALU_DEP_1) | instskip(NEXT) | instid1(VALU_DEP_1)
	v_fma_f64 v[30:31], v[32:33], v[30:31], v[30:31]
	v_fma_f64 v[32:33], -v[14:15], v[30:31], 1.0
	s_delay_alu instid0(VALU_DEP_1) | instskip(NEXT) | instid1(VALU_DEP_1)
	v_fma_f64 v[30:31], v[32:33], v[30:31], v[30:31]
	v_mul_f64 v[16:17], v[14:15], v[30:31]
	s_delay_alu instid0(VALU_DEP_1) | instskip(NEXT) | instid1(VALU_DEP_1)
	v_fma_f64 v[32:33], v[30:31], v[14:15], -v[16:17]
	v_fma_f64 v[12:13], v[30:31], v[12:13], v[32:33]
	s_delay_alu instid0(VALU_DEP_1) | instskip(NEXT) | instid1(VALU_DEP_1)
	v_add_f64 v[32:33], v[16:17], v[12:13]
	v_add_f64 v[16:17], v[32:33], -v[16:17]
	s_delay_alu instid0(VALU_DEP_1) | instskip(SKIP_1) | instid1(VALU_DEP_1)
	v_add_f64 v[12:13], v[16:17], -v[12:13]
	v_add_f64 v[16:17], -v[32:33], 1.0
	v_add_f64 v[34:35], -v[16:17], 1.0
	s_delay_alu instid0(VALU_DEP_1) | instskip(NEXT) | instid1(VALU_DEP_1)
	v_add_f64 v[32:33], v[34:35], -v[32:33]
	v_add_f64 v[12:13], v[12:13], v[32:33]
	s_delay_alu instid0(VALU_DEP_1) | instskip(SKIP_1) | instid1(VALU_DEP_1)
	v_add_f64 v[12:13], v[16:17], v[12:13]
	v_and_b32_e32 v16, 1, v21
	v_cmp_eq_u32_e64 s0, 0, v16
	s_delay_alu instid0(VALU_DEP_3) | instskip(NEXT) | instid1(VALU_DEP_1)
	v_mul_f64 v[12:13], v[30:31], v[12:13]
	v_add_f64 v[12:13], v[30:31], v[12:13]
	s_delay_alu instid0(VALU_DEP_1) | instskip(NEXT) | instid1(VALU_DEP_2)
	v_xor_b32_e32 v13, 0x80000000, v13
	v_cndmask_b32_e64 v12, v12, v14, s0
	s_delay_alu instid0(VALU_DEP_2) | instskip(SKIP_2) | instid1(VALU_DEP_3)
	v_cndmask_b32_e64 v13, v13, v15, s0
	v_cndmask_b32_e64 v15, 0, 0xffffff80, vcc_lo
	v_cmp_class_f64_e64 vcc_lo, v[26:27], 0x260
	v_xor_b32_e32 v13, v13, v36
	s_delay_alu instid0(VALU_DEP_3) | instskip(NEXT) | instid1(VALU_DEP_2)
	v_ldexp_f64 v[14:15], v[28:29], v15
	v_fma_f64 v[16:17], v[12:13], v[12:13], 1.0
	s_delay_alu instid0(VALU_DEP_2) | instskip(NEXT) | instid1(VALU_DEP_2)
	v_dual_cndmask_b32 v15, v15, v27 :: v_dual_cndmask_b32 v14, v14, v26
	v_mul_f64 v[26:27], v[18:19], v[16:17]
	s_delay_alu instid0(VALU_DEP_2) | instskip(NEXT) | instid1(VALU_DEP_2)
	v_mul_f64 v[14:15], v[14:15], v[16:17]
	v_fma_f64 v[16:17], v[18:19], v[26:27], 1.0
	s_delay_alu instid0(VALU_DEP_2) | instskip(NEXT) | instid1(VALU_DEP_1)
	v_mul_f64 v[14:15], v[18:19], v[14:15]
	v_div_scale_f64 v[18:19], null, v[16:17], v[16:17], v[14:15]
	s_delay_alu instid0(VALU_DEP_1) | instskip(SKIP_2) | instid1(VALU_DEP_1)
	v_rcp_f64_e32 v[26:27], v[18:19]
	s_waitcnt_depctr 0xfff
	v_fma_f64 v[28:29], -v[18:19], v[26:27], 1.0
	v_fma_f64 v[26:27], v[26:27], v[28:29], v[26:27]
	s_delay_alu instid0(VALU_DEP_1) | instskip(NEXT) | instid1(VALU_DEP_1)
	v_fma_f64 v[28:29], -v[18:19], v[26:27], 1.0
	v_fma_f64 v[26:27], v[26:27], v[28:29], v[26:27]
	v_div_scale_f64 v[28:29], vcc_lo, v[14:15], v[16:17], v[14:15]
	s_delay_alu instid0(VALU_DEP_1) | instskip(NEXT) | instid1(VALU_DEP_1)
	v_mul_f64 v[30:31], v[28:29], v[26:27]
	v_fma_f64 v[18:19], -v[18:19], v[30:31], v[28:29]
	s_delay_alu instid0(VALU_DEP_1) | instskip(SKIP_1) | instid1(VALU_DEP_2)
	v_div_fmas_f64 v[18:19], v[18:19], v[26:27], v[30:31]
	v_div_scale_f64 v[26:27], null, v[16:17], v[16:17], v[12:13]
	v_div_fixup_f64 v[14:15], v[18:19], v[16:17], v[14:15]
	s_delay_alu instid0(VALU_DEP_2) | instskip(SKIP_2) | instid1(VALU_DEP_1)
	v_rcp_f64_e32 v[28:29], v[26:27]
	s_waitcnt_depctr 0xfff
	v_fma_f64 v[30:31], -v[26:27], v[28:29], 1.0
	v_fma_f64 v[28:29], v[28:29], v[30:31], v[28:29]
	s_delay_alu instid0(VALU_DEP_1) | instskip(NEXT) | instid1(VALU_DEP_1)
	v_fma_f64 v[30:31], -v[26:27], v[28:29], 1.0
	v_fma_f64 v[28:29], v[28:29], v[30:31], v[28:29]
	v_div_scale_f64 v[30:31], vcc_lo, v[12:13], v[16:17], v[12:13]
	s_delay_alu instid0(VALU_DEP_1) | instskip(NEXT) | instid1(VALU_DEP_1)
	v_mul_f64 v[32:33], v[30:31], v[28:29]
	v_fma_f64 v[26:27], -v[26:27], v[32:33], v[30:31]
	s_delay_alu instid0(VALU_DEP_1) | instskip(NEXT) | instid1(VALU_DEP_1)
	v_div_fmas_f64 v[26:27], v[26:27], v[28:29], v[32:33]
	v_div_fixup_f64 v[12:13], v[26:27], v[16:17], v[12:13]
                                        ; implicit-def: $vgpr16_vgpr17
.LBB100_226:                            ;   in Loop: Header=BB100_180 Depth=1
	s_and_not1_saveexec_b32 s0, s12
	s_cbranch_execz .LBB100_236
; %bb.227:                              ;   in Loop: Header=BB100_180 Depth=1
	v_cmp_ngt_f64_e64 s12, 0x41d00000, |v[16:17]|
                                        ; implicit-def: $vgpr30
                                        ; implicit-def: $vgpr12_vgpr13
                                        ; implicit-def: $vgpr14_vgpr15
	s_delay_alu instid0(VALU_DEP_1) | instskip(NEXT) | instid1(SALU_CYCLE_1)
	s_and_saveexec_b32 s2, s12
	s_xor_b32 s6, exec_lo, s2
	s_cbranch_execz .LBB100_229
; %bb.228:                              ;   in Loop: Header=BB100_180 Depth=1
	v_ldexp_f64 v[12:13], |v[16:17]|, 0xffffff80
	v_cmp_le_f64_e64 vcc_lo, 0x7b000000, |v[16:17]|
	v_trig_preop_f64 v[14:15], |v[16:17]|, 0
	v_and_b32_e32 v21, 0x7fffffff, v17
	v_trig_preop_f64 v[28:29], |v[16:17]|, 1
	v_trig_preop_f64 v[32:33], |v[16:17]|, 2
	s_mov_b32 s2, s4
	s_mov_b32 s11, s7
	v_dual_cndmask_b32 v12, v16, v12 :: v_dual_cndmask_b32 v13, v21, v13
	s_delay_alu instid0(VALU_DEP_1) | instskip(NEXT) | instid1(VALU_DEP_4)
	v_mul_f64 v[26:27], v[14:15], v[12:13]
	v_mul_f64 v[30:31], v[28:29], v[12:13]
	s_delay_alu instid0(VALU_DEP_4) | instskip(NEXT) | instid1(VALU_DEP_3)
	v_mul_f64 v[34:35], v[32:33], v[12:13]
	v_fma_f64 v[14:15], v[14:15], v[12:13], -v[26:27]
	s_delay_alu instid0(VALU_DEP_3) | instskip(NEXT) | instid1(VALU_DEP_3)
	v_fma_f64 v[28:29], v[28:29], v[12:13], -v[30:31]
	v_fma_f64 v[12:13], v[32:33], v[12:13], -v[34:35]
	s_delay_alu instid0(VALU_DEP_3) | instskip(NEXT) | instid1(VALU_DEP_1)
	v_add_f64 v[32:33], v[30:31], v[14:15]
	v_add_f64 v[36:37], v[32:33], -v[30:31]
	s_delay_alu instid0(VALU_DEP_1) | instskip(SKIP_1) | instid1(VALU_DEP_1)
	v_add_f64 v[14:15], v[14:15], -v[36:37]
	v_add_f64 v[36:37], v[32:33], -v[36:37]
	;; [unrolled: 1-line block ×3, first 2 shown]
	v_add_f64 v[36:37], v[26:27], v[32:33]
	s_delay_alu instid0(VALU_DEP_2) | instskip(NEXT) | instid1(VALU_DEP_2)
	v_add_f64 v[14:15], v[14:15], v[30:31]
	v_add_f64 v[26:27], v[36:37], -v[26:27]
	v_add_f64 v[30:31], v[34:35], v[28:29]
	v_ldexp_f64 v[36:37], v[36:37], -2
	s_delay_alu instid0(VALU_DEP_3) | instskip(NEXT) | instid1(VALU_DEP_3)
	v_add_f64 v[26:27], v[32:33], -v[26:27]
	v_add_f64 v[32:33], v[30:31], -v[34:35]
	s_delay_alu instid0(VALU_DEP_3) | instskip(SKIP_1) | instid1(VALU_DEP_3)
	v_cmp_neq_f64_e64 vcc_lo, 0x7ff00000, |v[36:37]|
	v_fract_f64_e32 v[36:37], v[36:37]
	v_add_f64 v[28:29], v[28:29], -v[32:33]
	v_add_f64 v[32:33], v[30:31], -v[32:33]
	s_delay_alu instid0(VALU_DEP_3) | instskip(NEXT) | instid1(VALU_DEP_2)
	v_dual_cndmask_b32 v36, 0, v36 :: v_dual_cndmask_b32 v37, 0, v37
	v_add_f64 v[32:33], v[34:35], -v[32:33]
	v_add_f64 v[34:35], v[30:31], v[14:15]
	s_delay_alu instid0(VALU_DEP_2) | instskip(NEXT) | instid1(VALU_DEP_2)
	v_add_f64 v[28:29], v[28:29], v[32:33]
	v_add_f64 v[38:39], v[34:35], -v[30:31]
	v_add_f64 v[32:33], v[26:27], v[34:35]
	s_delay_alu instid0(VALU_DEP_2) | instskip(SKIP_1) | instid1(VALU_DEP_3)
	v_add_f64 v[14:15], v[14:15], -v[38:39]
	v_add_f64 v[38:39], v[34:35], -v[38:39]
	;; [unrolled: 1-line block ×3, first 2 shown]
	s_delay_alu instid0(VALU_DEP_2) | instskip(NEXT) | instid1(VALU_DEP_2)
	v_add_f64 v[30:31], v[30:31], -v[38:39]
	v_add_f64 v[26:27], v[34:35], -v[26:27]
	s_delay_alu instid0(VALU_DEP_2) | instskip(SKIP_1) | instid1(VALU_DEP_2)
	v_add_f64 v[14:15], v[14:15], v[30:31]
	v_ldexp_f64 v[30:31], v[36:37], 2
	v_add_f64 v[14:15], v[28:29], v[14:15]
	s_delay_alu instid0(VALU_DEP_2) | instskip(NEXT) | instid1(VALU_DEP_2)
	v_add_f64 v[36:37], v[32:33], v[30:31]
	v_add_f64 v[12:13], v[12:13], v[14:15]
	s_delay_alu instid0(VALU_DEP_2) | instskip(NEXT) | instid1(VALU_DEP_2)
	v_cmp_gt_f64_e32 vcc_lo, 0, v[36:37]
	v_add_f64 v[12:13], v[26:27], v[12:13]
	v_cndmask_b32_e64 v21, 0, 0x40100000, vcc_lo
	s_delay_alu instid0(VALU_DEP_1) | instskip(NEXT) | instid1(VALU_DEP_1)
	v_add_f64 v[14:15], v[30:31], v[20:21]
	v_add_f64 v[28:29], v[32:33], v[14:15]
	s_delay_alu instid0(VALU_DEP_1) | instskip(NEXT) | instid1(VALU_DEP_1)
	v_cvt_i32_f64_e32 v30, v[28:29]
	v_cvt_f64_i32_e32 v[28:29], v30
	s_delay_alu instid0(VALU_DEP_1) | instskip(NEXT) | instid1(VALU_DEP_1)
	v_add_f64 v[14:15], v[14:15], -v[28:29]
	v_add_f64 v[26:27], v[32:33], v[14:15]
	s_delay_alu instid0(VALU_DEP_1) | instskip(SKIP_1) | instid1(VALU_DEP_2)
	v_add_f64 v[14:15], v[26:27], -v[14:15]
	v_cmp_le_f64_e32 vcc_lo, 0.5, v[26:27]
	v_add_f64 v[14:15], v[32:33], -v[14:15]
	v_cndmask_b32_e64 v21, 0, 0x3ff00000, vcc_lo
	v_add_co_ci_u32_e32 v30, vcc_lo, 0, v30, vcc_lo
	s_delay_alu instid0(VALU_DEP_2) | instskip(NEXT) | instid1(VALU_DEP_4)
	v_add_f64 v[26:27], v[26:27], -v[20:21]
	v_add_f64 v[12:13], v[12:13], v[14:15]
	s_delay_alu instid0(VALU_DEP_1) | instskip(NEXT) | instid1(VALU_DEP_1)
	v_add_f64 v[14:15], v[26:27], v[12:13]
	v_add_f64 v[26:27], v[14:15], -v[26:27]
	s_delay_alu instid0(VALU_DEP_1) | instskip(SKIP_1) | instid1(VALU_DEP_1)
	v_add_f64 v[12:13], v[12:13], -v[26:27]
	v_mul_f64 v[26:27], v[14:15], s[2:3]
	v_fma_f64 v[28:29], v[14:15], s[2:3], -v[26:27]
	s_delay_alu instid0(VALU_DEP_1) | instskip(NEXT) | instid1(VALU_DEP_1)
	v_fma_f64 v[14:15], v[14:15], s[10:11], v[28:29]
	v_fma_f64 v[14:15], v[12:13], s[2:3], v[14:15]
	s_delay_alu instid0(VALU_DEP_1) | instskip(NEXT) | instid1(VALU_DEP_1)
	v_add_f64 v[12:13], v[26:27], v[14:15]
	v_add_f64 v[26:27], v[12:13], -v[26:27]
	s_delay_alu instid0(VALU_DEP_1)
	v_add_f64 v[14:15], v[14:15], -v[26:27]
	s_and_not1_saveexec_b32 s2, s6
	s_cbranch_execz .LBB100_231
	s_branch .LBB100_230
.LBB100_229:                            ;   in Loop: Header=BB100_180 Depth=1
	s_and_not1_saveexec_b32 s2, s6
	s_cbranch_execz .LBB100_231
.LBB100_230:                            ;   in Loop: Header=BB100_180 Depth=1
	v_mul_f64 v[12:13], |v[16:17]|, s[14:15]
	s_mov_b32 s6, s16
	s_delay_alu instid0(VALU_DEP_1) | instskip(NEXT) | instid1(VALU_DEP_1)
	v_rndne_f64_e32 v[26:27], v[12:13]
	v_fma_f64 v[12:13], v[26:27], s[4:5], |v[16:17]|
	v_mul_f64 v[14:15], v[26:27], s[16:17]
	s_delay_alu instid0(VALU_DEP_2) | instskip(NEXT) | instid1(VALU_DEP_2)
	v_fma_f64 v[30:31], v[26:27], s[16:17], v[12:13]
	v_add_f64 v[28:29], v[12:13], v[14:15]
	s_delay_alu instid0(VALU_DEP_1) | instskip(NEXT) | instid1(VALU_DEP_3)
	v_add_f64 v[12:13], v[12:13], -v[28:29]
	v_add_f64 v[28:29], v[28:29], -v[30:31]
	s_delay_alu instid0(VALU_DEP_2) | instskip(SKIP_1) | instid1(VALU_DEP_2)
	v_add_f64 v[12:13], v[12:13], v[14:15]
	v_fma_f64 v[14:15], v[26:27], s[6:7], v[14:15]
	v_add_f64 v[12:13], v[28:29], v[12:13]
	s_delay_alu instid0(VALU_DEP_1) | instskip(NEXT) | instid1(VALU_DEP_1)
	v_add_f64 v[12:13], v[12:13], -v[14:15]
	v_fma_f64 v[14:15], v[26:27], s[18:19], v[12:13]
	s_delay_alu instid0(VALU_DEP_1) | instskip(NEXT) | instid1(VALU_DEP_1)
	v_add_f64 v[12:13], v[30:31], v[14:15]
	v_add_f64 v[28:29], v[12:13], -v[30:31]
	v_cvt_i32_f64_e32 v30, v[26:27]
	s_delay_alu instid0(VALU_DEP_2)
	v_add_f64 v[14:15], v[14:15], -v[28:29]
.LBB100_231:                            ;   in Loop: Header=BB100_180 Depth=1
	s_or_b32 exec_lo, exec_lo, s2
                                        ; implicit-def: $vgpr21
                                        ; implicit-def: $vgpr26_vgpr27
                                        ; implicit-def: $vgpr28_vgpr29
	s_and_saveexec_b32 s2, s12
	s_delay_alu instid0(SALU_CYCLE_1)
	s_xor_b32 s6, exec_lo, s2
	s_cbranch_execz .LBB100_233
; %bb.232:                              ;   in Loop: Header=BB100_180 Depth=1
	v_ldexp_f64 v[26:27], |v[16:17]|, 0xffffff80
	v_cmp_le_f64_e64 vcc_lo, 0x7b000000, |v[16:17]|
	v_trig_preop_f64 v[28:29], |v[16:17]|, 0
	v_and_b32_e32 v21, 0x7fffffff, v17
	v_trig_preop_f64 v[33:34], |v[16:17]|, 1
	v_trig_preop_f64 v[37:38], |v[16:17]|, 2
	s_mov_b32 s2, s4
	s_mov_b32 s11, s7
	v_dual_cndmask_b32 v26, v16, v26 :: v_dual_cndmask_b32 v27, v21, v27
	s_delay_alu instid0(VALU_DEP_1) | instskip(NEXT) | instid1(VALU_DEP_4)
	v_mul_f64 v[31:32], v[28:29], v[26:27]
	v_mul_f64 v[35:36], v[33:34], v[26:27]
	s_delay_alu instid0(VALU_DEP_4) | instskip(NEXT) | instid1(VALU_DEP_3)
	v_mul_f64 v[39:40], v[37:38], v[26:27]
	v_fma_f64 v[28:29], v[28:29], v[26:27], -v[31:32]
	s_delay_alu instid0(VALU_DEP_3) | instskip(NEXT) | instid1(VALU_DEP_3)
	v_fma_f64 v[33:34], v[33:34], v[26:27], -v[35:36]
	v_fma_f64 v[26:27], v[37:38], v[26:27], -v[39:40]
	s_delay_alu instid0(VALU_DEP_3) | instskip(NEXT) | instid1(VALU_DEP_1)
	v_add_f64 v[37:38], v[35:36], v[28:29]
	v_add_f64 v[41:42], v[37:38], -v[35:36]
	s_delay_alu instid0(VALU_DEP_1) | instskip(SKIP_1) | instid1(VALU_DEP_1)
	v_add_f64 v[28:29], v[28:29], -v[41:42]
	v_add_f64 v[41:42], v[37:38], -v[41:42]
	;; [unrolled: 1-line block ×3, first 2 shown]
	v_add_f64 v[41:42], v[31:32], v[37:38]
	s_delay_alu instid0(VALU_DEP_2) | instskip(NEXT) | instid1(VALU_DEP_2)
	v_add_f64 v[28:29], v[28:29], v[35:36]
	v_add_f64 v[31:32], v[41:42], -v[31:32]
	v_add_f64 v[35:36], v[39:40], v[33:34]
	v_ldexp_f64 v[41:42], v[41:42], -2
	s_delay_alu instid0(VALU_DEP_3) | instskip(NEXT) | instid1(VALU_DEP_3)
	v_add_f64 v[31:32], v[37:38], -v[31:32]
	v_add_f64 v[37:38], v[35:36], -v[39:40]
	s_delay_alu instid0(VALU_DEP_3) | instskip(SKIP_1) | instid1(VALU_DEP_3)
	v_cmp_neq_f64_e64 vcc_lo, 0x7ff00000, |v[41:42]|
	v_fract_f64_e32 v[41:42], v[41:42]
	v_add_f64 v[33:34], v[33:34], -v[37:38]
	v_add_f64 v[37:38], v[35:36], -v[37:38]
	s_delay_alu instid0(VALU_DEP_3) | instskip(NEXT) | instid1(VALU_DEP_2)
	v_dual_cndmask_b32 v42, 0, v42 :: v_dual_cndmask_b32 v41, 0, v41
	v_add_f64 v[37:38], v[39:40], -v[37:38]
	v_add_f64 v[39:40], v[35:36], v[28:29]
	s_delay_alu instid0(VALU_DEP_2) | instskip(NEXT) | instid1(VALU_DEP_2)
	v_add_f64 v[33:34], v[33:34], v[37:38]
	v_add_f64 v[43:44], v[39:40], -v[35:36]
	v_add_f64 v[37:38], v[31:32], v[39:40]
	s_delay_alu instid0(VALU_DEP_2) | instskip(SKIP_1) | instid1(VALU_DEP_3)
	v_add_f64 v[28:29], v[28:29], -v[43:44]
	v_add_f64 v[43:44], v[39:40], -v[43:44]
	;; [unrolled: 1-line block ×3, first 2 shown]
	s_delay_alu instid0(VALU_DEP_2) | instskip(NEXT) | instid1(VALU_DEP_2)
	v_add_f64 v[35:36], v[35:36], -v[43:44]
	v_add_f64 v[31:32], v[39:40], -v[31:32]
	s_delay_alu instid0(VALU_DEP_2) | instskip(SKIP_1) | instid1(VALU_DEP_2)
	v_add_f64 v[28:29], v[28:29], v[35:36]
	v_ldexp_f64 v[35:36], v[41:42], 2
	v_add_f64 v[28:29], v[33:34], v[28:29]
	s_delay_alu instid0(VALU_DEP_2) | instskip(NEXT) | instid1(VALU_DEP_2)
	v_add_f64 v[41:42], v[37:38], v[35:36]
	v_add_f64 v[26:27], v[26:27], v[28:29]
	s_delay_alu instid0(VALU_DEP_2) | instskip(NEXT) | instid1(VALU_DEP_2)
	v_cmp_gt_f64_e32 vcc_lo, 0, v[41:42]
	v_add_f64 v[26:27], v[31:32], v[26:27]
	v_cndmask_b32_e64 v21, 0, 0x40100000, vcc_lo
	s_delay_alu instid0(VALU_DEP_1) | instskip(NEXT) | instid1(VALU_DEP_1)
	v_add_f64 v[28:29], v[35:36], v[20:21]
	v_add_f64 v[33:34], v[37:38], v[28:29]
	s_delay_alu instid0(VALU_DEP_1) | instskip(NEXT) | instid1(VALU_DEP_1)
	v_cvt_i32_f64_e32 v35, v[33:34]
	v_cvt_f64_i32_e32 v[33:34], v35
	s_delay_alu instid0(VALU_DEP_1) | instskip(NEXT) | instid1(VALU_DEP_1)
	v_add_f64 v[28:29], v[28:29], -v[33:34]
	v_add_f64 v[31:32], v[37:38], v[28:29]
	s_delay_alu instid0(VALU_DEP_1) | instskip(SKIP_1) | instid1(VALU_DEP_2)
	v_add_f64 v[28:29], v[31:32], -v[28:29]
	v_cmp_le_f64_e32 vcc_lo, 0.5, v[31:32]
	v_add_f64 v[28:29], v[37:38], -v[28:29]
	v_cndmask_b32_e64 v21, 0, 0x3ff00000, vcc_lo
	s_delay_alu instid0(VALU_DEP_1) | instskip(SKIP_1) | instid1(VALU_DEP_4)
	v_add_f64 v[31:32], v[31:32], -v[20:21]
	v_add_co_ci_u32_e32 v21, vcc_lo, 0, v35, vcc_lo
	v_add_f64 v[26:27], v[26:27], v[28:29]
	s_delay_alu instid0(VALU_DEP_1) | instskip(NEXT) | instid1(VALU_DEP_1)
	v_add_f64 v[28:29], v[31:32], v[26:27]
	v_add_f64 v[31:32], v[28:29], -v[31:32]
	s_delay_alu instid0(VALU_DEP_1) | instskip(SKIP_1) | instid1(VALU_DEP_1)
	v_add_f64 v[26:27], v[26:27], -v[31:32]
	v_mul_f64 v[31:32], v[28:29], s[2:3]
	v_fma_f64 v[33:34], v[28:29], s[2:3], -v[31:32]
	s_delay_alu instid0(VALU_DEP_1) | instskip(NEXT) | instid1(VALU_DEP_1)
	v_fma_f64 v[28:29], v[28:29], s[10:11], v[33:34]
	v_fma_f64 v[28:29], v[26:27], s[2:3], v[28:29]
	s_delay_alu instid0(VALU_DEP_1) | instskip(NEXT) | instid1(VALU_DEP_1)
	v_add_f64 v[26:27], v[31:32], v[28:29]
	v_add_f64 v[31:32], v[26:27], -v[31:32]
	s_delay_alu instid0(VALU_DEP_1)
	v_add_f64 v[28:29], v[28:29], -v[31:32]
	s_and_not1_saveexec_b32 s2, s6
	s_cbranch_execnz .LBB100_234
	s_branch .LBB100_235
.LBB100_233:                            ;   in Loop: Header=BB100_180 Depth=1
	s_and_not1_saveexec_b32 s2, s6
	s_cbranch_execz .LBB100_235
.LBB100_234:                            ;   in Loop: Header=BB100_180 Depth=1
	v_mul_f64 v[26:27], |v[16:17]|, s[14:15]
	s_mov_b32 s6, s16
	s_delay_alu instid0(VALU_DEP_1) | instskip(NEXT) | instid1(VALU_DEP_1)
	v_rndne_f64_e32 v[31:32], v[26:27]
	v_fma_f64 v[26:27], v[31:32], s[4:5], |v[16:17]|
	v_mul_f64 v[28:29], v[31:32], s[16:17]
	v_cvt_i32_f64_e32 v21, v[31:32]
	s_delay_alu instid0(VALU_DEP_3) | instskip(NEXT) | instid1(VALU_DEP_3)
	v_fma_f64 v[35:36], v[31:32], s[16:17], v[26:27]
	v_add_f64 v[33:34], v[26:27], v[28:29]
	s_delay_alu instid0(VALU_DEP_1) | instskip(NEXT) | instid1(VALU_DEP_3)
	v_add_f64 v[26:27], v[26:27], -v[33:34]
	v_add_f64 v[33:34], v[33:34], -v[35:36]
	s_delay_alu instid0(VALU_DEP_2) | instskip(SKIP_1) | instid1(VALU_DEP_2)
	v_add_f64 v[26:27], v[26:27], v[28:29]
	v_fma_f64 v[28:29], v[31:32], s[6:7], v[28:29]
	v_add_f64 v[26:27], v[33:34], v[26:27]
	s_delay_alu instid0(VALU_DEP_1) | instskip(NEXT) | instid1(VALU_DEP_1)
	v_add_f64 v[26:27], v[26:27], -v[28:29]
	v_fma_f64 v[28:29], v[31:32], s[18:19], v[26:27]
	s_delay_alu instid0(VALU_DEP_1) | instskip(NEXT) | instid1(VALU_DEP_1)
	v_add_f64 v[26:27], v[35:36], v[28:29]
	v_add_f64 v[33:34], v[26:27], -v[35:36]
	s_delay_alu instid0(VALU_DEP_1)
	v_add_f64 v[28:29], v[28:29], -v[33:34]
.LBB100_235:                            ;   in Loop: Header=BB100_180 Depth=1
	s_or_b32 exec_lo, exec_lo, s2
	v_mul_f64 v[31:32], |v[18:19]|, s[56:57]
	s_delay_alu instid0(VALU_DEP_3) | instskip(SKIP_1) | instid1(VALU_DEP_4)
	v_mul_f64 v[37:38], v[12:13], v[12:13]
	v_mul_f64 v[39:40], v[26:27], v[26:27]
	v_mul_f64 v[55:56], v[14:15], 0.5
	v_mul_f64 v[63:64], v[28:29], 0.5
	s_mov_b32 s75, s21
	s_mov_b32 s77, s23
	;; [unrolled: 1-line block ×4, first 2 shown]
	v_rndne_f64_e32 v[31:32], v[31:32]
	v_fma_f64 v[41:42], v[37:38], s[96:97], s[94:95]
	v_fma_f64 v[43:44], v[39:40], s[96:97], s[94:95]
	;; [unrolled: 1-line block ×3, first 2 shown]
	v_mul_f64 v[47:48], v[37:38], 0.5
	v_mul_f64 v[49:50], v[39:40], 0.5
	v_fma_f64 v[51:52], v[39:40], s[86:87], s[84:85]
	v_mul_f64 v[57:58], v[12:13], -v[37:38]
	v_mul_f64 v[65:66], v[26:27], -v[39:40]
	v_fma_f64 v[33:34], v[31:32], s[48:49], -|v[18:19]|
	v_fma_f64 v[41:42], v[37:38], v[41:42], s[98:99]
	v_fma_f64 v[43:44], v[39:40], v[43:44], s[98:99]
	;; [unrolled: 1-line block ×3, first 2 shown]
	v_add_f64 v[53:54], -v[47:48], 1.0
	v_add_f64 v[59:60], -v[49:50], 1.0
	v_fma_f64 v[51:52], v[39:40], v[51:52], s[88:89]
	v_fma_f64 v[33:34], v[31:32], s[52:53], v[33:34]
	;; [unrolled: 1-line block ×5, first 2 shown]
	v_add_f64 v[61:62], -v[53:54], 1.0
	v_add_f64 v[67:68], -v[59:60], 1.0
	v_fma_f64 v[51:52], v[39:40], v[51:52], s[90:91]
	v_fma_f64 v[35:36], v[33:34], s[64:65], s[62:63]
	;; [unrolled: 1-line block ×5, first 2 shown]
	v_add_f64 v[47:48], v[61:62], -v[47:48]
	v_add_f64 v[49:50], v[67:68], -v[49:50]
	v_fma_f64 v[51:52], v[39:40], v[51:52], s[92:93]
	v_fma_f64 v[35:36], v[33:34], v[35:36], s[66:67]
	;; [unrolled: 1-line block ×4, first 2 shown]
	v_mul_f64 v[55:56], v[37:38], v[37:38]
	v_fma_f64 v[45:46], v[37:38], v[45:46], s[22:23]
	v_fma_f64 v[47:48], v[12:13], -v[14:15], v[47:48]
	v_fma_f64 v[35:36], v[33:34], v[35:36], s[68:69]
	v_fma_f64 v[14:15], v[37:38], v[41:42], -v[14:15]
	v_fma_f64 v[37:38], v[39:40], v[43:44], -v[28:29]
	v_mul_f64 v[41:42], v[39:40], v[39:40]
	v_fma_f64 v[39:40], v[39:40], v[51:52], s[22:23]
	v_fma_f64 v[28:29], v[26:27], -v[28:29], v[49:50]
	v_fma_f64 v[43:44], v[55:56], v[45:46], v[47:48]
	v_fma_f64 v[35:36], v[33:34], v[35:36], s[70:71]
	;; [unrolled: 1-line block ×5, first 2 shown]
	v_add_f64 v[39:40], v[53:54], v[43:44]
	v_fma_f64 v[35:36], v[33:34], v[35:36], s[72:73]
	v_add_f64 v[12:13], v[12:13], -v[14:15]
	v_add_f64 v[26:27], v[26:27], -v[37:38]
	v_lshlrev_b32_e32 v16, 30, v30
	s_delay_alu instid0(VALU_DEP_4) | instskip(NEXT) | instid1(VALU_DEP_3)
	v_fma_f64 v[35:36], v[33:34], v[35:36], s[74:75]
	v_xor_b32_e32 v27, 0x80000000, v27
	v_and_b32_e32 v30, 1, v30
	s_delay_alu instid0(VALU_DEP_1) | instskip(SKIP_2) | instid1(VALU_DEP_1)
	v_cmp_eq_u32_e32 vcc_lo, 0, v30
	v_dual_cndmask_b32 v13, v40, v13 :: v_dual_cndmask_b32 v12, v39, v12
	v_fma_f64 v[35:36], v[33:34], v[35:36], s[76:77]
	v_fma_f64 v[35:36], v[33:34], v[35:36], s[78:79]
	s_delay_alu instid0(VALU_DEP_1) | instskip(NEXT) | instid1(VALU_DEP_1)
	v_fma_f64 v[35:36], v[33:34], v[35:36], s[80:81]
	v_fma_f64 v[14:15], v[33:34], v[35:36], 1.0
	v_xor_b32_e32 v35, v16, v17
	v_add_f64 v[16:17], v[59:60], v[28:29]
	v_cvt_i32_f64_e32 v29, v[31:32]
	s_delay_alu instid0(VALU_DEP_3) | instskip(NEXT) | instid1(VALU_DEP_1)
	v_and_b32_e32 v28, 0x80000000, v35
	v_xor_b32_e32 v13, v13, v28
	v_fma_f64 v[14:15], v[33:34], v[14:15], 1.0
	s_delay_alu instid0(VALU_DEP_1) | instskip(SKIP_3) | instid1(VALU_DEP_3)
	v_ldexp_f64 v[14:15], v[14:15], v29
	v_and_b32_e32 v28, 1, v21
	v_lshlrev_b32_e32 v21, 30, v21
	v_mul_f64 v[12:13], v[12:13], 4.0
	v_cmp_eq_u32_e32 vcc_lo, 0, v28
	s_delay_alu instid0(VALU_DEP_3) | instskip(SKIP_2) | instid1(VALU_DEP_2)
	v_dual_cndmask_b32 v16, v26, v16 :: v_dual_and_b32 v21, 0x80000000, v21
	v_cndmask_b32_e32 v17, v27, v17, vcc_lo
	v_cmp_nlt_f64_e64 vcc_lo, 0x4090cc00, |v[18:19]|
	v_xor_b32_e32 v17, v17, v21
	s_delay_alu instid0(VALU_DEP_1) | instskip(SKIP_1) | instid1(VALU_DEP_1)
	v_mul_f64 v[12:13], v[12:13], v[16:17]
	v_dual_cndmask_b32 v15, 0, v15 :: v_dual_cndmask_b32 v14, 0, v14
	v_mul_f64 v[12:13], v[14:15], v[12:13]
	s_delay_alu instid0(VALU_DEP_1) | instskip(SKIP_1) | instid1(VALU_DEP_1)
	v_mul_f64 v[12:13], v[14:15], v[12:13]
	v_xor_b32_e32 v14, 0x80000000, v19
	v_bfi_b32 v21, 0x7fffffff, s2, v14
	s_delay_alu instid0(VALU_DEP_1)
	v_dual_mov_b32 v14, v20 :: v_dual_mov_b32 v15, v21
.LBB100_236:                            ;   in Loop: Header=BB100_180 Depth=1
	s_or_b32 exec_lo, exec_lo, s0
                                        ; implicit-def: $vgpr16_vgpr17
.LBB100_237:                            ;   in Loop: Header=BB100_180 Depth=1
	s_and_not1_saveexec_b32 s0, s24
; %bb.238:                              ;   in Loop: Header=BB100_180 Depth=1
	v_add_f64 v[12:13], v[16:17], -v[16:17]
	s_delay_alu instid0(VALU_DEP_1)
	v_dual_mov_b32 v15, v13 :: v_dual_mov_b32 v14, v12
; %bb.239:                              ;   in Loop: Header=BB100_180 Depth=1
	s_or_b32 exec_lo, exec_lo, s0
                                        ; implicit-def: $vgpr16_vgpr17
.LBB100_240:                            ;   in Loop: Header=BB100_180 Depth=1
	s_and_not1_saveexec_b32 s24, s1
	s_cbranch_execz .LBB100_256
; %bb.241:                              ;   in Loop: Header=BB100_180 Depth=1
	s_delay_alu instid0(VALU_DEP_1) | instskip(SKIP_1) | instid1(VALU_DEP_1)
	v_and_or_b32 v12, 0xfffff, v15, v14
	s_mov_b32 s0, exec_lo
	v_cmpx_ne_u32_e32 0, v12
	s_xor_b32 s0, exec_lo, s0
; %bb.242:                              ;   in Loop: Header=BB100_180 Depth=1
	v_mul_f64 v[12:13], v[16:17], -v[18:19]
	v_cmp_eq_f64_e32 vcc_lo, 0, v[16:17]
	s_delay_alu instid0(VALU_DEP_2)
	v_dual_cndmask_b32 v13, v13, v17 :: v_dual_cndmask_b32 v12, v12, v16
                                        ; implicit-def: $vgpr16_vgpr17
; %bb.243:                              ;   in Loop: Header=BB100_180 Depth=1
	s_and_not1_saveexec_b32 s25, s0
	s_cbranch_execz .LBB100_255
; %bb.244:                              ;   in Loop: Header=BB100_180 Depth=1
	s_mov_b32 s50, exec_lo
	v_cmpx_neq_f64_e64 0x7ff00000, |v[16:17]|
	s_cbranch_execz .LBB100_254
; %bb.245:                              ;   in Loop: Header=BB100_180 Depth=1
	v_cmp_ngt_f64_e64 s0, 0x41d00000, |v[16:17]|
	v_trig_preop_f64 v[30:31], |v[16:17]|, 0
	v_trig_preop_f64 v[28:29], |v[16:17]|, 1
	v_ldexp_f64 v[32:33], |v[16:17]|, 0xffffff80
	v_trig_preop_f64 v[26:27], |v[16:17]|, 2
	v_and_b32_e32 v39, 0x7fffffff, v17
                                        ; implicit-def: $vgpr38
                                        ; implicit-def: $vgpr12_vgpr13
                                        ; implicit-def: $vgpr18_vgpr19
	s_and_saveexec_b32 s1, s0
	s_delay_alu instid0(SALU_CYCLE_1)
	s_xor_b32 s1, exec_lo, s1
	s_cbranch_execz .LBB100_247
; %bb.246:                              ;   in Loop: Header=BB100_180 Depth=1
	v_cmp_le_f64_e64 vcc_lo, 0x7b000000, |v[16:17]|
	s_mov_b32 s2, s4
	s_mov_b32 s11, s7
	s_delay_alu instid0(VALU_DEP_4) | instskip(NEXT) | instid1(VALU_DEP_1)
	v_dual_cndmask_b32 v13, v39, v33 :: v_dual_cndmask_b32 v12, v16, v32
	v_mul_f64 v[18:19], v[30:31], v[12:13]
	v_mul_f64 v[34:35], v[28:29], v[12:13]
	s_delay_alu instid0(VALU_DEP_2) | instskip(NEXT) | instid1(VALU_DEP_1)
	v_fma_f64 v[36:37], v[30:31], v[12:13], -v[18:19]
	v_add_f64 v[40:41], v[34:35], v[36:37]
	s_delay_alu instid0(VALU_DEP_1) | instskip(SKIP_1) | instid1(VALU_DEP_2)
	v_add_f64 v[42:43], v[40:41], -v[34:35]
	v_add_f64 v[44:45], v[18:19], v[40:41]
	v_add_f64 v[36:37], v[36:37], -v[42:43]
	s_delay_alu instid0(VALU_DEP_2) | instskip(SKIP_1) | instid1(VALU_DEP_2)
	v_add_f64 v[18:19], v[44:45], -v[18:19]
	v_add_f64 v[42:43], v[40:41], -v[42:43]
	;; [unrolled: 1-line block ×3, first 2 shown]
	s_delay_alu instid0(VALU_DEP_2) | instskip(SKIP_2) | instid1(VALU_DEP_3)
	v_add_f64 v[40:41], v[34:35], -v[42:43]
	v_fma_f64 v[34:35], v[28:29], v[12:13], -v[34:35]
	v_mul_f64 v[42:43], v[26:27], v[12:13]
	v_add_f64 v[36:37], v[36:37], v[40:41]
	v_ldexp_f64 v[40:41], v[44:45], -2
	s_delay_alu instid0(VALU_DEP_3) | instskip(SKIP_1) | instid1(VALU_DEP_3)
	v_add_f64 v[44:45], v[42:43], v[34:35]
	v_fma_f64 v[12:13], v[26:27], v[12:13], -v[42:43]
	v_cmp_neq_f64_e64 vcc_lo, 0x7ff00000, |v[40:41]|
	s_delay_alu instid0(VALU_DEP_3) | instskip(SKIP_2) | instid1(VALU_DEP_3)
	v_add_f64 v[48:49], v[44:45], v[36:37]
	v_add_f64 v[46:47], v[44:45], -v[42:43]
	v_fract_f64_e32 v[40:41], v[40:41]
	v_add_f64 v[50:51], v[48:49], -v[44:45]
	s_delay_alu instid0(VALU_DEP_3) | instskip(SKIP_1) | instid1(VALU_DEP_4)
	v_add_f64 v[34:35], v[34:35], -v[46:47]
	v_add_f64 v[46:47], v[44:45], -v[46:47]
	v_dual_cndmask_b32 v41, 0, v41 :: v_dual_cndmask_b32 v40, 0, v40
	s_delay_alu instid0(VALU_DEP_1) | instskip(SKIP_4) | instid1(VALU_DEP_3)
	v_ldexp_f64 v[40:41], v[40:41], 2
	v_add_f64 v[36:37], v[36:37], -v[50:51]
	v_add_f64 v[50:51], v[48:49], -v[50:51]
	;; [unrolled: 1-line block ×3, first 2 shown]
	v_add_f64 v[42:43], v[18:19], v[48:49]
	v_add_f64 v[44:45], v[44:45], -v[50:51]
	s_delay_alu instid0(VALU_DEP_3) | instskip(NEXT) | instid1(VALU_DEP_3)
	v_add_f64 v[34:35], v[34:35], v[46:47]
	v_add_f64 v[18:19], v[42:43], -v[18:19]
	s_delay_alu instid0(VALU_DEP_3) | instskip(SKIP_1) | instid1(VALU_DEP_3)
	v_add_f64 v[36:37], v[36:37], v[44:45]
	v_add_f64 v[44:45], v[42:43], v[40:41]
	v_add_f64 v[18:19], v[48:49], -v[18:19]
	s_delay_alu instid0(VALU_DEP_3) | instskip(NEXT) | instid1(VALU_DEP_3)
	v_add_f64 v[34:35], v[34:35], v[36:37]
	v_cmp_gt_f64_e32 vcc_lo, 0, v[44:45]
	s_delay_alu instid0(VALU_DEP_2) | instskip(SKIP_1) | instid1(VALU_DEP_1)
	v_add_f64 v[12:13], v[12:13], v[34:35]
	v_cndmask_b32_e64 v21, 0, 0x40100000, vcc_lo
	v_add_f64 v[34:35], v[40:41], v[20:21]
	s_delay_alu instid0(VALU_DEP_3) | instskip(NEXT) | instid1(VALU_DEP_2)
	v_add_f64 v[12:13], v[18:19], v[12:13]
	v_add_f64 v[36:37], v[42:43], v[34:35]
	s_delay_alu instid0(VALU_DEP_1) | instskip(NEXT) | instid1(VALU_DEP_1)
	v_cvt_i32_f64_e32 v38, v[36:37]
	v_cvt_f64_i32_e32 v[36:37], v38
	s_delay_alu instid0(VALU_DEP_1) | instskip(NEXT) | instid1(VALU_DEP_1)
	v_add_f64 v[34:35], v[34:35], -v[36:37]
	v_add_f64 v[18:19], v[42:43], v[34:35]
	s_delay_alu instid0(VALU_DEP_1) | instskip(SKIP_1) | instid1(VALU_DEP_2)
	v_add_f64 v[34:35], v[18:19], -v[34:35]
	v_cmp_le_f64_e32 vcc_lo, 0.5, v[18:19]
	v_add_f64 v[34:35], v[42:43], -v[34:35]
	v_cndmask_b32_e64 v21, 0, 0x3ff00000, vcc_lo
	v_add_co_ci_u32_e32 v38, vcc_lo, 0, v38, vcc_lo
	s_delay_alu instid0(VALU_DEP_2) | instskip(NEXT) | instid1(VALU_DEP_4)
	v_add_f64 v[18:19], v[18:19], -v[20:21]
	v_add_f64 v[12:13], v[12:13], v[34:35]
	s_delay_alu instid0(VALU_DEP_1) | instskip(NEXT) | instid1(VALU_DEP_1)
	v_add_f64 v[34:35], v[18:19], v[12:13]
	v_add_f64 v[18:19], v[34:35], -v[18:19]
	s_delay_alu instid0(VALU_DEP_1) | instskip(SKIP_1) | instid1(VALU_DEP_1)
	v_add_f64 v[12:13], v[12:13], -v[18:19]
	v_mul_f64 v[18:19], v[34:35], s[2:3]
	v_fma_f64 v[36:37], v[34:35], s[2:3], -v[18:19]
	s_delay_alu instid0(VALU_DEP_1) | instskip(NEXT) | instid1(VALU_DEP_1)
	v_fma_f64 v[34:35], v[34:35], s[10:11], v[36:37]
	v_fma_f64 v[34:35], v[12:13], s[2:3], v[34:35]
	s_delay_alu instid0(VALU_DEP_1) | instskip(NEXT) | instid1(VALU_DEP_1)
	v_add_f64 v[12:13], v[18:19], v[34:35]
	v_add_f64 v[18:19], v[12:13], -v[18:19]
	s_delay_alu instid0(VALU_DEP_1)
	v_add_f64 v[18:19], v[34:35], -v[18:19]
	s_and_not1_saveexec_b32 s1, s1
	s_cbranch_execz .LBB100_249
	s_branch .LBB100_248
.LBB100_247:                            ;   in Loop: Header=BB100_180 Depth=1
	s_and_not1_saveexec_b32 s1, s1
	s_cbranch_execz .LBB100_249
.LBB100_248:                            ;   in Loop: Header=BB100_180 Depth=1
	v_mul_f64 v[12:13], |v[16:17]|, s[14:15]
	s_mov_b32 s6, s16
	s_delay_alu instid0(VALU_DEP_1) | instskip(NEXT) | instid1(VALU_DEP_1)
	v_rndne_f64_e32 v[34:35], v[12:13]
	v_fma_f64 v[12:13], v[34:35], s[4:5], |v[16:17]|
	v_mul_f64 v[18:19], v[34:35], s[16:17]
	v_cvt_i32_f64_e32 v38, v[34:35]
	s_delay_alu instid0(VALU_DEP_3) | instskip(NEXT) | instid1(VALU_DEP_3)
	v_fma_f64 v[40:41], v[34:35], s[16:17], v[12:13]
	v_add_f64 v[36:37], v[12:13], v[18:19]
	s_delay_alu instid0(VALU_DEP_1) | instskip(NEXT) | instid1(VALU_DEP_3)
	v_add_f64 v[12:13], v[12:13], -v[36:37]
	v_add_f64 v[36:37], v[36:37], -v[40:41]
	s_delay_alu instid0(VALU_DEP_2) | instskip(SKIP_1) | instid1(VALU_DEP_2)
	v_add_f64 v[12:13], v[12:13], v[18:19]
	v_fma_f64 v[18:19], v[34:35], s[6:7], v[18:19]
	v_add_f64 v[12:13], v[36:37], v[12:13]
	s_delay_alu instid0(VALU_DEP_1) | instskip(NEXT) | instid1(VALU_DEP_1)
	v_add_f64 v[12:13], v[12:13], -v[18:19]
	v_fma_f64 v[18:19], v[34:35], s[18:19], v[12:13]
	s_delay_alu instid0(VALU_DEP_1) | instskip(NEXT) | instid1(VALU_DEP_1)
	v_add_f64 v[12:13], v[40:41], v[18:19]
	v_add_f64 v[36:37], v[12:13], -v[40:41]
	s_delay_alu instid0(VALU_DEP_1)
	v_add_f64 v[18:19], v[18:19], -v[36:37]
.LBB100_249:                            ;   in Loop: Header=BB100_180 Depth=1
	s_or_b32 exec_lo, exec_lo, s1
                                        ; implicit-def: $vgpr21
                                        ; implicit-def: $vgpr34_vgpr35
                                        ; implicit-def: $vgpr36_vgpr37
	s_and_saveexec_b32 s1, s0
	s_delay_alu instid0(SALU_CYCLE_1)
	s_xor_b32 s0, exec_lo, s1
	s_cbranch_execz .LBB100_251
; %bb.250:                              ;   in Loop: Header=BB100_180 Depth=1
	v_cmp_le_f64_e64 vcc_lo, 0x7b000000, |v[16:17]|
	s_mov_b32 s2, s4
	s_mov_b32 s11, s7
	s_delay_alu instid0(VALU_DEP_4) | instskip(NEXT) | instid1(VALU_DEP_1)
	v_dual_cndmask_b32 v33, v39, v33 :: v_dual_cndmask_b32 v32, v16, v32
	v_mul_f64 v[34:35], v[30:31], v[32:33]
	v_mul_f64 v[36:37], v[28:29], v[32:33]
	;; [unrolled: 1-line block ×3, first 2 shown]
	s_delay_alu instid0(VALU_DEP_3) | instskip(NEXT) | instid1(VALU_DEP_3)
	v_fma_f64 v[30:31], v[30:31], v[32:33], -v[34:35]
	v_fma_f64 v[28:29], v[28:29], v[32:33], -v[36:37]
	s_delay_alu instid0(VALU_DEP_3) | instskip(NEXT) | instid1(VALU_DEP_3)
	v_fma_f64 v[26:27], v[26:27], v[32:33], -v[39:40]
	v_add_f64 v[32:33], v[36:37], v[30:31]
	s_delay_alu instid0(VALU_DEP_1) | instskip(NEXT) | instid1(VALU_DEP_1)
	v_add_f64 v[41:42], v[32:33], -v[36:37]
	v_add_f64 v[30:31], v[30:31], -v[41:42]
	;; [unrolled: 1-line block ×3, first 2 shown]
	s_delay_alu instid0(VALU_DEP_1) | instskip(SKIP_1) | instid1(VALU_DEP_2)
	v_add_f64 v[36:37], v[36:37], -v[41:42]
	v_add_f64 v[41:42], v[34:35], v[32:33]
	v_add_f64 v[30:31], v[30:31], v[36:37]
	s_delay_alu instid0(VALU_DEP_2) | instskip(SKIP_1) | instid1(VALU_DEP_2)
	v_add_f64 v[34:35], v[41:42], -v[34:35]
	v_ldexp_f64 v[41:42], v[41:42], -2
	v_add_f64 v[32:33], v[32:33], -v[34:35]
	v_add_f64 v[34:35], v[39:40], v[28:29]
	s_delay_alu instid0(VALU_DEP_3) | instskip(SKIP_1) | instid1(VALU_DEP_3)
	v_cmp_neq_f64_e64 vcc_lo, 0x7ff00000, |v[41:42]|
	v_fract_f64_e32 v[41:42], v[41:42]
	v_add_f64 v[36:37], v[34:35], -v[39:40]
	s_delay_alu instid0(VALU_DEP_2) | instskip(NEXT) | instid1(VALU_DEP_2)
	v_dual_cndmask_b32 v42, 0, v42 :: v_dual_cndmask_b32 v41, 0, v41
	v_add_f64 v[28:29], v[28:29], -v[36:37]
	v_add_f64 v[36:37], v[34:35], -v[36:37]
	s_delay_alu instid0(VALU_DEP_1) | instskip(SKIP_1) | instid1(VALU_DEP_2)
	v_add_f64 v[36:37], v[39:40], -v[36:37]
	v_add_f64 v[39:40], v[34:35], v[30:31]
	v_add_f64 v[28:29], v[28:29], v[36:37]
	s_delay_alu instid0(VALU_DEP_2) | instskip(SKIP_1) | instid1(VALU_DEP_2)
	v_add_f64 v[43:44], v[39:40], -v[34:35]
	v_add_f64 v[36:37], v[32:33], v[39:40]
	v_add_f64 v[30:31], v[30:31], -v[43:44]
	v_add_f64 v[43:44], v[39:40], -v[43:44]
	s_delay_alu instid0(VALU_DEP_1) | instskip(NEXT) | instid1(VALU_DEP_1)
	v_add_f64 v[34:35], v[34:35], -v[43:44]
	v_add_f64 v[30:31], v[30:31], v[34:35]
	v_ldexp_f64 v[34:35], v[41:42], 2
	s_delay_alu instid0(VALU_DEP_2) | instskip(NEXT) | instid1(VALU_DEP_2)
	v_add_f64 v[28:29], v[28:29], v[30:31]
	v_add_f64 v[41:42], v[36:37], v[34:35]
	v_add_f64 v[30:31], v[36:37], -v[32:33]
	s_delay_alu instid0(VALU_DEP_3) | instskip(NEXT) | instid1(VALU_DEP_3)
	v_add_f64 v[26:27], v[26:27], v[28:29]
	v_cmp_gt_f64_e32 vcc_lo, 0, v[41:42]
	s_delay_alu instid0(VALU_DEP_3) | instskip(SKIP_1) | instid1(VALU_DEP_2)
	v_add_f64 v[30:31], v[39:40], -v[30:31]
	v_cndmask_b32_e64 v21, 0, 0x40100000, vcc_lo
	v_add_f64 v[26:27], v[30:31], v[26:27]
	s_delay_alu instid0(VALU_DEP_2) | instskip(NEXT) | instid1(VALU_DEP_1)
	v_add_f64 v[28:29], v[34:35], v[20:21]
	v_add_f64 v[32:33], v[36:37], v[28:29]
	s_delay_alu instid0(VALU_DEP_1) | instskip(NEXT) | instid1(VALU_DEP_1)
	v_cvt_i32_f64_e32 v39, v[32:33]
	v_cvt_f64_i32_e32 v[32:33], v39
	s_delay_alu instid0(VALU_DEP_1) | instskip(NEXT) | instid1(VALU_DEP_1)
	v_add_f64 v[28:29], v[28:29], -v[32:33]
	v_add_f64 v[30:31], v[36:37], v[28:29]
	s_delay_alu instid0(VALU_DEP_1) | instskip(SKIP_1) | instid1(VALU_DEP_2)
	v_add_f64 v[28:29], v[30:31], -v[28:29]
	v_cmp_le_f64_e32 vcc_lo, 0.5, v[30:31]
	v_add_f64 v[28:29], v[36:37], -v[28:29]
	v_cndmask_b32_e64 v21, 0, 0x3ff00000, vcc_lo
	s_delay_alu instid0(VALU_DEP_1) | instskip(SKIP_1) | instid1(VALU_DEP_4)
	v_add_f64 v[30:31], v[30:31], -v[20:21]
	v_add_co_ci_u32_e32 v21, vcc_lo, 0, v39, vcc_lo
	v_add_f64 v[26:27], v[26:27], v[28:29]
	s_delay_alu instid0(VALU_DEP_1) | instskip(NEXT) | instid1(VALU_DEP_1)
	v_add_f64 v[28:29], v[30:31], v[26:27]
	v_add_f64 v[30:31], v[28:29], -v[30:31]
	s_delay_alu instid0(VALU_DEP_1) | instskip(SKIP_1) | instid1(VALU_DEP_1)
	v_add_f64 v[26:27], v[26:27], -v[30:31]
	v_mul_f64 v[30:31], v[28:29], s[2:3]
	v_fma_f64 v[32:33], v[28:29], s[2:3], -v[30:31]
	s_delay_alu instid0(VALU_DEP_1) | instskip(NEXT) | instid1(VALU_DEP_1)
	v_fma_f64 v[28:29], v[28:29], s[10:11], v[32:33]
	v_fma_f64 v[26:27], v[26:27], s[2:3], v[28:29]
	s_delay_alu instid0(VALU_DEP_1) | instskip(NEXT) | instid1(VALU_DEP_1)
	v_add_f64 v[34:35], v[30:31], v[26:27]
	v_add_f64 v[28:29], v[34:35], -v[30:31]
	s_delay_alu instid0(VALU_DEP_1)
	v_add_f64 v[36:37], v[26:27], -v[28:29]
	s_and_not1_saveexec_b32 s0, s0
	s_cbranch_execnz .LBB100_252
	s_branch .LBB100_253
.LBB100_251:                            ;   in Loop: Header=BB100_180 Depth=1
	s_and_not1_saveexec_b32 s0, s0
	s_cbranch_execz .LBB100_253
.LBB100_252:                            ;   in Loop: Header=BB100_180 Depth=1
	v_mul_f64 v[26:27], |v[16:17]|, s[14:15]
	s_mov_b32 s6, s16
	s_delay_alu instid0(VALU_DEP_1) | instskip(NEXT) | instid1(VALU_DEP_1)
	v_rndne_f64_e32 v[26:27], v[26:27]
	v_fma_f64 v[28:29], v[26:27], s[4:5], |v[16:17]|
	v_mul_f64 v[30:31], v[26:27], s[16:17]
	v_cvt_i32_f64_e32 v21, v[26:27]
	s_delay_alu instid0(VALU_DEP_3) | instskip(NEXT) | instid1(VALU_DEP_3)
	v_fma_f64 v[36:37], v[26:27], s[16:17], v[28:29]
	v_add_f64 v[32:33], v[28:29], v[30:31]
	s_delay_alu instid0(VALU_DEP_1) | instskip(NEXT) | instid1(VALU_DEP_3)
	v_add_f64 v[28:29], v[28:29], -v[32:33]
	v_add_f64 v[32:33], v[32:33], -v[36:37]
	s_delay_alu instid0(VALU_DEP_2) | instskip(SKIP_1) | instid1(VALU_DEP_2)
	v_add_f64 v[28:29], v[28:29], v[30:31]
	v_fma_f64 v[30:31], v[26:27], s[6:7], v[30:31]
	v_add_f64 v[28:29], v[32:33], v[28:29]
	s_delay_alu instid0(VALU_DEP_1) | instskip(NEXT) | instid1(VALU_DEP_1)
	v_add_f64 v[28:29], v[28:29], -v[30:31]
	v_fma_f64 v[28:29], v[26:27], s[18:19], v[28:29]
	s_delay_alu instid0(VALU_DEP_1) | instskip(NEXT) | instid1(VALU_DEP_1)
	v_add_f64 v[34:35], v[36:37], v[28:29]
	v_add_f64 v[30:31], v[34:35], -v[36:37]
	s_delay_alu instid0(VALU_DEP_1)
	v_add_f64 v[36:37], v[28:29], -v[30:31]
.LBB100_253:                            ;   in Loop: Header=BB100_180 Depth=1
	s_or_b32 exec_lo, exec_lo, s0
	v_cmp_class_f64_e64 vcc_lo, v[16:17], 0x1f8
	v_lshlrev_b32_e32 v16, 30, v38
	s_delay_alu instid0(VALU_DEP_3) | instskip(NEXT) | instid1(VALU_DEP_4)
	v_mul_f64 v[32:33], v[18:19], 0.5
	v_mul_f64 v[43:44], v[36:37], 0.5
	s_mov_b32 s12, s22
	s_delay_alu instid0(VALU_DEP_3) | instskip(SKIP_1) | instid1(VALU_DEP_1)
	v_xor_b32_e32 v47, v16, v17
	v_mul_f64 v[16:17], v[12:13], v[12:13]
	v_mul_f64 v[26:27], v[16:17], 0.5
	v_mul_f64 v[39:40], v[12:13], -v[16:17]
	s_delay_alu instid0(VALU_DEP_2) | instskip(NEXT) | instid1(VALU_DEP_1)
	v_add_f64 v[28:29], -v[26:27], 1.0
	v_add_f64 v[30:31], -v[28:29], 1.0
	s_delay_alu instid0(VALU_DEP_1) | instskip(SKIP_1) | instid1(VALU_DEP_2)
	v_add_f64 v[26:27], v[30:31], -v[26:27]
	v_fma_f64 v[30:31], v[16:17], s[96:97], s[94:95]
	v_fma_f64 v[26:27], v[12:13], -v[18:19], v[26:27]
	s_delay_alu instid0(VALU_DEP_2) | instskip(NEXT) | instid1(VALU_DEP_1)
	v_fma_f64 v[30:31], v[16:17], v[30:31], s[98:99]
	v_fma_f64 v[30:31], v[16:17], v[30:31], s[100:101]
	s_delay_alu instid0(VALU_DEP_1) | instskip(NEXT) | instid1(VALU_DEP_1)
	v_fma_f64 v[30:31], v[16:17], v[30:31], s[20:21]
	v_fma_f64 v[30:31], v[39:40], v[30:31], v[32:33]
	s_delay_alu instid0(VALU_DEP_1) | instskip(SKIP_1) | instid1(VALU_DEP_2)
	v_fma_f64 v[18:19], v[16:17], v[30:31], -v[18:19]
	v_fma_f64 v[30:31], v[16:17], s[86:87], s[84:85]
	v_fma_f64 v[18:19], v[39:40], s[12:13], v[18:19]
	s_delay_alu instid0(VALU_DEP_2) | instskip(NEXT) | instid1(VALU_DEP_2)
	v_fma_f64 v[30:31], v[16:17], v[30:31], s[88:89]
	v_add_f64 v[12:13], v[12:13], -v[18:19]
	s_delay_alu instid0(VALU_DEP_2) | instskip(NEXT) | instid1(VALU_DEP_1)
	v_fma_f64 v[30:31], v[16:17], v[30:31], s[90:91]
	v_fma_f64 v[30:31], v[16:17], v[30:31], s[92:93]
	s_delay_alu instid0(VALU_DEP_1) | instskip(SKIP_1) | instid1(VALU_DEP_1)
	v_fma_f64 v[30:31], v[16:17], v[30:31], s[22:23]
	v_mul_f64 v[16:17], v[16:17], v[16:17]
	v_fma_f64 v[16:17], v[16:17], v[30:31], v[26:27]
	v_mul_f64 v[26:27], v[34:35], v[34:35]
	s_delay_alu instid0(VALU_DEP_2) | instskip(NEXT) | instid1(VALU_DEP_2)
	v_add_f64 v[16:17], v[28:29], v[16:17]
	v_mul_f64 v[30:31], v[26:27], 0.5
	v_mul_f64 v[45:46], v[34:35], -v[26:27]
	s_delay_alu instid0(VALU_DEP_2) | instskip(NEXT) | instid1(VALU_DEP_1)
	v_add_f64 v[32:33], -v[30:31], 1.0
	v_add_f64 v[41:42], -v[32:33], 1.0
	s_delay_alu instid0(VALU_DEP_1) | instskip(SKIP_1) | instid1(VALU_DEP_2)
	v_add_f64 v[30:31], v[41:42], -v[30:31]
	v_fma_f64 v[41:42], v[26:27], s[96:97], s[94:95]
	v_fma_f64 v[30:31], v[34:35], -v[36:37], v[30:31]
	s_delay_alu instid0(VALU_DEP_2) | instskip(NEXT) | instid1(VALU_DEP_1)
	v_fma_f64 v[41:42], v[26:27], v[41:42], s[98:99]
	v_fma_f64 v[41:42], v[26:27], v[41:42], s[100:101]
	s_delay_alu instid0(VALU_DEP_1) | instskip(NEXT) | instid1(VALU_DEP_1)
	v_fma_f64 v[41:42], v[26:27], v[41:42], s[20:21]
	v_fma_f64 v[41:42], v[45:46], v[41:42], v[43:44]
	s_delay_alu instid0(VALU_DEP_1) | instskip(SKIP_1) | instid1(VALU_DEP_1)
	v_fma_f64 v[36:37], v[26:27], v[41:42], -v[36:37]
	v_fma_f64 v[41:42], v[26:27], s[86:87], s[84:85]
	v_fma_f64 v[41:42], v[26:27], v[41:42], s[88:89]
	s_delay_alu instid0(VALU_DEP_1) | instskip(NEXT) | instid1(VALU_DEP_1)
	v_fma_f64 v[41:42], v[26:27], v[41:42], s[90:91]
	v_fma_f64 v[41:42], v[26:27], v[41:42], s[92:93]
	s_delay_alu instid0(VALU_DEP_1) | instskip(SKIP_1) | instid1(VALU_DEP_1)
	v_fma_f64 v[41:42], v[26:27], v[41:42], s[22:23]
	v_mul_f64 v[26:27], v[26:27], v[26:27]
	v_fma_f64 v[26:27], v[26:27], v[41:42], v[30:31]
	v_fma_f64 v[30:31], v[45:46], s[12:13], v[36:37]
	s_delay_alu instid0(VALU_DEP_2) | instskip(NEXT) | instid1(VALU_DEP_2)
	v_add_f64 v[18:19], v[32:33], v[26:27]
	v_add_f64 v[30:31], v[34:35], -v[30:31]
	v_and_b32_e32 v26, 1, v38
	s_delay_alu instid0(VALU_DEP_1) | instskip(NEXT) | instid1(VALU_DEP_1)
	v_cmp_eq_u32_e64 s0, 0, v26
	v_cndmask_b32_e64 v12, v16, v12, s0
	v_and_b32_e32 v27, 1, v21
	v_cndmask_b32_e64 v13, v17, v13, s0
	s_delay_alu instid0(VALU_DEP_3) | instskip(NEXT) | instid1(VALU_DEP_3)
	v_cndmask_b32_e32 v12, 0, v12, vcc_lo
	v_cmp_eq_u32_e64 s1, 0, v27
	v_and_b32_e32 v27, 0x80000000, v47
	s_delay_alu instid0(VALU_DEP_1) | instskip(NEXT) | instid1(VALU_DEP_1)
	v_xor_b32_e32 v13, v13, v27
	v_cndmask_b32_e32 v13, 0x7ff80000, v13, vcc_lo
	v_xor_b32_e32 v26, 0x80000000, v31
	v_cndmask_b32_e64 v16, v30, v18, s1
	v_lshlrev_b32_e32 v21, 30, v21
	s_delay_alu instid0(VALU_DEP_3) | instskip(NEXT) | instid1(VALU_DEP_2)
	v_cndmask_b32_e64 v19, v26, v19, s1
	v_dual_cndmask_b32 v16, 0, v16 :: v_dual_and_b32 v17, 0x80000000, v21
	s_delay_alu instid0(VALU_DEP_1) | instskip(NEXT) | instid1(VALU_DEP_1)
	v_xor_b32_e32 v17, v19, v17
	v_cndmask_b32_e32 v17, 0x7ff80000, v17, vcc_lo
	s_delay_alu instid0(VALU_DEP_1)
	v_mul_f64 v[16:17], v[12:13], v[16:17]
.LBB100_254:                            ;   in Loop: Header=BB100_180 Depth=1
	s_or_b32 exec_lo, exec_lo, s50
	s_delay_alu instid0(VALU_DEP_1) | instskip(SKIP_2) | instid1(VALU_DEP_3)
	v_bfi_b32 v21, 0x7fffffff, 0, v17
	v_add_co_u32 v14, vcc_lo, v14, 0
	v_add_co_ci_u32_e32 v15, vcc_lo, -2.0, v15, vcc_lo
	v_dual_mov_b32 v12, v20 :: v_dual_mov_b32 v13, v21
.LBB100_255:                            ;   in Loop: Header=BB100_180 Depth=1
	s_or_b32 exec_lo, exec_lo, s25
.LBB100_256:                            ;   in Loop: Header=BB100_180 Depth=1
	s_delay_alu instid0(SALU_CYCLE_1) | instskip(SKIP_3) | instid1(VALU_DEP_1)
	s_or_b32 exec_lo, exec_lo, s24
	s_waitcnt vmcnt(0)
	v_xor_b32_e32 v19, 0x80000000, v11
	s_mov_b32 s0, exec_lo
	v_dual_mov_b32 v18, v10 :: v_dual_and_b32 v21, 0x7fffffff, v19
	s_delay_alu instid0(VALU_DEP_1)
	v_cmpx_gt_u32_e32 0x7ff00000, v21
	s_xor_b32 s1, exec_lo, s0
	s_cbranch_execz .LBB100_278
; %bb.257:                              ;   in Loop: Header=BB100_180 Depth=1
	v_cmp_class_f64_e64 s0, v[8:9], 0x1f8
                                        ; implicit-def: $vgpr16_vgpr17
	s_delay_alu instid0(VALU_DEP_1) | instskip(NEXT) | instid1(SALU_CYCLE_1)
	s_and_saveexec_b32 s2, s0
	s_xor_b32 s24, exec_lo, s2
	s_cbranch_execz .LBB100_275
; %bb.258:                              ;   in Loop: Header=BB100_180 Depth=1
                                        ; implicit-def: $vgpr16_vgpr17
	s_mov_b32 s0, exec_lo
	v_cmpx_gt_u32_e32 0x40360000, v21
	s_xor_b32 s12, exec_lo, s0
	s_cbranch_execz .LBB100_264
; %bb.259:                              ;   in Loop: Header=BB100_180 Depth=1
	v_cmp_ngt_f64_e64 s0, 0x41d00000, |v[8:9]|
                                        ; implicit-def: $vgpr21
                                        ; implicit-def: $vgpr16_vgpr17
                                        ; implicit-def: $vgpr18_vgpr19
	s_delay_alu instid0(VALU_DEP_1) | instskip(NEXT) | instid1(SALU_CYCLE_1)
	s_and_saveexec_b32 s2, s0
	s_xor_b32 s0, exec_lo, s2
	s_cbranch_execz .LBB100_261
; %bb.260:                              ;   in Loop: Header=BB100_180 Depth=1
	v_ldexp_f64 v[16:17], |v[8:9]|, 0xffffff80
	v_cmp_le_f64_e64 vcc_lo, 0x7b000000, |v[8:9]|
	v_trig_preop_f64 v[18:19], |v[8:9]|, 0
	v_and_b32_e32 v21, 0x7fffffff, v9
	v_trig_preop_f64 v[28:29], |v[8:9]|, 1
	v_trig_preop_f64 v[32:33], |v[8:9]|, 2
	s_mov_b32 s2, s4
	s_mov_b32 s11, s7
	v_dual_cndmask_b32 v16, v8, v16 :: v_dual_cndmask_b32 v17, v21, v17
	s_delay_alu instid0(VALU_DEP_1) | instskip(NEXT) | instid1(VALU_DEP_4)
	v_mul_f64 v[26:27], v[18:19], v[16:17]
	v_mul_f64 v[30:31], v[28:29], v[16:17]
	s_delay_alu instid0(VALU_DEP_4) | instskip(NEXT) | instid1(VALU_DEP_3)
	v_mul_f64 v[34:35], v[32:33], v[16:17]
	v_fma_f64 v[18:19], v[18:19], v[16:17], -v[26:27]
	s_delay_alu instid0(VALU_DEP_3) | instskip(NEXT) | instid1(VALU_DEP_3)
	v_fma_f64 v[28:29], v[28:29], v[16:17], -v[30:31]
	v_fma_f64 v[16:17], v[32:33], v[16:17], -v[34:35]
	s_delay_alu instid0(VALU_DEP_3) | instskip(NEXT) | instid1(VALU_DEP_1)
	v_add_f64 v[32:33], v[30:31], v[18:19]
	v_add_f64 v[36:37], v[32:33], -v[30:31]
	s_delay_alu instid0(VALU_DEP_1) | instskip(SKIP_1) | instid1(VALU_DEP_1)
	v_add_f64 v[18:19], v[18:19], -v[36:37]
	v_add_f64 v[36:37], v[32:33], -v[36:37]
	;; [unrolled: 1-line block ×3, first 2 shown]
	v_add_f64 v[36:37], v[26:27], v[32:33]
	s_delay_alu instid0(VALU_DEP_2) | instskip(NEXT) | instid1(VALU_DEP_2)
	v_add_f64 v[18:19], v[18:19], v[30:31]
	v_add_f64 v[26:27], v[36:37], -v[26:27]
	v_add_f64 v[30:31], v[34:35], v[28:29]
	v_ldexp_f64 v[36:37], v[36:37], -2
	s_delay_alu instid0(VALU_DEP_3) | instskip(NEXT) | instid1(VALU_DEP_3)
	v_add_f64 v[26:27], v[32:33], -v[26:27]
	v_add_f64 v[32:33], v[30:31], -v[34:35]
	s_delay_alu instid0(VALU_DEP_3) | instskip(SKIP_1) | instid1(VALU_DEP_3)
	v_cmp_neq_f64_e64 vcc_lo, 0x7ff00000, |v[36:37]|
	v_fract_f64_e32 v[36:37], v[36:37]
	v_add_f64 v[28:29], v[28:29], -v[32:33]
	v_add_f64 v[32:33], v[30:31], -v[32:33]
	s_delay_alu instid0(VALU_DEP_3) | instskip(NEXT) | instid1(VALU_DEP_2)
	v_dual_cndmask_b32 v36, 0, v36 :: v_dual_cndmask_b32 v37, 0, v37
	v_add_f64 v[32:33], v[34:35], -v[32:33]
	v_add_f64 v[34:35], v[30:31], v[18:19]
	s_delay_alu instid0(VALU_DEP_2) | instskip(NEXT) | instid1(VALU_DEP_2)
	v_add_f64 v[28:29], v[28:29], v[32:33]
	v_add_f64 v[38:39], v[34:35], -v[30:31]
	v_add_f64 v[32:33], v[26:27], v[34:35]
	s_delay_alu instid0(VALU_DEP_2) | instskip(SKIP_1) | instid1(VALU_DEP_3)
	v_add_f64 v[18:19], v[18:19], -v[38:39]
	v_add_f64 v[38:39], v[34:35], -v[38:39]
	;; [unrolled: 1-line block ×3, first 2 shown]
	s_delay_alu instid0(VALU_DEP_2) | instskip(NEXT) | instid1(VALU_DEP_2)
	v_add_f64 v[30:31], v[30:31], -v[38:39]
	v_add_f64 v[26:27], v[34:35], -v[26:27]
	s_delay_alu instid0(VALU_DEP_2) | instskip(SKIP_1) | instid1(VALU_DEP_2)
	v_add_f64 v[18:19], v[18:19], v[30:31]
	v_ldexp_f64 v[30:31], v[36:37], 2
	v_add_f64 v[18:19], v[28:29], v[18:19]
	s_delay_alu instid0(VALU_DEP_2) | instskip(NEXT) | instid1(VALU_DEP_2)
	v_add_f64 v[36:37], v[32:33], v[30:31]
	v_add_f64 v[16:17], v[16:17], v[18:19]
	s_delay_alu instid0(VALU_DEP_2) | instskip(NEXT) | instid1(VALU_DEP_2)
	v_cmp_gt_f64_e32 vcc_lo, 0, v[36:37]
	v_add_f64 v[16:17], v[26:27], v[16:17]
	v_cndmask_b32_e64 v21, 0, 0x40100000, vcc_lo
	s_delay_alu instid0(VALU_DEP_1) | instskip(NEXT) | instid1(VALU_DEP_1)
	v_add_f64 v[18:19], v[30:31], v[20:21]
	v_add_f64 v[28:29], v[32:33], v[18:19]
	s_delay_alu instid0(VALU_DEP_1) | instskip(NEXT) | instid1(VALU_DEP_1)
	v_cvt_i32_f64_e32 v30, v[28:29]
	v_cvt_f64_i32_e32 v[28:29], v30
	s_delay_alu instid0(VALU_DEP_1) | instskip(NEXT) | instid1(VALU_DEP_1)
	v_add_f64 v[18:19], v[18:19], -v[28:29]
	v_add_f64 v[26:27], v[32:33], v[18:19]
	s_delay_alu instid0(VALU_DEP_1) | instskip(SKIP_1) | instid1(VALU_DEP_2)
	v_add_f64 v[18:19], v[26:27], -v[18:19]
	v_cmp_le_f64_e32 vcc_lo, 0.5, v[26:27]
	v_add_f64 v[18:19], v[32:33], -v[18:19]
	v_cndmask_b32_e64 v21, 0, 0x3ff00000, vcc_lo
	s_delay_alu instid0(VALU_DEP_1) | instskip(SKIP_1) | instid1(VALU_DEP_4)
	v_add_f64 v[26:27], v[26:27], -v[20:21]
	v_add_co_ci_u32_e32 v21, vcc_lo, 0, v30, vcc_lo
	v_add_f64 v[16:17], v[16:17], v[18:19]
	s_delay_alu instid0(VALU_DEP_1) | instskip(NEXT) | instid1(VALU_DEP_1)
	v_add_f64 v[18:19], v[26:27], v[16:17]
	v_add_f64 v[26:27], v[18:19], -v[26:27]
	s_delay_alu instid0(VALU_DEP_1) | instskip(SKIP_1) | instid1(VALU_DEP_1)
	v_add_f64 v[16:17], v[16:17], -v[26:27]
	v_mul_f64 v[26:27], v[18:19], s[2:3]
	v_fma_f64 v[28:29], v[18:19], s[2:3], -v[26:27]
	s_delay_alu instid0(VALU_DEP_1) | instskip(NEXT) | instid1(VALU_DEP_1)
	v_fma_f64 v[18:19], v[18:19], s[10:11], v[28:29]
	v_fma_f64 v[18:19], v[16:17], s[2:3], v[18:19]
	s_delay_alu instid0(VALU_DEP_1) | instskip(NEXT) | instid1(VALU_DEP_1)
	v_add_f64 v[16:17], v[26:27], v[18:19]
	v_add_f64 v[26:27], v[16:17], -v[26:27]
	s_delay_alu instid0(VALU_DEP_1)
	v_add_f64 v[18:19], v[18:19], -v[26:27]
.LBB100_261:                            ;   in Loop: Header=BB100_180 Depth=1
	s_and_not1_saveexec_b32 s0, s0
	s_cbranch_execz .LBB100_263
; %bb.262:                              ;   in Loop: Header=BB100_180 Depth=1
	v_mul_f64 v[16:17], |v[8:9]|, s[14:15]
	s_mov_b32 s6, s16
	s_delay_alu instid0(VALU_DEP_1) | instskip(NEXT) | instid1(VALU_DEP_1)
	v_rndne_f64_e32 v[26:27], v[16:17]
	v_fma_f64 v[16:17], v[26:27], s[4:5], |v[8:9]|
	v_mul_f64 v[18:19], v[26:27], s[16:17]
	v_cvt_i32_f64_e32 v21, v[26:27]
	s_delay_alu instid0(VALU_DEP_3) | instskip(NEXT) | instid1(VALU_DEP_3)
	v_fma_f64 v[30:31], v[26:27], s[16:17], v[16:17]
	v_add_f64 v[28:29], v[16:17], v[18:19]
	s_delay_alu instid0(VALU_DEP_1) | instskip(NEXT) | instid1(VALU_DEP_3)
	v_add_f64 v[16:17], v[16:17], -v[28:29]
	v_add_f64 v[28:29], v[28:29], -v[30:31]
	s_delay_alu instid0(VALU_DEP_2) | instskip(SKIP_1) | instid1(VALU_DEP_2)
	v_add_f64 v[16:17], v[16:17], v[18:19]
	v_fma_f64 v[18:19], v[26:27], s[6:7], v[18:19]
	v_add_f64 v[16:17], v[28:29], v[16:17]
	s_delay_alu instid0(VALU_DEP_1) | instskip(NEXT) | instid1(VALU_DEP_1)
	v_add_f64 v[16:17], v[16:17], -v[18:19]
	v_fma_f64 v[18:19], v[26:27], s[18:19], v[16:17]
	s_delay_alu instid0(VALU_DEP_1) | instskip(NEXT) | instid1(VALU_DEP_1)
	v_add_f64 v[16:17], v[30:31], v[18:19]
	v_add_f64 v[28:29], v[16:17], -v[30:31]
	s_delay_alu instid0(VALU_DEP_1)
	v_add_f64 v[18:19], v[18:19], -v[28:29]
.LBB100_263:                            ;   in Loop: Header=BB100_180 Depth=1
	s_or_b32 exec_lo, exec_lo, s0
	v_add_f64 v[26:27], |v[10:11]|, s[48:49]
	s_mov_b32 s50, s48
	s_mov_b32 s54, s56
	;; [unrolled: 1-line block ×5, first 2 shown]
	v_cmp_nge_f64_e64 vcc_lo, |v[10:11]|, s[82:83]
	v_cmp_gt_f64_e64 s0, 0x3e400000, |v[10:11]|
	s_mov_b32 s26, 0xa9a29f71
	s_mov_b32 s28, 0xc751c08c
	;; [unrolled: 1-line block ×4, first 2 shown]
	s_delay_alu instid0(VALU_DEP_3) | instskip(NEXT) | instid1(VALU_DEP_1)
	v_add_f64 v[28:29], v[26:27], -|v[10:11]|
	v_add_f64 v[30:31], v[28:29], -v[26:27]
	v_add_f64 v[28:29], v[28:29], s[50:51]
	s_delay_alu instid0(VALU_DEP_2) | instskip(NEXT) | instid1(VALU_DEP_1)
	v_add_f64 v[30:31], |v[10:11]|, v[30:31]
	v_add_f64 v[28:29], v[30:31], -v[28:29]
	s_delay_alu instid0(VALU_DEP_1) | instskip(NEXT) | instid1(VALU_DEP_1)
	v_add_f64 v[28:29], v[28:29], s[52:53]
	v_add_f64 v[30:31], v[26:27], v[28:29]
	s_delay_alu instid0(VALU_DEP_1) | instskip(NEXT) | instid1(VALU_DEP_1)
	v_add_f64 v[26:27], v[26:27], -v[30:31]
	v_add_f64 v[26:27], v[28:29], v[26:27]
	v_mul_f64 v[28:29], v[30:31], s[54:55]
	s_delay_alu instid0(VALU_DEP_1) | instskip(NEXT) | instid1(VALU_DEP_1)
	v_rndne_f64_e32 v[28:29], v[28:29]
	v_fma_f64 v[30:31], v[28:29], s[102:103], v[30:31]
	v_cvt_i32_f64_e32 v8, v[28:29]
	s_delay_alu instid0(VALU_DEP_2) | instskip(NEXT) | instid1(VALU_DEP_1)
	v_add_f64 v[32:33], v[26:27], v[30:31]
	v_add_f64 v[30:31], v[30:31], -v[32:33]
	s_delay_alu instid0(VALU_DEP_1) | instskip(SKIP_1) | instid1(VALU_DEP_1)
	v_add_f64 v[26:27], v[26:27], v[30:31]
	v_mul_f64 v[30:31], v[28:29], s[58:59]
	v_add_f64 v[34:35], v[32:33], v[30:31]
	s_delay_alu instid0(VALU_DEP_1) | instskip(NEXT) | instid1(VALU_DEP_1)
	v_add_f64 v[32:33], v[32:33], -v[34:35]
	v_add_f64 v[30:31], v[32:33], v[30:31]
	s_delay_alu instid0(VALU_DEP_1) | instskip(NEXT) | instid1(VALU_DEP_1)
	v_add_f64 v[26:27], v[26:27], v[30:31]
	v_add_f64 v[30:31], v[34:35], v[26:27]
	s_delay_alu instid0(VALU_DEP_1) | instskip(NEXT) | instid1(VALU_DEP_1)
	v_add_f64 v[32:33], v[34:35], -v[30:31]
	v_add_f64 v[26:27], v[26:27], v[32:33]
	v_mul_f64 v[32:33], v[28:29], s[60:61]
	s_delay_alu instid0(VALU_DEP_1) | instskip(NEXT) | instid1(VALU_DEP_1)
	v_add_f64 v[34:35], v[30:31], v[32:33]
	v_add_f64 v[30:31], v[30:31], -v[34:35]
	s_delay_alu instid0(VALU_DEP_1) | instskip(NEXT) | instid1(VALU_DEP_1)
	v_add_f64 v[30:31], v[30:31], v[32:33]
	v_add_f64 v[26:27], v[26:27], v[30:31]
	s_delay_alu instid0(VALU_DEP_1) | instskip(NEXT) | instid1(VALU_DEP_1)
	v_add_f64 v[30:31], v[34:35], v[26:27]
	v_add_f64 v[32:33], v[34:35], -v[30:31]
	s_delay_alu instid0(VALU_DEP_1) | instskip(SKIP_1) | instid1(VALU_DEP_2)
	v_add_f64 v[26:27], v[26:27], v[32:33]
	v_mul_f64 v[32:33], v[30:31], v[30:31]
	v_add_f64 v[36:37], v[26:27], v[26:27]
	s_delay_alu instid0(VALU_DEP_2) | instskip(NEXT) | instid1(VALU_DEP_1)
	v_fma_f64 v[34:35], v[30:31], v[30:31], -v[32:33]
	v_fma_f64 v[34:35], v[30:31], v[36:37], v[34:35]
	s_delay_alu instid0(VALU_DEP_1) | instskip(NEXT) | instid1(VALU_DEP_1)
	v_add_f64 v[36:37], v[32:33], v[34:35]
	v_add_f64 v[32:33], v[36:37], -v[32:33]
	s_delay_alu instid0(VALU_DEP_1) | instskip(SKIP_1) | instid1(VALU_DEP_1)
	v_add_f64 v[32:33], v[34:35], -v[32:33]
	v_fma_f64 v[34:35], v[30:31], s[64:65], s[62:63]
	v_fma_f64 v[34:35], v[30:31], v[34:35], s[66:67]
	s_delay_alu instid0(VALU_DEP_1) | instskip(NEXT) | instid1(VALU_DEP_1)
	v_fma_f64 v[34:35], v[30:31], v[34:35], s[68:69]
	v_fma_f64 v[34:35], v[30:31], v[34:35], s[70:71]
	s_delay_alu instid0(VALU_DEP_1) | instskip(NEXT) | instid1(VALU_DEP_1)
	;; [unrolled: 3-line block ×4, first 2 shown]
	v_fma_f64 v[34:35], v[30:31], v[34:35], s[80:81]
	v_mul_f64 v[38:39], v[36:37], v[34:35]
	s_delay_alu instid0(VALU_DEP_1) | instskip(NEXT) | instid1(VALU_DEP_1)
	v_fma_f64 v[36:37], v[36:37], v[34:35], -v[38:39]
	v_fma_f64 v[32:33], v[32:33], v[34:35], v[36:37]
	s_delay_alu instid0(VALU_DEP_1) | instskip(NEXT) | instid1(VALU_DEP_1)
	v_add_f64 v[34:35], v[38:39], v[32:33]
	v_add_f64 v[36:37], v[34:35], -v[38:39]
	s_delay_alu instid0(VALU_DEP_1) | instskip(SKIP_1) | instid1(VALU_DEP_2)
	v_add_f64 v[32:33], v[32:33], -v[36:37]
	v_add_f64 v[36:37], v[30:31], v[34:35]
	v_add_f64 v[26:27], v[26:27], v[32:33]
	s_delay_alu instid0(VALU_DEP_2) | instskip(NEXT) | instid1(VALU_DEP_1)
	v_add_f64 v[30:31], v[36:37], -v[30:31]
	v_add_f64 v[30:31], v[34:35], -v[30:31]
	s_delay_alu instid0(VALU_DEP_1) | instskip(NEXT) | instid1(VALU_DEP_1)
	v_add_f64 v[26:27], v[26:27], v[30:31]
	v_add_f64 v[30:31], v[36:37], v[26:27]
	s_delay_alu instid0(VALU_DEP_1) | instskip(NEXT) | instid1(VALU_DEP_1)
	v_add_f64 v[32:33], v[30:31], -v[36:37]
	v_add_f64 v[26:27], v[26:27], -v[32:33]
	v_add_f64 v[32:33], v[30:31], 1.0
	s_delay_alu instid0(VALU_DEP_1) | instskip(NEXT) | instid1(VALU_DEP_1)
	v_add_f64 v[34:35], v[32:33], -1.0
	v_add_f64 v[30:31], v[30:31], -v[34:35]
	s_delay_alu instid0(VALU_DEP_1) | instskip(NEXT) | instid1(VALU_DEP_1)
	v_add_f64 v[26:27], v[26:27], v[30:31]
	v_add_f64 v[28:29], v[32:33], v[26:27]
	s_delay_alu instid0(VALU_DEP_1) | instskip(SKIP_1) | instid1(VALU_DEP_2)
	v_add_f64 v[30:31], v[28:29], -v[32:33]
	v_ldexp_f64 v[28:29], v[28:29], v8
	v_add_f64 v[26:27], v[26:27], -v[30:31]
	s_delay_alu instid0(VALU_DEP_2) | instskip(NEXT) | instid1(VALU_DEP_1)
	v_rcp_f64_e32 v[32:33], v[28:29]
	v_ldexp_f64 v[26:27], v[26:27], v8
	v_and_b32_e32 v8, 0x7fffffff, v11
	v_xor_b32_e32 v11, 0x80000000, v11
	s_waitcnt_depctr 0xfff
	v_fma_f64 v[34:35], -v[28:29], v[32:33], 1.0
	s_delay_alu instid0(VALU_DEP_1) | instskip(NEXT) | instid1(VALU_DEP_1)
	v_fma_f64 v[32:33], v[34:35], v[32:33], v[32:33]
	v_fma_f64 v[30:31], -v[28:29], v[32:33], 1.0
	s_delay_alu instid0(VALU_DEP_1) | instskip(NEXT) | instid1(VALU_DEP_1)
	v_fma_f64 v[30:31], v[30:31], v[32:33], v[32:33]
	v_mul_f64 v[32:33], v[28:29], v[30:31]
	s_delay_alu instid0(VALU_DEP_1) | instskip(NEXT) | instid1(VALU_DEP_1)
	v_fma_f64 v[34:35], v[30:31], v[28:29], -v[32:33]
	v_fma_f64 v[34:35], v[30:31], v[26:27], v[34:35]
	s_delay_alu instid0(VALU_DEP_1) | instskip(NEXT) | instid1(VALU_DEP_1)
	v_add_f64 v[36:37], v[32:33], v[34:35]
	v_add_f64 v[32:33], v[36:37], -v[32:33]
	s_delay_alu instid0(VALU_DEP_1) | instskip(SKIP_1) | instid1(VALU_DEP_1)
	v_add_f64 v[32:33], v[32:33], -v[34:35]
	v_add_f64 v[34:35], -v[36:37], 1.0
	v_add_f64 v[38:39], -v[34:35], 1.0
	s_delay_alu instid0(VALU_DEP_1) | instskip(NEXT) | instid1(VALU_DEP_1)
	v_add_f64 v[36:37], v[38:39], -v[36:37]
	v_add_f64 v[32:33], v[32:33], v[36:37]
	s_delay_alu instid0(VALU_DEP_1) | instskip(NEXT) | instid1(VALU_DEP_1)
	v_add_f64 v[36:37], v[34:35], v[32:33]
	v_add_f64 v[34:35], v[34:35], -v[36:37]
	s_delay_alu instid0(VALU_DEP_1) | instskip(SKIP_1) | instid1(VALU_DEP_1)
	v_add_f64 v[32:33], v[32:33], v[34:35]
	v_mul_f64 v[34:35], v[30:31], v[36:37]
	v_mul_f64 v[38:39], v[28:29], v[34:35]
	s_delay_alu instid0(VALU_DEP_1) | instskip(NEXT) | instid1(VALU_DEP_1)
	v_fma_f64 v[40:41], v[34:35], v[28:29], -v[38:39]
	v_fma_f64 v[40:41], v[34:35], v[26:27], v[40:41]
	s_delay_alu instid0(VALU_DEP_1) | instskip(NEXT) | instid1(VALU_DEP_1)
	v_add_f64 v[42:43], v[38:39], v[40:41]
	v_add_f64 v[44:45], v[36:37], -v[42:43]
	v_add_f64 v[38:39], v[42:43], -v[38:39]
	s_delay_alu instid0(VALU_DEP_2) | instskip(NEXT) | instid1(VALU_DEP_2)
	v_add_f64 v[36:37], v[36:37], -v[44:45]
	v_add_f64 v[38:39], v[38:39], -v[40:41]
	s_delay_alu instid0(VALU_DEP_2) | instskip(NEXT) | instid1(VALU_DEP_1)
	v_add_f64 v[36:37], v[36:37], -v[42:43]
	v_add_f64 v[32:33], v[32:33], v[36:37]
	v_add_f64 v[36:37], v[30:31], v[34:35]
	s_delay_alu instid0(VALU_DEP_2) | instskip(NEXT) | instid1(VALU_DEP_2)
	v_add_f64 v[32:33], v[38:39], v[32:33]
	v_add_f64 v[38:39], v[36:37], -v[30:31]
	s_delay_alu instid0(VALU_DEP_2) | instskip(NEXT) | instid1(VALU_DEP_2)
	v_add_f64 v[32:33], v[44:45], v[32:33]
	v_add_f64 v[34:35], v[34:35], -v[38:39]
	s_delay_alu instid0(VALU_DEP_2) | instskip(NEXT) | instid1(VALU_DEP_1)
	v_mul_f64 v[30:31], v[30:31], v[32:33]
	v_add_f64 v[30:31], v[34:35], v[30:31]
	s_delay_alu instid0(VALU_DEP_1) | instskip(NEXT) | instid1(VALU_DEP_1)
	v_add_f64 v[32:33], v[36:37], v[30:31]
	v_add_f64 v[34:35], v[32:33], -v[36:37]
	v_ldexp_f64 v[32:33], v[32:33], -2
	s_delay_alu instid0(VALU_DEP_2) | instskip(NEXT) | instid1(VALU_DEP_2)
	v_add_f64 v[30:31], v[30:31], -v[34:35]
	v_add_f64 v[36:37], v[28:29], -v[32:33]
	s_delay_alu instid0(VALU_DEP_1) | instskip(NEXT) | instid1(VALU_DEP_1)
	v_add_f64 v[28:29], v[28:29], -v[36:37]
	v_add_f64 v[28:29], v[28:29], -v[32:33]
	s_delay_alu instid0(VALU_DEP_1) | instskip(SKIP_1) | instid1(VALU_DEP_1)
	v_add_f64 v[26:27], v[26:27], v[28:29]
	v_ldexp_f64 v[28:29], v[30:31], -2
	v_add_f64 v[26:27], v[26:27], -v[28:29]
	s_delay_alu instid0(VALU_DEP_1) | instskip(SKIP_1) | instid1(VALU_DEP_2)
	v_add_f64 v[26:27], v[36:37], v[26:27]
	v_and_b32_e32 v36, 0x80000000, v9
	v_cndmask_b32_e32 v27, 0x7ff00000, v27, vcc_lo
	s_delay_alu instid0(VALU_DEP_3) | instskip(NEXT) | instid1(VALU_DEP_2)
	v_cndmask_b32_e32 v26, 0, v26, vcc_lo
	v_cndmask_b32_e64 v8, v27, v8, s0
	s_delay_alu instid0(VALU_DEP_2) | instskip(NEXT) | instid1(VALU_DEP_2)
	v_cndmask_b32_e64 v10, v26, v10, s0
	v_bfi_b32 v11, 0x7fffffff, v8, v11
	s_delay_alu instid0(VALU_DEP_1) | instskip(NEXT) | instid1(VALU_DEP_1)
	v_fma_f64 v[26:27], v[10:11], v[10:11], 1.0
	v_cmp_gt_f64_e32 vcc_lo, 0x10000000, v[26:27]
	v_cndmask_b32_e64 v8, 0, 1, vcc_lo
	s_delay_alu instid0(VALU_DEP_1) | instskip(NEXT) | instid1(VALU_DEP_1)
	v_lshlrev_b32_e32 v8, 8, v8
	v_ldexp_f64 v[26:27], v[26:27], v8
	v_mul_f64 v[8:9], v[16:17], v[16:17]
	s_delay_alu instid0(VALU_DEP_2) | instskip(SKIP_3) | instid1(VALU_DEP_1)
	v_rsq_f64_e32 v[28:29], v[26:27]
	s_waitcnt_depctr 0xfff
	v_mul_f64 v[30:31], v[26:27], v[28:29]
	v_mul_f64 v[28:29], v[28:29], 0.5
	v_fma_f64 v[32:33], -v[28:29], v[30:31], 0.5
	s_delay_alu instid0(VALU_DEP_1) | instskip(SKIP_1) | instid1(VALU_DEP_2)
	v_fma_f64 v[30:31], v[30:31], v[32:33], v[30:31]
	v_fma_f64 v[28:29], v[28:29], v[32:33], v[28:29]
	v_fma_f64 v[32:33], -v[30:31], v[30:31], v[26:27]
	s_delay_alu instid0(VALU_DEP_1) | instskip(NEXT) | instid1(VALU_DEP_1)
	v_fma_f64 v[30:31], v[32:33], v[28:29], v[30:31]
	v_fma_f64 v[32:33], -v[30:31], v[30:31], v[26:27]
	s_delay_alu instid0(VALU_DEP_1) | instskip(SKIP_2) | instid1(VALU_DEP_1)
	v_fma_f64 v[28:29], v[32:33], v[28:29], v[30:31]
	v_add_f64 v[30:31], v[18:19], v[18:19]
	v_fma_f64 v[32:33], v[16:17], v[16:17], -v[8:9]
	v_fma_f64 v[30:31], v[16:17], v[30:31], v[32:33]
	s_delay_alu instid0(VALU_DEP_1) | instskip(NEXT) | instid1(VALU_DEP_1)
	v_add_f64 v[8:9], v[8:9], v[30:31]
	v_fma_f64 v[30:31], v[8:9], s[28:29], s[26:27]
	s_mov_b32 s26, 0x90a8aae0
	s_mov_b32 s27, 0x3f17746f
	s_delay_alu instid0(VALU_DEP_1) | instid1(SALU_CYCLE_1)
	v_fma_f64 v[30:31], v[8:9], v[30:31], s[26:27]
	s_mov_b32 s26, 0xa6fbf144
	s_mov_b32 s27, 0xbefbb44d
	s_delay_alu instid0(VALU_DEP_1) | instid1(SALU_CYCLE_1)
	;; [unrolled: 4-line block ×4, first 2 shown]
	v_fma_f64 v[30:31], v[8:9], v[30:31], s[26:27]
	s_delay_alu instid0(VALU_DEP_1) | instskip(NEXT) | instid1(VALU_DEP_1)
	v_fma_f64 v[30:31], v[8:9], v[30:31], s[30:31]
	v_fma_f64 v[30:31], v[8:9], v[30:31], s[34:35]
	s_delay_alu instid0(VALU_DEP_1) | instskip(NEXT) | instid1(VALU_DEP_1)
	v_fma_f64 v[30:31], v[8:9], v[30:31], s[36:37]
	v_fma_f64 v[30:31], v[8:9], v[30:31], s[38:39]
	s_delay_alu instid0(VALU_DEP_1) | instskip(NEXT) | instid1(VALU_DEP_1)
	v_fma_f64 v[30:31], v[8:9], v[30:31], s[40:41]
	v_fma_f64 v[30:31], v[8:9], v[30:31], s[42:43]
	s_delay_alu instid0(VALU_DEP_1) | instskip(NEXT) | instid1(VALU_DEP_1)
	v_fma_f64 v[30:31], v[8:9], v[30:31], s[44:45]
	v_fma_f64 v[30:31], v[8:9], v[30:31], s[46:47]
	s_delay_alu instid0(VALU_DEP_1) | instskip(NEXT) | instid1(VALU_DEP_1)
	v_mul_f64 v[8:9], v[8:9], v[30:31]
	v_mul_f64 v[30:31], v[16:17], v[8:9]
	s_delay_alu instid0(VALU_DEP_1) | instskip(NEXT) | instid1(VALU_DEP_1)
	v_fma_f64 v[8:9], v[16:17], v[8:9], -v[30:31]
	v_add_f64 v[8:9], v[18:19], v[8:9]
	v_add_f64 v[18:19], v[16:17], v[30:31]
	s_delay_alu instid0(VALU_DEP_1) | instskip(NEXT) | instid1(VALU_DEP_1)
	v_add_f64 v[16:17], v[18:19], -v[16:17]
	v_add_f64 v[16:17], v[30:31], -v[16:17]
	s_delay_alu instid0(VALU_DEP_1) | instskip(NEXT) | instid1(VALU_DEP_1)
	v_add_f64 v[8:9], v[8:9], v[16:17]
	v_add_f64 v[16:17], v[18:19], v[8:9]
	s_delay_alu instid0(VALU_DEP_1) | instskip(SKIP_1) | instid1(VALU_DEP_1)
	v_rcp_f64_e32 v[30:31], v[16:17]
	v_add_f64 v[18:19], v[16:17], -v[18:19]
	v_add_f64 v[8:9], v[8:9], -v[18:19]
	s_waitcnt_depctr 0xfff
	v_fma_f64 v[32:33], -v[16:17], v[30:31], 1.0
	s_delay_alu instid0(VALU_DEP_1) | instskip(NEXT) | instid1(VALU_DEP_1)
	v_fma_f64 v[30:31], v[32:33], v[30:31], v[30:31]
	v_fma_f64 v[32:33], -v[16:17], v[30:31], 1.0
	s_delay_alu instid0(VALU_DEP_1) | instskip(NEXT) | instid1(VALU_DEP_1)
	v_fma_f64 v[30:31], v[32:33], v[30:31], v[30:31]
	v_mul_f64 v[18:19], v[16:17], v[30:31]
	s_delay_alu instid0(VALU_DEP_1) | instskip(NEXT) | instid1(VALU_DEP_1)
	v_fma_f64 v[32:33], v[30:31], v[16:17], -v[18:19]
	v_fma_f64 v[8:9], v[30:31], v[8:9], v[32:33]
	s_delay_alu instid0(VALU_DEP_1) | instskip(NEXT) | instid1(VALU_DEP_1)
	v_add_f64 v[32:33], v[18:19], v[8:9]
	v_add_f64 v[18:19], v[32:33], -v[18:19]
	s_delay_alu instid0(VALU_DEP_1) | instskip(SKIP_1) | instid1(VALU_DEP_1)
	v_add_f64 v[8:9], v[18:19], -v[8:9]
	v_add_f64 v[18:19], -v[32:33], 1.0
	v_add_f64 v[34:35], -v[18:19], 1.0
	s_delay_alu instid0(VALU_DEP_1) | instskip(NEXT) | instid1(VALU_DEP_1)
	v_add_f64 v[32:33], v[34:35], -v[32:33]
	v_add_f64 v[8:9], v[8:9], v[32:33]
	s_delay_alu instid0(VALU_DEP_1) | instskip(SKIP_1) | instid1(VALU_DEP_1)
	v_add_f64 v[8:9], v[18:19], v[8:9]
	v_and_b32_e32 v18, 1, v21
	v_cmp_eq_u32_e64 s0, 0, v18
	s_delay_alu instid0(VALU_DEP_3) | instskip(NEXT) | instid1(VALU_DEP_1)
	v_mul_f64 v[8:9], v[30:31], v[8:9]
	v_add_f64 v[8:9], v[30:31], v[8:9]
	s_delay_alu instid0(VALU_DEP_1) | instskip(NEXT) | instid1(VALU_DEP_2)
	v_xor_b32_e32 v9, 0x80000000, v9
	v_cndmask_b32_e64 v8, v8, v16, s0
	s_delay_alu instid0(VALU_DEP_2) | instskip(SKIP_2) | instid1(VALU_DEP_3)
	v_cndmask_b32_e64 v9, v9, v17, s0
	v_cndmask_b32_e64 v17, 0, 0xffffff80, vcc_lo
	v_cmp_class_f64_e64 vcc_lo, v[26:27], 0x260
	v_xor_b32_e32 v9, v9, v36
	s_delay_alu instid0(VALU_DEP_3) | instskip(NEXT) | instid1(VALU_DEP_2)
	v_ldexp_f64 v[16:17], v[28:29], v17
	v_fma_f64 v[18:19], v[8:9], v[8:9], 1.0
	s_delay_alu instid0(VALU_DEP_2) | instskip(NEXT) | instid1(VALU_DEP_2)
	v_dual_cndmask_b32 v17, v17, v27 :: v_dual_cndmask_b32 v16, v16, v26
	v_mul_f64 v[26:27], v[10:11], v[18:19]
	s_delay_alu instid0(VALU_DEP_2) | instskip(NEXT) | instid1(VALU_DEP_2)
	v_mul_f64 v[16:17], v[16:17], v[18:19]
	v_fma_f64 v[26:27], v[10:11], v[26:27], 1.0
	s_delay_alu instid0(VALU_DEP_2) | instskip(NEXT) | instid1(VALU_DEP_1)
	v_mul_f64 v[10:11], v[10:11], v[16:17]
	v_div_scale_f64 v[16:17], null, v[26:27], v[26:27], v[10:11]
	s_delay_alu instid0(VALU_DEP_1) | instskip(SKIP_2) | instid1(VALU_DEP_1)
	v_rcp_f64_e32 v[18:19], v[16:17]
	s_waitcnt_depctr 0xfff
	v_fma_f64 v[28:29], -v[16:17], v[18:19], 1.0
	v_fma_f64 v[18:19], v[18:19], v[28:29], v[18:19]
	s_delay_alu instid0(VALU_DEP_1) | instskip(NEXT) | instid1(VALU_DEP_1)
	v_fma_f64 v[28:29], -v[16:17], v[18:19], 1.0
	v_fma_f64 v[18:19], v[18:19], v[28:29], v[18:19]
	v_div_scale_f64 v[28:29], vcc_lo, v[10:11], v[26:27], v[10:11]
	s_delay_alu instid0(VALU_DEP_1) | instskip(NEXT) | instid1(VALU_DEP_1)
	v_mul_f64 v[30:31], v[28:29], v[18:19]
	v_fma_f64 v[16:17], -v[16:17], v[30:31], v[28:29]
	s_delay_alu instid0(VALU_DEP_1) | instskip(SKIP_1) | instid1(VALU_DEP_1)
	v_div_fmas_f64 v[16:17], v[16:17], v[18:19], v[30:31]
	v_div_scale_f64 v[18:19], null, v[26:27], v[26:27], v[8:9]
	v_rcp_f64_e32 v[28:29], v[18:19]
	s_waitcnt_depctr 0xfff
	v_fma_f64 v[30:31], -v[18:19], v[28:29], 1.0
	s_delay_alu instid0(VALU_DEP_1) | instskip(NEXT) | instid1(VALU_DEP_1)
	v_fma_f64 v[28:29], v[28:29], v[30:31], v[28:29]
	v_fma_f64 v[30:31], -v[18:19], v[28:29], 1.0
	s_delay_alu instid0(VALU_DEP_1) | instskip(SKIP_1) | instid1(VALU_DEP_1)
	v_fma_f64 v[28:29], v[28:29], v[30:31], v[28:29]
	v_div_scale_f64 v[30:31], vcc_lo, v[8:9], v[26:27], v[8:9]
	v_mul_f64 v[32:33], v[30:31], v[28:29]
	s_delay_alu instid0(VALU_DEP_1) | instskip(NEXT) | instid1(VALU_DEP_1)
	v_fma_f64 v[18:19], -v[18:19], v[32:33], v[30:31]
	v_div_fmas_f64 v[28:29], v[18:19], v[28:29], v[32:33]
	v_div_fixup_f64 v[18:19], v[16:17], v[26:27], v[10:11]
	s_delay_alu instid0(VALU_DEP_2)
	v_div_fixup_f64 v[16:17], v[28:29], v[26:27], v[8:9]
                                        ; implicit-def: $vgpr8_vgpr9
.LBB100_264:                            ;   in Loop: Header=BB100_180 Depth=1
	s_and_not1_saveexec_b32 s0, s12
	s_cbranch_execz .LBB100_274
; %bb.265:                              ;   in Loop: Header=BB100_180 Depth=1
	v_cmp_ngt_f64_e64 s12, 0x41d00000, |v[8:9]|
                                        ; implicit-def: $vgpr30
                                        ; implicit-def: $vgpr16_vgpr17
                                        ; implicit-def: $vgpr18_vgpr19
	s_delay_alu instid0(VALU_DEP_1) | instskip(NEXT) | instid1(SALU_CYCLE_1)
	s_and_saveexec_b32 s2, s12
	s_xor_b32 s6, exec_lo, s2
	s_cbranch_execz .LBB100_267
; %bb.266:                              ;   in Loop: Header=BB100_180 Depth=1
	v_ldexp_f64 v[16:17], |v[8:9]|, 0xffffff80
	v_cmp_le_f64_e64 vcc_lo, 0x7b000000, |v[8:9]|
	v_trig_preop_f64 v[18:19], |v[8:9]|, 0
	v_and_b32_e32 v21, 0x7fffffff, v9
	v_trig_preop_f64 v[28:29], |v[8:9]|, 1
	v_trig_preop_f64 v[32:33], |v[8:9]|, 2
	s_mov_b32 s2, s4
	s_mov_b32 s11, s7
	v_dual_cndmask_b32 v16, v8, v16 :: v_dual_cndmask_b32 v17, v21, v17
	s_delay_alu instid0(VALU_DEP_1) | instskip(NEXT) | instid1(VALU_DEP_4)
	v_mul_f64 v[26:27], v[18:19], v[16:17]
	v_mul_f64 v[30:31], v[28:29], v[16:17]
	s_delay_alu instid0(VALU_DEP_4) | instskip(NEXT) | instid1(VALU_DEP_3)
	v_mul_f64 v[34:35], v[32:33], v[16:17]
	v_fma_f64 v[18:19], v[18:19], v[16:17], -v[26:27]
	s_delay_alu instid0(VALU_DEP_3) | instskip(NEXT) | instid1(VALU_DEP_3)
	v_fma_f64 v[28:29], v[28:29], v[16:17], -v[30:31]
	v_fma_f64 v[16:17], v[32:33], v[16:17], -v[34:35]
	s_delay_alu instid0(VALU_DEP_3) | instskip(NEXT) | instid1(VALU_DEP_1)
	v_add_f64 v[32:33], v[30:31], v[18:19]
	v_add_f64 v[36:37], v[32:33], -v[30:31]
	s_delay_alu instid0(VALU_DEP_1) | instskip(SKIP_1) | instid1(VALU_DEP_1)
	v_add_f64 v[18:19], v[18:19], -v[36:37]
	v_add_f64 v[36:37], v[32:33], -v[36:37]
	;; [unrolled: 1-line block ×3, first 2 shown]
	v_add_f64 v[36:37], v[26:27], v[32:33]
	s_delay_alu instid0(VALU_DEP_2) | instskip(NEXT) | instid1(VALU_DEP_2)
	v_add_f64 v[18:19], v[18:19], v[30:31]
	v_add_f64 v[26:27], v[36:37], -v[26:27]
	v_add_f64 v[30:31], v[34:35], v[28:29]
	v_ldexp_f64 v[36:37], v[36:37], -2
	s_delay_alu instid0(VALU_DEP_3) | instskip(NEXT) | instid1(VALU_DEP_3)
	v_add_f64 v[26:27], v[32:33], -v[26:27]
	v_add_f64 v[32:33], v[30:31], -v[34:35]
	s_delay_alu instid0(VALU_DEP_3) | instskip(SKIP_1) | instid1(VALU_DEP_3)
	v_cmp_neq_f64_e64 vcc_lo, 0x7ff00000, |v[36:37]|
	v_fract_f64_e32 v[36:37], v[36:37]
	v_add_f64 v[28:29], v[28:29], -v[32:33]
	v_add_f64 v[32:33], v[30:31], -v[32:33]
	s_delay_alu instid0(VALU_DEP_3) | instskip(NEXT) | instid1(VALU_DEP_2)
	v_dual_cndmask_b32 v36, 0, v36 :: v_dual_cndmask_b32 v37, 0, v37
	v_add_f64 v[32:33], v[34:35], -v[32:33]
	v_add_f64 v[34:35], v[30:31], v[18:19]
	s_delay_alu instid0(VALU_DEP_2) | instskip(NEXT) | instid1(VALU_DEP_2)
	v_add_f64 v[28:29], v[28:29], v[32:33]
	v_add_f64 v[38:39], v[34:35], -v[30:31]
	v_add_f64 v[32:33], v[26:27], v[34:35]
	s_delay_alu instid0(VALU_DEP_2) | instskip(SKIP_1) | instid1(VALU_DEP_3)
	v_add_f64 v[18:19], v[18:19], -v[38:39]
	v_add_f64 v[38:39], v[34:35], -v[38:39]
	;; [unrolled: 1-line block ×3, first 2 shown]
	s_delay_alu instid0(VALU_DEP_2) | instskip(NEXT) | instid1(VALU_DEP_2)
	v_add_f64 v[30:31], v[30:31], -v[38:39]
	v_add_f64 v[26:27], v[34:35], -v[26:27]
	s_delay_alu instid0(VALU_DEP_2) | instskip(SKIP_1) | instid1(VALU_DEP_2)
	v_add_f64 v[18:19], v[18:19], v[30:31]
	v_ldexp_f64 v[30:31], v[36:37], 2
	v_add_f64 v[18:19], v[28:29], v[18:19]
	s_delay_alu instid0(VALU_DEP_2) | instskip(NEXT) | instid1(VALU_DEP_2)
	v_add_f64 v[36:37], v[32:33], v[30:31]
	v_add_f64 v[16:17], v[16:17], v[18:19]
	s_delay_alu instid0(VALU_DEP_2) | instskip(NEXT) | instid1(VALU_DEP_2)
	v_cmp_gt_f64_e32 vcc_lo, 0, v[36:37]
	v_add_f64 v[16:17], v[26:27], v[16:17]
	v_cndmask_b32_e64 v21, 0, 0x40100000, vcc_lo
	s_delay_alu instid0(VALU_DEP_1) | instskip(NEXT) | instid1(VALU_DEP_1)
	v_add_f64 v[18:19], v[30:31], v[20:21]
	v_add_f64 v[28:29], v[32:33], v[18:19]
	s_delay_alu instid0(VALU_DEP_1) | instskip(NEXT) | instid1(VALU_DEP_1)
	v_cvt_i32_f64_e32 v30, v[28:29]
	v_cvt_f64_i32_e32 v[28:29], v30
	s_delay_alu instid0(VALU_DEP_1) | instskip(NEXT) | instid1(VALU_DEP_1)
	v_add_f64 v[18:19], v[18:19], -v[28:29]
	v_add_f64 v[26:27], v[32:33], v[18:19]
	s_delay_alu instid0(VALU_DEP_1) | instskip(SKIP_1) | instid1(VALU_DEP_2)
	v_add_f64 v[18:19], v[26:27], -v[18:19]
	v_cmp_le_f64_e32 vcc_lo, 0.5, v[26:27]
	v_add_f64 v[18:19], v[32:33], -v[18:19]
	v_cndmask_b32_e64 v21, 0, 0x3ff00000, vcc_lo
	v_add_co_ci_u32_e32 v30, vcc_lo, 0, v30, vcc_lo
	s_delay_alu instid0(VALU_DEP_2) | instskip(NEXT) | instid1(VALU_DEP_4)
	v_add_f64 v[26:27], v[26:27], -v[20:21]
	v_add_f64 v[16:17], v[16:17], v[18:19]
	s_delay_alu instid0(VALU_DEP_1) | instskip(NEXT) | instid1(VALU_DEP_1)
	v_add_f64 v[18:19], v[26:27], v[16:17]
	v_add_f64 v[26:27], v[18:19], -v[26:27]
	s_delay_alu instid0(VALU_DEP_1) | instskip(SKIP_1) | instid1(VALU_DEP_1)
	v_add_f64 v[16:17], v[16:17], -v[26:27]
	v_mul_f64 v[26:27], v[18:19], s[2:3]
	v_fma_f64 v[28:29], v[18:19], s[2:3], -v[26:27]
	s_delay_alu instid0(VALU_DEP_1) | instskip(NEXT) | instid1(VALU_DEP_1)
	v_fma_f64 v[18:19], v[18:19], s[10:11], v[28:29]
	v_fma_f64 v[18:19], v[16:17], s[2:3], v[18:19]
	s_delay_alu instid0(VALU_DEP_1) | instskip(NEXT) | instid1(VALU_DEP_1)
	v_add_f64 v[16:17], v[26:27], v[18:19]
	v_add_f64 v[26:27], v[16:17], -v[26:27]
	s_delay_alu instid0(VALU_DEP_1)
	v_add_f64 v[18:19], v[18:19], -v[26:27]
	s_and_not1_saveexec_b32 s2, s6
	s_cbranch_execz .LBB100_269
	s_branch .LBB100_268
.LBB100_267:                            ;   in Loop: Header=BB100_180 Depth=1
	s_and_not1_saveexec_b32 s2, s6
	s_cbranch_execz .LBB100_269
.LBB100_268:                            ;   in Loop: Header=BB100_180 Depth=1
	v_mul_f64 v[16:17], |v[8:9]|, s[14:15]
	s_mov_b32 s6, s16
	s_delay_alu instid0(VALU_DEP_1) | instskip(NEXT) | instid1(VALU_DEP_1)
	v_rndne_f64_e32 v[26:27], v[16:17]
	v_fma_f64 v[16:17], v[26:27], s[4:5], |v[8:9]|
	v_mul_f64 v[18:19], v[26:27], s[16:17]
	s_delay_alu instid0(VALU_DEP_2) | instskip(NEXT) | instid1(VALU_DEP_2)
	v_fma_f64 v[30:31], v[26:27], s[16:17], v[16:17]
	v_add_f64 v[28:29], v[16:17], v[18:19]
	s_delay_alu instid0(VALU_DEP_1) | instskip(NEXT) | instid1(VALU_DEP_3)
	v_add_f64 v[16:17], v[16:17], -v[28:29]
	v_add_f64 v[28:29], v[28:29], -v[30:31]
	s_delay_alu instid0(VALU_DEP_2) | instskip(SKIP_1) | instid1(VALU_DEP_2)
	v_add_f64 v[16:17], v[16:17], v[18:19]
	v_fma_f64 v[18:19], v[26:27], s[6:7], v[18:19]
	v_add_f64 v[16:17], v[28:29], v[16:17]
	s_delay_alu instid0(VALU_DEP_1) | instskip(NEXT) | instid1(VALU_DEP_1)
	v_add_f64 v[16:17], v[16:17], -v[18:19]
	v_fma_f64 v[18:19], v[26:27], s[18:19], v[16:17]
	s_delay_alu instid0(VALU_DEP_1) | instskip(NEXT) | instid1(VALU_DEP_1)
	v_add_f64 v[16:17], v[30:31], v[18:19]
	v_add_f64 v[28:29], v[16:17], -v[30:31]
	v_cvt_i32_f64_e32 v30, v[26:27]
	s_delay_alu instid0(VALU_DEP_2)
	v_add_f64 v[18:19], v[18:19], -v[28:29]
.LBB100_269:                            ;   in Loop: Header=BB100_180 Depth=1
	s_or_b32 exec_lo, exec_lo, s2
                                        ; implicit-def: $vgpr21
                                        ; implicit-def: $vgpr26_vgpr27
                                        ; implicit-def: $vgpr28_vgpr29
	s_and_saveexec_b32 s2, s12
	s_delay_alu instid0(SALU_CYCLE_1)
	s_xor_b32 s6, exec_lo, s2
	s_cbranch_execz .LBB100_271
; %bb.270:                              ;   in Loop: Header=BB100_180 Depth=1
	v_ldexp_f64 v[26:27], |v[8:9]|, 0xffffff80
	v_cmp_le_f64_e64 vcc_lo, 0x7b000000, |v[8:9]|
	v_trig_preop_f64 v[28:29], |v[8:9]|, 0
	v_and_b32_e32 v21, 0x7fffffff, v9
	v_trig_preop_f64 v[33:34], |v[8:9]|, 1
	v_trig_preop_f64 v[37:38], |v[8:9]|, 2
	s_mov_b32 s2, s4
	s_mov_b32 s11, s7
	v_dual_cndmask_b32 v26, v8, v26 :: v_dual_cndmask_b32 v27, v21, v27
	s_delay_alu instid0(VALU_DEP_1) | instskip(NEXT) | instid1(VALU_DEP_4)
	v_mul_f64 v[31:32], v[28:29], v[26:27]
	v_mul_f64 v[35:36], v[33:34], v[26:27]
	s_delay_alu instid0(VALU_DEP_4) | instskip(NEXT) | instid1(VALU_DEP_3)
	v_mul_f64 v[39:40], v[37:38], v[26:27]
	v_fma_f64 v[28:29], v[28:29], v[26:27], -v[31:32]
	s_delay_alu instid0(VALU_DEP_3) | instskip(NEXT) | instid1(VALU_DEP_3)
	v_fma_f64 v[33:34], v[33:34], v[26:27], -v[35:36]
	v_fma_f64 v[26:27], v[37:38], v[26:27], -v[39:40]
	s_delay_alu instid0(VALU_DEP_3) | instskip(NEXT) | instid1(VALU_DEP_1)
	v_add_f64 v[37:38], v[35:36], v[28:29]
	v_add_f64 v[41:42], v[37:38], -v[35:36]
	s_delay_alu instid0(VALU_DEP_1) | instskip(SKIP_1) | instid1(VALU_DEP_1)
	v_add_f64 v[28:29], v[28:29], -v[41:42]
	v_add_f64 v[41:42], v[37:38], -v[41:42]
	;; [unrolled: 1-line block ×3, first 2 shown]
	v_add_f64 v[41:42], v[31:32], v[37:38]
	s_delay_alu instid0(VALU_DEP_2) | instskip(NEXT) | instid1(VALU_DEP_2)
	v_add_f64 v[28:29], v[28:29], v[35:36]
	v_add_f64 v[31:32], v[41:42], -v[31:32]
	v_add_f64 v[35:36], v[39:40], v[33:34]
	v_ldexp_f64 v[41:42], v[41:42], -2
	s_delay_alu instid0(VALU_DEP_3) | instskip(NEXT) | instid1(VALU_DEP_3)
	v_add_f64 v[31:32], v[37:38], -v[31:32]
	v_add_f64 v[37:38], v[35:36], -v[39:40]
	s_delay_alu instid0(VALU_DEP_3) | instskip(SKIP_1) | instid1(VALU_DEP_3)
	v_cmp_neq_f64_e64 vcc_lo, 0x7ff00000, |v[41:42]|
	v_fract_f64_e32 v[41:42], v[41:42]
	v_add_f64 v[33:34], v[33:34], -v[37:38]
	v_add_f64 v[37:38], v[35:36], -v[37:38]
	s_delay_alu instid0(VALU_DEP_3) | instskip(NEXT) | instid1(VALU_DEP_2)
	v_dual_cndmask_b32 v42, 0, v42 :: v_dual_cndmask_b32 v41, 0, v41
	v_add_f64 v[37:38], v[39:40], -v[37:38]
	v_add_f64 v[39:40], v[35:36], v[28:29]
	s_delay_alu instid0(VALU_DEP_2) | instskip(NEXT) | instid1(VALU_DEP_2)
	v_add_f64 v[33:34], v[33:34], v[37:38]
	v_add_f64 v[43:44], v[39:40], -v[35:36]
	v_add_f64 v[37:38], v[31:32], v[39:40]
	s_delay_alu instid0(VALU_DEP_2) | instskip(SKIP_1) | instid1(VALU_DEP_3)
	v_add_f64 v[28:29], v[28:29], -v[43:44]
	v_add_f64 v[43:44], v[39:40], -v[43:44]
	;; [unrolled: 1-line block ×3, first 2 shown]
	s_delay_alu instid0(VALU_DEP_2) | instskip(NEXT) | instid1(VALU_DEP_2)
	v_add_f64 v[35:36], v[35:36], -v[43:44]
	v_add_f64 v[31:32], v[39:40], -v[31:32]
	s_delay_alu instid0(VALU_DEP_2) | instskip(SKIP_1) | instid1(VALU_DEP_2)
	v_add_f64 v[28:29], v[28:29], v[35:36]
	v_ldexp_f64 v[35:36], v[41:42], 2
	v_add_f64 v[28:29], v[33:34], v[28:29]
	s_delay_alu instid0(VALU_DEP_2) | instskip(NEXT) | instid1(VALU_DEP_2)
	v_add_f64 v[41:42], v[37:38], v[35:36]
	v_add_f64 v[26:27], v[26:27], v[28:29]
	s_delay_alu instid0(VALU_DEP_2) | instskip(NEXT) | instid1(VALU_DEP_2)
	v_cmp_gt_f64_e32 vcc_lo, 0, v[41:42]
	v_add_f64 v[26:27], v[31:32], v[26:27]
	v_cndmask_b32_e64 v21, 0, 0x40100000, vcc_lo
	s_delay_alu instid0(VALU_DEP_1) | instskip(NEXT) | instid1(VALU_DEP_1)
	v_add_f64 v[28:29], v[35:36], v[20:21]
	v_add_f64 v[33:34], v[37:38], v[28:29]
	s_delay_alu instid0(VALU_DEP_1) | instskip(NEXT) | instid1(VALU_DEP_1)
	v_cvt_i32_f64_e32 v35, v[33:34]
	v_cvt_f64_i32_e32 v[33:34], v35
	s_delay_alu instid0(VALU_DEP_1) | instskip(NEXT) | instid1(VALU_DEP_1)
	v_add_f64 v[28:29], v[28:29], -v[33:34]
	v_add_f64 v[31:32], v[37:38], v[28:29]
	s_delay_alu instid0(VALU_DEP_1) | instskip(SKIP_1) | instid1(VALU_DEP_2)
	v_add_f64 v[28:29], v[31:32], -v[28:29]
	v_cmp_le_f64_e32 vcc_lo, 0.5, v[31:32]
	v_add_f64 v[28:29], v[37:38], -v[28:29]
	v_cndmask_b32_e64 v21, 0, 0x3ff00000, vcc_lo
	s_delay_alu instid0(VALU_DEP_1) | instskip(SKIP_1) | instid1(VALU_DEP_4)
	v_add_f64 v[31:32], v[31:32], -v[20:21]
	v_add_co_ci_u32_e32 v21, vcc_lo, 0, v35, vcc_lo
	v_add_f64 v[26:27], v[26:27], v[28:29]
	s_delay_alu instid0(VALU_DEP_1) | instskip(NEXT) | instid1(VALU_DEP_1)
	v_add_f64 v[28:29], v[31:32], v[26:27]
	v_add_f64 v[31:32], v[28:29], -v[31:32]
	s_delay_alu instid0(VALU_DEP_1) | instskip(SKIP_1) | instid1(VALU_DEP_1)
	v_add_f64 v[26:27], v[26:27], -v[31:32]
	v_mul_f64 v[31:32], v[28:29], s[2:3]
	v_fma_f64 v[33:34], v[28:29], s[2:3], -v[31:32]
	s_delay_alu instid0(VALU_DEP_1) | instskip(NEXT) | instid1(VALU_DEP_1)
	v_fma_f64 v[28:29], v[28:29], s[10:11], v[33:34]
	v_fma_f64 v[28:29], v[26:27], s[2:3], v[28:29]
	s_delay_alu instid0(VALU_DEP_1) | instskip(NEXT) | instid1(VALU_DEP_1)
	v_add_f64 v[26:27], v[31:32], v[28:29]
	v_add_f64 v[31:32], v[26:27], -v[31:32]
	s_delay_alu instid0(VALU_DEP_1)
	v_add_f64 v[28:29], v[28:29], -v[31:32]
	s_and_not1_saveexec_b32 s2, s6
	s_cbranch_execnz .LBB100_272
	s_branch .LBB100_273
.LBB100_271:                            ;   in Loop: Header=BB100_180 Depth=1
	s_and_not1_saveexec_b32 s2, s6
	s_cbranch_execz .LBB100_273
.LBB100_272:                            ;   in Loop: Header=BB100_180 Depth=1
	v_mul_f64 v[26:27], |v[8:9]|, s[14:15]
	s_mov_b32 s6, s16
	s_delay_alu instid0(VALU_DEP_1) | instskip(NEXT) | instid1(VALU_DEP_1)
	v_rndne_f64_e32 v[31:32], v[26:27]
	v_fma_f64 v[26:27], v[31:32], s[4:5], |v[8:9]|
	v_mul_f64 v[28:29], v[31:32], s[16:17]
	v_cvt_i32_f64_e32 v21, v[31:32]
	s_delay_alu instid0(VALU_DEP_3) | instskip(NEXT) | instid1(VALU_DEP_3)
	v_fma_f64 v[35:36], v[31:32], s[16:17], v[26:27]
	v_add_f64 v[33:34], v[26:27], v[28:29]
	s_delay_alu instid0(VALU_DEP_1) | instskip(NEXT) | instid1(VALU_DEP_3)
	v_add_f64 v[26:27], v[26:27], -v[33:34]
	v_add_f64 v[33:34], v[33:34], -v[35:36]
	s_delay_alu instid0(VALU_DEP_2) | instskip(SKIP_1) | instid1(VALU_DEP_2)
	v_add_f64 v[26:27], v[26:27], v[28:29]
	v_fma_f64 v[28:29], v[31:32], s[6:7], v[28:29]
	v_add_f64 v[26:27], v[33:34], v[26:27]
	s_delay_alu instid0(VALU_DEP_1) | instskip(NEXT) | instid1(VALU_DEP_1)
	v_add_f64 v[26:27], v[26:27], -v[28:29]
	v_fma_f64 v[28:29], v[31:32], s[18:19], v[26:27]
	s_delay_alu instid0(VALU_DEP_1) | instskip(NEXT) | instid1(VALU_DEP_1)
	v_add_f64 v[26:27], v[35:36], v[28:29]
	v_add_f64 v[33:34], v[26:27], -v[35:36]
	s_delay_alu instid0(VALU_DEP_1)
	v_add_f64 v[28:29], v[28:29], -v[33:34]
.LBB100_273:                            ;   in Loop: Header=BB100_180 Depth=1
	s_or_b32 exec_lo, exec_lo, s2
	v_mul_f64 v[31:32], |v[10:11]|, s[56:57]
	s_delay_alu instid0(VALU_DEP_3) | instskip(SKIP_1) | instid1(VALU_DEP_4)
	v_mul_f64 v[37:38], v[16:17], v[16:17]
	v_mul_f64 v[39:40], v[26:27], v[26:27]
	v_mul_f64 v[55:56], v[18:19], 0.5
	v_mul_f64 v[63:64], v[28:29], 0.5
	s_mov_b32 s75, s21
	s_mov_b32 s77, s23
	;; [unrolled: 1-line block ×4, first 2 shown]
	v_rndne_f64_e32 v[31:32], v[31:32]
	v_fma_f64 v[41:42], v[37:38], s[96:97], s[94:95]
	v_fma_f64 v[43:44], v[39:40], s[96:97], s[94:95]
	;; [unrolled: 1-line block ×3, first 2 shown]
	v_mul_f64 v[47:48], v[37:38], 0.5
	v_mul_f64 v[49:50], v[39:40], 0.5
	v_fma_f64 v[51:52], v[39:40], s[86:87], s[84:85]
	v_mul_f64 v[57:58], v[16:17], -v[37:38]
	v_mul_f64 v[65:66], v[26:27], -v[39:40]
	v_fma_f64 v[33:34], v[31:32], s[48:49], -|v[10:11]|
	v_fma_f64 v[41:42], v[37:38], v[41:42], s[98:99]
	v_fma_f64 v[43:44], v[39:40], v[43:44], s[98:99]
	v_fma_f64 v[45:46], v[37:38], v[45:46], s[88:89]
	v_add_f64 v[53:54], -v[47:48], 1.0
	v_add_f64 v[59:60], -v[49:50], 1.0
	v_fma_f64 v[51:52], v[39:40], v[51:52], s[88:89]
	v_fma_f64 v[33:34], v[31:32], s[52:53], v[33:34]
	;; [unrolled: 1-line block ×5, first 2 shown]
	v_add_f64 v[61:62], -v[53:54], 1.0
	v_add_f64 v[67:68], -v[59:60], 1.0
	v_fma_f64 v[51:52], v[39:40], v[51:52], s[90:91]
	v_fma_f64 v[35:36], v[33:34], s[64:65], s[62:63]
	;; [unrolled: 1-line block ×5, first 2 shown]
	v_add_f64 v[47:48], v[61:62], -v[47:48]
	v_add_f64 v[49:50], v[67:68], -v[49:50]
	v_fma_f64 v[51:52], v[39:40], v[51:52], s[92:93]
	v_fma_f64 v[35:36], v[33:34], v[35:36], s[66:67]
	;; [unrolled: 1-line block ×4, first 2 shown]
	v_mul_f64 v[55:56], v[37:38], v[37:38]
	v_fma_f64 v[45:46], v[37:38], v[45:46], s[22:23]
	v_fma_f64 v[47:48], v[16:17], -v[18:19], v[47:48]
	v_fma_f64 v[35:36], v[33:34], v[35:36], s[68:69]
	v_fma_f64 v[18:19], v[37:38], v[41:42], -v[18:19]
	v_fma_f64 v[37:38], v[39:40], v[43:44], -v[28:29]
	v_mul_f64 v[41:42], v[39:40], v[39:40]
	v_fma_f64 v[39:40], v[39:40], v[51:52], s[22:23]
	v_fma_f64 v[28:29], v[26:27], -v[28:29], v[49:50]
	v_fma_f64 v[43:44], v[55:56], v[45:46], v[47:48]
	v_fma_f64 v[35:36], v[33:34], v[35:36], s[70:71]
	;; [unrolled: 1-line block ×5, first 2 shown]
	v_add_f64 v[39:40], v[53:54], v[43:44]
	v_fma_f64 v[35:36], v[33:34], v[35:36], s[72:73]
	v_add_f64 v[16:17], v[16:17], -v[18:19]
	v_add_f64 v[26:27], v[26:27], -v[37:38]
	v_lshlrev_b32_e32 v8, 30, v30
	s_delay_alu instid0(VALU_DEP_4) | instskip(NEXT) | instid1(VALU_DEP_3)
	v_fma_f64 v[35:36], v[33:34], v[35:36], s[74:75]
	v_xor_b32_e32 v27, 0x80000000, v27
	v_and_b32_e32 v30, 1, v30
	s_delay_alu instid0(VALU_DEP_1) | instskip(SKIP_2) | instid1(VALU_DEP_1)
	v_cmp_eq_u32_e32 vcc_lo, 0, v30
	v_dual_cndmask_b32 v17, v40, v17 :: v_dual_cndmask_b32 v16, v39, v16
	v_fma_f64 v[35:36], v[33:34], v[35:36], s[76:77]
	v_fma_f64 v[35:36], v[33:34], v[35:36], s[78:79]
	s_delay_alu instid0(VALU_DEP_1) | instskip(NEXT) | instid1(VALU_DEP_1)
	v_fma_f64 v[35:36], v[33:34], v[35:36], s[80:81]
	v_fma_f64 v[18:19], v[33:34], v[35:36], 1.0
	v_xor_b32_e32 v35, v8, v9
	v_add_f64 v[8:9], v[59:60], v[28:29]
	v_cvt_i32_f64_e32 v29, v[31:32]
	s_delay_alu instid0(VALU_DEP_3) | instskip(NEXT) | instid1(VALU_DEP_1)
	v_and_b32_e32 v28, 0x80000000, v35
	v_xor_b32_e32 v17, v17, v28
	v_fma_f64 v[18:19], v[33:34], v[18:19], 1.0
	s_delay_alu instid0(VALU_DEP_1) | instskip(SKIP_3) | instid1(VALU_DEP_3)
	v_ldexp_f64 v[18:19], v[18:19], v29
	v_and_b32_e32 v28, 1, v21
	v_lshlrev_b32_e32 v21, 30, v21
	v_mul_f64 v[16:17], v[16:17], 4.0
	v_cmp_eq_u32_e32 vcc_lo, 0, v28
	s_delay_alu instid0(VALU_DEP_3) | instskip(SKIP_2) | instid1(VALU_DEP_2)
	v_dual_cndmask_b32 v8, v26, v8 :: v_dual_and_b32 v21, 0x80000000, v21
	v_cndmask_b32_e32 v9, v27, v9, vcc_lo
	v_cmp_nlt_f64_e64 vcc_lo, 0x4090cc00, |v[10:11]|
	v_xor_b32_e32 v9, v9, v21
	s_delay_alu instid0(VALU_DEP_1) | instskip(SKIP_1) | instid1(VALU_DEP_1)
	v_mul_f64 v[8:9], v[16:17], v[8:9]
	v_dual_cndmask_b32 v17, 0, v19 :: v_dual_cndmask_b32 v16, 0, v18
	v_mul_f64 v[8:9], v[16:17], v[8:9]
	s_delay_alu instid0(VALU_DEP_1) | instskip(SKIP_1) | instid1(VALU_DEP_1)
	v_mul_f64 v[16:17], v[16:17], v[8:9]
	v_xor_b32_e32 v8, 0x80000000, v11
	v_bfi_b32 v21, 0x7fffffff, s2, v8
	s_delay_alu instid0(VALU_DEP_1)
	v_dual_mov_b32 v18, v20 :: v_dual_mov_b32 v19, v21
.LBB100_274:                            ;   in Loop: Header=BB100_180 Depth=1
	s_or_b32 exec_lo, exec_lo, s0
                                        ; implicit-def: $vgpr8_vgpr9
.LBB100_275:                            ;   in Loop: Header=BB100_180 Depth=1
	s_and_not1_saveexec_b32 s0, s24
; %bb.276:                              ;   in Loop: Header=BB100_180 Depth=1
	v_add_f64 v[16:17], v[8:9], -v[8:9]
	s_delay_alu instid0(VALU_DEP_1)
	v_dual_mov_b32 v19, v17 :: v_dual_mov_b32 v18, v16
; %bb.277:                              ;   in Loop: Header=BB100_180 Depth=1
	s_or_b32 exec_lo, exec_lo, s0
                                        ; implicit-def: $vgpr8_vgpr9
.LBB100_278:                            ;   in Loop: Header=BB100_180 Depth=1
	s_and_not1_saveexec_b32 s24, s1
	s_cbranch_execz .LBB100_294
; %bb.279:                              ;   in Loop: Header=BB100_180 Depth=1
	s_delay_alu instid0(VALU_DEP_1) | instskip(SKIP_1) | instid1(VALU_DEP_1)
	v_and_or_b32 v16, 0xfffff, v19, v18
	s_mov_b32 s0, exec_lo
	v_cmpx_ne_u32_e32 0, v16
	s_xor_b32 s0, exec_lo, s0
; %bb.280:                              ;   in Loop: Header=BB100_180 Depth=1
	v_mul_f64 v[10:11], v[8:9], -v[10:11]
	v_cmp_eq_f64_e32 vcc_lo, 0, v[8:9]
	s_delay_alu instid0(VALU_DEP_2)
	v_dual_cndmask_b32 v17, v11, v9 :: v_dual_cndmask_b32 v16, v10, v8
                                        ; implicit-def: $vgpr8_vgpr9
; %bb.281:                              ;   in Loop: Header=BB100_180 Depth=1
	s_and_not1_saveexec_b32 s25, s0
	s_cbranch_execz .LBB100_293
; %bb.282:                              ;   in Loop: Header=BB100_180 Depth=1
	s_mov_b32 s50, exec_lo
	v_cmpx_neq_f64_e64 0x7ff00000, |v[8:9]|
	s_cbranch_execz .LBB100_292
; %bb.283:                              ;   in Loop: Header=BB100_180 Depth=1
	v_cmp_ngt_f64_e64 s0, 0x41d00000, |v[8:9]|
	v_trig_preop_f64 v[30:31], |v[8:9]|, 0
	v_trig_preop_f64 v[28:29], |v[8:9]|, 1
	v_ldexp_f64 v[32:33], |v[8:9]|, 0xffffff80
	v_trig_preop_f64 v[26:27], |v[8:9]|, 2
	v_and_b32_e32 v39, 0x7fffffff, v9
                                        ; implicit-def: $vgpr38
                                        ; implicit-def: $vgpr10_vgpr11
                                        ; implicit-def: $vgpr16_vgpr17
	s_and_saveexec_b32 s1, s0
	s_delay_alu instid0(SALU_CYCLE_1)
	s_xor_b32 s1, exec_lo, s1
	s_cbranch_execz .LBB100_285
; %bb.284:                              ;   in Loop: Header=BB100_180 Depth=1
	v_cmp_le_f64_e64 vcc_lo, 0x7b000000, |v[8:9]|
	s_mov_b32 s2, s4
	s_mov_b32 s11, s7
	s_delay_alu instid0(VALU_DEP_4) | instskip(NEXT) | instid1(VALU_DEP_1)
	v_dual_cndmask_b32 v11, v39, v33 :: v_dual_cndmask_b32 v10, v8, v32
	v_mul_f64 v[16:17], v[30:31], v[10:11]
	v_mul_f64 v[34:35], v[28:29], v[10:11]
	s_delay_alu instid0(VALU_DEP_2) | instskip(NEXT) | instid1(VALU_DEP_1)
	v_fma_f64 v[36:37], v[30:31], v[10:11], -v[16:17]
	v_add_f64 v[40:41], v[34:35], v[36:37]
	s_delay_alu instid0(VALU_DEP_1) | instskip(SKIP_1) | instid1(VALU_DEP_2)
	v_add_f64 v[42:43], v[40:41], -v[34:35]
	v_add_f64 v[44:45], v[16:17], v[40:41]
	v_add_f64 v[36:37], v[36:37], -v[42:43]
	s_delay_alu instid0(VALU_DEP_2) | instskip(SKIP_1) | instid1(VALU_DEP_2)
	v_add_f64 v[16:17], v[44:45], -v[16:17]
	v_add_f64 v[42:43], v[40:41], -v[42:43]
	;; [unrolled: 1-line block ×3, first 2 shown]
	s_delay_alu instid0(VALU_DEP_2) | instskip(SKIP_2) | instid1(VALU_DEP_3)
	v_add_f64 v[40:41], v[34:35], -v[42:43]
	v_fma_f64 v[34:35], v[28:29], v[10:11], -v[34:35]
	v_mul_f64 v[42:43], v[26:27], v[10:11]
	v_add_f64 v[36:37], v[36:37], v[40:41]
	v_ldexp_f64 v[40:41], v[44:45], -2
	s_delay_alu instid0(VALU_DEP_3) | instskip(SKIP_1) | instid1(VALU_DEP_3)
	v_add_f64 v[44:45], v[42:43], v[34:35]
	v_fma_f64 v[10:11], v[26:27], v[10:11], -v[42:43]
	v_cmp_neq_f64_e64 vcc_lo, 0x7ff00000, |v[40:41]|
	s_delay_alu instid0(VALU_DEP_3) | instskip(SKIP_2) | instid1(VALU_DEP_3)
	v_add_f64 v[48:49], v[44:45], v[36:37]
	v_add_f64 v[46:47], v[44:45], -v[42:43]
	v_fract_f64_e32 v[40:41], v[40:41]
	v_add_f64 v[50:51], v[48:49], -v[44:45]
	s_delay_alu instid0(VALU_DEP_3) | instskip(SKIP_1) | instid1(VALU_DEP_4)
	v_add_f64 v[34:35], v[34:35], -v[46:47]
	v_add_f64 v[46:47], v[44:45], -v[46:47]
	v_dual_cndmask_b32 v41, 0, v41 :: v_dual_cndmask_b32 v40, 0, v40
	s_delay_alu instid0(VALU_DEP_1) | instskip(SKIP_4) | instid1(VALU_DEP_3)
	v_ldexp_f64 v[40:41], v[40:41], 2
	v_add_f64 v[36:37], v[36:37], -v[50:51]
	v_add_f64 v[50:51], v[48:49], -v[50:51]
	;; [unrolled: 1-line block ×3, first 2 shown]
	v_add_f64 v[42:43], v[16:17], v[48:49]
	v_add_f64 v[44:45], v[44:45], -v[50:51]
	s_delay_alu instid0(VALU_DEP_3) | instskip(NEXT) | instid1(VALU_DEP_3)
	v_add_f64 v[34:35], v[34:35], v[46:47]
	v_add_f64 v[16:17], v[42:43], -v[16:17]
	s_delay_alu instid0(VALU_DEP_3) | instskip(SKIP_1) | instid1(VALU_DEP_3)
	v_add_f64 v[36:37], v[36:37], v[44:45]
	v_add_f64 v[44:45], v[42:43], v[40:41]
	v_add_f64 v[16:17], v[48:49], -v[16:17]
	s_delay_alu instid0(VALU_DEP_3) | instskip(NEXT) | instid1(VALU_DEP_3)
	v_add_f64 v[34:35], v[34:35], v[36:37]
	v_cmp_gt_f64_e32 vcc_lo, 0, v[44:45]
	s_delay_alu instid0(VALU_DEP_2) | instskip(SKIP_1) | instid1(VALU_DEP_1)
	v_add_f64 v[10:11], v[10:11], v[34:35]
	v_cndmask_b32_e64 v21, 0, 0x40100000, vcc_lo
	v_add_f64 v[34:35], v[40:41], v[20:21]
	s_delay_alu instid0(VALU_DEP_3) | instskip(NEXT) | instid1(VALU_DEP_2)
	v_add_f64 v[10:11], v[16:17], v[10:11]
	v_add_f64 v[36:37], v[42:43], v[34:35]
	s_delay_alu instid0(VALU_DEP_1) | instskip(NEXT) | instid1(VALU_DEP_1)
	v_cvt_i32_f64_e32 v38, v[36:37]
	v_cvt_f64_i32_e32 v[36:37], v38
	s_delay_alu instid0(VALU_DEP_1) | instskip(NEXT) | instid1(VALU_DEP_1)
	v_add_f64 v[34:35], v[34:35], -v[36:37]
	v_add_f64 v[16:17], v[42:43], v[34:35]
	s_delay_alu instid0(VALU_DEP_1) | instskip(SKIP_1) | instid1(VALU_DEP_2)
	v_add_f64 v[34:35], v[16:17], -v[34:35]
	v_cmp_le_f64_e32 vcc_lo, 0.5, v[16:17]
	v_add_f64 v[34:35], v[42:43], -v[34:35]
	v_cndmask_b32_e64 v21, 0, 0x3ff00000, vcc_lo
	v_add_co_ci_u32_e32 v38, vcc_lo, 0, v38, vcc_lo
	s_delay_alu instid0(VALU_DEP_2) | instskip(NEXT) | instid1(VALU_DEP_4)
	v_add_f64 v[16:17], v[16:17], -v[20:21]
	v_add_f64 v[10:11], v[10:11], v[34:35]
	s_delay_alu instid0(VALU_DEP_1) | instskip(NEXT) | instid1(VALU_DEP_1)
	v_add_f64 v[34:35], v[16:17], v[10:11]
	v_add_f64 v[16:17], v[34:35], -v[16:17]
	s_delay_alu instid0(VALU_DEP_1) | instskip(SKIP_1) | instid1(VALU_DEP_1)
	v_add_f64 v[10:11], v[10:11], -v[16:17]
	v_mul_f64 v[16:17], v[34:35], s[2:3]
	v_fma_f64 v[36:37], v[34:35], s[2:3], -v[16:17]
	s_delay_alu instid0(VALU_DEP_1) | instskip(NEXT) | instid1(VALU_DEP_1)
	v_fma_f64 v[34:35], v[34:35], s[10:11], v[36:37]
	v_fma_f64 v[34:35], v[10:11], s[2:3], v[34:35]
	s_delay_alu instid0(VALU_DEP_1) | instskip(NEXT) | instid1(VALU_DEP_1)
	v_add_f64 v[10:11], v[16:17], v[34:35]
	v_add_f64 v[16:17], v[10:11], -v[16:17]
	s_delay_alu instid0(VALU_DEP_1)
	v_add_f64 v[16:17], v[34:35], -v[16:17]
	s_and_not1_saveexec_b32 s1, s1
	s_cbranch_execz .LBB100_287
	s_branch .LBB100_286
.LBB100_285:                            ;   in Loop: Header=BB100_180 Depth=1
	s_and_not1_saveexec_b32 s1, s1
	s_cbranch_execz .LBB100_287
.LBB100_286:                            ;   in Loop: Header=BB100_180 Depth=1
	v_mul_f64 v[10:11], |v[8:9]|, s[14:15]
	s_mov_b32 s6, s16
	s_delay_alu instid0(VALU_DEP_1) | instskip(NEXT) | instid1(VALU_DEP_1)
	v_rndne_f64_e32 v[34:35], v[10:11]
	v_fma_f64 v[10:11], v[34:35], s[4:5], |v[8:9]|
	v_mul_f64 v[16:17], v[34:35], s[16:17]
	v_cvt_i32_f64_e32 v38, v[34:35]
	s_delay_alu instid0(VALU_DEP_3) | instskip(NEXT) | instid1(VALU_DEP_3)
	v_fma_f64 v[40:41], v[34:35], s[16:17], v[10:11]
	v_add_f64 v[36:37], v[10:11], v[16:17]
	s_delay_alu instid0(VALU_DEP_1) | instskip(NEXT) | instid1(VALU_DEP_3)
	v_add_f64 v[10:11], v[10:11], -v[36:37]
	v_add_f64 v[36:37], v[36:37], -v[40:41]
	s_delay_alu instid0(VALU_DEP_2) | instskip(SKIP_1) | instid1(VALU_DEP_2)
	v_add_f64 v[10:11], v[10:11], v[16:17]
	v_fma_f64 v[16:17], v[34:35], s[6:7], v[16:17]
	v_add_f64 v[10:11], v[36:37], v[10:11]
	s_delay_alu instid0(VALU_DEP_1) | instskip(NEXT) | instid1(VALU_DEP_1)
	v_add_f64 v[10:11], v[10:11], -v[16:17]
	v_fma_f64 v[16:17], v[34:35], s[18:19], v[10:11]
	s_delay_alu instid0(VALU_DEP_1) | instskip(NEXT) | instid1(VALU_DEP_1)
	v_add_f64 v[10:11], v[40:41], v[16:17]
	v_add_f64 v[36:37], v[10:11], -v[40:41]
	s_delay_alu instid0(VALU_DEP_1)
	v_add_f64 v[16:17], v[16:17], -v[36:37]
.LBB100_287:                            ;   in Loop: Header=BB100_180 Depth=1
	s_or_b32 exec_lo, exec_lo, s1
                                        ; implicit-def: $vgpr21
                                        ; implicit-def: $vgpr34_vgpr35
                                        ; implicit-def: $vgpr36_vgpr37
	s_and_saveexec_b32 s1, s0
	s_delay_alu instid0(SALU_CYCLE_1)
	s_xor_b32 s0, exec_lo, s1
	s_cbranch_execz .LBB100_289
; %bb.288:                              ;   in Loop: Header=BB100_180 Depth=1
	v_cmp_le_f64_e64 vcc_lo, 0x7b000000, |v[8:9]|
	s_mov_b32 s2, s4
	s_mov_b32 s11, s7
	s_delay_alu instid0(VALU_DEP_4) | instskip(NEXT) | instid1(VALU_DEP_1)
	v_dual_cndmask_b32 v33, v39, v33 :: v_dual_cndmask_b32 v32, v8, v32
	v_mul_f64 v[34:35], v[30:31], v[32:33]
	v_mul_f64 v[36:37], v[28:29], v[32:33]
	;; [unrolled: 1-line block ×3, first 2 shown]
	s_delay_alu instid0(VALU_DEP_3) | instskip(NEXT) | instid1(VALU_DEP_3)
	v_fma_f64 v[30:31], v[30:31], v[32:33], -v[34:35]
	v_fma_f64 v[28:29], v[28:29], v[32:33], -v[36:37]
	s_delay_alu instid0(VALU_DEP_3) | instskip(NEXT) | instid1(VALU_DEP_3)
	v_fma_f64 v[26:27], v[26:27], v[32:33], -v[39:40]
	v_add_f64 v[32:33], v[36:37], v[30:31]
	s_delay_alu instid0(VALU_DEP_1) | instskip(NEXT) | instid1(VALU_DEP_1)
	v_add_f64 v[41:42], v[32:33], -v[36:37]
	v_add_f64 v[30:31], v[30:31], -v[41:42]
	;; [unrolled: 1-line block ×3, first 2 shown]
	s_delay_alu instid0(VALU_DEP_1) | instskip(SKIP_1) | instid1(VALU_DEP_2)
	v_add_f64 v[36:37], v[36:37], -v[41:42]
	v_add_f64 v[41:42], v[34:35], v[32:33]
	v_add_f64 v[30:31], v[30:31], v[36:37]
	s_delay_alu instid0(VALU_DEP_2) | instskip(SKIP_1) | instid1(VALU_DEP_2)
	v_add_f64 v[34:35], v[41:42], -v[34:35]
	v_ldexp_f64 v[41:42], v[41:42], -2
	v_add_f64 v[32:33], v[32:33], -v[34:35]
	v_add_f64 v[34:35], v[39:40], v[28:29]
	s_delay_alu instid0(VALU_DEP_3) | instskip(SKIP_1) | instid1(VALU_DEP_3)
	v_cmp_neq_f64_e64 vcc_lo, 0x7ff00000, |v[41:42]|
	v_fract_f64_e32 v[41:42], v[41:42]
	v_add_f64 v[36:37], v[34:35], -v[39:40]
	s_delay_alu instid0(VALU_DEP_2) | instskip(NEXT) | instid1(VALU_DEP_2)
	v_dual_cndmask_b32 v42, 0, v42 :: v_dual_cndmask_b32 v41, 0, v41
	v_add_f64 v[28:29], v[28:29], -v[36:37]
	v_add_f64 v[36:37], v[34:35], -v[36:37]
	s_delay_alu instid0(VALU_DEP_1) | instskip(SKIP_1) | instid1(VALU_DEP_2)
	v_add_f64 v[36:37], v[39:40], -v[36:37]
	v_add_f64 v[39:40], v[34:35], v[30:31]
	v_add_f64 v[28:29], v[28:29], v[36:37]
	s_delay_alu instid0(VALU_DEP_2) | instskip(SKIP_1) | instid1(VALU_DEP_2)
	v_add_f64 v[43:44], v[39:40], -v[34:35]
	v_add_f64 v[36:37], v[32:33], v[39:40]
	v_add_f64 v[30:31], v[30:31], -v[43:44]
	v_add_f64 v[43:44], v[39:40], -v[43:44]
	s_delay_alu instid0(VALU_DEP_1) | instskip(NEXT) | instid1(VALU_DEP_1)
	v_add_f64 v[34:35], v[34:35], -v[43:44]
	v_add_f64 v[30:31], v[30:31], v[34:35]
	v_ldexp_f64 v[34:35], v[41:42], 2
	s_delay_alu instid0(VALU_DEP_2) | instskip(NEXT) | instid1(VALU_DEP_2)
	v_add_f64 v[28:29], v[28:29], v[30:31]
	v_add_f64 v[41:42], v[36:37], v[34:35]
	v_add_f64 v[30:31], v[36:37], -v[32:33]
	s_delay_alu instid0(VALU_DEP_3) | instskip(NEXT) | instid1(VALU_DEP_3)
	v_add_f64 v[26:27], v[26:27], v[28:29]
	v_cmp_gt_f64_e32 vcc_lo, 0, v[41:42]
	s_delay_alu instid0(VALU_DEP_3) | instskip(SKIP_1) | instid1(VALU_DEP_2)
	v_add_f64 v[30:31], v[39:40], -v[30:31]
	v_cndmask_b32_e64 v21, 0, 0x40100000, vcc_lo
	v_add_f64 v[26:27], v[30:31], v[26:27]
	s_delay_alu instid0(VALU_DEP_2) | instskip(NEXT) | instid1(VALU_DEP_1)
	v_add_f64 v[28:29], v[34:35], v[20:21]
	v_add_f64 v[32:33], v[36:37], v[28:29]
	s_delay_alu instid0(VALU_DEP_1) | instskip(NEXT) | instid1(VALU_DEP_1)
	v_cvt_i32_f64_e32 v39, v[32:33]
	v_cvt_f64_i32_e32 v[32:33], v39
	s_delay_alu instid0(VALU_DEP_1) | instskip(NEXT) | instid1(VALU_DEP_1)
	v_add_f64 v[28:29], v[28:29], -v[32:33]
	v_add_f64 v[30:31], v[36:37], v[28:29]
	s_delay_alu instid0(VALU_DEP_1) | instskip(SKIP_1) | instid1(VALU_DEP_2)
	v_add_f64 v[28:29], v[30:31], -v[28:29]
	v_cmp_le_f64_e32 vcc_lo, 0.5, v[30:31]
	v_add_f64 v[28:29], v[36:37], -v[28:29]
	v_cndmask_b32_e64 v21, 0, 0x3ff00000, vcc_lo
	s_delay_alu instid0(VALU_DEP_1) | instskip(SKIP_1) | instid1(VALU_DEP_4)
	v_add_f64 v[30:31], v[30:31], -v[20:21]
	v_add_co_ci_u32_e32 v21, vcc_lo, 0, v39, vcc_lo
	v_add_f64 v[26:27], v[26:27], v[28:29]
	s_delay_alu instid0(VALU_DEP_1) | instskip(NEXT) | instid1(VALU_DEP_1)
	v_add_f64 v[28:29], v[30:31], v[26:27]
	v_add_f64 v[30:31], v[28:29], -v[30:31]
	s_delay_alu instid0(VALU_DEP_1) | instskip(SKIP_1) | instid1(VALU_DEP_1)
	v_add_f64 v[26:27], v[26:27], -v[30:31]
	v_mul_f64 v[30:31], v[28:29], s[2:3]
	v_fma_f64 v[32:33], v[28:29], s[2:3], -v[30:31]
	s_delay_alu instid0(VALU_DEP_1) | instskip(NEXT) | instid1(VALU_DEP_1)
	v_fma_f64 v[28:29], v[28:29], s[10:11], v[32:33]
	v_fma_f64 v[26:27], v[26:27], s[2:3], v[28:29]
	s_delay_alu instid0(VALU_DEP_1) | instskip(NEXT) | instid1(VALU_DEP_1)
	v_add_f64 v[34:35], v[30:31], v[26:27]
	v_add_f64 v[28:29], v[34:35], -v[30:31]
	s_delay_alu instid0(VALU_DEP_1)
	v_add_f64 v[36:37], v[26:27], -v[28:29]
	s_and_not1_saveexec_b32 s0, s0
	s_cbranch_execnz .LBB100_290
	s_branch .LBB100_291
.LBB100_289:                            ;   in Loop: Header=BB100_180 Depth=1
	s_and_not1_saveexec_b32 s0, s0
	s_cbranch_execz .LBB100_291
.LBB100_290:                            ;   in Loop: Header=BB100_180 Depth=1
	v_mul_f64 v[26:27], |v[8:9]|, s[14:15]
	s_mov_b32 s6, s16
	s_delay_alu instid0(VALU_DEP_1) | instskip(NEXT) | instid1(VALU_DEP_1)
	v_rndne_f64_e32 v[26:27], v[26:27]
	v_fma_f64 v[28:29], v[26:27], s[4:5], |v[8:9]|
	v_mul_f64 v[30:31], v[26:27], s[16:17]
	v_cvt_i32_f64_e32 v21, v[26:27]
	s_delay_alu instid0(VALU_DEP_3) | instskip(NEXT) | instid1(VALU_DEP_3)
	v_fma_f64 v[36:37], v[26:27], s[16:17], v[28:29]
	v_add_f64 v[32:33], v[28:29], v[30:31]
	s_delay_alu instid0(VALU_DEP_1) | instskip(NEXT) | instid1(VALU_DEP_3)
	v_add_f64 v[28:29], v[28:29], -v[32:33]
	v_add_f64 v[32:33], v[32:33], -v[36:37]
	s_delay_alu instid0(VALU_DEP_2) | instskip(SKIP_1) | instid1(VALU_DEP_2)
	v_add_f64 v[28:29], v[28:29], v[30:31]
	v_fma_f64 v[30:31], v[26:27], s[6:7], v[30:31]
	v_add_f64 v[28:29], v[32:33], v[28:29]
	s_delay_alu instid0(VALU_DEP_1) | instskip(NEXT) | instid1(VALU_DEP_1)
	v_add_f64 v[28:29], v[28:29], -v[30:31]
	v_fma_f64 v[28:29], v[26:27], s[18:19], v[28:29]
	s_delay_alu instid0(VALU_DEP_1) | instskip(NEXT) | instid1(VALU_DEP_1)
	v_add_f64 v[34:35], v[36:37], v[28:29]
	v_add_f64 v[30:31], v[34:35], -v[36:37]
	s_delay_alu instid0(VALU_DEP_1)
	v_add_f64 v[36:37], v[28:29], -v[30:31]
.LBB100_291:                            ;   in Loop: Header=BB100_180 Depth=1
	s_or_b32 exec_lo, exec_lo, s0
	v_cmp_class_f64_e64 vcc_lo, v[8:9], 0x1f8
	v_lshlrev_b32_e32 v8, 30, v38
	s_delay_alu instid0(VALU_DEP_3) | instskip(NEXT) | instid1(VALU_DEP_4)
	v_mul_f64 v[32:33], v[16:17], 0.5
	v_mul_f64 v[43:44], v[36:37], 0.5
	s_mov_b32 s12, s22
	s_delay_alu instid0(VALU_DEP_3) | instskip(SKIP_1) | instid1(VALU_DEP_1)
	v_xor_b32_e32 v47, v8, v9
	v_mul_f64 v[8:9], v[10:11], v[10:11]
	v_mul_f64 v[26:27], v[8:9], 0.5
	v_mul_f64 v[39:40], v[10:11], -v[8:9]
	s_delay_alu instid0(VALU_DEP_2) | instskip(NEXT) | instid1(VALU_DEP_1)
	v_add_f64 v[28:29], -v[26:27], 1.0
	v_add_f64 v[30:31], -v[28:29], 1.0
	s_delay_alu instid0(VALU_DEP_1) | instskip(SKIP_1) | instid1(VALU_DEP_2)
	v_add_f64 v[26:27], v[30:31], -v[26:27]
	v_fma_f64 v[30:31], v[8:9], s[96:97], s[94:95]
	v_fma_f64 v[26:27], v[10:11], -v[16:17], v[26:27]
	s_delay_alu instid0(VALU_DEP_2) | instskip(NEXT) | instid1(VALU_DEP_1)
	v_fma_f64 v[30:31], v[8:9], v[30:31], s[98:99]
	v_fma_f64 v[30:31], v[8:9], v[30:31], s[100:101]
	s_delay_alu instid0(VALU_DEP_1) | instskip(NEXT) | instid1(VALU_DEP_1)
	v_fma_f64 v[30:31], v[8:9], v[30:31], s[20:21]
	v_fma_f64 v[30:31], v[39:40], v[30:31], v[32:33]
	s_delay_alu instid0(VALU_DEP_1) | instskip(SKIP_1) | instid1(VALU_DEP_2)
	v_fma_f64 v[16:17], v[8:9], v[30:31], -v[16:17]
	v_fma_f64 v[30:31], v[8:9], s[86:87], s[84:85]
	v_fma_f64 v[16:17], v[39:40], s[12:13], v[16:17]
	s_delay_alu instid0(VALU_DEP_2) | instskip(NEXT) | instid1(VALU_DEP_2)
	v_fma_f64 v[30:31], v[8:9], v[30:31], s[88:89]
	v_add_f64 v[10:11], v[10:11], -v[16:17]
	s_delay_alu instid0(VALU_DEP_2) | instskip(NEXT) | instid1(VALU_DEP_1)
	v_fma_f64 v[30:31], v[8:9], v[30:31], s[90:91]
	v_fma_f64 v[30:31], v[8:9], v[30:31], s[92:93]
	s_delay_alu instid0(VALU_DEP_1) | instskip(SKIP_1) | instid1(VALU_DEP_1)
	v_fma_f64 v[30:31], v[8:9], v[30:31], s[22:23]
	v_mul_f64 v[8:9], v[8:9], v[8:9]
	v_fma_f64 v[8:9], v[8:9], v[30:31], v[26:27]
	v_mul_f64 v[26:27], v[34:35], v[34:35]
	s_delay_alu instid0(VALU_DEP_2) | instskip(NEXT) | instid1(VALU_DEP_2)
	v_add_f64 v[8:9], v[28:29], v[8:9]
	v_mul_f64 v[30:31], v[26:27], 0.5
	v_mul_f64 v[45:46], v[34:35], -v[26:27]
	s_delay_alu instid0(VALU_DEP_2) | instskip(NEXT) | instid1(VALU_DEP_1)
	v_add_f64 v[32:33], -v[30:31], 1.0
	v_add_f64 v[41:42], -v[32:33], 1.0
	s_delay_alu instid0(VALU_DEP_1) | instskip(SKIP_1) | instid1(VALU_DEP_2)
	v_add_f64 v[30:31], v[41:42], -v[30:31]
	v_fma_f64 v[41:42], v[26:27], s[96:97], s[94:95]
	v_fma_f64 v[30:31], v[34:35], -v[36:37], v[30:31]
	s_delay_alu instid0(VALU_DEP_2) | instskip(NEXT) | instid1(VALU_DEP_1)
	v_fma_f64 v[41:42], v[26:27], v[41:42], s[98:99]
	v_fma_f64 v[41:42], v[26:27], v[41:42], s[100:101]
	s_delay_alu instid0(VALU_DEP_1) | instskip(NEXT) | instid1(VALU_DEP_1)
	v_fma_f64 v[41:42], v[26:27], v[41:42], s[20:21]
	v_fma_f64 v[41:42], v[45:46], v[41:42], v[43:44]
	s_delay_alu instid0(VALU_DEP_1) | instskip(SKIP_1) | instid1(VALU_DEP_1)
	v_fma_f64 v[36:37], v[26:27], v[41:42], -v[36:37]
	v_fma_f64 v[41:42], v[26:27], s[86:87], s[84:85]
	v_fma_f64 v[41:42], v[26:27], v[41:42], s[88:89]
	s_delay_alu instid0(VALU_DEP_1) | instskip(NEXT) | instid1(VALU_DEP_1)
	v_fma_f64 v[41:42], v[26:27], v[41:42], s[90:91]
	v_fma_f64 v[41:42], v[26:27], v[41:42], s[92:93]
	s_delay_alu instid0(VALU_DEP_1) | instskip(SKIP_1) | instid1(VALU_DEP_1)
	v_fma_f64 v[41:42], v[26:27], v[41:42], s[22:23]
	v_mul_f64 v[26:27], v[26:27], v[26:27]
	v_fma_f64 v[26:27], v[26:27], v[41:42], v[30:31]
	v_fma_f64 v[30:31], v[45:46], s[12:13], v[36:37]
	s_delay_alu instid0(VALU_DEP_2) | instskip(NEXT) | instid1(VALU_DEP_2)
	v_add_f64 v[16:17], v[32:33], v[26:27]
	v_add_f64 v[30:31], v[34:35], -v[30:31]
	v_and_b32_e32 v26, 1, v38
	s_delay_alu instid0(VALU_DEP_1) | instskip(NEXT) | instid1(VALU_DEP_1)
	v_cmp_eq_u32_e64 s0, 0, v26
	v_cndmask_b32_e64 v8, v8, v10, s0
	v_and_b32_e32 v27, 1, v21
	v_cndmask_b32_e64 v9, v9, v11, s0
	s_delay_alu instid0(VALU_DEP_3) | instskip(NEXT) | instid1(VALU_DEP_3)
	v_cndmask_b32_e32 v8, 0, v8, vcc_lo
	v_cmp_eq_u32_e64 s1, 0, v27
	v_and_b32_e32 v27, 0x80000000, v47
	s_delay_alu instid0(VALU_DEP_1) | instskip(NEXT) | instid1(VALU_DEP_1)
	v_xor_b32_e32 v9, v9, v27
	v_cndmask_b32_e32 v9, 0x7ff80000, v9, vcc_lo
	v_xor_b32_e32 v26, 0x80000000, v31
	v_cndmask_b32_e64 v10, v30, v16, s1
	v_lshlrev_b32_e32 v21, 30, v21
	s_delay_alu instid0(VALU_DEP_3) | instskip(NEXT) | instid1(VALU_DEP_2)
	v_cndmask_b32_e64 v17, v26, v17, s1
	v_dual_cndmask_b32 v10, 0, v10 :: v_dual_and_b32 v11, 0x80000000, v21
	s_delay_alu instid0(VALU_DEP_1) | instskip(NEXT) | instid1(VALU_DEP_1)
	v_xor_b32_e32 v11, v17, v11
	v_cndmask_b32_e32 v11, 0x7ff80000, v11, vcc_lo
	s_delay_alu instid0(VALU_DEP_1)
	v_mul_f64 v[8:9], v[8:9], v[10:11]
.LBB100_292:                            ;   in Loop: Header=BB100_180 Depth=1
	s_or_b32 exec_lo, exec_lo, s50
	s_delay_alu instid0(VALU_DEP_1) | instskip(SKIP_2) | instid1(VALU_DEP_3)
	v_bfi_b32 v21, 0x7fffffff, 0, v9
	v_add_co_u32 v18, vcc_lo, v18, 0
	v_add_co_ci_u32_e32 v19, vcc_lo, -2.0, v19, vcc_lo
	v_dual_mov_b32 v16, v20 :: v_dual_mov_b32 v17, v21
.LBB100_293:                            ;   in Loop: Header=BB100_180 Depth=1
	s_or_b32 exec_lo, exec_lo, s25
.LBB100_294:                            ;   in Loop: Header=BB100_180 Depth=1
	s_delay_alu instid0(SALU_CYCLE_1) | instskip(SKIP_2) | instid1(VALU_DEP_1)
	s_or_b32 exec_lo, exec_lo, s24
	v_xor_b32_e32 v11, 0x80000000, v3
	s_mov_b32 s0, exec_lo
	v_dual_mov_b32 v10, v2 :: v_dual_and_b32 v21, 0x7fffffff, v11
	s_delay_alu instid0(VALU_DEP_1)
	v_cmpx_gt_u32_e32 0x7ff00000, v21
	s_xor_b32 s1, exec_lo, s0
	s_cbranch_execz .LBB100_316
; %bb.295:                              ;   in Loop: Header=BB100_180 Depth=1
	v_cmp_class_f64_e64 s0, v[0:1], 0x1f8
                                        ; implicit-def: $vgpr8_vgpr9
	s_delay_alu instid0(VALU_DEP_1) | instskip(NEXT) | instid1(SALU_CYCLE_1)
	s_and_saveexec_b32 s2, s0
	s_xor_b32 s24, exec_lo, s2
	s_cbranch_execz .LBB100_313
; %bb.296:                              ;   in Loop: Header=BB100_180 Depth=1
                                        ; implicit-def: $vgpr8_vgpr9
	s_mov_b32 s0, exec_lo
	v_cmpx_gt_u32_e32 0x40360000, v21
	s_xor_b32 s12, exec_lo, s0
	s_cbranch_execz .LBB100_302
; %bb.297:                              ;   in Loop: Header=BB100_180 Depth=1
	v_cmp_ngt_f64_e64 s0, 0x41d00000, |v[0:1]|
                                        ; implicit-def: $vgpr21
                                        ; implicit-def: $vgpr8_vgpr9
                                        ; implicit-def: $vgpr10_vgpr11
	s_delay_alu instid0(VALU_DEP_1) | instskip(NEXT) | instid1(SALU_CYCLE_1)
	s_and_saveexec_b32 s2, s0
	s_xor_b32 s0, exec_lo, s2
	s_cbranch_execz .LBB100_299
; %bb.298:                              ;   in Loop: Header=BB100_180 Depth=1
	v_ldexp_f64 v[8:9], |v[0:1]|, 0xffffff80
	v_cmp_le_f64_e64 vcc_lo, 0x7b000000, |v[0:1]|
	v_trig_preop_f64 v[10:11], |v[0:1]|, 0
	v_and_b32_e32 v21, 0x7fffffff, v1
	v_trig_preop_f64 v[28:29], |v[0:1]|, 1
	v_trig_preop_f64 v[32:33], |v[0:1]|, 2
	s_mov_b32 s2, s4
	s_mov_b32 s11, s7
	v_dual_cndmask_b32 v8, v0, v8 :: v_dual_cndmask_b32 v9, v21, v9
	s_delay_alu instid0(VALU_DEP_1) | instskip(NEXT) | instid1(VALU_DEP_4)
	v_mul_f64 v[26:27], v[10:11], v[8:9]
	v_mul_f64 v[30:31], v[28:29], v[8:9]
	s_delay_alu instid0(VALU_DEP_4) | instskip(NEXT) | instid1(VALU_DEP_3)
	v_mul_f64 v[34:35], v[32:33], v[8:9]
	v_fma_f64 v[10:11], v[10:11], v[8:9], -v[26:27]
	s_delay_alu instid0(VALU_DEP_3) | instskip(NEXT) | instid1(VALU_DEP_3)
	v_fma_f64 v[28:29], v[28:29], v[8:9], -v[30:31]
	v_fma_f64 v[8:9], v[32:33], v[8:9], -v[34:35]
	s_delay_alu instid0(VALU_DEP_3) | instskip(NEXT) | instid1(VALU_DEP_1)
	v_add_f64 v[32:33], v[30:31], v[10:11]
	v_add_f64 v[36:37], v[32:33], -v[30:31]
	s_delay_alu instid0(VALU_DEP_1) | instskip(SKIP_1) | instid1(VALU_DEP_1)
	v_add_f64 v[10:11], v[10:11], -v[36:37]
	v_add_f64 v[36:37], v[32:33], -v[36:37]
	;; [unrolled: 1-line block ×3, first 2 shown]
	v_add_f64 v[36:37], v[26:27], v[32:33]
	s_delay_alu instid0(VALU_DEP_2) | instskip(NEXT) | instid1(VALU_DEP_2)
	v_add_f64 v[10:11], v[10:11], v[30:31]
	v_add_f64 v[26:27], v[36:37], -v[26:27]
	v_add_f64 v[30:31], v[34:35], v[28:29]
	v_ldexp_f64 v[36:37], v[36:37], -2
	s_delay_alu instid0(VALU_DEP_3) | instskip(NEXT) | instid1(VALU_DEP_3)
	v_add_f64 v[26:27], v[32:33], -v[26:27]
	v_add_f64 v[32:33], v[30:31], -v[34:35]
	s_delay_alu instid0(VALU_DEP_3) | instskip(SKIP_1) | instid1(VALU_DEP_3)
	v_cmp_neq_f64_e64 vcc_lo, 0x7ff00000, |v[36:37]|
	v_fract_f64_e32 v[36:37], v[36:37]
	v_add_f64 v[28:29], v[28:29], -v[32:33]
	v_add_f64 v[32:33], v[30:31], -v[32:33]
	s_delay_alu instid0(VALU_DEP_3) | instskip(NEXT) | instid1(VALU_DEP_2)
	v_dual_cndmask_b32 v36, 0, v36 :: v_dual_cndmask_b32 v37, 0, v37
	v_add_f64 v[32:33], v[34:35], -v[32:33]
	v_add_f64 v[34:35], v[30:31], v[10:11]
	s_delay_alu instid0(VALU_DEP_2) | instskip(NEXT) | instid1(VALU_DEP_2)
	v_add_f64 v[28:29], v[28:29], v[32:33]
	v_add_f64 v[38:39], v[34:35], -v[30:31]
	v_add_f64 v[32:33], v[26:27], v[34:35]
	s_delay_alu instid0(VALU_DEP_2) | instskip(SKIP_1) | instid1(VALU_DEP_3)
	v_add_f64 v[10:11], v[10:11], -v[38:39]
	v_add_f64 v[38:39], v[34:35], -v[38:39]
	;; [unrolled: 1-line block ×3, first 2 shown]
	s_delay_alu instid0(VALU_DEP_2) | instskip(NEXT) | instid1(VALU_DEP_2)
	v_add_f64 v[30:31], v[30:31], -v[38:39]
	v_add_f64 v[26:27], v[34:35], -v[26:27]
	s_delay_alu instid0(VALU_DEP_2) | instskip(SKIP_1) | instid1(VALU_DEP_2)
	v_add_f64 v[10:11], v[10:11], v[30:31]
	v_ldexp_f64 v[30:31], v[36:37], 2
	v_add_f64 v[10:11], v[28:29], v[10:11]
	s_delay_alu instid0(VALU_DEP_2) | instskip(NEXT) | instid1(VALU_DEP_2)
	v_add_f64 v[36:37], v[32:33], v[30:31]
	v_add_f64 v[8:9], v[8:9], v[10:11]
	s_delay_alu instid0(VALU_DEP_2) | instskip(NEXT) | instid1(VALU_DEP_2)
	v_cmp_gt_f64_e32 vcc_lo, 0, v[36:37]
	v_add_f64 v[8:9], v[26:27], v[8:9]
	v_cndmask_b32_e64 v21, 0, 0x40100000, vcc_lo
	s_delay_alu instid0(VALU_DEP_1) | instskip(NEXT) | instid1(VALU_DEP_1)
	v_add_f64 v[10:11], v[30:31], v[20:21]
	v_add_f64 v[28:29], v[32:33], v[10:11]
	s_delay_alu instid0(VALU_DEP_1) | instskip(NEXT) | instid1(VALU_DEP_1)
	v_cvt_i32_f64_e32 v30, v[28:29]
	v_cvt_f64_i32_e32 v[28:29], v30
	s_delay_alu instid0(VALU_DEP_1) | instskip(NEXT) | instid1(VALU_DEP_1)
	v_add_f64 v[10:11], v[10:11], -v[28:29]
	v_add_f64 v[26:27], v[32:33], v[10:11]
	s_delay_alu instid0(VALU_DEP_1) | instskip(SKIP_1) | instid1(VALU_DEP_2)
	v_add_f64 v[10:11], v[26:27], -v[10:11]
	v_cmp_le_f64_e32 vcc_lo, 0.5, v[26:27]
	v_add_f64 v[10:11], v[32:33], -v[10:11]
	v_cndmask_b32_e64 v21, 0, 0x3ff00000, vcc_lo
	s_delay_alu instid0(VALU_DEP_1) | instskip(SKIP_1) | instid1(VALU_DEP_4)
	v_add_f64 v[26:27], v[26:27], -v[20:21]
	v_add_co_ci_u32_e32 v21, vcc_lo, 0, v30, vcc_lo
	v_add_f64 v[8:9], v[8:9], v[10:11]
	s_delay_alu instid0(VALU_DEP_1) | instskip(NEXT) | instid1(VALU_DEP_1)
	v_add_f64 v[10:11], v[26:27], v[8:9]
	v_add_f64 v[26:27], v[10:11], -v[26:27]
	s_delay_alu instid0(VALU_DEP_1) | instskip(SKIP_1) | instid1(VALU_DEP_1)
	v_add_f64 v[8:9], v[8:9], -v[26:27]
	v_mul_f64 v[26:27], v[10:11], s[2:3]
	v_fma_f64 v[28:29], v[10:11], s[2:3], -v[26:27]
	s_delay_alu instid0(VALU_DEP_1) | instskip(NEXT) | instid1(VALU_DEP_1)
	v_fma_f64 v[10:11], v[10:11], s[10:11], v[28:29]
	v_fma_f64 v[10:11], v[8:9], s[2:3], v[10:11]
	s_delay_alu instid0(VALU_DEP_1) | instskip(NEXT) | instid1(VALU_DEP_1)
	v_add_f64 v[8:9], v[26:27], v[10:11]
	v_add_f64 v[26:27], v[8:9], -v[26:27]
	s_delay_alu instid0(VALU_DEP_1)
	v_add_f64 v[10:11], v[10:11], -v[26:27]
.LBB100_299:                            ;   in Loop: Header=BB100_180 Depth=1
	s_and_not1_saveexec_b32 s0, s0
	s_cbranch_execz .LBB100_301
; %bb.300:                              ;   in Loop: Header=BB100_180 Depth=1
	v_mul_f64 v[8:9], |v[0:1]|, s[14:15]
	s_mov_b32 s6, s16
	s_delay_alu instid0(VALU_DEP_1) | instskip(NEXT) | instid1(VALU_DEP_1)
	v_rndne_f64_e32 v[26:27], v[8:9]
	v_fma_f64 v[8:9], v[26:27], s[4:5], |v[0:1]|
	v_mul_f64 v[10:11], v[26:27], s[16:17]
	v_cvt_i32_f64_e32 v21, v[26:27]
	s_delay_alu instid0(VALU_DEP_3) | instskip(NEXT) | instid1(VALU_DEP_3)
	v_fma_f64 v[30:31], v[26:27], s[16:17], v[8:9]
	v_add_f64 v[28:29], v[8:9], v[10:11]
	s_delay_alu instid0(VALU_DEP_1) | instskip(NEXT) | instid1(VALU_DEP_3)
	v_add_f64 v[8:9], v[8:9], -v[28:29]
	v_add_f64 v[28:29], v[28:29], -v[30:31]
	s_delay_alu instid0(VALU_DEP_2) | instskip(SKIP_1) | instid1(VALU_DEP_2)
	v_add_f64 v[8:9], v[8:9], v[10:11]
	v_fma_f64 v[10:11], v[26:27], s[6:7], v[10:11]
	v_add_f64 v[8:9], v[28:29], v[8:9]
	s_delay_alu instid0(VALU_DEP_1) | instskip(NEXT) | instid1(VALU_DEP_1)
	v_add_f64 v[8:9], v[8:9], -v[10:11]
	v_fma_f64 v[10:11], v[26:27], s[18:19], v[8:9]
	s_delay_alu instid0(VALU_DEP_1) | instskip(NEXT) | instid1(VALU_DEP_1)
	v_add_f64 v[8:9], v[30:31], v[10:11]
	v_add_f64 v[28:29], v[8:9], -v[30:31]
	s_delay_alu instid0(VALU_DEP_1)
	v_add_f64 v[10:11], v[10:11], -v[28:29]
.LBB100_301:                            ;   in Loop: Header=BB100_180 Depth=1
	s_or_b32 exec_lo, exec_lo, s0
	v_add_f64 v[26:27], |v[2:3]|, s[48:49]
	s_mov_b32 s50, s48
	s_mov_b32 s54, s56
	;; [unrolled: 1-line block ×5, first 2 shown]
	v_cmp_nge_f64_e64 vcc_lo, |v[2:3]|, s[82:83]
	v_cmp_gt_f64_e64 s0, 0x3e400000, |v[2:3]|
	s_mov_b32 s26, 0xa9a29f71
	s_mov_b32 s28, 0xc751c08c
	;; [unrolled: 1-line block ×4, first 2 shown]
	s_delay_alu instid0(VALU_DEP_3) | instskip(NEXT) | instid1(VALU_DEP_1)
	v_add_f64 v[28:29], v[26:27], -|v[2:3]|
	v_add_f64 v[30:31], v[28:29], -v[26:27]
	v_add_f64 v[28:29], v[28:29], s[50:51]
	s_delay_alu instid0(VALU_DEP_2) | instskip(NEXT) | instid1(VALU_DEP_1)
	v_add_f64 v[30:31], |v[2:3]|, v[30:31]
	v_add_f64 v[28:29], v[30:31], -v[28:29]
	s_delay_alu instid0(VALU_DEP_1) | instskip(NEXT) | instid1(VALU_DEP_1)
	v_add_f64 v[28:29], v[28:29], s[52:53]
	v_add_f64 v[30:31], v[26:27], v[28:29]
	s_delay_alu instid0(VALU_DEP_1) | instskip(NEXT) | instid1(VALU_DEP_1)
	v_add_f64 v[26:27], v[26:27], -v[30:31]
	v_add_f64 v[26:27], v[28:29], v[26:27]
	v_mul_f64 v[28:29], v[30:31], s[54:55]
	s_delay_alu instid0(VALU_DEP_1) | instskip(NEXT) | instid1(VALU_DEP_1)
	v_rndne_f64_e32 v[28:29], v[28:29]
	v_fma_f64 v[30:31], v[28:29], s[102:103], v[30:31]
	v_cvt_i32_f64_e32 v0, v[28:29]
	s_delay_alu instid0(VALU_DEP_2) | instskip(NEXT) | instid1(VALU_DEP_1)
	v_add_f64 v[32:33], v[26:27], v[30:31]
	v_add_f64 v[30:31], v[30:31], -v[32:33]
	s_delay_alu instid0(VALU_DEP_1) | instskip(SKIP_1) | instid1(VALU_DEP_1)
	v_add_f64 v[26:27], v[26:27], v[30:31]
	v_mul_f64 v[30:31], v[28:29], s[58:59]
	v_add_f64 v[34:35], v[32:33], v[30:31]
	s_delay_alu instid0(VALU_DEP_1) | instskip(NEXT) | instid1(VALU_DEP_1)
	v_add_f64 v[32:33], v[32:33], -v[34:35]
	v_add_f64 v[30:31], v[32:33], v[30:31]
	s_delay_alu instid0(VALU_DEP_1) | instskip(NEXT) | instid1(VALU_DEP_1)
	v_add_f64 v[26:27], v[26:27], v[30:31]
	v_add_f64 v[30:31], v[34:35], v[26:27]
	s_delay_alu instid0(VALU_DEP_1) | instskip(NEXT) | instid1(VALU_DEP_1)
	v_add_f64 v[32:33], v[34:35], -v[30:31]
	v_add_f64 v[26:27], v[26:27], v[32:33]
	v_mul_f64 v[32:33], v[28:29], s[60:61]
	s_delay_alu instid0(VALU_DEP_1) | instskip(NEXT) | instid1(VALU_DEP_1)
	v_add_f64 v[34:35], v[30:31], v[32:33]
	v_add_f64 v[30:31], v[30:31], -v[34:35]
	s_delay_alu instid0(VALU_DEP_1) | instskip(NEXT) | instid1(VALU_DEP_1)
	v_add_f64 v[30:31], v[30:31], v[32:33]
	v_add_f64 v[26:27], v[26:27], v[30:31]
	s_delay_alu instid0(VALU_DEP_1) | instskip(NEXT) | instid1(VALU_DEP_1)
	v_add_f64 v[30:31], v[34:35], v[26:27]
	v_add_f64 v[32:33], v[34:35], -v[30:31]
	s_delay_alu instid0(VALU_DEP_1) | instskip(SKIP_1) | instid1(VALU_DEP_2)
	v_add_f64 v[26:27], v[26:27], v[32:33]
	v_mul_f64 v[32:33], v[30:31], v[30:31]
	v_add_f64 v[36:37], v[26:27], v[26:27]
	s_delay_alu instid0(VALU_DEP_2) | instskip(NEXT) | instid1(VALU_DEP_1)
	v_fma_f64 v[34:35], v[30:31], v[30:31], -v[32:33]
	v_fma_f64 v[34:35], v[30:31], v[36:37], v[34:35]
	s_delay_alu instid0(VALU_DEP_1) | instskip(NEXT) | instid1(VALU_DEP_1)
	v_add_f64 v[36:37], v[32:33], v[34:35]
	v_add_f64 v[32:33], v[36:37], -v[32:33]
	s_delay_alu instid0(VALU_DEP_1) | instskip(SKIP_1) | instid1(VALU_DEP_1)
	v_add_f64 v[32:33], v[34:35], -v[32:33]
	v_fma_f64 v[34:35], v[30:31], s[64:65], s[62:63]
	v_fma_f64 v[34:35], v[30:31], v[34:35], s[66:67]
	s_delay_alu instid0(VALU_DEP_1) | instskip(NEXT) | instid1(VALU_DEP_1)
	v_fma_f64 v[34:35], v[30:31], v[34:35], s[68:69]
	v_fma_f64 v[34:35], v[30:31], v[34:35], s[70:71]
	s_delay_alu instid0(VALU_DEP_1) | instskip(NEXT) | instid1(VALU_DEP_1)
	;; [unrolled: 3-line block ×4, first 2 shown]
	v_fma_f64 v[34:35], v[30:31], v[34:35], s[80:81]
	v_mul_f64 v[38:39], v[36:37], v[34:35]
	s_delay_alu instid0(VALU_DEP_1) | instskip(NEXT) | instid1(VALU_DEP_1)
	v_fma_f64 v[36:37], v[36:37], v[34:35], -v[38:39]
	v_fma_f64 v[32:33], v[32:33], v[34:35], v[36:37]
	s_delay_alu instid0(VALU_DEP_1) | instskip(NEXT) | instid1(VALU_DEP_1)
	v_add_f64 v[34:35], v[38:39], v[32:33]
	v_add_f64 v[36:37], v[34:35], -v[38:39]
	s_delay_alu instid0(VALU_DEP_1) | instskip(SKIP_1) | instid1(VALU_DEP_2)
	v_add_f64 v[32:33], v[32:33], -v[36:37]
	v_add_f64 v[36:37], v[30:31], v[34:35]
	v_add_f64 v[26:27], v[26:27], v[32:33]
	s_delay_alu instid0(VALU_DEP_2) | instskip(NEXT) | instid1(VALU_DEP_1)
	v_add_f64 v[30:31], v[36:37], -v[30:31]
	v_add_f64 v[30:31], v[34:35], -v[30:31]
	s_delay_alu instid0(VALU_DEP_1) | instskip(NEXT) | instid1(VALU_DEP_1)
	v_add_f64 v[26:27], v[26:27], v[30:31]
	v_add_f64 v[30:31], v[36:37], v[26:27]
	s_delay_alu instid0(VALU_DEP_1) | instskip(NEXT) | instid1(VALU_DEP_1)
	v_add_f64 v[32:33], v[30:31], -v[36:37]
	v_add_f64 v[26:27], v[26:27], -v[32:33]
	v_add_f64 v[32:33], v[30:31], 1.0
	s_delay_alu instid0(VALU_DEP_1) | instskip(NEXT) | instid1(VALU_DEP_1)
	v_add_f64 v[34:35], v[32:33], -1.0
	v_add_f64 v[30:31], v[30:31], -v[34:35]
	s_delay_alu instid0(VALU_DEP_1) | instskip(NEXT) | instid1(VALU_DEP_1)
	v_add_f64 v[26:27], v[26:27], v[30:31]
	v_add_f64 v[28:29], v[32:33], v[26:27]
	s_delay_alu instid0(VALU_DEP_1) | instskip(SKIP_1) | instid1(VALU_DEP_2)
	v_add_f64 v[30:31], v[28:29], -v[32:33]
	v_ldexp_f64 v[28:29], v[28:29], v0
	v_add_f64 v[26:27], v[26:27], -v[30:31]
	s_delay_alu instid0(VALU_DEP_2) | instskip(NEXT) | instid1(VALU_DEP_1)
	v_rcp_f64_e32 v[32:33], v[28:29]
	v_ldexp_f64 v[26:27], v[26:27], v0
	v_and_b32_e32 v0, 0x7fffffff, v3
	v_xor_b32_e32 v3, 0x80000000, v3
	s_waitcnt_depctr 0xfff
	v_fma_f64 v[34:35], -v[28:29], v[32:33], 1.0
	s_delay_alu instid0(VALU_DEP_1) | instskip(NEXT) | instid1(VALU_DEP_1)
	v_fma_f64 v[32:33], v[34:35], v[32:33], v[32:33]
	v_fma_f64 v[30:31], -v[28:29], v[32:33], 1.0
	s_delay_alu instid0(VALU_DEP_1) | instskip(NEXT) | instid1(VALU_DEP_1)
	v_fma_f64 v[30:31], v[30:31], v[32:33], v[32:33]
	v_mul_f64 v[32:33], v[28:29], v[30:31]
	s_delay_alu instid0(VALU_DEP_1) | instskip(NEXT) | instid1(VALU_DEP_1)
	v_fma_f64 v[34:35], v[30:31], v[28:29], -v[32:33]
	v_fma_f64 v[34:35], v[30:31], v[26:27], v[34:35]
	s_delay_alu instid0(VALU_DEP_1) | instskip(NEXT) | instid1(VALU_DEP_1)
	v_add_f64 v[36:37], v[32:33], v[34:35]
	v_add_f64 v[32:33], v[36:37], -v[32:33]
	s_delay_alu instid0(VALU_DEP_1) | instskip(SKIP_1) | instid1(VALU_DEP_1)
	v_add_f64 v[32:33], v[32:33], -v[34:35]
	v_add_f64 v[34:35], -v[36:37], 1.0
	v_add_f64 v[38:39], -v[34:35], 1.0
	s_delay_alu instid0(VALU_DEP_1) | instskip(NEXT) | instid1(VALU_DEP_1)
	v_add_f64 v[36:37], v[38:39], -v[36:37]
	v_add_f64 v[32:33], v[32:33], v[36:37]
	s_delay_alu instid0(VALU_DEP_1) | instskip(NEXT) | instid1(VALU_DEP_1)
	v_add_f64 v[36:37], v[34:35], v[32:33]
	v_add_f64 v[34:35], v[34:35], -v[36:37]
	s_delay_alu instid0(VALU_DEP_1) | instskip(SKIP_1) | instid1(VALU_DEP_1)
	v_add_f64 v[32:33], v[32:33], v[34:35]
	v_mul_f64 v[34:35], v[30:31], v[36:37]
	v_mul_f64 v[38:39], v[28:29], v[34:35]
	s_delay_alu instid0(VALU_DEP_1) | instskip(NEXT) | instid1(VALU_DEP_1)
	v_fma_f64 v[40:41], v[34:35], v[28:29], -v[38:39]
	v_fma_f64 v[40:41], v[34:35], v[26:27], v[40:41]
	s_delay_alu instid0(VALU_DEP_1) | instskip(NEXT) | instid1(VALU_DEP_1)
	v_add_f64 v[42:43], v[38:39], v[40:41]
	v_add_f64 v[44:45], v[36:37], -v[42:43]
	v_add_f64 v[38:39], v[42:43], -v[38:39]
	s_delay_alu instid0(VALU_DEP_2) | instskip(NEXT) | instid1(VALU_DEP_2)
	v_add_f64 v[36:37], v[36:37], -v[44:45]
	v_add_f64 v[38:39], v[38:39], -v[40:41]
	s_delay_alu instid0(VALU_DEP_2) | instskip(NEXT) | instid1(VALU_DEP_1)
	v_add_f64 v[36:37], v[36:37], -v[42:43]
	v_add_f64 v[32:33], v[32:33], v[36:37]
	v_add_f64 v[36:37], v[30:31], v[34:35]
	s_delay_alu instid0(VALU_DEP_2) | instskip(NEXT) | instid1(VALU_DEP_2)
	v_add_f64 v[32:33], v[38:39], v[32:33]
	v_add_f64 v[38:39], v[36:37], -v[30:31]
	s_delay_alu instid0(VALU_DEP_2) | instskip(NEXT) | instid1(VALU_DEP_2)
	v_add_f64 v[32:33], v[44:45], v[32:33]
	v_add_f64 v[34:35], v[34:35], -v[38:39]
	s_delay_alu instid0(VALU_DEP_2) | instskip(NEXT) | instid1(VALU_DEP_1)
	v_mul_f64 v[30:31], v[30:31], v[32:33]
	v_add_f64 v[30:31], v[34:35], v[30:31]
	s_delay_alu instid0(VALU_DEP_1) | instskip(NEXT) | instid1(VALU_DEP_1)
	v_add_f64 v[32:33], v[36:37], v[30:31]
	v_add_f64 v[34:35], v[32:33], -v[36:37]
	v_ldexp_f64 v[32:33], v[32:33], -2
	s_delay_alu instid0(VALU_DEP_2) | instskip(NEXT) | instid1(VALU_DEP_2)
	v_add_f64 v[30:31], v[30:31], -v[34:35]
	v_add_f64 v[36:37], v[28:29], -v[32:33]
	s_delay_alu instid0(VALU_DEP_1) | instskip(NEXT) | instid1(VALU_DEP_1)
	v_add_f64 v[28:29], v[28:29], -v[36:37]
	v_add_f64 v[28:29], v[28:29], -v[32:33]
	s_delay_alu instid0(VALU_DEP_1) | instskip(SKIP_1) | instid1(VALU_DEP_1)
	v_add_f64 v[26:27], v[26:27], v[28:29]
	v_ldexp_f64 v[28:29], v[30:31], -2
	v_add_f64 v[26:27], v[26:27], -v[28:29]
	s_delay_alu instid0(VALU_DEP_1) | instskip(SKIP_1) | instid1(VALU_DEP_2)
	v_add_f64 v[26:27], v[36:37], v[26:27]
	v_and_b32_e32 v36, 0x80000000, v1
	v_cndmask_b32_e32 v27, 0x7ff00000, v27, vcc_lo
	s_delay_alu instid0(VALU_DEP_3) | instskip(NEXT) | instid1(VALU_DEP_2)
	v_cndmask_b32_e32 v26, 0, v26, vcc_lo
	v_cndmask_b32_e64 v0, v27, v0, s0
	s_delay_alu instid0(VALU_DEP_2) | instskip(NEXT) | instid1(VALU_DEP_2)
	v_cndmask_b32_e64 v2, v26, v2, s0
	v_bfi_b32 v3, 0x7fffffff, v0, v3
	s_delay_alu instid0(VALU_DEP_1) | instskip(NEXT) | instid1(VALU_DEP_1)
	v_fma_f64 v[26:27], v[2:3], v[2:3], 1.0
	v_cmp_gt_f64_e32 vcc_lo, 0x10000000, v[26:27]
	v_cndmask_b32_e64 v0, 0, 1, vcc_lo
	s_delay_alu instid0(VALU_DEP_1) | instskip(NEXT) | instid1(VALU_DEP_1)
	v_lshlrev_b32_e32 v0, 8, v0
	v_ldexp_f64 v[26:27], v[26:27], v0
	v_mul_f64 v[0:1], v[8:9], v[8:9]
	s_delay_alu instid0(VALU_DEP_2) | instskip(SKIP_3) | instid1(VALU_DEP_1)
	v_rsq_f64_e32 v[28:29], v[26:27]
	s_waitcnt_depctr 0xfff
	v_mul_f64 v[30:31], v[26:27], v[28:29]
	v_mul_f64 v[28:29], v[28:29], 0.5
	v_fma_f64 v[32:33], -v[28:29], v[30:31], 0.5
	s_delay_alu instid0(VALU_DEP_1) | instskip(SKIP_1) | instid1(VALU_DEP_2)
	v_fma_f64 v[30:31], v[30:31], v[32:33], v[30:31]
	v_fma_f64 v[28:29], v[28:29], v[32:33], v[28:29]
	v_fma_f64 v[32:33], -v[30:31], v[30:31], v[26:27]
	s_delay_alu instid0(VALU_DEP_1) | instskip(NEXT) | instid1(VALU_DEP_1)
	v_fma_f64 v[30:31], v[32:33], v[28:29], v[30:31]
	v_fma_f64 v[32:33], -v[30:31], v[30:31], v[26:27]
	s_delay_alu instid0(VALU_DEP_1) | instskip(SKIP_2) | instid1(VALU_DEP_1)
	v_fma_f64 v[28:29], v[32:33], v[28:29], v[30:31]
	v_add_f64 v[30:31], v[10:11], v[10:11]
	v_fma_f64 v[32:33], v[8:9], v[8:9], -v[0:1]
	v_fma_f64 v[30:31], v[8:9], v[30:31], v[32:33]
	s_delay_alu instid0(VALU_DEP_1) | instskip(NEXT) | instid1(VALU_DEP_1)
	v_add_f64 v[0:1], v[0:1], v[30:31]
	v_fma_f64 v[30:31], v[0:1], s[28:29], s[26:27]
	s_mov_b32 s26, 0x90a8aae0
	s_mov_b32 s27, 0x3f17746f
	s_delay_alu instid0(VALU_DEP_1) | instid1(SALU_CYCLE_1)
	v_fma_f64 v[30:31], v[0:1], v[30:31], s[26:27]
	s_mov_b32 s26, 0xa6fbf144
	s_mov_b32 s27, 0xbefbb44d
	s_delay_alu instid0(VALU_DEP_1) | instid1(SALU_CYCLE_1)
	;; [unrolled: 4-line block ×4, first 2 shown]
	v_fma_f64 v[30:31], v[0:1], v[30:31], s[26:27]
	s_delay_alu instid0(VALU_DEP_1) | instskip(NEXT) | instid1(VALU_DEP_1)
	v_fma_f64 v[30:31], v[0:1], v[30:31], s[30:31]
	v_fma_f64 v[30:31], v[0:1], v[30:31], s[34:35]
	s_delay_alu instid0(VALU_DEP_1) | instskip(NEXT) | instid1(VALU_DEP_1)
	v_fma_f64 v[30:31], v[0:1], v[30:31], s[36:37]
	;; [unrolled: 3-line block ×4, first 2 shown]
	v_fma_f64 v[30:31], v[0:1], v[30:31], s[46:47]
	s_delay_alu instid0(VALU_DEP_1) | instskip(NEXT) | instid1(VALU_DEP_1)
	v_mul_f64 v[0:1], v[0:1], v[30:31]
	v_mul_f64 v[30:31], v[8:9], v[0:1]
	s_delay_alu instid0(VALU_DEP_1) | instskip(NEXT) | instid1(VALU_DEP_1)
	v_fma_f64 v[0:1], v[8:9], v[0:1], -v[30:31]
	v_add_f64 v[0:1], v[10:11], v[0:1]
	v_add_f64 v[10:11], v[8:9], v[30:31]
	s_delay_alu instid0(VALU_DEP_1) | instskip(NEXT) | instid1(VALU_DEP_1)
	v_add_f64 v[8:9], v[10:11], -v[8:9]
	v_add_f64 v[8:9], v[30:31], -v[8:9]
	s_delay_alu instid0(VALU_DEP_1) | instskip(NEXT) | instid1(VALU_DEP_1)
	v_add_f64 v[0:1], v[0:1], v[8:9]
	v_add_f64 v[8:9], v[10:11], v[0:1]
	s_delay_alu instid0(VALU_DEP_1) | instskip(SKIP_1) | instid1(VALU_DEP_1)
	v_rcp_f64_e32 v[30:31], v[8:9]
	v_add_f64 v[10:11], v[8:9], -v[10:11]
	v_add_f64 v[0:1], v[0:1], -v[10:11]
	s_waitcnt_depctr 0xfff
	v_fma_f64 v[32:33], -v[8:9], v[30:31], 1.0
	s_delay_alu instid0(VALU_DEP_1) | instskip(NEXT) | instid1(VALU_DEP_1)
	v_fma_f64 v[30:31], v[32:33], v[30:31], v[30:31]
	v_fma_f64 v[32:33], -v[8:9], v[30:31], 1.0
	s_delay_alu instid0(VALU_DEP_1) | instskip(NEXT) | instid1(VALU_DEP_1)
	v_fma_f64 v[30:31], v[32:33], v[30:31], v[30:31]
	v_mul_f64 v[10:11], v[8:9], v[30:31]
	s_delay_alu instid0(VALU_DEP_1) | instskip(NEXT) | instid1(VALU_DEP_1)
	v_fma_f64 v[32:33], v[30:31], v[8:9], -v[10:11]
	v_fma_f64 v[0:1], v[30:31], v[0:1], v[32:33]
	s_delay_alu instid0(VALU_DEP_1) | instskip(NEXT) | instid1(VALU_DEP_1)
	v_add_f64 v[32:33], v[10:11], v[0:1]
	v_add_f64 v[10:11], v[32:33], -v[10:11]
	s_delay_alu instid0(VALU_DEP_1) | instskip(SKIP_1) | instid1(VALU_DEP_1)
	v_add_f64 v[0:1], v[10:11], -v[0:1]
	v_add_f64 v[10:11], -v[32:33], 1.0
	v_add_f64 v[34:35], -v[10:11], 1.0
	s_delay_alu instid0(VALU_DEP_1) | instskip(NEXT) | instid1(VALU_DEP_1)
	v_add_f64 v[32:33], v[34:35], -v[32:33]
	v_add_f64 v[0:1], v[0:1], v[32:33]
	s_delay_alu instid0(VALU_DEP_1) | instskip(SKIP_1) | instid1(VALU_DEP_1)
	v_add_f64 v[0:1], v[10:11], v[0:1]
	v_and_b32_e32 v10, 1, v21
	v_cmp_eq_u32_e64 s0, 0, v10
	s_delay_alu instid0(VALU_DEP_3) | instskip(NEXT) | instid1(VALU_DEP_1)
	v_mul_f64 v[0:1], v[30:31], v[0:1]
	v_add_f64 v[0:1], v[30:31], v[0:1]
	s_delay_alu instid0(VALU_DEP_1) | instskip(NEXT) | instid1(VALU_DEP_2)
	v_xor_b32_e32 v1, 0x80000000, v1
	v_cndmask_b32_e64 v0, v0, v8, s0
	s_delay_alu instid0(VALU_DEP_2) | instskip(SKIP_2) | instid1(VALU_DEP_3)
	v_cndmask_b32_e64 v1, v1, v9, s0
	v_cndmask_b32_e64 v9, 0, 0xffffff80, vcc_lo
	v_cmp_class_f64_e64 vcc_lo, v[26:27], 0x260
	v_xor_b32_e32 v1, v1, v36
	s_delay_alu instid0(VALU_DEP_3) | instskip(NEXT) | instid1(VALU_DEP_2)
	v_ldexp_f64 v[8:9], v[28:29], v9
	v_fma_f64 v[10:11], v[0:1], v[0:1], 1.0
	s_delay_alu instid0(VALU_DEP_2) | instskip(NEXT) | instid1(VALU_DEP_2)
	v_dual_cndmask_b32 v9, v9, v27 :: v_dual_cndmask_b32 v8, v8, v26
	v_mul_f64 v[26:27], v[2:3], v[10:11]
	s_delay_alu instid0(VALU_DEP_2) | instskip(NEXT) | instid1(VALU_DEP_2)
	v_mul_f64 v[8:9], v[8:9], v[10:11]
	v_fma_f64 v[26:27], v[2:3], v[26:27], 1.0
	s_delay_alu instid0(VALU_DEP_2) | instskip(NEXT) | instid1(VALU_DEP_1)
	v_mul_f64 v[2:3], v[2:3], v[8:9]
	v_div_scale_f64 v[8:9], null, v[26:27], v[26:27], v[2:3]
	s_delay_alu instid0(VALU_DEP_1) | instskip(SKIP_2) | instid1(VALU_DEP_1)
	v_rcp_f64_e32 v[10:11], v[8:9]
	s_waitcnt_depctr 0xfff
	v_fma_f64 v[28:29], -v[8:9], v[10:11], 1.0
	v_fma_f64 v[10:11], v[10:11], v[28:29], v[10:11]
	s_delay_alu instid0(VALU_DEP_1) | instskip(NEXT) | instid1(VALU_DEP_1)
	v_fma_f64 v[28:29], -v[8:9], v[10:11], 1.0
	v_fma_f64 v[10:11], v[10:11], v[28:29], v[10:11]
	v_div_scale_f64 v[28:29], vcc_lo, v[2:3], v[26:27], v[2:3]
	s_delay_alu instid0(VALU_DEP_1) | instskip(NEXT) | instid1(VALU_DEP_1)
	v_mul_f64 v[30:31], v[28:29], v[10:11]
	v_fma_f64 v[8:9], -v[8:9], v[30:31], v[28:29]
	s_delay_alu instid0(VALU_DEP_1) | instskip(SKIP_1) | instid1(VALU_DEP_1)
	v_div_fmas_f64 v[8:9], v[8:9], v[10:11], v[30:31]
	v_div_scale_f64 v[10:11], null, v[26:27], v[26:27], v[0:1]
	v_rcp_f64_e32 v[28:29], v[10:11]
	s_waitcnt_depctr 0xfff
	v_fma_f64 v[30:31], -v[10:11], v[28:29], 1.0
	s_delay_alu instid0(VALU_DEP_1) | instskip(NEXT) | instid1(VALU_DEP_1)
	v_fma_f64 v[28:29], v[28:29], v[30:31], v[28:29]
	v_fma_f64 v[30:31], -v[10:11], v[28:29], 1.0
	s_delay_alu instid0(VALU_DEP_1) | instskip(SKIP_1) | instid1(VALU_DEP_1)
	v_fma_f64 v[28:29], v[28:29], v[30:31], v[28:29]
	v_div_scale_f64 v[30:31], vcc_lo, v[0:1], v[26:27], v[0:1]
	v_mul_f64 v[32:33], v[30:31], v[28:29]
	s_delay_alu instid0(VALU_DEP_1) | instskip(NEXT) | instid1(VALU_DEP_1)
	v_fma_f64 v[10:11], -v[10:11], v[32:33], v[30:31]
	v_div_fmas_f64 v[28:29], v[10:11], v[28:29], v[32:33]
	v_div_fixup_f64 v[10:11], v[8:9], v[26:27], v[2:3]
	s_delay_alu instid0(VALU_DEP_2)
	v_div_fixup_f64 v[8:9], v[28:29], v[26:27], v[0:1]
                                        ; implicit-def: $vgpr0_vgpr1
.LBB100_302:                            ;   in Loop: Header=BB100_180 Depth=1
	s_and_not1_saveexec_b32 s0, s12
	s_cbranch_execz .LBB100_312
; %bb.303:                              ;   in Loop: Header=BB100_180 Depth=1
	v_cmp_ngt_f64_e64 s12, 0x41d00000, |v[0:1]|
                                        ; implicit-def: $vgpr30
                                        ; implicit-def: $vgpr8_vgpr9
                                        ; implicit-def: $vgpr10_vgpr11
	s_delay_alu instid0(VALU_DEP_1) | instskip(NEXT) | instid1(SALU_CYCLE_1)
	s_and_saveexec_b32 s2, s12
	s_xor_b32 s6, exec_lo, s2
	s_cbranch_execz .LBB100_305
; %bb.304:                              ;   in Loop: Header=BB100_180 Depth=1
	v_ldexp_f64 v[8:9], |v[0:1]|, 0xffffff80
	v_cmp_le_f64_e64 vcc_lo, 0x7b000000, |v[0:1]|
	v_trig_preop_f64 v[10:11], |v[0:1]|, 0
	v_and_b32_e32 v21, 0x7fffffff, v1
	v_trig_preop_f64 v[28:29], |v[0:1]|, 1
	v_trig_preop_f64 v[32:33], |v[0:1]|, 2
	s_mov_b32 s2, s4
	s_mov_b32 s11, s7
	v_dual_cndmask_b32 v8, v0, v8 :: v_dual_cndmask_b32 v9, v21, v9
	s_delay_alu instid0(VALU_DEP_1) | instskip(NEXT) | instid1(VALU_DEP_4)
	v_mul_f64 v[26:27], v[10:11], v[8:9]
	v_mul_f64 v[30:31], v[28:29], v[8:9]
	s_delay_alu instid0(VALU_DEP_4) | instskip(NEXT) | instid1(VALU_DEP_3)
	v_mul_f64 v[34:35], v[32:33], v[8:9]
	v_fma_f64 v[10:11], v[10:11], v[8:9], -v[26:27]
	s_delay_alu instid0(VALU_DEP_3) | instskip(NEXT) | instid1(VALU_DEP_3)
	v_fma_f64 v[28:29], v[28:29], v[8:9], -v[30:31]
	v_fma_f64 v[8:9], v[32:33], v[8:9], -v[34:35]
	s_delay_alu instid0(VALU_DEP_3) | instskip(NEXT) | instid1(VALU_DEP_1)
	v_add_f64 v[32:33], v[30:31], v[10:11]
	v_add_f64 v[36:37], v[32:33], -v[30:31]
	s_delay_alu instid0(VALU_DEP_1) | instskip(SKIP_1) | instid1(VALU_DEP_1)
	v_add_f64 v[10:11], v[10:11], -v[36:37]
	v_add_f64 v[36:37], v[32:33], -v[36:37]
	;; [unrolled: 1-line block ×3, first 2 shown]
	v_add_f64 v[36:37], v[26:27], v[32:33]
	s_delay_alu instid0(VALU_DEP_2) | instskip(NEXT) | instid1(VALU_DEP_2)
	v_add_f64 v[10:11], v[10:11], v[30:31]
	v_add_f64 v[26:27], v[36:37], -v[26:27]
	v_add_f64 v[30:31], v[34:35], v[28:29]
	v_ldexp_f64 v[36:37], v[36:37], -2
	s_delay_alu instid0(VALU_DEP_3) | instskip(NEXT) | instid1(VALU_DEP_3)
	v_add_f64 v[26:27], v[32:33], -v[26:27]
	v_add_f64 v[32:33], v[30:31], -v[34:35]
	s_delay_alu instid0(VALU_DEP_3) | instskip(SKIP_1) | instid1(VALU_DEP_3)
	v_cmp_neq_f64_e64 vcc_lo, 0x7ff00000, |v[36:37]|
	v_fract_f64_e32 v[36:37], v[36:37]
	v_add_f64 v[28:29], v[28:29], -v[32:33]
	v_add_f64 v[32:33], v[30:31], -v[32:33]
	s_delay_alu instid0(VALU_DEP_3) | instskip(NEXT) | instid1(VALU_DEP_2)
	v_dual_cndmask_b32 v36, 0, v36 :: v_dual_cndmask_b32 v37, 0, v37
	v_add_f64 v[32:33], v[34:35], -v[32:33]
	v_add_f64 v[34:35], v[30:31], v[10:11]
	s_delay_alu instid0(VALU_DEP_2) | instskip(NEXT) | instid1(VALU_DEP_2)
	v_add_f64 v[28:29], v[28:29], v[32:33]
	v_add_f64 v[38:39], v[34:35], -v[30:31]
	v_add_f64 v[32:33], v[26:27], v[34:35]
	s_delay_alu instid0(VALU_DEP_2) | instskip(SKIP_1) | instid1(VALU_DEP_3)
	v_add_f64 v[10:11], v[10:11], -v[38:39]
	v_add_f64 v[38:39], v[34:35], -v[38:39]
	;; [unrolled: 1-line block ×3, first 2 shown]
	s_delay_alu instid0(VALU_DEP_2) | instskip(NEXT) | instid1(VALU_DEP_2)
	v_add_f64 v[30:31], v[30:31], -v[38:39]
	v_add_f64 v[26:27], v[34:35], -v[26:27]
	s_delay_alu instid0(VALU_DEP_2) | instskip(SKIP_1) | instid1(VALU_DEP_2)
	v_add_f64 v[10:11], v[10:11], v[30:31]
	v_ldexp_f64 v[30:31], v[36:37], 2
	v_add_f64 v[10:11], v[28:29], v[10:11]
	s_delay_alu instid0(VALU_DEP_2) | instskip(NEXT) | instid1(VALU_DEP_2)
	v_add_f64 v[36:37], v[32:33], v[30:31]
	v_add_f64 v[8:9], v[8:9], v[10:11]
	s_delay_alu instid0(VALU_DEP_2) | instskip(NEXT) | instid1(VALU_DEP_2)
	v_cmp_gt_f64_e32 vcc_lo, 0, v[36:37]
	v_add_f64 v[8:9], v[26:27], v[8:9]
	v_cndmask_b32_e64 v21, 0, 0x40100000, vcc_lo
	s_delay_alu instid0(VALU_DEP_1) | instskip(NEXT) | instid1(VALU_DEP_1)
	v_add_f64 v[10:11], v[30:31], v[20:21]
	v_add_f64 v[28:29], v[32:33], v[10:11]
	s_delay_alu instid0(VALU_DEP_1) | instskip(NEXT) | instid1(VALU_DEP_1)
	v_cvt_i32_f64_e32 v30, v[28:29]
	v_cvt_f64_i32_e32 v[28:29], v30
	s_delay_alu instid0(VALU_DEP_1) | instskip(NEXT) | instid1(VALU_DEP_1)
	v_add_f64 v[10:11], v[10:11], -v[28:29]
	v_add_f64 v[26:27], v[32:33], v[10:11]
	s_delay_alu instid0(VALU_DEP_1) | instskip(SKIP_1) | instid1(VALU_DEP_2)
	v_add_f64 v[10:11], v[26:27], -v[10:11]
	v_cmp_le_f64_e32 vcc_lo, 0.5, v[26:27]
	v_add_f64 v[10:11], v[32:33], -v[10:11]
	v_cndmask_b32_e64 v21, 0, 0x3ff00000, vcc_lo
	v_add_co_ci_u32_e32 v30, vcc_lo, 0, v30, vcc_lo
	s_delay_alu instid0(VALU_DEP_2) | instskip(NEXT) | instid1(VALU_DEP_4)
	v_add_f64 v[26:27], v[26:27], -v[20:21]
	v_add_f64 v[8:9], v[8:9], v[10:11]
	s_delay_alu instid0(VALU_DEP_1) | instskip(NEXT) | instid1(VALU_DEP_1)
	v_add_f64 v[10:11], v[26:27], v[8:9]
	v_add_f64 v[26:27], v[10:11], -v[26:27]
	s_delay_alu instid0(VALU_DEP_1) | instskip(SKIP_1) | instid1(VALU_DEP_1)
	v_add_f64 v[8:9], v[8:9], -v[26:27]
	v_mul_f64 v[26:27], v[10:11], s[2:3]
	v_fma_f64 v[28:29], v[10:11], s[2:3], -v[26:27]
	s_delay_alu instid0(VALU_DEP_1) | instskip(NEXT) | instid1(VALU_DEP_1)
	v_fma_f64 v[10:11], v[10:11], s[10:11], v[28:29]
	v_fma_f64 v[10:11], v[8:9], s[2:3], v[10:11]
	s_delay_alu instid0(VALU_DEP_1) | instskip(NEXT) | instid1(VALU_DEP_1)
	v_add_f64 v[8:9], v[26:27], v[10:11]
	v_add_f64 v[26:27], v[8:9], -v[26:27]
	s_delay_alu instid0(VALU_DEP_1)
	v_add_f64 v[10:11], v[10:11], -v[26:27]
	s_and_not1_saveexec_b32 s2, s6
	s_cbranch_execz .LBB100_307
	s_branch .LBB100_306
.LBB100_305:                            ;   in Loop: Header=BB100_180 Depth=1
	s_and_not1_saveexec_b32 s2, s6
	s_cbranch_execz .LBB100_307
.LBB100_306:                            ;   in Loop: Header=BB100_180 Depth=1
	v_mul_f64 v[8:9], |v[0:1]|, s[14:15]
	s_mov_b32 s6, s16
	s_delay_alu instid0(VALU_DEP_1) | instskip(NEXT) | instid1(VALU_DEP_1)
	v_rndne_f64_e32 v[26:27], v[8:9]
	v_fma_f64 v[8:9], v[26:27], s[4:5], |v[0:1]|
	v_mul_f64 v[10:11], v[26:27], s[16:17]
	s_delay_alu instid0(VALU_DEP_2) | instskip(NEXT) | instid1(VALU_DEP_2)
	v_fma_f64 v[30:31], v[26:27], s[16:17], v[8:9]
	v_add_f64 v[28:29], v[8:9], v[10:11]
	s_delay_alu instid0(VALU_DEP_1) | instskip(NEXT) | instid1(VALU_DEP_3)
	v_add_f64 v[8:9], v[8:9], -v[28:29]
	v_add_f64 v[28:29], v[28:29], -v[30:31]
	s_delay_alu instid0(VALU_DEP_2) | instskip(SKIP_1) | instid1(VALU_DEP_2)
	v_add_f64 v[8:9], v[8:9], v[10:11]
	v_fma_f64 v[10:11], v[26:27], s[6:7], v[10:11]
	v_add_f64 v[8:9], v[28:29], v[8:9]
	s_delay_alu instid0(VALU_DEP_1) | instskip(NEXT) | instid1(VALU_DEP_1)
	v_add_f64 v[8:9], v[8:9], -v[10:11]
	v_fma_f64 v[10:11], v[26:27], s[18:19], v[8:9]
	s_delay_alu instid0(VALU_DEP_1) | instskip(NEXT) | instid1(VALU_DEP_1)
	v_add_f64 v[8:9], v[30:31], v[10:11]
	v_add_f64 v[28:29], v[8:9], -v[30:31]
	v_cvt_i32_f64_e32 v30, v[26:27]
	s_delay_alu instid0(VALU_DEP_2)
	v_add_f64 v[10:11], v[10:11], -v[28:29]
.LBB100_307:                            ;   in Loop: Header=BB100_180 Depth=1
	s_or_b32 exec_lo, exec_lo, s2
                                        ; implicit-def: $vgpr21
                                        ; implicit-def: $vgpr26_vgpr27
                                        ; implicit-def: $vgpr28_vgpr29
	s_and_saveexec_b32 s2, s12
	s_delay_alu instid0(SALU_CYCLE_1)
	s_xor_b32 s6, exec_lo, s2
	s_cbranch_execz .LBB100_309
; %bb.308:                              ;   in Loop: Header=BB100_180 Depth=1
	v_ldexp_f64 v[26:27], |v[0:1]|, 0xffffff80
	v_cmp_le_f64_e64 vcc_lo, 0x7b000000, |v[0:1]|
	v_trig_preop_f64 v[28:29], |v[0:1]|, 0
	v_and_b32_e32 v21, 0x7fffffff, v1
	v_trig_preop_f64 v[33:34], |v[0:1]|, 1
	v_trig_preop_f64 v[37:38], |v[0:1]|, 2
	s_mov_b32 s2, s4
	s_mov_b32 s11, s7
	v_dual_cndmask_b32 v26, v0, v26 :: v_dual_cndmask_b32 v27, v21, v27
	s_delay_alu instid0(VALU_DEP_1) | instskip(NEXT) | instid1(VALU_DEP_4)
	v_mul_f64 v[31:32], v[28:29], v[26:27]
	v_mul_f64 v[35:36], v[33:34], v[26:27]
	s_delay_alu instid0(VALU_DEP_4) | instskip(NEXT) | instid1(VALU_DEP_3)
	v_mul_f64 v[39:40], v[37:38], v[26:27]
	v_fma_f64 v[28:29], v[28:29], v[26:27], -v[31:32]
	s_delay_alu instid0(VALU_DEP_3) | instskip(NEXT) | instid1(VALU_DEP_3)
	v_fma_f64 v[33:34], v[33:34], v[26:27], -v[35:36]
	v_fma_f64 v[26:27], v[37:38], v[26:27], -v[39:40]
	s_delay_alu instid0(VALU_DEP_3) | instskip(NEXT) | instid1(VALU_DEP_1)
	v_add_f64 v[37:38], v[35:36], v[28:29]
	v_add_f64 v[41:42], v[37:38], -v[35:36]
	s_delay_alu instid0(VALU_DEP_1) | instskip(SKIP_1) | instid1(VALU_DEP_1)
	v_add_f64 v[28:29], v[28:29], -v[41:42]
	v_add_f64 v[41:42], v[37:38], -v[41:42]
	;; [unrolled: 1-line block ×3, first 2 shown]
	v_add_f64 v[41:42], v[31:32], v[37:38]
	s_delay_alu instid0(VALU_DEP_2) | instskip(NEXT) | instid1(VALU_DEP_2)
	v_add_f64 v[28:29], v[28:29], v[35:36]
	v_add_f64 v[31:32], v[41:42], -v[31:32]
	v_add_f64 v[35:36], v[39:40], v[33:34]
	v_ldexp_f64 v[41:42], v[41:42], -2
	s_delay_alu instid0(VALU_DEP_3) | instskip(NEXT) | instid1(VALU_DEP_3)
	v_add_f64 v[31:32], v[37:38], -v[31:32]
	v_add_f64 v[37:38], v[35:36], -v[39:40]
	s_delay_alu instid0(VALU_DEP_3) | instskip(SKIP_1) | instid1(VALU_DEP_3)
	v_cmp_neq_f64_e64 vcc_lo, 0x7ff00000, |v[41:42]|
	v_fract_f64_e32 v[41:42], v[41:42]
	v_add_f64 v[33:34], v[33:34], -v[37:38]
	v_add_f64 v[37:38], v[35:36], -v[37:38]
	s_delay_alu instid0(VALU_DEP_3) | instskip(NEXT) | instid1(VALU_DEP_2)
	v_dual_cndmask_b32 v42, 0, v42 :: v_dual_cndmask_b32 v41, 0, v41
	v_add_f64 v[37:38], v[39:40], -v[37:38]
	v_add_f64 v[39:40], v[35:36], v[28:29]
	s_delay_alu instid0(VALU_DEP_2) | instskip(NEXT) | instid1(VALU_DEP_2)
	v_add_f64 v[33:34], v[33:34], v[37:38]
	v_add_f64 v[43:44], v[39:40], -v[35:36]
	v_add_f64 v[37:38], v[31:32], v[39:40]
	s_delay_alu instid0(VALU_DEP_2) | instskip(SKIP_1) | instid1(VALU_DEP_3)
	v_add_f64 v[28:29], v[28:29], -v[43:44]
	v_add_f64 v[43:44], v[39:40], -v[43:44]
	;; [unrolled: 1-line block ×3, first 2 shown]
	s_delay_alu instid0(VALU_DEP_2) | instskip(NEXT) | instid1(VALU_DEP_2)
	v_add_f64 v[35:36], v[35:36], -v[43:44]
	v_add_f64 v[31:32], v[39:40], -v[31:32]
	s_delay_alu instid0(VALU_DEP_2) | instskip(SKIP_1) | instid1(VALU_DEP_2)
	v_add_f64 v[28:29], v[28:29], v[35:36]
	v_ldexp_f64 v[35:36], v[41:42], 2
	v_add_f64 v[28:29], v[33:34], v[28:29]
	s_delay_alu instid0(VALU_DEP_2) | instskip(NEXT) | instid1(VALU_DEP_2)
	v_add_f64 v[41:42], v[37:38], v[35:36]
	v_add_f64 v[26:27], v[26:27], v[28:29]
	s_delay_alu instid0(VALU_DEP_2) | instskip(NEXT) | instid1(VALU_DEP_2)
	v_cmp_gt_f64_e32 vcc_lo, 0, v[41:42]
	v_add_f64 v[26:27], v[31:32], v[26:27]
	v_cndmask_b32_e64 v21, 0, 0x40100000, vcc_lo
	s_delay_alu instid0(VALU_DEP_1) | instskip(NEXT) | instid1(VALU_DEP_1)
	v_add_f64 v[28:29], v[35:36], v[20:21]
	v_add_f64 v[33:34], v[37:38], v[28:29]
	s_delay_alu instid0(VALU_DEP_1) | instskip(NEXT) | instid1(VALU_DEP_1)
	v_cvt_i32_f64_e32 v35, v[33:34]
	v_cvt_f64_i32_e32 v[33:34], v35
	s_delay_alu instid0(VALU_DEP_1) | instskip(NEXT) | instid1(VALU_DEP_1)
	v_add_f64 v[28:29], v[28:29], -v[33:34]
	v_add_f64 v[31:32], v[37:38], v[28:29]
	s_delay_alu instid0(VALU_DEP_1) | instskip(SKIP_1) | instid1(VALU_DEP_2)
	v_add_f64 v[28:29], v[31:32], -v[28:29]
	v_cmp_le_f64_e32 vcc_lo, 0.5, v[31:32]
	v_add_f64 v[28:29], v[37:38], -v[28:29]
	v_cndmask_b32_e64 v21, 0, 0x3ff00000, vcc_lo
	s_delay_alu instid0(VALU_DEP_1) | instskip(SKIP_1) | instid1(VALU_DEP_4)
	v_add_f64 v[31:32], v[31:32], -v[20:21]
	v_add_co_ci_u32_e32 v21, vcc_lo, 0, v35, vcc_lo
	v_add_f64 v[26:27], v[26:27], v[28:29]
	s_delay_alu instid0(VALU_DEP_1) | instskip(NEXT) | instid1(VALU_DEP_1)
	v_add_f64 v[28:29], v[31:32], v[26:27]
	v_add_f64 v[31:32], v[28:29], -v[31:32]
	s_delay_alu instid0(VALU_DEP_1) | instskip(SKIP_1) | instid1(VALU_DEP_1)
	v_add_f64 v[26:27], v[26:27], -v[31:32]
	v_mul_f64 v[31:32], v[28:29], s[2:3]
	v_fma_f64 v[33:34], v[28:29], s[2:3], -v[31:32]
	s_delay_alu instid0(VALU_DEP_1) | instskip(NEXT) | instid1(VALU_DEP_1)
	v_fma_f64 v[28:29], v[28:29], s[10:11], v[33:34]
	v_fma_f64 v[28:29], v[26:27], s[2:3], v[28:29]
	s_delay_alu instid0(VALU_DEP_1) | instskip(NEXT) | instid1(VALU_DEP_1)
	v_add_f64 v[26:27], v[31:32], v[28:29]
	v_add_f64 v[31:32], v[26:27], -v[31:32]
	s_delay_alu instid0(VALU_DEP_1)
	v_add_f64 v[28:29], v[28:29], -v[31:32]
	s_and_not1_saveexec_b32 s2, s6
	s_cbranch_execnz .LBB100_310
	s_branch .LBB100_311
.LBB100_309:                            ;   in Loop: Header=BB100_180 Depth=1
	s_and_not1_saveexec_b32 s2, s6
	s_cbranch_execz .LBB100_311
.LBB100_310:                            ;   in Loop: Header=BB100_180 Depth=1
	v_mul_f64 v[26:27], |v[0:1]|, s[14:15]
	s_mov_b32 s6, s16
	s_delay_alu instid0(VALU_DEP_1) | instskip(NEXT) | instid1(VALU_DEP_1)
	v_rndne_f64_e32 v[31:32], v[26:27]
	v_fma_f64 v[26:27], v[31:32], s[4:5], |v[0:1]|
	v_mul_f64 v[28:29], v[31:32], s[16:17]
	v_cvt_i32_f64_e32 v21, v[31:32]
	s_delay_alu instid0(VALU_DEP_3) | instskip(NEXT) | instid1(VALU_DEP_3)
	v_fma_f64 v[35:36], v[31:32], s[16:17], v[26:27]
	v_add_f64 v[33:34], v[26:27], v[28:29]
	s_delay_alu instid0(VALU_DEP_1) | instskip(NEXT) | instid1(VALU_DEP_3)
	v_add_f64 v[26:27], v[26:27], -v[33:34]
	v_add_f64 v[33:34], v[33:34], -v[35:36]
	s_delay_alu instid0(VALU_DEP_2) | instskip(SKIP_1) | instid1(VALU_DEP_2)
	v_add_f64 v[26:27], v[26:27], v[28:29]
	v_fma_f64 v[28:29], v[31:32], s[6:7], v[28:29]
	v_add_f64 v[26:27], v[33:34], v[26:27]
	s_delay_alu instid0(VALU_DEP_1) | instskip(NEXT) | instid1(VALU_DEP_1)
	v_add_f64 v[26:27], v[26:27], -v[28:29]
	v_fma_f64 v[28:29], v[31:32], s[18:19], v[26:27]
	s_delay_alu instid0(VALU_DEP_1) | instskip(NEXT) | instid1(VALU_DEP_1)
	v_add_f64 v[26:27], v[35:36], v[28:29]
	v_add_f64 v[33:34], v[26:27], -v[35:36]
	s_delay_alu instid0(VALU_DEP_1)
	v_add_f64 v[28:29], v[28:29], -v[33:34]
.LBB100_311:                            ;   in Loop: Header=BB100_180 Depth=1
	s_or_b32 exec_lo, exec_lo, s2
	v_mul_f64 v[31:32], |v[2:3]|, s[56:57]
	s_delay_alu instid0(VALU_DEP_3) | instskip(SKIP_1) | instid1(VALU_DEP_4)
	v_mul_f64 v[37:38], v[8:9], v[8:9]
	v_mul_f64 v[39:40], v[26:27], v[26:27]
	v_mul_f64 v[55:56], v[10:11], 0.5
	v_mul_f64 v[63:64], v[28:29], 0.5
	s_mov_b32 s75, s21
	s_mov_b32 s77, s23
	;; [unrolled: 1-line block ×4, first 2 shown]
	v_rndne_f64_e32 v[31:32], v[31:32]
	v_fma_f64 v[41:42], v[37:38], s[96:97], s[94:95]
	v_fma_f64 v[43:44], v[39:40], s[96:97], s[94:95]
	;; [unrolled: 1-line block ×3, first 2 shown]
	v_mul_f64 v[47:48], v[37:38], 0.5
	v_mul_f64 v[49:50], v[39:40], 0.5
	v_fma_f64 v[51:52], v[39:40], s[86:87], s[84:85]
	v_mul_f64 v[57:58], v[8:9], -v[37:38]
	v_mul_f64 v[65:66], v[26:27], -v[39:40]
	v_fma_f64 v[33:34], v[31:32], s[48:49], -|v[2:3]|
	v_fma_f64 v[41:42], v[37:38], v[41:42], s[98:99]
	v_fma_f64 v[43:44], v[39:40], v[43:44], s[98:99]
	;; [unrolled: 1-line block ×3, first 2 shown]
	v_add_f64 v[53:54], -v[47:48], 1.0
	v_add_f64 v[59:60], -v[49:50], 1.0
	v_fma_f64 v[51:52], v[39:40], v[51:52], s[88:89]
	v_fma_f64 v[33:34], v[31:32], s[52:53], v[33:34]
	;; [unrolled: 1-line block ×5, first 2 shown]
	v_add_f64 v[61:62], -v[53:54], 1.0
	v_add_f64 v[67:68], -v[59:60], 1.0
	v_fma_f64 v[51:52], v[39:40], v[51:52], s[90:91]
	v_fma_f64 v[35:36], v[33:34], s[64:65], s[62:63]
	v_fma_f64 v[41:42], v[37:38], v[41:42], s[20:21]
	v_fma_f64 v[43:44], v[39:40], v[43:44], s[20:21]
	v_fma_f64 v[45:46], v[37:38], v[45:46], s[92:93]
	v_add_f64 v[47:48], v[61:62], -v[47:48]
	v_add_f64 v[49:50], v[67:68], -v[49:50]
	v_fma_f64 v[51:52], v[39:40], v[51:52], s[92:93]
	v_fma_f64 v[35:36], v[33:34], v[35:36], s[66:67]
	;; [unrolled: 1-line block ×4, first 2 shown]
	v_mul_f64 v[55:56], v[37:38], v[37:38]
	v_fma_f64 v[45:46], v[37:38], v[45:46], s[22:23]
	v_fma_f64 v[47:48], v[8:9], -v[10:11], v[47:48]
	v_fma_f64 v[35:36], v[33:34], v[35:36], s[68:69]
	v_fma_f64 v[10:11], v[37:38], v[41:42], -v[10:11]
	v_fma_f64 v[37:38], v[39:40], v[43:44], -v[28:29]
	v_mul_f64 v[41:42], v[39:40], v[39:40]
	v_fma_f64 v[39:40], v[39:40], v[51:52], s[22:23]
	v_fma_f64 v[28:29], v[26:27], -v[28:29], v[49:50]
	v_fma_f64 v[43:44], v[55:56], v[45:46], v[47:48]
	v_fma_f64 v[35:36], v[33:34], v[35:36], s[70:71]
	;; [unrolled: 1-line block ×5, first 2 shown]
	v_add_f64 v[39:40], v[53:54], v[43:44]
	v_fma_f64 v[35:36], v[33:34], v[35:36], s[72:73]
	v_add_f64 v[8:9], v[8:9], -v[10:11]
	v_add_f64 v[26:27], v[26:27], -v[37:38]
	v_lshlrev_b32_e32 v0, 30, v30
	s_delay_alu instid0(VALU_DEP_4) | instskip(NEXT) | instid1(VALU_DEP_3)
	v_fma_f64 v[35:36], v[33:34], v[35:36], s[74:75]
	v_xor_b32_e32 v27, 0x80000000, v27
	v_and_b32_e32 v30, 1, v30
	s_delay_alu instid0(VALU_DEP_1) | instskip(SKIP_2) | instid1(VALU_DEP_1)
	v_cmp_eq_u32_e32 vcc_lo, 0, v30
	v_dual_cndmask_b32 v9, v40, v9 :: v_dual_cndmask_b32 v8, v39, v8
	v_fma_f64 v[35:36], v[33:34], v[35:36], s[76:77]
	v_fma_f64 v[35:36], v[33:34], v[35:36], s[78:79]
	s_delay_alu instid0(VALU_DEP_1) | instskip(NEXT) | instid1(VALU_DEP_1)
	v_fma_f64 v[35:36], v[33:34], v[35:36], s[80:81]
	v_fma_f64 v[10:11], v[33:34], v[35:36], 1.0
	v_xor_b32_e32 v35, v0, v1
	v_add_f64 v[0:1], v[59:60], v[28:29]
	v_cvt_i32_f64_e32 v29, v[31:32]
	s_delay_alu instid0(VALU_DEP_3) | instskip(NEXT) | instid1(VALU_DEP_1)
	v_and_b32_e32 v28, 0x80000000, v35
	v_xor_b32_e32 v9, v9, v28
	v_fma_f64 v[10:11], v[33:34], v[10:11], 1.0
	s_delay_alu instid0(VALU_DEP_1) | instskip(SKIP_3) | instid1(VALU_DEP_3)
	v_ldexp_f64 v[10:11], v[10:11], v29
	v_and_b32_e32 v28, 1, v21
	v_lshlrev_b32_e32 v21, 30, v21
	v_mul_f64 v[8:9], v[8:9], 4.0
	v_cmp_eq_u32_e32 vcc_lo, 0, v28
	s_delay_alu instid0(VALU_DEP_3) | instskip(SKIP_2) | instid1(VALU_DEP_2)
	v_dual_cndmask_b32 v0, v26, v0 :: v_dual_and_b32 v21, 0x80000000, v21
	v_cndmask_b32_e32 v1, v27, v1, vcc_lo
	v_cmp_nlt_f64_e64 vcc_lo, 0x4090cc00, |v[2:3]|
	v_xor_b32_e32 v1, v1, v21
	s_delay_alu instid0(VALU_DEP_1) | instskip(SKIP_1) | instid1(VALU_DEP_1)
	v_mul_f64 v[0:1], v[8:9], v[0:1]
	v_dual_cndmask_b32 v9, 0, v11 :: v_dual_cndmask_b32 v8, 0, v10
	v_mul_f64 v[0:1], v[8:9], v[0:1]
	s_delay_alu instid0(VALU_DEP_1) | instskip(SKIP_1) | instid1(VALU_DEP_1)
	v_mul_f64 v[8:9], v[8:9], v[0:1]
	v_xor_b32_e32 v0, 0x80000000, v3
	v_bfi_b32 v21, 0x7fffffff, s2, v0
	s_delay_alu instid0(VALU_DEP_1)
	v_dual_mov_b32 v10, v20 :: v_dual_mov_b32 v11, v21
.LBB100_312:                            ;   in Loop: Header=BB100_180 Depth=1
	s_or_b32 exec_lo, exec_lo, s0
                                        ; implicit-def: $vgpr0_vgpr1
.LBB100_313:                            ;   in Loop: Header=BB100_180 Depth=1
	s_and_not1_saveexec_b32 s0, s24
; %bb.314:                              ;   in Loop: Header=BB100_180 Depth=1
	v_add_f64 v[8:9], v[0:1], -v[0:1]
	s_delay_alu instid0(VALU_DEP_1)
	v_dual_mov_b32 v11, v9 :: v_dual_mov_b32 v10, v8
; %bb.315:                              ;   in Loop: Header=BB100_180 Depth=1
	s_or_b32 exec_lo, exec_lo, s0
                                        ; implicit-def: $vgpr0_vgpr1
.LBB100_316:                            ;   in Loop: Header=BB100_180 Depth=1
	s_and_not1_saveexec_b32 s24, s1
	s_cbranch_execz .LBB100_179
; %bb.317:                              ;   in Loop: Header=BB100_180 Depth=1
	s_delay_alu instid0(VALU_DEP_1) | instskip(SKIP_1) | instid1(VALU_DEP_1)
	v_and_or_b32 v8, 0xfffff, v11, v10
	s_mov_b32 s0, exec_lo
	v_cmpx_ne_u32_e32 0, v8
	s_xor_b32 s0, exec_lo, s0
; %bb.318:                              ;   in Loop: Header=BB100_180 Depth=1
	v_mul_f64 v[2:3], v[0:1], -v[2:3]
	v_cmp_eq_f64_e32 vcc_lo, 0, v[0:1]
	s_delay_alu instid0(VALU_DEP_2)
	v_dual_cndmask_b32 v9, v3, v1 :: v_dual_cndmask_b32 v8, v2, v0
                                        ; implicit-def: $vgpr0_vgpr1
; %bb.319:                              ;   in Loop: Header=BB100_180 Depth=1
	s_and_not1_saveexec_b32 s25, s0
	s_cbranch_execz .LBB100_178
; %bb.320:                              ;   in Loop: Header=BB100_180 Depth=1
	s_mov_b32 s50, exec_lo
	v_cmpx_neq_f64_e64 0x7ff00000, |v[0:1]|
	s_cbranch_execz .LBB100_177
; %bb.321:                              ;   in Loop: Header=BB100_180 Depth=1
	v_cmp_ngt_f64_e64 s0, 0x41d00000, |v[0:1]|
	v_trig_preop_f64 v[30:31], |v[0:1]|, 0
	v_trig_preop_f64 v[28:29], |v[0:1]|, 1
	v_ldexp_f64 v[32:33], |v[0:1]|, 0xffffff80
	v_trig_preop_f64 v[26:27], |v[0:1]|, 2
	v_and_b32_e32 v39, 0x7fffffff, v1
                                        ; implicit-def: $vgpr38
                                        ; implicit-def: $vgpr2_vgpr3
                                        ; implicit-def: $vgpr8_vgpr9
	s_and_saveexec_b32 s1, s0
	s_delay_alu instid0(SALU_CYCLE_1)
	s_xor_b32 s1, exec_lo, s1
	s_cbranch_execz .LBB100_323
; %bb.322:                              ;   in Loop: Header=BB100_180 Depth=1
	v_cmp_le_f64_e64 vcc_lo, 0x7b000000, |v[0:1]|
	s_mov_b32 s2, s4
	s_mov_b32 s11, s7
	s_delay_alu instid0(VALU_DEP_4) | instskip(NEXT) | instid1(VALU_DEP_1)
	v_dual_cndmask_b32 v3, v39, v33 :: v_dual_cndmask_b32 v2, v0, v32
	v_mul_f64 v[8:9], v[30:31], v[2:3]
	v_mul_f64 v[34:35], v[28:29], v[2:3]
	s_delay_alu instid0(VALU_DEP_2) | instskip(NEXT) | instid1(VALU_DEP_1)
	v_fma_f64 v[36:37], v[30:31], v[2:3], -v[8:9]
	v_add_f64 v[40:41], v[34:35], v[36:37]
	s_delay_alu instid0(VALU_DEP_1) | instskip(SKIP_1) | instid1(VALU_DEP_2)
	v_add_f64 v[42:43], v[40:41], -v[34:35]
	v_add_f64 v[44:45], v[8:9], v[40:41]
	v_add_f64 v[36:37], v[36:37], -v[42:43]
	s_delay_alu instid0(VALU_DEP_2) | instskip(SKIP_1) | instid1(VALU_DEP_2)
	v_add_f64 v[8:9], v[44:45], -v[8:9]
	v_add_f64 v[42:43], v[40:41], -v[42:43]
	;; [unrolled: 1-line block ×3, first 2 shown]
	s_delay_alu instid0(VALU_DEP_2) | instskip(SKIP_2) | instid1(VALU_DEP_3)
	v_add_f64 v[40:41], v[34:35], -v[42:43]
	v_fma_f64 v[34:35], v[28:29], v[2:3], -v[34:35]
	v_mul_f64 v[42:43], v[26:27], v[2:3]
	v_add_f64 v[36:37], v[36:37], v[40:41]
	v_ldexp_f64 v[40:41], v[44:45], -2
	s_delay_alu instid0(VALU_DEP_3) | instskip(SKIP_1) | instid1(VALU_DEP_3)
	v_add_f64 v[44:45], v[42:43], v[34:35]
	v_fma_f64 v[2:3], v[26:27], v[2:3], -v[42:43]
	v_cmp_neq_f64_e64 vcc_lo, 0x7ff00000, |v[40:41]|
	s_delay_alu instid0(VALU_DEP_3) | instskip(SKIP_2) | instid1(VALU_DEP_3)
	v_add_f64 v[48:49], v[44:45], v[36:37]
	v_add_f64 v[46:47], v[44:45], -v[42:43]
	v_fract_f64_e32 v[40:41], v[40:41]
	v_add_f64 v[50:51], v[48:49], -v[44:45]
	s_delay_alu instid0(VALU_DEP_3) | instskip(SKIP_1) | instid1(VALU_DEP_4)
	v_add_f64 v[34:35], v[34:35], -v[46:47]
	v_add_f64 v[46:47], v[44:45], -v[46:47]
	v_dual_cndmask_b32 v41, 0, v41 :: v_dual_cndmask_b32 v40, 0, v40
	s_delay_alu instid0(VALU_DEP_1) | instskip(SKIP_4) | instid1(VALU_DEP_3)
	v_ldexp_f64 v[40:41], v[40:41], 2
	v_add_f64 v[36:37], v[36:37], -v[50:51]
	v_add_f64 v[50:51], v[48:49], -v[50:51]
	;; [unrolled: 1-line block ×3, first 2 shown]
	v_add_f64 v[42:43], v[8:9], v[48:49]
	v_add_f64 v[44:45], v[44:45], -v[50:51]
	s_delay_alu instid0(VALU_DEP_3) | instskip(NEXT) | instid1(VALU_DEP_3)
	v_add_f64 v[34:35], v[34:35], v[46:47]
	v_add_f64 v[8:9], v[42:43], -v[8:9]
	s_delay_alu instid0(VALU_DEP_3) | instskip(SKIP_1) | instid1(VALU_DEP_3)
	v_add_f64 v[36:37], v[36:37], v[44:45]
	v_add_f64 v[44:45], v[42:43], v[40:41]
	v_add_f64 v[8:9], v[48:49], -v[8:9]
	s_delay_alu instid0(VALU_DEP_3) | instskip(NEXT) | instid1(VALU_DEP_3)
	v_add_f64 v[34:35], v[34:35], v[36:37]
	v_cmp_gt_f64_e32 vcc_lo, 0, v[44:45]
	s_delay_alu instid0(VALU_DEP_2) | instskip(SKIP_1) | instid1(VALU_DEP_1)
	v_add_f64 v[2:3], v[2:3], v[34:35]
	v_cndmask_b32_e64 v21, 0, 0x40100000, vcc_lo
	v_add_f64 v[34:35], v[40:41], v[20:21]
	s_delay_alu instid0(VALU_DEP_3) | instskip(NEXT) | instid1(VALU_DEP_2)
	v_add_f64 v[2:3], v[8:9], v[2:3]
	v_add_f64 v[36:37], v[42:43], v[34:35]
	s_delay_alu instid0(VALU_DEP_1) | instskip(NEXT) | instid1(VALU_DEP_1)
	v_cvt_i32_f64_e32 v38, v[36:37]
	v_cvt_f64_i32_e32 v[36:37], v38
	s_delay_alu instid0(VALU_DEP_1) | instskip(NEXT) | instid1(VALU_DEP_1)
	v_add_f64 v[34:35], v[34:35], -v[36:37]
	v_add_f64 v[8:9], v[42:43], v[34:35]
	s_delay_alu instid0(VALU_DEP_1) | instskip(SKIP_1) | instid1(VALU_DEP_2)
	v_add_f64 v[34:35], v[8:9], -v[34:35]
	v_cmp_le_f64_e32 vcc_lo, 0.5, v[8:9]
	v_add_f64 v[34:35], v[42:43], -v[34:35]
	v_cndmask_b32_e64 v21, 0, 0x3ff00000, vcc_lo
	v_add_co_ci_u32_e32 v38, vcc_lo, 0, v38, vcc_lo
	s_delay_alu instid0(VALU_DEP_2) | instskip(NEXT) | instid1(VALU_DEP_4)
	v_add_f64 v[8:9], v[8:9], -v[20:21]
	v_add_f64 v[2:3], v[2:3], v[34:35]
	s_delay_alu instid0(VALU_DEP_1) | instskip(NEXT) | instid1(VALU_DEP_1)
	v_add_f64 v[34:35], v[8:9], v[2:3]
	v_add_f64 v[8:9], v[34:35], -v[8:9]
	s_delay_alu instid0(VALU_DEP_1) | instskip(SKIP_1) | instid1(VALU_DEP_1)
	v_add_f64 v[2:3], v[2:3], -v[8:9]
	v_mul_f64 v[8:9], v[34:35], s[2:3]
	v_fma_f64 v[36:37], v[34:35], s[2:3], -v[8:9]
	s_delay_alu instid0(VALU_DEP_1) | instskip(NEXT) | instid1(VALU_DEP_1)
	v_fma_f64 v[34:35], v[34:35], s[10:11], v[36:37]
	v_fma_f64 v[34:35], v[2:3], s[2:3], v[34:35]
	s_delay_alu instid0(VALU_DEP_1) | instskip(NEXT) | instid1(VALU_DEP_1)
	v_add_f64 v[2:3], v[8:9], v[34:35]
	v_add_f64 v[8:9], v[2:3], -v[8:9]
	s_delay_alu instid0(VALU_DEP_1)
	v_add_f64 v[8:9], v[34:35], -v[8:9]
	s_and_not1_saveexec_b32 s1, s1
	s_cbranch_execz .LBB100_325
	s_branch .LBB100_324
.LBB100_323:                            ;   in Loop: Header=BB100_180 Depth=1
	s_and_not1_saveexec_b32 s1, s1
	s_cbranch_execz .LBB100_325
.LBB100_324:                            ;   in Loop: Header=BB100_180 Depth=1
	v_mul_f64 v[2:3], |v[0:1]|, s[14:15]
	s_mov_b32 s6, s16
	s_delay_alu instid0(VALU_DEP_1) | instskip(NEXT) | instid1(VALU_DEP_1)
	v_rndne_f64_e32 v[34:35], v[2:3]
	v_fma_f64 v[2:3], v[34:35], s[4:5], |v[0:1]|
	v_mul_f64 v[8:9], v[34:35], s[16:17]
	v_cvt_i32_f64_e32 v38, v[34:35]
	s_delay_alu instid0(VALU_DEP_3) | instskip(NEXT) | instid1(VALU_DEP_3)
	v_fma_f64 v[40:41], v[34:35], s[16:17], v[2:3]
	v_add_f64 v[36:37], v[2:3], v[8:9]
	s_delay_alu instid0(VALU_DEP_1) | instskip(NEXT) | instid1(VALU_DEP_3)
	v_add_f64 v[2:3], v[2:3], -v[36:37]
	v_add_f64 v[36:37], v[36:37], -v[40:41]
	s_delay_alu instid0(VALU_DEP_2) | instskip(SKIP_1) | instid1(VALU_DEP_2)
	v_add_f64 v[2:3], v[2:3], v[8:9]
	v_fma_f64 v[8:9], v[34:35], s[6:7], v[8:9]
	v_add_f64 v[2:3], v[36:37], v[2:3]
	s_delay_alu instid0(VALU_DEP_1) | instskip(NEXT) | instid1(VALU_DEP_1)
	v_add_f64 v[2:3], v[2:3], -v[8:9]
	v_fma_f64 v[8:9], v[34:35], s[18:19], v[2:3]
	s_delay_alu instid0(VALU_DEP_1) | instskip(NEXT) | instid1(VALU_DEP_1)
	v_add_f64 v[2:3], v[40:41], v[8:9]
	v_add_f64 v[36:37], v[2:3], -v[40:41]
	s_delay_alu instid0(VALU_DEP_1)
	v_add_f64 v[8:9], v[8:9], -v[36:37]
.LBB100_325:                            ;   in Loop: Header=BB100_180 Depth=1
	s_or_b32 exec_lo, exec_lo, s1
                                        ; implicit-def: $vgpr21
                                        ; implicit-def: $vgpr34_vgpr35
                                        ; implicit-def: $vgpr36_vgpr37
	s_and_saveexec_b32 s1, s0
	s_delay_alu instid0(SALU_CYCLE_1)
	s_xor_b32 s0, exec_lo, s1
	s_cbranch_execz .LBB100_327
; %bb.326:                              ;   in Loop: Header=BB100_180 Depth=1
	v_cmp_le_f64_e64 vcc_lo, 0x7b000000, |v[0:1]|
	s_mov_b32 s2, s4
	s_mov_b32 s11, s7
	s_delay_alu instid0(VALU_DEP_4) | instskip(NEXT) | instid1(VALU_DEP_1)
	v_dual_cndmask_b32 v33, v39, v33 :: v_dual_cndmask_b32 v32, v0, v32
	v_mul_f64 v[34:35], v[30:31], v[32:33]
	v_mul_f64 v[36:37], v[28:29], v[32:33]
	;; [unrolled: 1-line block ×3, first 2 shown]
	s_delay_alu instid0(VALU_DEP_3) | instskip(NEXT) | instid1(VALU_DEP_3)
	v_fma_f64 v[30:31], v[30:31], v[32:33], -v[34:35]
	v_fma_f64 v[28:29], v[28:29], v[32:33], -v[36:37]
	s_delay_alu instid0(VALU_DEP_3) | instskip(NEXT) | instid1(VALU_DEP_3)
	v_fma_f64 v[26:27], v[26:27], v[32:33], -v[39:40]
	v_add_f64 v[32:33], v[36:37], v[30:31]
	s_delay_alu instid0(VALU_DEP_1) | instskip(NEXT) | instid1(VALU_DEP_1)
	v_add_f64 v[41:42], v[32:33], -v[36:37]
	v_add_f64 v[30:31], v[30:31], -v[41:42]
	;; [unrolled: 1-line block ×3, first 2 shown]
	s_delay_alu instid0(VALU_DEP_1) | instskip(SKIP_1) | instid1(VALU_DEP_2)
	v_add_f64 v[36:37], v[36:37], -v[41:42]
	v_add_f64 v[41:42], v[34:35], v[32:33]
	v_add_f64 v[30:31], v[30:31], v[36:37]
	s_delay_alu instid0(VALU_DEP_2) | instskip(SKIP_1) | instid1(VALU_DEP_2)
	v_add_f64 v[34:35], v[41:42], -v[34:35]
	v_ldexp_f64 v[41:42], v[41:42], -2
	v_add_f64 v[32:33], v[32:33], -v[34:35]
	v_add_f64 v[34:35], v[39:40], v[28:29]
	s_delay_alu instid0(VALU_DEP_3) | instskip(SKIP_1) | instid1(VALU_DEP_3)
	v_cmp_neq_f64_e64 vcc_lo, 0x7ff00000, |v[41:42]|
	v_fract_f64_e32 v[41:42], v[41:42]
	v_add_f64 v[36:37], v[34:35], -v[39:40]
	s_delay_alu instid0(VALU_DEP_2) | instskip(NEXT) | instid1(VALU_DEP_2)
	v_dual_cndmask_b32 v42, 0, v42 :: v_dual_cndmask_b32 v41, 0, v41
	v_add_f64 v[28:29], v[28:29], -v[36:37]
	v_add_f64 v[36:37], v[34:35], -v[36:37]
	s_delay_alu instid0(VALU_DEP_1) | instskip(SKIP_1) | instid1(VALU_DEP_2)
	v_add_f64 v[36:37], v[39:40], -v[36:37]
	v_add_f64 v[39:40], v[34:35], v[30:31]
	v_add_f64 v[28:29], v[28:29], v[36:37]
	s_delay_alu instid0(VALU_DEP_2) | instskip(SKIP_1) | instid1(VALU_DEP_2)
	v_add_f64 v[43:44], v[39:40], -v[34:35]
	v_add_f64 v[36:37], v[32:33], v[39:40]
	v_add_f64 v[30:31], v[30:31], -v[43:44]
	v_add_f64 v[43:44], v[39:40], -v[43:44]
	s_delay_alu instid0(VALU_DEP_1) | instskip(NEXT) | instid1(VALU_DEP_1)
	v_add_f64 v[34:35], v[34:35], -v[43:44]
	v_add_f64 v[30:31], v[30:31], v[34:35]
	v_ldexp_f64 v[34:35], v[41:42], 2
	s_delay_alu instid0(VALU_DEP_2) | instskip(NEXT) | instid1(VALU_DEP_2)
	v_add_f64 v[28:29], v[28:29], v[30:31]
	v_add_f64 v[41:42], v[36:37], v[34:35]
	v_add_f64 v[30:31], v[36:37], -v[32:33]
	s_delay_alu instid0(VALU_DEP_3) | instskip(NEXT) | instid1(VALU_DEP_3)
	v_add_f64 v[26:27], v[26:27], v[28:29]
	v_cmp_gt_f64_e32 vcc_lo, 0, v[41:42]
	s_delay_alu instid0(VALU_DEP_3) | instskip(SKIP_1) | instid1(VALU_DEP_2)
	v_add_f64 v[30:31], v[39:40], -v[30:31]
	v_cndmask_b32_e64 v21, 0, 0x40100000, vcc_lo
	v_add_f64 v[26:27], v[30:31], v[26:27]
	s_delay_alu instid0(VALU_DEP_2) | instskip(NEXT) | instid1(VALU_DEP_1)
	v_add_f64 v[28:29], v[34:35], v[20:21]
	v_add_f64 v[32:33], v[36:37], v[28:29]
	s_delay_alu instid0(VALU_DEP_1) | instskip(NEXT) | instid1(VALU_DEP_1)
	v_cvt_i32_f64_e32 v39, v[32:33]
	v_cvt_f64_i32_e32 v[32:33], v39
	s_delay_alu instid0(VALU_DEP_1) | instskip(NEXT) | instid1(VALU_DEP_1)
	v_add_f64 v[28:29], v[28:29], -v[32:33]
	v_add_f64 v[30:31], v[36:37], v[28:29]
	s_delay_alu instid0(VALU_DEP_1) | instskip(SKIP_1) | instid1(VALU_DEP_2)
	v_add_f64 v[28:29], v[30:31], -v[28:29]
	v_cmp_le_f64_e32 vcc_lo, 0.5, v[30:31]
	v_add_f64 v[28:29], v[36:37], -v[28:29]
	v_cndmask_b32_e64 v21, 0, 0x3ff00000, vcc_lo
	s_delay_alu instid0(VALU_DEP_1) | instskip(SKIP_1) | instid1(VALU_DEP_4)
	v_add_f64 v[30:31], v[30:31], -v[20:21]
	v_add_co_ci_u32_e32 v21, vcc_lo, 0, v39, vcc_lo
	v_add_f64 v[26:27], v[26:27], v[28:29]
	s_delay_alu instid0(VALU_DEP_1) | instskip(NEXT) | instid1(VALU_DEP_1)
	v_add_f64 v[28:29], v[30:31], v[26:27]
	v_add_f64 v[30:31], v[28:29], -v[30:31]
	s_delay_alu instid0(VALU_DEP_1) | instskip(SKIP_1) | instid1(VALU_DEP_1)
	v_add_f64 v[26:27], v[26:27], -v[30:31]
	v_mul_f64 v[30:31], v[28:29], s[2:3]
	v_fma_f64 v[32:33], v[28:29], s[2:3], -v[30:31]
	s_delay_alu instid0(VALU_DEP_1) | instskip(NEXT) | instid1(VALU_DEP_1)
	v_fma_f64 v[28:29], v[28:29], s[10:11], v[32:33]
	v_fma_f64 v[26:27], v[26:27], s[2:3], v[28:29]
	s_delay_alu instid0(VALU_DEP_1) | instskip(NEXT) | instid1(VALU_DEP_1)
	v_add_f64 v[34:35], v[30:31], v[26:27]
	v_add_f64 v[28:29], v[34:35], -v[30:31]
	s_delay_alu instid0(VALU_DEP_1)
	v_add_f64 v[36:37], v[26:27], -v[28:29]
	s_and_not1_saveexec_b32 s0, s0
	s_cbranch_execz .LBB100_176
	s_branch .LBB100_328
.LBB100_327:                            ;   in Loop: Header=BB100_180 Depth=1
	s_and_not1_saveexec_b32 s0, s0
	s_cbranch_execz .LBB100_176
.LBB100_328:                            ;   in Loop: Header=BB100_180 Depth=1
	v_mul_f64 v[26:27], |v[0:1]|, s[14:15]
	s_mov_b32 s6, s16
	s_delay_alu instid0(VALU_DEP_1) | instskip(NEXT) | instid1(VALU_DEP_1)
	v_rndne_f64_e32 v[26:27], v[26:27]
	v_fma_f64 v[28:29], v[26:27], s[4:5], |v[0:1]|
	v_mul_f64 v[30:31], v[26:27], s[16:17]
	v_cvt_i32_f64_e32 v21, v[26:27]
	s_delay_alu instid0(VALU_DEP_3) | instskip(NEXT) | instid1(VALU_DEP_3)
	v_fma_f64 v[36:37], v[26:27], s[16:17], v[28:29]
	v_add_f64 v[32:33], v[28:29], v[30:31]
	s_delay_alu instid0(VALU_DEP_1) | instskip(NEXT) | instid1(VALU_DEP_3)
	v_add_f64 v[28:29], v[28:29], -v[32:33]
	v_add_f64 v[32:33], v[32:33], -v[36:37]
	s_delay_alu instid0(VALU_DEP_2) | instskip(SKIP_1) | instid1(VALU_DEP_2)
	v_add_f64 v[28:29], v[28:29], v[30:31]
	v_fma_f64 v[30:31], v[26:27], s[6:7], v[30:31]
	v_add_f64 v[28:29], v[32:33], v[28:29]
	s_delay_alu instid0(VALU_DEP_1) | instskip(NEXT) | instid1(VALU_DEP_1)
	v_add_f64 v[28:29], v[28:29], -v[30:31]
	v_fma_f64 v[28:29], v[26:27], s[18:19], v[28:29]
	s_delay_alu instid0(VALU_DEP_1) | instskip(NEXT) | instid1(VALU_DEP_1)
	v_add_f64 v[34:35], v[36:37], v[28:29]
	v_add_f64 v[30:31], v[34:35], -v[36:37]
	s_delay_alu instid0(VALU_DEP_1)
	v_add_f64 v[36:37], v[28:29], -v[30:31]
	s_branch .LBB100_176
.LBB100_329:
	s_nop 0
	s_sendmsg sendmsg(MSG_DEALLOC_VGPRS)
	s_endpgm
	.section	.rodata,"a",@progbits
	.p2align	6, 0x0
	.amdhsa_kernel _ZN2at6native12_GLOBAL__N_125multi_tensor_apply_kernelINS1_18TensorListMetadataILi1EEENS1_14UnaryOpFunctorIN3c107complexIdEELi1ELi1ELi0EEEJNS0_3TanIS8_EEEEEvT_T0_DpT1_
		.amdhsa_group_segment_fixed_size 0
		.amdhsa_private_segment_fixed_size 0
		.amdhsa_kernarg_size 3632
		.amdhsa_user_sgpr_count 15
		.amdhsa_user_sgpr_dispatch_ptr 0
		.amdhsa_user_sgpr_queue_ptr 0
		.amdhsa_user_sgpr_kernarg_segment_ptr 1
		.amdhsa_user_sgpr_dispatch_id 0
		.amdhsa_user_sgpr_private_segment_size 0
		.amdhsa_wavefront_size32 1
		.amdhsa_uses_dynamic_stack 0
		.amdhsa_enable_private_segment 0
		.amdhsa_system_sgpr_workgroup_id_x 1
		.amdhsa_system_sgpr_workgroup_id_y 0
		.amdhsa_system_sgpr_workgroup_id_z 0
		.amdhsa_system_sgpr_workgroup_info 0
		.amdhsa_system_vgpr_workitem_id 0
		.amdhsa_next_free_vgpr 70
		.amdhsa_next_free_sgpr 105
		.amdhsa_reserve_vcc 1
		.amdhsa_float_round_mode_32 0
		.amdhsa_float_round_mode_16_64 0
		.amdhsa_float_denorm_mode_32 3
		.amdhsa_float_denorm_mode_16_64 3
		.amdhsa_dx10_clamp 1
		.amdhsa_ieee_mode 1
		.amdhsa_fp16_overflow 0
		.amdhsa_workgroup_processor_mode 1
		.amdhsa_memory_ordered 1
		.amdhsa_forward_progress 0
		.amdhsa_shared_vgpr_count 0
		.amdhsa_exception_fp_ieee_invalid_op 0
		.amdhsa_exception_fp_denorm_src 0
		.amdhsa_exception_fp_ieee_div_zero 0
		.amdhsa_exception_fp_ieee_overflow 0
		.amdhsa_exception_fp_ieee_underflow 0
		.amdhsa_exception_fp_ieee_inexact 0
		.amdhsa_exception_int_div_zero 0
	.end_amdhsa_kernel
	.section	.text._ZN2at6native12_GLOBAL__N_125multi_tensor_apply_kernelINS1_18TensorListMetadataILi1EEENS1_14UnaryOpFunctorIN3c107complexIdEELi1ELi1ELi0EEEJNS0_3TanIS8_EEEEEvT_T0_DpT1_,"axG",@progbits,_ZN2at6native12_GLOBAL__N_125multi_tensor_apply_kernelINS1_18TensorListMetadataILi1EEENS1_14UnaryOpFunctorIN3c107complexIdEELi1ELi1ELi0EEEJNS0_3TanIS8_EEEEEvT_T0_DpT1_,comdat
.Lfunc_end100:
	.size	_ZN2at6native12_GLOBAL__N_125multi_tensor_apply_kernelINS1_18TensorListMetadataILi1EEENS1_14UnaryOpFunctorIN3c107complexIdEELi1ELi1ELi0EEEJNS0_3TanIS8_EEEEEvT_T0_DpT1_, .Lfunc_end100-_ZN2at6native12_GLOBAL__N_125multi_tensor_apply_kernelINS1_18TensorListMetadataILi1EEENS1_14UnaryOpFunctorIN3c107complexIdEELi1ELi1ELi0EEEJNS0_3TanIS8_EEEEEvT_T0_DpT1_
                                        ; -- End function
	.section	.AMDGPU.csdata,"",@progbits
; Kernel info:
; codeLenInByte = 69560
; NumSgprs: 107
; NumVgprs: 70
; ScratchSize: 0
; MemoryBound: 1
; FloatMode: 240
; IeeeMode: 1
; LDSByteSize: 0 bytes/workgroup (compile time only)
; SGPRBlocks: 13
; VGPRBlocks: 8
; NumSGPRsForWavesPerEU: 107
; NumVGPRsForWavesPerEU: 70
; Occupancy: 16
; WaveLimiterHint : 0
; COMPUTE_PGM_RSRC2:SCRATCH_EN: 0
; COMPUTE_PGM_RSRC2:USER_SGPR: 15
; COMPUTE_PGM_RSRC2:TRAP_HANDLER: 0
; COMPUTE_PGM_RSRC2:TGID_X_EN: 1
; COMPUTE_PGM_RSRC2:TGID_Y_EN: 0
; COMPUTE_PGM_RSRC2:TGID_Z_EN: 0
; COMPUTE_PGM_RSRC2:TIDIG_COMP_CNT: 0
	.section	.text._ZN2at6native12_GLOBAL__N_125multi_tensor_apply_kernelINS1_18TensorListMetadataILi1EEENS1_14UnaryOpFunctorIN3c107complexIfEELi1ELi1ELi0EEEJNS0_3TanIS8_EEEEEvT_T0_DpT1_,"axG",@progbits,_ZN2at6native12_GLOBAL__N_125multi_tensor_apply_kernelINS1_18TensorListMetadataILi1EEENS1_14UnaryOpFunctorIN3c107complexIfEELi1ELi1ELi0EEEJNS0_3TanIS8_EEEEEvT_T0_DpT1_,comdat
	.globl	_ZN2at6native12_GLOBAL__N_125multi_tensor_apply_kernelINS1_18TensorListMetadataILi1EEENS1_14UnaryOpFunctorIN3c107complexIfEELi1ELi1ELi0EEEJNS0_3TanIS8_EEEEEvT_T0_DpT1_ ; -- Begin function _ZN2at6native12_GLOBAL__N_125multi_tensor_apply_kernelINS1_18TensorListMetadataILi1EEENS1_14UnaryOpFunctorIN3c107complexIfEELi1ELi1ELi0EEEJNS0_3TanIS8_EEEEEvT_T0_DpT1_
	.p2align	8
	.type	_ZN2at6native12_GLOBAL__N_125multi_tensor_apply_kernelINS1_18TensorListMetadataILi1EEENS1_14UnaryOpFunctorIN3c107complexIfEELi1ELi1ELi0EEEJNS0_3TanIS8_EEEEEvT_T0_DpT1_,@function
_ZN2at6native12_GLOBAL__N_125multi_tensor_apply_kernelINS1_18TensorListMetadataILi1EEENS1_14UnaryOpFunctorIN3c107complexIfEELi1ELi1ELi0EEEJNS0_3TanIS8_EEEEEvT_T0_DpT1_: ; @_ZN2at6native12_GLOBAL__N_125multi_tensor_apply_kernelINS1_18TensorListMetadataILi1EEENS1_14UnaryOpFunctorIN3c107complexIfEELi1ELi1ELi0EEEJNS0_3TanIS8_EEEEEvT_T0_DpT1_
; %bb.0:
	v_mov_b32_e32 v1, s15
	s_add_u32 s2, s0, s15
	s_mul_hi_u32 s3, s15, 3
	s_mul_i32 s15, s15, 3
	s_addc_u32 s4, s1, 0
	global_load_u8 v1, v1, s[0:1] offset:1760
	s_add_u32 s2, s2, s15
	s_addc_u32 s3, s4, s3
	s_mov_b32 s7, 0
	s_load_b32 s2, s[2:3], 0x820
	s_waitcnt vmcnt(0)
	v_readfirstlane_b32 s5, v1
	s_delay_alu instid0(VALU_DEP_1)
	s_lshl_b32 s3, s5, 3
	s_clause 0x1
	s_load_b64 s[12:13], s[0:1], s3 offset:0x0
	s_load_b64 s[4:5], s[0:1], s3 offset:0x370
	s_waitcnt lgkmcnt(0)
	s_ashr_i32 s3, s2, 31
	s_delay_alu instid0(SALU_CYCLE_1) | instskip(NEXT) | instid1(SALU_CYCLE_1)
	s_lshl_b64 s[14:15], s[2:3], 19
	s_add_u32 s9, s12, s14
	s_addc_u32 s20, s13, s15
	s_lshl_b64 s[2:3], s[2:3], 16
	s_and_b32 s6, s9, 31
	s_sub_u32 s10, s4, s2
	s_subb_u32 s11, s5, s3
	s_and_b32 s2, s4, 3
	s_mov_b32 s3, s7
	s_delay_alu instid0(SALU_CYCLE_1) | instskip(NEXT) | instid1(SALU_CYCLE_1)
	s_or_b64 s[2:3], s[6:7], s[2:3]
	s_cmp_eq_u64 s[2:3], 0
	s_cbranch_scc1 .LBB101_173
; %bb.1:
	v_cmp_lt_i64_e64 s2, s[10:11], 1
	s_delay_alu instid0(VALU_DEP_1)
	s_and_b32 vcc_lo, exec_lo, s2
	s_cbranch_vccnz .LBB101_172
; %bb.2:
	s_load_b32 s2, s[0:1], 0xd3c
	v_dual_mov_b32 v2, 0 :: v_dual_lshlrev_b32 v3, 3, v0
	v_cmp_gt_u64_e64 s3, 0x10000, s[10:11]
	s_mov_b64 s[18:19], 0
	s_mov_b32 s23, 0x7fffff
	s_mov_b32 s24, 0xbc8cedd3
	;; [unrolled: 1-line block ×6, first 2 shown]
	s_waitcnt lgkmcnt(0)
	s_and_b32 s2, s2, 0xffff
	s_and_b32 s3, s3, exec_lo
	v_add_co_u32 v17, s5, v0, s2
	v_mov_b32_e32 v4, v2
	s_cselect_b32 s17, s11, 0
	s_cselect_b32 s16, s10, 0x10000
	s_delay_alu instid0(VALU_DEP_2)
	v_lshlrev_b32_e32 v21, 3, v17
	s_lshl_b32 s3, s2, 1
	v_mad_u64_u32 v[5:6], null, s2, 24, v[3:4]
	s_mul_i32 s4, s2, 3
	s_lshl_b32 s21, s2, 2
	s_lshl_b32 s22, s2, 5
	;; [unrolled: 1-line block ×3, first 2 shown]
	v_add_co_u32 v4, s4, s4, v0
	v_add_co_u32 v1, s2, s2, v3
	s_delay_alu instid0(VALU_DEP_1)
	v_add_co_ci_u32_e64 v20, null, 0, 0, s2
	v_add_co_u32 v23, s2, s3, v0
	v_add_co_ci_u32_e64 v18, null, 0, 0, s5
	v_add_co_ci_u32_e64 v19, null, 0, 0, s4
	v_or_b32_e32 v22, 4, v1
	v_or_b32_e32 v5, 4, v5
	v_add_co_ci_u32_e64 v24, null, 0, 0, s2
	s_branch .LBB101_4
.LBB101_3:                              ;   in Loop: Header=BB101_4 Depth=1
	s_or_b32 exec_lo, exec_lo, s2
	s_add_u32 s18, s18, s21
	s_addc_u32 s19, s19, 0
	s_delay_alu instid0(SALU_CYCLE_1) | instskip(SKIP_1) | instid1(VALU_DEP_1)
	v_cmp_ge_i64_e64 s2, s[18:19], s[10:11]
	v_cmp_lt_u64_e64 s3, 0xffff, s[18:19]
	s_or_b32 s2, s2, s3
	s_add_u32 s9, s9, s22
	s_addc_u32 s20, s20, 0
	s_and_b32 vcc_lo, exec_lo, s2
	s_cbranch_vccnz .LBB101_172
.LBB101_4:                              ; =>This Inner Loop Header: Depth=1
	v_add_co_u32 v7, s2, v0, s18
	s_delay_alu instid0(VALU_DEP_1) | instskip(SKIP_1) | instid1(VALU_DEP_2)
	v_add_co_ci_u32_e64 v8, null, 0, s19, s2
	v_dual_mov_b32 v16, 0 :: v_dual_mov_b32 v15, 0
	v_cmp_gt_u64_e64 s2, s[16:17], v[7:8]
	s_delay_alu instid0(VALU_DEP_1)
	s_and_saveexec_b32 s3, s2
	s_cbranch_execz .LBB101_6
; %bb.5:                                ;   in Loop: Header=BB101_4 Depth=1
	v_add_co_u32 v7, s4, s9, v3
	s_delay_alu instid0(VALU_DEP_1)
	v_add_co_ci_u32_e64 v8, null, s20, 0, s4
	global_load_b64 v[15:16], v[7:8], off
.LBB101_6:                              ;   in Loop: Header=BB101_4 Depth=1
	s_or_b32 exec_lo, exec_lo, s3
	v_add_co_u32 v7, vcc_lo, v17, s18
	v_add_co_ci_u32_e32 v8, vcc_lo, s19, v18, vcc_lo
	v_dual_mov_b32 v11, 0 :: v_dual_mov_b32 v14, 0
	v_mov_b32_e32 v13, 0
	s_delay_alu instid0(VALU_DEP_3) | instskip(NEXT) | instid1(VALU_DEP_1)
	v_cmp_gt_u64_e64 s3, s[16:17], v[7:8]
	s_and_saveexec_b32 s4, s3
	s_cbranch_execz .LBB101_8
; %bb.7:                                ;   in Loop: Header=BB101_4 Depth=1
	v_add_co_u32 v7, s5, s9, v21
	s_delay_alu instid0(VALU_DEP_1)
	v_add_co_ci_u32_e64 v8, null, s20, 0, s5
	global_load_b64 v[13:14], v[7:8], off
.LBB101_8:                              ;   in Loop: Header=BB101_4 Depth=1
	s_or_b32 exec_lo, exec_lo, s4
	v_add_co_u32 v7, vcc_lo, v23, s18
	v_add_co_ci_u32_e32 v8, vcc_lo, s19, v24, vcc_lo
	v_mov_b32_e32 v10, 0
	s_delay_alu instid0(VALU_DEP_2) | instskip(NEXT) | instid1(VALU_DEP_1)
	v_cmp_gt_u64_e64 s4, s[16:17], v[7:8]
	s_and_saveexec_b32 s5, s4
	s_cbranch_execz .LBB101_10
; %bb.9:                                ;   in Loop: Header=BB101_4 Depth=1
	v_add_co_u32 v7, vcc_lo, s9, v22
	v_add_co_ci_u32_e32 v8, vcc_lo, s20, v20, vcc_lo
	global_load_b64 v[10:11], v[7:8], off offset:-4
.LBB101_10:                             ;   in Loop: Header=BB101_4 Depth=1
	s_or_b32 exec_lo, exec_lo, s5
	v_add_co_u32 v7, vcc_lo, v4, s18
	v_add_co_ci_u32_e32 v8, vcc_lo, s19, v19, vcc_lo
	s_delay_alu instid0(VALU_DEP_1) | instskip(SKIP_1) | instid1(VALU_DEP_2)
	v_cmp_gt_u64_e64 s5, s[16:17], v[7:8]
	v_dual_mov_b32 v8, 0 :: v_dual_mov_b32 v7, 0
	s_and_saveexec_b32 s6, s5
	s_cbranch_execz .LBB101_12
; %bb.11:                               ;   in Loop: Header=BB101_4 Depth=1
	v_add_co_u32 v7, vcc_lo, s9, v5
	v_add_co_ci_u32_e32 v8, vcc_lo, s20, v6, vcc_lo
	global_load_b64 v[7:8], v[7:8], off offset:-4
.LBB101_12:                             ;   in Loop: Header=BB101_4 Depth=1
	s_or_b32 exec_lo, exec_lo, s6
	s_waitcnt vmcnt(0)
	v_and_b32_e32 v1, 0x7fffffff, v16
                                        ; implicit-def: $vgpr9
                                        ; implicit-def: $vgpr25
	s_mov_b32 s6, exec_lo
	s_delay_alu instid0(VALU_DEP_1)
	v_cmpx_gt_u32_e32 0x7f800000, v1
	s_xor_b32 s29, exec_lo, s6
	s_cbranch_execz .LBB101_34
; %bb.13:                               ;   in Loop: Header=BB101_4 Depth=1
	v_cmp_class_f32_e64 s6, v15, 0x1f8
                                        ; implicit-def: $vgpr9
                                        ; implicit-def: $vgpr25
	s_delay_alu instid0(VALU_DEP_1) | instskip(NEXT) | instid1(SALU_CYCLE_1)
	s_and_saveexec_b32 s7, s6
	s_xor_b32 s30, exec_lo, s7
	s_cbranch_execz .LBB101_31
; %bb.14:                               ;   in Loop: Header=BB101_4 Depth=1
	v_and_b32_e32 v12, 0x7fffffff, v15
                                        ; implicit-def: $vgpr9
                                        ; implicit-def: $vgpr25
	s_mov_b32 s6, exec_lo
	v_cmpx_gt_u32_e32 0x41300000, v1
	s_xor_b32 s31, exec_lo, s6
	s_cbranch_execz .LBB101_20
; %bb.15:                               ;   in Loop: Header=BB101_4 Depth=1
                                        ; implicit-def: $vgpr1
                                        ; implicit-def: $vgpr9
	s_mov_b32 s7, exec_lo
	v_cmpx_ngt_f32_e64 0x48000000, |v15|
	s_xor_b32 s33, exec_lo, s7
	s_cbranch_execz .LBB101_17
; %bb.16:                               ;   in Loop: Header=BB101_4 Depth=1
	v_lshrrev_b32_e32 v30, 23, v12
	v_and_or_b32 v9, v12, s23, 0x800000
	s_delay_alu instid0(VALU_DEP_2) | instskip(NEXT) | instid1(VALU_DEP_2)
	v_add_nc_u32_e32 v31, 0xffffff88, v30
	v_mad_u64_u32 v[25:26], null, 0xfe5163ab, v9, 0
	s_delay_alu instid0(VALU_DEP_2) | instskip(SKIP_1) | instid1(VALU_DEP_1)
	v_cmp_lt_u32_e32 vcc_lo, 63, v31
	v_cndmask_b32_e64 v32, 0, 0xffffffc0, vcc_lo
	v_dual_mov_b32 v1, v26 :: v_dual_add_nc_u32 v32, v32, v31
	s_delay_alu instid0(VALU_DEP_1) | instskip(NEXT) | instid1(VALU_DEP_2)
	v_mad_u64_u32 v[26:27], null, 0x3c439041, v9, v[1:2]
	v_cmp_lt_u32_e64 s6, 31, v32
	s_delay_alu instid0(VALU_DEP_2) | instskip(NEXT) | instid1(VALU_DEP_2)
	v_mov_b32_e32 v1, v27
	v_cndmask_b32_e64 v33, 0, 0xffffffe0, s6
	s_delay_alu instid0(VALU_DEP_2) | instskip(NEXT) | instid1(VALU_DEP_2)
	v_mad_u64_u32 v[27:28], null, 0xdb629599, v9, v[1:2]
	v_add_nc_u32_e32 v33, v33, v32
	s_delay_alu instid0(VALU_DEP_1) | instskip(NEXT) | instid1(VALU_DEP_3)
	v_cmp_lt_u32_e64 s7, 31, v33
	v_mov_b32_e32 v1, v28
	s_delay_alu instid0(VALU_DEP_4) | instskip(NEXT) | instid1(VALU_DEP_2)
	v_cndmask_b32_e32 v25, v27, v25, vcc_lo
	v_mad_u64_u32 v[28:29], null, 0xf534ddc0, v9, v[1:2]
	s_delay_alu instid0(VALU_DEP_1) | instskip(NEXT) | instid1(VALU_DEP_1)
	v_dual_mov_b32 v1, v29 :: v_dual_cndmask_b32 v26, v28, v26
	v_mad_u64_u32 v[29:30], null, 0xfc2757d1, v9, v[1:2]
	s_delay_alu instid0(VALU_DEP_2) | instskip(NEXT) | instid1(VALU_DEP_2)
	v_cndmask_b32_e64 v25, v26, v25, s6
	v_mov_b32_e32 v1, v30
	s_delay_alu instid0(VALU_DEP_1) | instskip(NEXT) | instid1(VALU_DEP_1)
	v_mad_u64_u32 v[30:31], null, 0x4e441529, v9, v[1:2]
	v_mov_b32_e32 v1, v31
	s_delay_alu instid0(VALU_DEP_1) | instskip(SKIP_1) | instid1(VALU_DEP_4)
	v_mad_u64_u32 v[31:32], null, 0xa2f9836e, v9, v[1:2]
	v_cndmask_b32_e64 v1, 0, 0xffffffe0, s7
	v_cndmask_b32_e32 v9, v30, v28, vcc_lo
	s_delay_alu instid0(VALU_DEP_2) | instskip(NEXT) | instid1(VALU_DEP_4)
	v_add_nc_u32_e32 v1, v1, v33
	v_dual_cndmask_b32 v31, v31, v29 :: v_dual_cndmask_b32 v30, v32, v30
	v_cndmask_b32_e32 v29, v29, v27, vcc_lo
	s_delay_alu instid0(VALU_DEP_3) | instskip(NEXT) | instid1(VALU_DEP_3)
	v_cmp_eq_u32_e64 s8, 0, v1
	v_cndmask_b32_e64 v28, v31, v9, s6
	s_delay_alu instid0(VALU_DEP_4) | instskip(NEXT) | instid1(VALU_DEP_4)
	v_cndmask_b32_e64 v30, v30, v31, s6
	v_cndmask_b32_e64 v9, v9, v29, s6
	v_sub_nc_u32_e32 v31, 32, v1
	v_cndmask_b32_e64 v29, v29, v26, s6
	s_delay_alu instid0(VALU_DEP_4) | instskip(NEXT) | instid1(VALU_DEP_4)
	v_cndmask_b32_e64 v30, v30, v28, s7
	v_cndmask_b32_e64 v28, v28, v9, s7
	s_delay_alu instid0(VALU_DEP_3) | instskip(SKIP_1) | instid1(VALU_DEP_3)
	v_cndmask_b32_e64 v9, v9, v29, s7
	v_cndmask_b32_e64 v25, v29, v25, s7
	v_alignbit_b32 v32, v30, v28, v31
	s_delay_alu instid0(VALU_DEP_3) | instskip(NEXT) | instid1(VALU_DEP_3)
	v_alignbit_b32 v33, v28, v9, v31
	v_alignbit_b32 v31, v9, v25, v31
	s_delay_alu instid0(VALU_DEP_3) | instskip(NEXT) | instid1(VALU_DEP_3)
	v_cndmask_b32_e64 v1, v32, v30, s8
	v_cndmask_b32_e64 v27, v33, v28, s8
	s_delay_alu instid0(VALU_DEP_3) | instskip(NEXT) | instid1(VALU_DEP_3)
	v_cndmask_b32_e64 v9, v31, v9, s8
	v_bfe_u32 v28, v1, 29, 1
	s_delay_alu instid0(VALU_DEP_3) | instskip(NEXT) | instid1(VALU_DEP_3)
	v_alignbit_b32 v26, v1, v27, 30
	v_alignbit_b32 v27, v27, v9, 30
	;; [unrolled: 1-line block ×3, first 2 shown]
	s_delay_alu instid0(VALU_DEP_4) | instskip(NEXT) | instid1(VALU_DEP_1)
	v_sub_nc_u32_e32 v30, 0, v28
	v_xor_b32_e32 v29, v26, v30
	v_cmp_ne_u32_e32 vcc_lo, v26, v30
	v_xor_b32_e32 v25, v27, v30
	v_xor_b32_e32 v9, v9, v30
	s_delay_alu instid0(VALU_DEP_4) | instskip(NEXT) | instid1(VALU_DEP_1)
	v_clz_i32_u32_e32 v32, v29
	v_add_nc_u32_e32 v31, 1, v32
	s_delay_alu instid0(VALU_DEP_1) | instskip(NEXT) | instid1(VALU_DEP_1)
	v_cndmask_b32_e32 v26, 33, v31, vcc_lo
	v_sub_nc_u32_e32 v27, 32, v26
	s_delay_alu instid0(VALU_DEP_1) | instskip(SKIP_3) | instid1(VALU_DEP_3)
	v_alignbit_b32 v29, v29, v25, v27
	v_alignbit_b32 v9, v25, v9, v27
	v_lshrrev_b32_e32 v25, 29, v1
	v_lshrrev_b32_e32 v1, 30, v1
	v_alignbit_b32 v27, v29, v9, 9
	s_delay_alu instid0(VALU_DEP_3) | instskip(SKIP_1) | instid1(VALU_DEP_4)
	v_lshlrev_b32_e32 v25, 31, v25
	v_alignbit_b32 v29, v26, v29, 9
	v_add_nc_u32_e32 v1, v28, v1
	s_delay_alu instid0(VALU_DEP_4) | instskip(NEXT) | instid1(VALU_DEP_3)
	v_clz_i32_u32_e32 v30, v27
	v_or_b32_e32 v29, v29, v25
	v_or_b32_e32 v25, 0x33800000, v25
	s_delay_alu instid0(VALU_DEP_3) | instskip(NEXT) | instid1(VALU_DEP_3)
	v_min_u32_e32 v30, 32, v30
	v_xor_b32_e32 v29, 1.0, v29
	s_delay_alu instid0(VALU_DEP_2) | instskip(SKIP_1) | instid1(VALU_DEP_3)
	v_sub_nc_u32_e32 v31, 31, v30
	v_add_lshl_u32 v26, v30, v26, 23
	v_mul_f32_e32 v30, 0x3fc90fda, v29
	s_delay_alu instid0(VALU_DEP_3) | instskip(NEXT) | instid1(VALU_DEP_3)
	v_alignbit_b32 v9, v27, v9, v31
	v_sub_nc_u32_e32 v25, v25, v26
	s_delay_alu instid0(VALU_DEP_3) | instskip(NEXT) | instid1(VALU_DEP_3)
	v_fma_f32 v26, 0x3fc90fda, v29, -v30
	v_lshrrev_b32_e32 v9, 9, v9
	s_delay_alu instid0(VALU_DEP_2) | instskip(NEXT) | instid1(VALU_DEP_2)
	v_fmac_f32_e32 v26, 0x33a22168, v29
	v_or_b32_e32 v9, v25, v9
	s_delay_alu instid0(VALU_DEP_1) | instskip(NEXT) | instid1(VALU_DEP_1)
	v_fmac_f32_e32 v26, 0x3fc90fda, v9
	v_add_f32_e32 v9, v30, v26
.LBB101_17:                             ;   in Loop: Header=BB101_4 Depth=1
	s_and_not1_saveexec_b32 s6, s33
; %bb.18:                               ;   in Loop: Header=BB101_4 Depth=1
	v_mul_f32_e64 v1, 0x3f22f983, |v15|
	s_delay_alu instid0(VALU_DEP_1) | instskip(NEXT) | instid1(VALU_DEP_1)
	v_rndne_f32_e32 v1, v1
	v_fma_f32 v9, 0xbfc90fda, v1, |v15|
	s_delay_alu instid0(VALU_DEP_1) | instskip(NEXT) | instid1(VALU_DEP_1)
	v_fmac_f32_e32 v9, 0xb3a22168, v1
	v_fmac_f32_e32 v9, 0xa7c234c4, v1
	v_cvt_i32_f32_e32 v1, v1
; %bb.19:                               ;   in Loop: Header=BB101_4 Depth=1
	s_or_b32 exec_lo, exec_lo, s6
	v_add_f32_e64 v25, 0xbf317218, |v16|
	v_cmp_nlt_f32_e64 vcc_lo, 0x42b2d4fc, |v16|
	v_cmp_gt_f32_e64 s6, 0x39800000, |v16|
	v_and_b32_e32 v1, 1, v1
	s_delay_alu instid0(VALU_DEP_4) | instskip(NEXT) | instid1(VALU_DEP_1)
	v_sub_f32_e64 v26, v25, |v16|
	v_dual_sub_f32 v27, v26, v25 :: v_dual_add_f32 v26, 0x3f317218, v26
	s_delay_alu instid0(VALU_DEP_1) | instskip(NEXT) | instid1(VALU_DEP_1)
	v_add_f32_e64 v27, |v16|, v27
	v_sub_f32_e32 v26, v27, v26
	s_delay_alu instid0(VALU_DEP_1) | instskip(NEXT) | instid1(VALU_DEP_1)
	v_add_f32_e32 v26, 0x3102e308, v26
	v_add_f32_e32 v27, v25, v26
	s_delay_alu instid0(VALU_DEP_1) | instskip(NEXT) | instid1(VALU_DEP_1)
	v_sub_f32_e32 v25, v25, v27
	v_dual_mul_f32 v28, 0x3fb8aa3b, v27 :: v_dual_add_f32 v25, v26, v25
	s_delay_alu instid0(VALU_DEP_1) | instskip(NEXT) | instid1(VALU_DEP_1)
	v_rndne_f32_e32 v28, v28
	v_mul_f32_e32 v26, 0x35bfbc00, v28
	v_fmac_f32_e32 v27, 0xbf317200, v28
	s_delay_alu instid0(VALU_DEP_1) | instskip(NEXT) | instid1(VALU_DEP_1)
	v_add_f32_e32 v29, v25, v27
	v_dual_sub_f32 v30, v29, v26 :: v_dual_sub_f32 v27, v27, v29
	s_delay_alu instid0(VALU_DEP_1) | instskip(NEXT) | instid1(VALU_DEP_1)
	v_sub_f32_e32 v29, v29, v30
	v_sub_f32_e32 v26, v29, v26
	s_delay_alu instid0(VALU_DEP_3) | instskip(NEXT) | instid1(VALU_DEP_1)
	v_add_f32_e32 v25, v25, v27
	v_dual_add_f32 v25, v25, v26 :: v_dual_mul_f32 v26, 0x2ea39ef3, v28
	s_delay_alu instid0(VALU_DEP_1) | instskip(NEXT) | instid1(VALU_DEP_1)
	v_add_f32_e32 v27, v30, v25
	v_dual_sub_f32 v29, v27, v26 :: v_dual_sub_f32 v30, v30, v27
	s_delay_alu instid0(VALU_DEP_1) | instskip(NEXT) | instid1(VALU_DEP_2)
	v_sub_f32_e32 v27, v27, v29
	v_add_f32_e32 v25, v25, v30
	s_delay_alu instid0(VALU_DEP_2) | instskip(NEXT) | instid1(VALU_DEP_1)
	v_sub_f32_e32 v26, v27, v26
	v_add_f32_e32 v25, v25, v26
	s_delay_alu instid0(VALU_DEP_1) | instskip(NEXT) | instid1(VALU_DEP_1)
	v_add_f32_e32 v26, v29, v25
	v_sub_f32_e32 v27, v29, v26
	v_mul_f32_e32 v29, v26, v26
	s_delay_alu instid0(VALU_DEP_2) | instskip(SKIP_1) | instid1(VALU_DEP_3)
	v_add_f32_e32 v25, v25, v27
	v_fmaak_f32 v27, s26, v26, 0x3c091de6
	v_fma_f32 v30, v26, v26, -v29
	s_delay_alu instid0(VALU_DEP_3) | instskip(NEXT) | instid1(VALU_DEP_3)
	v_add_f32_e32 v31, v25, v25
	v_fmaak_f32 v27, v26, v27, 0x3d2aadcc
	s_delay_alu instid0(VALU_DEP_2) | instskip(NEXT) | instid1(VALU_DEP_2)
	v_fmac_f32_e32 v30, v26, v31
	v_fmaak_f32 v27, v26, v27, 0x3e2aaa47
	s_delay_alu instid0(VALU_DEP_2) | instskip(NEXT) | instid1(VALU_DEP_2)
	v_add_f32_e32 v31, v29, v30
	v_fmaak_f32 v27, v26, v27, 0x3efffffc
	s_delay_alu instid0(VALU_DEP_2) | instskip(NEXT) | instid1(VALU_DEP_1)
	v_sub_f32_e32 v29, v31, v29
	v_dual_mul_f32 v32, v27, v31 :: v_dual_sub_f32 v29, v30, v29
	s_delay_alu instid0(VALU_DEP_1) | instskip(NEXT) | instid1(VALU_DEP_1)
	v_fma_f32 v30, v31, v27, -v32
	v_fmac_f32_e32 v30, v29, v27
	s_delay_alu instid0(VALU_DEP_1) | instskip(NEXT) | instid1(VALU_DEP_1)
	v_add_f32_e32 v27, v32, v30
	v_sub_f32_e32 v31, v27, v32
	v_add_f32_e32 v29, v26, v27
	s_delay_alu instid0(VALU_DEP_2) | instskip(NEXT) | instid1(VALU_DEP_2)
	v_sub_f32_e32 v30, v30, v31
	v_sub_f32_e32 v26, v29, v26
	s_delay_alu instid0(VALU_DEP_1) | instskip(NEXT) | instid1(VALU_DEP_3)
	v_sub_f32_e32 v26, v27, v26
	v_add_f32_e32 v25, v25, v30
	s_delay_alu instid0(VALU_DEP_1) | instskip(NEXT) | instid1(VALU_DEP_1)
	v_add_f32_e32 v25, v25, v26
	v_add_f32_e32 v26, v29, v25
	s_delay_alu instid0(VALU_DEP_1) | instskip(NEXT) | instid1(VALU_DEP_1)
	v_add_f32_e32 v27, 1.0, v26
	v_dual_sub_f32 v29, v26, v29 :: v_dual_add_f32 v30, -1.0, v27
	s_delay_alu instid0(VALU_DEP_1) | instskip(NEXT) | instid1(VALU_DEP_1)
	v_dual_sub_f32 v25, v25, v29 :: v_dual_sub_f32 v26, v26, v30
	v_add_f32_e32 v25, v25, v26
	v_cvt_i32_f32_e32 v26, v28
	s_delay_alu instid0(VALU_DEP_2) | instskip(NEXT) | instid1(VALU_DEP_1)
	v_add_f32_e32 v28, v27, v25
	v_ldexp_f32 v29, v28, v26
	s_delay_alu instid0(VALU_DEP_1) | instskip(SKIP_1) | instid1(VALU_DEP_1)
	v_rcp_f32_e32 v30, v29
	v_sub_f32_e32 v27, v28, v27
	v_sub_f32_e32 v25, v25, v27
	s_waitcnt_depctr 0xfff
	v_mul_f32_e32 v27, v29, v30
	v_ldexp_f32 v25, v25, v26
	s_delay_alu instid0(VALU_DEP_2) | instskip(NEXT) | instid1(VALU_DEP_1)
	v_fma_f32 v26, v30, v29, -v27
	v_fmac_f32_e32 v26, v30, v25
	s_delay_alu instid0(VALU_DEP_1) | instskip(NEXT) | instid1(VALU_DEP_1)
	v_add_f32_e32 v28, v27, v26
	v_sub_f32_e32 v31, 1.0, v28
	v_sub_f32_e32 v27, v28, v27
	s_delay_alu instid0(VALU_DEP_2) | instskip(NEXT) | instid1(VALU_DEP_1)
	v_sub_f32_e32 v32, 1.0, v31
	v_dual_sub_f32 v26, v27, v26 :: v_dual_sub_f32 v27, v32, v28
	s_delay_alu instid0(VALU_DEP_1) | instskip(NEXT) | instid1(VALU_DEP_1)
	v_add_f32_e32 v26, v26, v27
	v_add_f32_e32 v27, v31, v26
	s_delay_alu instid0(VALU_DEP_1) | instskip(NEXT) | instid1(VALU_DEP_1)
	v_mul_f32_e32 v28, v30, v27
	v_dual_sub_f32 v31, v31, v27 :: v_dual_mul_f32 v32, v29, v28
	s_delay_alu instid0(VALU_DEP_1) | instskip(NEXT) | instid1(VALU_DEP_2)
	v_add_f32_e32 v26, v26, v31
	v_fma_f32 v33, v28, v29, -v32
	s_delay_alu instid0(VALU_DEP_1) | instskip(NEXT) | instid1(VALU_DEP_1)
	v_fmac_f32_e32 v33, v28, v25
	v_add_f32_e32 v34, v32, v33
	s_delay_alu instid0(VALU_DEP_1) | instskip(SKIP_1) | instid1(VALU_DEP_2)
	v_sub_f32_e32 v35, v27, v34
	v_sub_f32_e32 v31, v34, v32
	;; [unrolled: 1-line block ×3, first 2 shown]
	s_delay_alu instid0(VALU_DEP_2) | instskip(NEXT) | instid1(VALU_DEP_2)
	v_sub_f32_e32 v31, v31, v33
	v_sub_f32_e32 v27, v27, v34
	s_delay_alu instid0(VALU_DEP_1) | instskip(NEXT) | instid1(VALU_DEP_1)
	v_add_f32_e32 v26, v26, v27
	v_dual_add_f32 v27, v30, v28 :: v_dual_add_f32 v26, v31, v26
	s_delay_alu instid0(VALU_DEP_1) | instskip(NEXT) | instid1(VALU_DEP_2)
	v_sub_f32_e32 v31, v27, v30
	v_add_f32_e32 v26, v35, v26
	s_delay_alu instid0(VALU_DEP_2) | instskip(NEXT) | instid1(VALU_DEP_2)
	v_sub_f32_e32 v28, v28, v31
	v_mul_f32_e32 v26, v30, v26
	s_delay_alu instid0(VALU_DEP_1) | instskip(NEXT) | instid1(VALU_DEP_1)
	v_add_f32_e32 v26, v28, v26
	v_add_f32_e32 v28, v27, v26
	s_delay_alu instid0(VALU_DEP_1) | instskip(SKIP_1) | instid1(VALU_DEP_1)
	v_ldexp_f32 v30, v28, -2
	v_sub_f32_e32 v27, v28, v27
	v_dual_sub_f32 v31, v29, v30 :: v_dual_sub_f32 v26, v26, v27
	s_delay_alu instid0(VALU_DEP_1) | instskip(NEXT) | instid1(VALU_DEP_2)
	v_sub_f32_e32 v28, v29, v31
	v_ldexp_f32 v26, v26, -2
	s_delay_alu instid0(VALU_DEP_2) | instskip(SKIP_1) | instid1(VALU_DEP_2)
	v_sub_f32_e32 v27, v28, v30
	v_xor_b32_e32 v28, 0x80000000, v16
	v_add_f32_e32 v25, v25, v27
	s_delay_alu instid0(VALU_DEP_1) | instskip(SKIP_1) | instid1(VALU_DEP_2)
	v_sub_f32_e32 v25, v25, v26
	v_mul_f32_e32 v26, v9, v9
	v_add_f32_e32 v25, v31, v25
	s_delay_alu instid0(VALU_DEP_2) | instskip(NEXT) | instid1(VALU_DEP_2)
	v_fmaak_f32 v27, s25, v26, 0xbf039337
	v_cndmask_b32_e32 v25, 0x7f800000, v25, vcc_lo
	s_delay_alu instid0(VALU_DEP_2) | instskip(NEXT) | instid1(VALU_DEP_2)
	v_fmaak_f32 v27, v26, v27, 0x3f93f425
	v_cndmask_b32_e64 v16, v25, |v16|, s6
	s_delay_alu instid0(VALU_DEP_2) | instskip(SKIP_1) | instid1(VALU_DEP_2)
	v_rcp_f32_e32 v25, v27
	v_fmaak_f32 v27, s24, v26, 0x3ec54587
	v_bfi_b32 v16, 0x7fffffff, v16, v28
	s_delay_alu instid0(VALU_DEP_1) | instskip(SKIP_4) | instid1(VALU_DEP_2)
	v_fma_f32 v28, v16, v16, 1.0
	s_waitcnt_depctr 0xfff
	v_mul_f32_e32 v25, v27, v25
	v_mul_f32_e32 v27, 0x4f800000, v28
	v_cmp_gt_f32_e32 vcc_lo, 0xf800000, v28
	v_dual_mul_f32 v25, v26, v25 :: v_dual_cndmask_b32 v26, v28, v27
	s_delay_alu instid0(VALU_DEP_1) | instskip(NEXT) | instid1(VALU_DEP_2)
	v_fma_f32 v27, v25, v9, v9
	v_sqrt_f32_e32 v28, v26
	s_delay_alu instid0(VALU_DEP_1) | instskip(SKIP_1) | instid1(VALU_DEP_1)
	v_rcp_f32_e32 v29, v27
	v_sub_f32_e32 v30, v27, v9
	v_fma_f32 v9, v25, v9, -v30
	s_waitcnt_depctr 0xfff
	v_add_nc_u32_e32 v31, -1, v28
	v_fma_f32 v25, v27, -v29, 1.0
	v_add_nc_u32_e32 v30, 1, v28
	s_delay_alu instid0(VALU_DEP_3) | instskip(NEXT) | instid1(VALU_DEP_3)
	v_fma_f32 v32, -v31, v28, v26
	v_fma_f32 v9, v9, -v29, v25
	s_delay_alu instid0(VALU_DEP_3) | instskip(NEXT) | instid1(VALU_DEP_3)
	v_fma_f32 v25, -v30, v28, v26
	v_cmp_ge_f32_e64 s6, 0, v32
	s_delay_alu instid0(VALU_DEP_3) | instskip(NEXT) | instid1(VALU_DEP_2)
	v_fma_f32 v9, v9, -v29, -v29
	v_cndmask_b32_e64 v28, v28, v31, s6
	s_delay_alu instid0(VALU_DEP_4) | instskip(NEXT) | instid1(VALU_DEP_1)
	v_cmp_lt_f32_e64 s6, 0, v25
	v_cndmask_b32_e64 v25, v28, v30, s6
	v_cmp_eq_u32_e64 s6, 0, v1
	s_delay_alu instid0(VALU_DEP_1) | instskip(NEXT) | instid1(VALU_DEP_3)
	v_cndmask_b32_e64 v1, v9, v27, s6
	v_mul_f32_e32 v9, 0x37800000, v25
	s_delay_alu instid0(VALU_DEP_2) | instskip(NEXT) | instid1(VALU_DEP_2)
	v_xor3_b32 v1, v12, v1, v15
	v_cndmask_b32_e32 v9, v25, v9, vcc_lo
	v_cmp_class_f32_e64 vcc_lo, v26, 0x260
	s_delay_alu instid0(VALU_DEP_3) | instskip(NEXT) | instid1(VALU_DEP_3)
	v_fma_f32 v12, v1, v1, 1.0
	v_cndmask_b32_e32 v9, v9, v26, vcc_lo
	s_delay_alu instid0(VALU_DEP_2) | instskip(NEXT) | instid1(VALU_DEP_2)
	v_mul_f32_e32 v15, v16, v12
	v_mul_f32_e32 v9, v9, v12
	s_delay_alu instid0(VALU_DEP_2) | instskip(NEXT) | instid1(VALU_DEP_2)
	v_fma_f32 v12, v16, v15, 1.0
	v_mul_f32_e32 v9, v16, v9
	s_delay_alu instid0(VALU_DEP_2) | instskip(NEXT) | instid1(VALU_DEP_2)
	v_div_scale_f32 v16, null, v12, v12, v1
	v_div_scale_f32 v15, null, v12, v12, v9
	v_div_scale_f32 v29, vcc_lo, v9, v12, v9
	s_delay_alu instid0(VALU_DEP_3) | instskip(NEXT) | instid1(VALU_DEP_2)
	v_rcp_f32_e32 v26, v16
	v_rcp_f32_e32 v25, v15
	s_waitcnt_depctr 0xfff
	v_fma_f32 v28, -v16, v26, 1.0
	v_fma_f32 v27, -v15, v25, 1.0
	s_delay_alu instid0(VALU_DEP_1) | instskip(SKIP_1) | instid1(VALU_DEP_2)
	v_dual_fmac_f32 v26, v28, v26 :: v_dual_fmac_f32 v25, v27, v25
	v_div_scale_f32 v27, s6, v1, v12, v1
	v_mul_f32_e32 v28, v29, v25
	s_delay_alu instid0(VALU_DEP_2) | instskip(NEXT) | instid1(VALU_DEP_2)
	v_mul_f32_e32 v30, v27, v26
	v_fma_f32 v31, -v15, v28, v29
	s_delay_alu instid0(VALU_DEP_2) | instskip(NEXT) | instid1(VALU_DEP_2)
	v_fma_f32 v32, -v16, v30, v27
	v_fmac_f32_e32 v28, v31, v25
	s_delay_alu instid0(VALU_DEP_2) | instskip(NEXT) | instid1(VALU_DEP_2)
	v_fmac_f32_e32 v30, v32, v26
	v_fma_f32 v15, -v15, v28, v29
	s_delay_alu instid0(VALU_DEP_2) | instskip(NEXT) | instid1(VALU_DEP_2)
	v_fma_f32 v16, -v16, v30, v27
	v_div_fmas_f32 v15, v15, v25, v28
	s_mov_b32 vcc_lo, s6
	s_delay_alu instid0(VALU_DEP_2) | instskip(NEXT) | instid1(VALU_DEP_2)
	v_div_fmas_f32 v16, v16, v26, v30
	v_div_fixup_f32 v25, v15, v12, v9
                                        ; implicit-def: $vgpr15
	s_delay_alu instid0(VALU_DEP_2)
	v_div_fixup_f32 v9, v16, v12, v1
                                        ; implicit-def: $vgpr12
.LBB101_20:                             ;   in Loop: Header=BB101_4 Depth=1
	s_and_not1_saveexec_b32 s31, s31
	s_cbranch_execz .LBB101_23
; %bb.21:                               ;   in Loop: Header=BB101_4 Depth=1
	v_lshrrev_b32_e32 v1, 23, v12
	v_cmp_ngt_f32_e64 s33, 0x48000000, |v15|
	v_and_or_b32 v26, v12, s23, 0x800000
                                        ; implicit-def: $vgpr25
                                        ; implicit-def: $vgpr9
	s_delay_alu instid0(VALU_DEP_3) | instskip(NEXT) | instid1(VALU_DEP_3)
	v_add_nc_u32_e32 v27, 0xffffff88, v1
	s_and_saveexec_b32 s6, s33
	s_delay_alu instid0(SALU_CYCLE_1)
	s_xor_b32 s34, exec_lo, s6
	s_cbranch_execz .LBB101_24
; %bb.22:                               ;   in Loop: Header=BB101_4 Depth=1
	v_mad_u64_u32 v[28:29], null, 0xfe5163ab, v26, 0
	v_cmp_lt_u32_e32 vcc_lo, 63, v27
	v_cndmask_b32_e64 v9, 0, 0xffffffc0, vcc_lo
	s_delay_alu instid0(VALU_DEP_3) | instskip(NEXT) | instid1(VALU_DEP_2)
	v_mov_b32_e32 v1, v29
	v_add_nc_u32_e32 v9, v9, v27
	s_delay_alu instid0(VALU_DEP_2) | instskip(NEXT) | instid1(VALU_DEP_2)
	v_mad_u64_u32 v[29:30], null, 0x3c439041, v26, v[1:2]
	v_cmp_lt_u32_e64 s6, 31, v9
	s_delay_alu instid0(VALU_DEP_2) | instskip(NEXT) | instid1(VALU_DEP_2)
	v_mov_b32_e32 v1, v30
	v_cndmask_b32_e64 v25, 0, 0xffffffe0, s6
	s_delay_alu instid0(VALU_DEP_2) | instskip(NEXT) | instid1(VALU_DEP_2)
	v_mad_u64_u32 v[30:31], null, 0xdb629599, v26, v[1:2]
	v_add_nc_u32_e32 v9, v25, v9
	s_delay_alu instid0(VALU_DEP_1) | instskip(NEXT) | instid1(VALU_DEP_3)
	v_cmp_lt_u32_e64 s7, 31, v9
	v_dual_mov_b32 v1, v31 :: v_dual_cndmask_b32 v28, v30, v28
	s_delay_alu instid0(VALU_DEP_1) | instskip(NEXT) | instid1(VALU_DEP_1)
	v_mad_u64_u32 v[31:32], null, 0xf534ddc0, v26, v[1:2]
	v_mov_b32_e32 v1, v32
	s_delay_alu instid0(VALU_DEP_1) | instskip(NEXT) | instid1(VALU_DEP_1)
	v_mad_u64_u32 v[32:33], null, 0xfc2757d1, v26, v[1:2]
	v_mov_b32_e32 v1, v33
	;; [unrolled: 3-line block ×3, first 2 shown]
	s_delay_alu instid0(VALU_DEP_2) | instskip(NEXT) | instid1(VALU_DEP_2)
	v_cndmask_b32_e32 v25, v33, v31, vcc_lo
	v_mad_u64_u32 v[34:35], null, 0xa2f9836e, v26, v[1:2]
	v_cndmask_b32_e64 v1, 0, 0xffffffe0, s7
	s_delay_alu instid0(VALU_DEP_1) | instskip(NEXT) | instid1(VALU_DEP_3)
	v_dual_cndmask_b32 v34, v34, v32 :: v_dual_add_nc_u32 v1, v1, v9
	v_dual_cndmask_b32 v33, v35, v33 :: v_dual_cndmask_b32 v32, v32, v30
	v_cndmask_b32_e32 v9, v31, v29, vcc_lo
	s_delay_alu instid0(VALU_DEP_3) | instskip(NEXT) | instid1(VALU_DEP_4)
	v_cmp_eq_u32_e64 s8, 0, v1
	v_cndmask_b32_e64 v29, v34, v25, s6
	s_delay_alu instid0(VALU_DEP_4)
	v_cndmask_b32_e64 v31, v33, v34, s6
	v_cndmask_b32_e64 v25, v25, v32, s6
	v_sub_nc_u32_e32 v33, 32, v1
	v_cndmask_b32_e64 v32, v32, v9, s6
	v_cndmask_b32_e64 v9, v9, v28, s6
	;; [unrolled: 1-line block ×4, first 2 shown]
	s_delay_alu instid0(VALU_DEP_4) | instskip(NEXT) | instid1(VALU_DEP_4)
	v_cndmask_b32_e64 v25, v25, v32, s7
	v_cndmask_b32_e64 v9, v32, v9, s7
	s_delay_alu instid0(VALU_DEP_3) | instskip(NEXT) | instid1(VALU_DEP_3)
	v_alignbit_b32 v34, v31, v29, v33
	v_alignbit_b32 v35, v29, v25, v33
	s_delay_alu instid0(VALU_DEP_3) | instskip(NEXT) | instid1(VALU_DEP_3)
	v_alignbit_b32 v33, v25, v9, v33
	v_cndmask_b32_e64 v1, v34, v31, s8
	s_delay_alu instid0(VALU_DEP_3) | instskip(NEXT) | instid1(VALU_DEP_3)
	v_cndmask_b32_e64 v29, v35, v29, s8
	v_cndmask_b32_e64 v25, v33, v25, s8
	s_delay_alu instid0(VALU_DEP_3) | instskip(NEXT) | instid1(VALU_DEP_3)
	v_bfe_u32 v30, v1, 29, 1
	v_alignbit_b32 v28, v1, v29, 30
	s_delay_alu instid0(VALU_DEP_3) | instskip(SKIP_1) | instid1(VALU_DEP_4)
	v_alignbit_b32 v29, v29, v25, 30
	v_alignbit_b32 v9, v25, v9, 30
	v_sub_nc_u32_e32 v31, 0, v30
	s_delay_alu instid0(VALU_DEP_1) | instskip(SKIP_3) | instid1(VALU_DEP_4)
	v_xor_b32_e32 v32, v28, v31
	v_cmp_ne_u32_e32 vcc_lo, v28, v31
	v_xor_b32_e32 v25, v29, v31
	v_xor_b32_e32 v9, v9, v31
	v_clz_i32_u32_e32 v34, v32
	s_delay_alu instid0(VALU_DEP_1) | instskip(NEXT) | instid1(VALU_DEP_1)
	v_add_nc_u32_e32 v33, 1, v34
	v_cndmask_b32_e32 v28, 33, v33, vcc_lo
	s_delay_alu instid0(VALU_DEP_1) | instskip(NEXT) | instid1(VALU_DEP_1)
	v_sub_nc_u32_e32 v29, 32, v28
	v_alignbit_b32 v31, v32, v25, v29
	v_alignbit_b32 v9, v25, v9, v29
	v_lshrrev_b32_e32 v25, 29, v1
	v_lshrrev_b32_e32 v1, 30, v1
	s_delay_alu instid0(VALU_DEP_3) | instskip(NEXT) | instid1(VALU_DEP_3)
	v_alignbit_b32 v29, v31, v9, 9
	v_lshlrev_b32_e32 v25, 31, v25
	v_alignbit_b32 v31, v28, v31, 9
	s_delay_alu instid0(VALU_DEP_3) | instskip(NEXT) | instid1(VALU_DEP_2)
	v_clz_i32_u32_e32 v32, v29
	v_or_b32_e32 v31, v31, v25
	v_or_b32_e32 v25, 0x33800000, v25
	s_delay_alu instid0(VALU_DEP_3) | instskip(NEXT) | instid1(VALU_DEP_3)
	v_min_u32_e32 v32, 32, v32
	v_xor_b32_e32 v31, 1.0, v31
	s_delay_alu instid0(VALU_DEP_2) | instskip(SKIP_1) | instid1(VALU_DEP_3)
	v_sub_nc_u32_e32 v33, 31, v32
	v_add_lshl_u32 v28, v32, v28, 23
	v_mul_f32_e32 v32, 0x3fc90fda, v31
	s_delay_alu instid0(VALU_DEP_3) | instskip(NEXT) | instid1(VALU_DEP_3)
	v_alignbit_b32 v9, v29, v9, v33
	v_sub_nc_u32_e32 v25, v25, v28
	s_delay_alu instid0(VALU_DEP_3) | instskip(NEXT) | instid1(VALU_DEP_3)
	v_fma_f32 v28, 0x3fc90fda, v31, -v32
	v_lshrrev_b32_e32 v9, 9, v9
	s_delay_alu instid0(VALU_DEP_2) | instskip(NEXT) | instid1(VALU_DEP_2)
	v_fmac_f32_e32 v28, 0x33a22168, v31
	v_or_b32_e32 v9, v25, v9
	v_add_nc_u32_e32 v25, v30, v1
	s_delay_alu instid0(VALU_DEP_2) | instskip(NEXT) | instid1(VALU_DEP_1)
	v_fmac_f32_e32 v28, 0x3fc90fda, v9
	v_add_f32_e32 v9, v32, v28
	s_and_not1_saveexec_b32 s6, s34
	s_branch .LBB101_25
.LBB101_23:                             ;   in Loop: Header=BB101_4 Depth=1
	s_or_b32 exec_lo, exec_lo, s31
                                        ; implicit-def: $vgpr15
	s_and_not1_saveexec_b32 s6, s30
	s_cbranch_execnz .LBB101_32
	s_branch .LBB101_33
.LBB101_24:                             ;   in Loop: Header=BB101_4 Depth=1
	s_and_not1_saveexec_b32 s6, s34
.LBB101_25:                             ;   in Loop: Header=BB101_4 Depth=1
	v_mul_f32_e64 v1, 0x3f22f983, |v15|
	s_delay_alu instid0(VALU_DEP_1) | instskip(NEXT) | instid1(VALU_DEP_1)
	v_rndne_f32_e32 v1, v1
	v_fma_f32 v9, 0xbfc90fda, v1, |v15|
	v_cvt_i32_f32_e32 v25, v1
	s_delay_alu instid0(VALU_DEP_2) | instskip(NEXT) | instid1(VALU_DEP_1)
	v_fmac_f32_e32 v9, 0xb3a22168, v1
	v_fmac_f32_e32 v9, 0xa7c234c4, v1
; %bb.26:                               ;   in Loop: Header=BB101_4 Depth=1
	s_or_b32 exec_lo, exec_lo, s6
                                        ; implicit-def: $vgpr28
                                        ; implicit-def: $vgpr1
	s_and_saveexec_b32 s6, s33
	s_delay_alu instid0(SALU_CYCLE_1)
	s_xor_b32 s33, exec_lo, s6
	s_cbranch_execz .LBB101_28
; %bb.27:                               ;   in Loop: Header=BB101_4 Depth=1
	v_mad_u64_u32 v[28:29], null, 0xfe5163ab, v26, 0
	v_cmp_lt_u32_e32 vcc_lo, 63, v27
	v_cndmask_b32_e64 v34, 0, 0xffffffc0, vcc_lo
	s_delay_alu instid0(VALU_DEP_3) | instskip(NEXT) | instid1(VALU_DEP_2)
	v_mov_b32_e32 v1, v29
	v_add_nc_u32_e32 v27, v34, v27
	s_delay_alu instid0(VALU_DEP_2) | instskip(NEXT) | instid1(VALU_DEP_2)
	v_mad_u64_u32 v[29:30], null, 0x3c439041, v26, v[1:2]
	v_cmp_lt_u32_e64 s6, 31, v27
	s_delay_alu instid0(VALU_DEP_2) | instskip(NEXT) | instid1(VALU_DEP_2)
	v_mov_b32_e32 v1, v30
	v_cndmask_b32_e64 v35, 0, 0xffffffe0, s6
	s_delay_alu instid0(VALU_DEP_2) | instskip(NEXT) | instid1(VALU_DEP_2)
	v_mad_u64_u32 v[30:31], null, 0xdb629599, v26, v[1:2]
	v_add_nc_u32_e32 v27, v35, v27
	s_delay_alu instid0(VALU_DEP_1) | instskip(NEXT) | instid1(VALU_DEP_3)
	v_cmp_lt_u32_e64 s7, 31, v27
	v_dual_mov_b32 v1, v31 :: v_dual_cndmask_b32 v28, v30, v28
	s_delay_alu instid0(VALU_DEP_1) | instskip(NEXT) | instid1(VALU_DEP_1)
	v_mad_u64_u32 v[31:32], null, 0xf534ddc0, v26, v[1:2]
	v_mov_b32_e32 v1, v32
	s_delay_alu instid0(VALU_DEP_1) | instskip(NEXT) | instid1(VALU_DEP_1)
	v_mad_u64_u32 v[32:33], null, 0xfc2757d1, v26, v[1:2]
	v_mov_b32_e32 v1, v33
	;; [unrolled: 3-line block ×3, first 2 shown]
	s_delay_alu instid0(VALU_DEP_1) | instskip(SKIP_1) | instid1(VALU_DEP_4)
	v_mad_u64_u32 v[34:35], null, 0xa2f9836e, v26, v[1:2]
	v_cndmask_b32_e64 v1, 0, 0xffffffe0, s7
	v_cndmask_b32_e32 v26, v33, v31, vcc_lo
	s_delay_alu instid0(VALU_DEP_2) | instskip(NEXT) | instid1(VALU_DEP_4)
	v_dual_cndmask_b32 v34, v34, v32 :: v_dual_add_nc_u32 v1, v1, v27
	v_dual_cndmask_b32 v33, v35, v33 :: v_dual_cndmask_b32 v32, v32, v30
	v_cndmask_b32_e32 v27, v31, v29, vcc_lo
	s_delay_alu instid0(VALU_DEP_3) | instskip(NEXT) | instid1(VALU_DEP_4)
	v_cmp_eq_u32_e64 s8, 0, v1
	v_cndmask_b32_e64 v29, v34, v26, s6
	s_delay_alu instid0(VALU_DEP_4)
	v_cndmask_b32_e64 v31, v33, v34, s6
	v_cndmask_b32_e64 v26, v26, v32, s6
	v_sub_nc_u32_e32 v33, 32, v1
	v_cndmask_b32_e64 v32, v32, v27, s6
	v_cndmask_b32_e64 v27, v27, v28, s6
	;; [unrolled: 1-line block ×4, first 2 shown]
	s_delay_alu instid0(VALU_DEP_4) | instskip(NEXT) | instid1(VALU_DEP_4)
	v_cndmask_b32_e64 v26, v26, v32, s7
	v_cndmask_b32_e64 v27, v32, v27, s7
	s_delay_alu instid0(VALU_DEP_3) | instskip(NEXT) | instid1(VALU_DEP_3)
	v_alignbit_b32 v34, v31, v29, v33
	v_alignbit_b32 v35, v29, v26, v33
	s_delay_alu instid0(VALU_DEP_3) | instskip(NEXT) | instid1(VALU_DEP_3)
	v_alignbit_b32 v33, v26, v27, v33
	v_cndmask_b32_e64 v1, v34, v31, s8
	s_delay_alu instid0(VALU_DEP_3) | instskip(NEXT) | instid1(VALU_DEP_3)
	v_cndmask_b32_e64 v29, v35, v29, s8
	v_cndmask_b32_e64 v26, v33, v26, s8
	s_delay_alu instid0(VALU_DEP_3) | instskip(NEXT) | instid1(VALU_DEP_3)
	v_bfe_u32 v30, v1, 29, 1
	v_alignbit_b32 v28, v1, v29, 30
	s_delay_alu instid0(VALU_DEP_3) | instskip(SKIP_1) | instid1(VALU_DEP_4)
	v_alignbit_b32 v29, v29, v26, 30
	v_alignbit_b32 v26, v26, v27, 30
	v_sub_nc_u32_e32 v31, 0, v30
	s_delay_alu instid0(VALU_DEP_1) | instskip(SKIP_3) | instid1(VALU_DEP_4)
	v_xor_b32_e32 v32, v28, v31
	v_cmp_ne_u32_e32 vcc_lo, v28, v31
	v_xor_b32_e32 v27, v29, v31
	v_xor_b32_e32 v26, v26, v31
	v_clz_i32_u32_e32 v34, v32
	s_delay_alu instid0(VALU_DEP_1) | instskip(NEXT) | instid1(VALU_DEP_1)
	v_add_nc_u32_e32 v33, 1, v34
	v_cndmask_b32_e32 v28, 33, v33, vcc_lo
	s_delay_alu instid0(VALU_DEP_1) | instskip(NEXT) | instid1(VALU_DEP_1)
	v_sub_nc_u32_e32 v29, 32, v28
	v_alignbit_b32 v31, v32, v27, v29
	v_alignbit_b32 v26, v27, v26, v29
	v_lshrrev_b32_e32 v27, 29, v1
	s_delay_alu instid0(VALU_DEP_2) | instskip(NEXT) | instid1(VALU_DEP_2)
	v_alignbit_b32 v29, v31, v26, 9
	v_lshlrev_b32_e32 v27, 31, v27
	v_alignbit_b32 v31, v28, v31, 9
	s_delay_alu instid0(VALU_DEP_3) | instskip(NEXT) | instid1(VALU_DEP_2)
	v_clz_i32_u32_e32 v32, v29
	v_or_b32_e32 v31, v31, v27
	v_or_b32_e32 v27, 0x33800000, v27
	s_delay_alu instid0(VALU_DEP_3) | instskip(NEXT) | instid1(VALU_DEP_3)
	v_min_u32_e32 v32, 32, v32
	v_xor_b32_e32 v31, 1.0, v31
	s_delay_alu instid0(VALU_DEP_2) | instskip(SKIP_1) | instid1(VALU_DEP_3)
	v_sub_nc_u32_e32 v33, 31, v32
	v_add_lshl_u32 v28, v32, v28, 23
	v_mul_f32_e32 v32, 0x3fc90fda, v31
	s_delay_alu instid0(VALU_DEP_3) | instskip(NEXT) | instid1(VALU_DEP_3)
	v_alignbit_b32 v26, v29, v26, v33
	v_sub_nc_u32_e32 v27, v27, v28
	s_delay_alu instid0(VALU_DEP_3) | instskip(NEXT) | instid1(VALU_DEP_3)
	v_fma_f32 v28, 0x3fc90fda, v31, -v32
	v_lshrrev_b32_e32 v26, 9, v26
	s_delay_alu instid0(VALU_DEP_2) | instskip(NEXT) | instid1(VALU_DEP_2)
	v_fmac_f32_e32 v28, 0x33a22168, v31
	v_or_b32_e32 v26, v27, v26
	s_delay_alu instid0(VALU_DEP_1) | instskip(SKIP_1) | instid1(VALU_DEP_1)
	v_fmac_f32_e32 v28, 0x3fc90fda, v26
	v_lshrrev_b32_e32 v26, 30, v1
	v_dual_add_f32 v1, v32, v28 :: v_dual_add_nc_u32 v28, v30, v26
	s_and_not1_saveexec_b32 s6, s33
	s_cbranch_execnz .LBB101_29
	s_branch .LBB101_30
.LBB101_28:                             ;   in Loop: Header=BB101_4 Depth=1
	s_and_not1_saveexec_b32 s6, s33
.LBB101_29:                             ;   in Loop: Header=BB101_4 Depth=1
	v_mul_f32_e64 v1, 0x3f22f983, |v15|
	s_delay_alu instid0(VALU_DEP_1) | instskip(NEXT) | instid1(VALU_DEP_1)
	v_rndne_f32_e32 v26, v1
	v_fma_f32 v1, 0xbfc90fda, v26, |v15|
	v_cvt_i32_f32_e32 v28, v26
	s_delay_alu instid0(VALU_DEP_2) | instskip(NEXT) | instid1(VALU_DEP_1)
	v_fmac_f32_e32 v1, 0xb3a22168, v26
	v_fmac_f32_e32 v1, 0xa7c234c4, v26
.LBB101_30:                             ;   in Loop: Header=BB101_4 Depth=1
	s_or_b32 exec_lo, exec_lo, s6
	s_delay_alu instid0(VALU_DEP_1) | instskip(SKIP_2) | instid1(VALU_DEP_3)
	v_mul_f32_e32 v32, v1, v1
	v_mul_f32_e32 v26, v9, v9
	v_mul_f32_e64 v29, 0xbfb8aa3b, |v16|
	v_fmaak_f32 v35, s27, v32, 0x3c0881c4
	s_delay_alu instid0(VALU_DEP_3)
	v_dual_fmaak_f32 v30, s27, v26, 0x3c0881c4 :: v_dual_and_b32 v27, 1, v25
	v_lshlrev_b32_e32 v25, 30, v25
	v_dual_fmaak_f32 v31, s28, v26, 0xbab64f3b :: v_dual_fmaak_f32 v36, s28, v32, 0xbab64f3b
	v_rndne_f32_e32 v33, v29
	v_fma_f32 v34, 0xbfb8aa3b, |v16|, -v29
	v_fmaak_f32 v30, v26, v30, 0xbe2aaa9d
	s_delay_alu instid0(VALU_DEP_4)
	v_fmaak_f32 v31, v26, v31, 0x3d2aabf7
	v_fmaak_f32 v35, v32, v35, 0xbe2aaa9d
	v_sub_f32_e32 v29, v29, v33
	v_fma_f32 v34, 0xb2a5705f, |v16|, v34
	v_mul_f32_e32 v30, v26, v30
	v_cmp_eq_u32_e32 vcc_lo, 0, v27
	v_and_b32_e32 v25, 0x80000000, v25
	v_and_b32_e32 v27, 1, v28
	v_add_f32_e32 v29, v29, v34
	v_dual_fmac_f32 v9, v9, v30 :: v_dual_fmaak_f32 v30, v32, v36, 0x3d2aabf7
	v_dual_fmaak_f32 v31, v26, v31, 0xbf000004 :: v_dual_lshlrev_b32 v28, 30, v28
	s_delay_alu instid0(VALU_DEP_3) | instskip(SKIP_2) | instid1(VALU_DEP_3)
	v_exp_f32_e32 v29, v29
	v_xor_b32_e32 v12, v12, v25
	v_cvt_i32_f32_e32 v25, v33
	v_fma_f32 v26, v26, v31, 1.0
	v_mul_f32_e32 v31, v32, v35
	s_delay_alu instid0(VALU_DEP_2) | instskip(NEXT) | instid1(VALU_DEP_2)
	v_dual_cndmask_b32 v9, v26, v9 :: v_dual_fmaak_f32 v26, v32, v30, 0xbf000004
	v_fmac_f32_e32 v1, v1, v31
	v_cmp_eq_u32_e32 vcc_lo, 0, v27
	s_delay_alu instid0(VALU_DEP_3) | instskip(NEXT) | instid1(VALU_DEP_4)
	v_xor3_b32 v9, v12, v9, v15
	v_fma_f32 v26, v32, v26, 1.0
	v_ldexp_f32 v12, v29, v25
	v_and_b32_e32 v15, 0x80000000, v28
	s_delay_alu instid0(VALU_DEP_4) | instskip(NEXT) | instid1(VALU_DEP_4)
	v_mul_f32_e32 v9, 4.0, v9
	v_cndmask_b32_e64 v1, -v1, v26, vcc_lo
	v_cmp_nlt_f32_e64 vcc_lo, 0x42ce8ed0, |v16|
	s_delay_alu instid0(VALU_DEP_2) | instskip(SKIP_2) | instid1(VALU_DEP_3)
	v_xor_b32_e32 v1, v15, v1
	v_cndmask_b32_e32 v12, 0, v12, vcc_lo
	v_cmp_ngt_f32_e64 vcc_lo, 0xc2b17218, |v16|
	v_mul_f32_e32 v1, v9, v1
	v_xor_b32_e32 v9, 0x80000000, v16
	s_delay_alu instid0(VALU_DEP_4) | instskip(NEXT) | instid1(VALU_DEP_2)
	v_cndmask_b32_e32 v12, 0x7f800000, v12, vcc_lo
	v_bfi_b32 v25, 0x7fffffff, 1.0, v9
	s_delay_alu instid0(VALU_DEP_2) | instskip(NEXT) | instid1(VALU_DEP_1)
	v_mul_f32_e32 v1, v12, v1
	v_mul_f32_e32 v9, v12, v1
	s_or_b32 exec_lo, exec_lo, s31
                                        ; implicit-def: $vgpr15
.LBB101_31:                             ;   in Loop: Header=BB101_4 Depth=1
	s_and_not1_saveexec_b32 s6, s30
.LBB101_32:                             ;   in Loop: Header=BB101_4 Depth=1
	v_sub_f32_e32 v9, v15, v15
	s_delay_alu instid0(VALU_DEP_1)
	v_mov_b32_e32 v25, v9
.LBB101_33:                             ;   in Loop: Header=BB101_4 Depth=1
	s_or_b32 exec_lo, exec_lo, s6
                                        ; implicit-def: $vgpr16
.LBB101_34:                             ;   in Loop: Header=BB101_4 Depth=1
	s_and_not1_saveexec_b32 s29, s29
	s_cbranch_execz .LBB101_50
; %bb.35:                               ;   in Loop: Header=BB101_4 Depth=1
	v_xor_b32_e32 v25, 0x80000000, v16
	s_mov_b32 s6, exec_lo
                                        ; implicit-def: $vgpr9
	s_delay_alu instid0(VALU_DEP_1) | instskip(NEXT) | instid1(VALU_DEP_1)
	v_and_b32_e32 v1, 0x7fffff, v25
	v_cmpx_ne_u32_e32 0, v1
	s_xor_b32 s6, exec_lo, s6
; %bb.36:                               ;   in Loop: Header=BB101_4 Depth=1
	v_mul_f32_e64 v1, v15, -v16
	v_cmp_eq_f32_e32 vcc_lo, 0, v15
	s_delay_alu instid0(VALU_DEP_2)
	v_cndmask_b32_e32 v9, v1, v15, vcc_lo
                                        ; implicit-def: $vgpr15
; %bb.37:                               ;   in Loop: Header=BB101_4 Depth=1
	s_and_not1_saveexec_b32 s30, s6
	s_cbranch_execz .LBB101_49
; %bb.38:                               ;   in Loop: Header=BB101_4 Depth=1
	s_mov_b32 s31, exec_lo
	v_cmpx_neq_f32_e64 0x7f800000, |v15|
	s_cbranch_execz .LBB101_48
; %bb.39:                               ;   in Loop: Header=BB101_4 Depth=1
	v_and_b32_e32 v9, 0x7fffffff, v15
	v_cmp_ngt_f32_e64 s33, 0x48000000, |v15|
                                        ; implicit-def: $vgpr16
                                        ; implicit-def: $vgpr12
	s_delay_alu instid0(VALU_DEP_2) | instskip(SKIP_1) | instid1(VALU_DEP_2)
	v_lshrrev_b32_e32 v1, 23, v9
	v_and_or_b32 v26, v9, s23, 0x800000
	v_add_nc_u32_e32 v27, 0xffffff88, v1
	s_delay_alu instid0(VALU_DEP_4) | instskip(NEXT) | instid1(SALU_CYCLE_1)
	s_and_saveexec_b32 s6, s33
	s_xor_b32 s34, exec_lo, s6
	s_cbranch_execz .LBB101_41
; %bb.40:                               ;   in Loop: Header=BB101_4 Depth=1
	v_mad_u64_u32 v[28:29], null, 0xfe5163ab, v26, 0
	v_cmp_lt_u32_e32 vcc_lo, 63, v27
	v_cndmask_b32_e64 v12, 0, 0xffffffc0, vcc_lo
	s_delay_alu instid0(VALU_DEP_1) | instskip(NEXT) | instid1(VALU_DEP_1)
	v_dual_mov_b32 v1, v29 :: v_dual_add_nc_u32 v12, v12, v27
	v_mad_u64_u32 v[29:30], null, 0x3c439041, v26, v[1:2]
	s_delay_alu instid0(VALU_DEP_2) | instskip(NEXT) | instid1(VALU_DEP_1)
	v_cmp_lt_u32_e64 s6, 31, v12
	v_cndmask_b32_e64 v16, 0, 0xffffffe0, s6
	s_delay_alu instid0(VALU_DEP_1) | instskip(NEXT) | instid1(VALU_DEP_1)
	v_dual_mov_b32 v1, v30 :: v_dual_add_nc_u32 v12, v16, v12
	v_mad_u64_u32 v[30:31], null, 0xdb629599, v26, v[1:2]
	s_delay_alu instid0(VALU_DEP_2) | instskip(NEXT) | instid1(VALU_DEP_2)
	v_cmp_lt_u32_e64 s7, 31, v12
	v_dual_mov_b32 v1, v31 :: v_dual_cndmask_b32 v28, v30, v28
	s_delay_alu instid0(VALU_DEP_1) | instskip(NEXT) | instid1(VALU_DEP_1)
	v_mad_u64_u32 v[31:32], null, 0xf534ddc0, v26, v[1:2]
	v_mov_b32_e32 v1, v32
	s_delay_alu instid0(VALU_DEP_1) | instskip(NEXT) | instid1(VALU_DEP_1)
	v_mad_u64_u32 v[32:33], null, 0xfc2757d1, v26, v[1:2]
	v_mov_b32_e32 v1, v33
	s_delay_alu instid0(VALU_DEP_1) | instskip(NEXT) | instid1(VALU_DEP_1)
	v_mad_u64_u32 v[33:34], null, 0x4e441529, v26, v[1:2]
	v_dual_mov_b32 v1, v34 :: v_dual_cndmask_b32 v16, v33, v31
	s_delay_alu instid0(VALU_DEP_1) | instskip(SKIP_1) | instid1(VALU_DEP_1)
	v_mad_u64_u32 v[34:35], null, 0xa2f9836e, v26, v[1:2]
	v_cndmask_b32_e64 v1, 0, 0xffffffe0, s7
	v_add_nc_u32_e32 v1, v1, v12
	s_delay_alu instid0(VALU_DEP_3) | instskip(SKIP_2) | instid1(VALU_DEP_4)
	v_dual_cndmask_b32 v34, v34, v32 :: v_dual_cndmask_b32 v33, v35, v33
	v_cndmask_b32_e32 v32, v32, v30, vcc_lo
	v_cndmask_b32_e32 v12, v31, v29, vcc_lo
	v_cmp_eq_u32_e64 s8, 0, v1
	s_delay_alu instid0(VALU_DEP_4)
	v_cndmask_b32_e64 v29, v34, v16, s6
	v_cndmask_b32_e64 v31, v33, v34, s6
	;; [unrolled: 1-line block ×3, first 2 shown]
	v_sub_nc_u32_e32 v33, 32, v1
	v_cndmask_b32_e64 v32, v32, v12, s6
	v_cndmask_b32_e64 v12, v12, v28, s6
	;; [unrolled: 1-line block ×4, first 2 shown]
	s_delay_alu instid0(VALU_DEP_4) | instskip(NEXT) | instid1(VALU_DEP_4)
	v_cndmask_b32_e64 v16, v16, v32, s7
	v_cndmask_b32_e64 v12, v32, v12, s7
	s_delay_alu instid0(VALU_DEP_3) | instskip(NEXT) | instid1(VALU_DEP_3)
	v_alignbit_b32 v34, v31, v29, v33
	v_alignbit_b32 v35, v29, v16, v33
	s_delay_alu instid0(VALU_DEP_3) | instskip(NEXT) | instid1(VALU_DEP_3)
	v_alignbit_b32 v33, v16, v12, v33
	v_cndmask_b32_e64 v1, v34, v31, s8
	s_delay_alu instid0(VALU_DEP_3) | instskip(NEXT) | instid1(VALU_DEP_3)
	v_cndmask_b32_e64 v29, v35, v29, s8
	v_cndmask_b32_e64 v16, v33, v16, s8
	s_delay_alu instid0(VALU_DEP_3) | instskip(NEXT) | instid1(VALU_DEP_3)
	v_bfe_u32 v30, v1, 29, 1
	v_alignbit_b32 v28, v1, v29, 30
	s_delay_alu instid0(VALU_DEP_3) | instskip(SKIP_1) | instid1(VALU_DEP_4)
	v_alignbit_b32 v29, v29, v16, 30
	v_alignbit_b32 v12, v16, v12, 30
	v_sub_nc_u32_e32 v31, 0, v30
	s_delay_alu instid0(VALU_DEP_1) | instskip(SKIP_3) | instid1(VALU_DEP_4)
	v_xor_b32_e32 v32, v28, v31
	v_cmp_ne_u32_e32 vcc_lo, v28, v31
	v_xor_b32_e32 v16, v29, v31
	v_xor_b32_e32 v12, v12, v31
	v_clz_i32_u32_e32 v34, v32
	s_delay_alu instid0(VALU_DEP_1) | instskip(NEXT) | instid1(VALU_DEP_1)
	v_add_nc_u32_e32 v33, 1, v34
	v_cndmask_b32_e32 v28, 33, v33, vcc_lo
	s_delay_alu instid0(VALU_DEP_1) | instskip(NEXT) | instid1(VALU_DEP_1)
	v_sub_nc_u32_e32 v29, 32, v28
	v_alignbit_b32 v31, v32, v16, v29
	v_alignbit_b32 v12, v16, v12, v29
	v_lshrrev_b32_e32 v16, 29, v1
	v_lshrrev_b32_e32 v1, 30, v1
	s_delay_alu instid0(VALU_DEP_3) | instskip(NEXT) | instid1(VALU_DEP_3)
	v_alignbit_b32 v29, v31, v12, 9
	v_lshlrev_b32_e32 v16, 31, v16
	v_alignbit_b32 v31, v28, v31, 9
	s_delay_alu instid0(VALU_DEP_3) | instskip(NEXT) | instid1(VALU_DEP_2)
	v_clz_i32_u32_e32 v32, v29
	v_or_b32_e32 v31, v31, v16
	v_or_b32_e32 v16, 0x33800000, v16
	s_delay_alu instid0(VALU_DEP_3) | instskip(NEXT) | instid1(VALU_DEP_3)
	v_min_u32_e32 v32, 32, v32
	v_xor_b32_e32 v31, 1.0, v31
	s_delay_alu instid0(VALU_DEP_2) | instskip(SKIP_1) | instid1(VALU_DEP_3)
	v_sub_nc_u32_e32 v33, 31, v32
	v_add_lshl_u32 v28, v32, v28, 23
	v_mul_f32_e32 v32, 0x3fc90fda, v31
	s_delay_alu instid0(VALU_DEP_3) | instskip(NEXT) | instid1(VALU_DEP_3)
	v_alignbit_b32 v12, v29, v12, v33
	v_sub_nc_u32_e32 v16, v16, v28
	s_delay_alu instid0(VALU_DEP_3) | instskip(NEXT) | instid1(VALU_DEP_3)
	v_fma_f32 v28, 0x3fc90fda, v31, -v32
	v_lshrrev_b32_e32 v12, 9, v12
	s_delay_alu instid0(VALU_DEP_2) | instskip(NEXT) | instid1(VALU_DEP_2)
	v_fmac_f32_e32 v28, 0x33a22168, v31
	v_or_b32_e32 v12, v16, v12
	v_add_nc_u32_e32 v16, v30, v1
	s_delay_alu instid0(VALU_DEP_2) | instskip(NEXT) | instid1(VALU_DEP_1)
	v_fmac_f32_e32 v28, 0x3fc90fda, v12
	v_add_f32_e32 v12, v32, v28
.LBB101_41:                             ;   in Loop: Header=BB101_4 Depth=1
	s_or_saveexec_b32 s6, s34
	v_mul_f32_e64 v1, 0x3f22f983, |v15|
	s_delay_alu instid0(VALU_DEP_1)
	v_rndne_f32_e32 v29, v1
	s_xor_b32 exec_lo, exec_lo, s6
; %bb.42:                               ;   in Loop: Header=BB101_4 Depth=1
	s_delay_alu instid0(VALU_DEP_1) | instskip(SKIP_1) | instid1(VALU_DEP_2)
	v_fma_f32 v12, 0xbfc90fda, v29, |v15|
	v_cvt_i32_f32_e32 v16, v29
	v_fmac_f32_e32 v12, 0xb3a22168, v29
	s_delay_alu instid0(VALU_DEP_1)
	v_fmac_f32_e32 v12, 0xa7c234c4, v29
; %bb.43:                               ;   in Loop: Header=BB101_4 Depth=1
	s_or_b32 exec_lo, exec_lo, s6
                                        ; implicit-def: $vgpr28
                                        ; implicit-def: $vgpr1
	s_and_saveexec_b32 s6, s33
	s_delay_alu instid0(SALU_CYCLE_1)
	s_xor_b32 s33, exec_lo, s6
	s_cbranch_execz .LBB101_45
; %bb.44:                               ;   in Loop: Header=BB101_4 Depth=1
	v_mad_u64_u32 v[28:29], null, 0xfe5163ab, v26, 0
	v_cmp_lt_u32_e32 vcc_lo, 63, v27
	v_cndmask_b32_e64 v34, 0, 0xffffffc0, vcc_lo
	s_delay_alu instid0(VALU_DEP_3) | instskip(NEXT) | instid1(VALU_DEP_2)
	v_mov_b32_e32 v1, v29
	v_add_nc_u32_e32 v27, v34, v27
	s_delay_alu instid0(VALU_DEP_2) | instskip(NEXT) | instid1(VALU_DEP_2)
	v_mad_u64_u32 v[29:30], null, 0x3c439041, v26, v[1:2]
	v_cmp_lt_u32_e64 s6, 31, v27
	s_delay_alu instid0(VALU_DEP_2) | instskip(NEXT) | instid1(VALU_DEP_2)
	v_mov_b32_e32 v1, v30
	v_cndmask_b32_e64 v35, 0, 0xffffffe0, s6
	s_delay_alu instid0(VALU_DEP_2) | instskip(NEXT) | instid1(VALU_DEP_2)
	v_mad_u64_u32 v[30:31], null, 0xdb629599, v26, v[1:2]
	v_add_nc_u32_e32 v27, v35, v27
	s_delay_alu instid0(VALU_DEP_1) | instskip(NEXT) | instid1(VALU_DEP_3)
	v_cmp_lt_u32_e64 s7, 31, v27
	v_dual_mov_b32 v1, v31 :: v_dual_cndmask_b32 v28, v30, v28
	s_delay_alu instid0(VALU_DEP_1) | instskip(NEXT) | instid1(VALU_DEP_1)
	v_mad_u64_u32 v[31:32], null, 0xf534ddc0, v26, v[1:2]
	v_mov_b32_e32 v1, v32
	s_delay_alu instid0(VALU_DEP_1) | instskip(NEXT) | instid1(VALU_DEP_1)
	v_mad_u64_u32 v[32:33], null, 0xfc2757d1, v26, v[1:2]
	v_mov_b32_e32 v1, v33
	;; [unrolled: 3-line block ×3, first 2 shown]
	s_delay_alu instid0(VALU_DEP_1) | instskip(SKIP_1) | instid1(VALU_DEP_4)
	v_mad_u64_u32 v[34:35], null, 0xa2f9836e, v26, v[1:2]
	v_cndmask_b32_e64 v1, 0, 0xffffffe0, s7
	v_cndmask_b32_e32 v26, v33, v31, vcc_lo
	s_delay_alu instid0(VALU_DEP_2) | instskip(NEXT) | instid1(VALU_DEP_4)
	v_dual_cndmask_b32 v34, v34, v32 :: v_dual_add_nc_u32 v1, v1, v27
	v_dual_cndmask_b32 v33, v35, v33 :: v_dual_cndmask_b32 v32, v32, v30
	v_cndmask_b32_e32 v27, v31, v29, vcc_lo
	s_delay_alu instid0(VALU_DEP_3) | instskip(NEXT) | instid1(VALU_DEP_4)
	v_cmp_eq_u32_e64 s8, 0, v1
	v_cndmask_b32_e64 v29, v34, v26, s6
	s_delay_alu instid0(VALU_DEP_4)
	v_cndmask_b32_e64 v31, v33, v34, s6
	v_cndmask_b32_e64 v26, v26, v32, s6
	v_sub_nc_u32_e32 v33, 32, v1
	v_cndmask_b32_e64 v32, v32, v27, s6
	v_cndmask_b32_e64 v27, v27, v28, s6
	;; [unrolled: 1-line block ×4, first 2 shown]
	s_delay_alu instid0(VALU_DEP_4) | instskip(NEXT) | instid1(VALU_DEP_4)
	v_cndmask_b32_e64 v26, v26, v32, s7
	v_cndmask_b32_e64 v27, v32, v27, s7
	s_delay_alu instid0(VALU_DEP_3) | instskip(NEXT) | instid1(VALU_DEP_3)
	v_alignbit_b32 v34, v31, v29, v33
	v_alignbit_b32 v35, v29, v26, v33
	s_delay_alu instid0(VALU_DEP_3) | instskip(NEXT) | instid1(VALU_DEP_3)
	v_alignbit_b32 v33, v26, v27, v33
	v_cndmask_b32_e64 v1, v34, v31, s8
	s_delay_alu instid0(VALU_DEP_3) | instskip(NEXT) | instid1(VALU_DEP_3)
	v_cndmask_b32_e64 v29, v35, v29, s8
	v_cndmask_b32_e64 v26, v33, v26, s8
	s_delay_alu instid0(VALU_DEP_3) | instskip(NEXT) | instid1(VALU_DEP_3)
	v_bfe_u32 v30, v1, 29, 1
	v_alignbit_b32 v28, v1, v29, 30
	s_delay_alu instid0(VALU_DEP_3) | instskip(SKIP_1) | instid1(VALU_DEP_4)
	v_alignbit_b32 v29, v29, v26, 30
	v_alignbit_b32 v26, v26, v27, 30
	v_sub_nc_u32_e32 v31, 0, v30
	s_delay_alu instid0(VALU_DEP_1) | instskip(SKIP_3) | instid1(VALU_DEP_4)
	v_xor_b32_e32 v32, v28, v31
	v_cmp_ne_u32_e32 vcc_lo, v28, v31
	v_xor_b32_e32 v27, v29, v31
	v_xor_b32_e32 v26, v26, v31
	v_clz_i32_u32_e32 v34, v32
	s_delay_alu instid0(VALU_DEP_1) | instskip(NEXT) | instid1(VALU_DEP_1)
	v_add_nc_u32_e32 v33, 1, v34
	v_cndmask_b32_e32 v28, 33, v33, vcc_lo
	s_delay_alu instid0(VALU_DEP_1) | instskip(NEXT) | instid1(VALU_DEP_1)
	v_sub_nc_u32_e32 v29, 32, v28
	v_alignbit_b32 v31, v32, v27, v29
	v_alignbit_b32 v26, v27, v26, v29
	v_lshrrev_b32_e32 v27, 29, v1
	s_delay_alu instid0(VALU_DEP_2) | instskip(NEXT) | instid1(VALU_DEP_2)
	v_alignbit_b32 v29, v31, v26, 9
	v_lshlrev_b32_e32 v27, 31, v27
	v_alignbit_b32 v31, v28, v31, 9
	s_delay_alu instid0(VALU_DEP_3) | instskip(NEXT) | instid1(VALU_DEP_2)
	v_clz_i32_u32_e32 v32, v29
	v_or_b32_e32 v31, v31, v27
	v_or_b32_e32 v27, 0x33800000, v27
	s_delay_alu instid0(VALU_DEP_3) | instskip(NEXT) | instid1(VALU_DEP_3)
	v_min_u32_e32 v32, 32, v32
	v_xor_b32_e32 v31, 1.0, v31
	s_delay_alu instid0(VALU_DEP_2) | instskip(SKIP_1) | instid1(VALU_DEP_3)
	v_sub_nc_u32_e32 v33, 31, v32
	v_add_lshl_u32 v28, v32, v28, 23
	v_mul_f32_e32 v32, 0x3fc90fda, v31
	s_delay_alu instid0(VALU_DEP_3) | instskip(NEXT) | instid1(VALU_DEP_3)
	v_alignbit_b32 v26, v29, v26, v33
	v_sub_nc_u32_e32 v27, v27, v28
	s_delay_alu instid0(VALU_DEP_3) | instskip(NEXT) | instid1(VALU_DEP_3)
	v_fma_f32 v28, 0x3fc90fda, v31, -v32
                                        ; implicit-def: $vgpr29
	v_lshrrev_b32_e32 v26, 9, v26
	s_delay_alu instid0(VALU_DEP_2) | instskip(NEXT) | instid1(VALU_DEP_2)
	v_fmac_f32_e32 v28, 0x33a22168, v31
	v_or_b32_e32 v26, v27, v26
	s_delay_alu instid0(VALU_DEP_1) | instskip(SKIP_1) | instid1(VALU_DEP_1)
	v_fmac_f32_e32 v28, 0x3fc90fda, v26
	v_lshrrev_b32_e32 v26, 30, v1
	v_dual_add_f32 v1, v32, v28 :: v_dual_add_nc_u32 v28, v30, v26
	s_and_not1_saveexec_b32 s6, s33
	s_cbranch_execnz .LBB101_46
	s_branch .LBB101_47
.LBB101_45:                             ;   in Loop: Header=BB101_4 Depth=1
	s_and_not1_saveexec_b32 s6, s33
.LBB101_46:                             ;   in Loop: Header=BB101_4 Depth=1
	v_fma_f32 v1, 0xbfc90fda, v29, |v15|
	v_cvt_i32_f32_e32 v28, v29
	s_delay_alu instid0(VALU_DEP_2) | instskip(NEXT) | instid1(VALU_DEP_1)
	v_fmac_f32_e32 v1, 0xb3a22168, v29
	v_fmac_f32_e32 v1, 0xa7c234c4, v29
.LBB101_47:                             ;   in Loop: Header=BB101_4 Depth=1
	s_or_b32 exec_lo, exec_lo, s6
	s_delay_alu instid0(VALU_DEP_1) | instskip(SKIP_3) | instid1(VALU_DEP_4)
	v_dual_mul_f32 v26, v12, v12 :: v_dual_mul_f32 v29, v1, v1
	v_and_b32_e32 v27, 1, v16
	v_lshlrev_b32_e32 v16, 30, v16
	v_and_b32_e32 v32, 1, v28
	v_dual_fmaak_f32 v30, s27, v26, 0x3c0881c4 :: v_dual_fmaak_f32 v33, s27, v29, 0x3c0881c4
	v_dual_fmaak_f32 v31, s28, v26, 0xbab64f3b :: v_dual_fmaak_f32 v34, s28, v29, 0xbab64f3b
	v_cmp_eq_u32_e32 vcc_lo, 0, v27
	s_delay_alu instid0(VALU_DEP_3) | instskip(NEXT) | instid1(VALU_DEP_3)
	v_dual_fmaak_f32 v30, v26, v30, 0xbe2aaa9d :: v_dual_fmaak_f32 v33, v29, v33, 0xbe2aaa9d
	v_dual_fmaak_f32 v31, v26, v31, 0x3d2aabf7 :: v_dual_lshlrev_b32 v28, 30, v28
	s_delay_alu instid0(VALU_DEP_4) | instskip(NEXT) | instid1(VALU_DEP_3)
	v_fmaak_f32 v34, v29, v34, 0x3d2aabf7
	v_dual_mul_f32 v30, v26, v30 :: v_dual_mul_f32 v33, v29, v33
	s_delay_alu instid0(VALU_DEP_3) | instskip(SKIP_1) | instid1(VALU_DEP_4)
	v_fmaak_f32 v31, v26, v31, 0xbf000004
	v_and_b32_e32 v16, 0x80000000, v16
	v_fmaak_f32 v34, v29, v34, 0xbf000004
	s_delay_alu instid0(VALU_DEP_4) | instskip(NEXT) | instid1(VALU_DEP_4)
	v_dual_fmac_f32 v12, v12, v30 :: v_dual_fmac_f32 v1, v1, v33
	v_fma_f32 v26, v26, v31, 1.0
	s_delay_alu instid0(VALU_DEP_4) | instskip(NEXT) | instid1(VALU_DEP_4)
	v_xor_b32_e32 v9, v9, v16
	v_fma_f32 v16, v29, v34, 1.0
	s_delay_alu instid0(VALU_DEP_3) | instskip(SKIP_2) | instid1(VALU_DEP_3)
	v_cndmask_b32_e32 v12, v26, v12, vcc_lo
	v_cmp_eq_u32_e32 vcc_lo, 0, v32
	v_and_b32_e32 v26, 0x80000000, v28
	v_xor3_b32 v9, v9, v12, v15
	v_cndmask_b32_e64 v1, -v1, v16, vcc_lo
	v_cmp_class_f32_e64 vcc_lo, v15, 0x1f8
	s_delay_alu instid0(VALU_DEP_2) | instskip(NEXT) | instid1(VALU_DEP_1)
	v_xor_b32_e32 v1, v26, v1
	v_mul_f32_e32 v1, v9, v1
	s_delay_alu instid0(VALU_DEP_1)
	v_cndmask_b32_e32 v15, 0x7fc00000, v1, vcc_lo
.LBB101_48:                             ;   in Loop: Header=BB101_4 Depth=1
	s_or_b32 exec_lo, exec_lo, s31
	v_add_nc_u32_e32 v25, -2.0, v25
	s_delay_alu instid0(VALU_DEP_2)
	v_bfi_b32 v9, 0x7fffffff, 0, v15
.LBB101_49:                             ;   in Loop: Header=BB101_4 Depth=1
	s_or_b32 exec_lo, exec_lo, s30
.LBB101_50:                             ;   in Loop: Header=BB101_4 Depth=1
	s_delay_alu instid0(SALU_CYCLE_1) | instskip(SKIP_2) | instid1(VALU_DEP_1)
	s_or_b32 exec_lo, exec_lo, s29
	v_and_b32_e32 v1, 0x7fffffff, v14
                                        ; implicit-def: $vgpr12
                                        ; implicit-def: $vgpr15
	s_mov_b32 s6, exec_lo
	v_cmpx_gt_u32_e32 0x7f800000, v1
	s_xor_b32 s29, exec_lo, s6
	s_cbranch_execz .LBB101_72
; %bb.51:                               ;   in Loop: Header=BB101_4 Depth=1
	v_cmp_class_f32_e64 s6, v13, 0x1f8
                                        ; implicit-def: $vgpr12
                                        ; implicit-def: $vgpr15
	s_delay_alu instid0(VALU_DEP_1) | instskip(NEXT) | instid1(SALU_CYCLE_1)
	s_and_saveexec_b32 s7, s6
	s_xor_b32 s30, exec_lo, s7
	s_cbranch_execz .LBB101_69
; %bb.52:                               ;   in Loop: Header=BB101_4 Depth=1
	v_and_b32_e32 v16, 0x7fffffff, v13
                                        ; implicit-def: $vgpr12
                                        ; implicit-def: $vgpr15
	s_mov_b32 s6, exec_lo
	v_cmpx_gt_u32_e32 0x41300000, v1
	s_xor_b32 s31, exec_lo, s6
	s_cbranch_execz .LBB101_58
; %bb.53:                               ;   in Loop: Header=BB101_4 Depth=1
                                        ; implicit-def: $vgpr1
                                        ; implicit-def: $vgpr12
	s_mov_b32 s7, exec_lo
	v_cmpx_ngt_f32_e64 0x48000000, |v13|
	s_xor_b32 s33, exec_lo, s7
	s_cbranch_execz .LBB101_55
; %bb.54:                               ;   in Loop: Header=BB101_4 Depth=1
	v_and_or_b32 v12, v16, s23, 0x800000
	v_lshrrev_b32_e32 v15, 23, v16
	s_delay_alu instid0(VALU_DEP_2) | instskip(NEXT) | instid1(VALU_DEP_2)
	v_mad_u64_u32 v[26:27], null, 0xfe5163ab, v12, 0
	v_add_nc_u32_e32 v15, 0xffffff88, v15
	s_delay_alu instid0(VALU_DEP_1) | instskip(NEXT) | instid1(VALU_DEP_3)
	v_cmp_lt_u32_e32 vcc_lo, 63, v15
	v_mov_b32_e32 v1, v27
	v_cndmask_b32_e64 v32, 0, 0xffffffc0, vcc_lo
	s_delay_alu instid0(VALU_DEP_2) | instskip(NEXT) | instid1(VALU_DEP_2)
	v_mad_u64_u32 v[27:28], null, 0x3c439041, v12, v[1:2]
	v_add_nc_u32_e32 v15, v32, v15
	s_delay_alu instid0(VALU_DEP_2) | instskip(NEXT) | instid1(VALU_DEP_2)
	v_mov_b32_e32 v1, v28
	v_cmp_lt_u32_e64 s6, 31, v15
	s_delay_alu instid0(VALU_DEP_2) | instskip(NEXT) | instid1(VALU_DEP_2)
	v_mad_u64_u32 v[28:29], null, 0xdb629599, v12, v[1:2]
	v_cndmask_b32_e64 v33, 0, 0xffffffe0, s6
	s_delay_alu instid0(VALU_DEP_1) | instskip(NEXT) | instid1(VALU_DEP_3)
	v_add_nc_u32_e32 v15, v33, v15
	v_dual_mov_b32 v1, v29 :: v_dual_cndmask_b32 v26, v28, v26
	s_delay_alu instid0(VALU_DEP_2) | instskip(NEXT) | instid1(VALU_DEP_2)
	v_cmp_lt_u32_e64 s7, 31, v15
	v_mad_u64_u32 v[29:30], null, 0xf534ddc0, v12, v[1:2]
	s_delay_alu instid0(VALU_DEP_1) | instskip(NEXT) | instid1(VALU_DEP_1)
	v_mov_b32_e32 v1, v30
	v_mad_u64_u32 v[30:31], null, 0xfc2757d1, v12, v[1:2]
	s_delay_alu instid0(VALU_DEP_1) | instskip(NEXT) | instid1(VALU_DEP_1)
	v_mov_b32_e32 v1, v31
	;; [unrolled: 3-line block ×3, first 2 shown]
	v_mad_u64_u32 v[32:33], null, 0xa2f9836e, v12, v[1:2]
	v_cndmask_b32_e64 v1, 0, 0xffffffe0, s7
	s_delay_alu instid0(VALU_DEP_1) | instskip(NEXT) | instid1(VALU_DEP_3)
	v_dual_cndmask_b32 v12, v31, v29 :: v_dual_add_nc_u32 v1, v1, v15
	v_dual_cndmask_b32 v32, v32, v30 :: v_dual_cndmask_b32 v31, v33, v31
	v_dual_cndmask_b32 v30, v30, v28 :: v_dual_cndmask_b32 v15, v29, v27
	s_delay_alu instid0(VALU_DEP_3) | instskip(NEXT) | instid1(VALU_DEP_3)
	v_cmp_eq_u32_e64 s8, 0, v1
	v_cndmask_b32_e64 v27, v32, v12, s6
	s_delay_alu instid0(VALU_DEP_4) | instskip(NEXT) | instid1(VALU_DEP_4)
	v_cndmask_b32_e64 v29, v31, v32, s6
	v_cndmask_b32_e64 v12, v12, v30, s6
	v_sub_nc_u32_e32 v31, 32, v1
	v_cndmask_b32_e64 v30, v30, v15, s6
	v_cndmask_b32_e64 v15, v15, v26, s6
	;; [unrolled: 1-line block ×4, first 2 shown]
	s_delay_alu instid0(VALU_DEP_4) | instskip(NEXT) | instid1(VALU_DEP_4)
	v_cndmask_b32_e64 v12, v12, v30, s7
	v_cndmask_b32_e64 v15, v30, v15, s7
	s_delay_alu instid0(VALU_DEP_3) | instskip(NEXT) | instid1(VALU_DEP_3)
	v_alignbit_b32 v32, v29, v27, v31
	v_alignbit_b32 v33, v27, v12, v31
	s_delay_alu instid0(VALU_DEP_3) | instskip(NEXT) | instid1(VALU_DEP_3)
	v_alignbit_b32 v31, v12, v15, v31
	v_cndmask_b32_e64 v1, v32, v29, s8
	s_delay_alu instid0(VALU_DEP_3) | instskip(NEXT) | instid1(VALU_DEP_3)
	v_cndmask_b32_e64 v27, v33, v27, s8
	v_cndmask_b32_e64 v12, v31, v12, s8
	s_delay_alu instid0(VALU_DEP_3) | instskip(NEXT) | instid1(VALU_DEP_3)
	v_bfe_u32 v28, v1, 29, 1
	v_alignbit_b32 v26, v1, v27, 30
	s_delay_alu instid0(VALU_DEP_3) | instskip(SKIP_1) | instid1(VALU_DEP_4)
	v_alignbit_b32 v27, v27, v12, 30
	v_alignbit_b32 v12, v12, v15, 30
	v_sub_nc_u32_e32 v29, 0, v28
	s_delay_alu instid0(VALU_DEP_1) | instskip(SKIP_3) | instid1(VALU_DEP_4)
	v_xor_b32_e32 v30, v26, v29
	v_cmp_ne_u32_e32 vcc_lo, v26, v29
	v_xor_b32_e32 v15, v27, v29
	v_xor_b32_e32 v12, v12, v29
	v_clz_i32_u32_e32 v32, v30
	s_delay_alu instid0(VALU_DEP_1) | instskip(NEXT) | instid1(VALU_DEP_1)
	v_add_nc_u32_e32 v31, 1, v32
	v_cndmask_b32_e32 v26, 33, v31, vcc_lo
	s_delay_alu instid0(VALU_DEP_1) | instskip(NEXT) | instid1(VALU_DEP_1)
	v_sub_nc_u32_e32 v27, 32, v26
	v_alignbit_b32 v29, v30, v15, v27
	v_alignbit_b32 v12, v15, v12, v27
	v_lshrrev_b32_e32 v15, 29, v1
	v_lshrrev_b32_e32 v1, 30, v1
	s_delay_alu instid0(VALU_DEP_3) | instskip(NEXT) | instid1(VALU_DEP_3)
	v_alignbit_b32 v27, v29, v12, 9
	v_lshlrev_b32_e32 v15, 31, v15
	v_alignbit_b32 v29, v26, v29, 9
	s_delay_alu instid0(VALU_DEP_4) | instskip(NEXT) | instid1(VALU_DEP_4)
	v_add_nc_u32_e32 v1, v28, v1
	v_clz_i32_u32_e32 v30, v27
	s_delay_alu instid0(VALU_DEP_3) | instskip(SKIP_1) | instid1(VALU_DEP_3)
	v_or_b32_e32 v29, v29, v15
	v_or_b32_e32 v15, 0x33800000, v15
	v_min_u32_e32 v30, 32, v30
	s_delay_alu instid0(VALU_DEP_3) | instskip(NEXT) | instid1(VALU_DEP_2)
	v_xor_b32_e32 v29, 1.0, v29
	v_sub_nc_u32_e32 v31, 31, v30
	v_add_lshl_u32 v26, v30, v26, 23
	s_delay_alu instid0(VALU_DEP_3) | instskip(NEXT) | instid1(VALU_DEP_3)
	v_mul_f32_e32 v30, 0x3fc90fda, v29
	v_alignbit_b32 v12, v27, v12, v31
	s_delay_alu instid0(VALU_DEP_3) | instskip(NEXT) | instid1(VALU_DEP_3)
	v_sub_nc_u32_e32 v15, v15, v26
	v_fma_f32 v26, 0x3fc90fda, v29, -v30
	s_delay_alu instid0(VALU_DEP_3) | instskip(NEXT) | instid1(VALU_DEP_2)
	v_lshrrev_b32_e32 v12, 9, v12
	v_fmac_f32_e32 v26, 0x33a22168, v29
	s_delay_alu instid0(VALU_DEP_2) | instskip(NEXT) | instid1(VALU_DEP_1)
	v_or_b32_e32 v12, v15, v12
	v_fmac_f32_e32 v26, 0x3fc90fda, v12
	s_delay_alu instid0(VALU_DEP_1)
	v_add_f32_e32 v12, v30, v26
.LBB101_55:                             ;   in Loop: Header=BB101_4 Depth=1
	s_and_not1_saveexec_b32 s6, s33
; %bb.56:                               ;   in Loop: Header=BB101_4 Depth=1
	v_mul_f32_e64 v1, 0x3f22f983, |v13|
	s_delay_alu instid0(VALU_DEP_1) | instskip(NEXT) | instid1(VALU_DEP_1)
	v_rndne_f32_e32 v1, v1
	v_fma_f32 v12, 0xbfc90fda, v1, |v13|
	s_delay_alu instid0(VALU_DEP_1) | instskip(NEXT) | instid1(VALU_DEP_1)
	v_fmac_f32_e32 v12, 0xb3a22168, v1
	v_fmac_f32_e32 v12, 0xa7c234c4, v1
	v_cvt_i32_f32_e32 v1, v1
; %bb.57:                               ;   in Loop: Header=BB101_4 Depth=1
	s_or_b32 exec_lo, exec_lo, s6
	v_add_f32_e64 v15, 0xbf317218, |v14|
	v_cmp_nlt_f32_e64 vcc_lo, 0x42b2d4fc, |v14|
	v_cmp_gt_f32_e64 s6, 0x39800000, |v14|
	v_and_b32_e32 v1, 1, v1
	s_delay_alu instid0(VALU_DEP_4) | instskip(NEXT) | instid1(VALU_DEP_1)
	v_sub_f32_e64 v26, v15, |v14|
	v_dual_sub_f32 v27, v26, v15 :: v_dual_add_f32 v26, 0x3f317218, v26
	s_delay_alu instid0(VALU_DEP_1) | instskip(NEXT) | instid1(VALU_DEP_1)
	v_add_f32_e64 v27, |v14|, v27
	v_sub_f32_e32 v26, v27, v26
	s_delay_alu instid0(VALU_DEP_1) | instskip(NEXT) | instid1(VALU_DEP_1)
	v_add_f32_e32 v26, 0x3102e308, v26
	v_add_f32_e32 v27, v15, v26
	s_delay_alu instid0(VALU_DEP_1) | instskip(SKIP_1) | instid1(VALU_DEP_2)
	v_mul_f32_e32 v28, 0x3fb8aa3b, v27
	v_sub_f32_e32 v15, v15, v27
	v_rndne_f32_e32 v28, v28
	s_delay_alu instid0(VALU_DEP_1) | instskip(SKIP_1) | instid1(VALU_DEP_1)
	v_dual_add_f32 v15, v26, v15 :: v_dual_mul_f32 v26, 0x35bfbc00, v28
	v_fmac_f32_e32 v27, 0xbf317200, v28
	v_add_f32_e32 v29, v15, v27
	s_delay_alu instid0(VALU_DEP_1) | instskip(NEXT) | instid1(VALU_DEP_1)
	v_dual_sub_f32 v30, v29, v26 :: v_dual_sub_f32 v27, v27, v29
	v_sub_f32_e32 v29, v29, v30
	s_delay_alu instid0(VALU_DEP_1) | instskip(NEXT) | instid1(VALU_DEP_1)
	v_dual_add_f32 v15, v15, v27 :: v_dual_sub_f32 v26, v29, v26
	v_dual_add_f32 v15, v15, v26 :: v_dual_mul_f32 v26, 0x2ea39ef3, v28
	s_delay_alu instid0(VALU_DEP_1) | instskip(NEXT) | instid1(VALU_DEP_1)
	v_add_f32_e32 v27, v30, v15
	v_dual_sub_f32 v29, v27, v26 :: v_dual_sub_f32 v30, v30, v27
	s_delay_alu instid0(VALU_DEP_1) | instskip(NEXT) | instid1(VALU_DEP_2)
	v_sub_f32_e32 v27, v27, v29
	v_add_f32_e32 v15, v15, v30
	s_delay_alu instid0(VALU_DEP_2) | instskip(NEXT) | instid1(VALU_DEP_1)
	v_sub_f32_e32 v26, v27, v26
	v_add_f32_e32 v15, v15, v26
	s_delay_alu instid0(VALU_DEP_1) | instskip(NEXT) | instid1(VALU_DEP_1)
	v_add_f32_e32 v26, v29, v15
	v_sub_f32_e32 v27, v29, v26
	s_delay_alu instid0(VALU_DEP_1) | instskip(SKIP_1) | instid1(VALU_DEP_2)
	v_add_f32_e32 v15, v15, v27
	v_fmaak_f32 v27, s26, v26, 0x3c091de6
	v_add_f32_e32 v31, v15, v15
	s_delay_alu instid0(VALU_DEP_2) | instskip(NEXT) | instid1(VALU_DEP_1)
	v_fmaak_f32 v27, v26, v27, 0x3d2aadcc
	v_fmaak_f32 v27, v26, v27, 0x3e2aaa47
	s_delay_alu instid0(VALU_DEP_1) | instskip(SKIP_1) | instid1(VALU_DEP_1)
	v_fmaak_f32 v27, v26, v27, 0x3efffffc
	v_mul_f32_e32 v29, v26, v26
	v_fma_f32 v30, v26, v26, -v29
	s_delay_alu instid0(VALU_DEP_1) | instskip(NEXT) | instid1(VALU_DEP_1)
	v_fmac_f32_e32 v30, v26, v31
	v_add_f32_e32 v31, v29, v30
	s_delay_alu instid0(VALU_DEP_1) | instskip(SKIP_1) | instid1(VALU_DEP_1)
	v_mul_f32_e32 v32, v27, v31
	v_sub_f32_e32 v29, v31, v29
	v_sub_f32_e32 v29, v30, v29
	s_delay_alu instid0(VALU_DEP_3) | instskip(NEXT) | instid1(VALU_DEP_1)
	v_fma_f32 v30, v31, v27, -v32
	v_fmac_f32_e32 v30, v29, v27
	s_delay_alu instid0(VALU_DEP_1) | instskip(NEXT) | instid1(VALU_DEP_1)
	v_add_f32_e32 v27, v32, v30
	v_add_f32_e32 v29, v26, v27
	s_delay_alu instid0(VALU_DEP_1) | instskip(NEXT) | instid1(VALU_DEP_1)
	v_dual_sub_f32 v31, v27, v32 :: v_dual_sub_f32 v26, v29, v26
	v_sub_f32_e32 v30, v30, v31
	s_delay_alu instid0(VALU_DEP_2) | instskip(NEXT) | instid1(VALU_DEP_2)
	v_sub_f32_e32 v26, v27, v26
	v_add_f32_e32 v15, v15, v30
	s_delay_alu instid0(VALU_DEP_1) | instskip(NEXT) | instid1(VALU_DEP_1)
	v_add_f32_e32 v15, v15, v26
	v_add_f32_e32 v26, v29, v15
	s_delay_alu instid0(VALU_DEP_1) | instskip(NEXT) | instid1(VALU_DEP_1)
	v_add_f32_e32 v27, 1.0, v26
	v_dual_sub_f32 v29, v26, v29 :: v_dual_add_f32 v30, -1.0, v27
	s_delay_alu instid0(VALU_DEP_1) | instskip(NEXT) | instid1(VALU_DEP_1)
	v_dual_sub_f32 v15, v15, v29 :: v_dual_sub_f32 v26, v26, v30
	v_add_f32_e32 v15, v15, v26
	v_cvt_i32_f32_e32 v26, v28
	s_delay_alu instid0(VALU_DEP_2) | instskip(NEXT) | instid1(VALU_DEP_1)
	v_add_f32_e32 v28, v27, v15
	v_ldexp_f32 v29, v28, v26
	v_sub_f32_e32 v27, v28, v27
	s_delay_alu instid0(VALU_DEP_2) | instskip(NEXT) | instid1(VALU_DEP_1)
	v_rcp_f32_e32 v30, v29
	v_sub_f32_e32 v15, v15, v27
	s_delay_alu instid0(VALU_DEP_1) | instskip(SKIP_2) | instid1(VALU_DEP_1)
	v_ldexp_f32 v15, v15, v26
	s_waitcnt_depctr 0xfff
	v_mul_f32_e32 v27, v29, v30
	v_fma_f32 v26, v30, v29, -v27
	s_delay_alu instid0(VALU_DEP_1) | instskip(NEXT) | instid1(VALU_DEP_1)
	v_fmac_f32_e32 v26, v30, v15
	v_add_f32_e32 v28, v27, v26
	s_delay_alu instid0(VALU_DEP_1) | instskip(NEXT) | instid1(VALU_DEP_1)
	v_sub_f32_e32 v27, v28, v27
	v_dual_sub_f32 v31, 1.0, v28 :: v_dual_sub_f32 v26, v27, v26
	s_delay_alu instid0(VALU_DEP_1) | instskip(NEXT) | instid1(VALU_DEP_1)
	v_sub_f32_e32 v32, 1.0, v31
	v_sub_f32_e32 v27, v32, v28
	s_delay_alu instid0(VALU_DEP_1) | instskip(NEXT) | instid1(VALU_DEP_1)
	v_add_f32_e32 v26, v26, v27
	v_add_f32_e32 v27, v31, v26
	s_delay_alu instid0(VALU_DEP_1) | instskip(NEXT) | instid1(VALU_DEP_1)
	v_mul_f32_e32 v28, v30, v27
	v_dual_sub_f32 v31, v31, v27 :: v_dual_mul_f32 v32, v29, v28
	s_delay_alu instid0(VALU_DEP_1) | instskip(NEXT) | instid1(VALU_DEP_2)
	v_add_f32_e32 v26, v26, v31
	v_fma_f32 v33, v28, v29, -v32
	s_delay_alu instid0(VALU_DEP_1) | instskip(NEXT) | instid1(VALU_DEP_1)
	v_fmac_f32_e32 v33, v28, v15
	v_add_f32_e32 v34, v32, v33
	s_delay_alu instid0(VALU_DEP_1) | instskip(SKIP_1) | instid1(VALU_DEP_2)
	v_sub_f32_e32 v35, v27, v34
	v_sub_f32_e32 v31, v34, v32
	v_sub_f32_e32 v27, v27, v35
	s_delay_alu instid0(VALU_DEP_2) | instskip(NEXT) | instid1(VALU_DEP_2)
	v_sub_f32_e32 v31, v31, v33
	v_sub_f32_e32 v27, v27, v34
	s_delay_alu instid0(VALU_DEP_1) | instskip(NEXT) | instid1(VALU_DEP_1)
	v_add_f32_e32 v26, v26, v27
	v_dual_add_f32 v27, v30, v28 :: v_dual_add_f32 v26, v31, v26
	s_delay_alu instid0(VALU_DEP_1) | instskip(NEXT) | instid1(VALU_DEP_2)
	v_sub_f32_e32 v31, v27, v30
	v_add_f32_e32 v26, v35, v26
	s_delay_alu instid0(VALU_DEP_2) | instskip(NEXT) | instid1(VALU_DEP_2)
	v_sub_f32_e32 v28, v28, v31
	v_mul_f32_e32 v26, v30, v26
	s_delay_alu instid0(VALU_DEP_1) | instskip(NEXT) | instid1(VALU_DEP_1)
	v_add_f32_e32 v26, v28, v26
	v_add_f32_e32 v28, v27, v26
	s_delay_alu instid0(VALU_DEP_1) | instskip(SKIP_1) | instid1(VALU_DEP_1)
	v_ldexp_f32 v30, v28, -2
	v_sub_f32_e32 v27, v28, v27
	v_dual_sub_f32 v31, v29, v30 :: v_dual_sub_f32 v26, v26, v27
	s_delay_alu instid0(VALU_DEP_1) | instskip(NEXT) | instid1(VALU_DEP_2)
	v_sub_f32_e32 v28, v29, v31
	v_ldexp_f32 v26, v26, -2
	s_delay_alu instid0(VALU_DEP_2) | instskip(SKIP_1) | instid1(VALU_DEP_2)
	v_sub_f32_e32 v27, v28, v30
	v_xor_b32_e32 v28, 0x80000000, v14
	v_add_f32_e32 v15, v15, v27
	s_delay_alu instid0(VALU_DEP_1) | instskip(NEXT) | instid1(VALU_DEP_1)
	v_dual_sub_f32 v15, v15, v26 :: v_dual_mul_f32 v26, v12, v12
	v_add_f32_e32 v15, v31, v15
	s_delay_alu instid0(VALU_DEP_2) | instskip(NEXT) | instid1(VALU_DEP_2)
	v_fmaak_f32 v27, s25, v26, 0xbf039337
	v_cndmask_b32_e32 v15, 0x7f800000, v15, vcc_lo
	s_delay_alu instid0(VALU_DEP_2) | instskip(NEXT) | instid1(VALU_DEP_2)
	v_fmaak_f32 v27, v26, v27, 0x3f93f425
	v_cndmask_b32_e64 v14, v15, |v14|, s6
	s_delay_alu instid0(VALU_DEP_2) | instskip(SKIP_1) | instid1(VALU_DEP_2)
	v_rcp_f32_e32 v15, v27
	v_fmaak_f32 v27, s24, v26, 0x3ec54587
	v_bfi_b32 v14, 0x7fffffff, v14, v28
	s_delay_alu instid0(VALU_DEP_1) | instskip(SKIP_4) | instid1(VALU_DEP_3)
	v_fma_f32 v28, v14, v14, 1.0
	s_waitcnt_depctr 0xfff
	v_mul_f32_e32 v15, v27, v15
	v_mul_f32_e32 v27, 0x4f800000, v28
	v_cmp_gt_f32_e32 vcc_lo, 0xf800000, v28
	v_mul_f32_e32 v15, v26, v15
	s_delay_alu instid0(VALU_DEP_3) | instskip(NEXT) | instid1(VALU_DEP_2)
	v_cndmask_b32_e32 v26, v28, v27, vcc_lo
	v_fma_f32 v27, v15, v12, v12
	s_delay_alu instid0(VALU_DEP_2) | instskip(NEXT) | instid1(VALU_DEP_1)
	v_sqrt_f32_e32 v28, v26
	v_rcp_f32_e32 v29, v27
	v_sub_f32_e32 v30, v27, v12
	s_delay_alu instid0(VALU_DEP_1) | instskip(SKIP_4) | instid1(VALU_DEP_3)
	v_fma_f32 v12, v15, v12, -v30
	s_waitcnt_depctr 0xfff
	v_add_nc_u32_e32 v31, -1, v28
	v_fma_f32 v15, v27, -v29, 1.0
	v_add_nc_u32_e32 v30, 1, v28
	v_fma_f32 v32, -v31, v28, v26
	s_delay_alu instid0(VALU_DEP_3) | instskip(NEXT) | instid1(VALU_DEP_3)
	v_fma_f32 v12, v12, -v29, v15
	v_fma_f32 v15, -v30, v28, v26
	s_delay_alu instid0(VALU_DEP_3) | instskip(NEXT) | instid1(VALU_DEP_3)
	v_cmp_ge_f32_e64 s6, 0, v32
	v_fma_f32 v12, v12, -v29, -v29
	s_delay_alu instid0(VALU_DEP_2) | instskip(NEXT) | instid1(VALU_DEP_4)
	v_cndmask_b32_e64 v28, v28, v31, s6
	v_cmp_lt_f32_e64 s6, 0, v15
	s_delay_alu instid0(VALU_DEP_1) | instskip(SKIP_1) | instid1(VALU_DEP_1)
	v_cndmask_b32_e64 v15, v28, v30, s6
	v_cmp_eq_u32_e64 s6, 0, v1
	v_cndmask_b32_e64 v1, v12, v27, s6
	s_delay_alu instid0(VALU_DEP_3) | instskip(NEXT) | instid1(VALU_DEP_2)
	v_mul_f32_e32 v12, 0x37800000, v15
	v_xor3_b32 v1, v16, v1, v13
	s_delay_alu instid0(VALU_DEP_2) | instskip(SKIP_1) | instid1(VALU_DEP_3)
	v_cndmask_b32_e32 v12, v15, v12, vcc_lo
	v_cmp_class_f32_e64 vcc_lo, v26, 0x260
	v_fma_f32 v13, v1, v1, 1.0
	s_delay_alu instid0(VALU_DEP_1) | instskip(NEXT) | instid1(VALU_DEP_1)
	v_dual_cndmask_b32 v12, v12, v26 :: v_dual_mul_f32 v15, v14, v13
	v_mul_f32_e32 v12, v12, v13
	s_delay_alu instid0(VALU_DEP_2) | instskip(NEXT) | instid1(VALU_DEP_2)
	v_fma_f32 v13, v14, v15, 1.0
	v_mul_f32_e32 v12, v14, v12
	s_delay_alu instid0(VALU_DEP_2) | instskip(NEXT) | instid1(VALU_DEP_2)
	v_div_scale_f32 v15, null, v13, v13, v1
	v_div_scale_f32 v14, null, v13, v13, v12
	v_div_scale_f32 v29, vcc_lo, v12, v13, v12
	s_delay_alu instid0(VALU_DEP_3) | instskip(NEXT) | instid1(VALU_DEP_2)
	v_rcp_f32_e32 v26, v15
	v_rcp_f32_e32 v16, v14
	s_waitcnt_depctr 0xfff
	v_fma_f32 v28, -v15, v26, 1.0
	v_fma_f32 v27, -v14, v16, 1.0
	s_delay_alu instid0(VALU_DEP_2) | instskip(NEXT) | instid1(VALU_DEP_2)
	v_fmac_f32_e32 v26, v28, v26
	v_fmac_f32_e32 v16, v27, v16
	v_div_scale_f32 v27, s6, v1, v13, v1
	s_delay_alu instid0(VALU_DEP_2) | instskip(NEXT) | instid1(VALU_DEP_2)
	v_mul_f32_e32 v28, v29, v16
	v_mul_f32_e32 v30, v27, v26
	s_delay_alu instid0(VALU_DEP_2) | instskip(NEXT) | instid1(VALU_DEP_2)
	v_fma_f32 v31, -v14, v28, v29
	v_fma_f32 v32, -v15, v30, v27
	s_delay_alu instid0(VALU_DEP_2) | instskip(NEXT) | instid1(VALU_DEP_2)
	v_fmac_f32_e32 v28, v31, v16
	v_fmac_f32_e32 v30, v32, v26
	s_delay_alu instid0(VALU_DEP_2) | instskip(NEXT) | instid1(VALU_DEP_2)
	v_fma_f32 v14, -v14, v28, v29
	v_fma_f32 v15, -v15, v30, v27
	s_delay_alu instid0(VALU_DEP_2) | instskip(SKIP_1) | instid1(VALU_DEP_2)
	v_div_fmas_f32 v14, v14, v16, v28
	s_mov_b32 vcc_lo, s6
	v_div_fmas_f32 v16, v15, v26, v30
	s_delay_alu instid0(VALU_DEP_2) | instskip(NEXT) | instid1(VALU_DEP_2)
	v_div_fixup_f32 v15, v14, v13, v12
	v_div_fixup_f32 v12, v16, v13, v1
                                        ; implicit-def: $vgpr13
                                        ; implicit-def: $vgpr16
.LBB101_58:                             ;   in Loop: Header=BB101_4 Depth=1
	s_and_not1_saveexec_b32 s31, s31
	s_cbranch_execz .LBB101_68
; %bb.59:                               ;   in Loop: Header=BB101_4 Depth=1
	v_lshrrev_b32_e32 v1, 23, v16
	v_cmp_ngt_f32_e64 s33, 0x48000000, |v13|
	v_and_or_b32 v15, v16, s23, 0x800000
                                        ; implicit-def: $vgpr26
                                        ; implicit-def: $vgpr12
	s_delay_alu instid0(VALU_DEP_3) | instskip(NEXT) | instid1(VALU_DEP_3)
	v_add_nc_u32_e32 v27, 0xffffff88, v1
	s_and_saveexec_b32 s6, s33
	s_delay_alu instid0(SALU_CYCLE_1)
	s_xor_b32 s34, exec_lo, s6
	s_cbranch_execz .LBB101_61
; %bb.60:                               ;   in Loop: Header=BB101_4 Depth=1
	v_mad_u64_u32 v[28:29], null, 0xfe5163ab, v15, 0
	v_cmp_lt_u32_e32 vcc_lo, 63, v27
	v_cndmask_b32_e64 v12, 0, 0xffffffc0, vcc_lo
	s_delay_alu instid0(VALU_DEP_1) | instskip(NEXT) | instid1(VALU_DEP_1)
	v_dual_mov_b32 v1, v29 :: v_dual_add_nc_u32 v12, v12, v27
	v_mad_u64_u32 v[29:30], null, 0x3c439041, v15, v[1:2]
	s_delay_alu instid0(VALU_DEP_2) | instskip(NEXT) | instid1(VALU_DEP_2)
	v_cmp_lt_u32_e64 s6, 31, v12
	v_mov_b32_e32 v1, v30
	s_delay_alu instid0(VALU_DEP_2) | instskip(NEXT) | instid1(VALU_DEP_2)
	v_cndmask_b32_e64 v26, 0, 0xffffffe0, s6
	v_mad_u64_u32 v[30:31], null, 0xdb629599, v15, v[1:2]
	s_delay_alu instid0(VALU_DEP_2) | instskip(NEXT) | instid1(VALU_DEP_1)
	v_add_nc_u32_e32 v12, v26, v12
	v_cmp_lt_u32_e64 s7, 31, v12
	s_delay_alu instid0(VALU_DEP_3) | instskip(NEXT) | instid1(VALU_DEP_1)
	v_dual_mov_b32 v1, v31 :: v_dual_cndmask_b32 v28, v30, v28
	v_mad_u64_u32 v[31:32], null, 0xf534ddc0, v15, v[1:2]
	s_delay_alu instid0(VALU_DEP_1) | instskip(NEXT) | instid1(VALU_DEP_1)
	v_mov_b32_e32 v1, v32
	v_mad_u64_u32 v[32:33], null, 0xfc2757d1, v15, v[1:2]
	s_delay_alu instid0(VALU_DEP_1) | instskip(NEXT) | instid1(VALU_DEP_1)
	v_mov_b32_e32 v1, v33
	v_mad_u64_u32 v[33:34], null, 0x4e441529, v15, v[1:2]
	s_delay_alu instid0(VALU_DEP_1) | instskip(NEXT) | instid1(VALU_DEP_1)
	v_dual_mov_b32 v1, v34 :: v_dual_cndmask_b32 v26, v33, v31
	v_mad_u64_u32 v[34:35], null, 0xa2f9836e, v15, v[1:2]
	v_cndmask_b32_e64 v1, 0, 0xffffffe0, s7
	s_delay_alu instid0(VALU_DEP_1) | instskip(NEXT) | instid1(VALU_DEP_3)
	v_add_nc_u32_e32 v1, v1, v12
	v_dual_cndmask_b32 v34, v34, v32 :: v_dual_cndmask_b32 v33, v35, v33
	v_cndmask_b32_e32 v32, v32, v30, vcc_lo
	v_cndmask_b32_e32 v12, v31, v29, vcc_lo
	s_delay_alu instid0(VALU_DEP_4) | instskip(NEXT) | instid1(VALU_DEP_4)
	v_cmp_eq_u32_e64 s8, 0, v1
	v_cndmask_b32_e64 v29, v34, v26, s6
	v_cndmask_b32_e64 v31, v33, v34, s6
	;; [unrolled: 1-line block ×3, first 2 shown]
	v_sub_nc_u32_e32 v33, 32, v1
	v_cndmask_b32_e64 v32, v32, v12, s6
	v_cndmask_b32_e64 v12, v12, v28, s6
	;; [unrolled: 1-line block ×4, first 2 shown]
	s_delay_alu instid0(VALU_DEP_4) | instskip(NEXT) | instid1(VALU_DEP_4)
	v_cndmask_b32_e64 v26, v26, v32, s7
	v_cndmask_b32_e64 v12, v32, v12, s7
	s_delay_alu instid0(VALU_DEP_3) | instskip(NEXT) | instid1(VALU_DEP_3)
	v_alignbit_b32 v34, v31, v29, v33
	v_alignbit_b32 v35, v29, v26, v33
	s_delay_alu instid0(VALU_DEP_3) | instskip(NEXT) | instid1(VALU_DEP_3)
	v_alignbit_b32 v33, v26, v12, v33
	v_cndmask_b32_e64 v1, v34, v31, s8
	s_delay_alu instid0(VALU_DEP_3) | instskip(NEXT) | instid1(VALU_DEP_3)
	v_cndmask_b32_e64 v29, v35, v29, s8
	v_cndmask_b32_e64 v26, v33, v26, s8
	s_delay_alu instid0(VALU_DEP_3) | instskip(NEXT) | instid1(VALU_DEP_3)
	v_bfe_u32 v30, v1, 29, 1
	v_alignbit_b32 v28, v1, v29, 30
	s_delay_alu instid0(VALU_DEP_3) | instskip(SKIP_1) | instid1(VALU_DEP_4)
	v_alignbit_b32 v29, v29, v26, 30
	v_alignbit_b32 v12, v26, v12, 30
	v_sub_nc_u32_e32 v31, 0, v30
	s_delay_alu instid0(VALU_DEP_1) | instskip(SKIP_3) | instid1(VALU_DEP_4)
	v_xor_b32_e32 v32, v28, v31
	v_cmp_ne_u32_e32 vcc_lo, v28, v31
	v_xor_b32_e32 v26, v29, v31
	v_xor_b32_e32 v12, v12, v31
	v_clz_i32_u32_e32 v34, v32
	s_delay_alu instid0(VALU_DEP_1) | instskip(NEXT) | instid1(VALU_DEP_1)
	v_add_nc_u32_e32 v33, 1, v34
	v_cndmask_b32_e32 v28, 33, v33, vcc_lo
	s_delay_alu instid0(VALU_DEP_1) | instskip(NEXT) | instid1(VALU_DEP_1)
	v_sub_nc_u32_e32 v29, 32, v28
	v_alignbit_b32 v31, v32, v26, v29
	v_alignbit_b32 v12, v26, v12, v29
	v_lshrrev_b32_e32 v26, 29, v1
	v_lshrrev_b32_e32 v1, 30, v1
	s_delay_alu instid0(VALU_DEP_3) | instskip(NEXT) | instid1(VALU_DEP_3)
	v_alignbit_b32 v29, v31, v12, 9
	v_lshlrev_b32_e32 v26, 31, v26
	v_alignbit_b32 v31, v28, v31, 9
	s_delay_alu instid0(VALU_DEP_3) | instskip(NEXT) | instid1(VALU_DEP_2)
	v_clz_i32_u32_e32 v32, v29
	v_or_b32_e32 v31, v31, v26
	v_or_b32_e32 v26, 0x33800000, v26
	s_delay_alu instid0(VALU_DEP_3) | instskip(NEXT) | instid1(VALU_DEP_3)
	v_min_u32_e32 v32, 32, v32
	v_xor_b32_e32 v31, 1.0, v31
	s_delay_alu instid0(VALU_DEP_2) | instskip(SKIP_1) | instid1(VALU_DEP_3)
	v_sub_nc_u32_e32 v33, 31, v32
	v_add_lshl_u32 v28, v32, v28, 23
	v_mul_f32_e32 v32, 0x3fc90fda, v31
	s_delay_alu instid0(VALU_DEP_3) | instskip(NEXT) | instid1(VALU_DEP_3)
	v_alignbit_b32 v12, v29, v12, v33
	v_sub_nc_u32_e32 v26, v26, v28
	s_delay_alu instid0(VALU_DEP_3) | instskip(NEXT) | instid1(VALU_DEP_3)
	v_fma_f32 v28, 0x3fc90fda, v31, -v32
	v_lshrrev_b32_e32 v12, 9, v12
	s_delay_alu instid0(VALU_DEP_2) | instskip(NEXT) | instid1(VALU_DEP_2)
	v_fmac_f32_e32 v28, 0x33a22168, v31
	v_or_b32_e32 v12, v26, v12
	v_add_nc_u32_e32 v26, v30, v1
	s_delay_alu instid0(VALU_DEP_2) | instskip(NEXT) | instid1(VALU_DEP_1)
	v_fmac_f32_e32 v28, 0x3fc90fda, v12
	v_add_f32_e32 v12, v32, v28
	s_and_not1_saveexec_b32 s6, s34
	s_branch .LBB101_62
.LBB101_61:                             ;   in Loop: Header=BB101_4 Depth=1
	s_and_not1_saveexec_b32 s6, s34
.LBB101_62:                             ;   in Loop: Header=BB101_4 Depth=1
	v_mul_f32_e64 v1, 0x3f22f983, |v13|
	s_delay_alu instid0(VALU_DEP_1) | instskip(NEXT) | instid1(VALU_DEP_1)
	v_rndne_f32_e32 v1, v1
	v_fma_f32 v12, 0xbfc90fda, v1, |v13|
	v_cvt_i32_f32_e32 v26, v1
	s_delay_alu instid0(VALU_DEP_2) | instskip(NEXT) | instid1(VALU_DEP_1)
	v_fmac_f32_e32 v12, 0xb3a22168, v1
	v_fmac_f32_e32 v12, 0xa7c234c4, v1
; %bb.63:                               ;   in Loop: Header=BB101_4 Depth=1
	s_or_b32 exec_lo, exec_lo, s6
                                        ; implicit-def: $vgpr28
                                        ; implicit-def: $vgpr1
	s_and_saveexec_b32 s6, s33
	s_delay_alu instid0(SALU_CYCLE_1)
	s_xor_b32 s33, exec_lo, s6
	s_cbranch_execz .LBB101_65
; %bb.64:                               ;   in Loop: Header=BB101_4 Depth=1
	v_mad_u64_u32 v[28:29], null, 0xfe5163ab, v15, 0
	v_cmp_lt_u32_e32 vcc_lo, 63, v27
	v_cndmask_b32_e64 v34, 0, 0xffffffc0, vcc_lo
	s_delay_alu instid0(VALU_DEP_3) | instskip(NEXT) | instid1(VALU_DEP_2)
	v_mov_b32_e32 v1, v29
	v_add_nc_u32_e32 v27, v34, v27
	s_delay_alu instid0(VALU_DEP_2) | instskip(NEXT) | instid1(VALU_DEP_2)
	v_mad_u64_u32 v[29:30], null, 0x3c439041, v15, v[1:2]
	v_cmp_lt_u32_e64 s6, 31, v27
	s_delay_alu instid0(VALU_DEP_2) | instskip(NEXT) | instid1(VALU_DEP_2)
	v_mov_b32_e32 v1, v30
	v_cndmask_b32_e64 v35, 0, 0xffffffe0, s6
	s_delay_alu instid0(VALU_DEP_2) | instskip(NEXT) | instid1(VALU_DEP_2)
	v_mad_u64_u32 v[30:31], null, 0xdb629599, v15, v[1:2]
	v_add_nc_u32_e32 v27, v35, v27
	s_delay_alu instid0(VALU_DEP_1) | instskip(NEXT) | instid1(VALU_DEP_3)
	v_cmp_lt_u32_e64 s7, 31, v27
	v_dual_mov_b32 v1, v31 :: v_dual_cndmask_b32 v28, v30, v28
	s_delay_alu instid0(VALU_DEP_1) | instskip(NEXT) | instid1(VALU_DEP_1)
	v_mad_u64_u32 v[31:32], null, 0xf534ddc0, v15, v[1:2]
	v_mov_b32_e32 v1, v32
	s_delay_alu instid0(VALU_DEP_1) | instskip(NEXT) | instid1(VALU_DEP_1)
	v_mad_u64_u32 v[32:33], null, 0xfc2757d1, v15, v[1:2]
	v_mov_b32_e32 v1, v33
	;; [unrolled: 3-line block ×3, first 2 shown]
	s_delay_alu instid0(VALU_DEP_1) | instskip(SKIP_1) | instid1(VALU_DEP_4)
	v_mad_u64_u32 v[34:35], null, 0xa2f9836e, v15, v[1:2]
	v_cndmask_b32_e64 v1, 0, 0xffffffe0, s7
	v_cndmask_b32_e32 v15, v33, v31, vcc_lo
	s_delay_alu instid0(VALU_DEP_2) | instskip(NEXT) | instid1(VALU_DEP_4)
	v_dual_cndmask_b32 v34, v34, v32 :: v_dual_add_nc_u32 v1, v1, v27
	v_dual_cndmask_b32 v33, v35, v33 :: v_dual_cndmask_b32 v32, v32, v30
	v_cndmask_b32_e32 v27, v31, v29, vcc_lo
	s_delay_alu instid0(VALU_DEP_3) | instskip(NEXT) | instid1(VALU_DEP_4)
	v_cmp_eq_u32_e64 s8, 0, v1
	v_cndmask_b32_e64 v29, v34, v15, s6
	s_delay_alu instid0(VALU_DEP_4)
	v_cndmask_b32_e64 v31, v33, v34, s6
	v_cndmask_b32_e64 v15, v15, v32, s6
	v_sub_nc_u32_e32 v33, 32, v1
	v_cndmask_b32_e64 v32, v32, v27, s6
	v_cndmask_b32_e64 v27, v27, v28, s6
	;; [unrolled: 1-line block ×4, first 2 shown]
	s_delay_alu instid0(VALU_DEP_4) | instskip(NEXT) | instid1(VALU_DEP_4)
	v_cndmask_b32_e64 v15, v15, v32, s7
	v_cndmask_b32_e64 v27, v32, v27, s7
	s_delay_alu instid0(VALU_DEP_3) | instskip(NEXT) | instid1(VALU_DEP_3)
	v_alignbit_b32 v34, v31, v29, v33
	v_alignbit_b32 v35, v29, v15, v33
	s_delay_alu instid0(VALU_DEP_3) | instskip(NEXT) | instid1(VALU_DEP_3)
	v_alignbit_b32 v33, v15, v27, v33
	v_cndmask_b32_e64 v1, v34, v31, s8
	s_delay_alu instid0(VALU_DEP_3) | instskip(NEXT) | instid1(VALU_DEP_3)
	v_cndmask_b32_e64 v29, v35, v29, s8
	v_cndmask_b32_e64 v15, v33, v15, s8
	s_delay_alu instid0(VALU_DEP_3) | instskip(NEXT) | instid1(VALU_DEP_3)
	v_bfe_u32 v30, v1, 29, 1
	v_alignbit_b32 v28, v1, v29, 30
	s_delay_alu instid0(VALU_DEP_3) | instskip(SKIP_1) | instid1(VALU_DEP_4)
	v_alignbit_b32 v29, v29, v15, 30
	v_alignbit_b32 v15, v15, v27, 30
	v_sub_nc_u32_e32 v31, 0, v30
	s_delay_alu instid0(VALU_DEP_1) | instskip(SKIP_3) | instid1(VALU_DEP_4)
	v_xor_b32_e32 v32, v28, v31
	v_cmp_ne_u32_e32 vcc_lo, v28, v31
	v_xor_b32_e32 v27, v29, v31
	v_xor_b32_e32 v15, v15, v31
	v_clz_i32_u32_e32 v34, v32
	s_delay_alu instid0(VALU_DEP_1) | instskip(NEXT) | instid1(VALU_DEP_1)
	v_add_nc_u32_e32 v33, 1, v34
	v_cndmask_b32_e32 v28, 33, v33, vcc_lo
	s_delay_alu instid0(VALU_DEP_1) | instskip(NEXT) | instid1(VALU_DEP_1)
	v_sub_nc_u32_e32 v29, 32, v28
	v_alignbit_b32 v31, v32, v27, v29
	v_alignbit_b32 v15, v27, v15, v29
	v_lshrrev_b32_e32 v27, 29, v1
	s_delay_alu instid0(VALU_DEP_2) | instskip(NEXT) | instid1(VALU_DEP_2)
	v_alignbit_b32 v29, v31, v15, 9
	v_lshlrev_b32_e32 v27, 31, v27
	v_alignbit_b32 v31, v28, v31, 9
	s_delay_alu instid0(VALU_DEP_3) | instskip(NEXT) | instid1(VALU_DEP_2)
	v_clz_i32_u32_e32 v32, v29
	v_or_b32_e32 v31, v31, v27
	v_or_b32_e32 v27, 0x33800000, v27
	s_delay_alu instid0(VALU_DEP_3) | instskip(NEXT) | instid1(VALU_DEP_3)
	v_min_u32_e32 v32, 32, v32
	v_xor_b32_e32 v31, 1.0, v31
	s_delay_alu instid0(VALU_DEP_2) | instskip(SKIP_1) | instid1(VALU_DEP_3)
	v_sub_nc_u32_e32 v33, 31, v32
	v_add_lshl_u32 v28, v32, v28, 23
	v_mul_f32_e32 v32, 0x3fc90fda, v31
	s_delay_alu instid0(VALU_DEP_3) | instskip(NEXT) | instid1(VALU_DEP_3)
	v_alignbit_b32 v15, v29, v15, v33
	v_sub_nc_u32_e32 v27, v27, v28
	s_delay_alu instid0(VALU_DEP_3) | instskip(NEXT) | instid1(VALU_DEP_3)
	v_fma_f32 v28, 0x3fc90fda, v31, -v32
	v_lshrrev_b32_e32 v15, 9, v15
	s_delay_alu instid0(VALU_DEP_2) | instskip(NEXT) | instid1(VALU_DEP_2)
	v_fmac_f32_e32 v28, 0x33a22168, v31
	v_or_b32_e32 v15, v27, v15
	s_delay_alu instid0(VALU_DEP_1) | instskip(SKIP_1) | instid1(VALU_DEP_1)
	v_fmac_f32_e32 v28, 0x3fc90fda, v15
	v_lshrrev_b32_e32 v15, 30, v1
	v_dual_add_f32 v1, v32, v28 :: v_dual_add_nc_u32 v28, v30, v15
	s_and_not1_saveexec_b32 s6, s33
	s_cbranch_execnz .LBB101_66
	s_branch .LBB101_67
.LBB101_65:                             ;   in Loop: Header=BB101_4 Depth=1
	s_and_not1_saveexec_b32 s6, s33
.LBB101_66:                             ;   in Loop: Header=BB101_4 Depth=1
	v_mul_f32_e64 v1, 0x3f22f983, |v13|
	s_delay_alu instid0(VALU_DEP_1) | instskip(NEXT) | instid1(VALU_DEP_1)
	v_rndne_f32_e32 v15, v1
	v_fma_f32 v1, 0xbfc90fda, v15, |v13|
	v_cvt_i32_f32_e32 v28, v15
	s_delay_alu instid0(VALU_DEP_2) | instskip(NEXT) | instid1(VALU_DEP_1)
	v_fmac_f32_e32 v1, 0xb3a22168, v15
	v_fmac_f32_e32 v1, 0xa7c234c4, v15
.LBB101_67:                             ;   in Loop: Header=BB101_4 Depth=1
	s_or_b32 exec_lo, exec_lo, s6
	v_mul_f32_e32 v15, v12, v12
	v_and_b32_e32 v27, 1, v26
	v_mul_f32_e64 v29, 0xbfb8aa3b, |v14|
	v_lshlrev_b32_e32 v26, 30, v26
	v_mul_f32_e32 v32, v1, v1
	v_fmaak_f32 v30, s27, v15, 0x3c0881c4
	v_fmaak_f32 v31, s28, v15, 0xbab64f3b
	v_rndne_f32_e32 v33, v29
	v_fma_f32 v34, 0xbfb8aa3b, |v14|, -v29
	v_cmp_eq_u32_e32 vcc_lo, 0, v27
	v_dual_fmaak_f32 v30, v15, v30, 0xbe2aaa9d :: v_dual_and_b32 v27, 1, v28
	s_delay_alu instid0(VALU_DEP_4) | instskip(SKIP_2) | instid1(VALU_DEP_4)
	v_sub_f32_e32 v29, v29, v33
	v_fmaak_f32 v35, s27, v32, 0x3c0881c4
	v_fma_f32 v34, 0xb2a5705f, |v14|, v34
	v_mul_f32_e32 v30, v15, v30
	v_fmaak_f32 v31, v15, v31, 0x3d2aabf7
	v_fmaak_f32 v36, s28, v32, 0xbab64f3b
	s_delay_alu instid0(VALU_DEP_4) | instskip(NEXT) | instid1(VALU_DEP_3)
	v_dual_add_f32 v29, v29, v34 :: v_dual_lshlrev_b32 v28, 30, v28
	v_dual_fmac_f32 v12, v12, v30 :: v_dual_fmaak_f32 v31, v15, v31, 0xbf000004
	s_delay_alu instid0(VALU_DEP_2) | instskip(NEXT) | instid1(VALU_DEP_1)
	v_exp_f32_e32 v29, v29
	v_fma_f32 v15, v15, v31, 1.0
	s_delay_alu instid0(VALU_DEP_1) | instskip(NEXT) | instid1(VALU_DEP_1)
	v_dual_fmaak_f32 v35, v32, v35, 0xbe2aaa9d :: v_dual_cndmask_b32 v12, v15, v12
	v_dual_mul_f32 v31, v32, v35 :: v_dual_and_b32 v26, 0x80000000, v26
	v_fmaak_f32 v30, v32, v36, 0x3d2aabf7
	v_cmp_eq_u32_e32 vcc_lo, 0, v27
	s_delay_alu instid0(VALU_DEP_3) | instskip(NEXT) | instid1(VALU_DEP_4)
	v_xor_b32_e32 v16, v16, v26
	v_fmac_f32_e32 v1, v1, v31
	v_cvt_i32_f32_e32 v26, v33
	s_delay_alu instid0(VALU_DEP_3) | instskip(SKIP_1) | instid1(VALU_DEP_3)
	v_xor3_b32 v12, v16, v12, v13
	v_fmaak_f32 v15, v32, v30, 0xbf000004
	v_ldexp_f32 v13, v29, v26
	s_delay_alu instid0(VALU_DEP_3) | instskip(NEXT) | instid1(VALU_DEP_3)
	v_mul_f32_e32 v12, 4.0, v12
	v_fma_f32 v15, v32, v15, 1.0
	s_delay_alu instid0(VALU_DEP_1) | instskip(SKIP_2) | instid1(VALU_DEP_2)
	v_cndmask_b32_e64 v1, -v1, v15, vcc_lo
	v_and_b32_e32 v15, 0x80000000, v28
	v_cmp_nlt_f32_e64 vcc_lo, 0x42ce8ed0, |v14|
	v_xor_b32_e32 v1, v15, v1
	v_cndmask_b32_e32 v13, 0, v13, vcc_lo
	v_cmp_ngt_f32_e64 vcc_lo, 0xc2b17218, |v14|
	s_delay_alu instid0(VALU_DEP_3) | instskip(SKIP_1) | instid1(VALU_DEP_4)
	v_mul_f32_e32 v1, v12, v1
	v_xor_b32_e32 v12, 0x80000000, v14
	v_cndmask_b32_e32 v13, 0x7f800000, v13, vcc_lo
	s_delay_alu instid0(VALU_DEP_2) | instskip(NEXT) | instid1(VALU_DEP_2)
	v_bfi_b32 v15, 0x7fffffff, 1.0, v12
	v_mul_f32_e32 v1, v13, v1
	s_delay_alu instid0(VALU_DEP_1)
	v_mul_f32_e32 v12, v13, v1
.LBB101_68:                             ;   in Loop: Header=BB101_4 Depth=1
	s_or_b32 exec_lo, exec_lo, s31
                                        ; implicit-def: $vgpr13
.LBB101_69:                             ;   in Loop: Header=BB101_4 Depth=1
	s_and_not1_saveexec_b32 s6, s30
; %bb.70:                               ;   in Loop: Header=BB101_4 Depth=1
	v_sub_f32_e32 v12, v13, v13
	s_delay_alu instid0(VALU_DEP_1)
	v_mov_b32_e32 v15, v12
; %bb.71:                               ;   in Loop: Header=BB101_4 Depth=1
	s_or_b32 exec_lo, exec_lo, s6
                                        ; implicit-def: $vgpr14
.LBB101_72:                             ;   in Loop: Header=BB101_4 Depth=1
	s_and_not1_saveexec_b32 s29, s29
	s_cbranch_execz .LBB101_88
; %bb.73:                               ;   in Loop: Header=BB101_4 Depth=1
	v_xor_b32_e32 v15, 0x80000000, v14
	s_mov_b32 s6, exec_lo
                                        ; implicit-def: $vgpr12
	s_delay_alu instid0(VALU_DEP_1) | instskip(NEXT) | instid1(VALU_DEP_1)
	v_and_b32_e32 v1, 0x7fffff, v15
	v_cmpx_ne_u32_e32 0, v1
	s_xor_b32 s6, exec_lo, s6
; %bb.74:                               ;   in Loop: Header=BB101_4 Depth=1
	v_mul_f32_e64 v1, v13, -v14
	v_cmp_eq_f32_e32 vcc_lo, 0, v13
	s_delay_alu instid0(VALU_DEP_2)
	v_cndmask_b32_e32 v12, v1, v13, vcc_lo
                                        ; implicit-def: $vgpr13
; %bb.75:                               ;   in Loop: Header=BB101_4 Depth=1
	s_and_not1_saveexec_b32 s30, s6
	s_cbranch_execz .LBB101_87
; %bb.76:                               ;   in Loop: Header=BB101_4 Depth=1
	s_mov_b32 s31, exec_lo
	v_cmpx_neq_f32_e64 0x7f800000, |v13|
	s_cbranch_execz .LBB101_86
; %bb.77:                               ;   in Loop: Header=BB101_4 Depth=1
	v_and_b32_e32 v12, 0x7fffffff, v13
	v_cmp_ngt_f32_e64 s33, 0x48000000, |v13|
                                        ; implicit-def: $vgpr16
                                        ; implicit-def: $vgpr14
	s_delay_alu instid0(VALU_DEP_2) | instskip(SKIP_1) | instid1(VALU_DEP_2)
	v_lshrrev_b32_e32 v1, 23, v12
	v_and_or_b32 v26, v12, s23, 0x800000
	v_add_nc_u32_e32 v27, 0xffffff88, v1
	s_delay_alu instid0(VALU_DEP_4) | instskip(NEXT) | instid1(SALU_CYCLE_1)
	s_and_saveexec_b32 s6, s33
	s_xor_b32 s34, exec_lo, s6
	s_cbranch_execz .LBB101_79
; %bb.78:                               ;   in Loop: Header=BB101_4 Depth=1
	v_mad_u64_u32 v[28:29], null, 0xfe5163ab, v26, 0
	v_cmp_lt_u32_e32 vcc_lo, 63, v27
	v_cndmask_b32_e64 v14, 0, 0xffffffc0, vcc_lo
	s_delay_alu instid0(VALU_DEP_1) | instskip(NEXT) | instid1(VALU_DEP_1)
	v_dual_mov_b32 v1, v29 :: v_dual_add_nc_u32 v14, v14, v27
	v_mad_u64_u32 v[29:30], null, 0x3c439041, v26, v[1:2]
	s_delay_alu instid0(VALU_DEP_2) | instskip(NEXT) | instid1(VALU_DEP_1)
	v_cmp_lt_u32_e64 s6, 31, v14
	v_cndmask_b32_e64 v16, 0, 0xffffffe0, s6
	s_delay_alu instid0(VALU_DEP_1) | instskip(NEXT) | instid1(VALU_DEP_1)
	v_dual_mov_b32 v1, v30 :: v_dual_add_nc_u32 v14, v16, v14
	v_mad_u64_u32 v[30:31], null, 0xdb629599, v26, v[1:2]
	s_delay_alu instid0(VALU_DEP_2) | instskip(NEXT) | instid1(VALU_DEP_2)
	v_cmp_lt_u32_e64 s7, 31, v14
	v_dual_mov_b32 v1, v31 :: v_dual_cndmask_b32 v28, v30, v28
	s_delay_alu instid0(VALU_DEP_1) | instskip(NEXT) | instid1(VALU_DEP_1)
	v_mad_u64_u32 v[31:32], null, 0xf534ddc0, v26, v[1:2]
	v_mov_b32_e32 v1, v32
	s_delay_alu instid0(VALU_DEP_1) | instskip(NEXT) | instid1(VALU_DEP_1)
	v_mad_u64_u32 v[32:33], null, 0xfc2757d1, v26, v[1:2]
	v_mov_b32_e32 v1, v33
	s_delay_alu instid0(VALU_DEP_1) | instskip(NEXT) | instid1(VALU_DEP_1)
	v_mad_u64_u32 v[33:34], null, 0x4e441529, v26, v[1:2]
	v_dual_mov_b32 v1, v34 :: v_dual_cndmask_b32 v16, v33, v31
	s_delay_alu instid0(VALU_DEP_1) | instskip(SKIP_1) | instid1(VALU_DEP_1)
	v_mad_u64_u32 v[34:35], null, 0xa2f9836e, v26, v[1:2]
	v_cndmask_b32_e64 v1, 0, 0xffffffe0, s7
	v_dual_cndmask_b32 v34, v34, v32 :: v_dual_add_nc_u32 v1, v1, v14
	s_delay_alu instid0(VALU_DEP_3) | instskip(SKIP_1) | instid1(VALU_DEP_3)
	v_dual_cndmask_b32 v33, v35, v33 :: v_dual_cndmask_b32 v32, v32, v30
	v_cndmask_b32_e32 v14, v31, v29, vcc_lo
	v_cmp_eq_u32_e64 s8, 0, v1
	s_delay_alu instid0(VALU_DEP_4) | instskip(NEXT) | instid1(VALU_DEP_4)
	v_cndmask_b32_e64 v29, v34, v16, s6
	v_cndmask_b32_e64 v31, v33, v34, s6
	;; [unrolled: 1-line block ×3, first 2 shown]
	v_sub_nc_u32_e32 v33, 32, v1
	v_cndmask_b32_e64 v32, v32, v14, s6
	v_cndmask_b32_e64 v14, v14, v28, s6
	;; [unrolled: 1-line block ×4, first 2 shown]
	s_delay_alu instid0(VALU_DEP_4) | instskip(NEXT) | instid1(VALU_DEP_4)
	v_cndmask_b32_e64 v16, v16, v32, s7
	v_cndmask_b32_e64 v14, v32, v14, s7
	s_delay_alu instid0(VALU_DEP_3) | instskip(NEXT) | instid1(VALU_DEP_3)
	v_alignbit_b32 v34, v31, v29, v33
	v_alignbit_b32 v35, v29, v16, v33
	s_delay_alu instid0(VALU_DEP_3) | instskip(NEXT) | instid1(VALU_DEP_3)
	v_alignbit_b32 v33, v16, v14, v33
	v_cndmask_b32_e64 v1, v34, v31, s8
	s_delay_alu instid0(VALU_DEP_3) | instskip(NEXT) | instid1(VALU_DEP_3)
	v_cndmask_b32_e64 v29, v35, v29, s8
	v_cndmask_b32_e64 v16, v33, v16, s8
	s_delay_alu instid0(VALU_DEP_3) | instskip(NEXT) | instid1(VALU_DEP_3)
	v_bfe_u32 v30, v1, 29, 1
	v_alignbit_b32 v28, v1, v29, 30
	s_delay_alu instid0(VALU_DEP_3) | instskip(SKIP_1) | instid1(VALU_DEP_4)
	v_alignbit_b32 v29, v29, v16, 30
	v_alignbit_b32 v14, v16, v14, 30
	v_sub_nc_u32_e32 v31, 0, v30
	s_delay_alu instid0(VALU_DEP_1) | instskip(SKIP_3) | instid1(VALU_DEP_4)
	v_xor_b32_e32 v32, v28, v31
	v_cmp_ne_u32_e32 vcc_lo, v28, v31
	v_xor_b32_e32 v16, v29, v31
	v_xor_b32_e32 v14, v14, v31
	v_clz_i32_u32_e32 v34, v32
	s_delay_alu instid0(VALU_DEP_1) | instskip(NEXT) | instid1(VALU_DEP_1)
	v_add_nc_u32_e32 v33, 1, v34
	v_cndmask_b32_e32 v28, 33, v33, vcc_lo
	s_delay_alu instid0(VALU_DEP_1) | instskip(NEXT) | instid1(VALU_DEP_1)
	v_sub_nc_u32_e32 v29, 32, v28
	v_alignbit_b32 v31, v32, v16, v29
	v_alignbit_b32 v14, v16, v14, v29
	v_lshrrev_b32_e32 v16, 29, v1
	v_lshrrev_b32_e32 v1, 30, v1
	s_delay_alu instid0(VALU_DEP_3) | instskip(NEXT) | instid1(VALU_DEP_3)
	v_alignbit_b32 v29, v31, v14, 9
	v_lshlrev_b32_e32 v16, 31, v16
	v_alignbit_b32 v31, v28, v31, 9
	s_delay_alu instid0(VALU_DEP_3) | instskip(NEXT) | instid1(VALU_DEP_2)
	v_clz_i32_u32_e32 v32, v29
	v_or_b32_e32 v31, v31, v16
	v_or_b32_e32 v16, 0x33800000, v16
	s_delay_alu instid0(VALU_DEP_3) | instskip(NEXT) | instid1(VALU_DEP_3)
	v_min_u32_e32 v32, 32, v32
	v_xor_b32_e32 v31, 1.0, v31
	s_delay_alu instid0(VALU_DEP_2) | instskip(SKIP_1) | instid1(VALU_DEP_3)
	v_sub_nc_u32_e32 v33, 31, v32
	v_add_lshl_u32 v28, v32, v28, 23
	v_mul_f32_e32 v32, 0x3fc90fda, v31
	s_delay_alu instid0(VALU_DEP_3) | instskip(NEXT) | instid1(VALU_DEP_3)
	v_alignbit_b32 v14, v29, v14, v33
	v_sub_nc_u32_e32 v16, v16, v28
	s_delay_alu instid0(VALU_DEP_3) | instskip(NEXT) | instid1(VALU_DEP_3)
	v_fma_f32 v28, 0x3fc90fda, v31, -v32
	v_lshrrev_b32_e32 v14, 9, v14
	s_delay_alu instid0(VALU_DEP_2) | instskip(NEXT) | instid1(VALU_DEP_2)
	v_fmac_f32_e32 v28, 0x33a22168, v31
	v_or_b32_e32 v14, v16, v14
	v_add_nc_u32_e32 v16, v30, v1
	s_delay_alu instid0(VALU_DEP_2) | instskip(NEXT) | instid1(VALU_DEP_1)
	v_fmac_f32_e32 v28, 0x3fc90fda, v14
	v_add_f32_e32 v14, v32, v28
.LBB101_79:                             ;   in Loop: Header=BB101_4 Depth=1
	s_or_saveexec_b32 s6, s34
	v_mul_f32_e64 v1, 0x3f22f983, |v13|
	s_delay_alu instid0(VALU_DEP_1)
	v_rndne_f32_e32 v29, v1
	s_xor_b32 exec_lo, exec_lo, s6
; %bb.80:                               ;   in Loop: Header=BB101_4 Depth=1
	s_delay_alu instid0(VALU_DEP_1) | instskip(SKIP_1) | instid1(VALU_DEP_2)
	v_fma_f32 v14, 0xbfc90fda, v29, |v13|
	v_cvt_i32_f32_e32 v16, v29
	v_fmac_f32_e32 v14, 0xb3a22168, v29
	s_delay_alu instid0(VALU_DEP_1)
	v_fmac_f32_e32 v14, 0xa7c234c4, v29
; %bb.81:                               ;   in Loop: Header=BB101_4 Depth=1
	s_or_b32 exec_lo, exec_lo, s6
                                        ; implicit-def: $vgpr28
                                        ; implicit-def: $vgpr1
	s_and_saveexec_b32 s6, s33
	s_delay_alu instid0(SALU_CYCLE_1)
	s_xor_b32 s33, exec_lo, s6
	s_cbranch_execz .LBB101_83
; %bb.82:                               ;   in Loop: Header=BB101_4 Depth=1
	v_mad_u64_u32 v[28:29], null, 0xfe5163ab, v26, 0
	v_cmp_lt_u32_e32 vcc_lo, 63, v27
	v_cndmask_b32_e64 v34, 0, 0xffffffc0, vcc_lo
	s_delay_alu instid0(VALU_DEP_3) | instskip(NEXT) | instid1(VALU_DEP_2)
	v_mov_b32_e32 v1, v29
	v_add_nc_u32_e32 v27, v34, v27
	s_delay_alu instid0(VALU_DEP_2) | instskip(NEXT) | instid1(VALU_DEP_2)
	v_mad_u64_u32 v[29:30], null, 0x3c439041, v26, v[1:2]
	v_cmp_lt_u32_e64 s6, 31, v27
	s_delay_alu instid0(VALU_DEP_2) | instskip(NEXT) | instid1(VALU_DEP_2)
	v_mov_b32_e32 v1, v30
	v_cndmask_b32_e64 v35, 0, 0xffffffe0, s6
	s_delay_alu instid0(VALU_DEP_2) | instskip(NEXT) | instid1(VALU_DEP_2)
	v_mad_u64_u32 v[30:31], null, 0xdb629599, v26, v[1:2]
	v_add_nc_u32_e32 v27, v35, v27
	s_delay_alu instid0(VALU_DEP_1) | instskip(NEXT) | instid1(VALU_DEP_3)
	v_cmp_lt_u32_e64 s7, 31, v27
	v_dual_mov_b32 v1, v31 :: v_dual_cndmask_b32 v28, v30, v28
	s_delay_alu instid0(VALU_DEP_1) | instskip(NEXT) | instid1(VALU_DEP_1)
	v_mad_u64_u32 v[31:32], null, 0xf534ddc0, v26, v[1:2]
	v_mov_b32_e32 v1, v32
	s_delay_alu instid0(VALU_DEP_1) | instskip(NEXT) | instid1(VALU_DEP_1)
	v_mad_u64_u32 v[32:33], null, 0xfc2757d1, v26, v[1:2]
	v_mov_b32_e32 v1, v33
	;; [unrolled: 3-line block ×3, first 2 shown]
	s_delay_alu instid0(VALU_DEP_1) | instskip(SKIP_1) | instid1(VALU_DEP_4)
	v_mad_u64_u32 v[34:35], null, 0xa2f9836e, v26, v[1:2]
	v_cndmask_b32_e64 v1, 0, 0xffffffe0, s7
	v_cndmask_b32_e32 v26, v33, v31, vcc_lo
	s_delay_alu instid0(VALU_DEP_2) | instskip(NEXT) | instid1(VALU_DEP_4)
	v_dual_cndmask_b32 v34, v34, v32 :: v_dual_add_nc_u32 v1, v1, v27
	v_dual_cndmask_b32 v33, v35, v33 :: v_dual_cndmask_b32 v32, v32, v30
	v_cndmask_b32_e32 v27, v31, v29, vcc_lo
	s_delay_alu instid0(VALU_DEP_3) | instskip(NEXT) | instid1(VALU_DEP_4)
	v_cmp_eq_u32_e64 s8, 0, v1
	v_cndmask_b32_e64 v29, v34, v26, s6
	s_delay_alu instid0(VALU_DEP_4)
	v_cndmask_b32_e64 v31, v33, v34, s6
	v_cndmask_b32_e64 v26, v26, v32, s6
	v_sub_nc_u32_e32 v33, 32, v1
	v_cndmask_b32_e64 v32, v32, v27, s6
	v_cndmask_b32_e64 v27, v27, v28, s6
	;; [unrolled: 1-line block ×4, first 2 shown]
	s_delay_alu instid0(VALU_DEP_4) | instskip(NEXT) | instid1(VALU_DEP_4)
	v_cndmask_b32_e64 v26, v26, v32, s7
	v_cndmask_b32_e64 v27, v32, v27, s7
	s_delay_alu instid0(VALU_DEP_3) | instskip(NEXT) | instid1(VALU_DEP_3)
	v_alignbit_b32 v34, v31, v29, v33
	v_alignbit_b32 v35, v29, v26, v33
	s_delay_alu instid0(VALU_DEP_3) | instskip(NEXT) | instid1(VALU_DEP_3)
	v_alignbit_b32 v33, v26, v27, v33
	v_cndmask_b32_e64 v1, v34, v31, s8
	s_delay_alu instid0(VALU_DEP_3) | instskip(NEXT) | instid1(VALU_DEP_3)
	v_cndmask_b32_e64 v29, v35, v29, s8
	v_cndmask_b32_e64 v26, v33, v26, s8
	s_delay_alu instid0(VALU_DEP_3) | instskip(NEXT) | instid1(VALU_DEP_3)
	v_bfe_u32 v30, v1, 29, 1
	v_alignbit_b32 v28, v1, v29, 30
	s_delay_alu instid0(VALU_DEP_3) | instskip(SKIP_1) | instid1(VALU_DEP_4)
	v_alignbit_b32 v29, v29, v26, 30
	v_alignbit_b32 v26, v26, v27, 30
	v_sub_nc_u32_e32 v31, 0, v30
	s_delay_alu instid0(VALU_DEP_1) | instskip(SKIP_3) | instid1(VALU_DEP_4)
	v_xor_b32_e32 v32, v28, v31
	v_cmp_ne_u32_e32 vcc_lo, v28, v31
	v_xor_b32_e32 v27, v29, v31
	v_xor_b32_e32 v26, v26, v31
	v_clz_i32_u32_e32 v34, v32
	s_delay_alu instid0(VALU_DEP_1) | instskip(NEXT) | instid1(VALU_DEP_1)
	v_add_nc_u32_e32 v33, 1, v34
	v_cndmask_b32_e32 v28, 33, v33, vcc_lo
	s_delay_alu instid0(VALU_DEP_1) | instskip(NEXT) | instid1(VALU_DEP_1)
	v_sub_nc_u32_e32 v29, 32, v28
	v_alignbit_b32 v31, v32, v27, v29
	v_alignbit_b32 v26, v27, v26, v29
	v_lshrrev_b32_e32 v27, 29, v1
	s_delay_alu instid0(VALU_DEP_2) | instskip(NEXT) | instid1(VALU_DEP_2)
	v_alignbit_b32 v29, v31, v26, 9
	v_lshlrev_b32_e32 v27, 31, v27
	v_alignbit_b32 v31, v28, v31, 9
	s_delay_alu instid0(VALU_DEP_3) | instskip(NEXT) | instid1(VALU_DEP_2)
	v_clz_i32_u32_e32 v32, v29
	v_or_b32_e32 v31, v31, v27
	v_or_b32_e32 v27, 0x33800000, v27
	s_delay_alu instid0(VALU_DEP_3) | instskip(NEXT) | instid1(VALU_DEP_3)
	v_min_u32_e32 v32, 32, v32
	v_xor_b32_e32 v31, 1.0, v31
	s_delay_alu instid0(VALU_DEP_2) | instskip(SKIP_1) | instid1(VALU_DEP_3)
	v_sub_nc_u32_e32 v33, 31, v32
	v_add_lshl_u32 v28, v32, v28, 23
	v_mul_f32_e32 v32, 0x3fc90fda, v31
	s_delay_alu instid0(VALU_DEP_3) | instskip(NEXT) | instid1(VALU_DEP_3)
	v_alignbit_b32 v26, v29, v26, v33
	v_sub_nc_u32_e32 v27, v27, v28
	s_delay_alu instid0(VALU_DEP_3) | instskip(NEXT) | instid1(VALU_DEP_3)
	v_fma_f32 v28, 0x3fc90fda, v31, -v32
                                        ; implicit-def: $vgpr29
	v_lshrrev_b32_e32 v26, 9, v26
	s_delay_alu instid0(VALU_DEP_2) | instskip(NEXT) | instid1(VALU_DEP_2)
	v_fmac_f32_e32 v28, 0x33a22168, v31
	v_or_b32_e32 v26, v27, v26
	s_delay_alu instid0(VALU_DEP_1) | instskip(SKIP_1) | instid1(VALU_DEP_1)
	v_fmac_f32_e32 v28, 0x3fc90fda, v26
	v_lshrrev_b32_e32 v26, 30, v1
	v_dual_add_f32 v1, v32, v28 :: v_dual_add_nc_u32 v28, v30, v26
	s_and_not1_saveexec_b32 s6, s33
	s_cbranch_execnz .LBB101_84
	s_branch .LBB101_85
.LBB101_83:                             ;   in Loop: Header=BB101_4 Depth=1
	s_and_not1_saveexec_b32 s6, s33
.LBB101_84:                             ;   in Loop: Header=BB101_4 Depth=1
	v_fma_f32 v1, 0xbfc90fda, v29, |v13|
	v_cvt_i32_f32_e32 v28, v29
	s_delay_alu instid0(VALU_DEP_2) | instskip(NEXT) | instid1(VALU_DEP_1)
	v_fmac_f32_e32 v1, 0xb3a22168, v29
	v_fmac_f32_e32 v1, 0xa7c234c4, v29
.LBB101_85:                             ;   in Loop: Header=BB101_4 Depth=1
	s_or_b32 exec_lo, exec_lo, s6
	v_dual_mul_f32 v26, v14, v14 :: v_dual_and_b32 v27, 1, v16
	s_delay_alu instid0(VALU_DEP_2) | instskip(SKIP_1) | instid1(VALU_DEP_3)
	v_dual_mul_f32 v29, v1, v1 :: v_dual_lshlrev_b32 v16, 30, v16
	v_and_b32_e32 v32, 1, v28
	v_fmaak_f32 v30, s27, v26, 0x3c0881c4
	v_fmaak_f32 v31, s28, v26, 0xbab64f3b
	s_delay_alu instid0(VALU_DEP_4) | instskip(SKIP_4) | instid1(VALU_DEP_2)
	v_fmaak_f32 v33, s27, v29, 0x3c0881c4
	v_cmp_eq_u32_e32 vcc_lo, 0, v27
	v_fmaak_f32 v34, s28, v29, 0xbab64f3b
	v_fmaak_f32 v30, v26, v30, 0xbe2aaa9d
	v_dual_fmaak_f32 v31, v26, v31, 0x3d2aabf7 :: v_dual_lshlrev_b32 v28, 30, v28
	v_dual_fmaak_f32 v33, v29, v33, 0xbe2aaa9d :: v_dual_mul_f32 v30, v26, v30
	s_delay_alu instid0(VALU_DEP_2) | instskip(NEXT) | instid1(VALU_DEP_2)
	v_fmaak_f32 v31, v26, v31, 0xbf000004
	v_dual_mul_f32 v33, v29, v33 :: v_dual_and_b32 v16, 0x80000000, v16
	s_delay_alu instid0(VALU_DEP_3) | instskip(NEXT) | instid1(VALU_DEP_3)
	v_fmac_f32_e32 v14, v14, v30
	v_fma_f32 v26, v26, v31, 1.0
	s_delay_alu instid0(VALU_DEP_3) | instskip(NEXT) | instid1(VALU_DEP_4)
	v_fmac_f32_e32 v1, v1, v33
	v_xor_b32_e32 v12, v12, v16
	s_delay_alu instid0(VALU_DEP_3) | instskip(SKIP_2) | instid1(VALU_DEP_3)
	v_cndmask_b32_e32 v14, v26, v14, vcc_lo
	v_cmp_eq_u32_e32 vcc_lo, 0, v32
	v_and_b32_e32 v26, 0x80000000, v28
	v_xor3_b32 v12, v12, v14, v13
	v_fmaak_f32 v34, v29, v34, 0x3d2aabf7
	s_delay_alu instid0(VALU_DEP_1) | instskip(NEXT) | instid1(VALU_DEP_1)
	v_fmaak_f32 v34, v29, v34, 0xbf000004
	v_fma_f32 v16, v29, v34, 1.0
	s_delay_alu instid0(VALU_DEP_1) | instskip(SKIP_1) | instid1(VALU_DEP_2)
	v_cndmask_b32_e64 v1, -v1, v16, vcc_lo
	v_cmp_class_f32_e64 vcc_lo, v13, 0x1f8
	v_xor_b32_e32 v1, v26, v1
	s_delay_alu instid0(VALU_DEP_1) | instskip(NEXT) | instid1(VALU_DEP_1)
	v_mul_f32_e32 v1, v12, v1
	v_cndmask_b32_e32 v13, 0x7fc00000, v1, vcc_lo
.LBB101_86:                             ;   in Loop: Header=BB101_4 Depth=1
	s_or_b32 exec_lo, exec_lo, s31
	v_add_nc_u32_e32 v15, -2.0, v15
	s_delay_alu instid0(VALU_DEP_2)
	v_bfi_b32 v12, 0x7fffffff, 0, v13
.LBB101_87:                             ;   in Loop: Header=BB101_4 Depth=1
	s_or_b32 exec_lo, exec_lo, s30
.LBB101_88:                             ;   in Loop: Header=BB101_4 Depth=1
	s_delay_alu instid0(SALU_CYCLE_1) | instskip(SKIP_2) | instid1(VALU_DEP_1)
	s_or_b32 exec_lo, exec_lo, s29
	v_and_b32_e32 v1, 0x7fffffff, v11
                                        ; implicit-def: $vgpr14
                                        ; implicit-def: $vgpr16
	s_mov_b32 s6, exec_lo
	v_cmpx_gt_u32_e32 0x7f800000, v1
	s_xor_b32 s29, exec_lo, s6
	s_cbranch_execz .LBB101_110
; %bb.89:                               ;   in Loop: Header=BB101_4 Depth=1
	v_cmp_class_f32_e64 s6, v10, 0x1f8
                                        ; implicit-def: $vgpr14
                                        ; implicit-def: $vgpr16
	s_delay_alu instid0(VALU_DEP_1) | instskip(NEXT) | instid1(SALU_CYCLE_1)
	s_and_saveexec_b32 s7, s6
	s_xor_b32 s30, exec_lo, s7
	s_cbranch_execz .LBB101_107
; %bb.90:                               ;   in Loop: Header=BB101_4 Depth=1
	v_and_b32_e32 v13, 0x7fffffff, v10
                                        ; implicit-def: $vgpr14
                                        ; implicit-def: $vgpr16
	s_mov_b32 s6, exec_lo
	v_cmpx_gt_u32_e32 0x41300000, v1
	s_xor_b32 s31, exec_lo, s6
	s_cbranch_execz .LBB101_96
; %bb.91:                               ;   in Loop: Header=BB101_4 Depth=1
                                        ; implicit-def: $vgpr1
                                        ; implicit-def: $vgpr14
	s_mov_b32 s7, exec_lo
	v_cmpx_ngt_f32_e64 0x48000000, |v10|
	s_xor_b32 s33, exec_lo, s7
	s_cbranch_execz .LBB101_93
; %bb.92:                               ;   in Loop: Header=BB101_4 Depth=1
	v_and_or_b32 v14, v13, s23, 0x800000
	v_lshrrev_b32_e32 v16, 23, v13
	s_delay_alu instid0(VALU_DEP_2) | instskip(NEXT) | instid1(VALU_DEP_2)
	v_mad_u64_u32 v[26:27], null, 0xfe5163ab, v14, 0
	v_add_nc_u32_e32 v16, 0xffffff88, v16
	s_delay_alu instid0(VALU_DEP_1) | instskip(NEXT) | instid1(VALU_DEP_3)
	v_cmp_lt_u32_e32 vcc_lo, 63, v16
	v_mov_b32_e32 v1, v27
	v_cndmask_b32_e64 v32, 0, 0xffffffc0, vcc_lo
	s_delay_alu instid0(VALU_DEP_2) | instskip(NEXT) | instid1(VALU_DEP_2)
	v_mad_u64_u32 v[27:28], null, 0x3c439041, v14, v[1:2]
	v_add_nc_u32_e32 v16, v32, v16
	s_delay_alu instid0(VALU_DEP_1) | instskip(NEXT) | instid1(VALU_DEP_1)
	v_cmp_lt_u32_e64 s6, 31, v16
	v_cndmask_b32_e64 v33, 0, 0xffffffe0, s6
	s_delay_alu instid0(VALU_DEP_1) | instskip(NEXT) | instid1(VALU_DEP_1)
	v_dual_mov_b32 v1, v28 :: v_dual_add_nc_u32 v16, v33, v16
	v_mad_u64_u32 v[28:29], null, 0xdb629599, v14, v[1:2]
	s_delay_alu instid0(VALU_DEP_2) | instskip(NEXT) | instid1(VALU_DEP_2)
	v_cmp_lt_u32_e64 s7, 31, v16
	v_dual_mov_b32 v1, v29 :: v_dual_cndmask_b32 v26, v28, v26
	s_delay_alu instid0(VALU_DEP_1) | instskip(NEXT) | instid1(VALU_DEP_1)
	v_mad_u64_u32 v[29:30], null, 0xf534ddc0, v14, v[1:2]
	v_mov_b32_e32 v1, v30
	s_delay_alu instid0(VALU_DEP_1) | instskip(NEXT) | instid1(VALU_DEP_1)
	v_mad_u64_u32 v[30:31], null, 0xfc2757d1, v14, v[1:2]
	v_mov_b32_e32 v1, v31
	;; [unrolled: 3-line block ×3, first 2 shown]
	s_delay_alu instid0(VALU_DEP_1) | instskip(SKIP_1) | instid1(VALU_DEP_1)
	v_mad_u64_u32 v[32:33], null, 0xa2f9836e, v14, v[1:2]
	v_cndmask_b32_e64 v1, 0, 0xffffffe0, s7
	v_dual_cndmask_b32 v14, v31, v29 :: v_dual_add_nc_u32 v1, v1, v16
	v_cndmask_b32_e32 v16, v29, v27, vcc_lo
	s_delay_alu instid0(VALU_DEP_4) | instskip(SKIP_1) | instid1(VALU_DEP_4)
	v_dual_cndmask_b32 v32, v32, v30 :: v_dual_cndmask_b32 v31, v33, v31
	v_cndmask_b32_e32 v30, v30, v28, vcc_lo
	v_cmp_eq_u32_e64 s8, 0, v1
	s_delay_alu instid0(VALU_DEP_3) | instskip(NEXT) | instid1(VALU_DEP_4)
	v_cndmask_b32_e64 v27, v32, v14, s6
	v_cndmask_b32_e64 v29, v31, v32, s6
	s_delay_alu instid0(VALU_DEP_4)
	v_cndmask_b32_e64 v14, v14, v30, s6
	v_sub_nc_u32_e32 v31, 32, v1
	v_cndmask_b32_e64 v30, v30, v16, s6
	v_cndmask_b32_e64 v16, v16, v26, s6
	v_cndmask_b32_e64 v29, v29, v27, s7
	v_cndmask_b32_e64 v27, v27, v14, s7
	s_delay_alu instid0(VALU_DEP_4) | instskip(NEXT) | instid1(VALU_DEP_4)
	v_cndmask_b32_e64 v14, v14, v30, s7
	v_cndmask_b32_e64 v16, v30, v16, s7
	s_delay_alu instid0(VALU_DEP_3) | instskip(NEXT) | instid1(VALU_DEP_3)
	v_alignbit_b32 v32, v29, v27, v31
	v_alignbit_b32 v33, v27, v14, v31
	s_delay_alu instid0(VALU_DEP_3) | instskip(NEXT) | instid1(VALU_DEP_3)
	v_alignbit_b32 v31, v14, v16, v31
	v_cndmask_b32_e64 v1, v32, v29, s8
	s_delay_alu instid0(VALU_DEP_3) | instskip(NEXT) | instid1(VALU_DEP_3)
	v_cndmask_b32_e64 v27, v33, v27, s8
	v_cndmask_b32_e64 v14, v31, v14, s8
	s_delay_alu instid0(VALU_DEP_3) | instskip(NEXT) | instid1(VALU_DEP_3)
	v_bfe_u32 v28, v1, 29, 1
	v_alignbit_b32 v26, v1, v27, 30
	s_delay_alu instid0(VALU_DEP_3) | instskip(SKIP_1) | instid1(VALU_DEP_4)
	v_alignbit_b32 v27, v27, v14, 30
	v_alignbit_b32 v14, v14, v16, 30
	v_sub_nc_u32_e32 v29, 0, v28
	s_delay_alu instid0(VALU_DEP_1) | instskip(SKIP_3) | instid1(VALU_DEP_4)
	v_xor_b32_e32 v30, v26, v29
	v_cmp_ne_u32_e32 vcc_lo, v26, v29
	v_xor_b32_e32 v16, v27, v29
	v_xor_b32_e32 v14, v14, v29
	v_clz_i32_u32_e32 v32, v30
	s_delay_alu instid0(VALU_DEP_1) | instskip(NEXT) | instid1(VALU_DEP_1)
	v_add_nc_u32_e32 v31, 1, v32
	v_cndmask_b32_e32 v26, 33, v31, vcc_lo
	s_delay_alu instid0(VALU_DEP_1) | instskip(NEXT) | instid1(VALU_DEP_1)
	v_sub_nc_u32_e32 v27, 32, v26
	v_alignbit_b32 v29, v30, v16, v27
	v_alignbit_b32 v14, v16, v14, v27
	v_lshrrev_b32_e32 v16, 29, v1
	v_lshrrev_b32_e32 v1, 30, v1
	s_delay_alu instid0(VALU_DEP_3) | instskip(NEXT) | instid1(VALU_DEP_3)
	v_alignbit_b32 v27, v29, v14, 9
	v_lshlrev_b32_e32 v16, 31, v16
	s_delay_alu instid0(VALU_DEP_3) | instskip(SKIP_1) | instid1(VALU_DEP_4)
	v_add_nc_u32_e32 v1, v28, v1
	v_alignbit_b32 v29, v26, v29, 9
	v_clz_i32_u32_e32 v30, v27
	s_delay_alu instid0(VALU_DEP_2) | instskip(SKIP_1) | instid1(VALU_DEP_3)
	v_or_b32_e32 v29, v29, v16
	v_or_b32_e32 v16, 0x33800000, v16
	v_min_u32_e32 v30, 32, v30
	s_delay_alu instid0(VALU_DEP_3) | instskip(NEXT) | instid1(VALU_DEP_2)
	v_xor_b32_e32 v29, 1.0, v29
	v_sub_nc_u32_e32 v31, 31, v30
	v_add_lshl_u32 v26, v30, v26, 23
	s_delay_alu instid0(VALU_DEP_3) | instskip(NEXT) | instid1(VALU_DEP_3)
	v_mul_f32_e32 v30, 0x3fc90fda, v29
	v_alignbit_b32 v14, v27, v14, v31
	s_delay_alu instid0(VALU_DEP_3) | instskip(NEXT) | instid1(VALU_DEP_3)
	v_sub_nc_u32_e32 v16, v16, v26
	v_fma_f32 v26, 0x3fc90fda, v29, -v30
	s_delay_alu instid0(VALU_DEP_3) | instskip(NEXT) | instid1(VALU_DEP_2)
	v_lshrrev_b32_e32 v14, 9, v14
	v_fmac_f32_e32 v26, 0x33a22168, v29
	s_delay_alu instid0(VALU_DEP_2) | instskip(NEXT) | instid1(VALU_DEP_1)
	v_or_b32_e32 v14, v16, v14
	v_fmac_f32_e32 v26, 0x3fc90fda, v14
	s_delay_alu instid0(VALU_DEP_1)
	v_add_f32_e32 v14, v30, v26
.LBB101_93:                             ;   in Loop: Header=BB101_4 Depth=1
	s_and_not1_saveexec_b32 s6, s33
; %bb.94:                               ;   in Loop: Header=BB101_4 Depth=1
	v_mul_f32_e64 v1, 0x3f22f983, |v10|
	s_delay_alu instid0(VALU_DEP_1) | instskip(NEXT) | instid1(VALU_DEP_1)
	v_rndne_f32_e32 v1, v1
	v_fma_f32 v14, 0xbfc90fda, v1, |v10|
	s_delay_alu instid0(VALU_DEP_1) | instskip(NEXT) | instid1(VALU_DEP_1)
	v_fmac_f32_e32 v14, 0xb3a22168, v1
	v_fmac_f32_e32 v14, 0xa7c234c4, v1
	v_cvt_i32_f32_e32 v1, v1
; %bb.95:                               ;   in Loop: Header=BB101_4 Depth=1
	s_or_b32 exec_lo, exec_lo, s6
	v_add_f32_e64 v16, 0xbf317218, |v11|
	v_cmp_nlt_f32_e64 vcc_lo, 0x42b2d4fc, |v11|
	v_cmp_gt_f32_e64 s6, 0x39800000, |v11|
	v_and_b32_e32 v1, 1, v1
	s_delay_alu instid0(VALU_DEP_4) | instskip(NEXT) | instid1(VALU_DEP_1)
	v_sub_f32_e64 v26, v16, |v11|
	v_dual_sub_f32 v27, v26, v16 :: v_dual_add_f32 v26, 0x3f317218, v26
	s_delay_alu instid0(VALU_DEP_1) | instskip(NEXT) | instid1(VALU_DEP_1)
	v_add_f32_e64 v27, |v11|, v27
	v_sub_f32_e32 v26, v27, v26
	s_delay_alu instid0(VALU_DEP_1) | instskip(NEXT) | instid1(VALU_DEP_1)
	v_add_f32_e32 v26, 0x3102e308, v26
	v_add_f32_e32 v27, v16, v26
	s_delay_alu instid0(VALU_DEP_1) | instskip(NEXT) | instid1(VALU_DEP_1)
	v_sub_f32_e32 v16, v16, v27
	v_add_f32_e32 v16, v26, v16
	v_mul_f32_e32 v28, 0x3fb8aa3b, v27
	s_delay_alu instid0(VALU_DEP_1) | instskip(NEXT) | instid1(VALU_DEP_1)
	v_rndne_f32_e32 v28, v28
	v_fmac_f32_e32 v27, 0xbf317200, v28
	s_delay_alu instid0(VALU_DEP_1) | instskip(NEXT) | instid1(VALU_DEP_1)
	v_dual_mul_f32 v26, 0x35bfbc00, v28 :: v_dual_add_f32 v29, v16, v27
	v_dual_sub_f32 v30, v29, v26 :: v_dual_sub_f32 v27, v27, v29
	s_delay_alu instid0(VALU_DEP_1) | instskip(NEXT) | instid1(VALU_DEP_1)
	v_dual_sub_f32 v29, v29, v30 :: v_dual_add_f32 v16, v16, v27
	v_sub_f32_e32 v26, v29, v26
	s_delay_alu instid0(VALU_DEP_1) | instskip(SKIP_1) | instid1(VALU_DEP_2)
	v_add_f32_e32 v16, v16, v26
	v_mul_f32_e32 v26, 0x2ea39ef3, v28
	v_add_f32_e32 v27, v30, v16
	s_delay_alu instid0(VALU_DEP_1) | instskip(NEXT) | instid1(VALU_DEP_1)
	v_dual_sub_f32 v29, v27, v26 :: v_dual_sub_f32 v30, v30, v27
	v_dual_sub_f32 v27, v27, v29 :: v_dual_add_f32 v16, v16, v30
	s_delay_alu instid0(VALU_DEP_1) | instskip(NEXT) | instid1(VALU_DEP_1)
	v_sub_f32_e32 v26, v27, v26
	v_add_f32_e32 v16, v16, v26
	s_delay_alu instid0(VALU_DEP_1) | instskip(NEXT) | instid1(VALU_DEP_1)
	v_add_f32_e32 v26, v29, v16
	v_sub_f32_e32 v27, v29, v26
	s_delay_alu instid0(VALU_DEP_1) | instskip(NEXT) | instid1(VALU_DEP_1)
	v_dual_mul_f32 v29, v26, v26 :: v_dual_add_f32 v16, v16, v27
	v_fma_f32 v30, v26, v26, -v29
	s_delay_alu instid0(VALU_DEP_2) | instskip(NEXT) | instid1(VALU_DEP_1)
	v_add_f32_e32 v31, v16, v16
	v_fmac_f32_e32 v30, v26, v31
	s_delay_alu instid0(VALU_DEP_1) | instskip(NEXT) | instid1(VALU_DEP_1)
	v_add_f32_e32 v31, v29, v30
	v_sub_f32_e32 v29, v31, v29
	v_fmaak_f32 v27, s26, v26, 0x3c091de6
	s_delay_alu instid0(VALU_DEP_2) | instskip(NEXT) | instid1(VALU_DEP_2)
	v_sub_f32_e32 v29, v30, v29
	v_fmaak_f32 v27, v26, v27, 0x3d2aadcc
	s_delay_alu instid0(VALU_DEP_1) | instskip(NEXT) | instid1(VALU_DEP_1)
	v_fmaak_f32 v27, v26, v27, 0x3e2aaa47
	v_fmaak_f32 v27, v26, v27, 0x3efffffc
	s_delay_alu instid0(VALU_DEP_1) | instskip(NEXT) | instid1(VALU_DEP_1)
	v_mul_f32_e32 v32, v27, v31
	v_fma_f32 v30, v31, v27, -v32
	s_delay_alu instid0(VALU_DEP_1) | instskip(NEXT) | instid1(VALU_DEP_1)
	v_fmac_f32_e32 v30, v29, v27
	v_add_f32_e32 v27, v32, v30
	s_delay_alu instid0(VALU_DEP_1) | instskip(NEXT) | instid1(VALU_DEP_1)
	v_add_f32_e32 v29, v26, v27
	v_dual_sub_f32 v31, v27, v32 :: v_dual_sub_f32 v26, v29, v26
	s_delay_alu instid0(VALU_DEP_1) | instskip(NEXT) | instid1(VALU_DEP_2)
	v_sub_f32_e32 v30, v30, v31
	v_sub_f32_e32 v26, v27, v26
	s_delay_alu instid0(VALU_DEP_2) | instskip(NEXT) | instid1(VALU_DEP_1)
	v_add_f32_e32 v16, v16, v30
	v_add_f32_e32 v16, v16, v26
	s_delay_alu instid0(VALU_DEP_1) | instskip(NEXT) | instid1(VALU_DEP_1)
	v_add_f32_e32 v26, v29, v16
	v_add_f32_e32 v27, 1.0, v26
	s_delay_alu instid0(VALU_DEP_1) | instskip(NEXT) | instid1(VALU_DEP_1)
	v_dual_sub_f32 v29, v26, v29 :: v_dual_add_f32 v30, -1.0, v27
	v_sub_f32_e32 v16, v16, v29
	s_delay_alu instid0(VALU_DEP_2) | instskip(NEXT) | instid1(VALU_DEP_1)
	v_sub_f32_e32 v26, v26, v30
	v_add_f32_e32 v16, v16, v26
	v_cvt_i32_f32_e32 v26, v28
	s_delay_alu instid0(VALU_DEP_2) | instskip(NEXT) | instid1(VALU_DEP_1)
	v_add_f32_e32 v28, v27, v16
	v_ldexp_f32 v29, v28, v26
	v_sub_f32_e32 v27, v28, v27
	s_delay_alu instid0(VALU_DEP_2) | instskip(NEXT) | instid1(VALU_DEP_1)
	v_rcp_f32_e32 v30, v29
	v_sub_f32_e32 v16, v16, v27
	s_delay_alu instid0(VALU_DEP_1) | instskip(SKIP_2) | instid1(VALU_DEP_1)
	v_ldexp_f32 v16, v16, v26
	s_waitcnt_depctr 0xfff
	v_mul_f32_e32 v27, v29, v30
	v_fma_f32 v26, v30, v29, -v27
	s_delay_alu instid0(VALU_DEP_1) | instskip(NEXT) | instid1(VALU_DEP_1)
	v_fmac_f32_e32 v26, v30, v16
	v_add_f32_e32 v28, v27, v26
	s_delay_alu instid0(VALU_DEP_1) | instskip(SKIP_1) | instid1(VALU_DEP_2)
	v_sub_f32_e32 v31, 1.0, v28
	v_sub_f32_e32 v27, v28, v27
	v_sub_f32_e32 v32, 1.0, v31
	s_delay_alu instid0(VALU_DEP_1) | instskip(NEXT) | instid1(VALU_DEP_1)
	v_dual_sub_f32 v26, v27, v26 :: v_dual_sub_f32 v27, v32, v28
	v_add_f32_e32 v26, v26, v27
	s_delay_alu instid0(VALU_DEP_1) | instskip(NEXT) | instid1(VALU_DEP_1)
	v_add_f32_e32 v27, v31, v26
	v_mul_f32_e32 v28, v30, v27
	s_delay_alu instid0(VALU_DEP_1) | instskip(NEXT) | instid1(VALU_DEP_1)
	v_dual_sub_f32 v31, v31, v27 :: v_dual_mul_f32 v32, v29, v28
	v_fma_f32 v33, v28, v29, -v32
	s_delay_alu instid0(VALU_DEP_1) | instskip(NEXT) | instid1(VALU_DEP_1)
	v_fmac_f32_e32 v33, v28, v16
	v_add_f32_e32 v34, v32, v33
	s_delay_alu instid0(VALU_DEP_1) | instskip(NEXT) | instid1(VALU_DEP_1)
	v_sub_f32_e32 v35, v27, v34
	v_sub_f32_e32 v27, v27, v35
	s_delay_alu instid0(VALU_DEP_1) | instskip(SKIP_1) | instid1(VALU_DEP_1)
	v_dual_sub_f32 v27, v27, v34 :: v_dual_add_f32 v26, v26, v31
	v_sub_f32_e32 v31, v34, v32
	v_dual_add_f32 v26, v26, v27 :: v_dual_sub_f32 v31, v31, v33
	s_delay_alu instid0(VALU_DEP_1) | instskip(NEXT) | instid1(VALU_DEP_1)
	v_dual_add_f32 v27, v30, v28 :: v_dual_add_f32 v26, v31, v26
	v_sub_f32_e32 v31, v27, v30
	s_delay_alu instid0(VALU_DEP_2) | instskip(NEXT) | instid1(VALU_DEP_2)
	v_add_f32_e32 v26, v35, v26
	v_sub_f32_e32 v28, v28, v31
	s_delay_alu instid0(VALU_DEP_2) | instskip(NEXT) | instid1(VALU_DEP_1)
	v_mul_f32_e32 v26, v30, v26
	v_add_f32_e32 v26, v28, v26
	s_delay_alu instid0(VALU_DEP_1) | instskip(NEXT) | instid1(VALU_DEP_1)
	v_add_f32_e32 v28, v27, v26
	v_ldexp_f32 v30, v28, -2
	v_sub_f32_e32 v27, v28, v27
	s_delay_alu instid0(VALU_DEP_1) | instskip(NEXT) | instid1(VALU_DEP_1)
	v_dual_sub_f32 v31, v29, v30 :: v_dual_sub_f32 v26, v26, v27
	v_sub_f32_e32 v28, v29, v31
	s_delay_alu instid0(VALU_DEP_2) | instskip(NEXT) | instid1(VALU_DEP_2)
	v_ldexp_f32 v26, v26, -2
	v_sub_f32_e32 v27, v28, v30
	v_xor_b32_e32 v28, 0x80000000, v11
	s_delay_alu instid0(VALU_DEP_2) | instskip(NEXT) | instid1(VALU_DEP_1)
	v_add_f32_e32 v16, v16, v27
	v_sub_f32_e32 v16, v16, v26
	v_mul_f32_e32 v26, v14, v14
	s_delay_alu instid0(VALU_DEP_1) | instskip(NEXT) | instid1(VALU_DEP_1)
	v_dual_add_f32 v16, v31, v16 :: v_dual_fmaak_f32 v27, s25, v26, 0xbf039337
	v_cndmask_b32_e32 v16, 0x7f800000, v16, vcc_lo
	s_delay_alu instid0(VALU_DEP_2) | instskip(NEXT) | instid1(VALU_DEP_2)
	v_fmaak_f32 v27, v26, v27, 0x3f93f425
	v_cndmask_b32_e64 v11, v16, |v11|, s6
	s_delay_alu instid0(VALU_DEP_2) | instskip(SKIP_1) | instid1(VALU_DEP_2)
	v_rcp_f32_e32 v16, v27
	v_fmaak_f32 v27, s24, v26, 0x3ec54587
	v_bfi_b32 v11, 0x7fffffff, v11, v28
	s_delay_alu instid0(VALU_DEP_1) | instskip(SKIP_4) | instid1(VALU_DEP_3)
	v_fma_f32 v28, v11, v11, 1.0
	s_waitcnt_depctr 0xfff
	v_mul_f32_e32 v16, v27, v16
	v_mul_f32_e32 v27, 0x4f800000, v28
	v_cmp_gt_f32_e32 vcc_lo, 0xf800000, v28
	v_mul_f32_e32 v16, v26, v16
	s_delay_alu instid0(VALU_DEP_3) | instskip(NEXT) | instid1(VALU_DEP_2)
	v_cndmask_b32_e32 v26, v28, v27, vcc_lo
	v_fma_f32 v27, v16, v14, v14
	s_delay_alu instid0(VALU_DEP_2) | instskip(NEXT) | instid1(VALU_DEP_1)
	v_sqrt_f32_e32 v28, v26
	v_rcp_f32_e32 v29, v27
	v_sub_f32_e32 v30, v27, v14
	s_delay_alu instid0(VALU_DEP_1) | instskip(SKIP_4) | instid1(VALU_DEP_3)
	v_fma_f32 v14, v16, v14, -v30
	s_waitcnt_depctr 0xfff
	v_add_nc_u32_e32 v31, -1, v28
	v_fma_f32 v16, v27, -v29, 1.0
	v_add_nc_u32_e32 v30, 1, v28
	v_fma_f32 v32, -v31, v28, v26
	s_delay_alu instid0(VALU_DEP_3) | instskip(NEXT) | instid1(VALU_DEP_3)
	v_fma_f32 v14, v14, -v29, v16
	v_fma_f32 v16, -v30, v28, v26
	s_delay_alu instid0(VALU_DEP_3) | instskip(NEXT) | instid1(VALU_DEP_3)
	v_cmp_ge_f32_e64 s6, 0, v32
	v_fma_f32 v14, v14, -v29, -v29
	s_delay_alu instid0(VALU_DEP_2) | instskip(NEXT) | instid1(VALU_DEP_4)
	v_cndmask_b32_e64 v28, v28, v31, s6
	v_cmp_lt_f32_e64 s6, 0, v16
	s_delay_alu instid0(VALU_DEP_1) | instskip(SKIP_1) | instid1(VALU_DEP_1)
	v_cndmask_b32_e64 v16, v28, v30, s6
	v_cmp_eq_u32_e64 s6, 0, v1
	v_cndmask_b32_e64 v1, v14, v27, s6
	s_delay_alu instid0(VALU_DEP_3) | instskip(NEXT) | instid1(VALU_DEP_2)
	v_mul_f32_e32 v14, 0x37800000, v16
	v_xor3_b32 v1, v13, v1, v10
	s_delay_alu instid0(VALU_DEP_2) | instskip(SKIP_1) | instid1(VALU_DEP_3)
	v_cndmask_b32_e32 v10, v16, v14, vcc_lo
	v_cmp_class_f32_e64 vcc_lo, v26, 0x260
	v_fma_f32 v13, v1, v1, 1.0
	s_delay_alu instid0(VALU_DEP_3) | instskip(NEXT) | instid1(VALU_DEP_2)
	v_cndmask_b32_e32 v10, v10, v26, vcc_lo
	v_mul_f32_e32 v14, v11, v13
	s_delay_alu instid0(VALU_DEP_2) | instskip(NEXT) | instid1(VALU_DEP_2)
	v_mul_f32_e32 v10, v10, v13
	v_fma_f32 v13, v11, v14, 1.0
	s_delay_alu instid0(VALU_DEP_2) | instskip(NEXT) | instid1(VALU_DEP_2)
	v_mul_f32_e32 v10, v11, v10
	v_div_scale_f32 v14, null, v13, v13, v1
	s_delay_alu instid0(VALU_DEP_2) | instskip(SKIP_1) | instid1(VALU_DEP_3)
	v_div_scale_f32 v11, null, v13, v13, v10
	v_div_scale_f32 v29, vcc_lo, v10, v13, v10
	v_rcp_f32_e32 v26, v14
	s_delay_alu instid0(VALU_DEP_2) | instskip(SKIP_3) | instid1(VALU_DEP_2)
	v_rcp_f32_e32 v16, v11
	s_waitcnt_depctr 0xfff
	v_fma_f32 v28, -v14, v26, 1.0
	v_fma_f32 v27, -v11, v16, 1.0
	v_fmac_f32_e32 v26, v28, v26
	s_delay_alu instid0(VALU_DEP_2) | instskip(SKIP_1) | instid1(VALU_DEP_2)
	v_fmac_f32_e32 v16, v27, v16
	v_div_scale_f32 v27, s6, v1, v13, v1
	v_mul_f32_e32 v28, v29, v16
	s_delay_alu instid0(VALU_DEP_2) | instskip(NEXT) | instid1(VALU_DEP_2)
	v_mul_f32_e32 v30, v27, v26
	v_fma_f32 v31, -v11, v28, v29
	s_delay_alu instid0(VALU_DEP_2) | instskip(NEXT) | instid1(VALU_DEP_2)
	v_fma_f32 v32, -v14, v30, v27
	v_fmac_f32_e32 v28, v31, v16
	s_delay_alu instid0(VALU_DEP_2) | instskip(NEXT) | instid1(VALU_DEP_2)
	v_fmac_f32_e32 v30, v32, v26
	v_fma_f32 v11, -v11, v28, v29
	s_delay_alu instid0(VALU_DEP_2) | instskip(NEXT) | instid1(VALU_DEP_2)
	v_fma_f32 v14, -v14, v30, v27
	v_div_fmas_f32 v11, v11, v16, v28
	s_mov_b32 vcc_lo, s6
	s_delay_alu instid0(VALU_DEP_2) | instskip(NEXT) | instid1(VALU_DEP_2)
	v_div_fmas_f32 v14, v14, v26, v30
	v_div_fixup_f32 v16, v11, v13, v10
                                        ; implicit-def: $vgpr10
	s_delay_alu instid0(VALU_DEP_2)
	v_div_fixup_f32 v14, v14, v13, v1
                                        ; implicit-def: $vgpr13
.LBB101_96:                             ;   in Loop: Header=BB101_4 Depth=1
	s_and_not1_saveexec_b32 s31, s31
	s_cbranch_execz .LBB101_106
; %bb.97:                               ;   in Loop: Header=BB101_4 Depth=1
	v_lshrrev_b32_e32 v1, 23, v13
	v_cmp_ngt_f32_e64 s33, 0x48000000, |v10|
	v_and_or_b32 v16, v13, s23, 0x800000
                                        ; implicit-def: $vgpr26
                                        ; implicit-def: $vgpr14
	s_delay_alu instid0(VALU_DEP_3) | instskip(NEXT) | instid1(VALU_DEP_3)
	v_add_nc_u32_e32 v27, 0xffffff88, v1
	s_and_saveexec_b32 s6, s33
	s_delay_alu instid0(SALU_CYCLE_1)
	s_xor_b32 s34, exec_lo, s6
	s_cbranch_execz .LBB101_99
; %bb.98:                               ;   in Loop: Header=BB101_4 Depth=1
	v_mad_u64_u32 v[28:29], null, 0xfe5163ab, v16, 0
	v_cmp_lt_u32_e32 vcc_lo, 63, v27
	v_cndmask_b32_e64 v14, 0, 0xffffffc0, vcc_lo
	s_delay_alu instid0(VALU_DEP_1) | instskip(NEXT) | instid1(VALU_DEP_1)
	v_dual_mov_b32 v1, v29 :: v_dual_add_nc_u32 v14, v14, v27
	v_mad_u64_u32 v[29:30], null, 0x3c439041, v16, v[1:2]
	s_delay_alu instid0(VALU_DEP_2) | instskip(NEXT) | instid1(VALU_DEP_2)
	v_cmp_lt_u32_e64 s6, 31, v14
	v_mov_b32_e32 v1, v30
	s_delay_alu instid0(VALU_DEP_2) | instskip(NEXT) | instid1(VALU_DEP_2)
	v_cndmask_b32_e64 v26, 0, 0xffffffe0, s6
	v_mad_u64_u32 v[30:31], null, 0xdb629599, v16, v[1:2]
	s_delay_alu instid0(VALU_DEP_2) | instskip(NEXT) | instid1(VALU_DEP_1)
	v_add_nc_u32_e32 v14, v26, v14
	v_cmp_lt_u32_e64 s7, 31, v14
	s_delay_alu instid0(VALU_DEP_3) | instskip(NEXT) | instid1(VALU_DEP_1)
	v_dual_mov_b32 v1, v31 :: v_dual_cndmask_b32 v28, v30, v28
	v_mad_u64_u32 v[31:32], null, 0xf534ddc0, v16, v[1:2]
	s_delay_alu instid0(VALU_DEP_1) | instskip(NEXT) | instid1(VALU_DEP_1)
	v_mov_b32_e32 v1, v32
	v_mad_u64_u32 v[32:33], null, 0xfc2757d1, v16, v[1:2]
	s_delay_alu instid0(VALU_DEP_1) | instskip(NEXT) | instid1(VALU_DEP_1)
	v_mov_b32_e32 v1, v33
	v_mad_u64_u32 v[33:34], null, 0x4e441529, v16, v[1:2]
	s_delay_alu instid0(VALU_DEP_1) | instskip(NEXT) | instid1(VALU_DEP_1)
	v_dual_mov_b32 v1, v34 :: v_dual_cndmask_b32 v26, v33, v31
	v_mad_u64_u32 v[34:35], null, 0xa2f9836e, v16, v[1:2]
	v_cndmask_b32_e64 v1, 0, 0xffffffe0, s7
	s_delay_alu instid0(VALU_DEP_1) | instskip(NEXT) | instid1(VALU_DEP_3)
	v_dual_cndmask_b32 v34, v34, v32 :: v_dual_add_nc_u32 v1, v1, v14
	v_dual_cndmask_b32 v33, v35, v33 :: v_dual_cndmask_b32 v32, v32, v30
	v_cndmask_b32_e32 v14, v31, v29, vcc_lo
	s_delay_alu instid0(VALU_DEP_3) | instskip(NEXT) | instid1(VALU_DEP_4)
	v_cmp_eq_u32_e64 s8, 0, v1
	v_cndmask_b32_e64 v29, v34, v26, s6
	s_delay_alu instid0(VALU_DEP_4)
	v_cndmask_b32_e64 v31, v33, v34, s6
	v_cndmask_b32_e64 v26, v26, v32, s6
	v_sub_nc_u32_e32 v33, 32, v1
	v_cndmask_b32_e64 v32, v32, v14, s6
	v_cndmask_b32_e64 v14, v14, v28, s6
	;; [unrolled: 1-line block ×4, first 2 shown]
	s_delay_alu instid0(VALU_DEP_4) | instskip(NEXT) | instid1(VALU_DEP_4)
	v_cndmask_b32_e64 v26, v26, v32, s7
	v_cndmask_b32_e64 v14, v32, v14, s7
	s_delay_alu instid0(VALU_DEP_3) | instskip(NEXT) | instid1(VALU_DEP_3)
	v_alignbit_b32 v34, v31, v29, v33
	v_alignbit_b32 v35, v29, v26, v33
	s_delay_alu instid0(VALU_DEP_3) | instskip(NEXT) | instid1(VALU_DEP_3)
	v_alignbit_b32 v33, v26, v14, v33
	v_cndmask_b32_e64 v1, v34, v31, s8
	s_delay_alu instid0(VALU_DEP_3) | instskip(NEXT) | instid1(VALU_DEP_3)
	v_cndmask_b32_e64 v29, v35, v29, s8
	v_cndmask_b32_e64 v26, v33, v26, s8
	s_delay_alu instid0(VALU_DEP_3) | instskip(NEXT) | instid1(VALU_DEP_3)
	v_bfe_u32 v30, v1, 29, 1
	v_alignbit_b32 v28, v1, v29, 30
	s_delay_alu instid0(VALU_DEP_3) | instskip(SKIP_1) | instid1(VALU_DEP_4)
	v_alignbit_b32 v29, v29, v26, 30
	v_alignbit_b32 v14, v26, v14, 30
	v_sub_nc_u32_e32 v31, 0, v30
	s_delay_alu instid0(VALU_DEP_1) | instskip(SKIP_3) | instid1(VALU_DEP_4)
	v_xor_b32_e32 v32, v28, v31
	v_cmp_ne_u32_e32 vcc_lo, v28, v31
	v_xor_b32_e32 v26, v29, v31
	v_xor_b32_e32 v14, v14, v31
	v_clz_i32_u32_e32 v34, v32
	s_delay_alu instid0(VALU_DEP_1) | instskip(NEXT) | instid1(VALU_DEP_1)
	v_add_nc_u32_e32 v33, 1, v34
	v_cndmask_b32_e32 v28, 33, v33, vcc_lo
	s_delay_alu instid0(VALU_DEP_1) | instskip(NEXT) | instid1(VALU_DEP_1)
	v_sub_nc_u32_e32 v29, 32, v28
	v_alignbit_b32 v31, v32, v26, v29
	v_alignbit_b32 v14, v26, v14, v29
	v_lshrrev_b32_e32 v26, 29, v1
	v_lshrrev_b32_e32 v1, 30, v1
	s_delay_alu instid0(VALU_DEP_3) | instskip(NEXT) | instid1(VALU_DEP_3)
	v_alignbit_b32 v29, v31, v14, 9
	v_lshlrev_b32_e32 v26, 31, v26
	v_alignbit_b32 v31, v28, v31, 9
	s_delay_alu instid0(VALU_DEP_3) | instskip(NEXT) | instid1(VALU_DEP_2)
	v_clz_i32_u32_e32 v32, v29
	v_or_b32_e32 v31, v31, v26
	v_or_b32_e32 v26, 0x33800000, v26
	s_delay_alu instid0(VALU_DEP_3) | instskip(NEXT) | instid1(VALU_DEP_3)
	v_min_u32_e32 v32, 32, v32
	v_xor_b32_e32 v31, 1.0, v31
	s_delay_alu instid0(VALU_DEP_2) | instskip(SKIP_1) | instid1(VALU_DEP_3)
	v_sub_nc_u32_e32 v33, 31, v32
	v_add_lshl_u32 v28, v32, v28, 23
	v_mul_f32_e32 v32, 0x3fc90fda, v31
	s_delay_alu instid0(VALU_DEP_3) | instskip(NEXT) | instid1(VALU_DEP_3)
	v_alignbit_b32 v14, v29, v14, v33
	v_sub_nc_u32_e32 v26, v26, v28
	s_delay_alu instid0(VALU_DEP_3) | instskip(NEXT) | instid1(VALU_DEP_3)
	v_fma_f32 v28, 0x3fc90fda, v31, -v32
	v_lshrrev_b32_e32 v14, 9, v14
	s_delay_alu instid0(VALU_DEP_2) | instskip(NEXT) | instid1(VALU_DEP_2)
	v_fmac_f32_e32 v28, 0x33a22168, v31
	v_or_b32_e32 v14, v26, v14
	v_add_nc_u32_e32 v26, v30, v1
	s_delay_alu instid0(VALU_DEP_2) | instskip(NEXT) | instid1(VALU_DEP_1)
	v_fmac_f32_e32 v28, 0x3fc90fda, v14
	v_add_f32_e32 v14, v32, v28
	s_and_not1_saveexec_b32 s6, s34
	s_branch .LBB101_100
.LBB101_99:                             ;   in Loop: Header=BB101_4 Depth=1
	s_and_not1_saveexec_b32 s6, s34
.LBB101_100:                            ;   in Loop: Header=BB101_4 Depth=1
	v_mul_f32_e64 v1, 0x3f22f983, |v10|
	s_delay_alu instid0(VALU_DEP_1) | instskip(NEXT) | instid1(VALU_DEP_1)
	v_rndne_f32_e32 v1, v1
	v_fma_f32 v14, 0xbfc90fda, v1, |v10|
	v_cvt_i32_f32_e32 v26, v1
	s_delay_alu instid0(VALU_DEP_2) | instskip(NEXT) | instid1(VALU_DEP_1)
	v_fmac_f32_e32 v14, 0xb3a22168, v1
	v_fmac_f32_e32 v14, 0xa7c234c4, v1
; %bb.101:                              ;   in Loop: Header=BB101_4 Depth=1
	s_or_b32 exec_lo, exec_lo, s6
                                        ; implicit-def: $vgpr28
                                        ; implicit-def: $vgpr1
	s_and_saveexec_b32 s6, s33
	s_delay_alu instid0(SALU_CYCLE_1)
	s_xor_b32 s33, exec_lo, s6
	s_cbranch_execz .LBB101_103
; %bb.102:                              ;   in Loop: Header=BB101_4 Depth=1
	v_mad_u64_u32 v[28:29], null, 0xfe5163ab, v16, 0
	v_cmp_lt_u32_e32 vcc_lo, 63, v27
	v_cndmask_b32_e64 v34, 0, 0xffffffc0, vcc_lo
	s_delay_alu instid0(VALU_DEP_3) | instskip(NEXT) | instid1(VALU_DEP_2)
	v_mov_b32_e32 v1, v29
	v_add_nc_u32_e32 v27, v34, v27
	s_delay_alu instid0(VALU_DEP_2) | instskip(NEXT) | instid1(VALU_DEP_2)
	v_mad_u64_u32 v[29:30], null, 0x3c439041, v16, v[1:2]
	v_cmp_lt_u32_e64 s6, 31, v27
	s_delay_alu instid0(VALU_DEP_2) | instskip(NEXT) | instid1(VALU_DEP_2)
	v_mov_b32_e32 v1, v30
	v_cndmask_b32_e64 v35, 0, 0xffffffe0, s6
	s_delay_alu instid0(VALU_DEP_2) | instskip(NEXT) | instid1(VALU_DEP_2)
	v_mad_u64_u32 v[30:31], null, 0xdb629599, v16, v[1:2]
	v_add_nc_u32_e32 v27, v35, v27
	s_delay_alu instid0(VALU_DEP_1) | instskip(NEXT) | instid1(VALU_DEP_3)
	v_cmp_lt_u32_e64 s7, 31, v27
	v_dual_mov_b32 v1, v31 :: v_dual_cndmask_b32 v28, v30, v28
	s_delay_alu instid0(VALU_DEP_1) | instskip(NEXT) | instid1(VALU_DEP_1)
	v_mad_u64_u32 v[31:32], null, 0xf534ddc0, v16, v[1:2]
	v_mov_b32_e32 v1, v32
	s_delay_alu instid0(VALU_DEP_1) | instskip(NEXT) | instid1(VALU_DEP_1)
	v_mad_u64_u32 v[32:33], null, 0xfc2757d1, v16, v[1:2]
	v_mov_b32_e32 v1, v33
	;; [unrolled: 3-line block ×3, first 2 shown]
	s_delay_alu instid0(VALU_DEP_1) | instskip(SKIP_1) | instid1(VALU_DEP_4)
	v_mad_u64_u32 v[34:35], null, 0xa2f9836e, v16, v[1:2]
	v_cndmask_b32_e64 v1, 0, 0xffffffe0, s7
	v_cndmask_b32_e32 v16, v33, v31, vcc_lo
	s_delay_alu instid0(VALU_DEP_2) | instskip(NEXT) | instid1(VALU_DEP_4)
	v_dual_cndmask_b32 v34, v34, v32 :: v_dual_add_nc_u32 v1, v1, v27
	v_dual_cndmask_b32 v33, v35, v33 :: v_dual_cndmask_b32 v32, v32, v30
	v_cndmask_b32_e32 v27, v31, v29, vcc_lo
	s_delay_alu instid0(VALU_DEP_3) | instskip(NEXT) | instid1(VALU_DEP_4)
	v_cmp_eq_u32_e64 s8, 0, v1
	v_cndmask_b32_e64 v29, v34, v16, s6
	s_delay_alu instid0(VALU_DEP_4)
	v_cndmask_b32_e64 v31, v33, v34, s6
	v_cndmask_b32_e64 v16, v16, v32, s6
	v_sub_nc_u32_e32 v33, 32, v1
	v_cndmask_b32_e64 v32, v32, v27, s6
	v_cndmask_b32_e64 v27, v27, v28, s6
	;; [unrolled: 1-line block ×4, first 2 shown]
	s_delay_alu instid0(VALU_DEP_4) | instskip(NEXT) | instid1(VALU_DEP_4)
	v_cndmask_b32_e64 v16, v16, v32, s7
	v_cndmask_b32_e64 v27, v32, v27, s7
	s_delay_alu instid0(VALU_DEP_3) | instskip(NEXT) | instid1(VALU_DEP_3)
	v_alignbit_b32 v34, v31, v29, v33
	v_alignbit_b32 v35, v29, v16, v33
	s_delay_alu instid0(VALU_DEP_3) | instskip(NEXT) | instid1(VALU_DEP_3)
	v_alignbit_b32 v33, v16, v27, v33
	v_cndmask_b32_e64 v1, v34, v31, s8
	s_delay_alu instid0(VALU_DEP_3) | instskip(NEXT) | instid1(VALU_DEP_3)
	v_cndmask_b32_e64 v29, v35, v29, s8
	v_cndmask_b32_e64 v16, v33, v16, s8
	s_delay_alu instid0(VALU_DEP_3) | instskip(NEXT) | instid1(VALU_DEP_3)
	v_bfe_u32 v30, v1, 29, 1
	v_alignbit_b32 v28, v1, v29, 30
	s_delay_alu instid0(VALU_DEP_3) | instskip(SKIP_1) | instid1(VALU_DEP_4)
	v_alignbit_b32 v29, v29, v16, 30
	v_alignbit_b32 v16, v16, v27, 30
	v_sub_nc_u32_e32 v31, 0, v30
	s_delay_alu instid0(VALU_DEP_1) | instskip(SKIP_3) | instid1(VALU_DEP_4)
	v_xor_b32_e32 v32, v28, v31
	v_cmp_ne_u32_e32 vcc_lo, v28, v31
	v_xor_b32_e32 v27, v29, v31
	v_xor_b32_e32 v16, v16, v31
	v_clz_i32_u32_e32 v34, v32
	s_delay_alu instid0(VALU_DEP_1) | instskip(NEXT) | instid1(VALU_DEP_1)
	v_add_nc_u32_e32 v33, 1, v34
	v_cndmask_b32_e32 v28, 33, v33, vcc_lo
	s_delay_alu instid0(VALU_DEP_1) | instskip(NEXT) | instid1(VALU_DEP_1)
	v_sub_nc_u32_e32 v29, 32, v28
	v_alignbit_b32 v31, v32, v27, v29
	v_alignbit_b32 v16, v27, v16, v29
	v_lshrrev_b32_e32 v27, 29, v1
	s_delay_alu instid0(VALU_DEP_2) | instskip(NEXT) | instid1(VALU_DEP_2)
	v_alignbit_b32 v29, v31, v16, 9
	v_lshlrev_b32_e32 v27, 31, v27
	v_alignbit_b32 v31, v28, v31, 9
	s_delay_alu instid0(VALU_DEP_3) | instskip(NEXT) | instid1(VALU_DEP_2)
	v_clz_i32_u32_e32 v32, v29
	v_or_b32_e32 v31, v31, v27
	v_or_b32_e32 v27, 0x33800000, v27
	s_delay_alu instid0(VALU_DEP_3) | instskip(NEXT) | instid1(VALU_DEP_3)
	v_min_u32_e32 v32, 32, v32
	v_xor_b32_e32 v31, 1.0, v31
	s_delay_alu instid0(VALU_DEP_2) | instskip(SKIP_1) | instid1(VALU_DEP_3)
	v_sub_nc_u32_e32 v33, 31, v32
	v_add_lshl_u32 v28, v32, v28, 23
	v_mul_f32_e32 v32, 0x3fc90fda, v31
	s_delay_alu instid0(VALU_DEP_3) | instskip(NEXT) | instid1(VALU_DEP_3)
	v_alignbit_b32 v16, v29, v16, v33
	v_sub_nc_u32_e32 v27, v27, v28
	s_delay_alu instid0(VALU_DEP_3) | instskip(NEXT) | instid1(VALU_DEP_3)
	v_fma_f32 v28, 0x3fc90fda, v31, -v32
	v_lshrrev_b32_e32 v16, 9, v16
	s_delay_alu instid0(VALU_DEP_2) | instskip(NEXT) | instid1(VALU_DEP_2)
	v_fmac_f32_e32 v28, 0x33a22168, v31
	v_or_b32_e32 v16, v27, v16
	s_delay_alu instid0(VALU_DEP_1) | instskip(SKIP_1) | instid1(VALU_DEP_2)
	v_fmac_f32_e32 v28, 0x3fc90fda, v16
	v_lshrrev_b32_e32 v16, 30, v1
	v_add_f32_e32 v1, v32, v28
	s_delay_alu instid0(VALU_DEP_2)
	v_add_nc_u32_e32 v28, v30, v16
	s_and_not1_saveexec_b32 s6, s33
	s_cbranch_execnz .LBB101_104
	s_branch .LBB101_105
.LBB101_103:                            ;   in Loop: Header=BB101_4 Depth=1
	s_and_not1_saveexec_b32 s6, s33
.LBB101_104:                            ;   in Loop: Header=BB101_4 Depth=1
	v_mul_f32_e64 v1, 0x3f22f983, |v10|
	s_delay_alu instid0(VALU_DEP_1) | instskip(NEXT) | instid1(VALU_DEP_1)
	v_rndne_f32_e32 v16, v1
	v_fma_f32 v1, 0xbfc90fda, v16, |v10|
	v_cvt_i32_f32_e32 v28, v16
	s_delay_alu instid0(VALU_DEP_2) | instskip(NEXT) | instid1(VALU_DEP_1)
	v_fmac_f32_e32 v1, 0xb3a22168, v16
	v_fmac_f32_e32 v1, 0xa7c234c4, v16
.LBB101_105:                            ;   in Loop: Header=BB101_4 Depth=1
	s_or_b32 exec_lo, exec_lo, s6
	s_delay_alu instid0(VALU_DEP_1) | instskip(SKIP_2) | instid1(VALU_DEP_3)
	v_mul_f32_e32 v32, v1, v1
	v_mul_f32_e32 v16, v14, v14
	v_mul_f32_e64 v29, 0xbfb8aa3b, |v11|
	v_fmaak_f32 v35, s27, v32, 0x3c0881c4
	s_delay_alu instid0(VALU_DEP_3) | instskip(SKIP_1) | instid1(VALU_DEP_4)
	v_dual_fmaak_f32 v30, s27, v16, 0x3c0881c4 :: v_dual_and_b32 v27, 1, v26
	v_dual_fmaak_f32 v31, s28, v16, 0xbab64f3b :: v_dual_lshlrev_b32 v26, 30, v26
	v_rndne_f32_e32 v33, v29
	v_fma_f32 v34, 0xbfb8aa3b, |v11|, -v29
	s_delay_alu instid0(VALU_DEP_4)
	v_fmaak_f32 v30, v16, v30, 0xbe2aaa9d
	v_cmp_eq_u32_e32 vcc_lo, 0, v27
	v_fmaak_f32 v31, v16, v31, 0x3d2aabf7
	v_sub_f32_e32 v29, v29, v33
	v_fma_f32 v34, 0xb2a5705f, |v11|, v34
	v_mul_f32_e32 v30, v16, v30
	v_fmaak_f32 v35, v32, v35, 0xbe2aaa9d
	v_fmaak_f32 v31, v16, v31, 0xbf000004
	s_delay_alu instid0(VALU_DEP_4) | instskip(SKIP_2) | instid1(VALU_DEP_4)
	v_dual_fmaak_f32 v36, s28, v32, 0xbab64f3b :: v_dual_add_f32 v29, v29, v34
	v_and_b32_e32 v27, 1, v28
	v_lshlrev_b32_e32 v28, 30, v28
	v_fma_f32 v16, v16, v31, 1.0
	v_dual_mul_f32 v31, v32, v35 :: v_dual_and_b32 v26, 0x80000000, v26
	v_exp_f32_e32 v29, v29
	s_delay_alu instid0(VALU_DEP_1) | instskip(NEXT) | instid1(VALU_DEP_2)
	v_xor_b32_e32 v13, v13, v26
	v_dual_fmac_f32 v1, v1, v31 :: v_dual_fmac_f32 v14, v14, v30
	v_cvt_i32_f32_e32 v26, v33
	s_delay_alu instid0(VALU_DEP_2) | instskip(NEXT) | instid1(VALU_DEP_1)
	v_cndmask_b32_e32 v14, v16, v14, vcc_lo
	v_xor3_b32 v10, v13, v14, v10
	s_waitcnt_depctr 0xfff
	v_ldexp_f32 v13, v29, v26
	v_fmaak_f32 v30, v32, v36, 0x3d2aabf7
	v_and_b32_e32 v14, 0x80000000, v28
	v_mul_f32_e32 v10, 4.0, v10
	v_cmp_eq_u32_e32 vcc_lo, 0, v27
	s_delay_alu instid0(VALU_DEP_4) | instskip(NEXT) | instid1(VALU_DEP_1)
	v_fmaak_f32 v16, v32, v30, 0xbf000004
	v_fma_f32 v16, v32, v16, 1.0
	s_delay_alu instid0(VALU_DEP_1) | instskip(SKIP_1) | instid1(VALU_DEP_2)
	v_cndmask_b32_e64 v1, -v1, v16, vcc_lo
	v_cmp_nlt_f32_e64 vcc_lo, 0x42ce8ed0, |v11|
	v_xor_b32_e32 v1, v14, v1
	v_cndmask_b32_e32 v13, 0, v13, vcc_lo
	v_cmp_ngt_f32_e64 vcc_lo, 0xc2b17218, |v11|
	s_delay_alu instid0(VALU_DEP_3) | instskip(SKIP_1) | instid1(VALU_DEP_4)
	v_mul_f32_e32 v1, v10, v1
	v_xor_b32_e32 v10, 0x80000000, v11
	v_cndmask_b32_e32 v13, 0x7f800000, v13, vcc_lo
	s_delay_alu instid0(VALU_DEP_2) | instskip(NEXT) | instid1(VALU_DEP_2)
	v_bfi_b32 v16, 0x7fffffff, 1.0, v10
	v_mul_f32_e32 v1, v13, v1
	s_delay_alu instid0(VALU_DEP_1)
	v_mul_f32_e32 v14, v13, v1
.LBB101_106:                            ;   in Loop: Header=BB101_4 Depth=1
	s_or_b32 exec_lo, exec_lo, s31
                                        ; implicit-def: $vgpr10
.LBB101_107:                            ;   in Loop: Header=BB101_4 Depth=1
	s_and_not1_saveexec_b32 s6, s30
; %bb.108:                              ;   in Loop: Header=BB101_4 Depth=1
	v_sub_f32_e32 v14, v10, v10
	s_delay_alu instid0(VALU_DEP_1)
	v_mov_b32_e32 v16, v14
; %bb.109:                              ;   in Loop: Header=BB101_4 Depth=1
	s_or_b32 exec_lo, exec_lo, s6
                                        ; implicit-def: $vgpr11
.LBB101_110:                            ;   in Loop: Header=BB101_4 Depth=1
	s_and_not1_saveexec_b32 s29, s29
	s_cbranch_execz .LBB101_126
; %bb.111:                              ;   in Loop: Header=BB101_4 Depth=1
	v_xor_b32_e32 v16, 0x80000000, v11
	s_mov_b32 s6, exec_lo
                                        ; implicit-def: $vgpr14
	s_delay_alu instid0(VALU_DEP_1) | instskip(NEXT) | instid1(VALU_DEP_1)
	v_and_b32_e32 v1, 0x7fffff, v16
	v_cmpx_ne_u32_e32 0, v1
	s_xor_b32 s6, exec_lo, s6
; %bb.112:                              ;   in Loop: Header=BB101_4 Depth=1
	v_mul_f32_e64 v1, v10, -v11
	v_cmp_eq_f32_e32 vcc_lo, 0, v10
	s_delay_alu instid0(VALU_DEP_2)
	v_cndmask_b32_e32 v14, v1, v10, vcc_lo
                                        ; implicit-def: $vgpr10
; %bb.113:                              ;   in Loop: Header=BB101_4 Depth=1
	s_and_not1_saveexec_b32 s30, s6
	s_cbranch_execz .LBB101_125
; %bb.114:                              ;   in Loop: Header=BB101_4 Depth=1
	s_mov_b32 s31, exec_lo
	v_cmpx_neq_f32_e64 0x7f800000, |v10|
	s_cbranch_execz .LBB101_124
; %bb.115:                              ;   in Loop: Header=BB101_4 Depth=1
	v_and_b32_e32 v11, 0x7fffffff, v10
	v_cmp_ngt_f32_e64 s33, 0x48000000, |v10|
                                        ; implicit-def: $vgpr14
                                        ; implicit-def: $vgpr13
	s_delay_alu instid0(VALU_DEP_2) | instskip(SKIP_1) | instid1(VALU_DEP_2)
	v_lshrrev_b32_e32 v1, 23, v11
	v_and_or_b32 v26, v11, s23, 0x800000
	v_add_nc_u32_e32 v27, 0xffffff88, v1
	s_delay_alu instid0(VALU_DEP_4) | instskip(NEXT) | instid1(SALU_CYCLE_1)
	s_and_saveexec_b32 s6, s33
	s_xor_b32 s34, exec_lo, s6
	s_cbranch_execz .LBB101_117
; %bb.116:                              ;   in Loop: Header=BB101_4 Depth=1
	v_mad_u64_u32 v[13:14], null, 0xfe5163ab, v26, 0
	v_cmp_lt_u32_e32 vcc_lo, 63, v27
	s_delay_alu instid0(VALU_DEP_2) | instskip(SKIP_1) | instid1(VALU_DEP_2)
	v_mov_b32_e32 v1, v14
	v_cndmask_b32_e64 v14, 0, 0xffffffc0, vcc_lo
	v_mad_u64_u32 v[28:29], null, 0x3c439041, v26, v[1:2]
	s_delay_alu instid0(VALU_DEP_2) | instskip(NEXT) | instid1(VALU_DEP_1)
	v_add_nc_u32_e32 v14, v14, v27
	v_cmp_lt_u32_e64 s6, 31, v14
	s_delay_alu instid0(VALU_DEP_3) | instskip(NEXT) | instid1(VALU_DEP_2)
	v_mov_b32_e32 v1, v29
	v_cndmask_b32_e64 v34, 0, 0xffffffe0, s6
	s_delay_alu instid0(VALU_DEP_2) | instskip(NEXT) | instid1(VALU_DEP_2)
	v_mad_u64_u32 v[29:30], null, 0xdb629599, v26, v[1:2]
	v_add_nc_u32_e32 v14, v34, v14
	s_delay_alu instid0(VALU_DEP_2) | instskip(NEXT) | instid1(VALU_DEP_3)
	v_mov_b32_e32 v1, v30
	v_cndmask_b32_e32 v13, v29, v13, vcc_lo
	s_delay_alu instid0(VALU_DEP_3) | instskip(NEXT) | instid1(VALU_DEP_3)
	v_cmp_lt_u32_e64 s7, 31, v14
	v_mad_u64_u32 v[30:31], null, 0xf534ddc0, v26, v[1:2]
	s_delay_alu instid0(VALU_DEP_1) | instskip(NEXT) | instid1(VALU_DEP_1)
	v_mov_b32_e32 v1, v31
	v_mad_u64_u32 v[31:32], null, 0xfc2757d1, v26, v[1:2]
	s_delay_alu instid0(VALU_DEP_1) | instskip(NEXT) | instid1(VALU_DEP_1)
	v_mov_b32_e32 v1, v32
	v_mad_u64_u32 v[32:33], null, 0x4e441529, v26, v[1:2]
	s_delay_alu instid0(VALU_DEP_1) | instskip(NEXT) | instid1(VALU_DEP_2)
	v_mov_b32_e32 v1, v33
	v_cndmask_b32_e32 v35, v32, v30, vcc_lo
	s_delay_alu instid0(VALU_DEP_2) | instskip(SKIP_1) | instid1(VALU_DEP_1)
	v_mad_u64_u32 v[33:34], null, 0xa2f9836e, v26, v[1:2]
	v_cndmask_b32_e64 v1, 0, 0xffffffe0, s7
	v_add_nc_u32_e32 v1, v1, v14
	s_delay_alu instid0(VALU_DEP_3) | instskip(SKIP_1) | instid1(VALU_DEP_3)
	v_dual_cndmask_b32 v33, v33, v31 :: v_dual_cndmask_b32 v32, v34, v32
	v_dual_cndmask_b32 v31, v31, v29 :: v_dual_cndmask_b32 v14, v30, v28
	v_cmp_eq_u32_e64 s8, 0, v1
	s_delay_alu instid0(VALU_DEP_3) | instskip(NEXT) | instid1(VALU_DEP_4)
	v_cndmask_b32_e64 v28, v33, v35, s6
	v_cndmask_b32_e64 v30, v32, v33, s6
	s_delay_alu instid0(VALU_DEP_4)
	v_cndmask_b32_e64 v32, v35, v31, s6
	v_sub_nc_u32_e32 v33, 32, v1
	v_cndmask_b32_e64 v31, v31, v14, s6
	v_cndmask_b32_e64 v13, v14, v13, s6
	;; [unrolled: 1-line block ×4, first 2 shown]
	s_delay_alu instid0(VALU_DEP_4) | instskip(NEXT) | instid1(VALU_DEP_4)
	v_cndmask_b32_e64 v32, v32, v31, s7
	v_cndmask_b32_e64 v13, v31, v13, s7
	s_delay_alu instid0(VALU_DEP_3) | instskip(NEXT) | instid1(VALU_DEP_3)
	v_alignbit_b32 v34, v30, v28, v33
	v_alignbit_b32 v35, v28, v32, v33
	s_delay_alu instid0(VALU_DEP_3) | instskip(NEXT) | instid1(VALU_DEP_3)
	v_alignbit_b32 v33, v32, v13, v33
	v_cndmask_b32_e64 v1, v34, v30, s8
	s_delay_alu instid0(VALU_DEP_3) | instskip(NEXT) | instid1(VALU_DEP_3)
	v_cndmask_b32_e64 v28, v35, v28, s8
	v_cndmask_b32_e64 v32, v33, v32, s8
	s_delay_alu instid0(VALU_DEP_3) | instskip(NEXT) | instid1(VALU_DEP_3)
	v_bfe_u32 v29, v1, 29, 1
	v_alignbit_b32 v14, v1, v28, 30
	s_delay_alu instid0(VALU_DEP_3) | instskip(SKIP_1) | instid1(VALU_DEP_4)
	v_alignbit_b32 v28, v28, v32, 30
	v_alignbit_b32 v13, v32, v13, 30
	v_sub_nc_u32_e32 v30, 0, v29
	s_delay_alu instid0(VALU_DEP_1) | instskip(SKIP_3) | instid1(VALU_DEP_4)
	v_xor_b32_e32 v31, v14, v30
	v_cmp_ne_u32_e32 vcc_lo, v14, v30
	v_xor_b32_e32 v28, v28, v30
	v_xor_b32_e32 v13, v13, v30
	v_clz_i32_u32_e32 v34, v31
	s_delay_alu instid0(VALU_DEP_1) | instskip(NEXT) | instid1(VALU_DEP_1)
	v_add_nc_u32_e32 v33, 1, v34
	v_cndmask_b32_e32 v14, 33, v33, vcc_lo
	s_delay_alu instid0(VALU_DEP_1) | instskip(NEXT) | instid1(VALU_DEP_1)
	v_sub_nc_u32_e32 v32, 32, v14
	v_alignbit_b32 v30, v31, v28, v32
	v_alignbit_b32 v13, v28, v13, v32
	v_lshrrev_b32_e32 v28, 29, v1
	v_lshrrev_b32_e32 v1, 30, v1
	s_delay_alu instid0(VALU_DEP_3) | instskip(NEXT) | instid1(VALU_DEP_3)
	v_alignbit_b32 v31, v30, v13, 9
	v_lshlrev_b32_e32 v28, 31, v28
	v_alignbit_b32 v30, v14, v30, 9
	s_delay_alu instid0(VALU_DEP_3) | instskip(NEXT) | instid1(VALU_DEP_2)
	v_clz_i32_u32_e32 v32, v31
	v_or_b32_e32 v30, v30, v28
	v_or_b32_e32 v28, 0x33800000, v28
	s_delay_alu instid0(VALU_DEP_3) | instskip(NEXT) | instid1(VALU_DEP_3)
	v_min_u32_e32 v32, 32, v32
	v_xor_b32_e32 v30, 1.0, v30
	s_delay_alu instid0(VALU_DEP_2) | instskip(SKIP_1) | instid1(VALU_DEP_3)
	v_sub_nc_u32_e32 v33, 31, v32
	v_add_lshl_u32 v14, v32, v14, 23
	v_mul_f32_e32 v32, 0x3fc90fda, v30
	s_delay_alu instid0(VALU_DEP_3) | instskip(NEXT) | instid1(VALU_DEP_3)
	v_alignbit_b32 v13, v31, v13, v33
	v_sub_nc_u32_e32 v14, v28, v14
	s_delay_alu instid0(VALU_DEP_3) | instskip(NEXT) | instid1(VALU_DEP_3)
	v_fma_f32 v28, 0x3fc90fda, v30, -v32
	v_lshrrev_b32_e32 v13, 9, v13
	s_delay_alu instid0(VALU_DEP_2) | instskip(NEXT) | instid1(VALU_DEP_2)
	v_fmac_f32_e32 v28, 0x33a22168, v30
	v_or_b32_e32 v13, v14, v13
	v_add_nc_u32_e32 v14, v29, v1
	s_delay_alu instid0(VALU_DEP_2) | instskip(NEXT) | instid1(VALU_DEP_1)
	v_fmac_f32_e32 v28, 0x3fc90fda, v13
	v_add_f32_e32 v13, v32, v28
.LBB101_117:                            ;   in Loop: Header=BB101_4 Depth=1
	s_or_saveexec_b32 s6, s34
	v_mul_f32_e64 v1, 0x3f22f983, |v10|
	s_delay_alu instid0(VALU_DEP_1)
	v_rndne_f32_e32 v29, v1
	s_xor_b32 exec_lo, exec_lo, s6
; %bb.118:                              ;   in Loop: Header=BB101_4 Depth=1
	s_delay_alu instid0(VALU_DEP_1) | instskip(SKIP_1) | instid1(VALU_DEP_2)
	v_fma_f32 v13, 0xbfc90fda, v29, |v10|
	v_cvt_i32_f32_e32 v14, v29
	v_fmac_f32_e32 v13, 0xb3a22168, v29
	s_delay_alu instid0(VALU_DEP_1)
	v_fmac_f32_e32 v13, 0xa7c234c4, v29
; %bb.119:                              ;   in Loop: Header=BB101_4 Depth=1
	s_or_b32 exec_lo, exec_lo, s6
                                        ; implicit-def: $vgpr28
                                        ; implicit-def: $vgpr1
	s_and_saveexec_b32 s6, s33
	s_delay_alu instid0(SALU_CYCLE_1)
	s_xor_b32 s33, exec_lo, s6
	s_cbranch_execz .LBB101_121
; %bb.120:                              ;   in Loop: Header=BB101_4 Depth=1
	v_mad_u64_u32 v[28:29], null, 0xfe5163ab, v26, 0
	v_cmp_lt_u32_e32 vcc_lo, 63, v27
	v_cndmask_b32_e64 v34, 0, 0xffffffc0, vcc_lo
	s_delay_alu instid0(VALU_DEP_3) | instskip(NEXT) | instid1(VALU_DEP_2)
	v_mov_b32_e32 v1, v29
	v_add_nc_u32_e32 v27, v34, v27
	s_delay_alu instid0(VALU_DEP_2) | instskip(NEXT) | instid1(VALU_DEP_2)
	v_mad_u64_u32 v[29:30], null, 0x3c439041, v26, v[1:2]
	v_cmp_lt_u32_e64 s6, 31, v27
	s_delay_alu instid0(VALU_DEP_2) | instskip(NEXT) | instid1(VALU_DEP_2)
	v_mov_b32_e32 v1, v30
	v_cndmask_b32_e64 v35, 0, 0xffffffe0, s6
	s_delay_alu instid0(VALU_DEP_2) | instskip(NEXT) | instid1(VALU_DEP_2)
	v_mad_u64_u32 v[30:31], null, 0xdb629599, v26, v[1:2]
	v_add_nc_u32_e32 v27, v35, v27
	s_delay_alu instid0(VALU_DEP_1) | instskip(NEXT) | instid1(VALU_DEP_3)
	v_cmp_lt_u32_e64 s7, 31, v27
	v_dual_mov_b32 v1, v31 :: v_dual_cndmask_b32 v28, v30, v28
	s_delay_alu instid0(VALU_DEP_1) | instskip(NEXT) | instid1(VALU_DEP_1)
	v_mad_u64_u32 v[31:32], null, 0xf534ddc0, v26, v[1:2]
	v_mov_b32_e32 v1, v32
	s_delay_alu instid0(VALU_DEP_1) | instskip(NEXT) | instid1(VALU_DEP_1)
	v_mad_u64_u32 v[32:33], null, 0xfc2757d1, v26, v[1:2]
	v_mov_b32_e32 v1, v33
	;; [unrolled: 3-line block ×3, first 2 shown]
	s_delay_alu instid0(VALU_DEP_1) | instskip(SKIP_1) | instid1(VALU_DEP_4)
	v_mad_u64_u32 v[34:35], null, 0xa2f9836e, v26, v[1:2]
	v_cndmask_b32_e64 v1, 0, 0xffffffe0, s7
	v_cndmask_b32_e32 v26, v33, v31, vcc_lo
	s_delay_alu instid0(VALU_DEP_2) | instskip(NEXT) | instid1(VALU_DEP_4)
	v_dual_cndmask_b32 v34, v34, v32 :: v_dual_add_nc_u32 v1, v1, v27
	v_dual_cndmask_b32 v33, v35, v33 :: v_dual_cndmask_b32 v32, v32, v30
	v_cndmask_b32_e32 v27, v31, v29, vcc_lo
	s_delay_alu instid0(VALU_DEP_3) | instskip(NEXT) | instid1(VALU_DEP_4)
	v_cmp_eq_u32_e64 s8, 0, v1
	v_cndmask_b32_e64 v29, v34, v26, s6
	s_delay_alu instid0(VALU_DEP_4)
	v_cndmask_b32_e64 v31, v33, v34, s6
	v_cndmask_b32_e64 v26, v26, v32, s6
	v_sub_nc_u32_e32 v33, 32, v1
	v_cndmask_b32_e64 v32, v32, v27, s6
	v_cndmask_b32_e64 v27, v27, v28, s6
	;; [unrolled: 1-line block ×4, first 2 shown]
	s_delay_alu instid0(VALU_DEP_4) | instskip(NEXT) | instid1(VALU_DEP_4)
	v_cndmask_b32_e64 v26, v26, v32, s7
	v_cndmask_b32_e64 v27, v32, v27, s7
	s_delay_alu instid0(VALU_DEP_3) | instskip(NEXT) | instid1(VALU_DEP_3)
	v_alignbit_b32 v34, v31, v29, v33
	v_alignbit_b32 v35, v29, v26, v33
	s_delay_alu instid0(VALU_DEP_3) | instskip(NEXT) | instid1(VALU_DEP_3)
	v_alignbit_b32 v33, v26, v27, v33
	v_cndmask_b32_e64 v1, v34, v31, s8
	s_delay_alu instid0(VALU_DEP_3) | instskip(NEXT) | instid1(VALU_DEP_3)
	v_cndmask_b32_e64 v29, v35, v29, s8
	v_cndmask_b32_e64 v26, v33, v26, s8
	s_delay_alu instid0(VALU_DEP_3) | instskip(NEXT) | instid1(VALU_DEP_3)
	v_bfe_u32 v30, v1, 29, 1
	v_alignbit_b32 v28, v1, v29, 30
	s_delay_alu instid0(VALU_DEP_3) | instskip(SKIP_1) | instid1(VALU_DEP_4)
	v_alignbit_b32 v29, v29, v26, 30
	v_alignbit_b32 v26, v26, v27, 30
	v_sub_nc_u32_e32 v31, 0, v30
	s_delay_alu instid0(VALU_DEP_1) | instskip(SKIP_3) | instid1(VALU_DEP_4)
	v_xor_b32_e32 v32, v28, v31
	v_cmp_ne_u32_e32 vcc_lo, v28, v31
	v_xor_b32_e32 v27, v29, v31
	v_xor_b32_e32 v26, v26, v31
	v_clz_i32_u32_e32 v34, v32
	s_delay_alu instid0(VALU_DEP_1) | instskip(NEXT) | instid1(VALU_DEP_1)
	v_add_nc_u32_e32 v33, 1, v34
	v_cndmask_b32_e32 v28, 33, v33, vcc_lo
	s_delay_alu instid0(VALU_DEP_1) | instskip(NEXT) | instid1(VALU_DEP_1)
	v_sub_nc_u32_e32 v29, 32, v28
	v_alignbit_b32 v31, v32, v27, v29
	v_alignbit_b32 v26, v27, v26, v29
	v_lshrrev_b32_e32 v27, 29, v1
	s_delay_alu instid0(VALU_DEP_2) | instskip(NEXT) | instid1(VALU_DEP_2)
	v_alignbit_b32 v29, v31, v26, 9
	v_lshlrev_b32_e32 v27, 31, v27
	v_alignbit_b32 v31, v28, v31, 9
	s_delay_alu instid0(VALU_DEP_3) | instskip(NEXT) | instid1(VALU_DEP_2)
	v_clz_i32_u32_e32 v32, v29
	v_or_b32_e32 v31, v31, v27
	v_or_b32_e32 v27, 0x33800000, v27
	s_delay_alu instid0(VALU_DEP_3) | instskip(NEXT) | instid1(VALU_DEP_3)
	v_min_u32_e32 v32, 32, v32
	v_xor_b32_e32 v31, 1.0, v31
	s_delay_alu instid0(VALU_DEP_2) | instskip(SKIP_1) | instid1(VALU_DEP_3)
	v_sub_nc_u32_e32 v33, 31, v32
	v_add_lshl_u32 v28, v32, v28, 23
	v_mul_f32_e32 v32, 0x3fc90fda, v31
	s_delay_alu instid0(VALU_DEP_3) | instskip(NEXT) | instid1(VALU_DEP_3)
	v_alignbit_b32 v26, v29, v26, v33
	v_sub_nc_u32_e32 v27, v27, v28
	s_delay_alu instid0(VALU_DEP_3) | instskip(NEXT) | instid1(VALU_DEP_3)
	v_fma_f32 v28, 0x3fc90fda, v31, -v32
                                        ; implicit-def: $vgpr29
	v_lshrrev_b32_e32 v26, 9, v26
	s_delay_alu instid0(VALU_DEP_2) | instskip(NEXT) | instid1(VALU_DEP_2)
	v_fmac_f32_e32 v28, 0x33a22168, v31
	v_or_b32_e32 v26, v27, v26
	s_delay_alu instid0(VALU_DEP_1) | instskip(SKIP_1) | instid1(VALU_DEP_1)
	v_fmac_f32_e32 v28, 0x3fc90fda, v26
	v_lshrrev_b32_e32 v26, 30, v1
	v_dual_add_f32 v1, v32, v28 :: v_dual_add_nc_u32 v28, v30, v26
	s_and_not1_saveexec_b32 s6, s33
	s_cbranch_execnz .LBB101_122
	s_branch .LBB101_123
.LBB101_121:                            ;   in Loop: Header=BB101_4 Depth=1
	s_and_not1_saveexec_b32 s6, s33
.LBB101_122:                            ;   in Loop: Header=BB101_4 Depth=1
	v_fma_f32 v1, 0xbfc90fda, v29, |v10|
	v_cvt_i32_f32_e32 v28, v29
	s_delay_alu instid0(VALU_DEP_2) | instskip(NEXT) | instid1(VALU_DEP_1)
	v_fmac_f32_e32 v1, 0xb3a22168, v29
	v_fmac_f32_e32 v1, 0xa7c234c4, v29
.LBB101_123:                            ;   in Loop: Header=BB101_4 Depth=1
	s_or_b32 exec_lo, exec_lo, s6
	v_dual_mul_f32 v26, v13, v13 :: v_dual_and_b32 v27, 1, v14
	s_delay_alu instid0(VALU_DEP_2) | instskip(SKIP_1) | instid1(VALU_DEP_3)
	v_dual_mul_f32 v29, v1, v1 :: v_dual_lshlrev_b32 v14, 30, v14
	v_and_b32_e32 v32, 1, v28
	v_fmaak_f32 v30, s27, v26, 0x3c0881c4
	v_fmaak_f32 v31, s28, v26, 0xbab64f3b
	s_delay_alu instid0(VALU_DEP_4) | instskip(SKIP_4) | instid1(VALU_DEP_2)
	v_fmaak_f32 v33, s27, v29, 0x3c0881c4
	v_cmp_eq_u32_e32 vcc_lo, 0, v27
	v_lshlrev_b32_e32 v28, 30, v28
	v_fmaak_f32 v30, v26, v30, 0xbe2aaa9d
	v_fmaak_f32 v31, v26, v31, 0x3d2aabf7
	v_dual_fmaak_f32 v33, v29, v33, 0xbe2aaa9d :: v_dual_mul_f32 v30, v26, v30
	s_delay_alu instid0(VALU_DEP_2) | instskip(NEXT) | instid1(VALU_DEP_2)
	v_fmaak_f32 v31, v26, v31, 0xbf000004
	v_mul_f32_e32 v33, v29, v33
	v_fmaak_f32 v34, s28, v29, 0xbab64f3b
	v_and_b32_e32 v14, 0x80000000, v14
	v_fmac_f32_e32 v13, v13, v30
	v_fma_f32 v26, v26, v31, 1.0
	v_fmac_f32_e32 v1, v1, v33
	v_fmaak_f32 v34, v29, v34, 0x3d2aabf7
	v_xor_b32_e32 v11, v11, v14
	s_delay_alu instid0(VALU_DEP_4) | instskip(SKIP_1) | instid1(VALU_DEP_4)
	v_cndmask_b32_e32 v13, v26, v13, vcc_lo
	v_cmp_eq_u32_e32 vcc_lo, 0, v32
	v_fmaak_f32 v34, v29, v34, 0xbf000004
	s_delay_alu instid0(VALU_DEP_3) | instskip(SKIP_1) | instid1(VALU_DEP_3)
	v_xor3_b32 v11, v11, v13, v10
	v_and_b32_e32 v26, 0x80000000, v28
	v_fma_f32 v14, v29, v34, 1.0
	s_delay_alu instid0(VALU_DEP_1) | instskip(SKIP_1) | instid1(VALU_DEP_2)
	v_cndmask_b32_e64 v1, -v1, v14, vcc_lo
	v_cmp_class_f32_e64 vcc_lo, v10, 0x1f8
	v_xor_b32_e32 v1, v26, v1
	s_delay_alu instid0(VALU_DEP_1) | instskip(NEXT) | instid1(VALU_DEP_1)
	v_mul_f32_e32 v1, v11, v1
	v_cndmask_b32_e32 v10, 0x7fc00000, v1, vcc_lo
.LBB101_124:                            ;   in Loop: Header=BB101_4 Depth=1
	s_or_b32 exec_lo, exec_lo, s31
	v_add_nc_u32_e32 v16, -2.0, v16
	s_delay_alu instid0(VALU_DEP_2)
	v_bfi_b32 v14, 0x7fffffff, 0, v10
.LBB101_125:                            ;   in Loop: Header=BB101_4 Depth=1
	s_or_b32 exec_lo, exec_lo, s30
.LBB101_126:                            ;   in Loop: Header=BB101_4 Depth=1
	s_delay_alu instid0(SALU_CYCLE_1) | instskip(SKIP_2) | instid1(VALU_DEP_1)
	s_or_b32 exec_lo, exec_lo, s29
	v_and_b32_e32 v1, 0x7fffffff, v8
                                        ; implicit-def: $vgpr11
                                        ; implicit-def: $vgpr26
	s_mov_b32 s6, exec_lo
	v_cmpx_gt_u32_e32 0x7f800000, v1
	s_xor_b32 s29, exec_lo, s6
	s_cbranch_execz .LBB101_137
; %bb.127:                              ;   in Loop: Header=BB101_4 Depth=1
	v_cmp_class_f32_e64 s6, v7, 0x1f8
                                        ; implicit-def: $vgpr11
                                        ; implicit-def: $vgpr26
	s_delay_alu instid0(VALU_DEP_1) | instskip(NEXT) | instid1(SALU_CYCLE_1)
	s_and_saveexec_b32 s7, s6
	s_xor_b32 s30, exec_lo, s7
	s_cbranch_execz .LBB101_164
; %bb.128:                              ;   in Loop: Header=BB101_4 Depth=1
	v_and_b32_e32 v10, 0x7fffffff, v7
                                        ; implicit-def: $vgpr11
                                        ; implicit-def: $vgpr26
	s_mov_b32 s6, exec_lo
	v_cmpx_gt_u32_e32 0x41300000, v1
	s_xor_b32 s31, exec_lo, s6
	s_cbranch_execz .LBB101_134
; %bb.129:                              ;   in Loop: Header=BB101_4 Depth=1
                                        ; implicit-def: $vgpr1
                                        ; implicit-def: $vgpr11
	s_mov_b32 s7, exec_lo
	v_cmpx_ngt_f32_e64 0x48000000, |v7|
	s_xor_b32 s33, exec_lo, s7
	s_cbranch_execz .LBB101_131
; %bb.130:                              ;   in Loop: Header=BB101_4 Depth=1
	v_and_or_b32 v11, v10, s23, 0x800000
	v_lshrrev_b32_e32 v13, 23, v10
	s_delay_alu instid0(VALU_DEP_2) | instskip(NEXT) | instid1(VALU_DEP_2)
	v_mad_u64_u32 v[26:27], null, 0xfe5163ab, v11, 0
	v_add_nc_u32_e32 v13, 0xffffff88, v13
	s_delay_alu instid0(VALU_DEP_1) | instskip(NEXT) | instid1(VALU_DEP_3)
	v_cmp_lt_u32_e32 vcc_lo, 63, v13
	v_mov_b32_e32 v1, v27
	v_cndmask_b32_e64 v32, 0, 0xffffffc0, vcc_lo
	s_delay_alu instid0(VALU_DEP_2) | instskip(NEXT) | instid1(VALU_DEP_2)
	v_mad_u64_u32 v[27:28], null, 0x3c439041, v11, v[1:2]
	v_add_nc_u32_e32 v13, v32, v13
	s_delay_alu instid0(VALU_DEP_2) | instskip(NEXT) | instid1(VALU_DEP_2)
	v_mov_b32_e32 v1, v28
	v_cmp_lt_u32_e64 s6, 31, v13
	s_delay_alu instid0(VALU_DEP_2) | instskip(NEXT) | instid1(VALU_DEP_2)
	v_mad_u64_u32 v[28:29], null, 0xdb629599, v11, v[1:2]
	v_cndmask_b32_e64 v33, 0, 0xffffffe0, s6
	s_delay_alu instid0(VALU_DEP_1) | instskip(NEXT) | instid1(VALU_DEP_3)
	v_add_nc_u32_e32 v13, v33, v13
	v_dual_mov_b32 v1, v29 :: v_dual_cndmask_b32 v26, v28, v26
	s_delay_alu instid0(VALU_DEP_2) | instskip(NEXT) | instid1(VALU_DEP_2)
	v_cmp_lt_u32_e64 s7, 31, v13
	v_mad_u64_u32 v[29:30], null, 0xf534ddc0, v11, v[1:2]
	s_delay_alu instid0(VALU_DEP_1) | instskip(NEXT) | instid1(VALU_DEP_1)
	v_mov_b32_e32 v1, v30
	v_mad_u64_u32 v[30:31], null, 0xfc2757d1, v11, v[1:2]
	s_delay_alu instid0(VALU_DEP_1) | instskip(NEXT) | instid1(VALU_DEP_1)
	v_mov_b32_e32 v1, v31
	;; [unrolled: 3-line block ×3, first 2 shown]
	v_mad_u64_u32 v[32:33], null, 0xa2f9836e, v11, v[1:2]
	v_cndmask_b32_e64 v1, 0, 0xffffffe0, s7
	s_delay_alu instid0(VALU_DEP_4) | instskip(NEXT) | instid1(VALU_DEP_2)
	v_cndmask_b32_e32 v11, v31, v29, vcc_lo
	v_dual_cndmask_b32 v32, v32, v30 :: v_dual_add_nc_u32 v1, v1, v13
	s_delay_alu instid0(VALU_DEP_4) | instskip(SKIP_1) | instid1(VALU_DEP_3)
	v_dual_cndmask_b32 v31, v33, v31 :: v_dual_cndmask_b32 v30, v30, v28
	v_cndmask_b32_e32 v13, v29, v27, vcc_lo
	v_cmp_eq_u32_e64 s8, 0, v1
	s_delay_alu instid0(VALU_DEP_4) | instskip(NEXT) | instid1(VALU_DEP_4)
	v_cndmask_b32_e64 v27, v32, v11, s6
	v_cndmask_b32_e64 v29, v31, v32, s6
	;; [unrolled: 1-line block ×3, first 2 shown]
	v_sub_nc_u32_e32 v31, 32, v1
	v_cndmask_b32_e64 v30, v30, v13, s6
	v_cndmask_b32_e64 v13, v13, v26, s6
	;; [unrolled: 1-line block ×4, first 2 shown]
	s_delay_alu instid0(VALU_DEP_4) | instskip(NEXT) | instid1(VALU_DEP_4)
	v_cndmask_b32_e64 v11, v11, v30, s7
	v_cndmask_b32_e64 v13, v30, v13, s7
	s_delay_alu instid0(VALU_DEP_3) | instskip(NEXT) | instid1(VALU_DEP_3)
	v_alignbit_b32 v32, v29, v27, v31
	v_alignbit_b32 v33, v27, v11, v31
	s_delay_alu instid0(VALU_DEP_3) | instskip(NEXT) | instid1(VALU_DEP_3)
	v_alignbit_b32 v31, v11, v13, v31
	v_cndmask_b32_e64 v1, v32, v29, s8
	s_delay_alu instid0(VALU_DEP_3) | instskip(NEXT) | instid1(VALU_DEP_3)
	v_cndmask_b32_e64 v27, v33, v27, s8
	v_cndmask_b32_e64 v11, v31, v11, s8
	s_delay_alu instid0(VALU_DEP_3) | instskip(NEXT) | instid1(VALU_DEP_3)
	v_bfe_u32 v28, v1, 29, 1
	v_alignbit_b32 v26, v1, v27, 30
	s_delay_alu instid0(VALU_DEP_3) | instskip(SKIP_1) | instid1(VALU_DEP_4)
	v_alignbit_b32 v27, v27, v11, 30
	v_alignbit_b32 v11, v11, v13, 30
	v_sub_nc_u32_e32 v29, 0, v28
	s_delay_alu instid0(VALU_DEP_1) | instskip(SKIP_3) | instid1(VALU_DEP_4)
	v_xor_b32_e32 v30, v26, v29
	v_cmp_ne_u32_e32 vcc_lo, v26, v29
	v_xor_b32_e32 v13, v27, v29
	v_xor_b32_e32 v11, v11, v29
	v_clz_i32_u32_e32 v32, v30
	s_delay_alu instid0(VALU_DEP_1) | instskip(NEXT) | instid1(VALU_DEP_1)
	v_add_nc_u32_e32 v31, 1, v32
	v_cndmask_b32_e32 v26, 33, v31, vcc_lo
	s_delay_alu instid0(VALU_DEP_1) | instskip(NEXT) | instid1(VALU_DEP_1)
	v_sub_nc_u32_e32 v27, 32, v26
	v_alignbit_b32 v29, v30, v13, v27
	v_alignbit_b32 v11, v13, v11, v27
	v_lshrrev_b32_e32 v13, 29, v1
	v_lshrrev_b32_e32 v1, 30, v1
	s_delay_alu instid0(VALU_DEP_3) | instskip(NEXT) | instid1(VALU_DEP_3)
	v_alignbit_b32 v27, v29, v11, 9
	v_lshlrev_b32_e32 v13, 31, v13
	v_alignbit_b32 v29, v26, v29, 9
	s_delay_alu instid0(VALU_DEP_4) | instskip(NEXT) | instid1(VALU_DEP_4)
	v_add_nc_u32_e32 v1, v28, v1
	v_clz_i32_u32_e32 v30, v27
	s_delay_alu instid0(VALU_DEP_3) | instskip(SKIP_1) | instid1(VALU_DEP_3)
	v_or_b32_e32 v29, v29, v13
	v_or_b32_e32 v13, 0x33800000, v13
	v_min_u32_e32 v30, 32, v30
	s_delay_alu instid0(VALU_DEP_3) | instskip(NEXT) | instid1(VALU_DEP_2)
	v_xor_b32_e32 v29, 1.0, v29
	v_sub_nc_u32_e32 v31, 31, v30
	v_add_lshl_u32 v26, v30, v26, 23
	s_delay_alu instid0(VALU_DEP_3) | instskip(NEXT) | instid1(VALU_DEP_3)
	v_mul_f32_e32 v30, 0x3fc90fda, v29
	v_alignbit_b32 v11, v27, v11, v31
	s_delay_alu instid0(VALU_DEP_3) | instskip(NEXT) | instid1(VALU_DEP_3)
	v_sub_nc_u32_e32 v13, v13, v26
	v_fma_f32 v26, 0x3fc90fda, v29, -v30
	s_delay_alu instid0(VALU_DEP_3) | instskip(NEXT) | instid1(VALU_DEP_2)
	v_lshrrev_b32_e32 v11, 9, v11
	v_fmac_f32_e32 v26, 0x33a22168, v29
	s_delay_alu instid0(VALU_DEP_2) | instskip(NEXT) | instid1(VALU_DEP_1)
	v_or_b32_e32 v11, v13, v11
	v_fmac_f32_e32 v26, 0x3fc90fda, v11
	s_delay_alu instid0(VALU_DEP_1)
	v_add_f32_e32 v11, v30, v26
.LBB101_131:                            ;   in Loop: Header=BB101_4 Depth=1
	s_and_not1_saveexec_b32 s6, s33
; %bb.132:                              ;   in Loop: Header=BB101_4 Depth=1
	v_mul_f32_e64 v1, 0x3f22f983, |v7|
	s_delay_alu instid0(VALU_DEP_1) | instskip(NEXT) | instid1(VALU_DEP_1)
	v_rndne_f32_e32 v1, v1
	v_fma_f32 v11, 0xbfc90fda, v1, |v7|
	s_delay_alu instid0(VALU_DEP_1) | instskip(NEXT) | instid1(VALU_DEP_1)
	v_fmac_f32_e32 v11, 0xb3a22168, v1
	v_fmac_f32_e32 v11, 0xa7c234c4, v1
	v_cvt_i32_f32_e32 v1, v1
; %bb.133:                              ;   in Loop: Header=BB101_4 Depth=1
	s_or_b32 exec_lo, exec_lo, s6
	v_add_f32_e64 v13, 0xbf317218, |v8|
	v_cmp_nlt_f32_e64 vcc_lo, 0x42b2d4fc, |v8|
	v_cmp_gt_f32_e64 s6, 0x39800000, |v8|
	v_and_b32_e32 v1, 1, v1
	s_delay_alu instid0(VALU_DEP_4) | instskip(NEXT) | instid1(VALU_DEP_1)
	v_sub_f32_e64 v26, v13, |v8|
	v_dual_sub_f32 v27, v26, v13 :: v_dual_add_f32 v26, 0x3f317218, v26
	s_delay_alu instid0(VALU_DEP_1) | instskip(NEXT) | instid1(VALU_DEP_1)
	v_add_f32_e64 v27, |v8|, v27
	v_sub_f32_e32 v26, v27, v26
	s_delay_alu instid0(VALU_DEP_1) | instskip(NEXT) | instid1(VALU_DEP_1)
	v_add_f32_e32 v26, 0x3102e308, v26
	v_add_f32_e32 v27, v13, v26
	s_delay_alu instid0(VALU_DEP_1) | instskip(NEXT) | instid1(VALU_DEP_1)
	v_sub_f32_e32 v13, v13, v27
	v_dual_mul_f32 v28, 0x3fb8aa3b, v27 :: v_dual_add_f32 v13, v26, v13
	s_delay_alu instid0(VALU_DEP_1) | instskip(NEXT) | instid1(VALU_DEP_1)
	v_rndne_f32_e32 v28, v28
	v_mul_f32_e32 v26, 0x35bfbc00, v28
	v_fmac_f32_e32 v27, 0xbf317200, v28
	s_delay_alu instid0(VALU_DEP_1) | instskip(NEXT) | instid1(VALU_DEP_1)
	v_add_f32_e32 v29, v13, v27
	v_dual_sub_f32 v30, v29, v26 :: v_dual_sub_f32 v27, v27, v29
	s_delay_alu instid0(VALU_DEP_1) | instskip(NEXT) | instid1(VALU_DEP_1)
	v_sub_f32_e32 v29, v29, v30
	v_sub_f32_e32 v26, v29, v26
	s_delay_alu instid0(VALU_DEP_3) | instskip(NEXT) | instid1(VALU_DEP_1)
	v_add_f32_e32 v13, v13, v27
	v_dual_add_f32 v13, v13, v26 :: v_dual_mul_f32 v26, 0x2ea39ef3, v28
	s_delay_alu instid0(VALU_DEP_1) | instskip(NEXT) | instid1(VALU_DEP_1)
	v_add_f32_e32 v27, v30, v13
	v_dual_sub_f32 v29, v27, v26 :: v_dual_sub_f32 v30, v30, v27
	s_delay_alu instid0(VALU_DEP_1) | instskip(NEXT) | instid1(VALU_DEP_2)
	v_sub_f32_e32 v27, v27, v29
	v_add_f32_e32 v13, v13, v30
	s_delay_alu instid0(VALU_DEP_2) | instskip(NEXT) | instid1(VALU_DEP_1)
	v_sub_f32_e32 v26, v27, v26
	v_add_f32_e32 v13, v13, v26
	s_delay_alu instid0(VALU_DEP_1) | instskip(NEXT) | instid1(VALU_DEP_1)
	v_add_f32_e32 v26, v29, v13
	v_sub_f32_e32 v27, v29, v26
	v_mul_f32_e32 v29, v26, v26
	s_delay_alu instid0(VALU_DEP_2) | instskip(SKIP_1) | instid1(VALU_DEP_3)
	v_add_f32_e32 v13, v13, v27
	v_fmaak_f32 v27, s26, v26, 0x3c091de6
	v_fma_f32 v30, v26, v26, -v29
	s_delay_alu instid0(VALU_DEP_3) | instskip(NEXT) | instid1(VALU_DEP_3)
	v_add_f32_e32 v31, v13, v13
	v_fmaak_f32 v27, v26, v27, 0x3d2aadcc
	s_delay_alu instid0(VALU_DEP_2) | instskip(NEXT) | instid1(VALU_DEP_2)
	v_fmac_f32_e32 v30, v26, v31
	v_fmaak_f32 v27, v26, v27, 0x3e2aaa47
	s_delay_alu instid0(VALU_DEP_2) | instskip(NEXT) | instid1(VALU_DEP_2)
	v_add_f32_e32 v31, v29, v30
	v_fmaak_f32 v27, v26, v27, 0x3efffffc
	s_delay_alu instid0(VALU_DEP_2) | instskip(NEXT) | instid1(VALU_DEP_1)
	v_sub_f32_e32 v29, v31, v29
	v_dual_mul_f32 v32, v27, v31 :: v_dual_sub_f32 v29, v30, v29
	s_delay_alu instid0(VALU_DEP_1) | instskip(NEXT) | instid1(VALU_DEP_1)
	v_fma_f32 v30, v31, v27, -v32
	v_fmac_f32_e32 v30, v29, v27
	s_delay_alu instid0(VALU_DEP_1) | instskip(NEXT) | instid1(VALU_DEP_1)
	v_add_f32_e32 v27, v32, v30
	v_sub_f32_e32 v31, v27, v32
	v_add_f32_e32 v29, v26, v27
	s_delay_alu instid0(VALU_DEP_2) | instskip(NEXT) | instid1(VALU_DEP_2)
	v_sub_f32_e32 v30, v30, v31
	v_sub_f32_e32 v26, v29, v26
	s_delay_alu instid0(VALU_DEP_1) | instskip(NEXT) | instid1(VALU_DEP_3)
	v_sub_f32_e32 v26, v27, v26
	v_add_f32_e32 v13, v13, v30
	s_delay_alu instid0(VALU_DEP_1) | instskip(NEXT) | instid1(VALU_DEP_1)
	v_add_f32_e32 v13, v13, v26
	v_add_f32_e32 v26, v29, v13
	s_delay_alu instid0(VALU_DEP_1) | instskip(NEXT) | instid1(VALU_DEP_1)
	v_add_f32_e32 v27, 1.0, v26
	v_dual_sub_f32 v29, v26, v29 :: v_dual_add_f32 v30, -1.0, v27
	s_delay_alu instid0(VALU_DEP_1) | instskip(NEXT) | instid1(VALU_DEP_1)
	v_dual_sub_f32 v13, v13, v29 :: v_dual_sub_f32 v26, v26, v30
	v_add_f32_e32 v13, v13, v26
	v_cvt_i32_f32_e32 v26, v28
	s_delay_alu instid0(VALU_DEP_2) | instskip(NEXT) | instid1(VALU_DEP_1)
	v_add_f32_e32 v28, v27, v13
	v_ldexp_f32 v29, v28, v26
	s_delay_alu instid0(VALU_DEP_1) | instskip(SKIP_1) | instid1(VALU_DEP_1)
	v_rcp_f32_e32 v30, v29
	v_sub_f32_e32 v27, v28, v27
	v_sub_f32_e32 v13, v13, v27
	s_waitcnt_depctr 0xfff
	v_mul_f32_e32 v27, v29, v30
	v_ldexp_f32 v13, v13, v26
	s_delay_alu instid0(VALU_DEP_2) | instskip(NEXT) | instid1(VALU_DEP_1)
	v_fma_f32 v26, v30, v29, -v27
	v_fmac_f32_e32 v26, v30, v13
	s_delay_alu instid0(VALU_DEP_1) | instskip(NEXT) | instid1(VALU_DEP_1)
	v_add_f32_e32 v28, v27, v26
	v_sub_f32_e32 v31, 1.0, v28
	v_sub_f32_e32 v27, v28, v27
	s_delay_alu instid0(VALU_DEP_2) | instskip(NEXT) | instid1(VALU_DEP_1)
	v_sub_f32_e32 v32, 1.0, v31
	v_dual_sub_f32 v26, v27, v26 :: v_dual_sub_f32 v27, v32, v28
	s_delay_alu instid0(VALU_DEP_1) | instskip(NEXT) | instid1(VALU_DEP_1)
	v_add_f32_e32 v26, v26, v27
	v_add_f32_e32 v27, v31, v26
	s_delay_alu instid0(VALU_DEP_1) | instskip(NEXT) | instid1(VALU_DEP_1)
	v_mul_f32_e32 v28, v30, v27
	v_dual_sub_f32 v31, v31, v27 :: v_dual_mul_f32 v32, v29, v28
	s_delay_alu instid0(VALU_DEP_1) | instskip(NEXT) | instid1(VALU_DEP_2)
	v_add_f32_e32 v26, v26, v31
	v_fma_f32 v33, v28, v29, -v32
	s_delay_alu instid0(VALU_DEP_1) | instskip(NEXT) | instid1(VALU_DEP_1)
	v_fmac_f32_e32 v33, v28, v13
	v_add_f32_e32 v34, v32, v33
	s_delay_alu instid0(VALU_DEP_1) | instskip(SKIP_1) | instid1(VALU_DEP_2)
	v_sub_f32_e32 v35, v27, v34
	v_sub_f32_e32 v31, v34, v32
	;; [unrolled: 1-line block ×3, first 2 shown]
	s_delay_alu instid0(VALU_DEP_2) | instskip(NEXT) | instid1(VALU_DEP_2)
	v_sub_f32_e32 v31, v31, v33
	v_sub_f32_e32 v27, v27, v34
	s_delay_alu instid0(VALU_DEP_1) | instskip(NEXT) | instid1(VALU_DEP_1)
	v_add_f32_e32 v26, v26, v27
	v_dual_add_f32 v27, v30, v28 :: v_dual_add_f32 v26, v31, v26
	s_delay_alu instid0(VALU_DEP_1) | instskip(NEXT) | instid1(VALU_DEP_2)
	v_sub_f32_e32 v31, v27, v30
	v_add_f32_e32 v26, v35, v26
	s_delay_alu instid0(VALU_DEP_2) | instskip(NEXT) | instid1(VALU_DEP_2)
	v_sub_f32_e32 v28, v28, v31
	v_mul_f32_e32 v26, v30, v26
	s_delay_alu instid0(VALU_DEP_1) | instskip(NEXT) | instid1(VALU_DEP_1)
	v_add_f32_e32 v26, v28, v26
	v_add_f32_e32 v28, v27, v26
	s_delay_alu instid0(VALU_DEP_1) | instskip(SKIP_1) | instid1(VALU_DEP_1)
	v_ldexp_f32 v30, v28, -2
	v_sub_f32_e32 v27, v28, v27
	v_dual_sub_f32 v31, v29, v30 :: v_dual_sub_f32 v26, v26, v27
	s_delay_alu instid0(VALU_DEP_1) | instskip(NEXT) | instid1(VALU_DEP_2)
	v_sub_f32_e32 v28, v29, v31
	v_ldexp_f32 v26, v26, -2
	s_delay_alu instid0(VALU_DEP_2) | instskip(SKIP_1) | instid1(VALU_DEP_2)
	v_sub_f32_e32 v27, v28, v30
	v_xor_b32_e32 v28, 0x80000000, v8
	v_add_f32_e32 v13, v13, v27
	s_delay_alu instid0(VALU_DEP_1) | instskip(NEXT) | instid1(VALU_DEP_1)
	v_dual_sub_f32 v13, v13, v26 :: v_dual_mul_f32 v26, v11, v11
	v_add_f32_e32 v13, v31, v13
	s_delay_alu instid0(VALU_DEP_2) | instskip(NEXT) | instid1(VALU_DEP_2)
	v_fmaak_f32 v27, s25, v26, 0xbf039337
	v_cndmask_b32_e32 v13, 0x7f800000, v13, vcc_lo
	s_delay_alu instid0(VALU_DEP_2) | instskip(NEXT) | instid1(VALU_DEP_2)
	v_fmaak_f32 v27, v26, v27, 0x3f93f425
	v_cndmask_b32_e64 v8, v13, |v8|, s6
	s_delay_alu instid0(VALU_DEP_2) | instskip(SKIP_1) | instid1(VALU_DEP_2)
	v_rcp_f32_e32 v13, v27
	v_fmaak_f32 v27, s24, v26, 0x3ec54587
	v_bfi_b32 v8, 0x7fffffff, v8, v28
	s_delay_alu instid0(VALU_DEP_1) | instskip(SKIP_4) | instid1(VALU_DEP_2)
	v_fma_f32 v28, v8, v8, 1.0
	s_waitcnt_depctr 0xfff
	v_mul_f32_e32 v13, v27, v13
	v_mul_f32_e32 v27, 0x4f800000, v28
	v_cmp_gt_f32_e32 vcc_lo, 0xf800000, v28
	v_dual_mul_f32 v13, v26, v13 :: v_dual_cndmask_b32 v26, v28, v27
	s_delay_alu instid0(VALU_DEP_1) | instskip(NEXT) | instid1(VALU_DEP_2)
	v_fma_f32 v27, v13, v11, v11
	v_sqrt_f32_e32 v28, v26
	s_delay_alu instid0(VALU_DEP_1) | instskip(SKIP_1) | instid1(VALU_DEP_1)
	v_rcp_f32_e32 v29, v27
	v_sub_f32_e32 v30, v27, v11
	v_fma_f32 v11, v13, v11, -v30
	s_waitcnt_depctr 0xfff
	v_add_nc_u32_e32 v31, -1, v28
	v_fma_f32 v13, v27, -v29, 1.0
	v_add_nc_u32_e32 v30, 1, v28
	s_delay_alu instid0(VALU_DEP_3) | instskip(NEXT) | instid1(VALU_DEP_3)
	v_fma_f32 v32, -v31, v28, v26
	v_fma_f32 v11, v11, -v29, v13
	s_delay_alu instid0(VALU_DEP_3) | instskip(NEXT) | instid1(VALU_DEP_3)
	v_fma_f32 v13, -v30, v28, v26
	v_cmp_ge_f32_e64 s6, 0, v32
	s_delay_alu instid0(VALU_DEP_3) | instskip(NEXT) | instid1(VALU_DEP_2)
	v_fma_f32 v11, v11, -v29, -v29
	v_cndmask_b32_e64 v28, v28, v31, s6
	s_delay_alu instid0(VALU_DEP_4) | instskip(NEXT) | instid1(VALU_DEP_1)
	v_cmp_lt_f32_e64 s6, 0, v13
	v_cndmask_b32_e64 v13, v28, v30, s6
	v_cmp_eq_u32_e64 s6, 0, v1
	s_delay_alu instid0(VALU_DEP_1) | instskip(NEXT) | instid1(VALU_DEP_3)
	v_cndmask_b32_e64 v1, v11, v27, s6
	v_mul_f32_e32 v11, 0x37800000, v13
	s_delay_alu instid0(VALU_DEP_2) | instskip(NEXT) | instid1(VALU_DEP_2)
	v_xor3_b32 v1, v10, v1, v7
	v_cndmask_b32_e32 v7, v13, v11, vcc_lo
	v_cmp_class_f32_e64 vcc_lo, v26, 0x260
	s_delay_alu instid0(VALU_DEP_3) | instskip(NEXT) | instid1(VALU_DEP_3)
	v_fma_f32 v10, v1, v1, 1.0
	v_cndmask_b32_e32 v7, v7, v26, vcc_lo
	s_delay_alu instid0(VALU_DEP_2) | instskip(NEXT) | instid1(VALU_DEP_2)
	v_mul_f32_e32 v11, v8, v10
	v_mul_f32_e32 v7, v7, v10
	s_delay_alu instid0(VALU_DEP_2) | instskip(NEXT) | instid1(VALU_DEP_2)
	v_fma_f32 v10, v8, v11, 1.0
	v_mul_f32_e32 v7, v8, v7
	s_delay_alu instid0(VALU_DEP_2) | instskip(NEXT) | instid1(VALU_DEP_2)
	v_div_scale_f32 v11, null, v10, v10, v1
	v_div_scale_f32 v8, null, v10, v10, v7
	v_div_scale_f32 v29, vcc_lo, v7, v10, v7
	s_delay_alu instid0(VALU_DEP_3) | instskip(NEXT) | instid1(VALU_DEP_2)
	v_rcp_f32_e32 v26, v11
	v_rcp_f32_e32 v13, v8
	s_waitcnt_depctr 0xfff
	v_fma_f32 v28, -v11, v26, 1.0
	v_fma_f32 v27, -v8, v13, 1.0
	s_delay_alu instid0(VALU_DEP_1) | instskip(SKIP_1) | instid1(VALU_DEP_2)
	v_dual_fmac_f32 v26, v28, v26 :: v_dual_fmac_f32 v13, v27, v13
	v_div_scale_f32 v27, s6, v1, v10, v1
	v_mul_f32_e32 v28, v29, v13
	s_delay_alu instid0(VALU_DEP_2) | instskip(NEXT) | instid1(VALU_DEP_2)
	v_mul_f32_e32 v30, v27, v26
	v_fma_f32 v31, -v8, v28, v29
	s_delay_alu instid0(VALU_DEP_2) | instskip(NEXT) | instid1(VALU_DEP_2)
	v_fma_f32 v32, -v11, v30, v27
	v_fmac_f32_e32 v28, v31, v13
	s_delay_alu instid0(VALU_DEP_2) | instskip(NEXT) | instid1(VALU_DEP_2)
	v_fmac_f32_e32 v30, v32, v26
	v_fma_f32 v8, -v8, v28, v29
	s_delay_alu instid0(VALU_DEP_2) | instskip(NEXT) | instid1(VALU_DEP_2)
	v_fma_f32 v11, -v11, v30, v27
	v_div_fmas_f32 v8, v8, v13, v28
	s_mov_b32 vcc_lo, s6
	s_delay_alu instid0(VALU_DEP_2) | instskip(NEXT) | instid1(VALU_DEP_2)
	v_div_fmas_f32 v11, v11, v26, v30
	v_div_fixup_f32 v26, v8, v10, v7
                                        ; implicit-def: $vgpr7
	s_delay_alu instid0(VALU_DEP_2)
	v_div_fixup_f32 v11, v11, v10, v1
                                        ; implicit-def: $vgpr10
.LBB101_134:                            ;   in Loop: Header=BB101_4 Depth=1
	s_and_not1_saveexec_b32 s31, s31
	s_cbranch_execz .LBB101_163
; %bb.135:                              ;   in Loop: Header=BB101_4 Depth=1
	v_lshrrev_b32_e32 v1, 23, v10
	v_cmp_ngt_f32_e64 s33, 0x48000000, |v7|
	v_and_or_b32 v13, v10, s23, 0x800000
                                        ; implicit-def: $vgpr26
                                        ; implicit-def: $vgpr11
	s_delay_alu instid0(VALU_DEP_3) | instskip(NEXT) | instid1(VALU_DEP_3)
	v_add_nc_u32_e32 v27, 0xffffff88, v1
	s_and_saveexec_b32 s6, s33
	s_delay_alu instid0(SALU_CYCLE_1)
	s_xor_b32 s34, exec_lo, s6
	s_cbranch_execz .LBB101_148
; %bb.136:                              ;   in Loop: Header=BB101_4 Depth=1
	v_mad_u64_u32 v[28:29], null, 0xfe5163ab, v13, 0
	v_cmp_lt_u32_e32 vcc_lo, 63, v27
	v_cndmask_b32_e64 v11, 0, 0xffffffc0, vcc_lo
	s_delay_alu instid0(VALU_DEP_3) | instskip(NEXT) | instid1(VALU_DEP_2)
	v_mov_b32_e32 v1, v29
	v_add_nc_u32_e32 v11, v11, v27
	s_delay_alu instid0(VALU_DEP_2) | instskip(NEXT) | instid1(VALU_DEP_2)
	v_mad_u64_u32 v[29:30], null, 0x3c439041, v13, v[1:2]
	v_cmp_lt_u32_e64 s6, 31, v11
	s_delay_alu instid0(VALU_DEP_2) | instskip(NEXT) | instid1(VALU_DEP_2)
	v_mov_b32_e32 v1, v30
	v_cndmask_b32_e64 v26, 0, 0xffffffe0, s6
	s_delay_alu instid0(VALU_DEP_2) | instskip(NEXT) | instid1(VALU_DEP_2)
	v_mad_u64_u32 v[30:31], null, 0xdb629599, v13, v[1:2]
	v_add_nc_u32_e32 v11, v26, v11
	s_delay_alu instid0(VALU_DEP_1) | instskip(NEXT) | instid1(VALU_DEP_3)
	v_cmp_lt_u32_e64 s7, 31, v11
	v_dual_mov_b32 v1, v31 :: v_dual_cndmask_b32 v28, v30, v28
	s_delay_alu instid0(VALU_DEP_1) | instskip(NEXT) | instid1(VALU_DEP_1)
	v_mad_u64_u32 v[31:32], null, 0xf534ddc0, v13, v[1:2]
	v_mov_b32_e32 v1, v32
	s_delay_alu instid0(VALU_DEP_1) | instskip(NEXT) | instid1(VALU_DEP_1)
	v_mad_u64_u32 v[32:33], null, 0xfc2757d1, v13, v[1:2]
	v_mov_b32_e32 v1, v33
	s_delay_alu instid0(VALU_DEP_1) | instskip(NEXT) | instid1(VALU_DEP_1)
	v_mad_u64_u32 v[33:34], null, 0x4e441529, v13, v[1:2]
	v_dual_mov_b32 v1, v34 :: v_dual_cndmask_b32 v26, v33, v31
	s_delay_alu instid0(VALU_DEP_1) | instskip(SKIP_1) | instid1(VALU_DEP_1)
	v_mad_u64_u32 v[34:35], null, 0xa2f9836e, v13, v[1:2]
	v_cndmask_b32_e64 v1, 0, 0xffffffe0, s7
	v_dual_cndmask_b32 v34, v34, v32 :: v_dual_add_nc_u32 v1, v1, v11
	s_delay_alu instid0(VALU_DEP_3) | instskip(SKIP_1) | instid1(VALU_DEP_3)
	v_dual_cndmask_b32 v33, v35, v33 :: v_dual_cndmask_b32 v32, v32, v30
	v_cndmask_b32_e32 v11, v31, v29, vcc_lo
	v_cmp_eq_u32_e64 s8, 0, v1
	s_delay_alu instid0(VALU_DEP_4) | instskip(NEXT) | instid1(VALU_DEP_4)
	v_cndmask_b32_e64 v29, v34, v26, s6
	v_cndmask_b32_e64 v31, v33, v34, s6
	;; [unrolled: 1-line block ×3, first 2 shown]
	v_sub_nc_u32_e32 v33, 32, v1
	v_cndmask_b32_e64 v32, v32, v11, s6
	v_cndmask_b32_e64 v11, v11, v28, s6
	;; [unrolled: 1-line block ×4, first 2 shown]
	s_delay_alu instid0(VALU_DEP_4) | instskip(NEXT) | instid1(VALU_DEP_4)
	v_cndmask_b32_e64 v26, v26, v32, s7
	v_cndmask_b32_e64 v11, v32, v11, s7
	s_delay_alu instid0(VALU_DEP_3) | instskip(NEXT) | instid1(VALU_DEP_3)
	v_alignbit_b32 v34, v31, v29, v33
	v_alignbit_b32 v35, v29, v26, v33
	s_delay_alu instid0(VALU_DEP_3) | instskip(NEXT) | instid1(VALU_DEP_3)
	v_alignbit_b32 v33, v26, v11, v33
	v_cndmask_b32_e64 v1, v34, v31, s8
	s_delay_alu instid0(VALU_DEP_3) | instskip(NEXT) | instid1(VALU_DEP_3)
	v_cndmask_b32_e64 v29, v35, v29, s8
	v_cndmask_b32_e64 v26, v33, v26, s8
	s_delay_alu instid0(VALU_DEP_3) | instskip(NEXT) | instid1(VALU_DEP_3)
	v_bfe_u32 v30, v1, 29, 1
	v_alignbit_b32 v28, v1, v29, 30
	s_delay_alu instid0(VALU_DEP_3) | instskip(SKIP_1) | instid1(VALU_DEP_4)
	v_alignbit_b32 v29, v29, v26, 30
	v_alignbit_b32 v11, v26, v11, 30
	v_sub_nc_u32_e32 v31, 0, v30
	s_delay_alu instid0(VALU_DEP_1) | instskip(SKIP_3) | instid1(VALU_DEP_4)
	v_xor_b32_e32 v32, v28, v31
	v_cmp_ne_u32_e32 vcc_lo, v28, v31
	v_xor_b32_e32 v26, v29, v31
	v_xor_b32_e32 v11, v11, v31
	v_clz_i32_u32_e32 v34, v32
	s_delay_alu instid0(VALU_DEP_1) | instskip(NEXT) | instid1(VALU_DEP_1)
	v_add_nc_u32_e32 v33, 1, v34
	v_cndmask_b32_e32 v28, 33, v33, vcc_lo
	s_delay_alu instid0(VALU_DEP_1) | instskip(NEXT) | instid1(VALU_DEP_1)
	v_sub_nc_u32_e32 v29, 32, v28
	v_alignbit_b32 v31, v32, v26, v29
	v_alignbit_b32 v11, v26, v11, v29
	v_lshrrev_b32_e32 v26, 29, v1
	v_lshrrev_b32_e32 v1, 30, v1
	s_delay_alu instid0(VALU_DEP_3) | instskip(NEXT) | instid1(VALU_DEP_3)
	v_alignbit_b32 v29, v31, v11, 9
	v_lshlrev_b32_e32 v26, 31, v26
	v_alignbit_b32 v31, v28, v31, 9
	s_delay_alu instid0(VALU_DEP_3) | instskip(NEXT) | instid1(VALU_DEP_2)
	v_clz_i32_u32_e32 v32, v29
	v_or_b32_e32 v31, v31, v26
	v_or_b32_e32 v26, 0x33800000, v26
	s_delay_alu instid0(VALU_DEP_3) | instskip(NEXT) | instid1(VALU_DEP_3)
	v_min_u32_e32 v32, 32, v32
	v_xor_b32_e32 v31, 1.0, v31
	s_delay_alu instid0(VALU_DEP_2) | instskip(SKIP_1) | instid1(VALU_DEP_3)
	v_sub_nc_u32_e32 v33, 31, v32
	v_add_lshl_u32 v28, v32, v28, 23
	v_mul_f32_e32 v32, 0x3fc90fda, v31
	s_delay_alu instid0(VALU_DEP_3) | instskip(NEXT) | instid1(VALU_DEP_3)
	v_alignbit_b32 v11, v29, v11, v33
	v_sub_nc_u32_e32 v26, v26, v28
	s_delay_alu instid0(VALU_DEP_3) | instskip(NEXT) | instid1(VALU_DEP_3)
	v_fma_f32 v28, 0x3fc90fda, v31, -v32
	v_lshrrev_b32_e32 v11, 9, v11
	s_delay_alu instid0(VALU_DEP_2) | instskip(NEXT) | instid1(VALU_DEP_2)
	v_fmac_f32_e32 v28, 0x33a22168, v31
	v_or_b32_e32 v11, v26, v11
	v_add_nc_u32_e32 v26, v30, v1
	s_delay_alu instid0(VALU_DEP_2) | instskip(NEXT) | instid1(VALU_DEP_1)
	v_fmac_f32_e32 v28, 0x3fc90fda, v11
	v_add_f32_e32 v11, v32, v28
	s_and_not1_saveexec_b32 s6, s34
	s_branch .LBB101_149
.LBB101_137:                            ;   in Loop: Header=BB101_4 Depth=1
	s_and_not1_saveexec_b32 s29, s29
	s_cbranch_execz .LBB101_167
.LBB101_138:                            ;   in Loop: Header=BB101_4 Depth=1
	v_xor_b32_e32 v26, 0x80000000, v8
	s_mov_b32 s6, exec_lo
                                        ; implicit-def: $vgpr11
	s_delay_alu instid0(VALU_DEP_1) | instskip(NEXT) | instid1(VALU_DEP_1)
	v_and_b32_e32 v1, 0x7fffff, v26
	v_cmpx_ne_u32_e32 0, v1
	s_xor_b32 s6, exec_lo, s6
; %bb.139:                              ;   in Loop: Header=BB101_4 Depth=1
	v_mul_f32_e64 v1, v7, -v8
	v_cmp_eq_f32_e32 vcc_lo, 0, v7
	s_delay_alu instid0(VALU_DEP_2)
	v_cndmask_b32_e32 v11, v1, v7, vcc_lo
                                        ; implicit-def: $vgpr7
; %bb.140:                              ;   in Loop: Header=BB101_4 Depth=1
	s_and_not1_saveexec_b32 s30, s6
	s_cbranch_execz .LBB101_156
; %bb.141:                              ;   in Loop: Header=BB101_4 Depth=1
	s_mov_b32 s31, exec_lo
	v_cmpx_neq_f32_e64 0x7f800000, |v7|
	s_cbranch_execz .LBB101_155
; %bb.142:                              ;   in Loop: Header=BB101_4 Depth=1
	v_and_b32_e32 v8, 0x7fffffff, v7
	v_cmp_ngt_f32_e64 s33, 0x48000000, |v7|
                                        ; implicit-def: $vgpr11
                                        ; implicit-def: $vgpr10
	s_delay_alu instid0(VALU_DEP_2) | instskip(SKIP_1) | instid1(VALU_DEP_2)
	v_lshrrev_b32_e32 v1, 23, v8
	v_and_or_b32 v13, v8, s23, 0x800000
	v_add_nc_u32_e32 v27, 0xffffff88, v1
	s_delay_alu instid0(VALU_DEP_4) | instskip(NEXT) | instid1(SALU_CYCLE_1)
	s_and_saveexec_b32 s6, s33
	s_xor_b32 s34, exec_lo, s6
	s_cbranch_execz .LBB101_144
; %bb.143:                              ;   in Loop: Header=BB101_4 Depth=1
	v_mad_u64_u32 v[10:11], null, 0xfe5163ab, v13, 0
	v_cmp_lt_u32_e32 vcc_lo, 63, v27
	s_delay_alu instid0(VALU_DEP_2) | instskip(SKIP_1) | instid1(VALU_DEP_2)
	v_mov_b32_e32 v1, v11
	v_cndmask_b32_e64 v11, 0, 0xffffffc0, vcc_lo
	v_mad_u64_u32 v[28:29], null, 0x3c439041, v13, v[1:2]
	s_delay_alu instid0(VALU_DEP_2) | instskip(NEXT) | instid1(VALU_DEP_1)
	v_add_nc_u32_e32 v11, v11, v27
	v_cmp_lt_u32_e64 s6, 31, v11
	s_delay_alu instid0(VALU_DEP_3) | instskip(NEXT) | instid1(VALU_DEP_2)
	v_mov_b32_e32 v1, v29
	v_cndmask_b32_e64 v34, 0, 0xffffffe0, s6
	s_delay_alu instid0(VALU_DEP_2) | instskip(NEXT) | instid1(VALU_DEP_2)
	v_mad_u64_u32 v[29:30], null, 0xdb629599, v13, v[1:2]
	v_add_nc_u32_e32 v11, v34, v11
	s_delay_alu instid0(VALU_DEP_2) | instskip(NEXT) | instid1(VALU_DEP_2)
	v_dual_mov_b32 v1, v30 :: v_dual_cndmask_b32 v10, v29, v10
	v_cmp_lt_u32_e64 s7, 31, v11
	s_delay_alu instid0(VALU_DEP_2) | instskip(NEXT) | instid1(VALU_DEP_1)
	v_mad_u64_u32 v[30:31], null, 0xf534ddc0, v13, v[1:2]
	v_mov_b32_e32 v1, v31
	s_delay_alu instid0(VALU_DEP_1) | instskip(NEXT) | instid1(VALU_DEP_1)
	v_mad_u64_u32 v[31:32], null, 0xfc2757d1, v13, v[1:2]
	v_mov_b32_e32 v1, v32
	s_delay_alu instid0(VALU_DEP_1) | instskip(NEXT) | instid1(VALU_DEP_1)
	v_mad_u64_u32 v[32:33], null, 0x4e441529, v13, v[1:2]
	v_mov_b32_e32 v1, v33
	s_delay_alu instid0(VALU_DEP_2) | instskip(NEXT) | instid1(VALU_DEP_2)
	v_cndmask_b32_e32 v35, v32, v30, vcc_lo
	v_mad_u64_u32 v[33:34], null, 0xa2f9836e, v13, v[1:2]
	v_cndmask_b32_e64 v1, 0, 0xffffffe0, s7
	s_delay_alu instid0(VALU_DEP_1) | instskip(NEXT) | instid1(VALU_DEP_3)
	v_add_nc_u32_e32 v1, v1, v11
	v_dual_cndmask_b32 v33, v33, v31 :: v_dual_cndmask_b32 v32, v34, v32
	v_cndmask_b32_e32 v31, v31, v29, vcc_lo
	v_cndmask_b32_e32 v11, v30, v28, vcc_lo
	s_delay_alu instid0(VALU_DEP_4) | instskip(NEXT) | instid1(VALU_DEP_4)
	v_cmp_eq_u32_e64 s8, 0, v1
	v_cndmask_b32_e64 v28, v33, v35, s6
	v_cndmask_b32_e64 v30, v32, v33, s6
	;; [unrolled: 1-line block ×3, first 2 shown]
	v_sub_nc_u32_e32 v33, 32, v1
	v_cndmask_b32_e64 v31, v31, v11, s6
	v_cndmask_b32_e64 v10, v11, v10, s6
	;; [unrolled: 1-line block ×4, first 2 shown]
	s_delay_alu instid0(VALU_DEP_4) | instskip(NEXT) | instid1(VALU_DEP_4)
	v_cndmask_b32_e64 v32, v32, v31, s7
	v_cndmask_b32_e64 v10, v31, v10, s7
	s_delay_alu instid0(VALU_DEP_3) | instskip(NEXT) | instid1(VALU_DEP_3)
	v_alignbit_b32 v34, v30, v28, v33
	v_alignbit_b32 v35, v28, v32, v33
	s_delay_alu instid0(VALU_DEP_3) | instskip(NEXT) | instid1(VALU_DEP_3)
	v_alignbit_b32 v33, v32, v10, v33
	v_cndmask_b32_e64 v1, v34, v30, s8
	s_delay_alu instid0(VALU_DEP_3) | instskip(NEXT) | instid1(VALU_DEP_3)
	v_cndmask_b32_e64 v28, v35, v28, s8
	v_cndmask_b32_e64 v32, v33, v32, s8
	s_delay_alu instid0(VALU_DEP_3) | instskip(NEXT) | instid1(VALU_DEP_3)
	v_bfe_u32 v29, v1, 29, 1
	v_alignbit_b32 v11, v1, v28, 30
	s_delay_alu instid0(VALU_DEP_3) | instskip(SKIP_1) | instid1(VALU_DEP_4)
	v_alignbit_b32 v28, v28, v32, 30
	v_alignbit_b32 v10, v32, v10, 30
	v_sub_nc_u32_e32 v30, 0, v29
	s_delay_alu instid0(VALU_DEP_1) | instskip(SKIP_3) | instid1(VALU_DEP_4)
	v_xor_b32_e32 v31, v11, v30
	v_cmp_ne_u32_e32 vcc_lo, v11, v30
	v_xor_b32_e32 v28, v28, v30
	v_xor_b32_e32 v10, v10, v30
	v_clz_i32_u32_e32 v34, v31
	s_delay_alu instid0(VALU_DEP_1) | instskip(NEXT) | instid1(VALU_DEP_1)
	v_add_nc_u32_e32 v33, 1, v34
	v_cndmask_b32_e32 v11, 33, v33, vcc_lo
	s_delay_alu instid0(VALU_DEP_1) | instskip(NEXT) | instid1(VALU_DEP_1)
	v_sub_nc_u32_e32 v32, 32, v11
	v_alignbit_b32 v30, v31, v28, v32
	v_alignbit_b32 v10, v28, v10, v32
	v_lshrrev_b32_e32 v28, 29, v1
	v_lshrrev_b32_e32 v1, 30, v1
	s_delay_alu instid0(VALU_DEP_3) | instskip(NEXT) | instid1(VALU_DEP_3)
	v_alignbit_b32 v31, v30, v10, 9
	v_lshlrev_b32_e32 v28, 31, v28
	v_alignbit_b32 v30, v11, v30, 9
	s_delay_alu instid0(VALU_DEP_3) | instskip(NEXT) | instid1(VALU_DEP_2)
	v_clz_i32_u32_e32 v32, v31
	v_or_b32_e32 v30, v30, v28
	v_or_b32_e32 v28, 0x33800000, v28
	s_delay_alu instid0(VALU_DEP_3) | instskip(NEXT) | instid1(VALU_DEP_3)
	v_min_u32_e32 v32, 32, v32
	v_xor_b32_e32 v30, 1.0, v30
	s_delay_alu instid0(VALU_DEP_2) | instskip(SKIP_1) | instid1(VALU_DEP_3)
	v_sub_nc_u32_e32 v33, 31, v32
	v_add_lshl_u32 v11, v32, v11, 23
	v_mul_f32_e32 v32, 0x3fc90fda, v30
	s_delay_alu instid0(VALU_DEP_3) | instskip(NEXT) | instid1(VALU_DEP_3)
	v_alignbit_b32 v10, v31, v10, v33
	v_sub_nc_u32_e32 v11, v28, v11
	s_delay_alu instid0(VALU_DEP_3) | instskip(NEXT) | instid1(VALU_DEP_3)
	v_fma_f32 v28, 0x3fc90fda, v30, -v32
	v_lshrrev_b32_e32 v10, 9, v10
	s_delay_alu instid0(VALU_DEP_2) | instskip(NEXT) | instid1(VALU_DEP_2)
	v_fmac_f32_e32 v28, 0x33a22168, v30
	v_or_b32_e32 v10, v11, v10
	s_delay_alu instid0(VALU_DEP_1) | instskip(NEXT) | instid1(VALU_DEP_1)
	v_dual_fmac_f32 v28, 0x3fc90fda, v10 :: v_dual_add_nc_u32 v11, v29, v1
	v_add_f32_e32 v10, v32, v28
.LBB101_144:                            ;   in Loop: Header=BB101_4 Depth=1
	s_or_saveexec_b32 s6, s34
	v_mul_f32_e64 v1, 0x3f22f983, |v7|
	s_delay_alu instid0(VALU_DEP_1)
	v_rndne_f32_e32 v29, v1
	s_xor_b32 exec_lo, exec_lo, s6
; %bb.145:                              ;   in Loop: Header=BB101_4 Depth=1
	s_delay_alu instid0(VALU_DEP_1) | instskip(SKIP_1) | instid1(VALU_DEP_2)
	v_fma_f32 v10, 0xbfc90fda, v29, |v7|
	v_cvt_i32_f32_e32 v11, v29
	v_fmac_f32_e32 v10, 0xb3a22168, v29
	s_delay_alu instid0(VALU_DEP_1)
	v_fmac_f32_e32 v10, 0xa7c234c4, v29
; %bb.146:                              ;   in Loop: Header=BB101_4 Depth=1
	s_or_b32 exec_lo, exec_lo, s6
                                        ; implicit-def: $vgpr28
                                        ; implicit-def: $vgpr1
	s_and_saveexec_b32 s6, s33
	s_delay_alu instid0(SALU_CYCLE_1)
	s_xor_b32 s33, exec_lo, s6
	s_cbranch_execz .LBB101_152
; %bb.147:                              ;   in Loop: Header=BB101_4 Depth=1
	v_mad_u64_u32 v[28:29], null, 0xfe5163ab, v13, 0
	v_cmp_lt_u32_e32 vcc_lo, 63, v27
	v_cndmask_b32_e64 v34, 0, 0xffffffc0, vcc_lo
	s_delay_alu instid0(VALU_DEP_3) | instskip(NEXT) | instid1(VALU_DEP_2)
	v_mov_b32_e32 v1, v29
	v_add_nc_u32_e32 v27, v34, v27
	s_delay_alu instid0(VALU_DEP_2) | instskip(NEXT) | instid1(VALU_DEP_2)
	v_mad_u64_u32 v[29:30], null, 0x3c439041, v13, v[1:2]
	v_cmp_lt_u32_e64 s6, 31, v27
	s_delay_alu instid0(VALU_DEP_2) | instskip(NEXT) | instid1(VALU_DEP_2)
	v_mov_b32_e32 v1, v30
	v_cndmask_b32_e64 v35, 0, 0xffffffe0, s6
	s_delay_alu instid0(VALU_DEP_2) | instskip(NEXT) | instid1(VALU_DEP_2)
	v_mad_u64_u32 v[30:31], null, 0xdb629599, v13, v[1:2]
	v_add_nc_u32_e32 v27, v35, v27
	s_delay_alu instid0(VALU_DEP_1) | instskip(NEXT) | instid1(VALU_DEP_3)
	v_cmp_lt_u32_e64 s7, 31, v27
	v_dual_mov_b32 v1, v31 :: v_dual_cndmask_b32 v28, v30, v28
	s_delay_alu instid0(VALU_DEP_1) | instskip(NEXT) | instid1(VALU_DEP_1)
	v_mad_u64_u32 v[31:32], null, 0xf534ddc0, v13, v[1:2]
	v_mov_b32_e32 v1, v32
	s_delay_alu instid0(VALU_DEP_1) | instskip(NEXT) | instid1(VALU_DEP_1)
	v_mad_u64_u32 v[32:33], null, 0xfc2757d1, v13, v[1:2]
	v_mov_b32_e32 v1, v33
	;; [unrolled: 3-line block ×3, first 2 shown]
	s_delay_alu instid0(VALU_DEP_1) | instskip(SKIP_1) | instid1(VALU_DEP_4)
	v_mad_u64_u32 v[34:35], null, 0xa2f9836e, v13, v[1:2]
	v_cndmask_b32_e64 v1, 0, 0xffffffe0, s7
	v_cndmask_b32_e32 v13, v33, v31, vcc_lo
	s_delay_alu instid0(VALU_DEP_2) | instskip(NEXT) | instid1(VALU_DEP_4)
	v_dual_cndmask_b32 v34, v34, v32 :: v_dual_add_nc_u32 v1, v1, v27
	v_dual_cndmask_b32 v33, v35, v33 :: v_dual_cndmask_b32 v32, v32, v30
	v_cndmask_b32_e32 v27, v31, v29, vcc_lo
	s_delay_alu instid0(VALU_DEP_3) | instskip(NEXT) | instid1(VALU_DEP_4)
	v_cmp_eq_u32_e64 s8, 0, v1
	v_cndmask_b32_e64 v29, v34, v13, s6
	s_delay_alu instid0(VALU_DEP_4)
	v_cndmask_b32_e64 v31, v33, v34, s6
	v_cndmask_b32_e64 v13, v13, v32, s6
	v_sub_nc_u32_e32 v33, 32, v1
	v_cndmask_b32_e64 v32, v32, v27, s6
	v_cndmask_b32_e64 v27, v27, v28, s6
	;; [unrolled: 1-line block ×4, first 2 shown]
	s_delay_alu instid0(VALU_DEP_4) | instskip(NEXT) | instid1(VALU_DEP_4)
	v_cndmask_b32_e64 v13, v13, v32, s7
	v_cndmask_b32_e64 v27, v32, v27, s7
	s_delay_alu instid0(VALU_DEP_3) | instskip(NEXT) | instid1(VALU_DEP_3)
	v_alignbit_b32 v34, v31, v29, v33
	v_alignbit_b32 v35, v29, v13, v33
	s_delay_alu instid0(VALU_DEP_3) | instskip(NEXT) | instid1(VALU_DEP_3)
	v_alignbit_b32 v33, v13, v27, v33
	v_cndmask_b32_e64 v1, v34, v31, s8
	s_delay_alu instid0(VALU_DEP_3) | instskip(NEXT) | instid1(VALU_DEP_3)
	v_cndmask_b32_e64 v29, v35, v29, s8
	v_cndmask_b32_e64 v13, v33, v13, s8
	s_delay_alu instid0(VALU_DEP_3) | instskip(NEXT) | instid1(VALU_DEP_3)
	v_bfe_u32 v30, v1, 29, 1
	v_alignbit_b32 v28, v1, v29, 30
	s_delay_alu instid0(VALU_DEP_3) | instskip(SKIP_1) | instid1(VALU_DEP_4)
	v_alignbit_b32 v29, v29, v13, 30
	v_alignbit_b32 v13, v13, v27, 30
	v_sub_nc_u32_e32 v31, 0, v30
	s_delay_alu instid0(VALU_DEP_1) | instskip(SKIP_3) | instid1(VALU_DEP_4)
	v_xor_b32_e32 v32, v28, v31
	v_cmp_ne_u32_e32 vcc_lo, v28, v31
	v_xor_b32_e32 v27, v29, v31
	v_xor_b32_e32 v13, v13, v31
	v_clz_i32_u32_e32 v34, v32
	s_delay_alu instid0(VALU_DEP_1) | instskip(NEXT) | instid1(VALU_DEP_1)
	v_add_nc_u32_e32 v33, 1, v34
	v_cndmask_b32_e32 v28, 33, v33, vcc_lo
	s_delay_alu instid0(VALU_DEP_1) | instskip(NEXT) | instid1(VALU_DEP_1)
	v_sub_nc_u32_e32 v29, 32, v28
	v_alignbit_b32 v31, v32, v27, v29
	v_alignbit_b32 v13, v27, v13, v29
	v_lshrrev_b32_e32 v27, 29, v1
	s_delay_alu instid0(VALU_DEP_2) | instskip(NEXT) | instid1(VALU_DEP_2)
	v_alignbit_b32 v29, v31, v13, 9
	v_lshlrev_b32_e32 v27, 31, v27
	v_alignbit_b32 v31, v28, v31, 9
	s_delay_alu instid0(VALU_DEP_3) | instskip(NEXT) | instid1(VALU_DEP_2)
	v_clz_i32_u32_e32 v32, v29
	v_or_b32_e32 v31, v31, v27
	v_or_b32_e32 v27, 0x33800000, v27
	s_delay_alu instid0(VALU_DEP_3) | instskip(NEXT) | instid1(VALU_DEP_3)
	v_min_u32_e32 v32, 32, v32
	v_xor_b32_e32 v31, 1.0, v31
	s_delay_alu instid0(VALU_DEP_2) | instskip(SKIP_1) | instid1(VALU_DEP_3)
	v_sub_nc_u32_e32 v33, 31, v32
	v_add_lshl_u32 v28, v32, v28, 23
	v_mul_f32_e32 v32, 0x3fc90fda, v31
	s_delay_alu instid0(VALU_DEP_3) | instskip(NEXT) | instid1(VALU_DEP_3)
	v_alignbit_b32 v13, v29, v13, v33
	v_sub_nc_u32_e32 v27, v27, v28
	s_delay_alu instid0(VALU_DEP_3) | instskip(NEXT) | instid1(VALU_DEP_3)
	v_fma_f32 v28, 0x3fc90fda, v31, -v32
                                        ; implicit-def: $vgpr29
	v_lshrrev_b32_e32 v13, 9, v13
	s_delay_alu instid0(VALU_DEP_2) | instskip(NEXT) | instid1(VALU_DEP_2)
	v_fmac_f32_e32 v28, 0x33a22168, v31
	v_or_b32_e32 v13, v27, v13
	s_delay_alu instid0(VALU_DEP_1) | instskip(SKIP_1) | instid1(VALU_DEP_1)
	v_fmac_f32_e32 v28, 0x3fc90fda, v13
	v_lshrrev_b32_e32 v13, 30, v1
	v_dual_add_f32 v1, v32, v28 :: v_dual_add_nc_u32 v28, v30, v13
	s_and_not1_saveexec_b32 s6, s33
	s_cbranch_execnz .LBB101_153
	s_branch .LBB101_154
.LBB101_148:                            ;   in Loop: Header=BB101_4 Depth=1
	s_and_not1_saveexec_b32 s6, s34
.LBB101_149:                            ;   in Loop: Header=BB101_4 Depth=1
	v_mul_f32_e64 v1, 0x3f22f983, |v7|
	s_delay_alu instid0(VALU_DEP_1) | instskip(NEXT) | instid1(VALU_DEP_1)
	v_rndne_f32_e32 v1, v1
	v_fma_f32 v11, 0xbfc90fda, v1, |v7|
	v_cvt_i32_f32_e32 v26, v1
	s_delay_alu instid0(VALU_DEP_2) | instskip(NEXT) | instid1(VALU_DEP_1)
	v_fmac_f32_e32 v11, 0xb3a22168, v1
	v_fmac_f32_e32 v11, 0xa7c234c4, v1
; %bb.150:                              ;   in Loop: Header=BB101_4 Depth=1
	s_or_b32 exec_lo, exec_lo, s6
                                        ; implicit-def: $vgpr28
                                        ; implicit-def: $vgpr1
	s_and_saveexec_b32 s6, s33
	s_delay_alu instid0(SALU_CYCLE_1)
	s_xor_b32 s33, exec_lo, s6
	s_cbranch_execz .LBB101_160
; %bb.151:                              ;   in Loop: Header=BB101_4 Depth=1
	v_mad_u64_u32 v[28:29], null, 0xfe5163ab, v13, 0
	v_cmp_lt_u32_e32 vcc_lo, 63, v27
	v_cndmask_b32_e64 v34, 0, 0xffffffc0, vcc_lo
	s_delay_alu instid0(VALU_DEP_3) | instskip(NEXT) | instid1(VALU_DEP_2)
	v_mov_b32_e32 v1, v29
	v_add_nc_u32_e32 v27, v34, v27
	s_delay_alu instid0(VALU_DEP_2) | instskip(NEXT) | instid1(VALU_DEP_2)
	v_mad_u64_u32 v[29:30], null, 0x3c439041, v13, v[1:2]
	v_cmp_lt_u32_e64 s6, 31, v27
	s_delay_alu instid0(VALU_DEP_2) | instskip(NEXT) | instid1(VALU_DEP_2)
	v_mov_b32_e32 v1, v30
	v_cndmask_b32_e64 v35, 0, 0xffffffe0, s6
	s_delay_alu instid0(VALU_DEP_2) | instskip(NEXT) | instid1(VALU_DEP_2)
	v_mad_u64_u32 v[30:31], null, 0xdb629599, v13, v[1:2]
	v_add_nc_u32_e32 v27, v35, v27
	s_delay_alu instid0(VALU_DEP_1) | instskip(NEXT) | instid1(VALU_DEP_3)
	v_cmp_lt_u32_e64 s7, 31, v27
	v_dual_mov_b32 v1, v31 :: v_dual_cndmask_b32 v28, v30, v28
	s_delay_alu instid0(VALU_DEP_1) | instskip(NEXT) | instid1(VALU_DEP_1)
	v_mad_u64_u32 v[31:32], null, 0xf534ddc0, v13, v[1:2]
	v_mov_b32_e32 v1, v32
	s_delay_alu instid0(VALU_DEP_1) | instskip(NEXT) | instid1(VALU_DEP_1)
	v_mad_u64_u32 v[32:33], null, 0xfc2757d1, v13, v[1:2]
	v_mov_b32_e32 v1, v33
	;; [unrolled: 3-line block ×3, first 2 shown]
	s_delay_alu instid0(VALU_DEP_1) | instskip(SKIP_1) | instid1(VALU_DEP_4)
	v_mad_u64_u32 v[34:35], null, 0xa2f9836e, v13, v[1:2]
	v_cndmask_b32_e64 v1, 0, 0xffffffe0, s7
	v_cndmask_b32_e32 v13, v33, v31, vcc_lo
	s_delay_alu instid0(VALU_DEP_2) | instskip(NEXT) | instid1(VALU_DEP_4)
	v_dual_cndmask_b32 v34, v34, v32 :: v_dual_add_nc_u32 v1, v1, v27
	v_dual_cndmask_b32 v33, v35, v33 :: v_dual_cndmask_b32 v32, v32, v30
	v_cndmask_b32_e32 v27, v31, v29, vcc_lo
	s_delay_alu instid0(VALU_DEP_3) | instskip(NEXT) | instid1(VALU_DEP_4)
	v_cmp_eq_u32_e64 s8, 0, v1
	v_cndmask_b32_e64 v29, v34, v13, s6
	s_delay_alu instid0(VALU_DEP_4)
	v_cndmask_b32_e64 v31, v33, v34, s6
	v_cndmask_b32_e64 v13, v13, v32, s6
	v_sub_nc_u32_e32 v33, 32, v1
	v_cndmask_b32_e64 v32, v32, v27, s6
	v_cndmask_b32_e64 v27, v27, v28, s6
	;; [unrolled: 1-line block ×4, first 2 shown]
	s_delay_alu instid0(VALU_DEP_4) | instskip(NEXT) | instid1(VALU_DEP_4)
	v_cndmask_b32_e64 v13, v13, v32, s7
	v_cndmask_b32_e64 v27, v32, v27, s7
	s_delay_alu instid0(VALU_DEP_3) | instskip(NEXT) | instid1(VALU_DEP_3)
	v_alignbit_b32 v34, v31, v29, v33
	v_alignbit_b32 v35, v29, v13, v33
	s_delay_alu instid0(VALU_DEP_3) | instskip(NEXT) | instid1(VALU_DEP_3)
	v_alignbit_b32 v33, v13, v27, v33
	v_cndmask_b32_e64 v1, v34, v31, s8
	s_delay_alu instid0(VALU_DEP_3) | instskip(NEXT) | instid1(VALU_DEP_3)
	v_cndmask_b32_e64 v29, v35, v29, s8
	v_cndmask_b32_e64 v13, v33, v13, s8
	s_delay_alu instid0(VALU_DEP_3) | instskip(NEXT) | instid1(VALU_DEP_3)
	v_bfe_u32 v30, v1, 29, 1
	v_alignbit_b32 v28, v1, v29, 30
	s_delay_alu instid0(VALU_DEP_3) | instskip(SKIP_1) | instid1(VALU_DEP_4)
	v_alignbit_b32 v29, v29, v13, 30
	v_alignbit_b32 v13, v13, v27, 30
	v_sub_nc_u32_e32 v31, 0, v30
	s_delay_alu instid0(VALU_DEP_1) | instskip(SKIP_3) | instid1(VALU_DEP_4)
	v_xor_b32_e32 v32, v28, v31
	v_cmp_ne_u32_e32 vcc_lo, v28, v31
	v_xor_b32_e32 v27, v29, v31
	v_xor_b32_e32 v13, v13, v31
	v_clz_i32_u32_e32 v34, v32
	s_delay_alu instid0(VALU_DEP_1) | instskip(NEXT) | instid1(VALU_DEP_1)
	v_add_nc_u32_e32 v33, 1, v34
	v_cndmask_b32_e32 v28, 33, v33, vcc_lo
	s_delay_alu instid0(VALU_DEP_1) | instskip(NEXT) | instid1(VALU_DEP_1)
	v_sub_nc_u32_e32 v29, 32, v28
	v_alignbit_b32 v31, v32, v27, v29
	v_alignbit_b32 v13, v27, v13, v29
	v_lshrrev_b32_e32 v27, 29, v1
	s_delay_alu instid0(VALU_DEP_2) | instskip(NEXT) | instid1(VALU_DEP_2)
	v_alignbit_b32 v29, v31, v13, 9
	v_lshlrev_b32_e32 v27, 31, v27
	v_alignbit_b32 v31, v28, v31, 9
	s_delay_alu instid0(VALU_DEP_3) | instskip(NEXT) | instid1(VALU_DEP_2)
	v_clz_i32_u32_e32 v32, v29
	v_or_b32_e32 v31, v31, v27
	v_or_b32_e32 v27, 0x33800000, v27
	s_delay_alu instid0(VALU_DEP_3) | instskip(NEXT) | instid1(VALU_DEP_3)
	v_min_u32_e32 v32, 32, v32
	v_xor_b32_e32 v31, 1.0, v31
	s_delay_alu instid0(VALU_DEP_2) | instskip(SKIP_1) | instid1(VALU_DEP_3)
	v_sub_nc_u32_e32 v33, 31, v32
	v_add_lshl_u32 v28, v32, v28, 23
	v_mul_f32_e32 v32, 0x3fc90fda, v31
	s_delay_alu instid0(VALU_DEP_3) | instskip(NEXT) | instid1(VALU_DEP_3)
	v_alignbit_b32 v13, v29, v13, v33
	v_sub_nc_u32_e32 v27, v27, v28
	s_delay_alu instid0(VALU_DEP_3) | instskip(NEXT) | instid1(VALU_DEP_3)
	v_fma_f32 v28, 0x3fc90fda, v31, -v32
	v_lshrrev_b32_e32 v13, 9, v13
	s_delay_alu instid0(VALU_DEP_2) | instskip(NEXT) | instid1(VALU_DEP_2)
	v_fmac_f32_e32 v28, 0x33a22168, v31
	v_or_b32_e32 v13, v27, v13
	s_delay_alu instid0(VALU_DEP_1) | instskip(SKIP_1) | instid1(VALU_DEP_1)
	v_fmac_f32_e32 v28, 0x3fc90fda, v13
	v_lshrrev_b32_e32 v13, 30, v1
	v_dual_add_f32 v1, v32, v28 :: v_dual_add_nc_u32 v28, v30, v13
	s_and_not1_saveexec_b32 s6, s33
	s_cbranch_execnz .LBB101_161
	s_branch .LBB101_162
.LBB101_152:                            ;   in Loop: Header=BB101_4 Depth=1
	s_and_not1_saveexec_b32 s6, s33
.LBB101_153:                            ;   in Loop: Header=BB101_4 Depth=1
	v_fma_f32 v1, 0xbfc90fda, v29, |v7|
	v_cvt_i32_f32_e32 v28, v29
	s_delay_alu instid0(VALU_DEP_2) | instskip(NEXT) | instid1(VALU_DEP_1)
	v_fmac_f32_e32 v1, 0xb3a22168, v29
	v_fmac_f32_e32 v1, 0xa7c234c4, v29
.LBB101_154:                            ;   in Loop: Header=BB101_4 Depth=1
	s_or_b32 exec_lo, exec_lo, s6
	s_delay_alu instid0(VALU_DEP_1) | instskip(SKIP_1) | instid1(VALU_DEP_3)
	v_dual_mul_f32 v13, v10, v10 :: v_dual_and_b32 v32, 1, v28
	v_and_b32_e32 v27, 1, v11
	v_dual_mul_f32 v29, v1, v1 :: v_dual_lshlrev_b32 v28, 30, v28
	s_delay_alu instid0(VALU_DEP_3) | instskip(NEXT) | instid1(VALU_DEP_3)
	v_dual_fmaak_f32 v30, s27, v13, 0x3c0881c4 :: v_dual_lshlrev_b32 v11, 30, v11
	v_cmp_eq_u32_e32 vcc_lo, 0, v27
	s_delay_alu instid0(VALU_DEP_3) | instskip(NEXT) | instid1(VALU_DEP_3)
	v_fmaak_f32 v34, s28, v29, 0xbab64f3b
	v_fmaak_f32 v30, v13, v30, 0xbe2aaa9d
	;; [unrolled: 1-line block ×3, first 2 shown]
	s_delay_alu instid0(VALU_DEP_3) | instskip(NEXT) | instid1(VALU_DEP_3)
	v_fmaak_f32 v34, v29, v34, 0x3d2aabf7
	v_dual_mul_f32 v30, v13, v30 :: v_dual_fmaak_f32 v33, s27, v29, 0x3c0881c4
	s_delay_alu instid0(VALU_DEP_3) | instskip(NEXT) | instid1(VALU_DEP_3)
	v_fmaak_f32 v31, v13, v31, 0x3d2aabf7
	v_fmaak_f32 v34, v29, v34, 0xbf000004
	s_delay_alu instid0(VALU_DEP_3) | instskip(NEXT) | instid1(VALU_DEP_3)
	v_dual_fmac_f32 v10, v10, v30 :: v_dual_fmaak_f32 v33, v29, v33, 0xbe2aaa9d
	v_fmaak_f32 v31, v13, v31, 0xbf000004
	s_delay_alu instid0(VALU_DEP_2) | instskip(NEXT) | instid1(VALU_DEP_2)
	v_mul_f32_e32 v33, v29, v33
	v_fma_f32 v13, v13, v31, 1.0
	v_and_b32_e32 v11, 0x80000000, v11
	s_delay_alu instid0(VALU_DEP_3) | instskip(NEXT) | instid1(VALU_DEP_3)
	v_fmac_f32_e32 v1, v1, v33
	v_cndmask_b32_e32 v10, v13, v10, vcc_lo
	s_delay_alu instid0(VALU_DEP_3) | instskip(SKIP_3) | instid1(VALU_DEP_4)
	v_xor_b32_e32 v8, v8, v11
	v_fma_f32 v11, v29, v34, 1.0
	v_cmp_eq_u32_e32 vcc_lo, 0, v32
	v_and_b32_e32 v13, 0x80000000, v28
	v_xor3_b32 v8, v8, v10, v7
	s_delay_alu instid0(VALU_DEP_4) | instskip(SKIP_1) | instid1(VALU_DEP_2)
	v_cndmask_b32_e64 v1, -v1, v11, vcc_lo
	v_cmp_class_f32_e64 vcc_lo, v7, 0x1f8
	v_xor_b32_e32 v1, v13, v1
	s_delay_alu instid0(VALU_DEP_1) | instskip(NEXT) | instid1(VALU_DEP_1)
	v_mul_f32_e32 v1, v8, v1
	v_cndmask_b32_e32 v7, 0x7fc00000, v1, vcc_lo
.LBB101_155:                            ;   in Loop: Header=BB101_4 Depth=1
	s_or_b32 exec_lo, exec_lo, s31
	v_add_nc_u32_e32 v26, -2.0, v26
	s_delay_alu instid0(VALU_DEP_2)
	v_bfi_b32 v11, 0x7fffffff, 0, v7
.LBB101_156:                            ;   in Loop: Header=BB101_4 Depth=1
	s_or_b32 exec_lo, exec_lo, s30
	s_delay_alu instid0(SALU_CYCLE_1) | instskip(SKIP_1) | instid1(SALU_CYCLE_1)
	s_or_b32 exec_lo, exec_lo, s29
	s_and_saveexec_b32 s6, s2
	s_xor_b32 s2, exec_lo, s6
	s_cbranch_execnz .LBB101_168
.LBB101_157:                            ;   in Loop: Header=BB101_4 Depth=1
	s_or_b32 exec_lo, exec_lo, s2
	s_and_saveexec_b32 s2, s3
	s_cbranch_execz .LBB101_169
.LBB101_158:                            ;   in Loop: Header=BB101_4 Depth=1
	v_add_co_u32 v7, s3, s9, v21
	v_xor_b32_e32 v13, 0x80000000, v15
	v_add_co_ci_u32_e64 v8, null, s20, 0, s3
	global_store_b64 v[7:8], v[12:13], off
	s_or_b32 exec_lo, exec_lo, s2
	s_and_saveexec_b32 s2, s4
	s_cbranch_execnz .LBB101_170
.LBB101_159:                            ;   in Loop: Header=BB101_4 Depth=1
	s_or_b32 exec_lo, exec_lo, s2
	s_and_saveexec_b32 s2, s5
	s_cbranch_execz .LBB101_3
	s_branch .LBB101_171
.LBB101_160:                            ;   in Loop: Header=BB101_4 Depth=1
	s_and_not1_saveexec_b32 s6, s33
.LBB101_161:                            ;   in Loop: Header=BB101_4 Depth=1
	v_mul_f32_e64 v1, 0x3f22f983, |v7|
	s_delay_alu instid0(VALU_DEP_1) | instskip(NEXT) | instid1(VALU_DEP_1)
	v_rndne_f32_e32 v13, v1
	v_fma_f32 v1, 0xbfc90fda, v13, |v7|
	v_cvt_i32_f32_e32 v28, v13
	s_delay_alu instid0(VALU_DEP_2) | instskip(NEXT) | instid1(VALU_DEP_1)
	v_fmac_f32_e32 v1, 0xb3a22168, v13
	v_fmac_f32_e32 v1, 0xa7c234c4, v13
.LBB101_162:                            ;   in Loop: Header=BB101_4 Depth=1
	s_or_b32 exec_lo, exec_lo, s6
	v_mul_f32_e32 v13, v11, v11
	v_and_b32_e32 v27, 1, v26
	v_lshlrev_b32_e32 v26, 30, v26
	v_mul_f32_e64 v29, 0xbfb8aa3b, |v8|
	s_delay_alu instid0(VALU_DEP_4) | instskip(NEXT) | instid1(VALU_DEP_4)
	v_fmaak_f32 v30, s27, v13, 0x3c0881c4
	v_cmp_eq_u32_e32 vcc_lo, 0, v27
	v_and_b32_e32 v27, 1, v28
	s_delay_alu instid0(VALU_DEP_4) | instskip(SKIP_3) | instid1(VALU_DEP_3)
	v_rndne_f32_e32 v33, v29
	v_fma_f32 v34, 0xbfb8aa3b, |v8|, -v29
	v_fmaak_f32 v30, v13, v30, 0xbe2aaa9d
	v_dual_fmaak_f32 v31, s28, v13, 0xbab64f3b :: v_dual_lshlrev_b32 v28, 30, v28
	v_fma_f32 v34, 0xb2a5705f, |v8|, v34
	s_delay_alu instid0(VALU_DEP_3) | instskip(NEXT) | instid1(VALU_DEP_1)
	v_mul_f32_e32 v30, v13, v30
	v_dual_mul_f32 v32, v1, v1 :: v_dual_fmac_f32 v11, v11, v30
	s_delay_alu instid0(VALU_DEP_1) | instskip(SKIP_2) | instid1(VALU_DEP_3)
	v_dual_sub_f32 v29, v29, v33 :: v_dual_fmaak_f32 v36, s28, v32, 0xbab64f3b
	v_fmaak_f32 v31, v13, v31, 0x3d2aabf7
	v_fmaak_f32 v35, s27, v32, 0x3c0881c4
	v_dual_add_f32 v29, v29, v34 :: v_dual_fmaak_f32 v30, v32, v36, 0x3d2aabf7
	s_delay_alu instid0(VALU_DEP_3) | instskip(NEXT) | instid1(VALU_DEP_3)
	v_fmaak_f32 v31, v13, v31, 0xbf000004
	v_fmaak_f32 v35, v32, v35, 0xbe2aaa9d
	v_and_b32_e32 v26, 0x80000000, v26
	s_delay_alu instid0(VALU_DEP_4) | instskip(NEXT) | instid1(VALU_DEP_3)
	v_exp_f32_e32 v29, v29
	v_fma_f32 v13, v13, v31, 1.0
	s_delay_alu instid0(VALU_DEP_3) | instskip(NEXT) | instid1(VALU_DEP_3)
	v_mul_f32_e32 v31, v32, v35
	v_xor_b32_e32 v10, v10, v26
	v_cvt_i32_f32_e32 v26, v33
	s_delay_alu instid0(VALU_DEP_4) | instskip(SKIP_3) | instid1(VALU_DEP_4)
	v_cndmask_b32_e32 v11, v13, v11, vcc_lo
	v_fmaak_f32 v13, v32, v30, 0xbf000004
	v_fmac_f32_e32 v1, v1, v31
	v_cmp_eq_u32_e32 vcc_lo, 0, v27
	v_xor3_b32 v7, v10, v11, v7
	s_delay_alu instid0(VALU_DEP_4) | instskip(SKIP_2) | instid1(VALU_DEP_4)
	v_fma_f32 v13, v32, v13, 1.0
	v_ldexp_f32 v10, v29, v26
	v_and_b32_e32 v11, 0x80000000, v28
	v_mul_f32_e32 v7, 4.0, v7
	s_delay_alu instid0(VALU_DEP_4) | instskip(SKIP_1) | instid1(VALU_DEP_2)
	v_cndmask_b32_e64 v1, -v1, v13, vcc_lo
	v_cmp_nlt_f32_e64 vcc_lo, 0x42ce8ed0, |v8|
	v_xor_b32_e32 v1, v11, v1
	v_cndmask_b32_e32 v10, 0, v10, vcc_lo
	v_cmp_ngt_f32_e64 vcc_lo, 0xc2b17218, |v8|
	s_delay_alu instid0(VALU_DEP_3) | instskip(SKIP_1) | instid1(VALU_DEP_4)
	v_mul_f32_e32 v1, v7, v1
	v_xor_b32_e32 v7, 0x80000000, v8
	v_cndmask_b32_e32 v10, 0x7f800000, v10, vcc_lo
	s_delay_alu instid0(VALU_DEP_2) | instskip(NEXT) | instid1(VALU_DEP_2)
	v_bfi_b32 v26, 0x7fffffff, 1.0, v7
	v_mul_f32_e32 v1, v10, v1
	s_delay_alu instid0(VALU_DEP_1)
	v_mul_f32_e32 v11, v10, v1
.LBB101_163:                            ;   in Loop: Header=BB101_4 Depth=1
	s_or_b32 exec_lo, exec_lo, s31
                                        ; implicit-def: $vgpr7
.LBB101_164:                            ;   in Loop: Header=BB101_4 Depth=1
	s_and_not1_saveexec_b32 s6, s30
; %bb.165:                              ;   in Loop: Header=BB101_4 Depth=1
	v_sub_f32_e32 v11, v7, v7
	s_delay_alu instid0(VALU_DEP_1)
	v_mov_b32_e32 v26, v11
; %bb.166:                              ;   in Loop: Header=BB101_4 Depth=1
	s_or_b32 exec_lo, exec_lo, s6
                                        ; implicit-def: $vgpr8
	s_and_not1_saveexec_b32 s29, s29
	s_cbranch_execnz .LBB101_138
.LBB101_167:                            ;   in Loop: Header=BB101_4 Depth=1
	s_or_b32 exec_lo, exec_lo, s29
	s_and_saveexec_b32 s6, s2
	s_delay_alu instid0(SALU_CYCLE_1)
	s_xor_b32 s2, exec_lo, s6
	s_cbranch_execz .LBB101_157
.LBB101_168:                            ;   in Loop: Header=BB101_4 Depth=1
	v_add_co_u32 v7, s6, s9, v3
	v_xor_b32_e32 v10, 0x80000000, v25
	v_add_co_ci_u32_e64 v8, null, s20, 0, s6
	global_store_b64 v[7:8], v[9:10], off
	s_or_b32 exec_lo, exec_lo, s2
	s_and_saveexec_b32 s2, s3
	s_cbranch_execnz .LBB101_158
.LBB101_169:                            ;   in Loop: Header=BB101_4 Depth=1
	s_or_b32 exec_lo, exec_lo, s2
	s_and_saveexec_b32 s2, s4
	s_cbranch_execz .LBB101_159
.LBB101_170:                            ;   in Loop: Header=BB101_4 Depth=1
	v_add_co_u32 v7, vcc_lo, s9, v22
	v_xor_b32_e32 v15, 0x80000000, v16
	v_add_co_ci_u32_e32 v8, vcc_lo, s20, v20, vcc_lo
	global_store_b64 v[7:8], v[14:15], off offset:-4
	s_or_b32 exec_lo, exec_lo, s2
	s_and_saveexec_b32 s2, s5
	s_cbranch_execz .LBB101_3
.LBB101_171:                            ;   in Loop: Header=BB101_4 Depth=1
	v_add_co_u32 v7, vcc_lo, s9, v5
	v_xor_b32_e32 v12, 0x80000000, v26
	v_add_co_ci_u32_e32 v8, vcc_lo, s20, v6, vcc_lo
	global_store_b64 v[7:8], v[11:12], off offset:-4
	s_branch .LBB101_3
.LBB101_172:
	s_cbranch_execz .LBB101_174
	s_branch .LBB101_329
.LBB101_173:
.LBB101_174:
	v_dual_mov_b32 v12, 0 :: v_dual_lshlrev_b32 v11, 2, v0
	s_mov_b32 s3, 0
	s_mov_b32 s2, exec_lo
	s_delay_alu instid0(VALU_DEP_1)
	v_cmpx_gt_i64_e64 s[10:11], v[11:12]
	s_cbranch_execz .LBB101_329
; %bb.175:
	s_load_b32 s0, s[0:1], 0xd3c
	s_mov_b32 s4, 0x7fffff
	s_mov_b32 s5, 0xbc8cedd3
	;; [unrolled: 1-line block ×4, first 2 shown]
	s_waitcnt lgkmcnt(0)
	s_and_b32 s0, s0, 0xffff
	s_delay_alu instid0(SALU_CYCLE_1)
	v_add_lshl_u32 v11, v0, s0, 2
	v_dual_mov_b32 v16, v12 :: v_dual_lshlrev_b32 v1, 5, v0
	s_lshl_b32 s6, s0, 2
	s_add_u32 s1, s12, s14
	s_addc_u32 s2, s13, s15
	s_lshl_b32 s7, s0, 5
	v_add_co_u32 v13, s0, s1, v1
	s_delay_alu instid0(VALU_DEP_1)
	v_add_co_ci_u32_e64 v14, null, s2, 0, s0
	v_mov_b32_e32 v15, v11
	s_mov_b32 s12, 0xb94c1982
	s_mov_b32 s13, 0x37d75334
	s_branch .LBB101_180
.LBB101_176:                            ;   in Loop: Header=BB101_180 Depth=1
	s_or_b32 exec_lo, exec_lo, s0
	v_dual_mul_f32 v9, v1, v1 :: v_dual_and_b32 v10, 1, v3
	s_delay_alu instid0(VALU_DEP_2) | instskip(NEXT) | instid1(VALU_DEP_2)
	v_mul_f32_e32 v20, v11, v11
	v_dual_fmaak_f32 v22, s13, v9, 0xbab64f3b :: v_dual_lshlrev_b32 v3, 30, v3
	v_fmaak_f32 v21, s12, v9, 0x3c0881c4
	s_delay_alu instid0(VALU_DEP_3) | instskip(NEXT) | instid1(VALU_DEP_3)
	v_dual_fmaak_f32 v24, s12, v20, 0x3c0881c4 :: v_dual_and_b32 v23, 1, v19
	v_and_b32_e32 v3, 0x80000000, v3
	s_delay_alu instid0(VALU_DEP_4) | instskip(NEXT) | instid1(VALU_DEP_3)
	v_dual_fmaak_f32 v22, v9, v22, 0x3d2aabf7 :: v_dual_lshlrev_b32 v19, 30, v19
	v_dual_fmaak_f32 v21, v9, v21, 0xbe2aaa9d :: v_dual_fmaak_f32 v24, v20, v24, 0xbe2aaa9d
	v_cmp_eq_u32_e32 vcc_lo, 0, v10
	s_delay_alu instid0(VALU_DEP_3) | instskip(SKIP_1) | instid1(VALU_DEP_4)
	v_fmaak_f32 v22, v9, v22, 0xbf000004
	v_xor_b32_e32 v0, v0, v3
	v_dual_mul_f32 v21, v9, v21 :: v_dual_mul_f32 v24, v20, v24
	s_delay_alu instid0(VALU_DEP_3) | instskip(NEXT) | instid1(VALU_DEP_2)
	v_fma_f32 v9, v9, v22, 1.0
	v_fmac_f32_e32 v1, v1, v21
	s_delay_alu instid0(VALU_DEP_3) | instskip(NEXT) | instid1(VALU_DEP_2)
	v_fmac_f32_e32 v11, v11, v24
	v_cndmask_b32_e32 v1, v9, v1, vcc_lo
	v_cmp_eq_u32_e32 vcc_lo, 0, v23
	v_and_b32_e32 v9, 0x80000000, v19
	s_delay_alu instid0(VALU_DEP_3) | instskip(SKIP_1) | instid1(VALU_DEP_1)
	v_xor3_b32 v0, v0, v1, v2
	v_fmaak_f32 v25, s13, v20, 0xbab64f3b
	v_fmaak_f32 v25, v20, v25, 0x3d2aabf7
	s_delay_alu instid0(VALU_DEP_1) | instskip(NEXT) | instid1(VALU_DEP_1)
	v_fmaak_f32 v25, v20, v25, 0xbf000004
	v_fma_f32 v3, v20, v25, 1.0
	s_delay_alu instid0(VALU_DEP_1) | instskip(SKIP_1) | instid1(VALU_DEP_2)
	v_cndmask_b32_e64 v3, -v11, v3, vcc_lo
	v_cmp_class_f32_e64 vcc_lo, v2, 0x1f8
	v_xor_b32_e32 v1, v9, v3
	s_delay_alu instid0(VALU_DEP_1) | instskip(NEXT) | instid1(VALU_DEP_1)
	v_mul_f32_e32 v0, v0, v1
	v_cndmask_b32_e32 v2, 0x7fc00000, v0, vcc_lo
.LBB101_177:                            ;   in Loop: Header=BB101_180 Depth=1
	s_or_b32 exec_lo, exec_lo, s16
	v_add_nc_u32_e32 v18, -2.0, v18
	s_delay_alu instid0(VALU_DEP_2)
	v_bfi_b32 v10, 0x7fffffff, 0, v2
.LBB101_178:                            ;   in Loop: Header=BB101_180 Depth=1
	s_or_b32 exec_lo, exec_lo, s15
.LBB101_179:                            ;   in Loop: Header=BB101_180 Depth=1
	s_delay_alu instid0(SALU_CYCLE_1)
	s_or_b32 exec_lo, exec_lo, s14
	v_cmp_le_i64_e32 vcc_lo, s[10:11], v[15:16]
	v_cmp_lt_u64_e64 s0, 0xffff, v[15:16]
	v_xor_b32_e32 v9, 0x80000000, v7
	v_xor_b32_e32 v7, 0x80000000, v17
	;; [unrolled: 1-line block ×4, first 2 shown]
	s_clause 0x1
	global_store_b128 v[13:14], v[4:7], off
	global_store_b128 v[13:14], v[8:11], off offset:16
	s_or_b32 s0, vcc_lo, s0
	v_add_co_u32 v15, vcc_lo, v15, s6
	v_add_co_ci_u32_e32 v16, vcc_lo, 0, v16, vcc_lo
	v_add_co_u32 v13, vcc_lo, v13, s7
	v_add_co_ci_u32_e32 v14, vcc_lo, 0, v14, vcc_lo
	s_and_b32 s0, exec_lo, s0
	s_delay_alu instid0(SALU_CYCLE_1) | instskip(NEXT) | instid1(SALU_CYCLE_1)
	s_or_b32 s3, s0, s3
	s_and_not1_b32 exec_lo, exec_lo, s3
	s_cbranch_execz .LBB101_329
.LBB101_180:                            ; =>This Inner Loop Header: Depth=1
	s_clause 0x1
	global_load_b128 v[7:10], v[13:14], off
	global_load_b128 v[0:3], v[13:14], off offset:16
                                        ; implicit-def: $vgpr4
                                        ; implicit-def: $vgpr5
	s_mov_b32 s0, exec_lo
	s_waitcnt vmcnt(1)
	v_and_b32_e32 v11, 0x7fffffff, v8
	s_delay_alu instid0(VALU_DEP_1)
	v_cmpx_gt_u32_e32 0x7f800000, v11
	s_xor_b32 s14, exec_lo, s0
	s_cbranch_execz .LBB101_202
; %bb.181:                              ;   in Loop: Header=BB101_180 Depth=1
	v_cmp_class_f32_e64 s0, v7, 0x1f8
                                        ; implicit-def: $vgpr4
                                        ; implicit-def: $vgpr5
	s_delay_alu instid0(VALU_DEP_1) | instskip(NEXT) | instid1(SALU_CYCLE_1)
	s_and_saveexec_b32 s1, s0
	s_xor_b32 s15, exec_lo, s1
	s_cbranch_execz .LBB101_199
; %bb.182:                              ;   in Loop: Header=BB101_180 Depth=1
	v_and_b32_e32 v6, 0x7fffffff, v7
                                        ; implicit-def: $vgpr4
                                        ; implicit-def: $vgpr5
	s_mov_b32 s0, exec_lo
	v_cmpx_gt_u32_e32 0x41300000, v11
	s_xor_b32 s16, exec_lo, s0
	s_cbranch_execz .LBB101_188
; %bb.183:                              ;   in Loop: Header=BB101_180 Depth=1
                                        ; implicit-def: $vgpr4
                                        ; implicit-def: $vgpr5
	s_mov_b32 s1, exec_lo
	v_cmpx_ngt_f32_e64 0x48000000, |v7|
	s_xor_b32 s17, exec_lo, s1
	s_cbranch_execz .LBB101_185
; %bb.184:                              ;   in Loop: Header=BB101_180 Depth=1
	v_and_or_b32 v24, v6, s4, 0x800000
	s_delay_alu instid0(VALU_DEP_1) | instskip(NEXT) | instid1(VALU_DEP_1)
	v_mad_u64_u32 v[4:5], null, 0xfe5163ab, v24, 0
	v_mov_b32_e32 v11, v5
	v_lshrrev_b32_e32 v5, 23, v6
	s_delay_alu instid0(VALU_DEP_2) | instskip(NEXT) | instid1(VALU_DEP_2)
	v_mad_u64_u32 v[17:18], null, 0x3c439041, v24, v[11:12]
	v_add_nc_u32_e32 v5, 0xffffff88, v5
	s_delay_alu instid0(VALU_DEP_1) | instskip(NEXT) | instid1(VALU_DEP_3)
	v_cmp_lt_u32_e32 vcc_lo, 63, v5
	v_mov_b32_e32 v11, v18
	v_cndmask_b32_e64 v22, 0, 0xffffffc0, vcc_lo
	s_delay_alu instid0(VALU_DEP_2) | instskip(NEXT) | instid1(VALU_DEP_2)
	v_mad_u64_u32 v[18:19], null, 0xdb629599, v24, v[11:12]
	v_add_nc_u32_e32 v5, v22, v5
	s_delay_alu instid0(VALU_DEP_2) | instskip(NEXT) | instid1(VALU_DEP_2)
	v_mov_b32_e32 v11, v19
	v_cmp_lt_u32_e64 s0, 31, v5
	s_delay_alu instid0(VALU_DEP_4) | instskip(NEXT) | instid1(VALU_DEP_3)
	v_cndmask_b32_e32 v4, v18, v4, vcc_lo
	v_mad_u64_u32 v[19:20], null, 0xf534ddc0, v24, v[11:12]
	s_delay_alu instid0(VALU_DEP_3) | instskip(NEXT) | instid1(VALU_DEP_1)
	v_cndmask_b32_e64 v23, 0, 0xffffffe0, s0
	v_add_nc_u32_e32 v5, v23, v5
	s_delay_alu instid0(VALU_DEP_3) | instskip(NEXT) | instid1(VALU_DEP_2)
	v_mov_b32_e32 v11, v20
	v_cmp_lt_u32_e64 s1, 31, v5
	s_delay_alu instid0(VALU_DEP_2) | instskip(NEXT) | instid1(VALU_DEP_1)
	v_mad_u64_u32 v[20:21], null, 0xfc2757d1, v24, v[11:12]
	v_mov_b32_e32 v11, v21
	s_delay_alu instid0(VALU_DEP_1) | instskip(NEXT) | instid1(VALU_DEP_1)
	v_mad_u64_u32 v[21:22], null, 0x4e441529, v24, v[11:12]
	v_mov_b32_e32 v11, v22
	s_delay_alu instid0(VALU_DEP_1) | instskip(SKIP_1) | instid1(VALU_DEP_1)
	v_mad_u64_u32 v[22:23], null, 0xa2f9836e, v24, v[11:12]
	v_cndmask_b32_e64 v11, 0, 0xffffffe0, s1
	v_dual_cndmask_b32 v24, v21, v19 :: v_dual_add_nc_u32 v5, v11, v5
	s_delay_alu instid0(VALU_DEP_3) | instskip(SKIP_1) | instid1(VALU_DEP_3)
	v_dual_cndmask_b32 v22, v22, v20 :: v_dual_cndmask_b32 v21, v23, v21
	v_dual_cndmask_b32 v20, v20, v18 :: v_dual_cndmask_b32 v11, v19, v17
	v_cmp_eq_u32_e64 s2, 0, v5
	s_delay_alu instid0(VALU_DEP_3) | instskip(NEXT) | instid1(VALU_DEP_4)
	v_cndmask_b32_e64 v17, v22, v24, s0
	v_cndmask_b32_e64 v19, v21, v22, s0
	s_delay_alu instid0(VALU_DEP_4)
	v_cndmask_b32_e64 v21, v24, v20, s0
	v_sub_nc_u32_e32 v22, 32, v5
	v_cndmask_b32_e64 v20, v20, v11, s0
	v_cndmask_b32_e64 v4, v11, v4, s0
	;; [unrolled: 1-line block ×4, first 2 shown]
	s_delay_alu instid0(VALU_DEP_4) | instskip(NEXT) | instid1(VALU_DEP_4)
	v_cndmask_b32_e64 v21, v21, v20, s1
	v_cndmask_b32_e64 v4, v20, v4, s1
	s_delay_alu instid0(VALU_DEP_3) | instskip(NEXT) | instid1(VALU_DEP_3)
	v_alignbit_b32 v23, v19, v17, v22
	v_alignbit_b32 v24, v17, v21, v22
	s_delay_alu instid0(VALU_DEP_3) | instskip(NEXT) | instid1(VALU_DEP_3)
	v_alignbit_b32 v22, v21, v4, v22
	v_cndmask_b32_e64 v5, v23, v19, s2
	s_delay_alu instid0(VALU_DEP_3) | instskip(NEXT) | instid1(VALU_DEP_3)
	v_cndmask_b32_e64 v17, v24, v17, s2
	v_cndmask_b32_e64 v21, v22, v21, s2
	s_delay_alu instid0(VALU_DEP_3) | instskip(NEXT) | instid1(VALU_DEP_3)
	v_bfe_u32 v18, v5, 29, 1
	v_alignbit_b32 v11, v5, v17, 30
	s_delay_alu instid0(VALU_DEP_3) | instskip(SKIP_1) | instid1(VALU_DEP_4)
	v_alignbit_b32 v17, v17, v21, 30
	v_alignbit_b32 v4, v21, v4, 30
	v_sub_nc_u32_e32 v19, 0, v18
	s_delay_alu instid0(VALU_DEP_1) | instskip(SKIP_3) | instid1(VALU_DEP_4)
	v_xor_b32_e32 v20, v11, v19
	v_cmp_ne_u32_e32 vcc_lo, v11, v19
	v_xor_b32_e32 v17, v17, v19
	v_xor_b32_e32 v4, v4, v19
	v_clz_i32_u32_e32 v23, v20
	s_delay_alu instid0(VALU_DEP_1) | instskip(NEXT) | instid1(VALU_DEP_1)
	v_add_nc_u32_e32 v22, 1, v23
	v_cndmask_b32_e32 v11, 33, v22, vcc_lo
	s_delay_alu instid0(VALU_DEP_1) | instskip(NEXT) | instid1(VALU_DEP_1)
	v_sub_nc_u32_e32 v21, 32, v11
	v_alignbit_b32 v19, v20, v17, v21
	v_alignbit_b32 v4, v17, v4, v21
	v_lshrrev_b32_e32 v17, 29, v5
	s_delay_alu instid0(VALU_DEP_2) | instskip(NEXT) | instid1(VALU_DEP_2)
	v_alignbit_b32 v20, v19, v4, 9
	v_lshlrev_b32_e32 v17, 31, v17
	v_alignbit_b32 v19, v11, v19, 9
	s_delay_alu instid0(VALU_DEP_3) | instskip(NEXT) | instid1(VALU_DEP_2)
	v_clz_i32_u32_e32 v21, v20
	v_or_b32_e32 v19, v19, v17
	v_or_b32_e32 v17, 0x33800000, v17
	s_delay_alu instid0(VALU_DEP_3) | instskip(NEXT) | instid1(VALU_DEP_3)
	v_min_u32_e32 v21, 32, v21
	v_xor_b32_e32 v19, 1.0, v19
	s_delay_alu instid0(VALU_DEP_2) | instskip(SKIP_1) | instid1(VALU_DEP_3)
	v_sub_nc_u32_e32 v22, 31, v21
	v_add_lshl_u32 v11, v21, v11, 23
	v_mul_f32_e32 v21, 0x3fc90fda, v19
	s_delay_alu instid0(VALU_DEP_3) | instskip(NEXT) | instid1(VALU_DEP_3)
	v_alignbit_b32 v4, v20, v4, v22
	v_sub_nc_u32_e32 v11, v17, v11
	s_delay_alu instid0(VALU_DEP_3) | instskip(NEXT) | instid1(VALU_DEP_3)
	v_fma_f32 v17, 0x3fc90fda, v19, -v21
	v_lshrrev_b32_e32 v4, 9, v4
	s_delay_alu instid0(VALU_DEP_2) | instskip(NEXT) | instid1(VALU_DEP_2)
	v_fmac_f32_e32 v17, 0x33a22168, v19
	v_or_b32_e32 v4, v11, v4
	s_delay_alu instid0(VALU_DEP_1) | instskip(SKIP_1) | instid1(VALU_DEP_1)
	v_fmac_f32_e32 v17, 0x3fc90fda, v4
	v_lshrrev_b32_e32 v4, 30, v5
	v_dual_add_f32 v5, v21, v17 :: v_dual_add_nc_u32 v4, v18, v4
.LBB101_185:                            ;   in Loop: Header=BB101_180 Depth=1
	s_and_not1_saveexec_b32 s0, s17
; %bb.186:                              ;   in Loop: Header=BB101_180 Depth=1
	v_mul_f32_e64 v4, 0x3f22f983, |v7|
	s_delay_alu instid0(VALU_DEP_1) | instskip(NEXT) | instid1(VALU_DEP_1)
	v_rndne_f32_e32 v4, v4
	v_fma_f32 v5, 0xbfc90fda, v4, |v7|
	s_delay_alu instid0(VALU_DEP_1) | instskip(NEXT) | instid1(VALU_DEP_1)
	v_fmac_f32_e32 v5, 0xb3a22168, v4
	v_fmac_f32_e32 v5, 0xa7c234c4, v4
	v_cvt_i32_f32_e32 v4, v4
; %bb.187:                              ;   in Loop: Header=BB101_180 Depth=1
	s_or_b32 exec_lo, exec_lo, s0
	v_add_f32_e64 v11, 0xbf317218, |v8|
	v_cmp_nlt_f32_e64 vcc_lo, 0x42b2d4fc, |v8|
	v_cmp_gt_f32_e64 s0, 0x39800000, |v8|
	v_and_b32_e32 v4, 1, v4
	s_delay_alu instid0(VALU_DEP_4) | instskip(NEXT) | instid1(VALU_DEP_1)
	v_sub_f32_e64 v17, v11, |v8|
	v_dual_sub_f32 v18, v17, v11 :: v_dual_add_f32 v17, 0x3f317218, v17
	s_delay_alu instid0(VALU_DEP_1) | instskip(NEXT) | instid1(VALU_DEP_1)
	v_add_f32_e64 v18, |v8|, v18
	v_sub_f32_e32 v17, v18, v17
	s_delay_alu instid0(VALU_DEP_1) | instskip(NEXT) | instid1(VALU_DEP_1)
	v_add_f32_e32 v17, 0x3102e308, v17
	v_add_f32_e32 v18, v11, v17
	s_delay_alu instid0(VALU_DEP_1) | instskip(NEXT) | instid1(VALU_DEP_1)
	v_sub_f32_e32 v11, v11, v18
	v_add_f32_e32 v11, v17, v11
	v_mul_f32_e32 v19, 0x3fb8aa3b, v18
	s_delay_alu instid0(VALU_DEP_1) | instskip(NEXT) | instid1(VALU_DEP_1)
	v_rndne_f32_e32 v19, v19
	v_fmac_f32_e32 v18, 0xbf317200, v19
	s_delay_alu instid0(VALU_DEP_1) | instskip(NEXT) | instid1(VALU_DEP_1)
	v_dual_mul_f32 v17, 0x35bfbc00, v19 :: v_dual_add_f32 v20, v11, v18
	v_dual_sub_f32 v21, v20, v17 :: v_dual_sub_f32 v18, v18, v20
	s_delay_alu instid0(VALU_DEP_1) | instskip(NEXT) | instid1(VALU_DEP_1)
	v_dual_sub_f32 v20, v20, v21 :: v_dual_add_f32 v11, v11, v18
	v_sub_f32_e32 v17, v20, v17
	s_delay_alu instid0(VALU_DEP_1) | instskip(SKIP_1) | instid1(VALU_DEP_2)
	v_add_f32_e32 v11, v11, v17
	v_mul_f32_e32 v17, 0x2ea39ef3, v19
	v_add_f32_e32 v18, v21, v11
	s_delay_alu instid0(VALU_DEP_1) | instskip(NEXT) | instid1(VALU_DEP_1)
	v_dual_sub_f32 v20, v18, v17 :: v_dual_sub_f32 v21, v21, v18
	v_dual_sub_f32 v18, v18, v20 :: v_dual_add_f32 v11, v11, v21
	s_delay_alu instid0(VALU_DEP_1) | instskip(NEXT) | instid1(VALU_DEP_1)
	v_sub_f32_e32 v17, v18, v17
	v_add_f32_e32 v11, v11, v17
	s_delay_alu instid0(VALU_DEP_1) | instskip(NEXT) | instid1(VALU_DEP_1)
	v_add_f32_e32 v17, v20, v11
	v_sub_f32_e32 v18, v20, v17
	s_delay_alu instid0(VALU_DEP_1) | instskip(NEXT) | instid1(VALU_DEP_1)
	v_dual_mul_f32 v20, v17, v17 :: v_dual_add_f32 v11, v11, v18
	v_fma_f32 v21, v17, v17, -v20
	s_delay_alu instid0(VALU_DEP_2) | instskip(NEXT) | instid1(VALU_DEP_1)
	v_add_f32_e32 v22, v11, v11
	v_fmac_f32_e32 v21, v17, v22
	s_delay_alu instid0(VALU_DEP_1) | instskip(NEXT) | instid1(VALU_DEP_1)
	v_add_f32_e32 v22, v20, v21
	v_sub_f32_e32 v20, v22, v20
	v_fmaak_f32 v18, s9, v17, 0x3c091de6
	s_delay_alu instid0(VALU_DEP_2) | instskip(NEXT) | instid1(VALU_DEP_2)
	v_sub_f32_e32 v20, v21, v20
	v_fmaak_f32 v18, v17, v18, 0x3d2aadcc
	s_delay_alu instid0(VALU_DEP_1) | instskip(NEXT) | instid1(VALU_DEP_1)
	v_fmaak_f32 v18, v17, v18, 0x3e2aaa47
	v_fmaak_f32 v18, v17, v18, 0x3efffffc
	s_delay_alu instid0(VALU_DEP_1) | instskip(NEXT) | instid1(VALU_DEP_1)
	v_mul_f32_e32 v23, v18, v22
	v_fma_f32 v21, v22, v18, -v23
	s_delay_alu instid0(VALU_DEP_1) | instskip(NEXT) | instid1(VALU_DEP_1)
	v_fmac_f32_e32 v21, v20, v18
	v_add_f32_e32 v18, v23, v21
	s_delay_alu instid0(VALU_DEP_1) | instskip(NEXT) | instid1(VALU_DEP_1)
	v_add_f32_e32 v20, v17, v18
	v_dual_sub_f32 v22, v18, v23 :: v_dual_sub_f32 v17, v20, v17
	s_delay_alu instid0(VALU_DEP_1) | instskip(NEXT) | instid1(VALU_DEP_2)
	v_sub_f32_e32 v21, v21, v22
	v_sub_f32_e32 v17, v18, v17
	s_delay_alu instid0(VALU_DEP_2) | instskip(NEXT) | instid1(VALU_DEP_1)
	v_add_f32_e32 v11, v11, v21
	v_add_f32_e32 v11, v11, v17
	s_delay_alu instid0(VALU_DEP_1) | instskip(NEXT) | instid1(VALU_DEP_1)
	v_add_f32_e32 v17, v20, v11
	v_add_f32_e32 v18, 1.0, v17
	s_delay_alu instid0(VALU_DEP_1) | instskip(NEXT) | instid1(VALU_DEP_1)
	v_dual_sub_f32 v20, v17, v20 :: v_dual_add_f32 v21, -1.0, v18
	v_sub_f32_e32 v11, v11, v20
	s_delay_alu instid0(VALU_DEP_2) | instskip(NEXT) | instid1(VALU_DEP_1)
	v_sub_f32_e32 v17, v17, v21
	v_add_f32_e32 v11, v11, v17
	v_cvt_i32_f32_e32 v17, v19
	s_delay_alu instid0(VALU_DEP_2) | instskip(NEXT) | instid1(VALU_DEP_1)
	v_add_f32_e32 v19, v18, v11
	v_ldexp_f32 v20, v19, v17
	v_sub_f32_e32 v18, v19, v18
	s_delay_alu instid0(VALU_DEP_2) | instskip(NEXT) | instid1(VALU_DEP_1)
	v_rcp_f32_e32 v21, v20
	v_sub_f32_e32 v11, v11, v18
	s_delay_alu instid0(VALU_DEP_1) | instskip(SKIP_2) | instid1(VALU_DEP_1)
	v_ldexp_f32 v11, v11, v17
	s_waitcnt_depctr 0xfff
	v_mul_f32_e32 v18, v20, v21
	v_fma_f32 v17, v21, v20, -v18
	s_delay_alu instid0(VALU_DEP_1) | instskip(NEXT) | instid1(VALU_DEP_1)
	v_fmac_f32_e32 v17, v21, v11
	v_add_f32_e32 v19, v18, v17
	s_delay_alu instid0(VALU_DEP_1) | instskip(SKIP_1) | instid1(VALU_DEP_2)
	v_sub_f32_e32 v22, 1.0, v19
	v_sub_f32_e32 v18, v19, v18
	v_sub_f32_e32 v23, 1.0, v22
	s_delay_alu instid0(VALU_DEP_1) | instskip(NEXT) | instid1(VALU_DEP_1)
	v_dual_sub_f32 v17, v18, v17 :: v_dual_sub_f32 v18, v23, v19
	v_add_f32_e32 v17, v17, v18
	s_delay_alu instid0(VALU_DEP_1) | instskip(NEXT) | instid1(VALU_DEP_1)
	v_add_f32_e32 v18, v22, v17
	v_mul_f32_e32 v19, v21, v18
	s_delay_alu instid0(VALU_DEP_1) | instskip(NEXT) | instid1(VALU_DEP_1)
	v_dual_sub_f32 v22, v22, v18 :: v_dual_mul_f32 v23, v20, v19
	v_fma_f32 v24, v19, v20, -v23
	s_delay_alu instid0(VALU_DEP_1) | instskip(NEXT) | instid1(VALU_DEP_1)
	v_fmac_f32_e32 v24, v19, v11
	v_add_f32_e32 v25, v23, v24
	s_delay_alu instid0(VALU_DEP_1) | instskip(NEXT) | instid1(VALU_DEP_1)
	v_sub_f32_e32 v26, v18, v25
	v_sub_f32_e32 v18, v18, v26
	s_delay_alu instid0(VALU_DEP_1) | instskip(SKIP_1) | instid1(VALU_DEP_1)
	v_dual_sub_f32 v18, v18, v25 :: v_dual_add_f32 v17, v17, v22
	v_sub_f32_e32 v22, v25, v23
	v_dual_add_f32 v17, v17, v18 :: v_dual_sub_f32 v22, v22, v24
	s_delay_alu instid0(VALU_DEP_1) | instskip(NEXT) | instid1(VALU_DEP_1)
	v_dual_add_f32 v18, v21, v19 :: v_dual_add_f32 v17, v22, v17
	v_sub_f32_e32 v22, v18, v21
	s_delay_alu instid0(VALU_DEP_2) | instskip(NEXT) | instid1(VALU_DEP_2)
	v_add_f32_e32 v17, v26, v17
	v_sub_f32_e32 v19, v19, v22
	s_delay_alu instid0(VALU_DEP_2) | instskip(NEXT) | instid1(VALU_DEP_1)
	v_mul_f32_e32 v17, v21, v17
	v_add_f32_e32 v17, v19, v17
	s_delay_alu instid0(VALU_DEP_1) | instskip(NEXT) | instid1(VALU_DEP_1)
	v_add_f32_e32 v19, v18, v17
	v_ldexp_f32 v21, v19, -2
	v_sub_f32_e32 v18, v19, v18
	s_delay_alu instid0(VALU_DEP_1) | instskip(NEXT) | instid1(VALU_DEP_1)
	v_dual_sub_f32 v22, v20, v21 :: v_dual_sub_f32 v17, v17, v18
	v_sub_f32_e32 v19, v20, v22
	s_delay_alu instid0(VALU_DEP_2) | instskip(NEXT) | instid1(VALU_DEP_2)
	v_ldexp_f32 v17, v17, -2
	v_sub_f32_e32 v18, v19, v21
	v_xor_b32_e32 v19, 0x80000000, v8
	s_delay_alu instid0(VALU_DEP_2) | instskip(NEXT) | instid1(VALU_DEP_1)
	v_add_f32_e32 v11, v11, v18
	v_sub_f32_e32 v11, v11, v17
	v_mul_f32_e32 v17, v5, v5
	s_delay_alu instid0(VALU_DEP_1) | instskip(NEXT) | instid1(VALU_DEP_1)
	v_dual_add_f32 v11, v22, v11 :: v_dual_fmaak_f32 v18, s8, v17, 0xbf039337
	v_cndmask_b32_e32 v11, 0x7f800000, v11, vcc_lo
	s_delay_alu instid0(VALU_DEP_2) | instskip(NEXT) | instid1(VALU_DEP_2)
	v_fmaak_f32 v18, v17, v18, 0x3f93f425
	v_cndmask_b32_e64 v11, v11, |v8|, s0
	s_delay_alu instid0(VALU_DEP_2) | instskip(NEXT) | instid1(VALU_DEP_1)
	v_rcp_f32_e32 v18, v18
	v_bfi_b32 v11, 0x7fffffff, v11, v19
	v_fmaak_f32 v19, s5, v17, 0x3ec54587
	s_delay_alu instid0(VALU_DEP_2) | instskip(SKIP_3) | instid1(VALU_DEP_2)
	v_fma_f32 v20, v11, v11, 1.0
	s_waitcnt_depctr 0xfff
	v_dual_mul_f32 v18, v19, v18 :: v_dual_mul_f32 v19, 0x4f800000, v20
	v_cmp_gt_f32_e32 vcc_lo, 0xf800000, v20
	v_dual_mul_f32 v17, v17, v18 :: v_dual_cndmask_b32 v18, v20, v19
	s_delay_alu instid0(VALU_DEP_1) | instskip(NEXT) | instid1(VALU_DEP_2)
	v_fma_f32 v19, v17, v5, v5
	v_sqrt_f32_e32 v20, v18
	s_delay_alu instid0(VALU_DEP_1) | instskip(SKIP_1) | instid1(VALU_DEP_1)
	v_sub_f32_e32 v22, v19, v5
	v_rcp_f32_e32 v21, v19
	v_fma_f32 v5, v17, v5, -v22
	s_waitcnt_depctr 0xfff
	v_add_nc_u32_e32 v23, -1, v20
	v_add_nc_u32_e32 v22, 1, v20
	v_fma_f32 v17, v19, -v21, 1.0
	s_delay_alu instid0(VALU_DEP_3) | instskip(NEXT) | instid1(VALU_DEP_2)
	v_fma_f32 v24, -v23, v20, v18
	v_fma_f32 v5, v5, -v21, v17
	s_delay_alu instid0(VALU_DEP_4) | instskip(NEXT) | instid1(VALU_DEP_3)
	v_fma_f32 v17, -v22, v20, v18
	v_cmp_ge_f32_e64 s0, 0, v24
	s_delay_alu instid0(VALU_DEP_3) | instskip(NEXT) | instid1(VALU_DEP_2)
	v_fma_f32 v5, v5, -v21, -v21
	v_cndmask_b32_e64 v20, v20, v23, s0
	s_delay_alu instid0(VALU_DEP_4) | instskip(NEXT) | instid1(VALU_DEP_1)
	v_cmp_lt_f32_e64 s0, 0, v17
	v_cndmask_b32_e64 v17, v20, v22, s0
	v_cmp_eq_u32_e64 s0, 0, v4
	s_delay_alu instid0(VALU_DEP_1) | instskip(NEXT) | instid1(VALU_DEP_3)
	v_cndmask_b32_e64 v4, v5, v19, s0
	v_mul_f32_e32 v5, 0x37800000, v17
	s_delay_alu instid0(VALU_DEP_2) | instskip(NEXT) | instid1(VALU_DEP_2)
	v_xor3_b32 v4, v6, v4, v7
	v_cndmask_b32_e32 v5, v17, v5, vcc_lo
	v_cmp_class_f32_e64 vcc_lo, v18, 0x260
	s_delay_alu instid0(VALU_DEP_3) | instskip(NEXT) | instid1(VALU_DEP_3)
	v_fma_f32 v6, v4, v4, 1.0
	v_cndmask_b32_e32 v5, v5, v18, vcc_lo
	s_delay_alu instid0(VALU_DEP_2) | instskip(NEXT) | instid1(VALU_DEP_2)
	v_mul_f32_e32 v17, v11, v6
	v_mul_f32_e32 v5, v5, v6
	s_delay_alu instid0(VALU_DEP_2) | instskip(NEXT) | instid1(VALU_DEP_2)
	v_fma_f32 v6, v11, v17, 1.0
	v_mul_f32_e32 v5, v11, v5
	s_delay_alu instid0(VALU_DEP_2) | instskip(NEXT) | instid1(VALU_DEP_2)
	v_div_scale_f32 v17, null, v6, v6, v4
	v_div_scale_f32 v11, null, v6, v6, v5
	v_div_scale_f32 v22, vcc_lo, v5, v6, v5
	s_delay_alu instid0(VALU_DEP_3) | instskip(NEXT) | instid1(VALU_DEP_2)
	v_rcp_f32_e32 v19, v17
	v_rcp_f32_e32 v18, v11
	s_waitcnt_depctr 0xfff
	v_fma_f32 v21, -v17, v19, 1.0
	v_fma_f32 v20, -v11, v18, 1.0
	s_delay_alu instid0(VALU_DEP_1) | instskip(SKIP_1) | instid1(VALU_DEP_2)
	v_dual_fmac_f32 v19, v21, v19 :: v_dual_fmac_f32 v18, v20, v18
	v_div_scale_f32 v20, s0, v4, v6, v4
	v_mul_f32_e32 v21, v22, v18
	s_delay_alu instid0(VALU_DEP_2) | instskip(NEXT) | instid1(VALU_DEP_2)
	v_mul_f32_e32 v23, v20, v19
	v_fma_f32 v24, -v11, v21, v22
	s_delay_alu instid0(VALU_DEP_2) | instskip(NEXT) | instid1(VALU_DEP_2)
	v_fma_f32 v25, -v17, v23, v20
	v_fmac_f32_e32 v21, v24, v18
	s_delay_alu instid0(VALU_DEP_2) | instskip(NEXT) | instid1(VALU_DEP_2)
	v_fmac_f32_e32 v23, v25, v19
	v_fma_f32 v11, -v11, v21, v22
	s_delay_alu instid0(VALU_DEP_2) | instskip(NEXT) | instid1(VALU_DEP_2)
	v_fma_f32 v17, -v17, v23, v20
	v_div_fmas_f32 v11, v11, v18, v21
	s_mov_b32 vcc_lo, s0
	s_delay_alu instid0(VALU_DEP_2) | instskip(NEXT) | instid1(VALU_DEP_2)
	v_div_fmas_f32 v17, v17, v19, v23
	v_div_fixup_f32 v5, v11, v6, v5
	s_delay_alu instid0(VALU_DEP_2)
	v_div_fixup_f32 v4, v17, v6, v4
                                        ; implicit-def: $vgpr6
.LBB101_188:                            ;   in Loop: Header=BB101_180 Depth=1
	s_and_not1_saveexec_b32 s16, s16
	s_cbranch_execz .LBB101_191
; %bb.189:                              ;   in Loop: Header=BB101_180 Depth=1
	v_lshrrev_b32_e32 v4, 23, v6
	v_cmp_ngt_f32_e64 s17, 0x48000000, |v7|
	v_and_or_b32 v17, v6, s4, 0x800000
                                        ; implicit-def: $vgpr5
	s_delay_alu instid0(VALU_DEP_3) | instskip(NEXT) | instid1(VALU_DEP_3)
	v_add_nc_u32_e32 v18, 0xffffff88, v4
                                        ; implicit-def: $vgpr4
	s_and_saveexec_b32 s0, s17
	s_delay_alu instid0(SALU_CYCLE_1)
	s_xor_b32 s18, exec_lo, s0
	s_cbranch_execz .LBB101_192
; %bb.190:                              ;   in Loop: Header=BB101_180 Depth=1
	v_mad_u64_u32 v[4:5], null, 0xfe5163ab, v17, 0
	v_cmp_lt_u32_e32 vcc_lo, 63, v18
	s_delay_alu instid0(VALU_DEP_2) | instskip(SKIP_1) | instid1(VALU_DEP_2)
	v_mov_b32_e32 v11, v5
	v_cndmask_b32_e64 v5, 0, 0xffffffc0, vcc_lo
	v_mad_u64_u32 v[19:20], null, 0x3c439041, v17, v[11:12]
	s_delay_alu instid0(VALU_DEP_2) | instskip(NEXT) | instid1(VALU_DEP_1)
	v_add_nc_u32_e32 v5, v5, v18
	v_cmp_lt_u32_e64 s0, 31, v5
	s_delay_alu instid0(VALU_DEP_3) | instskip(NEXT) | instid1(VALU_DEP_2)
	v_mov_b32_e32 v11, v20
	v_cndmask_b32_e64 v25, 0, 0xffffffe0, s0
	s_delay_alu instid0(VALU_DEP_2) | instskip(NEXT) | instid1(VALU_DEP_2)
	v_mad_u64_u32 v[20:21], null, 0xdb629599, v17, v[11:12]
	v_add_nc_u32_e32 v5, v25, v5
	s_delay_alu instid0(VALU_DEP_2) | instskip(NEXT) | instid1(VALU_DEP_2)
	v_mov_b32_e32 v11, v21
	v_cmp_lt_u32_e64 s1, 31, v5
	s_delay_alu instid0(VALU_DEP_4) | instskip(NEXT) | instid1(VALU_DEP_3)
	v_cndmask_b32_e32 v4, v20, v4, vcc_lo
	v_mad_u64_u32 v[21:22], null, 0xf534ddc0, v17, v[11:12]
	s_delay_alu instid0(VALU_DEP_1) | instskip(NEXT) | instid1(VALU_DEP_1)
	v_mov_b32_e32 v11, v22
	v_mad_u64_u32 v[22:23], null, 0xfc2757d1, v17, v[11:12]
	s_delay_alu instid0(VALU_DEP_1) | instskip(NEXT) | instid1(VALU_DEP_1)
	v_mov_b32_e32 v11, v23
	v_mad_u64_u32 v[23:24], null, 0x4e441529, v17, v[11:12]
	s_delay_alu instid0(VALU_DEP_1) | instskip(NEXT) | instid1(VALU_DEP_1)
	v_dual_mov_b32 v11, v24 :: v_dual_cndmask_b32 v26, v23, v21
	v_mad_u64_u32 v[24:25], null, 0xa2f9836e, v17, v[11:12]
	v_cndmask_b32_e64 v11, 0, 0xffffffe0, s1
	s_delay_alu instid0(VALU_DEP_1) | instskip(NEXT) | instid1(VALU_DEP_3)
	v_dual_cndmask_b32 v24, v24, v22 :: v_dual_add_nc_u32 v5, v11, v5
	v_dual_cndmask_b32 v23, v25, v23 :: v_dual_cndmask_b32 v22, v22, v20
	v_cndmask_b32_e32 v11, v21, v19, vcc_lo
	s_delay_alu instid0(VALU_DEP_3) | instskip(NEXT) | instid1(VALU_DEP_4)
	v_cmp_eq_u32_e64 s2, 0, v5
	v_cndmask_b32_e64 v19, v24, v26, s0
	s_delay_alu instid0(VALU_DEP_4)
	v_cndmask_b32_e64 v21, v23, v24, s0
	v_cndmask_b32_e64 v23, v26, v22, s0
	v_sub_nc_u32_e32 v24, 32, v5
	v_cndmask_b32_e64 v22, v22, v11, s0
	v_cndmask_b32_e64 v4, v11, v4, s0
	v_cndmask_b32_e64 v21, v21, v19, s1
	v_cndmask_b32_e64 v19, v19, v23, s1
	s_delay_alu instid0(VALU_DEP_4) | instskip(NEXT) | instid1(VALU_DEP_4)
	v_cndmask_b32_e64 v23, v23, v22, s1
	v_cndmask_b32_e64 v4, v22, v4, s1
	s_delay_alu instid0(VALU_DEP_3) | instskip(NEXT) | instid1(VALU_DEP_3)
	v_alignbit_b32 v25, v21, v19, v24
	v_alignbit_b32 v26, v19, v23, v24
	s_delay_alu instid0(VALU_DEP_3) | instskip(NEXT) | instid1(VALU_DEP_3)
	v_alignbit_b32 v24, v23, v4, v24
	v_cndmask_b32_e64 v5, v25, v21, s2
	s_delay_alu instid0(VALU_DEP_3) | instskip(NEXT) | instid1(VALU_DEP_3)
	v_cndmask_b32_e64 v19, v26, v19, s2
	v_cndmask_b32_e64 v23, v24, v23, s2
	s_delay_alu instid0(VALU_DEP_3) | instskip(NEXT) | instid1(VALU_DEP_3)
	v_bfe_u32 v20, v5, 29, 1
	v_alignbit_b32 v11, v5, v19, 30
	s_delay_alu instid0(VALU_DEP_3) | instskip(SKIP_1) | instid1(VALU_DEP_4)
	v_alignbit_b32 v19, v19, v23, 30
	v_alignbit_b32 v4, v23, v4, 30
	v_sub_nc_u32_e32 v21, 0, v20
	s_delay_alu instid0(VALU_DEP_1) | instskip(SKIP_3) | instid1(VALU_DEP_4)
	v_xor_b32_e32 v22, v11, v21
	v_cmp_ne_u32_e32 vcc_lo, v11, v21
	v_xor_b32_e32 v19, v19, v21
	v_xor_b32_e32 v4, v4, v21
	v_clz_i32_u32_e32 v25, v22
	s_delay_alu instid0(VALU_DEP_1) | instskip(NEXT) | instid1(VALU_DEP_1)
	v_add_nc_u32_e32 v24, 1, v25
	v_cndmask_b32_e32 v11, 33, v24, vcc_lo
	s_delay_alu instid0(VALU_DEP_1) | instskip(NEXT) | instid1(VALU_DEP_1)
	v_sub_nc_u32_e32 v23, 32, v11
	v_alignbit_b32 v21, v22, v19, v23
	v_alignbit_b32 v4, v19, v4, v23
	v_lshrrev_b32_e32 v19, 29, v5
	v_lshrrev_b32_e32 v5, 30, v5
	s_delay_alu instid0(VALU_DEP_3) | instskip(NEXT) | instid1(VALU_DEP_3)
	v_alignbit_b32 v22, v21, v4, 9
	v_lshlrev_b32_e32 v19, 31, v19
	v_alignbit_b32 v21, v11, v21, 9
	s_delay_alu instid0(VALU_DEP_4) | instskip(NEXT) | instid1(VALU_DEP_4)
	v_add_nc_u32_e32 v5, v20, v5
	v_clz_i32_u32_e32 v23, v22
	s_delay_alu instid0(VALU_DEP_3) | instskip(SKIP_1) | instid1(VALU_DEP_3)
	v_or_b32_e32 v21, v21, v19
	v_or_b32_e32 v19, 0x33800000, v19
	v_min_u32_e32 v23, 32, v23
	s_delay_alu instid0(VALU_DEP_3) | instskip(NEXT) | instid1(VALU_DEP_2)
	v_xor_b32_e32 v21, 1.0, v21
	v_sub_nc_u32_e32 v24, 31, v23
	v_add_lshl_u32 v11, v23, v11, 23
	s_delay_alu instid0(VALU_DEP_3) | instskip(NEXT) | instid1(VALU_DEP_3)
	v_mul_f32_e32 v23, 0x3fc90fda, v21
	v_alignbit_b32 v4, v22, v4, v24
	s_delay_alu instid0(VALU_DEP_3) | instskip(NEXT) | instid1(VALU_DEP_3)
	v_sub_nc_u32_e32 v11, v19, v11
	v_fma_f32 v19, 0x3fc90fda, v21, -v23
	s_delay_alu instid0(VALU_DEP_3) | instskip(NEXT) | instid1(VALU_DEP_2)
	v_lshrrev_b32_e32 v4, 9, v4
	v_fmac_f32_e32 v19, 0x33a22168, v21
	s_delay_alu instid0(VALU_DEP_2) | instskip(NEXT) | instid1(VALU_DEP_1)
	v_or_b32_e32 v4, v11, v4
	v_fmac_f32_e32 v19, 0x3fc90fda, v4
	s_delay_alu instid0(VALU_DEP_1)
	v_add_f32_e32 v4, v23, v19
	s_and_not1_saveexec_b32 s0, s18
	s_branch .LBB101_193
.LBB101_191:                            ;   in Loop: Header=BB101_180 Depth=1
	s_or_b32 exec_lo, exec_lo, s16
	s_and_not1_saveexec_b32 s0, s15
	s_cbranch_execnz .LBB101_200
	s_branch .LBB101_201
.LBB101_192:                            ;   in Loop: Header=BB101_180 Depth=1
	s_and_not1_saveexec_b32 s0, s18
.LBB101_193:                            ;   in Loop: Header=BB101_180 Depth=1
	v_mul_f32_e64 v4, 0x3f22f983, |v7|
	s_delay_alu instid0(VALU_DEP_1) | instskip(NEXT) | instid1(VALU_DEP_1)
	v_rndne_f32_e32 v5, v4
	v_fma_f32 v4, 0xbfc90fda, v5, |v7|
	s_delay_alu instid0(VALU_DEP_1) | instskip(NEXT) | instid1(VALU_DEP_1)
	v_fmac_f32_e32 v4, 0xb3a22168, v5
	v_fmac_f32_e32 v4, 0xa7c234c4, v5
	v_cvt_i32_f32_e32 v5, v5
; %bb.194:                              ;   in Loop: Header=BB101_180 Depth=1
	s_or_b32 exec_lo, exec_lo, s0
                                        ; implicit-def: $vgpr19
                                        ; implicit-def: $vgpr11
	s_and_saveexec_b32 s0, s17
	s_delay_alu instid0(SALU_CYCLE_1)
	s_xor_b32 s17, exec_lo, s0
	s_cbranch_execz .LBB101_196
; %bb.195:                              ;   in Loop: Header=BB101_180 Depth=1
	v_mad_u64_u32 v[19:20], null, 0xfe5163ab, v17, 0
	v_cmp_lt_u32_e32 vcc_lo, 63, v18
	v_cndmask_b32_e64 v25, 0, 0xffffffc0, vcc_lo
	s_delay_alu instid0(VALU_DEP_1) | instskip(NEXT) | instid1(VALU_DEP_1)
	v_dual_mov_b32 v11, v20 :: v_dual_add_nc_u32 v18, v25, v18
	v_mad_u64_u32 v[20:21], null, 0x3c439041, v17, v[11:12]
	s_delay_alu instid0(VALU_DEP_2) | instskip(NEXT) | instid1(VALU_DEP_1)
	v_cmp_lt_u32_e64 s0, 31, v18
	v_cndmask_b32_e64 v26, 0, 0xffffffe0, s0
	s_delay_alu instid0(VALU_DEP_1) | instskip(NEXT) | instid1(VALU_DEP_1)
	v_dual_mov_b32 v11, v21 :: v_dual_add_nc_u32 v18, v26, v18
	v_mad_u64_u32 v[21:22], null, 0xdb629599, v17, v[11:12]
	s_delay_alu instid0(VALU_DEP_2) | instskip(NEXT) | instid1(VALU_DEP_2)
	v_cmp_lt_u32_e64 s1, 31, v18
	v_mov_b32_e32 v11, v22
	s_delay_alu instid0(VALU_DEP_3) | instskip(NEXT) | instid1(VALU_DEP_2)
	v_cndmask_b32_e32 v19, v21, v19, vcc_lo
	v_mad_u64_u32 v[22:23], null, 0xf534ddc0, v17, v[11:12]
	s_delay_alu instid0(VALU_DEP_1) | instskip(NEXT) | instid1(VALU_DEP_1)
	v_mov_b32_e32 v11, v23
	v_mad_u64_u32 v[23:24], null, 0xfc2757d1, v17, v[11:12]
	s_delay_alu instid0(VALU_DEP_1) | instskip(NEXT) | instid1(VALU_DEP_1)
	v_mov_b32_e32 v11, v24
	;; [unrolled: 3-line block ×3, first 2 shown]
	v_mad_u64_u32 v[25:26], null, 0xa2f9836e, v17, v[11:12]
	v_cndmask_b32_e64 v11, 0, 0xffffffe0, s1
	s_delay_alu instid0(VALU_DEP_4) | instskip(NEXT) | instid1(VALU_DEP_2)
	v_cndmask_b32_e32 v17, v24, v22, vcc_lo
	v_add_nc_u32_e32 v11, v11, v18
	s_delay_alu instid0(VALU_DEP_4) | instskip(SKIP_1) | instid1(VALU_DEP_3)
	v_dual_cndmask_b32 v25, v25, v23 :: v_dual_cndmask_b32 v24, v26, v24
	v_dual_cndmask_b32 v23, v23, v21 :: v_dual_cndmask_b32 v18, v22, v20
	v_cmp_eq_u32_e64 s2, 0, v11
	s_delay_alu instid0(VALU_DEP_3) | instskip(NEXT) | instid1(VALU_DEP_4)
	v_cndmask_b32_e64 v20, v25, v17, s0
	v_cndmask_b32_e64 v22, v24, v25, s0
	s_delay_alu instid0(VALU_DEP_4)
	v_cndmask_b32_e64 v17, v17, v23, s0
	v_sub_nc_u32_e32 v24, 32, v11
	v_cndmask_b32_e64 v23, v23, v18, s0
	v_cndmask_b32_e64 v18, v18, v19, s0
	;; [unrolled: 1-line block ×4, first 2 shown]
	s_delay_alu instid0(VALU_DEP_4) | instskip(NEXT) | instid1(VALU_DEP_4)
	v_cndmask_b32_e64 v17, v17, v23, s1
	v_cndmask_b32_e64 v18, v23, v18, s1
	s_delay_alu instid0(VALU_DEP_3) | instskip(NEXT) | instid1(VALU_DEP_3)
	v_alignbit_b32 v25, v22, v20, v24
	v_alignbit_b32 v26, v20, v17, v24
	s_delay_alu instid0(VALU_DEP_3) | instskip(NEXT) | instid1(VALU_DEP_3)
	v_alignbit_b32 v24, v17, v18, v24
	v_cndmask_b32_e64 v11, v25, v22, s2
	s_delay_alu instid0(VALU_DEP_3) | instskip(NEXT) | instid1(VALU_DEP_3)
	v_cndmask_b32_e64 v20, v26, v20, s2
	v_cndmask_b32_e64 v17, v24, v17, s2
	s_delay_alu instid0(VALU_DEP_3) | instskip(NEXT) | instid1(VALU_DEP_3)
	v_bfe_u32 v21, v11, 29, 1
	v_alignbit_b32 v19, v11, v20, 30
	s_delay_alu instid0(VALU_DEP_3) | instskip(SKIP_1) | instid1(VALU_DEP_4)
	v_alignbit_b32 v20, v20, v17, 30
	v_alignbit_b32 v17, v17, v18, 30
	v_sub_nc_u32_e32 v22, 0, v21
	s_delay_alu instid0(VALU_DEP_1) | instskip(SKIP_3) | instid1(VALU_DEP_4)
	v_xor_b32_e32 v23, v19, v22
	v_cmp_ne_u32_e32 vcc_lo, v19, v22
	v_xor_b32_e32 v18, v20, v22
	v_xor_b32_e32 v17, v17, v22
	v_clz_i32_u32_e32 v25, v23
	s_delay_alu instid0(VALU_DEP_1) | instskip(NEXT) | instid1(VALU_DEP_1)
	v_add_nc_u32_e32 v24, 1, v25
	v_cndmask_b32_e32 v19, 33, v24, vcc_lo
	s_delay_alu instid0(VALU_DEP_1) | instskip(NEXT) | instid1(VALU_DEP_1)
	v_sub_nc_u32_e32 v20, 32, v19
	v_alignbit_b32 v22, v23, v18, v20
	v_alignbit_b32 v17, v18, v17, v20
	v_lshrrev_b32_e32 v18, 29, v11
	s_delay_alu instid0(VALU_DEP_2) | instskip(NEXT) | instid1(VALU_DEP_2)
	v_alignbit_b32 v20, v22, v17, 9
	v_lshlrev_b32_e32 v18, 31, v18
	v_alignbit_b32 v22, v19, v22, 9
	s_delay_alu instid0(VALU_DEP_3) | instskip(NEXT) | instid1(VALU_DEP_2)
	v_clz_i32_u32_e32 v23, v20
	v_or_b32_e32 v22, v22, v18
	v_or_b32_e32 v18, 0x33800000, v18
	s_delay_alu instid0(VALU_DEP_3) | instskip(NEXT) | instid1(VALU_DEP_3)
	v_min_u32_e32 v23, 32, v23
	v_xor_b32_e32 v22, 1.0, v22
	s_delay_alu instid0(VALU_DEP_2) | instskip(SKIP_1) | instid1(VALU_DEP_3)
	v_sub_nc_u32_e32 v24, 31, v23
	v_add_lshl_u32 v19, v23, v19, 23
	v_mul_f32_e32 v23, 0x3fc90fda, v22
	s_delay_alu instid0(VALU_DEP_3) | instskip(NEXT) | instid1(VALU_DEP_3)
	v_alignbit_b32 v17, v20, v17, v24
	v_sub_nc_u32_e32 v18, v18, v19
	s_delay_alu instid0(VALU_DEP_3) | instskip(NEXT) | instid1(VALU_DEP_3)
	v_fma_f32 v19, 0x3fc90fda, v22, -v23
	v_lshrrev_b32_e32 v17, 9, v17
	s_delay_alu instid0(VALU_DEP_2) | instskip(NEXT) | instid1(VALU_DEP_2)
	v_fmac_f32_e32 v19, 0x33a22168, v22
	v_or_b32_e32 v17, v18, v17
	s_delay_alu instid0(VALU_DEP_1) | instskip(SKIP_1) | instid1(VALU_DEP_2)
	v_fmac_f32_e32 v19, 0x3fc90fda, v17
	v_lshrrev_b32_e32 v17, 30, v11
	v_add_f32_e32 v11, v23, v19
	s_delay_alu instid0(VALU_DEP_2)
	v_add_nc_u32_e32 v19, v21, v17
	s_and_not1_saveexec_b32 s0, s17
	s_cbranch_execnz .LBB101_197
	s_branch .LBB101_198
.LBB101_196:                            ;   in Loop: Header=BB101_180 Depth=1
	s_and_not1_saveexec_b32 s0, s17
.LBB101_197:                            ;   in Loop: Header=BB101_180 Depth=1
	v_mul_f32_e64 v11, 0x3f22f983, |v7|
	s_delay_alu instid0(VALU_DEP_1) | instskip(NEXT) | instid1(VALU_DEP_1)
	v_rndne_f32_e32 v17, v11
	v_fma_f32 v11, 0xbfc90fda, v17, |v7|
	v_cvt_i32_f32_e32 v19, v17
	s_delay_alu instid0(VALU_DEP_2) | instskip(NEXT) | instid1(VALU_DEP_1)
	v_fmac_f32_e32 v11, 0xb3a22168, v17
	v_fmac_f32_e32 v11, 0xa7c234c4, v17
.LBB101_198:                            ;   in Loop: Header=BB101_180 Depth=1
	s_or_b32 exec_lo, exec_lo, s0
	v_dual_mul_f32 v17, v4, v4 :: v_dual_and_b32 v18, 1, v5
	v_mul_f32_e64 v20, 0xbfb8aa3b, |v8|
	s_delay_alu instid0(VALU_DEP_3) | instskip(NEXT) | instid1(VALU_DEP_3)
	v_mul_f32_e32 v23, v11, v11
	v_fmaak_f32 v21, s12, v17, 0x3c0881c4
	v_fmaak_f32 v22, s13, v17, 0xbab64f3b
	s_delay_alu instid0(VALU_DEP_4) | instskip(SKIP_2) | instid1(VALU_DEP_4)
	v_rndne_f32_e32 v24, v20
	v_fma_f32 v25, 0xbfb8aa3b, |v8|, -v20
	v_dual_fmaak_f32 v26, s12, v23, 0x3c0881c4 :: v_dual_lshlrev_b32 v5, 30, v5
	v_fmaak_f32 v22, v17, v22, 0x3d2aabf7
	s_delay_alu instid0(VALU_DEP_4) | instskip(NEXT) | instid1(VALU_DEP_4)
	v_dual_fmaak_f32 v21, v17, v21, 0xbe2aaa9d :: v_dual_sub_f32 v20, v20, v24
	v_fma_f32 v25, 0xb2a5705f, |v8|, v25
	v_fmaak_f32 v27, s13, v23, 0xbab64f3b
	s_delay_alu instid0(VALU_DEP_3) | instskip(SKIP_1) | instid1(VALU_DEP_4)
	v_dual_fmaak_f32 v26, v23, v26, 0xbe2aaa9d :: v_dual_mul_f32 v21, v17, v21
	v_and_b32_e32 v5, 0x80000000, v5
	v_add_f32_e32 v20, v20, v25
	v_cmp_eq_u32_e32 vcc_lo, 0, v18
	s_delay_alu instid0(VALU_DEP_4) | instskip(SKIP_1) | instid1(VALU_DEP_4)
	v_dual_fmac_f32 v4, v4, v21 :: v_dual_fmaak_f32 v21, v23, v27, 0x3d2aabf7
	v_fmaak_f32 v22, v17, v22, 0xbf000004
	v_exp_f32_e32 v20, v20
	s_delay_alu instid0(VALU_DEP_1) | instskip(SKIP_3) | instid1(VALU_DEP_3)
	v_fma_f32 v17, v17, v22, 1.0
	v_mul_f32_e32 v22, v23, v26
	v_xor_b32_e32 v5, v6, v5
	v_cvt_i32_f32_e32 v6, v24
	v_dual_cndmask_b32 v4, v17, v4 :: v_dual_fmac_f32 v11, v11, v22
	v_fmaak_f32 v17, v23, v21, 0xbf000004
	s_delay_alu instid0(VALU_DEP_2)
	v_xor3_b32 v4, v5, v4, v7
	s_delay_alu instid0(TRANS32_DEP_1) | instid1(VALU_DEP_4)
	v_ldexp_f32 v5, v20, v6
	v_and_b32_e32 v18, 1, v19
	s_delay_alu instid0(VALU_DEP_4) | instskip(NEXT) | instid1(VALU_DEP_4)
	v_fma_f32 v17, v23, v17, 1.0
	v_dual_mul_f32 v4, 4.0, v4 :: v_dual_lshlrev_b32 v19, 30, v19
	s_delay_alu instid0(VALU_DEP_3) | instskip(NEXT) | instid1(VALU_DEP_3)
	v_cmp_eq_u32_e32 vcc_lo, 0, v18
	v_cndmask_b32_e64 v6, -v11, v17, vcc_lo
	s_delay_alu instid0(VALU_DEP_3) | instskip(SKIP_1) | instid1(VALU_DEP_2)
	v_and_b32_e32 v11, 0x80000000, v19
	v_cmp_nlt_f32_e64 vcc_lo, 0x42ce8ed0, |v8|
	v_xor_b32_e32 v6, v11, v6
	v_cndmask_b32_e32 v5, 0, v5, vcc_lo
	v_cmp_ngt_f32_e64 vcc_lo, 0xc2b17218, |v8|
	s_delay_alu instid0(VALU_DEP_2) | instskip(SKIP_1) | instid1(VALU_DEP_2)
	v_dual_mul_f32 v4, v4, v6 :: v_dual_cndmask_b32 v11, 0x7f800000, v5
	v_xor_b32_e32 v5, 0x80000000, v8
	v_mul_f32_e32 v4, v11, v4
	s_delay_alu instid0(VALU_DEP_2) | instskip(NEXT) | instid1(VALU_DEP_2)
	v_bfi_b32 v5, 0x7fffffff, 1.0, v5
	v_mul_f32_e32 v4, v11, v4
	s_or_b32 exec_lo, exec_lo, s16
.LBB101_199:                            ;   in Loop: Header=BB101_180 Depth=1
	s_and_not1_saveexec_b32 s0, s15
.LBB101_200:                            ;   in Loop: Header=BB101_180 Depth=1
	v_sub_f32_e32 v4, v7, v7
	s_delay_alu instid0(VALU_DEP_1)
	v_mov_b32_e32 v5, v4
.LBB101_201:                            ;   in Loop: Header=BB101_180 Depth=1
	s_or_b32 exec_lo, exec_lo, s0
.LBB101_202:                            ;   in Loop: Header=BB101_180 Depth=1
	s_and_not1_saveexec_b32 s14, s14
	s_cbranch_execz .LBB101_218
; %bb.203:                              ;   in Loop: Header=BB101_180 Depth=1
	v_xor_b32_e32 v5, 0x80000000, v8
	s_delay_alu instid0(VALU_DEP_1) | instskip(NEXT) | instid1(VALU_DEP_1)
	v_and_b32_e32 v4, 0x7fffff, v5
	v_cmp_ne_u32_e32 vcc_lo, 0, v4
                                        ; implicit-def: $vgpr4
	s_and_saveexec_b32 s0, vcc_lo
	s_delay_alu instid0(SALU_CYCLE_1)
	s_xor_b32 s0, exec_lo, s0
; %bb.204:                              ;   in Loop: Header=BB101_180 Depth=1
	v_mul_f32_e64 v4, v7, -v8
	v_cmp_eq_f32_e32 vcc_lo, 0, v7
	s_delay_alu instid0(VALU_DEP_2)
	v_cndmask_b32_e32 v4, v4, v7, vcc_lo
; %bb.205:                              ;   in Loop: Header=BB101_180 Depth=1
	s_and_not1_saveexec_b32 s15, s0
	s_cbranch_execz .LBB101_217
; %bb.206:                              ;   in Loop: Header=BB101_180 Depth=1
	s_mov_b32 s16, exec_lo
	v_cmpx_neq_f32_e64 0x7f800000, |v7|
	s_cbranch_execz .LBB101_216
; %bb.207:                              ;   in Loop: Header=BB101_180 Depth=1
	v_and_b32_e32 v4, 0x7fffffff, v7
	v_cmp_ngt_f32_e64 s17, 0x48000000, |v7|
                                        ; implicit-def: $vgpr8
	s_delay_alu instid0(VALU_DEP_2) | instskip(SKIP_1) | instid1(VALU_DEP_2)
	v_lshrrev_b32_e32 v6, 23, v4
	v_and_or_b32 v17, v4, s4, 0x800000
	v_add_nc_u32_e32 v18, 0xffffff88, v6
                                        ; implicit-def: $vgpr6
	s_delay_alu instid0(VALU_DEP_4) | instskip(NEXT) | instid1(SALU_CYCLE_1)
	s_and_saveexec_b32 s0, s17
	s_xor_b32 s18, exec_lo, s0
	s_cbranch_execz .LBB101_209
; %bb.208:                              ;   in Loop: Header=BB101_180 Depth=1
	s_delay_alu instid0(VALU_DEP_1) | instskip(SKIP_2) | instid1(VALU_DEP_1)
	v_cmp_lt_u32_e32 vcc_lo, 63, v18
	v_mad_u64_u32 v[19:20], null, 0xfe5163ab, v17, 0
	v_cndmask_b32_e64 v6, 0, 0xffffffc0, vcc_lo
	v_dual_mov_b32 v11, v20 :: v_dual_add_nc_u32 v6, v6, v18
	s_delay_alu instid0(VALU_DEP_1) | instskip(NEXT) | instid1(VALU_DEP_2)
	v_mad_u64_u32 v[20:21], null, 0x3c439041, v17, v[11:12]
	v_cmp_lt_u32_e64 s0, 31, v6
	s_delay_alu instid0(VALU_DEP_1) | instskip(NEXT) | instid1(VALU_DEP_1)
	v_cndmask_b32_e64 v8, 0, 0xffffffe0, s0
	v_dual_mov_b32 v11, v21 :: v_dual_add_nc_u32 v6, v8, v6
	s_delay_alu instid0(VALU_DEP_1) | instskip(NEXT) | instid1(VALU_DEP_2)
	v_mad_u64_u32 v[21:22], null, 0xdb629599, v17, v[11:12]
	v_cmp_lt_u32_e64 s1, 31, v6
	s_delay_alu instid0(VALU_DEP_2) | instskip(NEXT) | instid1(VALU_DEP_2)
	v_cndmask_b32_e32 v19, v21, v19, vcc_lo
	v_cndmask_b32_e64 v8, 0, 0xffffffe0, s1
	s_delay_alu instid0(VALU_DEP_1) | instskip(NEXT) | instid1(VALU_DEP_1)
	v_dual_mov_b32 v11, v22 :: v_dual_add_nc_u32 v6, v8, v6
	v_mad_u64_u32 v[22:23], null, 0xf534ddc0, v17, v[11:12]
	s_delay_alu instid0(VALU_DEP_2) | instskip(NEXT) | instid1(VALU_DEP_2)
	v_cmp_eq_u32_e64 s2, 0, v6
	v_dual_mov_b32 v11, v23 :: v_dual_cndmask_b32 v8, v22, v20
	s_delay_alu instid0(VALU_DEP_1) | instskip(NEXT) | instid1(VALU_DEP_1)
	v_mad_u64_u32 v[23:24], null, 0xfc2757d1, v17, v[11:12]
	v_mov_b32_e32 v11, v24
	s_delay_alu instid0(VALU_DEP_1) | instskip(NEXT) | instid1(VALU_DEP_1)
	v_mad_u64_u32 v[24:25], null, 0x4e441529, v17, v[11:12]
	v_mov_b32_e32 v11, v25
	s_delay_alu instid0(VALU_DEP_1) | instskip(NEXT) | instid1(VALU_DEP_3)
	v_mad_u64_u32 v[25:26], null, 0xa2f9836e, v17, v[11:12]
	v_cndmask_b32_e32 v11, v24, v22, vcc_lo
	s_delay_alu instid0(VALU_DEP_2) | instskip(SKIP_1) | instid1(VALU_DEP_2)
	v_dual_cndmask_b32 v25, v25, v23 :: v_dual_cndmask_b32 v24, v26, v24
	v_cndmask_b32_e32 v23, v23, v21, vcc_lo
	v_cndmask_b32_e64 v20, v25, v11, s0
	s_delay_alu instid0(VALU_DEP_3) | instskip(NEXT) | instid1(VALU_DEP_3)
	v_cndmask_b32_e64 v22, v24, v25, s0
	v_cndmask_b32_e64 v11, v11, v23, s0
	v_sub_nc_u32_e32 v24, 32, v6
	v_cndmask_b32_e64 v23, v23, v8, s0
	v_cndmask_b32_e64 v8, v8, v19, s0
	;; [unrolled: 1-line block ×4, first 2 shown]
	s_delay_alu instid0(VALU_DEP_4) | instskip(NEXT) | instid1(VALU_DEP_4)
	v_cndmask_b32_e64 v11, v11, v23, s1
	v_cndmask_b32_e64 v8, v23, v8, s1
	s_delay_alu instid0(VALU_DEP_3) | instskip(NEXT) | instid1(VALU_DEP_3)
	v_alignbit_b32 v25, v22, v20, v24
	v_alignbit_b32 v26, v20, v11, v24
	s_delay_alu instid0(VALU_DEP_3) | instskip(NEXT) | instid1(VALU_DEP_3)
	v_alignbit_b32 v24, v11, v8, v24
	v_cndmask_b32_e64 v6, v25, v22, s2
	s_delay_alu instid0(VALU_DEP_3) | instskip(NEXT) | instid1(VALU_DEP_3)
	v_cndmask_b32_e64 v20, v26, v20, s2
	v_cndmask_b32_e64 v11, v24, v11, s2
	s_delay_alu instid0(VALU_DEP_3) | instskip(NEXT) | instid1(VALU_DEP_3)
	v_bfe_u32 v21, v6, 29, 1
	v_alignbit_b32 v19, v6, v20, 30
	s_delay_alu instid0(VALU_DEP_3) | instskip(SKIP_1) | instid1(VALU_DEP_4)
	v_alignbit_b32 v20, v20, v11, 30
	v_alignbit_b32 v8, v11, v8, 30
	v_sub_nc_u32_e32 v22, 0, v21
	s_delay_alu instid0(VALU_DEP_1) | instskip(SKIP_3) | instid1(VALU_DEP_4)
	v_xor_b32_e32 v23, v19, v22
	v_cmp_ne_u32_e32 vcc_lo, v19, v22
	v_xor_b32_e32 v11, v20, v22
	v_xor_b32_e32 v8, v8, v22
	v_clz_i32_u32_e32 v25, v23
	s_delay_alu instid0(VALU_DEP_1) | instskip(NEXT) | instid1(VALU_DEP_1)
	v_add_nc_u32_e32 v24, 1, v25
	v_cndmask_b32_e32 v19, 33, v24, vcc_lo
	s_delay_alu instid0(VALU_DEP_1) | instskip(NEXT) | instid1(VALU_DEP_1)
	v_sub_nc_u32_e32 v20, 32, v19
	v_alignbit_b32 v22, v23, v11, v20
	v_alignbit_b32 v8, v11, v8, v20
	v_lshrrev_b32_e32 v11, 29, v6
	s_delay_alu instid0(VALU_DEP_2) | instskip(NEXT) | instid1(VALU_DEP_2)
	v_alignbit_b32 v20, v22, v8, 9
	v_lshlrev_b32_e32 v11, 31, v11
	v_alignbit_b32 v22, v19, v22, 9
	s_delay_alu instid0(VALU_DEP_3) | instskip(NEXT) | instid1(VALU_DEP_2)
	v_clz_i32_u32_e32 v23, v20
	v_or_b32_e32 v22, v22, v11
	v_or_b32_e32 v11, 0x33800000, v11
	s_delay_alu instid0(VALU_DEP_3) | instskip(NEXT) | instid1(VALU_DEP_3)
	v_min_u32_e32 v23, 32, v23
	v_xor_b32_e32 v22, 1.0, v22
	s_delay_alu instid0(VALU_DEP_2) | instskip(SKIP_1) | instid1(VALU_DEP_3)
	v_sub_nc_u32_e32 v24, 31, v23
	v_add_lshl_u32 v19, v23, v19, 23
	v_mul_f32_e32 v23, 0x3fc90fda, v22
	s_delay_alu instid0(VALU_DEP_3) | instskip(NEXT) | instid1(VALU_DEP_3)
	v_alignbit_b32 v8, v20, v8, v24
	v_sub_nc_u32_e32 v11, v11, v19
	s_delay_alu instid0(VALU_DEP_3) | instskip(NEXT) | instid1(VALU_DEP_3)
	v_fma_f32 v19, 0x3fc90fda, v22, -v23
	v_lshrrev_b32_e32 v8, 9, v8
	s_delay_alu instid0(VALU_DEP_2) | instskip(NEXT) | instid1(VALU_DEP_2)
	v_fmac_f32_e32 v19, 0x33a22168, v22
	v_or_b32_e32 v8, v11, v8
	s_delay_alu instid0(VALU_DEP_1) | instskip(SKIP_1) | instid1(VALU_DEP_2)
	v_fmac_f32_e32 v19, 0x3fc90fda, v8
	v_lshrrev_b32_e32 v8, 30, v6
	v_add_f32_e32 v6, v23, v19
	s_delay_alu instid0(VALU_DEP_2)
	v_add_nc_u32_e32 v8, v21, v8
.LBB101_209:                            ;   in Loop: Header=BB101_180 Depth=1
	s_or_saveexec_b32 s0, s18
	v_mul_f32_e64 v11, 0x3f22f983, |v7|
	s_delay_alu instid0(VALU_DEP_1)
	v_rndne_f32_e32 v20, v11
	s_xor_b32 exec_lo, exec_lo, s0
; %bb.210:                              ;   in Loop: Header=BB101_180 Depth=1
	s_delay_alu instid0(VALU_DEP_1) | instskip(SKIP_1) | instid1(VALU_DEP_2)
	v_fma_f32 v6, 0xbfc90fda, v20, |v7|
	v_cvt_i32_f32_e32 v8, v20
	v_fmac_f32_e32 v6, 0xb3a22168, v20
	s_delay_alu instid0(VALU_DEP_1)
	v_fmac_f32_e32 v6, 0xa7c234c4, v20
; %bb.211:                              ;   in Loop: Header=BB101_180 Depth=1
	s_or_b32 exec_lo, exec_lo, s0
                                        ; implicit-def: $vgpr19
                                        ; implicit-def: $vgpr11
	s_and_saveexec_b32 s0, s17
	s_delay_alu instid0(SALU_CYCLE_1)
	s_xor_b32 s17, exec_lo, s0
	s_cbranch_execz .LBB101_213
; %bb.212:                              ;   in Loop: Header=BB101_180 Depth=1
	v_mad_u64_u32 v[19:20], null, 0xfe5163ab, v17, 0
	v_cmp_lt_u32_e32 vcc_lo, 63, v18
	v_cndmask_b32_e64 v25, 0, 0xffffffc0, vcc_lo
	s_delay_alu instid0(VALU_DEP_1) | instskip(NEXT) | instid1(VALU_DEP_1)
	v_dual_mov_b32 v11, v20 :: v_dual_add_nc_u32 v18, v25, v18
	v_mad_u64_u32 v[20:21], null, 0x3c439041, v17, v[11:12]
	s_delay_alu instid0(VALU_DEP_2) | instskip(NEXT) | instid1(VALU_DEP_1)
	v_cmp_lt_u32_e64 s0, 31, v18
	v_cndmask_b32_e64 v26, 0, 0xffffffe0, s0
	s_delay_alu instid0(VALU_DEP_1) | instskip(NEXT) | instid1(VALU_DEP_1)
	v_dual_mov_b32 v11, v21 :: v_dual_add_nc_u32 v18, v26, v18
	v_mad_u64_u32 v[21:22], null, 0xdb629599, v17, v[11:12]
	s_delay_alu instid0(VALU_DEP_2) | instskip(NEXT) | instid1(VALU_DEP_2)
	v_cmp_lt_u32_e64 s1, 31, v18
	v_mov_b32_e32 v11, v22
	s_delay_alu instid0(VALU_DEP_3) | instskip(NEXT) | instid1(VALU_DEP_2)
	v_cndmask_b32_e32 v19, v21, v19, vcc_lo
	v_mad_u64_u32 v[22:23], null, 0xf534ddc0, v17, v[11:12]
	s_delay_alu instid0(VALU_DEP_1) | instskip(NEXT) | instid1(VALU_DEP_1)
	v_mov_b32_e32 v11, v23
	v_mad_u64_u32 v[23:24], null, 0xfc2757d1, v17, v[11:12]
	s_delay_alu instid0(VALU_DEP_1) | instskip(NEXT) | instid1(VALU_DEP_1)
	v_mov_b32_e32 v11, v24
	;; [unrolled: 3-line block ×3, first 2 shown]
	v_mad_u64_u32 v[25:26], null, 0xa2f9836e, v17, v[11:12]
	v_cndmask_b32_e64 v11, 0, 0xffffffe0, s1
	s_delay_alu instid0(VALU_DEP_4) | instskip(NEXT) | instid1(VALU_DEP_2)
	v_cndmask_b32_e32 v17, v24, v22, vcc_lo
	v_add_nc_u32_e32 v11, v11, v18
	s_delay_alu instid0(VALU_DEP_4) | instskip(SKIP_1) | instid1(VALU_DEP_3)
	v_dual_cndmask_b32 v25, v25, v23 :: v_dual_cndmask_b32 v24, v26, v24
	v_dual_cndmask_b32 v23, v23, v21 :: v_dual_cndmask_b32 v18, v22, v20
	v_cmp_eq_u32_e64 s2, 0, v11
	s_delay_alu instid0(VALU_DEP_3) | instskip(NEXT) | instid1(VALU_DEP_4)
	v_cndmask_b32_e64 v20, v25, v17, s0
	v_cndmask_b32_e64 v22, v24, v25, s0
	s_delay_alu instid0(VALU_DEP_4)
	v_cndmask_b32_e64 v17, v17, v23, s0
	v_sub_nc_u32_e32 v24, 32, v11
	v_cndmask_b32_e64 v23, v23, v18, s0
	v_cndmask_b32_e64 v18, v18, v19, s0
	;; [unrolled: 1-line block ×4, first 2 shown]
	s_delay_alu instid0(VALU_DEP_4) | instskip(NEXT) | instid1(VALU_DEP_4)
	v_cndmask_b32_e64 v17, v17, v23, s1
	v_cndmask_b32_e64 v18, v23, v18, s1
	s_delay_alu instid0(VALU_DEP_3) | instskip(NEXT) | instid1(VALU_DEP_3)
	v_alignbit_b32 v25, v22, v20, v24
	v_alignbit_b32 v26, v20, v17, v24
	s_delay_alu instid0(VALU_DEP_3) | instskip(NEXT) | instid1(VALU_DEP_3)
	v_alignbit_b32 v24, v17, v18, v24
	v_cndmask_b32_e64 v11, v25, v22, s2
	s_delay_alu instid0(VALU_DEP_3) | instskip(NEXT) | instid1(VALU_DEP_3)
	v_cndmask_b32_e64 v20, v26, v20, s2
	v_cndmask_b32_e64 v17, v24, v17, s2
	s_delay_alu instid0(VALU_DEP_3) | instskip(NEXT) | instid1(VALU_DEP_3)
	v_bfe_u32 v21, v11, 29, 1
	v_alignbit_b32 v19, v11, v20, 30
	s_delay_alu instid0(VALU_DEP_3) | instskip(SKIP_1) | instid1(VALU_DEP_4)
	v_alignbit_b32 v20, v20, v17, 30
	v_alignbit_b32 v17, v17, v18, 30
	v_sub_nc_u32_e32 v22, 0, v21
	s_delay_alu instid0(VALU_DEP_1) | instskip(SKIP_3) | instid1(VALU_DEP_4)
	v_xor_b32_e32 v23, v19, v22
	v_cmp_ne_u32_e32 vcc_lo, v19, v22
	v_xor_b32_e32 v18, v20, v22
	v_xor_b32_e32 v17, v17, v22
	v_clz_i32_u32_e32 v25, v23
	s_delay_alu instid0(VALU_DEP_1) | instskip(NEXT) | instid1(VALU_DEP_1)
	v_add_nc_u32_e32 v24, 1, v25
	v_cndmask_b32_e32 v19, 33, v24, vcc_lo
	s_delay_alu instid0(VALU_DEP_1) | instskip(NEXT) | instid1(VALU_DEP_1)
	v_sub_nc_u32_e32 v20, 32, v19
	v_alignbit_b32 v22, v23, v18, v20
	v_alignbit_b32 v17, v18, v17, v20
	v_lshrrev_b32_e32 v18, 29, v11
	s_delay_alu instid0(VALU_DEP_2) | instskip(NEXT) | instid1(VALU_DEP_2)
	v_alignbit_b32 v20, v22, v17, 9
	v_lshlrev_b32_e32 v18, 31, v18
	v_alignbit_b32 v22, v19, v22, 9
	s_delay_alu instid0(VALU_DEP_3) | instskip(NEXT) | instid1(VALU_DEP_2)
	v_clz_i32_u32_e32 v23, v20
	v_or_b32_e32 v22, v22, v18
	v_or_b32_e32 v18, 0x33800000, v18
	s_delay_alu instid0(VALU_DEP_3) | instskip(NEXT) | instid1(VALU_DEP_3)
	v_min_u32_e32 v23, 32, v23
	v_xor_b32_e32 v22, 1.0, v22
	s_delay_alu instid0(VALU_DEP_2) | instskip(SKIP_1) | instid1(VALU_DEP_3)
	v_sub_nc_u32_e32 v24, 31, v23
	v_add_lshl_u32 v19, v23, v19, 23
	v_mul_f32_e32 v23, 0x3fc90fda, v22
	s_delay_alu instid0(VALU_DEP_3) | instskip(NEXT) | instid1(VALU_DEP_3)
	v_alignbit_b32 v17, v20, v17, v24
	v_sub_nc_u32_e32 v18, v18, v19
	s_delay_alu instid0(VALU_DEP_3) | instskip(NEXT) | instid1(VALU_DEP_3)
	v_fma_f32 v19, 0x3fc90fda, v22, -v23
                                        ; implicit-def: $vgpr20
	v_lshrrev_b32_e32 v17, 9, v17
	s_delay_alu instid0(VALU_DEP_2) | instskip(NEXT) | instid1(VALU_DEP_2)
	v_fmac_f32_e32 v19, 0x33a22168, v22
	v_or_b32_e32 v17, v18, v17
	s_delay_alu instid0(VALU_DEP_1) | instskip(SKIP_1) | instid1(VALU_DEP_2)
	v_fmac_f32_e32 v19, 0x3fc90fda, v17
	v_lshrrev_b32_e32 v17, 30, v11
	v_add_f32_e32 v11, v23, v19
	s_delay_alu instid0(VALU_DEP_2)
	v_add_nc_u32_e32 v19, v21, v17
	s_and_not1_saveexec_b32 s0, s17
	s_cbranch_execnz .LBB101_214
	s_branch .LBB101_215
.LBB101_213:                            ;   in Loop: Header=BB101_180 Depth=1
	s_and_not1_saveexec_b32 s0, s17
.LBB101_214:                            ;   in Loop: Header=BB101_180 Depth=1
	v_fma_f32 v11, 0xbfc90fda, v20, |v7|
	v_cvt_i32_f32_e32 v19, v20
	s_delay_alu instid0(VALU_DEP_2) | instskip(NEXT) | instid1(VALU_DEP_1)
	v_fmac_f32_e32 v11, 0xb3a22168, v20
	v_fmac_f32_e32 v11, 0xa7c234c4, v20
.LBB101_215:                            ;   in Loop: Header=BB101_180 Depth=1
	s_or_b32 exec_lo, exec_lo, s0
	v_dual_mul_f32 v17, v6, v6 :: v_dual_and_b32 v18, 1, v8
	s_delay_alu instid0(VALU_DEP_2) | instskip(SKIP_2) | instid1(VALU_DEP_4)
	v_mul_f32_e32 v20, v11, v11
	v_and_b32_e32 v23, 1, v19
	v_lshlrev_b32_e32 v19, 30, v19
	v_dual_fmaak_f32 v21, s12, v17, 0x3c0881c4 :: v_dual_lshlrev_b32 v8, 30, v8
	s_delay_alu instid0(VALU_DEP_4) | instskip(SKIP_2) | instid1(VALU_DEP_4)
	v_fmaak_f32 v24, s12, v20, 0x3c0881c4
	v_fmaak_f32 v22, s13, v17, 0xbab64f3b
	v_cmp_eq_u32_e32 vcc_lo, 0, v18
	v_fmaak_f32 v21, v17, v21, 0xbe2aaa9d
	v_and_b32_e32 v8, 0x80000000, v8
	s_delay_alu instid0(VALU_DEP_2) | instskip(SKIP_1) | instid1(VALU_DEP_2)
	v_dual_fmaak_f32 v24, v20, v24, 0xbe2aaa9d :: v_dual_mul_f32 v21, v17, v21
	v_fmaak_f32 v25, s13, v20, 0xbab64f3b
	v_mul_f32_e32 v24, v20, v24
	s_delay_alu instid0(VALU_DEP_4) | instskip(NEXT) | instid1(VALU_DEP_4)
	v_xor_b32_e32 v4, v4, v8
	v_fmac_f32_e32 v6, v6, v21
	s_delay_alu instid0(VALU_DEP_4) | instskip(NEXT) | instid1(VALU_DEP_1)
	v_dual_fmaak_f32 v22, v17, v22, 0x3d2aabf7 :: v_dual_fmaak_f32 v25, v20, v25, 0x3d2aabf7
	v_dual_fmaak_f32 v22, v17, v22, 0xbf000004 :: v_dual_fmaak_f32 v25, v20, v25, 0xbf000004
	s_delay_alu instid0(VALU_DEP_1) | instskip(NEXT) | instid1(VALU_DEP_2)
	v_fma_f32 v17, v17, v22, 1.0
	v_fma_f32 v8, v20, v25, 1.0
	s_delay_alu instid0(VALU_DEP_2) | instskip(SKIP_1) | instid1(VALU_DEP_2)
	v_dual_cndmask_b32 v6, v17, v6 :: v_dual_and_b32 v17, 0x80000000, v19
	v_cmp_eq_u32_e32 vcc_lo, 0, v23
	v_xor3_b32 v4, v4, v6, v7
	v_fmac_f32_e32 v11, v11, v24
	s_delay_alu instid0(VALU_DEP_1) | instskip(SKIP_1) | instid1(VALU_DEP_2)
	v_cndmask_b32_e64 v8, -v11, v8, vcc_lo
	v_cmp_class_f32_e64 vcc_lo, v7, 0x1f8
	v_xor_b32_e32 v6, v17, v8
	s_delay_alu instid0(VALU_DEP_1) | instskip(NEXT) | instid1(VALU_DEP_1)
	v_mul_f32_e32 v4, v4, v6
	v_cndmask_b32_e32 v7, 0x7fc00000, v4, vcc_lo
.LBB101_216:                            ;   in Loop: Header=BB101_180 Depth=1
	s_or_b32 exec_lo, exec_lo, s16
	v_add_nc_u32_e32 v5, -2.0, v5
	s_delay_alu instid0(VALU_DEP_2)
	v_bfi_b32 v4, 0x7fffffff, 0, v7
.LBB101_217:                            ;   in Loop: Header=BB101_180 Depth=1
	s_or_b32 exec_lo, exec_lo, s15
.LBB101_218:                            ;   in Loop: Header=BB101_180 Depth=1
	s_delay_alu instid0(SALU_CYCLE_1) | instskip(SKIP_2) | instid1(VALU_DEP_1)
	s_or_b32 exec_lo, exec_lo, s14
	v_and_b32_e32 v6, 0x7fffffff, v10
                                        ; implicit-def: $vgpr17
	s_mov_b32 s0, exec_lo
	v_cmpx_gt_u32_e32 0x7f800000, v6
	s_xor_b32 s14, exec_lo, s0
	s_cbranch_execz .LBB101_240
; %bb.219:                              ;   in Loop: Header=BB101_180 Depth=1
	v_cmp_class_f32_e64 s0, v9, 0x1f8
                                        ; implicit-def: $vgpr17
	s_delay_alu instid0(VALU_DEP_1) | instskip(NEXT) | instid1(SALU_CYCLE_1)
	s_and_saveexec_b32 s1, s0
	s_xor_b32 s15, exec_lo, s1
	s_cbranch_execz .LBB101_237
; %bb.220:                              ;   in Loop: Header=BB101_180 Depth=1
	v_and_b32_e32 v7, 0x7fffffff, v9
                                        ; implicit-def: $vgpr17
	s_mov_b32 s0, exec_lo
	v_cmpx_gt_u32_e32 0x41300000, v6
	s_xor_b32 s16, exec_lo, s0
	s_cbranch_execz .LBB101_226
; %bb.221:                              ;   in Loop: Header=BB101_180 Depth=1
                                        ; implicit-def: $vgpr6
                                        ; implicit-def: $vgpr8
	s_mov_b32 s1, exec_lo
	v_cmpx_ngt_f32_e64 0x48000000, |v9|
	s_xor_b32 s17, exec_lo, s1
	s_cbranch_execz .LBB101_223
; %bb.222:                              ;   in Loop: Header=BB101_180 Depth=1
	v_and_or_b32 v6, v7, s4, 0x800000
	v_lshrrev_b32_e32 v8, 23, v7
	s_delay_alu instid0(VALU_DEP_2) | instskip(NEXT) | instid1(VALU_DEP_2)
	v_mad_u64_u32 v[17:18], null, 0xfe5163ab, v6, 0
	v_add_nc_u32_e32 v8, 0xffffff88, v8
	s_delay_alu instid0(VALU_DEP_1) | instskip(NEXT) | instid1(VALU_DEP_3)
	v_cmp_lt_u32_e32 vcc_lo, 63, v8
	v_mov_b32_e32 v11, v18
	v_cndmask_b32_e64 v23, 0, 0xffffffc0, vcc_lo
	s_delay_alu instid0(VALU_DEP_2) | instskip(NEXT) | instid1(VALU_DEP_2)
	v_mad_u64_u32 v[18:19], null, 0x3c439041, v6, v[11:12]
	v_add_nc_u32_e32 v8, v23, v8
	s_delay_alu instid0(VALU_DEP_1) | instskip(NEXT) | instid1(VALU_DEP_1)
	v_cmp_lt_u32_e64 s0, 31, v8
	v_cndmask_b32_e64 v24, 0, 0xffffffe0, s0
	s_delay_alu instid0(VALU_DEP_1) | instskip(NEXT) | instid1(VALU_DEP_1)
	v_dual_mov_b32 v11, v19 :: v_dual_add_nc_u32 v8, v24, v8
	v_mad_u64_u32 v[19:20], null, 0xdb629599, v6, v[11:12]
	s_delay_alu instid0(VALU_DEP_2) | instskip(NEXT) | instid1(VALU_DEP_2)
	v_cmp_lt_u32_e64 s1, 31, v8
	v_mov_b32_e32 v11, v20
	s_delay_alu instid0(VALU_DEP_3) | instskip(NEXT) | instid1(VALU_DEP_2)
	v_cndmask_b32_e32 v17, v19, v17, vcc_lo
	v_mad_u64_u32 v[20:21], null, 0xf534ddc0, v6, v[11:12]
	s_delay_alu instid0(VALU_DEP_1) | instskip(NEXT) | instid1(VALU_DEP_1)
	v_mov_b32_e32 v11, v21
	v_mad_u64_u32 v[21:22], null, 0xfc2757d1, v6, v[11:12]
	s_delay_alu instid0(VALU_DEP_1) | instskip(NEXT) | instid1(VALU_DEP_1)
	v_mov_b32_e32 v11, v22
	;; [unrolled: 3-line block ×3, first 2 shown]
	v_mad_u64_u32 v[23:24], null, 0xa2f9836e, v6, v[11:12]
	v_cndmask_b32_e64 v6, 0, 0xffffffe0, s1
	s_delay_alu instid0(VALU_DEP_4) | instskip(NEXT) | instid1(VALU_DEP_2)
	v_cndmask_b32_e32 v11, v22, v20, vcc_lo
	v_add_nc_u32_e32 v6, v6, v8
	s_delay_alu instid0(VALU_DEP_4) | instskip(SKIP_1) | instid1(VALU_DEP_3)
	v_dual_cndmask_b32 v8, v20, v18 :: v_dual_cndmask_b32 v23, v23, v21
	v_dual_cndmask_b32 v22, v24, v22 :: v_dual_cndmask_b32 v21, v21, v19
	v_cmp_eq_u32_e64 s2, 0, v6
	s_delay_alu instid0(VALU_DEP_3) | instskip(NEXT) | instid1(VALU_DEP_3)
	v_cndmask_b32_e64 v18, v23, v11, s0
	v_cndmask_b32_e64 v20, v22, v23, s0
	s_delay_alu instid0(VALU_DEP_4)
	v_cndmask_b32_e64 v11, v11, v21, s0
	v_sub_nc_u32_e32 v22, 32, v6
	v_cndmask_b32_e64 v21, v21, v8, s0
	v_cndmask_b32_e64 v8, v8, v17, s0
	;; [unrolled: 1-line block ×4, first 2 shown]
	s_delay_alu instid0(VALU_DEP_4) | instskip(NEXT) | instid1(VALU_DEP_4)
	v_cndmask_b32_e64 v11, v11, v21, s1
	v_cndmask_b32_e64 v8, v21, v8, s1
	s_delay_alu instid0(VALU_DEP_3) | instskip(NEXT) | instid1(VALU_DEP_3)
	v_alignbit_b32 v23, v20, v18, v22
	v_alignbit_b32 v24, v18, v11, v22
	s_delay_alu instid0(VALU_DEP_3) | instskip(NEXT) | instid1(VALU_DEP_3)
	v_alignbit_b32 v22, v11, v8, v22
	v_cndmask_b32_e64 v6, v23, v20, s2
	s_delay_alu instid0(VALU_DEP_3) | instskip(NEXT) | instid1(VALU_DEP_3)
	v_cndmask_b32_e64 v18, v24, v18, s2
	v_cndmask_b32_e64 v11, v22, v11, s2
	s_delay_alu instid0(VALU_DEP_3) | instskip(NEXT) | instid1(VALU_DEP_3)
	v_bfe_u32 v19, v6, 29, 1
	v_alignbit_b32 v17, v6, v18, 30
	s_delay_alu instid0(VALU_DEP_3) | instskip(SKIP_1) | instid1(VALU_DEP_4)
	v_alignbit_b32 v18, v18, v11, 30
	v_alignbit_b32 v8, v11, v8, 30
	v_sub_nc_u32_e32 v20, 0, v19
	s_delay_alu instid0(VALU_DEP_1) | instskip(SKIP_3) | instid1(VALU_DEP_4)
	v_xor_b32_e32 v21, v17, v20
	v_cmp_ne_u32_e32 vcc_lo, v17, v20
	v_xor_b32_e32 v11, v18, v20
	v_xor_b32_e32 v8, v8, v20
	v_clz_i32_u32_e32 v23, v21
	s_delay_alu instid0(VALU_DEP_1) | instskip(NEXT) | instid1(VALU_DEP_1)
	v_add_nc_u32_e32 v22, 1, v23
	v_cndmask_b32_e32 v17, 33, v22, vcc_lo
	s_delay_alu instid0(VALU_DEP_1) | instskip(NEXT) | instid1(VALU_DEP_1)
	v_sub_nc_u32_e32 v18, 32, v17
	v_alignbit_b32 v20, v21, v11, v18
	v_alignbit_b32 v8, v11, v8, v18
	v_lshrrev_b32_e32 v11, 29, v6
	v_lshrrev_b32_e32 v6, 30, v6
	s_delay_alu instid0(VALU_DEP_3) | instskip(NEXT) | instid1(VALU_DEP_3)
	v_alignbit_b32 v18, v20, v8, 9
	v_lshlrev_b32_e32 v11, 31, v11
	v_alignbit_b32 v20, v17, v20, 9
	s_delay_alu instid0(VALU_DEP_4) | instskip(NEXT) | instid1(VALU_DEP_4)
	v_add_nc_u32_e32 v6, v19, v6
	v_clz_i32_u32_e32 v21, v18
	s_delay_alu instid0(VALU_DEP_3) | instskip(SKIP_1) | instid1(VALU_DEP_3)
	v_or_b32_e32 v20, v20, v11
	v_or_b32_e32 v11, 0x33800000, v11
	v_min_u32_e32 v21, 32, v21
	s_delay_alu instid0(VALU_DEP_3) | instskip(NEXT) | instid1(VALU_DEP_2)
	v_xor_b32_e32 v20, 1.0, v20
	v_sub_nc_u32_e32 v22, 31, v21
	v_add_lshl_u32 v17, v21, v17, 23
	s_delay_alu instid0(VALU_DEP_3) | instskip(NEXT) | instid1(VALU_DEP_3)
	v_mul_f32_e32 v21, 0x3fc90fda, v20
	v_alignbit_b32 v8, v18, v8, v22
	s_delay_alu instid0(VALU_DEP_3) | instskip(NEXT) | instid1(VALU_DEP_3)
	v_sub_nc_u32_e32 v11, v11, v17
	v_fma_f32 v17, 0x3fc90fda, v20, -v21
	s_delay_alu instid0(VALU_DEP_3) | instskip(NEXT) | instid1(VALU_DEP_2)
	v_lshrrev_b32_e32 v8, 9, v8
	v_fmac_f32_e32 v17, 0x33a22168, v20
	s_delay_alu instid0(VALU_DEP_2) | instskip(NEXT) | instid1(VALU_DEP_1)
	v_or_b32_e32 v8, v11, v8
	v_fmac_f32_e32 v17, 0x3fc90fda, v8
	s_delay_alu instid0(VALU_DEP_1)
	v_add_f32_e32 v8, v21, v17
.LBB101_223:                            ;   in Loop: Header=BB101_180 Depth=1
	s_and_not1_saveexec_b32 s0, s17
; %bb.224:                              ;   in Loop: Header=BB101_180 Depth=1
	v_mul_f32_e64 v6, 0x3f22f983, |v9|
	s_delay_alu instid0(VALU_DEP_1) | instskip(NEXT) | instid1(VALU_DEP_1)
	v_rndne_f32_e32 v6, v6
	v_fma_f32 v8, 0xbfc90fda, v6, |v9|
	s_delay_alu instid0(VALU_DEP_1) | instskip(NEXT) | instid1(VALU_DEP_1)
	v_fmac_f32_e32 v8, 0xb3a22168, v6
	v_fmac_f32_e32 v8, 0xa7c234c4, v6
	v_cvt_i32_f32_e32 v6, v6
; %bb.225:                              ;   in Loop: Header=BB101_180 Depth=1
	s_or_b32 exec_lo, exec_lo, s0
	v_add_f32_e64 v11, 0xbf317218, |v10|
	v_cmp_nlt_f32_e64 vcc_lo, 0x42b2d4fc, |v10|
	v_cmp_gt_f32_e64 s0, 0x39800000, |v10|
	v_and_b32_e32 v6, 1, v6
	s_delay_alu instid0(VALU_DEP_4) | instskip(NEXT) | instid1(VALU_DEP_1)
	v_sub_f32_e64 v17, v11, |v10|
	v_dual_sub_f32 v18, v17, v11 :: v_dual_add_f32 v17, 0x3f317218, v17
	s_delay_alu instid0(VALU_DEP_1) | instskip(NEXT) | instid1(VALU_DEP_1)
	v_add_f32_e64 v18, |v10|, v18
	v_sub_f32_e32 v17, v18, v17
	s_delay_alu instid0(VALU_DEP_1) | instskip(NEXT) | instid1(VALU_DEP_1)
	v_add_f32_e32 v17, 0x3102e308, v17
	v_add_f32_e32 v18, v11, v17
	s_delay_alu instid0(VALU_DEP_1) | instskip(NEXT) | instid1(VALU_DEP_1)
	v_sub_f32_e32 v11, v11, v18
	v_add_f32_e32 v11, v17, v11
	v_mul_f32_e32 v19, 0x3fb8aa3b, v18
	s_delay_alu instid0(VALU_DEP_1) | instskip(NEXT) | instid1(VALU_DEP_1)
	v_rndne_f32_e32 v19, v19
	v_fmac_f32_e32 v18, 0xbf317200, v19
	s_delay_alu instid0(VALU_DEP_1) | instskip(NEXT) | instid1(VALU_DEP_1)
	v_dual_mul_f32 v17, 0x35bfbc00, v19 :: v_dual_add_f32 v20, v11, v18
	v_dual_sub_f32 v21, v20, v17 :: v_dual_sub_f32 v18, v18, v20
	s_delay_alu instid0(VALU_DEP_1) | instskip(NEXT) | instid1(VALU_DEP_1)
	v_dual_sub_f32 v20, v20, v21 :: v_dual_add_f32 v11, v11, v18
	v_sub_f32_e32 v17, v20, v17
	s_delay_alu instid0(VALU_DEP_1) | instskip(SKIP_1) | instid1(VALU_DEP_2)
	v_add_f32_e32 v11, v11, v17
	v_mul_f32_e32 v17, 0x2ea39ef3, v19
	v_add_f32_e32 v18, v21, v11
	s_delay_alu instid0(VALU_DEP_1) | instskip(NEXT) | instid1(VALU_DEP_1)
	v_dual_sub_f32 v20, v18, v17 :: v_dual_sub_f32 v21, v21, v18
	v_dual_sub_f32 v18, v18, v20 :: v_dual_add_f32 v11, v11, v21
	s_delay_alu instid0(VALU_DEP_1) | instskip(NEXT) | instid1(VALU_DEP_1)
	v_sub_f32_e32 v17, v18, v17
	v_add_f32_e32 v11, v11, v17
	s_delay_alu instid0(VALU_DEP_1) | instskip(NEXT) | instid1(VALU_DEP_1)
	v_add_f32_e32 v17, v20, v11
	v_sub_f32_e32 v18, v20, v17
	s_delay_alu instid0(VALU_DEP_1) | instskip(NEXT) | instid1(VALU_DEP_1)
	v_dual_mul_f32 v20, v17, v17 :: v_dual_add_f32 v11, v11, v18
	v_fma_f32 v21, v17, v17, -v20
	s_delay_alu instid0(VALU_DEP_2) | instskip(NEXT) | instid1(VALU_DEP_1)
	v_add_f32_e32 v22, v11, v11
	v_fmac_f32_e32 v21, v17, v22
	s_delay_alu instid0(VALU_DEP_1) | instskip(NEXT) | instid1(VALU_DEP_1)
	v_add_f32_e32 v22, v20, v21
	v_sub_f32_e32 v20, v22, v20
	v_fmaak_f32 v18, s9, v17, 0x3c091de6
	s_delay_alu instid0(VALU_DEP_2) | instskip(NEXT) | instid1(VALU_DEP_2)
	v_sub_f32_e32 v20, v21, v20
	v_fmaak_f32 v18, v17, v18, 0x3d2aadcc
	s_delay_alu instid0(VALU_DEP_1) | instskip(NEXT) | instid1(VALU_DEP_1)
	v_fmaak_f32 v18, v17, v18, 0x3e2aaa47
	v_fmaak_f32 v18, v17, v18, 0x3efffffc
	s_delay_alu instid0(VALU_DEP_1) | instskip(NEXT) | instid1(VALU_DEP_1)
	v_mul_f32_e32 v23, v18, v22
	v_fma_f32 v21, v22, v18, -v23
	s_delay_alu instid0(VALU_DEP_1) | instskip(NEXT) | instid1(VALU_DEP_1)
	v_fmac_f32_e32 v21, v20, v18
	v_add_f32_e32 v18, v23, v21
	s_delay_alu instid0(VALU_DEP_1) | instskip(NEXT) | instid1(VALU_DEP_1)
	v_add_f32_e32 v20, v17, v18
	v_dual_sub_f32 v22, v18, v23 :: v_dual_sub_f32 v17, v20, v17
	s_delay_alu instid0(VALU_DEP_1) | instskip(NEXT) | instid1(VALU_DEP_2)
	v_sub_f32_e32 v21, v21, v22
	v_sub_f32_e32 v17, v18, v17
	s_delay_alu instid0(VALU_DEP_2) | instskip(NEXT) | instid1(VALU_DEP_1)
	v_add_f32_e32 v11, v11, v21
	v_add_f32_e32 v11, v11, v17
	s_delay_alu instid0(VALU_DEP_1) | instskip(NEXT) | instid1(VALU_DEP_1)
	v_add_f32_e32 v17, v20, v11
	v_add_f32_e32 v18, 1.0, v17
	s_delay_alu instid0(VALU_DEP_1) | instskip(NEXT) | instid1(VALU_DEP_1)
	v_dual_sub_f32 v20, v17, v20 :: v_dual_add_f32 v21, -1.0, v18
	v_sub_f32_e32 v11, v11, v20
	s_delay_alu instid0(VALU_DEP_2) | instskip(NEXT) | instid1(VALU_DEP_1)
	v_sub_f32_e32 v17, v17, v21
	v_add_f32_e32 v11, v11, v17
	v_cvt_i32_f32_e32 v17, v19
	s_delay_alu instid0(VALU_DEP_2) | instskip(NEXT) | instid1(VALU_DEP_1)
	v_add_f32_e32 v19, v18, v11
	v_ldexp_f32 v20, v19, v17
	v_sub_f32_e32 v18, v19, v18
	s_delay_alu instid0(VALU_DEP_2) | instskip(NEXT) | instid1(VALU_DEP_1)
	v_rcp_f32_e32 v21, v20
	v_sub_f32_e32 v11, v11, v18
	s_delay_alu instid0(VALU_DEP_1) | instskip(SKIP_2) | instid1(VALU_DEP_1)
	v_ldexp_f32 v11, v11, v17
	s_waitcnt_depctr 0xfff
	v_mul_f32_e32 v18, v20, v21
	v_fma_f32 v17, v21, v20, -v18
	s_delay_alu instid0(VALU_DEP_1) | instskip(NEXT) | instid1(VALU_DEP_1)
	v_fmac_f32_e32 v17, v21, v11
	v_add_f32_e32 v19, v18, v17
	s_delay_alu instid0(VALU_DEP_1) | instskip(SKIP_1) | instid1(VALU_DEP_2)
	v_sub_f32_e32 v22, 1.0, v19
	v_sub_f32_e32 v18, v19, v18
	v_sub_f32_e32 v23, 1.0, v22
	s_delay_alu instid0(VALU_DEP_1) | instskip(NEXT) | instid1(VALU_DEP_1)
	v_dual_sub_f32 v17, v18, v17 :: v_dual_sub_f32 v18, v23, v19
	v_add_f32_e32 v17, v17, v18
	s_delay_alu instid0(VALU_DEP_1) | instskip(NEXT) | instid1(VALU_DEP_1)
	v_add_f32_e32 v18, v22, v17
	v_mul_f32_e32 v19, v21, v18
	s_delay_alu instid0(VALU_DEP_1) | instskip(NEXT) | instid1(VALU_DEP_1)
	v_dual_sub_f32 v22, v22, v18 :: v_dual_mul_f32 v23, v20, v19
	v_fma_f32 v24, v19, v20, -v23
	s_delay_alu instid0(VALU_DEP_1) | instskip(NEXT) | instid1(VALU_DEP_1)
	v_fmac_f32_e32 v24, v19, v11
	v_add_f32_e32 v25, v23, v24
	s_delay_alu instid0(VALU_DEP_1) | instskip(NEXT) | instid1(VALU_DEP_1)
	v_sub_f32_e32 v26, v18, v25
	v_sub_f32_e32 v18, v18, v26
	s_delay_alu instid0(VALU_DEP_1) | instskip(SKIP_1) | instid1(VALU_DEP_1)
	v_dual_sub_f32 v18, v18, v25 :: v_dual_add_f32 v17, v17, v22
	v_sub_f32_e32 v22, v25, v23
	v_dual_add_f32 v17, v17, v18 :: v_dual_sub_f32 v22, v22, v24
	s_delay_alu instid0(VALU_DEP_1) | instskip(NEXT) | instid1(VALU_DEP_1)
	v_dual_add_f32 v18, v21, v19 :: v_dual_add_f32 v17, v22, v17
	v_sub_f32_e32 v22, v18, v21
	s_delay_alu instid0(VALU_DEP_2) | instskip(NEXT) | instid1(VALU_DEP_2)
	v_add_f32_e32 v17, v26, v17
	v_sub_f32_e32 v19, v19, v22
	s_delay_alu instid0(VALU_DEP_2) | instskip(NEXT) | instid1(VALU_DEP_1)
	v_mul_f32_e32 v17, v21, v17
	v_add_f32_e32 v17, v19, v17
	s_delay_alu instid0(VALU_DEP_1) | instskip(NEXT) | instid1(VALU_DEP_1)
	v_add_f32_e32 v19, v18, v17
	v_ldexp_f32 v21, v19, -2
	v_sub_f32_e32 v18, v19, v18
	s_delay_alu instid0(VALU_DEP_1) | instskip(NEXT) | instid1(VALU_DEP_1)
	v_dual_sub_f32 v22, v20, v21 :: v_dual_sub_f32 v17, v17, v18
	v_sub_f32_e32 v19, v20, v22
	s_delay_alu instid0(VALU_DEP_2) | instskip(NEXT) | instid1(VALU_DEP_2)
	v_ldexp_f32 v17, v17, -2
	v_sub_f32_e32 v18, v19, v21
	v_xor_b32_e32 v19, 0x80000000, v10
	s_delay_alu instid0(VALU_DEP_2) | instskip(NEXT) | instid1(VALU_DEP_1)
	v_add_f32_e32 v11, v11, v18
	v_sub_f32_e32 v11, v11, v17
	v_mul_f32_e32 v17, v8, v8
	s_delay_alu instid0(VALU_DEP_1) | instskip(NEXT) | instid1(VALU_DEP_1)
	v_dual_add_f32 v11, v22, v11 :: v_dual_fmaak_f32 v18, s8, v17, 0xbf039337
	v_cndmask_b32_e32 v11, 0x7f800000, v11, vcc_lo
	s_delay_alu instid0(VALU_DEP_2) | instskip(NEXT) | instid1(VALU_DEP_2)
	v_fmaak_f32 v18, v17, v18, 0x3f93f425
	v_cndmask_b32_e64 v10, v11, |v10|, s0
	s_delay_alu instid0(VALU_DEP_2) | instskip(SKIP_1) | instid1(VALU_DEP_2)
	v_rcp_f32_e32 v11, v18
	v_fmaak_f32 v18, s5, v17, 0x3ec54587
	v_bfi_b32 v10, 0x7fffffff, v10, v19
	s_delay_alu instid0(VALU_DEP_1) | instskip(SKIP_4) | instid1(VALU_DEP_3)
	v_fma_f32 v19, v10, v10, 1.0
	s_waitcnt_depctr 0xfff
	v_mul_f32_e32 v11, v18, v11
	v_mul_f32_e32 v18, 0x4f800000, v19
	v_cmp_gt_f32_e32 vcc_lo, 0xf800000, v19
	v_mul_f32_e32 v11, v17, v11
	s_delay_alu instid0(VALU_DEP_3) | instskip(NEXT) | instid1(VALU_DEP_2)
	v_cndmask_b32_e32 v17, v19, v18, vcc_lo
	v_fma_f32 v18, v11, v8, v8
	s_delay_alu instid0(VALU_DEP_2) | instskip(NEXT) | instid1(VALU_DEP_1)
	v_sqrt_f32_e32 v19, v17
	v_rcp_f32_e32 v20, v18
	v_sub_f32_e32 v21, v18, v8
	s_delay_alu instid0(VALU_DEP_1) | instskip(SKIP_4) | instid1(VALU_DEP_3)
	v_fma_f32 v8, v11, v8, -v21
	s_waitcnt_depctr 0xfff
	v_add_nc_u32_e32 v22, -1, v19
	v_fma_f32 v11, v18, -v20, 1.0
	v_add_nc_u32_e32 v21, 1, v19
	v_fma_f32 v23, -v22, v19, v17
	s_delay_alu instid0(VALU_DEP_3) | instskip(NEXT) | instid1(VALU_DEP_3)
	v_fma_f32 v8, v8, -v20, v11
	v_fma_f32 v11, -v21, v19, v17
	s_delay_alu instid0(VALU_DEP_3) | instskip(NEXT) | instid1(VALU_DEP_3)
	v_cmp_ge_f32_e64 s0, 0, v23
	v_fma_f32 v8, v8, -v20, -v20
	s_delay_alu instid0(VALU_DEP_2) | instskip(NEXT) | instid1(VALU_DEP_4)
	v_cndmask_b32_e64 v19, v19, v22, s0
	v_cmp_lt_f32_e64 s0, 0, v11
	s_delay_alu instid0(VALU_DEP_1) | instskip(SKIP_1) | instid1(VALU_DEP_1)
	v_cndmask_b32_e64 v11, v19, v21, s0
	v_cmp_eq_u32_e64 s0, 0, v6
	v_cndmask_b32_e64 v6, v8, v18, s0
	s_delay_alu instid0(VALU_DEP_3) | instskip(NEXT) | instid1(VALU_DEP_2)
	v_mul_f32_e32 v8, 0x37800000, v11
	v_xor3_b32 v6, v7, v6, v9
	s_delay_alu instid0(VALU_DEP_2) | instskip(SKIP_1) | instid1(VALU_DEP_3)
	v_cndmask_b32_e32 v7, v11, v8, vcc_lo
	v_cmp_class_f32_e64 vcc_lo, v17, 0x260
	v_fma_f32 v8, v6, v6, 1.0
	s_delay_alu instid0(VALU_DEP_3) | instskip(NEXT) | instid1(VALU_DEP_2)
	v_cndmask_b32_e32 v7, v7, v17, vcc_lo
	v_mul_f32_e32 v9, v10, v8
	s_delay_alu instid0(VALU_DEP_2) | instskip(NEXT) | instid1(VALU_DEP_2)
	v_mul_f32_e32 v7, v7, v8
	v_fma_f32 v8, v10, v9, 1.0
	s_delay_alu instid0(VALU_DEP_2) | instskip(NEXT) | instid1(VALU_DEP_2)
	v_mul_f32_e32 v7, v10, v7
	v_div_scale_f32 v10, null, v8, v8, v6
	s_delay_alu instid0(VALU_DEP_2) | instskip(SKIP_1) | instid1(VALU_DEP_3)
	v_div_scale_f32 v9, null, v8, v8, v7
	v_div_scale_f32 v20, vcc_lo, v7, v8, v7
	v_rcp_f32_e32 v17, v10
	s_delay_alu instid0(VALU_DEP_2) | instskip(SKIP_3) | instid1(VALU_DEP_2)
	v_rcp_f32_e32 v11, v9
	s_waitcnt_depctr 0xfff
	v_fma_f32 v19, -v10, v17, 1.0
	v_fma_f32 v18, -v9, v11, 1.0
	v_fmac_f32_e32 v17, v19, v17
	s_delay_alu instid0(VALU_DEP_2) | instskip(SKIP_1) | instid1(VALU_DEP_2)
	v_fmac_f32_e32 v11, v18, v11
	v_div_scale_f32 v18, s0, v6, v8, v6
	v_mul_f32_e32 v19, v20, v11
	s_delay_alu instid0(VALU_DEP_2) | instskip(NEXT) | instid1(VALU_DEP_2)
	v_mul_f32_e32 v21, v18, v17
	v_fma_f32 v22, -v9, v19, v20
	s_delay_alu instid0(VALU_DEP_2) | instskip(NEXT) | instid1(VALU_DEP_2)
	v_fma_f32 v23, -v10, v21, v18
	v_fmac_f32_e32 v19, v22, v11
	s_delay_alu instid0(VALU_DEP_2) | instskip(NEXT) | instid1(VALU_DEP_2)
	v_fmac_f32_e32 v21, v23, v17
	v_fma_f32 v9, -v9, v19, v20
	s_delay_alu instid0(VALU_DEP_2) | instskip(NEXT) | instid1(VALU_DEP_2)
	v_fma_f32 v10, -v10, v21, v18
	v_div_fmas_f32 v9, v9, v11, v19
	s_mov_b32 vcc_lo, s0
	s_delay_alu instid0(VALU_DEP_2) | instskip(NEXT) | instid1(VALU_DEP_2)
	v_div_fmas_f32 v10, v10, v17, v21
	v_div_fixup_f32 v17, v9, v8, v7
	s_delay_alu instid0(VALU_DEP_2)
	v_div_fixup_f32 v6, v10, v8, v6
                                        ; implicit-def: $vgpr7_vgpr8_vgpr9_vgpr10
                                        ; implicit-def: $vgpr7
.LBB101_226:                            ;   in Loop: Header=BB101_180 Depth=1
	s_and_not1_saveexec_b32 s16, s16
	s_cbranch_execz .LBB101_236
; %bb.227:                              ;   in Loop: Header=BB101_180 Depth=1
	v_lshrrev_b32_e32 v6, 23, v7
	v_cmp_ngt_f32_e64 s17, 0x48000000, |v9|
	v_and_or_b32 v8, v7, s4, 0x800000
                                        ; implicit-def: $vgpr17
	s_delay_alu instid0(VALU_DEP_3) | instskip(NEXT) | instid1(VALU_DEP_3)
	v_add_nc_u32_e32 v18, 0xffffff88, v6
                                        ; implicit-def: $vgpr6
	s_and_saveexec_b32 s0, s17
	s_delay_alu instid0(SALU_CYCLE_1)
	s_xor_b32 s18, exec_lo, s0
	s_cbranch_execz .LBB101_229
; %bb.228:                              ;   in Loop: Header=BB101_180 Depth=1
	v_mad_u64_u32 v[19:20], null, 0xfe5163ab, v8, 0
	v_cmp_lt_u32_e32 vcc_lo, 63, v18
	v_cndmask_b32_e64 v6, 0, 0xffffffc0, vcc_lo
	s_delay_alu instid0(VALU_DEP_1) | instskip(NEXT) | instid1(VALU_DEP_1)
	v_dual_mov_b32 v11, v20 :: v_dual_add_nc_u32 v6, v6, v18
	v_mad_u64_u32 v[20:21], null, 0x3c439041, v8, v[11:12]
	s_delay_alu instid0(VALU_DEP_2) | instskip(NEXT) | instid1(VALU_DEP_2)
	v_cmp_lt_u32_e64 s0, 31, v6
	v_mov_b32_e32 v11, v21
	s_delay_alu instid0(VALU_DEP_2) | instskip(NEXT) | instid1(VALU_DEP_2)
	v_cndmask_b32_e64 v17, 0, 0xffffffe0, s0
	v_mad_u64_u32 v[21:22], null, 0xdb629599, v8, v[11:12]
	s_delay_alu instid0(VALU_DEP_2) | instskip(NEXT) | instid1(VALU_DEP_1)
	v_add_nc_u32_e32 v6, v17, v6
	v_cmp_lt_u32_e64 s1, 31, v6
	s_delay_alu instid0(VALU_DEP_3) | instskip(NEXT) | instid1(VALU_DEP_4)
	v_mov_b32_e32 v11, v22
	v_cndmask_b32_e32 v19, v21, v19, vcc_lo
	s_delay_alu instid0(VALU_DEP_2) | instskip(NEXT) | instid1(VALU_DEP_1)
	v_mad_u64_u32 v[22:23], null, 0xf534ddc0, v8, v[11:12]
	v_mov_b32_e32 v11, v23
	s_delay_alu instid0(VALU_DEP_1) | instskip(NEXT) | instid1(VALU_DEP_1)
	v_mad_u64_u32 v[23:24], null, 0xfc2757d1, v8, v[11:12]
	v_mov_b32_e32 v11, v24
	s_delay_alu instid0(VALU_DEP_1) | instskip(NEXT) | instid1(VALU_DEP_1)
	v_mad_u64_u32 v[24:25], null, 0x4e441529, v8, v[11:12]
	v_mov_b32_e32 v11, v25
	s_delay_alu instid0(VALU_DEP_2) | instskip(NEXT) | instid1(VALU_DEP_2)
	v_cndmask_b32_e32 v17, v24, v22, vcc_lo
	v_mad_u64_u32 v[25:26], null, 0xa2f9836e, v8, v[11:12]
	v_cndmask_b32_e64 v11, 0, 0xffffffe0, s1
	s_delay_alu instid0(VALU_DEP_1) | instskip(NEXT) | instid1(VALU_DEP_3)
	v_dual_cndmask_b32 v25, v25, v23 :: v_dual_add_nc_u32 v6, v11, v6
	v_dual_cndmask_b32 v24, v26, v24 :: v_dual_cndmask_b32 v23, v23, v21
	v_cndmask_b32_e32 v11, v22, v20, vcc_lo
	s_delay_alu instid0(VALU_DEP_3) | instskip(NEXT) | instid1(VALU_DEP_4)
	v_cmp_eq_u32_e64 s2, 0, v6
	v_cndmask_b32_e64 v20, v25, v17, s0
	s_delay_alu instid0(VALU_DEP_4)
	v_cndmask_b32_e64 v22, v24, v25, s0
	v_cndmask_b32_e64 v17, v17, v23, s0
	v_sub_nc_u32_e32 v24, 32, v6
	v_cndmask_b32_e64 v23, v23, v11, s0
	v_cndmask_b32_e64 v11, v11, v19, s0
	;; [unrolled: 1-line block ×4, first 2 shown]
	s_delay_alu instid0(VALU_DEP_4) | instskip(NEXT) | instid1(VALU_DEP_4)
	v_cndmask_b32_e64 v17, v17, v23, s1
	v_cndmask_b32_e64 v11, v23, v11, s1
	s_delay_alu instid0(VALU_DEP_3) | instskip(NEXT) | instid1(VALU_DEP_3)
	v_alignbit_b32 v25, v22, v20, v24
	v_alignbit_b32 v26, v20, v17, v24
	s_delay_alu instid0(VALU_DEP_3) | instskip(NEXT) | instid1(VALU_DEP_3)
	v_alignbit_b32 v24, v17, v11, v24
	v_cndmask_b32_e64 v6, v25, v22, s2
	s_delay_alu instid0(VALU_DEP_3) | instskip(NEXT) | instid1(VALU_DEP_3)
	v_cndmask_b32_e64 v20, v26, v20, s2
	v_cndmask_b32_e64 v17, v24, v17, s2
	s_delay_alu instid0(VALU_DEP_3) | instskip(NEXT) | instid1(VALU_DEP_3)
	v_bfe_u32 v21, v6, 29, 1
	v_alignbit_b32 v19, v6, v20, 30
	s_delay_alu instid0(VALU_DEP_3) | instskip(SKIP_1) | instid1(VALU_DEP_4)
	v_alignbit_b32 v20, v20, v17, 30
	v_alignbit_b32 v11, v17, v11, 30
	v_sub_nc_u32_e32 v22, 0, v21
	s_delay_alu instid0(VALU_DEP_1) | instskip(SKIP_3) | instid1(VALU_DEP_4)
	v_xor_b32_e32 v23, v19, v22
	v_cmp_ne_u32_e32 vcc_lo, v19, v22
	v_xor_b32_e32 v17, v20, v22
	v_xor_b32_e32 v11, v11, v22
	v_clz_i32_u32_e32 v25, v23
	s_delay_alu instid0(VALU_DEP_1) | instskip(NEXT) | instid1(VALU_DEP_1)
	v_add_nc_u32_e32 v24, 1, v25
	v_cndmask_b32_e32 v19, 33, v24, vcc_lo
	s_delay_alu instid0(VALU_DEP_1) | instskip(NEXT) | instid1(VALU_DEP_1)
	v_sub_nc_u32_e32 v20, 32, v19
	v_alignbit_b32 v22, v23, v17, v20
	v_alignbit_b32 v11, v17, v11, v20
	v_lshrrev_b32_e32 v17, 29, v6
	s_delay_alu instid0(VALU_DEP_2) | instskip(NEXT) | instid1(VALU_DEP_2)
	v_alignbit_b32 v20, v22, v11, 9
	v_lshlrev_b32_e32 v17, 31, v17
	v_alignbit_b32 v22, v19, v22, 9
	s_delay_alu instid0(VALU_DEP_3) | instskip(NEXT) | instid1(VALU_DEP_2)
	v_clz_i32_u32_e32 v23, v20
	v_or_b32_e32 v22, v22, v17
	v_or_b32_e32 v17, 0x33800000, v17
	s_delay_alu instid0(VALU_DEP_3) | instskip(NEXT) | instid1(VALU_DEP_3)
	v_min_u32_e32 v23, 32, v23
	v_xor_b32_e32 v22, 1.0, v22
	s_delay_alu instid0(VALU_DEP_2) | instskip(SKIP_1) | instid1(VALU_DEP_3)
	v_sub_nc_u32_e32 v24, 31, v23
	v_add_lshl_u32 v19, v23, v19, 23
	v_mul_f32_e32 v23, 0x3fc90fda, v22
	s_delay_alu instid0(VALU_DEP_3) | instskip(NEXT) | instid1(VALU_DEP_3)
	v_alignbit_b32 v11, v20, v11, v24
	v_sub_nc_u32_e32 v17, v17, v19
	s_delay_alu instid0(VALU_DEP_3) | instskip(NEXT) | instid1(VALU_DEP_3)
	v_fma_f32 v19, 0x3fc90fda, v22, -v23
	v_lshrrev_b32_e32 v11, 9, v11
	s_delay_alu instid0(VALU_DEP_2) | instskip(NEXT) | instid1(VALU_DEP_2)
	v_fmac_f32_e32 v19, 0x33a22168, v22
	v_or_b32_e32 v11, v17, v11
	s_delay_alu instid0(VALU_DEP_1) | instskip(SKIP_1) | instid1(VALU_DEP_2)
	v_fmac_f32_e32 v19, 0x3fc90fda, v11
	v_lshrrev_b32_e32 v11, 30, v6
	v_add_f32_e32 v6, v23, v19
	s_delay_alu instid0(VALU_DEP_2)
	v_add_nc_u32_e32 v17, v21, v11
	s_and_not1_saveexec_b32 s0, s18
	s_branch .LBB101_230
.LBB101_229:                            ;   in Loop: Header=BB101_180 Depth=1
	s_and_not1_saveexec_b32 s0, s18
.LBB101_230:                            ;   in Loop: Header=BB101_180 Depth=1
	v_mul_f32_e64 v6, 0x3f22f983, |v9|
	s_delay_alu instid0(VALU_DEP_1) | instskip(NEXT) | instid1(VALU_DEP_1)
	v_rndne_f32_e32 v11, v6
	v_fma_f32 v6, 0xbfc90fda, v11, |v9|
	v_cvt_i32_f32_e32 v17, v11
	s_delay_alu instid0(VALU_DEP_2) | instskip(NEXT) | instid1(VALU_DEP_1)
	v_fmac_f32_e32 v6, 0xb3a22168, v11
	v_fmac_f32_e32 v6, 0xa7c234c4, v11
; %bb.231:                              ;   in Loop: Header=BB101_180 Depth=1
	s_or_b32 exec_lo, exec_lo, s0
                                        ; implicit-def: $vgpr19
                                        ; implicit-def: $vgpr11
	s_and_saveexec_b32 s0, s17
	s_delay_alu instid0(SALU_CYCLE_1)
	s_xor_b32 s17, exec_lo, s0
	s_cbranch_execz .LBB101_233
; %bb.232:                              ;   in Loop: Header=BB101_180 Depth=1
	v_mad_u64_u32 v[19:20], null, 0xfe5163ab, v8, 0
	v_cmp_lt_u32_e32 vcc_lo, 63, v18
	v_cndmask_b32_e64 v25, 0, 0xffffffc0, vcc_lo
	s_delay_alu instid0(VALU_DEP_1) | instskip(NEXT) | instid1(VALU_DEP_1)
	v_dual_mov_b32 v11, v20 :: v_dual_add_nc_u32 v18, v25, v18
	v_mad_u64_u32 v[20:21], null, 0x3c439041, v8, v[11:12]
	s_delay_alu instid0(VALU_DEP_2) | instskip(NEXT) | instid1(VALU_DEP_1)
	v_cmp_lt_u32_e64 s0, 31, v18
	v_cndmask_b32_e64 v26, 0, 0xffffffe0, s0
	s_delay_alu instid0(VALU_DEP_1) | instskip(NEXT) | instid1(VALU_DEP_1)
	v_dual_mov_b32 v11, v21 :: v_dual_add_nc_u32 v18, v26, v18
	v_mad_u64_u32 v[21:22], null, 0xdb629599, v8, v[11:12]
	s_delay_alu instid0(VALU_DEP_2) | instskip(NEXT) | instid1(VALU_DEP_2)
	v_cmp_lt_u32_e64 s1, 31, v18
	v_mov_b32_e32 v11, v22
	s_delay_alu instid0(VALU_DEP_3) | instskip(NEXT) | instid1(VALU_DEP_2)
	v_cndmask_b32_e32 v19, v21, v19, vcc_lo
	v_mad_u64_u32 v[22:23], null, 0xf534ddc0, v8, v[11:12]
	s_delay_alu instid0(VALU_DEP_1) | instskip(NEXT) | instid1(VALU_DEP_1)
	v_mov_b32_e32 v11, v23
	v_mad_u64_u32 v[23:24], null, 0xfc2757d1, v8, v[11:12]
	s_delay_alu instid0(VALU_DEP_1) | instskip(NEXT) | instid1(VALU_DEP_1)
	v_mov_b32_e32 v11, v24
	;; [unrolled: 3-line block ×3, first 2 shown]
	v_mad_u64_u32 v[25:26], null, 0xa2f9836e, v8, v[11:12]
	v_cndmask_b32_e64 v8, 0, 0xffffffe0, s1
	s_delay_alu instid0(VALU_DEP_4) | instskip(NEXT) | instid1(VALU_DEP_2)
	v_cndmask_b32_e32 v11, v24, v22, vcc_lo
	v_dual_cndmask_b32 v25, v25, v23 :: v_dual_add_nc_u32 v8, v8, v18
	s_delay_alu instid0(VALU_DEP_4) | instskip(SKIP_1) | instid1(VALU_DEP_3)
	v_dual_cndmask_b32 v24, v26, v24 :: v_dual_cndmask_b32 v23, v23, v21
	v_cndmask_b32_e32 v18, v22, v20, vcc_lo
	v_cmp_eq_u32_e64 s2, 0, v8
	s_delay_alu instid0(VALU_DEP_4) | instskip(NEXT) | instid1(VALU_DEP_4)
	v_cndmask_b32_e64 v20, v25, v11, s0
	v_cndmask_b32_e64 v22, v24, v25, s0
	;; [unrolled: 1-line block ×3, first 2 shown]
	v_sub_nc_u32_e32 v24, 32, v8
	v_cndmask_b32_e64 v23, v23, v18, s0
	v_cndmask_b32_e64 v18, v18, v19, s0
	;; [unrolled: 1-line block ×4, first 2 shown]
	s_delay_alu instid0(VALU_DEP_4) | instskip(NEXT) | instid1(VALU_DEP_4)
	v_cndmask_b32_e64 v11, v11, v23, s1
	v_cndmask_b32_e64 v18, v23, v18, s1
	s_delay_alu instid0(VALU_DEP_3) | instskip(NEXT) | instid1(VALU_DEP_3)
	v_alignbit_b32 v25, v22, v20, v24
	v_alignbit_b32 v26, v20, v11, v24
	s_delay_alu instid0(VALU_DEP_3) | instskip(NEXT) | instid1(VALU_DEP_3)
	v_alignbit_b32 v24, v11, v18, v24
	v_cndmask_b32_e64 v8, v25, v22, s2
	s_delay_alu instid0(VALU_DEP_3) | instskip(NEXT) | instid1(VALU_DEP_3)
	v_cndmask_b32_e64 v20, v26, v20, s2
	v_cndmask_b32_e64 v11, v24, v11, s2
	s_delay_alu instid0(VALU_DEP_3) | instskip(NEXT) | instid1(VALU_DEP_3)
	v_bfe_u32 v21, v8, 29, 1
	v_alignbit_b32 v19, v8, v20, 30
	s_delay_alu instid0(VALU_DEP_3) | instskip(SKIP_1) | instid1(VALU_DEP_4)
	v_alignbit_b32 v20, v20, v11, 30
	v_alignbit_b32 v11, v11, v18, 30
	v_sub_nc_u32_e32 v22, 0, v21
	s_delay_alu instid0(VALU_DEP_1) | instskip(SKIP_3) | instid1(VALU_DEP_4)
	v_xor_b32_e32 v23, v19, v22
	v_cmp_ne_u32_e32 vcc_lo, v19, v22
	v_xor_b32_e32 v18, v20, v22
	v_xor_b32_e32 v11, v11, v22
	v_clz_i32_u32_e32 v25, v23
	s_delay_alu instid0(VALU_DEP_1) | instskip(NEXT) | instid1(VALU_DEP_1)
	v_add_nc_u32_e32 v24, 1, v25
	v_cndmask_b32_e32 v19, 33, v24, vcc_lo
	s_delay_alu instid0(VALU_DEP_1) | instskip(NEXT) | instid1(VALU_DEP_1)
	v_sub_nc_u32_e32 v20, 32, v19
	v_alignbit_b32 v22, v23, v18, v20
	v_alignbit_b32 v11, v18, v11, v20
	v_lshrrev_b32_e32 v18, 29, v8
	v_lshrrev_b32_e32 v8, 30, v8
	s_delay_alu instid0(VALU_DEP_3) | instskip(NEXT) | instid1(VALU_DEP_3)
	v_alignbit_b32 v20, v22, v11, 9
	v_lshlrev_b32_e32 v18, 31, v18
	v_alignbit_b32 v22, v19, v22, 9
	s_delay_alu instid0(VALU_DEP_3) | instskip(NEXT) | instid1(VALU_DEP_2)
	v_clz_i32_u32_e32 v23, v20
	v_or_b32_e32 v22, v22, v18
	v_or_b32_e32 v18, 0x33800000, v18
	s_delay_alu instid0(VALU_DEP_3) | instskip(NEXT) | instid1(VALU_DEP_3)
	v_min_u32_e32 v23, 32, v23
	v_xor_b32_e32 v22, 1.0, v22
	s_delay_alu instid0(VALU_DEP_2) | instskip(SKIP_1) | instid1(VALU_DEP_3)
	v_sub_nc_u32_e32 v24, 31, v23
	v_add_lshl_u32 v19, v23, v19, 23
	v_mul_f32_e32 v23, 0x3fc90fda, v22
	s_delay_alu instid0(VALU_DEP_3) | instskip(NEXT) | instid1(VALU_DEP_3)
	v_alignbit_b32 v11, v20, v11, v24
	v_sub_nc_u32_e32 v18, v18, v19
	s_delay_alu instid0(VALU_DEP_3) | instskip(NEXT) | instid1(VALU_DEP_3)
	v_fma_f32 v19, 0x3fc90fda, v22, -v23
	v_lshrrev_b32_e32 v11, 9, v11
	s_delay_alu instid0(VALU_DEP_2) | instskip(NEXT) | instid1(VALU_DEP_2)
	v_fmac_f32_e32 v19, 0x33a22168, v22
	v_or_b32_e32 v11, v18, v11
	s_delay_alu instid0(VALU_DEP_1) | instskip(NEXT) | instid1(VALU_DEP_1)
	v_fmac_f32_e32 v19, 0x3fc90fda, v11
	v_add_f32_e32 v11, v23, v19
	v_add_nc_u32_e32 v19, v21, v8
	s_and_not1_saveexec_b32 s0, s17
	s_cbranch_execnz .LBB101_234
	s_branch .LBB101_235
.LBB101_233:                            ;   in Loop: Header=BB101_180 Depth=1
	s_and_not1_saveexec_b32 s0, s17
.LBB101_234:                            ;   in Loop: Header=BB101_180 Depth=1
	v_mul_f32_e64 v8, 0x3f22f983, |v9|
	s_delay_alu instid0(VALU_DEP_1) | instskip(NEXT) | instid1(VALU_DEP_1)
	v_rndne_f32_e32 v8, v8
	v_fma_f32 v11, 0xbfc90fda, v8, |v9|
	v_cvt_i32_f32_e32 v19, v8
	s_delay_alu instid0(VALU_DEP_2) | instskip(NEXT) | instid1(VALU_DEP_1)
	v_fmac_f32_e32 v11, 0xb3a22168, v8
	v_fmac_f32_e32 v11, 0xa7c234c4, v8
.LBB101_235:                            ;   in Loop: Header=BB101_180 Depth=1
	s_or_b32 exec_lo, exec_lo, s0
	v_mul_f32_e32 v8, v6, v6
	v_and_b32_e32 v18, 1, v17
	v_mul_f32_e64 v20, 0xbfb8aa3b, |v10|
	v_lshlrev_b32_e32 v17, 30, v17
	v_mul_f32_e32 v23, v11, v11
	v_fmaak_f32 v21, s12, v8, 0x3c0881c4
	v_fmaak_f32 v22, s13, v8, 0xbab64f3b
	v_rndne_f32_e32 v24, v20
	v_fma_f32 v25, 0xbfb8aa3b, |v10|, -v20
	v_cmp_eq_u32_e32 vcc_lo, 0, v18
	v_fmaak_f32 v26, s12, v23, 0x3c0881c4
	v_fmaak_f32 v21, v8, v21, 0xbe2aaa9d
	v_dual_sub_f32 v20, v20, v24 :: v_dual_fmaak_f32 v27, s13, v23, 0xbab64f3b
	v_fmaak_f32 v22, v8, v22, 0x3d2aabf7
	s_delay_alu instid0(VALU_DEP_3) | instskip(SKIP_3) | instid1(VALU_DEP_4)
	v_dual_fmaak_f32 v26, v23, v26, 0xbe2aaa9d :: v_dual_mul_f32 v21, v8, v21
	v_fma_f32 v25, 0xb2a5705f, |v10|, v25
	v_and_b32_e32 v17, 0x80000000, v17
	v_and_b32_e32 v18, 1, v19
	v_dual_fmac_f32 v6, v6, v21 :: v_dual_lshlrev_b32 v19, 30, v19
	v_fmaak_f32 v21, v23, v27, 0x3d2aabf7
	v_fmaak_f32 v22, v8, v22, 0xbf000004
	s_delay_alu instid0(VALU_DEP_1)
	v_fma_f32 v8, v8, v22, 1.0
	v_mul_f32_e32 v22, v23, v26
	v_add_f32_e32 v20, v20, v25
	v_xor_b32_e32 v7, v7, v17
	v_cvt_i32_f32_e32 v17, v24
	v_cndmask_b32_e32 v6, v8, v6, vcc_lo
	v_fmaak_f32 v8, v23, v21, 0xbf000004
	v_fmac_f32_e32 v11, v11, v22
	v_exp_f32_e32 v20, v20
	v_cmp_eq_u32_e32 vcc_lo, 0, v18
	v_xor3_b32 v6, v7, v6, v9
	v_fma_f32 v8, v23, v8, 1.0
	v_and_b32_e32 v9, 0x80000000, v19
	s_delay_alu instid0(VALU_DEP_2) | instskip(SKIP_1) | instid1(TRANS32_DEP_1)
	v_cndmask_b32_e64 v8, -v11, v8, vcc_lo
	v_cmp_nlt_f32_e64 vcc_lo, 0x42ce8ed0, |v10|
	v_ldexp_f32 v7, v20, v17
	s_delay_alu instid0(VALU_DEP_3) | instskip(NEXT) | instid1(VALU_DEP_2)
	v_xor_b32_e32 v8, v9, v8
	v_cndmask_b32_e32 v7, 0, v7, vcc_lo
	v_cmp_ngt_f32_e64 vcc_lo, 0xc2b17218, |v10|
	s_delay_alu instid0(VALU_DEP_2) | instskip(NEXT) | instid1(VALU_DEP_1)
	v_dual_mul_f32 v6, 4.0, v6 :: v_dual_cndmask_b32 v7, 0x7f800000, v7
	v_mul_f32_e32 v6, v6, v8
	v_xor_b32_e32 v8, 0x80000000, v10
	s_delay_alu instid0(VALU_DEP_2) | instskip(NEXT) | instid1(VALU_DEP_2)
	v_mul_f32_e32 v6, v7, v6
	v_bfi_b32 v17, 0x7fffffff, 1.0, v8
	s_delay_alu instid0(VALU_DEP_2)
	v_mul_f32_e32 v6, v7, v6
.LBB101_236:                            ;   in Loop: Header=BB101_180 Depth=1
	s_or_b32 exec_lo, exec_lo, s16
                                        ; implicit-def: $vgpr7_vgpr8_vgpr9_vgpr10
.LBB101_237:                            ;   in Loop: Header=BB101_180 Depth=1
	s_and_not1_saveexec_b32 s0, s15
; %bb.238:                              ;   in Loop: Header=BB101_180 Depth=1
	v_sub_f32_e32 v6, v9, v9
	s_delay_alu instid0(VALU_DEP_1)
	v_mov_b32_e32 v17, v6
; %bb.239:                              ;   in Loop: Header=BB101_180 Depth=1
	s_or_b32 exec_lo, exec_lo, s0
                                        ; implicit-def: $vgpr7_vgpr8_vgpr9_vgpr10
.LBB101_240:                            ;   in Loop: Header=BB101_180 Depth=1
	s_and_not1_saveexec_b32 s14, s14
	s_cbranch_execz .LBB101_256
; %bb.241:                              ;   in Loop: Header=BB101_180 Depth=1
	v_xor_b32_e32 v17, 0x80000000, v10
	s_mov_b32 s0, exec_lo
	s_delay_alu instid0(VALU_DEP_1) | instskip(NEXT) | instid1(VALU_DEP_1)
	v_and_b32_e32 v6, 0x7fffff, v17
	v_cmpx_ne_u32_e32 0, v6
	s_xor_b32 s0, exec_lo, s0
; %bb.242:                              ;   in Loop: Header=BB101_180 Depth=1
	v_mul_f32_e64 v6, v9, -v10
	v_cmp_eq_f32_e32 vcc_lo, 0, v9
	s_delay_alu instid0(VALU_DEP_2)
	v_cndmask_b32_e32 v6, v6, v9, vcc_lo
                                        ; implicit-def: $vgpr7_vgpr8_vgpr9_vgpr10
; %bb.243:                              ;   in Loop: Header=BB101_180 Depth=1
	s_and_not1_saveexec_b32 s15, s0
	s_cbranch_execz .LBB101_255
; %bb.244:                              ;   in Loop: Header=BB101_180 Depth=1
	s_mov_b32 s16, exec_lo
	v_cmpx_neq_f32_e64 0x7f800000, |v9|
	s_cbranch_execz .LBB101_254
; %bb.245:                              ;   in Loop: Header=BB101_180 Depth=1
	v_and_b32_e32 v6, 0x7fffffff, v9
	v_cmp_ngt_f32_e64 s17, 0x48000000, |v9|
                                        ; implicit-def: $vgpr8
	s_delay_alu instid0(VALU_DEP_2) | instskip(SKIP_1) | instid1(VALU_DEP_2)
	v_lshrrev_b32_e32 v7, 23, v6
	v_and_or_b32 v10, v6, s4, 0x800000
	v_add_nc_u32_e32 v18, 0xffffff88, v7
                                        ; implicit-def: $vgpr7
	s_delay_alu instid0(VALU_DEP_4) | instskip(NEXT) | instid1(SALU_CYCLE_1)
	s_and_saveexec_b32 s0, s17
	s_xor_b32 s18, exec_lo, s0
	s_cbranch_execz .LBB101_247
; %bb.246:                              ;   in Loop: Header=BB101_180 Depth=1
	v_mad_u64_u32 v[7:8], null, 0xfe5163ab, v10, 0
	v_cmp_lt_u32_e32 vcc_lo, 63, v18
	s_delay_alu instid0(VALU_DEP_2) | instskip(SKIP_1) | instid1(VALU_DEP_1)
	v_mov_b32_e32 v11, v8
	v_cndmask_b32_e64 v8, 0, 0xffffffc0, vcc_lo
	v_add_nc_u32_e32 v8, v8, v18
	s_delay_alu instid0(VALU_DEP_1) | instskip(NEXT) | instid1(VALU_DEP_1)
	v_cmp_lt_u32_e64 s0, 31, v8
	v_cndmask_b32_e64 v25, 0, 0xffffffe0, s0
	s_delay_alu instid0(VALU_DEP_1) | instskip(SKIP_1) | instid1(VALU_DEP_2)
	v_add_nc_u32_e32 v8, v25, v8
	v_mad_u64_u32 v[19:20], null, 0x3c439041, v10, v[11:12]
	v_cmp_lt_u32_e64 s1, 31, v8
	s_delay_alu instid0(VALU_DEP_2) | instskip(NEXT) | instid1(VALU_DEP_1)
	v_mov_b32_e32 v11, v20
	v_mad_u64_u32 v[20:21], null, 0xdb629599, v10, v[11:12]
	s_delay_alu instid0(VALU_DEP_1) | instskip(NEXT) | instid1(VALU_DEP_2)
	v_mov_b32_e32 v11, v21
	v_cndmask_b32_e32 v7, v20, v7, vcc_lo
	s_delay_alu instid0(VALU_DEP_2) | instskip(NEXT) | instid1(VALU_DEP_1)
	v_mad_u64_u32 v[21:22], null, 0xf534ddc0, v10, v[11:12]
	v_mov_b32_e32 v11, v22
	s_delay_alu instid0(VALU_DEP_1) | instskip(NEXT) | instid1(VALU_DEP_1)
	v_mad_u64_u32 v[22:23], null, 0xfc2757d1, v10, v[11:12]
	v_mov_b32_e32 v11, v23
	s_delay_alu instid0(VALU_DEP_1) | instskip(NEXT) | instid1(VALU_DEP_1)
	v_mad_u64_u32 v[23:24], null, 0x4e441529, v10, v[11:12]
	v_dual_mov_b32 v11, v24 :: v_dual_cndmask_b32 v26, v23, v21
	s_delay_alu instid0(VALU_DEP_1) | instskip(SKIP_1) | instid1(VALU_DEP_1)
	v_mad_u64_u32 v[24:25], null, 0xa2f9836e, v10, v[11:12]
	v_cndmask_b32_e64 v11, 0, 0xffffffe0, s1
	v_dual_cndmask_b32 v11, v21, v19 :: v_dual_add_nc_u32 v8, v11, v8
	s_delay_alu instid0(VALU_DEP_3) | instskip(SKIP_1) | instid1(VALU_DEP_3)
	v_dual_cndmask_b32 v24, v24, v22 :: v_dual_cndmask_b32 v23, v25, v23
	v_cndmask_b32_e32 v22, v22, v20, vcc_lo
	v_cmp_eq_u32_e64 s2, 0, v8
	s_delay_alu instid0(VALU_DEP_4) | instskip(NEXT) | instid1(VALU_DEP_4)
	v_cndmask_b32_e64 v7, v11, v7, s0
	v_cndmask_b32_e64 v19, v24, v26, s0
	;; [unrolled: 1-line block ×4, first 2 shown]
	v_sub_nc_u32_e32 v24, 32, v8
	v_cndmask_b32_e64 v22, v22, v11, s0
	s_delay_alu instid0(VALU_DEP_4) | instskip(NEXT) | instid1(VALU_DEP_4)
	v_cndmask_b32_e64 v21, v21, v19, s1
	v_cndmask_b32_e64 v19, v19, v23, s1
	s_delay_alu instid0(VALU_DEP_3) | instskip(SKIP_1) | instid1(VALU_DEP_3)
	v_cndmask_b32_e64 v23, v23, v22, s1
	v_cndmask_b32_e64 v7, v22, v7, s1
	v_alignbit_b32 v25, v21, v19, v24
	s_delay_alu instid0(VALU_DEP_3) | instskip(NEXT) | instid1(VALU_DEP_3)
	v_alignbit_b32 v26, v19, v23, v24
	v_alignbit_b32 v24, v23, v7, v24
	s_delay_alu instid0(VALU_DEP_3) | instskip(NEXT) | instid1(VALU_DEP_3)
	v_cndmask_b32_e64 v8, v25, v21, s2
	v_cndmask_b32_e64 v19, v26, v19, s2
	s_delay_alu instid0(VALU_DEP_3) | instskip(NEXT) | instid1(VALU_DEP_3)
	v_cndmask_b32_e64 v23, v24, v23, s2
	v_bfe_u32 v20, v8, 29, 1
	s_delay_alu instid0(VALU_DEP_3) | instskip(NEXT) | instid1(VALU_DEP_3)
	v_alignbit_b32 v11, v8, v19, 30
	v_alignbit_b32 v19, v19, v23, 30
	;; [unrolled: 1-line block ×3, first 2 shown]
	s_delay_alu instid0(VALU_DEP_4) | instskip(NEXT) | instid1(VALU_DEP_1)
	v_sub_nc_u32_e32 v21, 0, v20
	v_xor_b32_e32 v22, v11, v21
	v_cmp_ne_u32_e32 vcc_lo, v11, v21
	v_xor_b32_e32 v19, v19, v21
	v_xor_b32_e32 v7, v7, v21
	s_delay_alu instid0(VALU_DEP_4) | instskip(NEXT) | instid1(VALU_DEP_1)
	v_clz_i32_u32_e32 v25, v22
	v_add_nc_u32_e32 v24, 1, v25
	s_delay_alu instid0(VALU_DEP_1) | instskip(NEXT) | instid1(VALU_DEP_1)
	v_cndmask_b32_e32 v11, 33, v24, vcc_lo
	v_sub_nc_u32_e32 v23, 32, v11
	s_delay_alu instid0(VALU_DEP_1) | instskip(SKIP_3) | instid1(VALU_DEP_3)
	v_alignbit_b32 v21, v22, v19, v23
	v_alignbit_b32 v7, v19, v7, v23
	v_lshrrev_b32_e32 v19, 29, v8
	v_lshrrev_b32_e32 v8, 30, v8
	v_alignbit_b32 v22, v21, v7, 9
	s_delay_alu instid0(VALU_DEP_3) | instskip(SKIP_1) | instid1(VALU_DEP_4)
	v_lshlrev_b32_e32 v19, 31, v19
	v_alignbit_b32 v21, v11, v21, 9
	v_add_nc_u32_e32 v8, v20, v8
	s_delay_alu instid0(VALU_DEP_4) | instskip(NEXT) | instid1(VALU_DEP_3)
	v_clz_i32_u32_e32 v23, v22
	v_or_b32_e32 v21, v21, v19
	v_or_b32_e32 v19, 0x33800000, v19
	s_delay_alu instid0(VALU_DEP_3) | instskip(NEXT) | instid1(VALU_DEP_3)
	v_min_u32_e32 v23, 32, v23
	v_xor_b32_e32 v21, 1.0, v21
	s_delay_alu instid0(VALU_DEP_2) | instskip(SKIP_1) | instid1(VALU_DEP_3)
	v_sub_nc_u32_e32 v24, 31, v23
	v_add_lshl_u32 v11, v23, v11, 23
	v_mul_f32_e32 v23, 0x3fc90fda, v21
	s_delay_alu instid0(VALU_DEP_3) | instskip(NEXT) | instid1(VALU_DEP_3)
	v_alignbit_b32 v7, v22, v7, v24
	v_sub_nc_u32_e32 v11, v19, v11
	s_delay_alu instid0(VALU_DEP_3) | instskip(NEXT) | instid1(VALU_DEP_3)
	v_fma_f32 v19, 0x3fc90fda, v21, -v23
	v_lshrrev_b32_e32 v7, 9, v7
	s_delay_alu instid0(VALU_DEP_2) | instskip(NEXT) | instid1(VALU_DEP_2)
	v_fmac_f32_e32 v19, 0x33a22168, v21
	v_or_b32_e32 v7, v11, v7
	s_delay_alu instid0(VALU_DEP_1) | instskip(NEXT) | instid1(VALU_DEP_1)
	v_fmac_f32_e32 v19, 0x3fc90fda, v7
	v_add_f32_e32 v7, v23, v19
.LBB101_247:                            ;   in Loop: Header=BB101_180 Depth=1
	s_or_saveexec_b32 s0, s18
	v_mul_f32_e64 v11, 0x3f22f983, |v9|
	s_delay_alu instid0(VALU_DEP_1)
	v_rndne_f32_e32 v20, v11
	s_xor_b32 exec_lo, exec_lo, s0
; %bb.248:                              ;   in Loop: Header=BB101_180 Depth=1
	s_delay_alu instid0(VALU_DEP_1) | instskip(SKIP_1) | instid1(VALU_DEP_2)
	v_fma_f32 v7, 0xbfc90fda, v20, |v9|
	v_cvt_i32_f32_e32 v8, v20
	v_fmac_f32_e32 v7, 0xb3a22168, v20
	s_delay_alu instid0(VALU_DEP_1)
	v_fmac_f32_e32 v7, 0xa7c234c4, v20
; %bb.249:                              ;   in Loop: Header=BB101_180 Depth=1
	s_or_b32 exec_lo, exec_lo, s0
                                        ; implicit-def: $vgpr19
                                        ; implicit-def: $vgpr11
	s_and_saveexec_b32 s0, s17
	s_delay_alu instid0(SALU_CYCLE_1)
	s_xor_b32 s17, exec_lo, s0
	s_cbranch_execz .LBB101_251
; %bb.250:                              ;   in Loop: Header=BB101_180 Depth=1
	v_mad_u64_u32 v[19:20], null, 0xfe5163ab, v10, 0
	v_cmp_lt_u32_e32 vcc_lo, 63, v18
	v_cndmask_b32_e64 v25, 0, 0xffffffc0, vcc_lo
	s_delay_alu instid0(VALU_DEP_1) | instskip(NEXT) | instid1(VALU_DEP_1)
	v_dual_mov_b32 v11, v20 :: v_dual_add_nc_u32 v18, v25, v18
	v_mad_u64_u32 v[20:21], null, 0x3c439041, v10, v[11:12]
	s_delay_alu instid0(VALU_DEP_2) | instskip(NEXT) | instid1(VALU_DEP_1)
	v_cmp_lt_u32_e64 s0, 31, v18
	v_cndmask_b32_e64 v26, 0, 0xffffffe0, s0
	s_delay_alu instid0(VALU_DEP_1) | instskip(NEXT) | instid1(VALU_DEP_1)
	v_dual_mov_b32 v11, v21 :: v_dual_add_nc_u32 v18, v26, v18
	v_mad_u64_u32 v[21:22], null, 0xdb629599, v10, v[11:12]
	s_delay_alu instid0(VALU_DEP_2) | instskip(NEXT) | instid1(VALU_DEP_2)
	v_cmp_lt_u32_e64 s1, 31, v18
	v_mov_b32_e32 v11, v22
	s_delay_alu instid0(VALU_DEP_3) | instskip(NEXT) | instid1(VALU_DEP_2)
	v_cndmask_b32_e32 v19, v21, v19, vcc_lo
	v_mad_u64_u32 v[22:23], null, 0xf534ddc0, v10, v[11:12]
	s_delay_alu instid0(VALU_DEP_1) | instskip(NEXT) | instid1(VALU_DEP_1)
	v_mov_b32_e32 v11, v23
	v_mad_u64_u32 v[23:24], null, 0xfc2757d1, v10, v[11:12]
	s_delay_alu instid0(VALU_DEP_1) | instskip(NEXT) | instid1(VALU_DEP_1)
	v_mov_b32_e32 v11, v24
	;; [unrolled: 3-line block ×3, first 2 shown]
	v_mad_u64_u32 v[25:26], null, 0xa2f9836e, v10, v[11:12]
	v_cndmask_b32_e64 v10, 0, 0xffffffe0, s1
	s_delay_alu instid0(VALU_DEP_4) | instskip(NEXT) | instid1(VALU_DEP_2)
	v_cndmask_b32_e32 v11, v24, v22, vcc_lo
	v_add_nc_u32_e32 v10, v10, v18
	s_delay_alu instid0(VALU_DEP_4) | instskip(SKIP_1) | instid1(VALU_DEP_3)
	v_dual_cndmask_b32 v18, v22, v20 :: v_dual_cndmask_b32 v25, v25, v23
	v_dual_cndmask_b32 v24, v26, v24 :: v_dual_cndmask_b32 v23, v23, v21
	v_cmp_eq_u32_e64 s2, 0, v10
	s_delay_alu instid0(VALU_DEP_3) | instskip(NEXT) | instid1(VALU_DEP_3)
	v_cndmask_b32_e64 v20, v25, v11, s0
	v_cndmask_b32_e64 v22, v24, v25, s0
	s_delay_alu instid0(VALU_DEP_4)
	v_cndmask_b32_e64 v11, v11, v23, s0
	v_sub_nc_u32_e32 v24, 32, v10
	v_cndmask_b32_e64 v23, v23, v18, s0
	v_cndmask_b32_e64 v18, v18, v19, s0
	;; [unrolled: 1-line block ×4, first 2 shown]
	s_delay_alu instid0(VALU_DEP_4) | instskip(NEXT) | instid1(VALU_DEP_4)
	v_cndmask_b32_e64 v11, v11, v23, s1
	v_cndmask_b32_e64 v18, v23, v18, s1
	s_delay_alu instid0(VALU_DEP_3) | instskip(NEXT) | instid1(VALU_DEP_3)
	v_alignbit_b32 v25, v22, v20, v24
	v_alignbit_b32 v26, v20, v11, v24
	s_delay_alu instid0(VALU_DEP_3) | instskip(NEXT) | instid1(VALU_DEP_3)
	v_alignbit_b32 v24, v11, v18, v24
	v_cndmask_b32_e64 v10, v25, v22, s2
	s_delay_alu instid0(VALU_DEP_3) | instskip(NEXT) | instid1(VALU_DEP_3)
	v_cndmask_b32_e64 v20, v26, v20, s2
	v_cndmask_b32_e64 v11, v24, v11, s2
	s_delay_alu instid0(VALU_DEP_3) | instskip(NEXT) | instid1(VALU_DEP_3)
	v_bfe_u32 v21, v10, 29, 1
	v_alignbit_b32 v19, v10, v20, 30
	s_delay_alu instid0(VALU_DEP_3) | instskip(SKIP_1) | instid1(VALU_DEP_4)
	v_alignbit_b32 v20, v20, v11, 30
	v_alignbit_b32 v11, v11, v18, 30
	v_sub_nc_u32_e32 v22, 0, v21
	s_delay_alu instid0(VALU_DEP_1) | instskip(SKIP_3) | instid1(VALU_DEP_4)
	v_xor_b32_e32 v23, v19, v22
	v_cmp_ne_u32_e32 vcc_lo, v19, v22
	v_xor_b32_e32 v18, v20, v22
	v_xor_b32_e32 v11, v11, v22
	v_clz_i32_u32_e32 v25, v23
	s_delay_alu instid0(VALU_DEP_1) | instskip(NEXT) | instid1(VALU_DEP_1)
	v_add_nc_u32_e32 v24, 1, v25
	v_cndmask_b32_e32 v19, 33, v24, vcc_lo
	s_delay_alu instid0(VALU_DEP_1) | instskip(NEXT) | instid1(VALU_DEP_1)
	v_sub_nc_u32_e32 v20, 32, v19
	v_alignbit_b32 v22, v23, v18, v20
	v_alignbit_b32 v11, v18, v11, v20
	v_lshrrev_b32_e32 v18, 29, v10
	v_lshrrev_b32_e32 v10, 30, v10
	s_delay_alu instid0(VALU_DEP_3) | instskip(NEXT) | instid1(VALU_DEP_3)
	v_alignbit_b32 v20, v22, v11, 9
	v_lshlrev_b32_e32 v18, 31, v18
	v_alignbit_b32 v22, v19, v22, 9
	s_delay_alu instid0(VALU_DEP_3) | instskip(NEXT) | instid1(VALU_DEP_2)
	v_clz_i32_u32_e32 v23, v20
	v_or_b32_e32 v22, v22, v18
	v_or_b32_e32 v18, 0x33800000, v18
	s_delay_alu instid0(VALU_DEP_3) | instskip(NEXT) | instid1(VALU_DEP_3)
	v_min_u32_e32 v23, 32, v23
	v_xor_b32_e32 v22, 1.0, v22
	s_delay_alu instid0(VALU_DEP_2) | instskip(SKIP_1) | instid1(VALU_DEP_3)
	v_sub_nc_u32_e32 v24, 31, v23
	v_add_lshl_u32 v19, v23, v19, 23
	v_mul_f32_e32 v23, 0x3fc90fda, v22
	s_delay_alu instid0(VALU_DEP_3) | instskip(NEXT) | instid1(VALU_DEP_3)
	v_alignbit_b32 v11, v20, v11, v24
	v_sub_nc_u32_e32 v18, v18, v19
	s_delay_alu instid0(VALU_DEP_3) | instskip(NEXT) | instid1(VALU_DEP_3)
	v_fma_f32 v19, 0x3fc90fda, v22, -v23
                                        ; implicit-def: $vgpr20
	v_lshrrev_b32_e32 v11, 9, v11
	s_delay_alu instid0(VALU_DEP_2) | instskip(NEXT) | instid1(VALU_DEP_2)
	v_fmac_f32_e32 v19, 0x33a22168, v22
	v_or_b32_e32 v11, v18, v11
	s_delay_alu instid0(VALU_DEP_1) | instskip(NEXT) | instid1(VALU_DEP_1)
	v_fmac_f32_e32 v19, 0x3fc90fda, v11
	v_add_f32_e32 v11, v23, v19
	v_add_nc_u32_e32 v19, v21, v10
	s_and_not1_saveexec_b32 s0, s17
	s_cbranch_execnz .LBB101_252
	s_branch .LBB101_253
.LBB101_251:                            ;   in Loop: Header=BB101_180 Depth=1
	s_and_not1_saveexec_b32 s0, s17
.LBB101_252:                            ;   in Loop: Header=BB101_180 Depth=1
	v_fma_f32 v11, 0xbfc90fda, v20, |v9|
	v_cvt_i32_f32_e32 v19, v20
	s_delay_alu instid0(VALU_DEP_2) | instskip(NEXT) | instid1(VALU_DEP_1)
	v_fmac_f32_e32 v11, 0xb3a22168, v20
	v_fmac_f32_e32 v11, 0xa7c234c4, v20
.LBB101_253:                            ;   in Loop: Header=BB101_180 Depth=1
	s_or_b32 exec_lo, exec_lo, s0
	s_delay_alu instid0(VALU_DEP_1) | instskip(SKIP_3) | instid1(VALU_DEP_4)
	v_mul_f32_e32 v20, v11, v11
	v_mul_f32_e32 v10, v7, v7
	v_and_b32_e32 v23, 1, v19
	v_lshlrev_b32_e32 v19, 30, v19
	v_fmaak_f32 v25, s13, v20, 0xbab64f3b
	s_delay_alu instid0(VALU_DEP_4) | instskip(SKIP_1) | instid1(VALU_DEP_2)
	v_dual_fmaak_f32 v21, s12, v10, 0x3c0881c4 :: v_dual_and_b32 v18, 1, v8
	v_fmaak_f32 v22, s13, v10, 0xbab64f3b
	v_cmp_eq_u32_e32 vcc_lo, 0, v18
	s_delay_alu instid0(VALU_DEP_3) | instskip(SKIP_2) | instid1(VALU_DEP_3)
	v_fmaak_f32 v21, v10, v21, 0xbe2aaa9d
	v_fmaak_f32 v24, s12, v20, 0x3c0881c4
	v_dual_fmaak_f32 v25, v20, v25, 0x3d2aabf7 :: v_dual_lshlrev_b32 v8, 30, v8
	v_mul_f32_e32 v21, v10, v21
	v_fmaak_f32 v22, v10, v22, 0x3d2aabf7
	s_delay_alu instid0(VALU_DEP_4) | instskip(NEXT) | instid1(VALU_DEP_4)
	v_fmaak_f32 v24, v20, v24, 0xbe2aaa9d
	v_fmaak_f32 v25, v20, v25, 0xbf000004
	s_delay_alu instid0(VALU_DEP_3) | instskip(NEXT) | instid1(VALU_DEP_3)
	v_dual_fmac_f32 v7, v7, v21 :: v_dual_fmaak_f32 v22, v10, v22, 0xbf000004
	v_mul_f32_e32 v24, v20, v24
	s_delay_alu instid0(VALU_DEP_2) | instskip(SKIP_1) | instid1(VALU_DEP_3)
	v_fma_f32 v10, v10, v22, 1.0
	v_and_b32_e32 v8, 0x80000000, v8
	v_fmac_f32_e32 v11, v11, v24
	s_delay_alu instid0(VALU_DEP_3) | instskip(SKIP_1) | instid1(VALU_DEP_4)
	v_cndmask_b32_e32 v7, v10, v7, vcc_lo
	v_and_b32_e32 v10, 0x80000000, v19
	v_xor_b32_e32 v6, v6, v8
	v_fma_f32 v8, v20, v25, 1.0
	v_cmp_eq_u32_e32 vcc_lo, 0, v23
	s_delay_alu instid0(VALU_DEP_3) | instskip(NEXT) | instid1(VALU_DEP_3)
	v_xor3_b32 v6, v6, v7, v9
	v_cndmask_b32_e64 v8, -v11, v8, vcc_lo
	v_cmp_class_f32_e64 vcc_lo, v9, 0x1f8
	s_delay_alu instid0(VALU_DEP_2) | instskip(NEXT) | instid1(VALU_DEP_1)
	v_xor_b32_e32 v7, v10, v8
	v_mul_f32_e32 v6, v6, v7
	s_delay_alu instid0(VALU_DEP_1)
	v_cndmask_b32_e32 v9, 0x7fc00000, v6, vcc_lo
.LBB101_254:                            ;   in Loop: Header=BB101_180 Depth=1
	s_or_b32 exec_lo, exec_lo, s16
	v_add_nc_u32_e32 v17, -2.0, v17
	s_delay_alu instid0(VALU_DEP_2)
	v_bfi_b32 v6, 0x7fffffff, 0, v9
.LBB101_255:                            ;   in Loop: Header=BB101_180 Depth=1
	s_or_b32 exec_lo, exec_lo, s15
.LBB101_256:                            ;   in Loop: Header=BB101_180 Depth=1
	s_delay_alu instid0(SALU_CYCLE_1) | instskip(SKIP_3) | instid1(VALU_DEP_1)
	s_or_b32 exec_lo, exec_lo, s14
	s_waitcnt vmcnt(0)
	v_and_b32_e32 v10, 0x7fffffff, v1
                                        ; implicit-def: $vgpr8
                                        ; implicit-def: $vgpr7
	s_mov_b32 s0, exec_lo
	v_cmpx_gt_u32_e32 0x7f800000, v10
	s_xor_b32 s14, exec_lo, s0
	s_cbranch_execz .LBB101_278
; %bb.257:                              ;   in Loop: Header=BB101_180 Depth=1
	v_cmp_class_f32_e64 s0, v0, 0x1f8
                                        ; implicit-def: $vgpr8
                                        ; implicit-def: $vgpr7
	s_delay_alu instid0(VALU_DEP_1) | instskip(NEXT) | instid1(SALU_CYCLE_1)
	s_and_saveexec_b32 s1, s0
	s_xor_b32 s15, exec_lo, s1
	s_cbranch_execz .LBB101_275
; %bb.258:                              ;   in Loop: Header=BB101_180 Depth=1
	v_and_b32_e32 v9, 0x7fffffff, v0
                                        ; implicit-def: $vgpr8
                                        ; implicit-def: $vgpr7
	s_mov_b32 s0, exec_lo
	v_cmpx_gt_u32_e32 0x41300000, v10
	s_xor_b32 s16, exec_lo, s0
	s_cbranch_execz .LBB101_264
; %bb.259:                              ;   in Loop: Header=BB101_180 Depth=1
                                        ; implicit-def: $vgpr7
                                        ; implicit-def: $vgpr8
	s_mov_b32 s1, exec_lo
	v_cmpx_ngt_f32_e64 0x48000000, |v0|
	s_xor_b32 s17, exec_lo, s1
	s_cbranch_execz .LBB101_261
; %bb.260:                              ;   in Loop: Header=BB101_180 Depth=1
	v_and_or_b32 v10, v9, s4, 0x800000
	s_delay_alu instid0(VALU_DEP_1) | instskip(NEXT) | instid1(VALU_DEP_1)
	v_mad_u64_u32 v[7:8], null, 0xfe5163ab, v10, 0
	v_mov_b32_e32 v11, v8
	v_lshrrev_b32_e32 v8, 23, v9
	s_delay_alu instid0(VALU_DEP_1) | instskip(NEXT) | instid1(VALU_DEP_3)
	v_add_nc_u32_e32 v8, 0xffffff88, v8
	v_mad_u64_u32 v[18:19], null, 0x3c439041, v10, v[11:12]
	s_delay_alu instid0(VALU_DEP_2) | instskip(SKIP_1) | instid1(VALU_DEP_1)
	v_cmp_lt_u32_e32 vcc_lo, 63, v8
	v_cndmask_b32_e64 v23, 0, 0xffffffc0, vcc_lo
	v_add_nc_u32_e32 v8, v23, v8
	s_delay_alu instid0(VALU_DEP_1) | instskip(NEXT) | instid1(VALU_DEP_1)
	v_cmp_lt_u32_e64 s0, 31, v8
	v_cndmask_b32_e64 v24, 0, 0xffffffe0, s0
	s_delay_alu instid0(VALU_DEP_1) | instskip(NEXT) | instid1(VALU_DEP_1)
	v_dual_mov_b32 v11, v19 :: v_dual_add_nc_u32 v8, v24, v8
	v_mad_u64_u32 v[19:20], null, 0xdb629599, v10, v[11:12]
	s_delay_alu instid0(VALU_DEP_2) | instskip(NEXT) | instid1(VALU_DEP_2)
	v_cmp_lt_u32_e64 s1, 31, v8
	v_mov_b32_e32 v11, v20
	s_delay_alu instid0(VALU_DEP_3) | instskip(NEXT) | instid1(VALU_DEP_2)
	v_cndmask_b32_e32 v7, v19, v7, vcc_lo
	v_mad_u64_u32 v[20:21], null, 0xf534ddc0, v10, v[11:12]
	s_delay_alu instid0(VALU_DEP_1) | instskip(NEXT) | instid1(VALU_DEP_1)
	v_mov_b32_e32 v11, v21
	v_mad_u64_u32 v[21:22], null, 0xfc2757d1, v10, v[11:12]
	s_delay_alu instid0(VALU_DEP_1) | instskip(NEXT) | instid1(VALU_DEP_1)
	v_mov_b32_e32 v11, v22
	;; [unrolled: 3-line block ×3, first 2 shown]
	v_mad_u64_u32 v[23:24], null, 0xa2f9836e, v10, v[11:12]
	v_cndmask_b32_e64 v10, 0, 0xffffffe0, s1
	s_delay_alu instid0(VALU_DEP_4) | instskip(NEXT) | instid1(VALU_DEP_2)
	v_cndmask_b32_e32 v11, v22, v20, vcc_lo
	v_dual_cndmask_b32 v23, v23, v21 :: v_dual_add_nc_u32 v8, v10, v8
	s_delay_alu instid0(VALU_DEP_4) | instskip(SKIP_1) | instid1(VALU_DEP_3)
	v_dual_cndmask_b32 v22, v24, v22 :: v_dual_cndmask_b32 v21, v21, v19
	v_cndmask_b32_e32 v10, v20, v18, vcc_lo
	v_cmp_eq_u32_e64 s2, 0, v8
	s_delay_alu instid0(VALU_DEP_4) | instskip(NEXT) | instid1(VALU_DEP_4)
	v_cndmask_b32_e64 v18, v23, v11, s0
	v_cndmask_b32_e64 v20, v22, v23, s0
	;; [unrolled: 1-line block ×3, first 2 shown]
	v_sub_nc_u32_e32 v22, 32, v8
	v_cndmask_b32_e64 v21, v21, v10, s0
	v_cndmask_b32_e64 v7, v10, v7, s0
	;; [unrolled: 1-line block ×4, first 2 shown]
	s_delay_alu instid0(VALU_DEP_4) | instskip(NEXT) | instid1(VALU_DEP_4)
	v_cndmask_b32_e64 v11, v11, v21, s1
	v_cndmask_b32_e64 v7, v21, v7, s1
	s_delay_alu instid0(VALU_DEP_3) | instskip(NEXT) | instid1(VALU_DEP_3)
	v_alignbit_b32 v23, v20, v18, v22
	v_alignbit_b32 v24, v18, v11, v22
	s_delay_alu instid0(VALU_DEP_3) | instskip(NEXT) | instid1(VALU_DEP_3)
	v_alignbit_b32 v22, v11, v7, v22
	v_cndmask_b32_e64 v8, v23, v20, s2
	s_delay_alu instid0(VALU_DEP_3) | instskip(NEXT) | instid1(VALU_DEP_3)
	v_cndmask_b32_e64 v18, v24, v18, s2
	v_cndmask_b32_e64 v11, v22, v11, s2
	s_delay_alu instid0(VALU_DEP_3) | instskip(NEXT) | instid1(VALU_DEP_3)
	v_bfe_u32 v19, v8, 29, 1
	v_alignbit_b32 v10, v8, v18, 30
	s_delay_alu instid0(VALU_DEP_3) | instskip(SKIP_1) | instid1(VALU_DEP_4)
	v_alignbit_b32 v18, v18, v11, 30
	v_alignbit_b32 v7, v11, v7, 30
	v_sub_nc_u32_e32 v20, 0, v19
	s_delay_alu instid0(VALU_DEP_1) | instskip(SKIP_3) | instid1(VALU_DEP_4)
	v_xor_b32_e32 v21, v10, v20
	v_cmp_ne_u32_e32 vcc_lo, v10, v20
	v_xor_b32_e32 v11, v18, v20
	v_xor_b32_e32 v7, v7, v20
	v_clz_i32_u32_e32 v23, v21
	s_delay_alu instid0(VALU_DEP_1) | instskip(NEXT) | instid1(VALU_DEP_1)
	v_add_nc_u32_e32 v22, 1, v23
	v_cndmask_b32_e32 v10, 33, v22, vcc_lo
	s_delay_alu instid0(VALU_DEP_1) | instskip(NEXT) | instid1(VALU_DEP_1)
	v_sub_nc_u32_e32 v18, 32, v10
	v_alignbit_b32 v20, v21, v11, v18
	v_alignbit_b32 v7, v11, v7, v18
	v_lshrrev_b32_e32 v11, 29, v8
	s_delay_alu instid0(VALU_DEP_2) | instskip(NEXT) | instid1(VALU_DEP_2)
	v_alignbit_b32 v18, v20, v7, 9
	v_lshlrev_b32_e32 v11, 31, v11
	v_alignbit_b32 v20, v10, v20, 9
	s_delay_alu instid0(VALU_DEP_3) | instskip(NEXT) | instid1(VALU_DEP_2)
	v_clz_i32_u32_e32 v21, v18
	v_or_b32_e32 v20, v20, v11
	v_or_b32_e32 v11, 0x33800000, v11
	s_delay_alu instid0(VALU_DEP_3) | instskip(NEXT) | instid1(VALU_DEP_3)
	v_min_u32_e32 v21, 32, v21
	v_xor_b32_e32 v20, 1.0, v20
	s_delay_alu instid0(VALU_DEP_2) | instskip(SKIP_1) | instid1(VALU_DEP_3)
	v_sub_nc_u32_e32 v22, 31, v21
	v_add_lshl_u32 v10, v21, v10, 23
	v_mul_f32_e32 v21, 0x3fc90fda, v20
	s_delay_alu instid0(VALU_DEP_3) | instskip(NEXT) | instid1(VALU_DEP_3)
	v_alignbit_b32 v7, v18, v7, v22
	v_sub_nc_u32_e32 v10, v11, v10
	s_delay_alu instid0(VALU_DEP_3) | instskip(NEXT) | instid1(VALU_DEP_3)
	v_fma_f32 v11, 0x3fc90fda, v20, -v21
	v_lshrrev_b32_e32 v7, 9, v7
	s_delay_alu instid0(VALU_DEP_2) | instskip(NEXT) | instid1(VALU_DEP_2)
	v_fmac_f32_e32 v11, 0x33a22168, v20
	v_or_b32_e32 v7, v10, v7
	s_delay_alu instid0(VALU_DEP_1) | instskip(SKIP_1) | instid1(VALU_DEP_2)
	v_fmac_f32_e32 v11, 0x3fc90fda, v7
	v_lshrrev_b32_e32 v7, 30, v8
	v_add_f32_e32 v8, v21, v11
	s_delay_alu instid0(VALU_DEP_2)
	v_add_nc_u32_e32 v7, v19, v7
.LBB101_261:                            ;   in Loop: Header=BB101_180 Depth=1
	s_and_not1_saveexec_b32 s0, s17
; %bb.262:                              ;   in Loop: Header=BB101_180 Depth=1
	v_mul_f32_e64 v7, 0x3f22f983, |v0|
	s_delay_alu instid0(VALU_DEP_1) | instskip(NEXT) | instid1(VALU_DEP_1)
	v_rndne_f32_e32 v7, v7
	v_fma_f32 v8, 0xbfc90fda, v7, |v0|
	s_delay_alu instid0(VALU_DEP_1) | instskip(NEXT) | instid1(VALU_DEP_1)
	v_fmac_f32_e32 v8, 0xb3a22168, v7
	v_fmac_f32_e32 v8, 0xa7c234c4, v7
	v_cvt_i32_f32_e32 v7, v7
; %bb.263:                              ;   in Loop: Header=BB101_180 Depth=1
	s_or_b32 exec_lo, exec_lo, s0
	v_add_f32_e64 v10, 0xbf317218, |v1|
	v_cmp_nlt_f32_e64 vcc_lo, 0x42b2d4fc, |v1|
	v_cmp_gt_f32_e64 s0, 0x39800000, |v1|
	v_and_b32_e32 v7, 1, v7
	s_delay_alu instid0(VALU_DEP_4) | instskip(NEXT) | instid1(VALU_DEP_1)
	v_sub_f32_e64 v11, v10, |v1|
	v_dual_sub_f32 v18, v11, v10 :: v_dual_add_f32 v11, 0x3f317218, v11
	s_delay_alu instid0(VALU_DEP_1) | instskip(NEXT) | instid1(VALU_DEP_1)
	v_add_f32_e64 v18, |v1|, v18
	v_sub_f32_e32 v11, v18, v11
	s_delay_alu instid0(VALU_DEP_1) | instskip(NEXT) | instid1(VALU_DEP_1)
	v_add_f32_e32 v11, 0x3102e308, v11
	v_add_f32_e32 v18, v10, v11
	s_delay_alu instid0(VALU_DEP_1) | instskip(SKIP_1) | instid1(VALU_DEP_2)
	v_mul_f32_e32 v19, 0x3fb8aa3b, v18
	v_sub_f32_e32 v10, v10, v18
	v_rndne_f32_e32 v19, v19
	s_delay_alu instid0(VALU_DEP_1) | instskip(SKIP_1) | instid1(VALU_DEP_1)
	v_dual_add_f32 v10, v11, v10 :: v_dual_mul_f32 v11, 0x35bfbc00, v19
	v_fmac_f32_e32 v18, 0xbf317200, v19
	v_add_f32_e32 v20, v10, v18
	s_delay_alu instid0(VALU_DEP_1) | instskip(NEXT) | instid1(VALU_DEP_1)
	v_dual_sub_f32 v18, v18, v20 :: v_dual_sub_f32 v21, v20, v11
	v_add_f32_e32 v10, v10, v18
	s_delay_alu instid0(VALU_DEP_2) | instskip(NEXT) | instid1(VALU_DEP_1)
	v_sub_f32_e32 v20, v20, v21
	v_sub_f32_e32 v11, v20, v11
	s_delay_alu instid0(VALU_DEP_1) | instskip(NEXT) | instid1(VALU_DEP_1)
	v_add_f32_e32 v10, v10, v11
	v_dual_mul_f32 v11, 0x2ea39ef3, v19 :: v_dual_add_f32 v18, v21, v10
	s_delay_alu instid0(VALU_DEP_1) | instskip(NEXT) | instid1(VALU_DEP_1)
	v_dual_sub_f32 v21, v21, v18 :: v_dual_sub_f32 v20, v18, v11
	v_add_f32_e32 v10, v10, v21
	s_delay_alu instid0(VALU_DEP_2) | instskip(NEXT) | instid1(VALU_DEP_1)
	v_sub_f32_e32 v18, v18, v20
	v_sub_f32_e32 v11, v18, v11
	s_delay_alu instid0(VALU_DEP_1) | instskip(NEXT) | instid1(VALU_DEP_1)
	v_add_f32_e32 v10, v10, v11
	v_add_f32_e32 v11, v20, v10
	s_delay_alu instid0(VALU_DEP_1) | instskip(NEXT) | instid1(VALU_DEP_1)
	v_sub_f32_e32 v18, v20, v11
	v_add_f32_e32 v10, v10, v18
	v_fmaak_f32 v18, s9, v11, 0x3c091de6
	s_delay_alu instid0(VALU_DEP_2) | instskip(NEXT) | instid1(VALU_DEP_2)
	v_add_f32_e32 v22, v10, v10
	v_fmaak_f32 v18, v11, v18, 0x3d2aadcc
	s_delay_alu instid0(VALU_DEP_1) | instskip(NEXT) | instid1(VALU_DEP_1)
	v_fmaak_f32 v18, v11, v18, 0x3e2aaa47
	v_fmaak_f32 v18, v11, v18, 0x3efffffc
	v_mul_f32_e32 v20, v11, v11
	s_delay_alu instid0(VALU_DEP_1) | instskip(NEXT) | instid1(VALU_DEP_1)
	v_fma_f32 v21, v11, v11, -v20
	v_fmac_f32_e32 v21, v11, v22
	s_delay_alu instid0(VALU_DEP_1) | instskip(NEXT) | instid1(VALU_DEP_1)
	v_add_f32_e32 v22, v20, v21
	v_mul_f32_e32 v23, v18, v22
	v_sub_f32_e32 v20, v22, v20
	s_delay_alu instid0(VALU_DEP_1) | instskip(NEXT) | instid1(VALU_DEP_3)
	v_sub_f32_e32 v20, v21, v20
	v_fma_f32 v21, v22, v18, -v23
	s_delay_alu instid0(VALU_DEP_1) | instskip(NEXT) | instid1(VALU_DEP_1)
	v_fmac_f32_e32 v21, v20, v18
	v_add_f32_e32 v18, v23, v21
	s_delay_alu instid0(VALU_DEP_1) | instskip(SKIP_1) | instid1(VALU_DEP_2)
	v_add_f32_e32 v20, v11, v18
	v_sub_f32_e32 v22, v18, v23
	v_sub_f32_e32 v11, v20, v11
	s_delay_alu instid0(VALU_DEP_2) | instskip(NEXT) | instid1(VALU_DEP_2)
	v_sub_f32_e32 v21, v21, v22
	v_sub_f32_e32 v11, v18, v11
	s_delay_alu instid0(VALU_DEP_2) | instskip(NEXT) | instid1(VALU_DEP_1)
	v_add_f32_e32 v10, v10, v21
	v_add_f32_e32 v10, v10, v11
	s_delay_alu instid0(VALU_DEP_1) | instskip(NEXT) | instid1(VALU_DEP_1)
	v_add_f32_e32 v11, v20, v10
	v_add_f32_e32 v18, 1.0, v11
	s_delay_alu instid0(VALU_DEP_1) | instskip(NEXT) | instid1(VALU_DEP_1)
	v_dual_sub_f32 v20, v11, v20 :: v_dual_add_f32 v21, -1.0, v18
	v_dual_sub_f32 v10, v10, v20 :: v_dual_sub_f32 v11, v11, v21
	s_delay_alu instid0(VALU_DEP_1) | instskip(SKIP_1) | instid1(VALU_DEP_2)
	v_add_f32_e32 v10, v10, v11
	v_cvt_i32_f32_e32 v11, v19
	v_add_f32_e32 v19, v18, v10
	s_delay_alu instid0(VALU_DEP_1) | instskip(SKIP_1) | instid1(VALU_DEP_2)
	v_ldexp_f32 v20, v19, v11
	v_sub_f32_e32 v18, v19, v18
	v_rcp_f32_e32 v21, v20
	s_delay_alu instid0(VALU_DEP_1) | instskip(NEXT) | instid1(VALU_DEP_1)
	v_sub_f32_e32 v10, v10, v18
	v_ldexp_f32 v10, v10, v11
	s_waitcnt_depctr 0xfff
	v_mul_f32_e32 v18, v20, v21
	s_delay_alu instid0(VALU_DEP_1) | instskip(NEXT) | instid1(VALU_DEP_1)
	v_fma_f32 v11, v21, v20, -v18
	v_fmac_f32_e32 v11, v21, v10
	s_delay_alu instid0(VALU_DEP_1) | instskip(NEXT) | instid1(VALU_DEP_1)
	v_add_f32_e32 v19, v18, v11
	v_sub_f32_e32 v22, 1.0, v19
	v_sub_f32_e32 v18, v19, v18
	s_delay_alu instid0(VALU_DEP_2) | instskip(NEXT) | instid1(VALU_DEP_2)
	v_sub_f32_e32 v23, 1.0, v22
	v_sub_f32_e32 v11, v18, v11
	s_delay_alu instid0(VALU_DEP_2) | instskip(NEXT) | instid1(VALU_DEP_1)
	v_sub_f32_e32 v18, v23, v19
	v_add_f32_e32 v11, v11, v18
	s_delay_alu instid0(VALU_DEP_1) | instskip(NEXT) | instid1(VALU_DEP_1)
	v_add_f32_e32 v18, v22, v11
	v_mul_f32_e32 v19, v21, v18
	s_delay_alu instid0(VALU_DEP_1) | instskip(NEXT) | instid1(VALU_DEP_1)
	v_dual_sub_f32 v22, v22, v18 :: v_dual_mul_f32 v23, v20, v19
	v_add_f32_e32 v11, v11, v22
	s_delay_alu instid0(VALU_DEP_2) | instskip(NEXT) | instid1(VALU_DEP_1)
	v_fma_f32 v24, v19, v20, -v23
	v_fmac_f32_e32 v24, v19, v10
	s_delay_alu instid0(VALU_DEP_1) | instskip(NEXT) | instid1(VALU_DEP_1)
	v_add_f32_e32 v25, v23, v24
	v_sub_f32_e32 v26, v18, v25
	v_sub_f32_e32 v22, v25, v23
	s_delay_alu instid0(VALU_DEP_2) | instskip(NEXT) | instid1(VALU_DEP_2)
	v_sub_f32_e32 v18, v18, v26
	v_sub_f32_e32 v22, v22, v24
	s_delay_alu instid0(VALU_DEP_2) | instskip(NEXT) | instid1(VALU_DEP_1)
	v_sub_f32_e32 v18, v18, v25
	v_dual_add_f32 v11, v11, v18 :: v_dual_add_f32 v18, v21, v19
	s_delay_alu instid0(VALU_DEP_1) | instskip(NEXT) | instid1(VALU_DEP_2)
	v_add_f32_e32 v11, v22, v11
	v_sub_f32_e32 v22, v18, v21
	s_delay_alu instid0(VALU_DEP_2) | instskip(NEXT) | instid1(VALU_DEP_2)
	v_add_f32_e32 v11, v26, v11
	v_sub_f32_e32 v19, v19, v22
	s_delay_alu instid0(VALU_DEP_2) | instskip(NEXT) | instid1(VALU_DEP_1)
	v_mul_f32_e32 v11, v21, v11
	v_add_f32_e32 v11, v19, v11
	s_delay_alu instid0(VALU_DEP_1) | instskip(NEXT) | instid1(VALU_DEP_1)
	v_add_f32_e32 v19, v18, v11
	v_ldexp_f32 v21, v19, -2
	s_delay_alu instid0(VALU_DEP_1) | instskip(SKIP_1) | instid1(VALU_DEP_2)
	v_sub_f32_e32 v22, v20, v21
	v_sub_f32_e32 v18, v19, v18
	;; [unrolled: 1-line block ×3, first 2 shown]
	s_delay_alu instid0(VALU_DEP_2) | instskip(NEXT) | instid1(VALU_DEP_2)
	v_sub_f32_e32 v11, v11, v18
	v_sub_f32_e32 v18, v19, v21
	s_delay_alu instid0(VALU_DEP_2) | instskip(SKIP_1) | instid1(VALU_DEP_3)
	v_ldexp_f32 v11, v11, -2
	v_xor_b32_e32 v19, 0x80000000, v1
	v_add_f32_e32 v10, v10, v18
	s_delay_alu instid0(VALU_DEP_1) | instskip(NEXT) | instid1(VALU_DEP_1)
	v_dual_sub_f32 v10, v10, v11 :: v_dual_mul_f32 v11, v8, v8
	v_add_f32_e32 v10, v22, v10
	s_delay_alu instid0(VALU_DEP_2) | instskip(NEXT) | instid1(VALU_DEP_2)
	v_fmaak_f32 v18, s8, v11, 0xbf039337
	v_cndmask_b32_e32 v10, 0x7f800000, v10, vcc_lo
	s_delay_alu instid0(VALU_DEP_2) | instskip(NEXT) | instid1(VALU_DEP_2)
	v_fmaak_f32 v18, v11, v18, 0x3f93f425
	v_cndmask_b32_e64 v10, v10, |v1|, s0
	s_delay_alu instid0(VALU_DEP_2) | instskip(NEXT) | instid1(VALU_DEP_1)
	v_rcp_f32_e32 v18, v18
	v_bfi_b32 v10, 0x7fffffff, v10, v19
	v_fmaak_f32 v19, s5, v11, 0x3ec54587
	s_delay_alu instid0(VALU_DEP_2) | instskip(SKIP_3) | instid1(VALU_DEP_2)
	v_fma_f32 v20, v10, v10, 1.0
	s_waitcnt_depctr 0xfff
	v_dual_mul_f32 v18, v19, v18 :: v_dual_mul_f32 v19, 0x4f800000, v20
	v_cmp_gt_f32_e32 vcc_lo, 0xf800000, v20
	v_dual_mul_f32 v11, v11, v18 :: v_dual_cndmask_b32 v18, v20, v19
	s_delay_alu instid0(VALU_DEP_1) | instskip(NEXT) | instid1(VALU_DEP_2)
	v_fma_f32 v19, v11, v8, v8
	v_sqrt_f32_e32 v20, v18
	s_delay_alu instid0(VALU_DEP_1) | instskip(SKIP_1) | instid1(VALU_DEP_1)
	v_rcp_f32_e32 v21, v19
	v_sub_f32_e32 v22, v19, v8
	v_fma_f32 v8, v11, v8, -v22
	s_waitcnt_depctr 0xfff
	v_add_nc_u32_e32 v23, -1, v20
	v_fma_f32 v11, v19, -v21, 1.0
	v_add_nc_u32_e32 v22, 1, v20
	s_delay_alu instid0(VALU_DEP_3) | instskip(NEXT) | instid1(VALU_DEP_3)
	v_fma_f32 v24, -v23, v20, v18
	v_fma_f32 v8, v8, -v21, v11
	s_delay_alu instid0(VALU_DEP_3) | instskip(NEXT) | instid1(VALU_DEP_3)
	v_fma_f32 v11, -v22, v20, v18
	v_cmp_ge_f32_e64 s0, 0, v24
	s_delay_alu instid0(VALU_DEP_3) | instskip(NEXT) | instid1(VALU_DEP_2)
	v_fma_f32 v8, v8, -v21, -v21
	v_cndmask_b32_e64 v20, v20, v23, s0
	s_delay_alu instid0(VALU_DEP_4) | instskip(NEXT) | instid1(VALU_DEP_1)
	v_cmp_lt_f32_e64 s0, 0, v11
	v_cndmask_b32_e64 v11, v20, v22, s0
	v_cmp_eq_u32_e64 s0, 0, v7
	s_delay_alu instid0(VALU_DEP_1) | instskip(NEXT) | instid1(VALU_DEP_3)
	v_cndmask_b32_e64 v7, v8, v19, s0
	v_mul_f32_e32 v8, 0x37800000, v11
	s_delay_alu instid0(VALU_DEP_2) | instskip(NEXT) | instid1(VALU_DEP_2)
	v_xor3_b32 v9, v9, v7, v0
	v_cndmask_b32_e32 v7, v11, v8, vcc_lo
	v_cmp_class_f32_e64 vcc_lo, v18, 0x260
	s_delay_alu instid0(VALU_DEP_3) | instskip(NEXT) | instid1(VALU_DEP_3)
	v_fma_f32 v8, v9, v9, 1.0
	v_cndmask_b32_e32 v7, v7, v18, vcc_lo
	s_delay_alu instid0(VALU_DEP_2) | instskip(NEXT) | instid1(VALU_DEP_2)
	v_mul_f32_e32 v11, v10, v8
	v_mul_f32_e32 v7, v7, v8
	s_delay_alu instid0(VALU_DEP_2) | instskip(NEXT) | instid1(VALU_DEP_2)
	v_fma_f32 v8, v10, v11, 1.0
	v_mul_f32_e32 v7, v10, v7
	s_delay_alu instid0(VALU_DEP_2) | instskip(NEXT) | instid1(VALU_DEP_2)
	v_div_scale_f32 v11, null, v8, v8, v9
	v_div_scale_f32 v10, null, v8, v8, v7
	v_div_scale_f32 v22, vcc_lo, v7, v8, v7
	s_delay_alu instid0(VALU_DEP_3) | instskip(NEXT) | instid1(VALU_DEP_2)
	v_rcp_f32_e32 v19, v11
	v_rcp_f32_e32 v18, v10
	s_waitcnt_depctr 0xfff
	v_fma_f32 v21, -v11, v19, 1.0
	v_fma_f32 v20, -v10, v18, 1.0
	s_delay_alu instid0(VALU_DEP_1) | instskip(SKIP_1) | instid1(VALU_DEP_2)
	v_dual_fmac_f32 v19, v21, v19 :: v_dual_fmac_f32 v18, v20, v18
	v_div_scale_f32 v20, s0, v9, v8, v9
	v_mul_f32_e32 v21, v22, v18
	s_delay_alu instid0(VALU_DEP_2) | instskip(NEXT) | instid1(VALU_DEP_2)
	v_mul_f32_e32 v23, v20, v19
	v_fma_f32 v24, -v10, v21, v22
	s_delay_alu instid0(VALU_DEP_2) | instskip(NEXT) | instid1(VALU_DEP_2)
	v_fma_f32 v25, -v11, v23, v20
	v_fmac_f32_e32 v21, v24, v18
	s_delay_alu instid0(VALU_DEP_2) | instskip(NEXT) | instid1(VALU_DEP_2)
	v_fmac_f32_e32 v23, v25, v19
	v_fma_f32 v10, -v10, v21, v22
	s_delay_alu instid0(VALU_DEP_2) | instskip(NEXT) | instid1(VALU_DEP_2)
	v_fma_f32 v11, -v11, v23, v20
	v_div_fmas_f32 v10, v10, v18, v21
	s_mov_b32 vcc_lo, s0
	s_delay_alu instid0(VALU_DEP_2) | instskip(NEXT) | instid1(VALU_DEP_2)
	v_div_fmas_f32 v11, v11, v19, v23
	v_div_fixup_f32 v7, v10, v8, v7
	s_delay_alu instid0(VALU_DEP_2)
	v_div_fixup_f32 v8, v11, v8, v9
                                        ; implicit-def: $vgpr9
.LBB101_264:                            ;   in Loop: Header=BB101_180 Depth=1
	s_and_not1_saveexec_b32 s16, s16
	s_cbranch_execz .LBB101_274
; %bb.265:                              ;   in Loop: Header=BB101_180 Depth=1
	v_lshrrev_b32_e32 v7, 23, v9
	v_cmp_ngt_f32_e64 s17, 0x48000000, |v0|
	v_and_or_b32 v8, v9, s4, 0x800000
                                        ; implicit-def: $vgpr10
	s_delay_alu instid0(VALU_DEP_3) | instskip(NEXT) | instid1(VALU_DEP_3)
	v_add_nc_u32_e32 v18, 0xffffff88, v7
                                        ; implicit-def: $vgpr7
	s_and_saveexec_b32 s0, s17
	s_delay_alu instid0(SALU_CYCLE_1)
	s_xor_b32 s18, exec_lo, s0
	s_cbranch_execz .LBB101_267
; %bb.266:                              ;   in Loop: Header=BB101_180 Depth=1
	v_mad_u64_u32 v[10:11], null, 0xfe5163ab, v8, 0
	v_cmp_lt_u32_e32 vcc_lo, 63, v18
	v_cndmask_b32_e64 v7, 0, 0xffffffc0, vcc_lo
	s_delay_alu instid0(VALU_DEP_3) | instskip(NEXT) | instid1(VALU_DEP_2)
	v_mad_u64_u32 v[19:20], null, 0x3c439041, v8, v[11:12]
	v_add_nc_u32_e32 v7, v7, v18
	s_delay_alu instid0(VALU_DEP_2) | instskip(NEXT) | instid1(VALU_DEP_2)
	v_mov_b32_e32 v11, v20
	v_cmp_lt_u32_e64 s0, 31, v7
	s_delay_alu instid0(VALU_DEP_2) | instskip(NEXT) | instid1(VALU_DEP_2)
	v_mad_u64_u32 v[20:21], null, 0xdb629599, v8, v[11:12]
	v_cndmask_b32_e64 v25, 0, 0xffffffe0, s0
	s_delay_alu instid0(VALU_DEP_1) | instskip(NEXT) | instid1(VALU_DEP_3)
	v_add_nc_u32_e32 v7, v25, v7
	v_dual_mov_b32 v11, v21 :: v_dual_cndmask_b32 v10, v20, v10
	s_delay_alu instid0(VALU_DEP_2) | instskip(NEXT) | instid1(VALU_DEP_2)
	v_cmp_lt_u32_e64 s1, 31, v7
	v_mad_u64_u32 v[21:22], null, 0xf534ddc0, v8, v[11:12]
	s_delay_alu instid0(VALU_DEP_1) | instskip(NEXT) | instid1(VALU_DEP_1)
	v_mov_b32_e32 v11, v22
	v_mad_u64_u32 v[22:23], null, 0xfc2757d1, v8, v[11:12]
	s_delay_alu instid0(VALU_DEP_1) | instskip(NEXT) | instid1(VALU_DEP_1)
	v_mov_b32_e32 v11, v23
	v_mad_u64_u32 v[23:24], null, 0x4e441529, v8, v[11:12]
	s_delay_alu instid0(VALU_DEP_1) | instskip(NEXT) | instid1(VALU_DEP_1)
	v_dual_mov_b32 v11, v24 :: v_dual_cndmask_b32 v26, v23, v21
	v_mad_u64_u32 v[24:25], null, 0xa2f9836e, v8, v[11:12]
	v_cndmask_b32_e64 v11, 0, 0xffffffe0, s1
	s_delay_alu instid0(VALU_DEP_1) | instskip(NEXT) | instid1(VALU_DEP_3)
	v_dual_cndmask_b32 v24, v24, v22 :: v_dual_add_nc_u32 v7, v11, v7
	v_dual_cndmask_b32 v23, v25, v23 :: v_dual_cndmask_b32 v22, v22, v20
	v_cndmask_b32_e32 v11, v21, v19, vcc_lo
	s_delay_alu instid0(VALU_DEP_3) | instskip(NEXT) | instid1(VALU_DEP_4)
	v_cmp_eq_u32_e64 s2, 0, v7
	v_cndmask_b32_e64 v19, v24, v26, s0
	s_delay_alu instid0(VALU_DEP_4)
	v_cndmask_b32_e64 v21, v23, v24, s0
	v_cndmask_b32_e64 v23, v26, v22, s0
	v_sub_nc_u32_e32 v24, 32, v7
	v_cndmask_b32_e64 v22, v22, v11, s0
	v_cndmask_b32_e64 v10, v11, v10, s0
	;; [unrolled: 1-line block ×4, first 2 shown]
	s_delay_alu instid0(VALU_DEP_4) | instskip(NEXT) | instid1(VALU_DEP_4)
	v_cndmask_b32_e64 v23, v23, v22, s1
	v_cndmask_b32_e64 v10, v22, v10, s1
	s_delay_alu instid0(VALU_DEP_3) | instskip(NEXT) | instid1(VALU_DEP_3)
	v_alignbit_b32 v25, v21, v19, v24
	v_alignbit_b32 v26, v19, v23, v24
	s_delay_alu instid0(VALU_DEP_3) | instskip(NEXT) | instid1(VALU_DEP_3)
	v_alignbit_b32 v24, v23, v10, v24
	v_cndmask_b32_e64 v7, v25, v21, s2
	s_delay_alu instid0(VALU_DEP_3) | instskip(NEXT) | instid1(VALU_DEP_3)
	v_cndmask_b32_e64 v19, v26, v19, s2
	v_cndmask_b32_e64 v23, v24, v23, s2
	s_delay_alu instid0(VALU_DEP_3) | instskip(NEXT) | instid1(VALU_DEP_3)
	v_bfe_u32 v20, v7, 29, 1
	v_alignbit_b32 v11, v7, v19, 30
	s_delay_alu instid0(VALU_DEP_3) | instskip(SKIP_1) | instid1(VALU_DEP_4)
	v_alignbit_b32 v19, v19, v23, 30
	v_alignbit_b32 v10, v23, v10, 30
	v_sub_nc_u32_e32 v21, 0, v20
	s_delay_alu instid0(VALU_DEP_1) | instskip(SKIP_3) | instid1(VALU_DEP_4)
	v_xor_b32_e32 v22, v11, v21
	v_cmp_ne_u32_e32 vcc_lo, v11, v21
	v_xor_b32_e32 v19, v19, v21
	v_xor_b32_e32 v10, v10, v21
	v_clz_i32_u32_e32 v25, v22
	s_delay_alu instid0(VALU_DEP_1) | instskip(NEXT) | instid1(VALU_DEP_1)
	v_add_nc_u32_e32 v24, 1, v25
	v_cndmask_b32_e32 v11, 33, v24, vcc_lo
	s_delay_alu instid0(VALU_DEP_1) | instskip(NEXT) | instid1(VALU_DEP_1)
	v_sub_nc_u32_e32 v23, 32, v11
	v_alignbit_b32 v21, v22, v19, v23
	v_alignbit_b32 v10, v19, v10, v23
	v_lshrrev_b32_e32 v19, 29, v7
	s_delay_alu instid0(VALU_DEP_2) | instskip(NEXT) | instid1(VALU_DEP_2)
	v_alignbit_b32 v22, v21, v10, 9
	v_lshlrev_b32_e32 v19, 31, v19
	v_alignbit_b32 v21, v11, v21, 9
	s_delay_alu instid0(VALU_DEP_3) | instskip(NEXT) | instid1(VALU_DEP_2)
	v_clz_i32_u32_e32 v23, v22
	v_or_b32_e32 v21, v21, v19
	v_or_b32_e32 v19, 0x33800000, v19
	s_delay_alu instid0(VALU_DEP_3) | instskip(NEXT) | instid1(VALU_DEP_3)
	v_min_u32_e32 v23, 32, v23
	v_xor_b32_e32 v21, 1.0, v21
	s_delay_alu instid0(VALU_DEP_2) | instskip(SKIP_1) | instid1(VALU_DEP_3)
	v_sub_nc_u32_e32 v24, 31, v23
	v_add_lshl_u32 v11, v23, v11, 23
	v_mul_f32_e32 v23, 0x3fc90fda, v21
	s_delay_alu instid0(VALU_DEP_3) | instskip(NEXT) | instid1(VALU_DEP_3)
	v_alignbit_b32 v10, v22, v10, v24
	v_sub_nc_u32_e32 v11, v19, v11
	s_delay_alu instid0(VALU_DEP_3) | instskip(NEXT) | instid1(VALU_DEP_3)
	v_fma_f32 v19, 0x3fc90fda, v21, -v23
	v_lshrrev_b32_e32 v10, 9, v10
	s_delay_alu instid0(VALU_DEP_2) | instskip(NEXT) | instid1(VALU_DEP_2)
	v_fmac_f32_e32 v19, 0x33a22168, v21
	v_or_b32_e32 v10, v11, v10
	s_delay_alu instid0(VALU_DEP_1) | instskip(SKIP_1) | instid1(VALU_DEP_1)
	v_fmac_f32_e32 v19, 0x3fc90fda, v10
	v_lshrrev_b32_e32 v10, 30, v7
	v_dual_add_f32 v7, v23, v19 :: v_dual_add_nc_u32 v10, v20, v10
	s_and_not1_saveexec_b32 s0, s18
	s_branch .LBB101_268
.LBB101_267:                            ;   in Loop: Header=BB101_180 Depth=1
	s_and_not1_saveexec_b32 s0, s18
.LBB101_268:                            ;   in Loop: Header=BB101_180 Depth=1
	v_mul_f32_e64 v7, 0x3f22f983, |v0|
	s_delay_alu instid0(VALU_DEP_1) | instskip(NEXT) | instid1(VALU_DEP_1)
	v_rndne_f32_e32 v10, v7
	v_fma_f32 v7, 0xbfc90fda, v10, |v0|
	s_delay_alu instid0(VALU_DEP_1) | instskip(NEXT) | instid1(VALU_DEP_1)
	v_fmac_f32_e32 v7, 0xb3a22168, v10
	v_fmac_f32_e32 v7, 0xa7c234c4, v10
	v_cvt_i32_f32_e32 v10, v10
; %bb.269:                              ;   in Loop: Header=BB101_180 Depth=1
	s_or_b32 exec_lo, exec_lo, s0
                                        ; implicit-def: $vgpr19
                                        ; implicit-def: $vgpr11
	s_and_saveexec_b32 s0, s17
	s_delay_alu instid0(SALU_CYCLE_1)
	s_xor_b32 s17, exec_lo, s0
	s_cbranch_execz .LBB101_271
; %bb.270:                              ;   in Loop: Header=BB101_180 Depth=1
	v_mad_u64_u32 v[19:20], null, 0xfe5163ab, v8, 0
	v_cmp_lt_u32_e32 vcc_lo, 63, v18
	v_cndmask_b32_e64 v25, 0, 0xffffffc0, vcc_lo
	s_delay_alu instid0(VALU_DEP_1) | instskip(NEXT) | instid1(VALU_DEP_1)
	v_dual_mov_b32 v11, v20 :: v_dual_add_nc_u32 v18, v25, v18
	v_mad_u64_u32 v[20:21], null, 0x3c439041, v8, v[11:12]
	s_delay_alu instid0(VALU_DEP_2) | instskip(NEXT) | instid1(VALU_DEP_1)
	v_cmp_lt_u32_e64 s0, 31, v18
	v_cndmask_b32_e64 v26, 0, 0xffffffe0, s0
	s_delay_alu instid0(VALU_DEP_1) | instskip(NEXT) | instid1(VALU_DEP_1)
	v_dual_mov_b32 v11, v21 :: v_dual_add_nc_u32 v18, v26, v18
	v_mad_u64_u32 v[21:22], null, 0xdb629599, v8, v[11:12]
	s_delay_alu instid0(VALU_DEP_2) | instskip(NEXT) | instid1(VALU_DEP_2)
	v_cmp_lt_u32_e64 s1, 31, v18
	v_mov_b32_e32 v11, v22
	s_delay_alu instid0(VALU_DEP_3) | instskip(NEXT) | instid1(VALU_DEP_2)
	v_cndmask_b32_e32 v19, v21, v19, vcc_lo
	v_mad_u64_u32 v[22:23], null, 0xf534ddc0, v8, v[11:12]
	s_delay_alu instid0(VALU_DEP_1) | instskip(NEXT) | instid1(VALU_DEP_1)
	v_mov_b32_e32 v11, v23
	v_mad_u64_u32 v[23:24], null, 0xfc2757d1, v8, v[11:12]
	s_delay_alu instid0(VALU_DEP_1) | instskip(NEXT) | instid1(VALU_DEP_1)
	v_mov_b32_e32 v11, v24
	;; [unrolled: 3-line block ×3, first 2 shown]
	v_mad_u64_u32 v[25:26], null, 0xa2f9836e, v8, v[11:12]
	v_cndmask_b32_e64 v8, 0, 0xffffffe0, s1
	s_delay_alu instid0(VALU_DEP_4) | instskip(NEXT) | instid1(VALU_DEP_2)
	v_cndmask_b32_e32 v11, v24, v22, vcc_lo
	v_dual_cndmask_b32 v25, v25, v23 :: v_dual_add_nc_u32 v8, v8, v18
	s_delay_alu instid0(VALU_DEP_4) | instskip(SKIP_1) | instid1(VALU_DEP_3)
	v_dual_cndmask_b32 v24, v26, v24 :: v_dual_cndmask_b32 v23, v23, v21
	v_cndmask_b32_e32 v18, v22, v20, vcc_lo
	v_cmp_eq_u32_e64 s2, 0, v8
	s_delay_alu instid0(VALU_DEP_4) | instskip(NEXT) | instid1(VALU_DEP_4)
	v_cndmask_b32_e64 v20, v25, v11, s0
	v_cndmask_b32_e64 v22, v24, v25, s0
	v_cndmask_b32_e64 v11, v11, v23, s0
	v_sub_nc_u32_e32 v24, 32, v8
	v_cndmask_b32_e64 v23, v23, v18, s0
	v_cndmask_b32_e64 v18, v18, v19, s0
	;; [unrolled: 1-line block ×4, first 2 shown]
	s_delay_alu instid0(VALU_DEP_4) | instskip(NEXT) | instid1(VALU_DEP_4)
	v_cndmask_b32_e64 v11, v11, v23, s1
	v_cndmask_b32_e64 v18, v23, v18, s1
	s_delay_alu instid0(VALU_DEP_3) | instskip(NEXT) | instid1(VALU_DEP_3)
	v_alignbit_b32 v25, v22, v20, v24
	v_alignbit_b32 v26, v20, v11, v24
	s_delay_alu instid0(VALU_DEP_3) | instskip(NEXT) | instid1(VALU_DEP_3)
	v_alignbit_b32 v24, v11, v18, v24
	v_cndmask_b32_e64 v8, v25, v22, s2
	s_delay_alu instid0(VALU_DEP_3) | instskip(NEXT) | instid1(VALU_DEP_3)
	v_cndmask_b32_e64 v20, v26, v20, s2
	v_cndmask_b32_e64 v11, v24, v11, s2
	s_delay_alu instid0(VALU_DEP_3) | instskip(NEXT) | instid1(VALU_DEP_3)
	v_bfe_u32 v21, v8, 29, 1
	v_alignbit_b32 v19, v8, v20, 30
	s_delay_alu instid0(VALU_DEP_3) | instskip(SKIP_1) | instid1(VALU_DEP_4)
	v_alignbit_b32 v20, v20, v11, 30
	v_alignbit_b32 v11, v11, v18, 30
	v_sub_nc_u32_e32 v22, 0, v21
	s_delay_alu instid0(VALU_DEP_1) | instskip(SKIP_3) | instid1(VALU_DEP_4)
	v_xor_b32_e32 v23, v19, v22
	v_cmp_ne_u32_e32 vcc_lo, v19, v22
	v_xor_b32_e32 v18, v20, v22
	v_xor_b32_e32 v11, v11, v22
	v_clz_i32_u32_e32 v25, v23
	s_delay_alu instid0(VALU_DEP_1) | instskip(NEXT) | instid1(VALU_DEP_1)
	v_add_nc_u32_e32 v24, 1, v25
	v_cndmask_b32_e32 v19, 33, v24, vcc_lo
	s_delay_alu instid0(VALU_DEP_1) | instskip(NEXT) | instid1(VALU_DEP_1)
	v_sub_nc_u32_e32 v20, 32, v19
	v_alignbit_b32 v22, v23, v18, v20
	v_alignbit_b32 v11, v18, v11, v20
	v_lshrrev_b32_e32 v18, 29, v8
	v_lshrrev_b32_e32 v8, 30, v8
	s_delay_alu instid0(VALU_DEP_3) | instskip(NEXT) | instid1(VALU_DEP_3)
	v_alignbit_b32 v20, v22, v11, 9
	v_lshlrev_b32_e32 v18, 31, v18
	v_alignbit_b32 v22, v19, v22, 9
	s_delay_alu instid0(VALU_DEP_3) | instskip(NEXT) | instid1(VALU_DEP_2)
	v_clz_i32_u32_e32 v23, v20
	v_or_b32_e32 v22, v22, v18
	v_or_b32_e32 v18, 0x33800000, v18
	s_delay_alu instid0(VALU_DEP_3) | instskip(NEXT) | instid1(VALU_DEP_3)
	v_min_u32_e32 v23, 32, v23
	v_xor_b32_e32 v22, 1.0, v22
	s_delay_alu instid0(VALU_DEP_2) | instskip(SKIP_1) | instid1(VALU_DEP_3)
	v_sub_nc_u32_e32 v24, 31, v23
	v_add_lshl_u32 v19, v23, v19, 23
	v_mul_f32_e32 v23, 0x3fc90fda, v22
	s_delay_alu instid0(VALU_DEP_3) | instskip(NEXT) | instid1(VALU_DEP_3)
	v_alignbit_b32 v11, v20, v11, v24
	v_sub_nc_u32_e32 v18, v18, v19
	s_delay_alu instid0(VALU_DEP_3) | instskip(NEXT) | instid1(VALU_DEP_3)
	v_fma_f32 v19, 0x3fc90fda, v22, -v23
	v_lshrrev_b32_e32 v11, 9, v11
	s_delay_alu instid0(VALU_DEP_2) | instskip(NEXT) | instid1(VALU_DEP_2)
	v_fmac_f32_e32 v19, 0x33a22168, v22
	v_or_b32_e32 v11, v18, v11
	s_delay_alu instid0(VALU_DEP_1) | instskip(NEXT) | instid1(VALU_DEP_1)
	v_fmac_f32_e32 v19, 0x3fc90fda, v11
	v_add_f32_e32 v11, v23, v19
	v_add_nc_u32_e32 v19, v21, v8
	s_and_not1_saveexec_b32 s0, s17
	s_cbranch_execnz .LBB101_272
	s_branch .LBB101_273
.LBB101_271:                            ;   in Loop: Header=BB101_180 Depth=1
	s_and_not1_saveexec_b32 s0, s17
.LBB101_272:                            ;   in Loop: Header=BB101_180 Depth=1
	v_mul_f32_e64 v8, 0x3f22f983, |v0|
	s_delay_alu instid0(VALU_DEP_1) | instskip(NEXT) | instid1(VALU_DEP_1)
	v_rndne_f32_e32 v8, v8
	v_fma_f32 v11, 0xbfc90fda, v8, |v0|
	v_cvt_i32_f32_e32 v19, v8
	s_delay_alu instid0(VALU_DEP_2) | instskip(NEXT) | instid1(VALU_DEP_1)
	v_fmac_f32_e32 v11, 0xb3a22168, v8
	v_fmac_f32_e32 v11, 0xa7c234c4, v8
.LBB101_273:                            ;   in Loop: Header=BB101_180 Depth=1
	s_or_b32 exec_lo, exec_lo, s0
	v_mul_f32_e32 v8, v7, v7
	v_and_b32_e32 v18, 1, v10
	s_delay_alu instid0(VALU_DEP_3) | instskip(SKIP_1) | instid1(VALU_DEP_4)
	v_dual_mul_f32 v23, v11, v11 :: v_dual_lshlrev_b32 v10, 30, v10
	v_mul_f32_e64 v20, 0xbfb8aa3b, |v1|
	v_fmaak_f32 v21, s12, v8, 0x3c0881c4
	s_delay_alu instid0(VALU_DEP_4)
	v_cmp_eq_u32_e32 vcc_lo, 0, v18
	v_and_b32_e32 v18, 1, v19
	v_fmaak_f32 v26, s12, v23, 0x3c0881c4
	v_rndne_f32_e32 v24, v20
	v_fmaak_f32 v21, v8, v21, 0xbe2aaa9d
	v_fma_f32 v25, 0xbfb8aa3b, |v1|, -v20
	v_fmaak_f32 v27, s13, v23, 0xbab64f3b
	v_fmaak_f32 v26, v23, v26, 0xbe2aaa9d
	s_delay_alu instid0(VALU_DEP_4) | instskip(SKIP_2) | instid1(VALU_DEP_3)
	v_dual_fmaak_f32 v22, s13, v8, 0xbab64f3b :: v_dual_mul_f32 v21, v8, v21
	v_sub_f32_e32 v20, v20, v24
	v_fma_f32 v25, 0xb2a5705f, |v1|, v25
	v_dual_fmaak_f32 v22, v8, v22, 0x3d2aabf7 :: v_dual_lshlrev_b32 v19, 30, v19
	s_delay_alu instid0(VALU_DEP_4) | instskip(NEXT) | instid1(VALU_DEP_3)
	v_fmac_f32_e32 v7, v7, v21
	v_dual_fmaak_f32 v21, v23, v27, 0x3d2aabf7 :: v_dual_add_f32 v20, v20, v25
	s_delay_alu instid0(VALU_DEP_3) | instskip(NEXT) | instid1(VALU_DEP_2)
	v_fmaak_f32 v22, v8, v22, 0xbf000004
	v_exp_f32_e32 v20, v20
	s_delay_alu instid0(VALU_DEP_1) | instskip(NEXT) | instid1(VALU_DEP_1)
	v_fma_f32 v8, v8, v22, 1.0
	v_dual_cndmask_b32 v7, v8, v7 :: v_dual_and_b32 v10, 0x80000000, v10
	s_delay_alu instid0(VALU_DEP_1) | instskip(SKIP_3) | instid1(VALU_DEP_4)
	v_xor_b32_e32 v9, v9, v10
	v_fmaak_f32 v8, v23, v21, 0xbf000004
	v_cvt_i32_f32_e32 v10, v24
	v_cmp_eq_u32_e32 vcc_lo, 0, v18
	v_xor3_b32 v7, v9, v7, v0
	v_mul_f32_e32 v22, v23, v26
	v_fma_f32 v8, v23, v8, 1.0
	v_ldexp_f32 v9, v20, v10
	s_delay_alu instid0(VALU_DEP_4) | instskip(NEXT) | instid1(VALU_DEP_4)
	v_mul_f32_e32 v7, 4.0, v7
	v_dual_fmac_f32 v11, v11, v22 :: v_dual_and_b32 v10, 0x80000000, v19
	s_delay_alu instid0(VALU_DEP_1) | instskip(SKIP_1) | instid1(VALU_DEP_2)
	v_cndmask_b32_e64 v8, -v11, v8, vcc_lo
	v_cmp_nlt_f32_e64 vcc_lo, 0x42ce8ed0, |v1|
	v_xor_b32_e32 v8, v10, v8
	v_cndmask_b32_e32 v9, 0, v9, vcc_lo
	v_cmp_ngt_f32_e64 vcc_lo, 0xc2b17218, |v1|
	s_delay_alu instid0(VALU_DEP_3) | instskip(SKIP_1) | instid1(VALU_DEP_4)
	v_mul_f32_e32 v7, v7, v8
	v_xor_b32_e32 v8, 0x80000000, v1
	v_cndmask_b32_e32 v9, 0x7f800000, v9, vcc_lo
	s_delay_alu instid0(VALU_DEP_1) | instskip(NEXT) | instid1(VALU_DEP_3)
	v_mul_f32_e32 v10, v9, v7
	v_bfi_b32 v7, 0x7fffffff, 1.0, v8
	s_delay_alu instid0(VALU_DEP_2)
	v_mul_f32_e32 v8, v9, v10
.LBB101_274:                            ;   in Loop: Header=BB101_180 Depth=1
	s_or_b32 exec_lo, exec_lo, s16
.LBB101_275:                            ;   in Loop: Header=BB101_180 Depth=1
	s_and_not1_saveexec_b32 s0, s15
; %bb.276:                              ;   in Loop: Header=BB101_180 Depth=1
	v_sub_f32_e32 v8, v0, v0
	s_delay_alu instid0(VALU_DEP_1)
	v_mov_b32_e32 v7, v8
; %bb.277:                              ;   in Loop: Header=BB101_180 Depth=1
	s_or_b32 exec_lo, exec_lo, s0
.LBB101_278:                            ;   in Loop: Header=BB101_180 Depth=1
	s_and_not1_saveexec_b32 s14, s14
	s_cbranch_execz .LBB101_294
; %bb.279:                              ;   in Loop: Header=BB101_180 Depth=1
	v_xor_b32_e32 v7, 0x80000000, v1
	s_delay_alu instid0(VALU_DEP_1) | instskip(NEXT) | instid1(VALU_DEP_1)
	v_and_b32_e32 v8, 0x7fffff, v7
	v_cmp_ne_u32_e32 vcc_lo, 0, v8
                                        ; implicit-def: $vgpr8
	s_and_saveexec_b32 s0, vcc_lo
	s_delay_alu instid0(SALU_CYCLE_1)
	s_xor_b32 s0, exec_lo, s0
; %bb.280:                              ;   in Loop: Header=BB101_180 Depth=1
	v_mul_f32_e64 v1, v0, -v1
	v_cmp_eq_f32_e32 vcc_lo, 0, v0
	s_delay_alu instid0(VALU_DEP_2)
	v_cndmask_b32_e32 v8, v1, v0, vcc_lo
; %bb.281:                              ;   in Loop: Header=BB101_180 Depth=1
	s_and_not1_saveexec_b32 s15, s0
	s_cbranch_execz .LBB101_293
; %bb.282:                              ;   in Loop: Header=BB101_180 Depth=1
	s_mov_b32 s16, exec_lo
	v_cmpx_neq_f32_e64 0x7f800000, |v0|
	s_cbranch_execz .LBB101_292
; %bb.283:                              ;   in Loop: Header=BB101_180 Depth=1
	v_and_b32_e32 v1, 0x7fffffff, v0
	v_cmp_ngt_f32_e64 s17, 0x48000000, |v0|
                                        ; implicit-def: $vgpr9
	s_delay_alu instid0(VALU_DEP_2) | instskip(SKIP_1) | instid1(VALU_DEP_2)
	v_lshrrev_b32_e32 v8, 23, v1
	v_and_or_b32 v10, v1, s4, 0x800000
	v_add_nc_u32_e32 v18, 0xffffff88, v8
                                        ; implicit-def: $vgpr8
	s_delay_alu instid0(VALU_DEP_4) | instskip(NEXT) | instid1(SALU_CYCLE_1)
	s_and_saveexec_b32 s0, s17
	s_xor_b32 s18, exec_lo, s0
	s_cbranch_execz .LBB101_285
; %bb.284:                              ;   in Loop: Header=BB101_180 Depth=1
	v_mad_u64_u32 v[8:9], null, 0xfe5163ab, v10, 0
	v_cmp_lt_u32_e32 vcc_lo, 63, v18
	s_delay_alu instid0(VALU_DEP_2) | instskip(SKIP_1) | instid1(VALU_DEP_2)
	v_mov_b32_e32 v11, v9
	v_cndmask_b32_e64 v9, 0, 0xffffffc0, vcc_lo
	v_mad_u64_u32 v[19:20], null, 0x3c439041, v10, v[11:12]
	s_delay_alu instid0(VALU_DEP_2) | instskip(NEXT) | instid1(VALU_DEP_1)
	v_add_nc_u32_e32 v9, v9, v18
	v_cmp_lt_u32_e64 s0, 31, v9
	s_delay_alu instid0(VALU_DEP_3) | instskip(NEXT) | instid1(VALU_DEP_2)
	v_mov_b32_e32 v11, v20
	v_cndmask_b32_e64 v25, 0, 0xffffffe0, s0
	s_delay_alu instid0(VALU_DEP_2) | instskip(NEXT) | instid1(VALU_DEP_2)
	v_mad_u64_u32 v[20:21], null, 0xdb629599, v10, v[11:12]
	v_add_nc_u32_e32 v9, v25, v9
	s_delay_alu instid0(VALU_DEP_2) | instskip(NEXT) | instid1(VALU_DEP_2)
	v_mov_b32_e32 v11, v21
	v_cmp_lt_u32_e64 s1, 31, v9
	s_delay_alu instid0(VALU_DEP_4) | instskip(NEXT) | instid1(VALU_DEP_3)
	v_cndmask_b32_e32 v8, v20, v8, vcc_lo
	v_mad_u64_u32 v[21:22], null, 0xf534ddc0, v10, v[11:12]
	s_delay_alu instid0(VALU_DEP_1) | instskip(NEXT) | instid1(VALU_DEP_1)
	v_mov_b32_e32 v11, v22
	v_mad_u64_u32 v[22:23], null, 0xfc2757d1, v10, v[11:12]
	s_delay_alu instid0(VALU_DEP_1) | instskip(NEXT) | instid1(VALU_DEP_1)
	v_mov_b32_e32 v11, v23
	v_mad_u64_u32 v[23:24], null, 0x4e441529, v10, v[11:12]
	s_delay_alu instid0(VALU_DEP_1) | instskip(NEXT) | instid1(VALU_DEP_1)
	v_dual_mov_b32 v11, v24 :: v_dual_cndmask_b32 v26, v23, v21
	v_mad_u64_u32 v[24:25], null, 0xa2f9836e, v10, v[11:12]
	v_cndmask_b32_e64 v11, 0, 0xffffffe0, s1
	s_delay_alu instid0(VALU_DEP_1) | instskip(NEXT) | instid1(VALU_DEP_3)
	v_dual_cndmask_b32 v24, v24, v22 :: v_dual_add_nc_u32 v9, v11, v9
	v_dual_cndmask_b32 v23, v25, v23 :: v_dual_cndmask_b32 v22, v22, v20
	v_cndmask_b32_e32 v11, v21, v19, vcc_lo
	s_delay_alu instid0(VALU_DEP_3) | instskip(NEXT) | instid1(VALU_DEP_4)
	v_cmp_eq_u32_e64 s2, 0, v9
	v_cndmask_b32_e64 v19, v24, v26, s0
	s_delay_alu instid0(VALU_DEP_4)
	v_cndmask_b32_e64 v21, v23, v24, s0
	v_cndmask_b32_e64 v23, v26, v22, s0
	v_sub_nc_u32_e32 v24, 32, v9
	v_cndmask_b32_e64 v22, v22, v11, s0
	v_cndmask_b32_e64 v8, v11, v8, s0
	;; [unrolled: 1-line block ×4, first 2 shown]
	s_delay_alu instid0(VALU_DEP_4) | instskip(NEXT) | instid1(VALU_DEP_4)
	v_cndmask_b32_e64 v23, v23, v22, s1
	v_cndmask_b32_e64 v8, v22, v8, s1
	s_delay_alu instid0(VALU_DEP_3) | instskip(NEXT) | instid1(VALU_DEP_3)
	v_alignbit_b32 v25, v21, v19, v24
	v_alignbit_b32 v26, v19, v23, v24
	s_delay_alu instid0(VALU_DEP_3) | instskip(NEXT) | instid1(VALU_DEP_3)
	v_alignbit_b32 v24, v23, v8, v24
	v_cndmask_b32_e64 v9, v25, v21, s2
	s_delay_alu instid0(VALU_DEP_3) | instskip(NEXT) | instid1(VALU_DEP_3)
	v_cndmask_b32_e64 v19, v26, v19, s2
	v_cndmask_b32_e64 v23, v24, v23, s2
	s_delay_alu instid0(VALU_DEP_3) | instskip(NEXT) | instid1(VALU_DEP_3)
	v_bfe_u32 v20, v9, 29, 1
	v_alignbit_b32 v11, v9, v19, 30
	s_delay_alu instid0(VALU_DEP_3) | instskip(SKIP_1) | instid1(VALU_DEP_4)
	v_alignbit_b32 v19, v19, v23, 30
	v_alignbit_b32 v8, v23, v8, 30
	v_sub_nc_u32_e32 v21, 0, v20
	s_delay_alu instid0(VALU_DEP_1) | instskip(SKIP_3) | instid1(VALU_DEP_4)
	v_xor_b32_e32 v22, v11, v21
	v_cmp_ne_u32_e32 vcc_lo, v11, v21
	v_xor_b32_e32 v19, v19, v21
	v_xor_b32_e32 v8, v8, v21
	v_clz_i32_u32_e32 v25, v22
	s_delay_alu instid0(VALU_DEP_1) | instskip(NEXT) | instid1(VALU_DEP_1)
	v_add_nc_u32_e32 v24, 1, v25
	v_cndmask_b32_e32 v11, 33, v24, vcc_lo
	s_delay_alu instid0(VALU_DEP_1) | instskip(NEXT) | instid1(VALU_DEP_1)
	v_sub_nc_u32_e32 v23, 32, v11
	v_alignbit_b32 v21, v22, v19, v23
	v_alignbit_b32 v8, v19, v8, v23
	v_lshrrev_b32_e32 v19, 29, v9
	v_lshrrev_b32_e32 v9, 30, v9
	s_delay_alu instid0(VALU_DEP_3) | instskip(NEXT) | instid1(VALU_DEP_3)
	v_alignbit_b32 v22, v21, v8, 9
	v_lshlrev_b32_e32 v19, 31, v19
	v_alignbit_b32 v21, v11, v21, 9
	s_delay_alu instid0(VALU_DEP_4) | instskip(NEXT) | instid1(VALU_DEP_4)
	v_add_nc_u32_e32 v9, v20, v9
	v_clz_i32_u32_e32 v23, v22
	s_delay_alu instid0(VALU_DEP_3) | instskip(SKIP_1) | instid1(VALU_DEP_3)
	v_or_b32_e32 v21, v21, v19
	v_or_b32_e32 v19, 0x33800000, v19
	v_min_u32_e32 v23, 32, v23
	s_delay_alu instid0(VALU_DEP_3) | instskip(NEXT) | instid1(VALU_DEP_2)
	v_xor_b32_e32 v21, 1.0, v21
	v_sub_nc_u32_e32 v24, 31, v23
	v_add_lshl_u32 v11, v23, v11, 23
	s_delay_alu instid0(VALU_DEP_3) | instskip(NEXT) | instid1(VALU_DEP_3)
	v_mul_f32_e32 v23, 0x3fc90fda, v21
	v_alignbit_b32 v8, v22, v8, v24
	s_delay_alu instid0(VALU_DEP_3) | instskip(NEXT) | instid1(VALU_DEP_3)
	v_sub_nc_u32_e32 v11, v19, v11
	v_fma_f32 v19, 0x3fc90fda, v21, -v23
	s_delay_alu instid0(VALU_DEP_3) | instskip(NEXT) | instid1(VALU_DEP_2)
	v_lshrrev_b32_e32 v8, 9, v8
	v_fmac_f32_e32 v19, 0x33a22168, v21
	s_delay_alu instid0(VALU_DEP_2) | instskip(NEXT) | instid1(VALU_DEP_1)
	v_or_b32_e32 v8, v11, v8
	v_fmac_f32_e32 v19, 0x3fc90fda, v8
	s_delay_alu instid0(VALU_DEP_1)
	v_add_f32_e32 v8, v23, v19
.LBB101_285:                            ;   in Loop: Header=BB101_180 Depth=1
	s_or_saveexec_b32 s0, s18
	v_mul_f32_e64 v11, 0x3f22f983, |v0|
	s_delay_alu instid0(VALU_DEP_1)
	v_rndne_f32_e32 v20, v11
	s_xor_b32 exec_lo, exec_lo, s0
; %bb.286:                              ;   in Loop: Header=BB101_180 Depth=1
	s_delay_alu instid0(VALU_DEP_1) | instskip(SKIP_1) | instid1(VALU_DEP_2)
	v_fma_f32 v8, 0xbfc90fda, v20, |v0|
	v_cvt_i32_f32_e32 v9, v20
	v_fmac_f32_e32 v8, 0xb3a22168, v20
	s_delay_alu instid0(VALU_DEP_1)
	v_fmac_f32_e32 v8, 0xa7c234c4, v20
; %bb.287:                              ;   in Loop: Header=BB101_180 Depth=1
	s_or_b32 exec_lo, exec_lo, s0
                                        ; implicit-def: $vgpr19
                                        ; implicit-def: $vgpr11
	s_and_saveexec_b32 s0, s17
	s_delay_alu instid0(SALU_CYCLE_1)
	s_xor_b32 s17, exec_lo, s0
	s_cbranch_execz .LBB101_289
; %bb.288:                              ;   in Loop: Header=BB101_180 Depth=1
	v_mad_u64_u32 v[19:20], null, 0xfe5163ab, v10, 0
	v_cmp_lt_u32_e32 vcc_lo, 63, v18
	v_cndmask_b32_e64 v25, 0, 0xffffffc0, vcc_lo
	s_delay_alu instid0(VALU_DEP_1) | instskip(NEXT) | instid1(VALU_DEP_1)
	v_dual_mov_b32 v11, v20 :: v_dual_add_nc_u32 v18, v25, v18
	v_mad_u64_u32 v[20:21], null, 0x3c439041, v10, v[11:12]
	s_delay_alu instid0(VALU_DEP_2) | instskip(NEXT) | instid1(VALU_DEP_1)
	v_cmp_lt_u32_e64 s0, 31, v18
	v_cndmask_b32_e64 v26, 0, 0xffffffe0, s0
	s_delay_alu instid0(VALU_DEP_1) | instskip(NEXT) | instid1(VALU_DEP_1)
	v_dual_mov_b32 v11, v21 :: v_dual_add_nc_u32 v18, v26, v18
	v_mad_u64_u32 v[21:22], null, 0xdb629599, v10, v[11:12]
	s_delay_alu instid0(VALU_DEP_2) | instskip(NEXT) | instid1(VALU_DEP_2)
	v_cmp_lt_u32_e64 s1, 31, v18
	v_mov_b32_e32 v11, v22
	s_delay_alu instid0(VALU_DEP_3) | instskip(NEXT) | instid1(VALU_DEP_2)
	v_cndmask_b32_e32 v19, v21, v19, vcc_lo
	v_mad_u64_u32 v[22:23], null, 0xf534ddc0, v10, v[11:12]
	s_delay_alu instid0(VALU_DEP_1) | instskip(NEXT) | instid1(VALU_DEP_1)
	v_mov_b32_e32 v11, v23
	v_mad_u64_u32 v[23:24], null, 0xfc2757d1, v10, v[11:12]
	s_delay_alu instid0(VALU_DEP_1) | instskip(NEXT) | instid1(VALU_DEP_1)
	v_mov_b32_e32 v11, v24
	;; [unrolled: 3-line block ×3, first 2 shown]
	v_mad_u64_u32 v[25:26], null, 0xa2f9836e, v10, v[11:12]
	v_cndmask_b32_e64 v10, 0, 0xffffffe0, s1
	s_delay_alu instid0(VALU_DEP_4) | instskip(NEXT) | instid1(VALU_DEP_2)
	v_cndmask_b32_e32 v11, v24, v22, vcc_lo
	v_add_nc_u32_e32 v10, v10, v18
	s_delay_alu instid0(VALU_DEP_4) | instskip(SKIP_1) | instid1(VALU_DEP_3)
	v_dual_cndmask_b32 v18, v22, v20 :: v_dual_cndmask_b32 v25, v25, v23
	v_dual_cndmask_b32 v24, v26, v24 :: v_dual_cndmask_b32 v23, v23, v21
	v_cmp_eq_u32_e64 s2, 0, v10
	s_delay_alu instid0(VALU_DEP_3) | instskip(NEXT) | instid1(VALU_DEP_3)
	v_cndmask_b32_e64 v20, v25, v11, s0
	v_cndmask_b32_e64 v22, v24, v25, s0
	s_delay_alu instid0(VALU_DEP_4)
	v_cndmask_b32_e64 v11, v11, v23, s0
	v_sub_nc_u32_e32 v24, 32, v10
	v_cndmask_b32_e64 v23, v23, v18, s0
	v_cndmask_b32_e64 v18, v18, v19, s0
	;; [unrolled: 1-line block ×4, first 2 shown]
	s_delay_alu instid0(VALU_DEP_4) | instskip(NEXT) | instid1(VALU_DEP_4)
	v_cndmask_b32_e64 v11, v11, v23, s1
	v_cndmask_b32_e64 v18, v23, v18, s1
	s_delay_alu instid0(VALU_DEP_3) | instskip(NEXT) | instid1(VALU_DEP_3)
	v_alignbit_b32 v25, v22, v20, v24
	v_alignbit_b32 v26, v20, v11, v24
	s_delay_alu instid0(VALU_DEP_3) | instskip(NEXT) | instid1(VALU_DEP_3)
	v_alignbit_b32 v24, v11, v18, v24
	v_cndmask_b32_e64 v10, v25, v22, s2
	s_delay_alu instid0(VALU_DEP_3) | instskip(NEXT) | instid1(VALU_DEP_3)
	v_cndmask_b32_e64 v20, v26, v20, s2
	v_cndmask_b32_e64 v11, v24, v11, s2
	s_delay_alu instid0(VALU_DEP_3) | instskip(NEXT) | instid1(VALU_DEP_3)
	v_bfe_u32 v21, v10, 29, 1
	v_alignbit_b32 v19, v10, v20, 30
	s_delay_alu instid0(VALU_DEP_3) | instskip(SKIP_1) | instid1(VALU_DEP_4)
	v_alignbit_b32 v20, v20, v11, 30
	v_alignbit_b32 v11, v11, v18, 30
	v_sub_nc_u32_e32 v22, 0, v21
	s_delay_alu instid0(VALU_DEP_1) | instskip(SKIP_3) | instid1(VALU_DEP_4)
	v_xor_b32_e32 v23, v19, v22
	v_cmp_ne_u32_e32 vcc_lo, v19, v22
	v_xor_b32_e32 v18, v20, v22
	v_xor_b32_e32 v11, v11, v22
	v_clz_i32_u32_e32 v25, v23
	s_delay_alu instid0(VALU_DEP_1) | instskip(NEXT) | instid1(VALU_DEP_1)
	v_add_nc_u32_e32 v24, 1, v25
	v_cndmask_b32_e32 v19, 33, v24, vcc_lo
	s_delay_alu instid0(VALU_DEP_1) | instskip(NEXT) | instid1(VALU_DEP_1)
	v_sub_nc_u32_e32 v20, 32, v19
	v_alignbit_b32 v22, v23, v18, v20
	v_alignbit_b32 v11, v18, v11, v20
	v_lshrrev_b32_e32 v18, 29, v10
	v_lshrrev_b32_e32 v10, 30, v10
	s_delay_alu instid0(VALU_DEP_3) | instskip(NEXT) | instid1(VALU_DEP_3)
	v_alignbit_b32 v20, v22, v11, 9
	v_lshlrev_b32_e32 v18, 31, v18
	v_alignbit_b32 v22, v19, v22, 9
	s_delay_alu instid0(VALU_DEP_3) | instskip(NEXT) | instid1(VALU_DEP_2)
	v_clz_i32_u32_e32 v23, v20
	v_or_b32_e32 v22, v22, v18
	v_or_b32_e32 v18, 0x33800000, v18
	s_delay_alu instid0(VALU_DEP_3) | instskip(NEXT) | instid1(VALU_DEP_3)
	v_min_u32_e32 v23, 32, v23
	v_xor_b32_e32 v22, 1.0, v22
	s_delay_alu instid0(VALU_DEP_2) | instskip(SKIP_1) | instid1(VALU_DEP_3)
	v_sub_nc_u32_e32 v24, 31, v23
	v_add_lshl_u32 v19, v23, v19, 23
	v_mul_f32_e32 v23, 0x3fc90fda, v22
	s_delay_alu instid0(VALU_DEP_3) | instskip(NEXT) | instid1(VALU_DEP_3)
	v_alignbit_b32 v11, v20, v11, v24
	v_sub_nc_u32_e32 v18, v18, v19
	s_delay_alu instid0(VALU_DEP_3) | instskip(NEXT) | instid1(VALU_DEP_3)
	v_fma_f32 v19, 0x3fc90fda, v22, -v23
                                        ; implicit-def: $vgpr20
	v_lshrrev_b32_e32 v11, 9, v11
	s_delay_alu instid0(VALU_DEP_2) | instskip(NEXT) | instid1(VALU_DEP_2)
	v_fmac_f32_e32 v19, 0x33a22168, v22
	v_or_b32_e32 v11, v18, v11
	s_delay_alu instid0(VALU_DEP_1) | instskip(NEXT) | instid1(VALU_DEP_1)
	v_fmac_f32_e32 v19, 0x3fc90fda, v11
	v_add_f32_e32 v11, v23, v19
	v_add_nc_u32_e32 v19, v21, v10
	s_and_not1_saveexec_b32 s0, s17
	s_cbranch_execnz .LBB101_290
	s_branch .LBB101_291
.LBB101_289:                            ;   in Loop: Header=BB101_180 Depth=1
	s_and_not1_saveexec_b32 s0, s17
.LBB101_290:                            ;   in Loop: Header=BB101_180 Depth=1
	v_fma_f32 v11, 0xbfc90fda, v20, |v0|
	v_cvt_i32_f32_e32 v19, v20
	s_delay_alu instid0(VALU_DEP_2) | instskip(NEXT) | instid1(VALU_DEP_1)
	v_fmac_f32_e32 v11, 0xb3a22168, v20
	v_fmac_f32_e32 v11, 0xa7c234c4, v20
.LBB101_291:                            ;   in Loop: Header=BB101_180 Depth=1
	s_or_b32 exec_lo, exec_lo, s0
	v_mul_f32_e32 v10, v8, v8
	v_and_b32_e32 v18, 1, v9
	v_lshlrev_b32_e32 v9, 30, v9
	v_and_b32_e32 v23, 1, v19
	v_lshlrev_b32_e32 v19, 30, v19
	v_dual_fmaak_f32 v21, s12, v10, 0x3c0881c4 :: v_dual_mul_f32 v20, v11, v11
	v_fmaak_f32 v22, s13, v10, 0xbab64f3b
	v_cmp_eq_u32_e32 vcc_lo, 0, v18
	s_delay_alu instid0(VALU_DEP_3) | instskip(NEXT) | instid1(VALU_DEP_1)
	v_fmaak_f32 v21, v10, v21, 0xbe2aaa9d
	v_dual_fmaak_f32 v24, s12, v20, 0x3c0881c4 :: v_dual_mul_f32 v21, v10, v21
	s_delay_alu instid0(VALU_DEP_1) | instskip(SKIP_2) | instid1(VALU_DEP_4)
	v_fmaak_f32 v24, v20, v24, 0xbe2aaa9d
	v_fmaak_f32 v25, s13, v20, 0xbab64f3b
	v_and_b32_e32 v9, 0x80000000, v9
	v_fmac_f32_e32 v8, v8, v21
	s_delay_alu instid0(VALU_DEP_4) | instskip(NEXT) | instid1(VALU_DEP_4)
	v_mul_f32_e32 v24, v20, v24
	v_dual_fmaak_f32 v22, v10, v22, 0x3d2aabf7 :: v_dual_fmaak_f32 v25, v20, v25, 0x3d2aabf7
	s_delay_alu instid0(VALU_DEP_4) | instskip(NEXT) | instid1(VALU_DEP_2)
	v_xor_b32_e32 v1, v1, v9
	v_dual_fmac_f32 v11, v11, v24 :: v_dual_fmaak_f32 v22, v10, v22, 0xbf000004
	s_delay_alu instid0(VALU_DEP_3) | instskip(NEXT) | instid1(VALU_DEP_2)
	v_fmaak_f32 v25, v20, v25, 0xbf000004
	v_fma_f32 v10, v10, v22, 1.0
	s_delay_alu instid0(VALU_DEP_2) | instskip(NEXT) | instid1(VALU_DEP_2)
	v_fma_f32 v9, v20, v25, 1.0
	v_cndmask_b32_e32 v8, v10, v8, vcc_lo
	v_cmp_eq_u32_e32 vcc_lo, 0, v23
	v_and_b32_e32 v10, 0x80000000, v19
	s_delay_alu instid0(VALU_DEP_3) | instskip(SKIP_2) | instid1(VALU_DEP_2)
	v_xor3_b32 v1, v1, v8, v0
	v_cndmask_b32_e64 v9, -v11, v9, vcc_lo
	v_cmp_class_f32_e64 vcc_lo, v0, 0x1f8
	v_xor_b32_e32 v8, v10, v9
	s_delay_alu instid0(VALU_DEP_1) | instskip(NEXT) | instid1(VALU_DEP_1)
	v_mul_f32_e32 v1, v1, v8
	v_cndmask_b32_e32 v0, 0x7fc00000, v1, vcc_lo
.LBB101_292:                            ;   in Loop: Header=BB101_180 Depth=1
	s_or_b32 exec_lo, exec_lo, s16
	v_add_nc_u32_e32 v7, -2.0, v7
	s_delay_alu instid0(VALU_DEP_2)
	v_bfi_b32 v8, 0x7fffffff, 0, v0
.LBB101_293:                            ;   in Loop: Header=BB101_180 Depth=1
	s_or_b32 exec_lo, exec_lo, s15
.LBB101_294:                            ;   in Loop: Header=BB101_180 Depth=1
	s_delay_alu instid0(SALU_CYCLE_1) | instskip(SKIP_2) | instid1(VALU_DEP_1)
	s_or_b32 exec_lo, exec_lo, s14
	v_and_b32_e32 v1, 0x7fffffff, v3
                                        ; implicit-def: $vgpr18
	s_mov_b32 s0, exec_lo
	v_cmpx_gt_u32_e32 0x7f800000, v1
	s_xor_b32 s14, exec_lo, s0
	s_cbranch_execz .LBB101_316
; %bb.295:                              ;   in Loop: Header=BB101_180 Depth=1
	v_cmp_class_f32_e64 s0, v2, 0x1f8
                                        ; implicit-def: $vgpr18
	s_delay_alu instid0(VALU_DEP_1) | instskip(NEXT) | instid1(SALU_CYCLE_1)
	s_and_saveexec_b32 s1, s0
	s_xor_b32 s15, exec_lo, s1
	s_cbranch_execz .LBB101_313
; %bb.296:                              ;   in Loop: Header=BB101_180 Depth=1
	v_and_b32_e32 v0, 0x7fffffff, v2
                                        ; implicit-def: $vgpr18
	s_mov_b32 s0, exec_lo
	v_cmpx_gt_u32_e32 0x41300000, v1
	s_xor_b32 s16, exec_lo, s0
	s_cbranch_execz .LBB101_302
; %bb.297:                              ;   in Loop: Header=BB101_180 Depth=1
                                        ; implicit-def: $vgpr1
                                        ; implicit-def: $vgpr9
	s_mov_b32 s1, exec_lo
	v_cmpx_ngt_f32_e64 0x48000000, |v2|
	s_xor_b32 s17, exec_lo, s1
	s_cbranch_execz .LBB101_299
; %bb.298:                              ;   in Loop: Header=BB101_180 Depth=1
	v_and_or_b32 v1, v0, s4, 0x800000
	s_delay_alu instid0(VALU_DEP_1) | instskip(NEXT) | instid1(VALU_DEP_1)
	v_mad_u64_u32 v[9:10], null, 0xfe5163ab, v1, 0
	v_mov_b32_e32 v11, v10
	v_lshrrev_b32_e32 v10, 23, v0
	s_delay_alu instid0(VALU_DEP_1) | instskip(NEXT) | instid1(VALU_DEP_3)
	v_add_nc_u32_e32 v10, 0xffffff88, v10
	v_mad_u64_u32 v[18:19], null, 0x3c439041, v1, v[11:12]
	s_delay_alu instid0(VALU_DEP_2) | instskip(SKIP_1) | instid1(VALU_DEP_1)
	v_cmp_lt_u32_e32 vcc_lo, 63, v10
	v_cndmask_b32_e64 v23, 0, 0xffffffc0, vcc_lo
	v_add_nc_u32_e32 v10, v23, v10
	s_delay_alu instid0(VALU_DEP_1) | instskip(NEXT) | instid1(VALU_DEP_1)
	v_cmp_lt_u32_e64 s0, 31, v10
	v_cndmask_b32_e64 v24, 0, 0xffffffe0, s0
	s_delay_alu instid0(VALU_DEP_1) | instskip(NEXT) | instid1(VALU_DEP_1)
	v_dual_mov_b32 v11, v19 :: v_dual_add_nc_u32 v10, v24, v10
	v_mad_u64_u32 v[19:20], null, 0xdb629599, v1, v[11:12]
	s_delay_alu instid0(VALU_DEP_2) | instskip(NEXT) | instid1(VALU_DEP_2)
	v_cmp_lt_u32_e64 s1, 31, v10
	v_mov_b32_e32 v11, v20
	s_delay_alu instid0(VALU_DEP_3) | instskip(NEXT) | instid1(VALU_DEP_2)
	v_cndmask_b32_e32 v9, v19, v9, vcc_lo
	v_mad_u64_u32 v[20:21], null, 0xf534ddc0, v1, v[11:12]
	s_delay_alu instid0(VALU_DEP_1) | instskip(NEXT) | instid1(VALU_DEP_1)
	v_mov_b32_e32 v11, v21
	v_mad_u64_u32 v[21:22], null, 0xfc2757d1, v1, v[11:12]
	s_delay_alu instid0(VALU_DEP_1) | instskip(NEXT) | instid1(VALU_DEP_1)
	v_mov_b32_e32 v11, v22
	v_mad_u64_u32 v[22:23], null, 0x4e441529, v1, v[11:12]
	s_delay_alu instid0(VALU_DEP_1) | instskip(NEXT) | instid1(VALU_DEP_1)
	v_mov_b32_e32 v11, v23
	v_mad_u64_u32 v[23:24], null, 0xa2f9836e, v1, v[11:12]
	v_cndmask_b32_e64 v1, 0, 0xffffffe0, s1
	s_delay_alu instid0(VALU_DEP_4) | instskip(NEXT) | instid1(VALU_DEP_2)
	v_cndmask_b32_e32 v11, v22, v20, vcc_lo
	v_add_nc_u32_e32 v1, v1, v10
	s_delay_alu instid0(VALU_DEP_4) | instskip(SKIP_1) | instid1(VALU_DEP_3)
	v_dual_cndmask_b32 v23, v23, v21 :: v_dual_cndmask_b32 v22, v24, v22
	v_dual_cndmask_b32 v21, v21, v19 :: v_dual_cndmask_b32 v10, v20, v18
	v_cmp_eq_u32_e64 s2, 0, v1
	s_delay_alu instid0(VALU_DEP_3) | instskip(NEXT) | instid1(VALU_DEP_4)
	v_cndmask_b32_e64 v18, v23, v11, s0
	v_cndmask_b32_e64 v20, v22, v23, s0
	s_delay_alu instid0(VALU_DEP_4)
	v_cndmask_b32_e64 v11, v11, v21, s0
	v_sub_nc_u32_e32 v22, 32, v1
	v_cndmask_b32_e64 v21, v21, v10, s0
	v_cndmask_b32_e64 v9, v10, v9, s0
	;; [unrolled: 1-line block ×4, first 2 shown]
	s_delay_alu instid0(VALU_DEP_4) | instskip(NEXT) | instid1(VALU_DEP_4)
	v_cndmask_b32_e64 v11, v11, v21, s1
	v_cndmask_b32_e64 v9, v21, v9, s1
	s_delay_alu instid0(VALU_DEP_3) | instskip(NEXT) | instid1(VALU_DEP_3)
	v_alignbit_b32 v23, v20, v18, v22
	v_alignbit_b32 v24, v18, v11, v22
	s_delay_alu instid0(VALU_DEP_3) | instskip(NEXT) | instid1(VALU_DEP_3)
	v_alignbit_b32 v22, v11, v9, v22
	v_cndmask_b32_e64 v1, v23, v20, s2
	s_delay_alu instid0(VALU_DEP_3) | instskip(NEXT) | instid1(VALU_DEP_3)
	v_cndmask_b32_e64 v18, v24, v18, s2
	v_cndmask_b32_e64 v11, v22, v11, s2
	s_delay_alu instid0(VALU_DEP_3) | instskip(NEXT) | instid1(VALU_DEP_3)
	v_bfe_u32 v19, v1, 29, 1
	v_alignbit_b32 v10, v1, v18, 30
	s_delay_alu instid0(VALU_DEP_3) | instskip(SKIP_1) | instid1(VALU_DEP_4)
	v_alignbit_b32 v18, v18, v11, 30
	v_alignbit_b32 v9, v11, v9, 30
	v_sub_nc_u32_e32 v20, 0, v19
	s_delay_alu instid0(VALU_DEP_1) | instskip(SKIP_3) | instid1(VALU_DEP_4)
	v_xor_b32_e32 v21, v10, v20
	v_cmp_ne_u32_e32 vcc_lo, v10, v20
	v_xor_b32_e32 v11, v18, v20
	v_xor_b32_e32 v9, v9, v20
	v_clz_i32_u32_e32 v23, v21
	s_delay_alu instid0(VALU_DEP_1) | instskip(NEXT) | instid1(VALU_DEP_1)
	v_add_nc_u32_e32 v22, 1, v23
	v_cndmask_b32_e32 v10, 33, v22, vcc_lo
	s_delay_alu instid0(VALU_DEP_1) | instskip(NEXT) | instid1(VALU_DEP_1)
	v_sub_nc_u32_e32 v18, 32, v10
	v_alignbit_b32 v20, v21, v11, v18
	v_alignbit_b32 v9, v11, v9, v18
	v_lshrrev_b32_e32 v11, 29, v1
	v_lshrrev_b32_e32 v1, 30, v1
	s_delay_alu instid0(VALU_DEP_3) | instskip(NEXT) | instid1(VALU_DEP_3)
	v_alignbit_b32 v18, v20, v9, 9
	v_lshlrev_b32_e32 v11, 31, v11
	v_alignbit_b32 v20, v10, v20, 9
	s_delay_alu instid0(VALU_DEP_4) | instskip(NEXT) | instid1(VALU_DEP_4)
	v_add_nc_u32_e32 v1, v19, v1
	v_clz_i32_u32_e32 v21, v18
	s_delay_alu instid0(VALU_DEP_3) | instskip(SKIP_1) | instid1(VALU_DEP_3)
	v_or_b32_e32 v20, v20, v11
	v_or_b32_e32 v11, 0x33800000, v11
	v_min_u32_e32 v21, 32, v21
	s_delay_alu instid0(VALU_DEP_3) | instskip(NEXT) | instid1(VALU_DEP_2)
	v_xor_b32_e32 v20, 1.0, v20
	v_sub_nc_u32_e32 v22, 31, v21
	v_add_lshl_u32 v10, v21, v10, 23
	s_delay_alu instid0(VALU_DEP_3) | instskip(NEXT) | instid1(VALU_DEP_3)
	v_mul_f32_e32 v21, 0x3fc90fda, v20
	v_alignbit_b32 v9, v18, v9, v22
	s_delay_alu instid0(VALU_DEP_3) | instskip(NEXT) | instid1(VALU_DEP_3)
	v_sub_nc_u32_e32 v10, v11, v10
	v_fma_f32 v11, 0x3fc90fda, v20, -v21
	s_delay_alu instid0(VALU_DEP_3) | instskip(NEXT) | instid1(VALU_DEP_2)
	v_lshrrev_b32_e32 v9, 9, v9
	v_fmac_f32_e32 v11, 0x33a22168, v20
	s_delay_alu instid0(VALU_DEP_2) | instskip(NEXT) | instid1(VALU_DEP_1)
	v_or_b32_e32 v9, v10, v9
	v_fmac_f32_e32 v11, 0x3fc90fda, v9
	s_delay_alu instid0(VALU_DEP_1)
	v_add_f32_e32 v9, v21, v11
.LBB101_299:                            ;   in Loop: Header=BB101_180 Depth=1
	s_and_not1_saveexec_b32 s0, s17
; %bb.300:                              ;   in Loop: Header=BB101_180 Depth=1
	v_mul_f32_e64 v1, 0x3f22f983, |v2|
	s_delay_alu instid0(VALU_DEP_1) | instskip(NEXT) | instid1(VALU_DEP_1)
	v_rndne_f32_e32 v1, v1
	v_fma_f32 v9, 0xbfc90fda, v1, |v2|
	s_delay_alu instid0(VALU_DEP_1) | instskip(NEXT) | instid1(VALU_DEP_1)
	v_fmac_f32_e32 v9, 0xb3a22168, v1
	v_fmac_f32_e32 v9, 0xa7c234c4, v1
	v_cvt_i32_f32_e32 v1, v1
; %bb.301:                              ;   in Loop: Header=BB101_180 Depth=1
	s_or_b32 exec_lo, exec_lo, s0
	v_add_f32_e64 v10, 0xbf317218, |v3|
	v_cmp_nlt_f32_e64 vcc_lo, 0x42b2d4fc, |v3|
	v_cmp_gt_f32_e64 s0, 0x39800000, |v3|
	v_and_b32_e32 v1, 1, v1
	s_delay_alu instid0(VALU_DEP_4) | instskip(NEXT) | instid1(VALU_DEP_1)
	v_sub_f32_e64 v11, v10, |v3|
	v_dual_sub_f32 v18, v11, v10 :: v_dual_add_f32 v11, 0x3f317218, v11
	s_delay_alu instid0(VALU_DEP_1) | instskip(NEXT) | instid1(VALU_DEP_1)
	v_add_f32_e64 v18, |v3|, v18
	v_sub_f32_e32 v11, v18, v11
	s_delay_alu instid0(VALU_DEP_1) | instskip(NEXT) | instid1(VALU_DEP_1)
	v_add_f32_e32 v11, 0x3102e308, v11
	v_add_f32_e32 v18, v10, v11
	s_delay_alu instid0(VALU_DEP_1) | instskip(SKIP_1) | instid1(VALU_DEP_2)
	v_mul_f32_e32 v19, 0x3fb8aa3b, v18
	v_sub_f32_e32 v10, v10, v18
	v_rndne_f32_e32 v19, v19
	s_delay_alu instid0(VALU_DEP_1) | instskip(SKIP_1) | instid1(VALU_DEP_1)
	v_dual_add_f32 v10, v11, v10 :: v_dual_mul_f32 v11, 0x35bfbc00, v19
	v_fmac_f32_e32 v18, 0xbf317200, v19
	v_add_f32_e32 v20, v10, v18
	s_delay_alu instid0(VALU_DEP_1) | instskip(NEXT) | instid1(VALU_DEP_1)
	v_dual_sub_f32 v18, v18, v20 :: v_dual_sub_f32 v21, v20, v11
	v_add_f32_e32 v10, v10, v18
	s_delay_alu instid0(VALU_DEP_2) | instskip(NEXT) | instid1(VALU_DEP_1)
	v_sub_f32_e32 v20, v20, v21
	v_sub_f32_e32 v11, v20, v11
	s_delay_alu instid0(VALU_DEP_1) | instskip(NEXT) | instid1(VALU_DEP_1)
	v_add_f32_e32 v10, v10, v11
	v_dual_mul_f32 v11, 0x2ea39ef3, v19 :: v_dual_add_f32 v18, v21, v10
	s_delay_alu instid0(VALU_DEP_1) | instskip(NEXT) | instid1(VALU_DEP_1)
	v_dual_sub_f32 v21, v21, v18 :: v_dual_sub_f32 v20, v18, v11
	v_add_f32_e32 v10, v10, v21
	s_delay_alu instid0(VALU_DEP_2) | instskip(NEXT) | instid1(VALU_DEP_1)
	v_sub_f32_e32 v18, v18, v20
	v_sub_f32_e32 v11, v18, v11
	s_delay_alu instid0(VALU_DEP_1) | instskip(NEXT) | instid1(VALU_DEP_1)
	v_add_f32_e32 v10, v10, v11
	v_add_f32_e32 v11, v20, v10
	s_delay_alu instid0(VALU_DEP_1) | instskip(NEXT) | instid1(VALU_DEP_1)
	v_sub_f32_e32 v18, v20, v11
	v_add_f32_e32 v10, v10, v18
	v_fmaak_f32 v18, s9, v11, 0x3c091de6
	s_delay_alu instid0(VALU_DEP_2) | instskip(NEXT) | instid1(VALU_DEP_2)
	v_add_f32_e32 v22, v10, v10
	v_fmaak_f32 v18, v11, v18, 0x3d2aadcc
	s_delay_alu instid0(VALU_DEP_1) | instskip(NEXT) | instid1(VALU_DEP_1)
	v_fmaak_f32 v18, v11, v18, 0x3e2aaa47
	v_fmaak_f32 v18, v11, v18, 0x3efffffc
	v_mul_f32_e32 v20, v11, v11
	s_delay_alu instid0(VALU_DEP_1) | instskip(NEXT) | instid1(VALU_DEP_1)
	v_fma_f32 v21, v11, v11, -v20
	v_fmac_f32_e32 v21, v11, v22
	s_delay_alu instid0(VALU_DEP_1) | instskip(NEXT) | instid1(VALU_DEP_1)
	v_add_f32_e32 v22, v20, v21
	v_mul_f32_e32 v23, v18, v22
	v_sub_f32_e32 v20, v22, v20
	s_delay_alu instid0(VALU_DEP_1) | instskip(NEXT) | instid1(VALU_DEP_3)
	v_sub_f32_e32 v20, v21, v20
	v_fma_f32 v21, v22, v18, -v23
	s_delay_alu instid0(VALU_DEP_1) | instskip(NEXT) | instid1(VALU_DEP_1)
	v_fmac_f32_e32 v21, v20, v18
	v_add_f32_e32 v18, v23, v21
	s_delay_alu instid0(VALU_DEP_1) | instskip(SKIP_1) | instid1(VALU_DEP_2)
	v_add_f32_e32 v20, v11, v18
	v_sub_f32_e32 v22, v18, v23
	v_sub_f32_e32 v11, v20, v11
	s_delay_alu instid0(VALU_DEP_2) | instskip(NEXT) | instid1(VALU_DEP_2)
	v_sub_f32_e32 v21, v21, v22
	v_sub_f32_e32 v11, v18, v11
	s_delay_alu instid0(VALU_DEP_2) | instskip(NEXT) | instid1(VALU_DEP_1)
	v_add_f32_e32 v10, v10, v21
	v_add_f32_e32 v10, v10, v11
	s_delay_alu instid0(VALU_DEP_1) | instskip(NEXT) | instid1(VALU_DEP_1)
	v_add_f32_e32 v11, v20, v10
	v_add_f32_e32 v18, 1.0, v11
	s_delay_alu instid0(VALU_DEP_1) | instskip(NEXT) | instid1(VALU_DEP_1)
	v_dual_sub_f32 v20, v11, v20 :: v_dual_add_f32 v21, -1.0, v18
	v_dual_sub_f32 v10, v10, v20 :: v_dual_sub_f32 v11, v11, v21
	s_delay_alu instid0(VALU_DEP_1) | instskip(SKIP_1) | instid1(VALU_DEP_2)
	v_add_f32_e32 v10, v10, v11
	v_cvt_i32_f32_e32 v11, v19
	v_add_f32_e32 v19, v18, v10
	s_delay_alu instid0(VALU_DEP_1) | instskip(SKIP_1) | instid1(VALU_DEP_2)
	v_ldexp_f32 v20, v19, v11
	v_sub_f32_e32 v18, v19, v18
	v_rcp_f32_e32 v21, v20
	s_delay_alu instid0(VALU_DEP_1) | instskip(NEXT) | instid1(VALU_DEP_1)
	v_sub_f32_e32 v10, v10, v18
	v_ldexp_f32 v10, v10, v11
	s_waitcnt_depctr 0xfff
	v_mul_f32_e32 v18, v20, v21
	s_delay_alu instid0(VALU_DEP_1) | instskip(NEXT) | instid1(VALU_DEP_1)
	v_fma_f32 v11, v21, v20, -v18
	v_fmac_f32_e32 v11, v21, v10
	s_delay_alu instid0(VALU_DEP_1) | instskip(NEXT) | instid1(VALU_DEP_1)
	v_add_f32_e32 v19, v18, v11
	v_sub_f32_e32 v22, 1.0, v19
	v_sub_f32_e32 v18, v19, v18
	s_delay_alu instid0(VALU_DEP_2) | instskip(NEXT) | instid1(VALU_DEP_2)
	v_sub_f32_e32 v23, 1.0, v22
	v_sub_f32_e32 v11, v18, v11
	s_delay_alu instid0(VALU_DEP_2) | instskip(NEXT) | instid1(VALU_DEP_1)
	v_sub_f32_e32 v18, v23, v19
	v_add_f32_e32 v11, v11, v18
	s_delay_alu instid0(VALU_DEP_1) | instskip(NEXT) | instid1(VALU_DEP_1)
	v_add_f32_e32 v18, v22, v11
	v_mul_f32_e32 v19, v21, v18
	s_delay_alu instid0(VALU_DEP_1) | instskip(NEXT) | instid1(VALU_DEP_1)
	v_dual_sub_f32 v22, v22, v18 :: v_dual_mul_f32 v23, v20, v19
	v_add_f32_e32 v11, v11, v22
	s_delay_alu instid0(VALU_DEP_2) | instskip(NEXT) | instid1(VALU_DEP_1)
	v_fma_f32 v24, v19, v20, -v23
	v_fmac_f32_e32 v24, v19, v10
	s_delay_alu instid0(VALU_DEP_1) | instskip(NEXT) | instid1(VALU_DEP_1)
	v_add_f32_e32 v25, v23, v24
	v_sub_f32_e32 v26, v18, v25
	v_sub_f32_e32 v22, v25, v23
	s_delay_alu instid0(VALU_DEP_2) | instskip(NEXT) | instid1(VALU_DEP_2)
	v_sub_f32_e32 v18, v18, v26
	v_sub_f32_e32 v22, v22, v24
	s_delay_alu instid0(VALU_DEP_2) | instskip(NEXT) | instid1(VALU_DEP_1)
	v_sub_f32_e32 v18, v18, v25
	v_dual_add_f32 v11, v11, v18 :: v_dual_add_f32 v18, v21, v19
	s_delay_alu instid0(VALU_DEP_1) | instskip(NEXT) | instid1(VALU_DEP_2)
	v_add_f32_e32 v11, v22, v11
	v_sub_f32_e32 v22, v18, v21
	s_delay_alu instid0(VALU_DEP_2) | instskip(NEXT) | instid1(VALU_DEP_2)
	v_add_f32_e32 v11, v26, v11
	v_sub_f32_e32 v19, v19, v22
	s_delay_alu instid0(VALU_DEP_2) | instskip(NEXT) | instid1(VALU_DEP_1)
	v_mul_f32_e32 v11, v21, v11
	v_add_f32_e32 v11, v19, v11
	s_delay_alu instid0(VALU_DEP_1) | instskip(NEXT) | instid1(VALU_DEP_1)
	v_add_f32_e32 v19, v18, v11
	v_ldexp_f32 v21, v19, -2
	s_delay_alu instid0(VALU_DEP_1) | instskip(SKIP_1) | instid1(VALU_DEP_2)
	v_sub_f32_e32 v22, v20, v21
	v_sub_f32_e32 v18, v19, v18
	;; [unrolled: 1-line block ×3, first 2 shown]
	s_delay_alu instid0(VALU_DEP_2) | instskip(NEXT) | instid1(VALU_DEP_2)
	v_sub_f32_e32 v11, v11, v18
	v_sub_f32_e32 v18, v19, v21
	s_delay_alu instid0(VALU_DEP_2) | instskip(SKIP_1) | instid1(VALU_DEP_3)
	v_ldexp_f32 v11, v11, -2
	v_xor_b32_e32 v19, 0x80000000, v3
	v_add_f32_e32 v10, v10, v18
	s_delay_alu instid0(VALU_DEP_1) | instskip(NEXT) | instid1(VALU_DEP_1)
	v_dual_sub_f32 v10, v10, v11 :: v_dual_mul_f32 v11, v9, v9
	v_add_f32_e32 v10, v22, v10
	s_delay_alu instid0(VALU_DEP_2) | instskip(NEXT) | instid1(VALU_DEP_2)
	v_fmaak_f32 v18, s8, v11, 0xbf039337
	v_cndmask_b32_e32 v10, 0x7f800000, v10, vcc_lo
	s_delay_alu instid0(VALU_DEP_2) | instskip(NEXT) | instid1(VALU_DEP_2)
	v_fmaak_f32 v18, v11, v18, 0x3f93f425
	v_cndmask_b32_e64 v3, v10, |v3|, s0
	s_delay_alu instid0(VALU_DEP_2) | instskip(SKIP_1) | instid1(VALU_DEP_2)
	v_rcp_f32_e32 v10, v18
	v_fmaak_f32 v18, s5, v11, 0x3ec54587
	v_bfi_b32 v3, 0x7fffffff, v3, v19
	s_delay_alu instid0(VALU_DEP_1) | instskip(SKIP_4) | instid1(VALU_DEP_3)
	v_fma_f32 v19, v3, v3, 1.0
	s_waitcnt_depctr 0xfff
	v_mul_f32_e32 v10, v18, v10
	v_mul_f32_e32 v18, 0x4f800000, v19
	v_cmp_gt_f32_e32 vcc_lo, 0xf800000, v19
	v_mul_f32_e32 v10, v11, v10
	s_delay_alu instid0(VALU_DEP_3) | instskip(NEXT) | instid1(VALU_DEP_2)
	v_cndmask_b32_e32 v11, v19, v18, vcc_lo
	v_fma_f32 v18, v10, v9, v9
	s_delay_alu instid0(VALU_DEP_2) | instskip(NEXT) | instid1(VALU_DEP_1)
	v_sqrt_f32_e32 v19, v11
	v_rcp_f32_e32 v20, v18
	v_sub_f32_e32 v21, v18, v9
	s_delay_alu instid0(VALU_DEP_1) | instskip(SKIP_4) | instid1(VALU_DEP_3)
	v_fma_f32 v9, v10, v9, -v21
	s_waitcnt_depctr 0xfff
	v_add_nc_u32_e32 v22, -1, v19
	v_fma_f32 v10, v18, -v20, 1.0
	v_add_nc_u32_e32 v21, 1, v19
	v_fma_f32 v23, -v22, v19, v11
	s_delay_alu instid0(VALU_DEP_3) | instskip(NEXT) | instid1(VALU_DEP_3)
	v_fma_f32 v9, v9, -v20, v10
	v_fma_f32 v10, -v21, v19, v11
	s_delay_alu instid0(VALU_DEP_3) | instskip(NEXT) | instid1(VALU_DEP_3)
	v_cmp_ge_f32_e64 s0, 0, v23
	v_fma_f32 v9, v9, -v20, -v20
	s_delay_alu instid0(VALU_DEP_2) | instskip(NEXT) | instid1(VALU_DEP_4)
	v_cndmask_b32_e64 v19, v19, v22, s0
	v_cmp_lt_f32_e64 s0, 0, v10
	s_delay_alu instid0(VALU_DEP_1) | instskip(SKIP_1) | instid1(VALU_DEP_1)
	v_cndmask_b32_e64 v10, v19, v21, s0
	v_cmp_eq_u32_e64 s0, 0, v1
	v_cndmask_b32_e64 v1, v9, v18, s0
	s_delay_alu instid0(VALU_DEP_3) | instskip(NEXT) | instid1(VALU_DEP_2)
	v_mul_f32_e32 v9, 0x37800000, v10
	v_xor3_b32 v0, v0, v1, v2
	s_delay_alu instid0(VALU_DEP_2) | instskip(SKIP_1) | instid1(VALU_DEP_3)
	v_cndmask_b32_e32 v1, v10, v9, vcc_lo
	v_cmp_class_f32_e64 vcc_lo, v11, 0x260
	v_fma_f32 v2, v0, v0, 1.0
	s_delay_alu instid0(VALU_DEP_3) | instskip(NEXT) | instid1(VALU_DEP_2)
	v_cndmask_b32_e32 v1, v1, v11, vcc_lo
	v_mul_f32_e32 v9, v3, v2
	s_delay_alu instid0(VALU_DEP_2) | instskip(NEXT) | instid1(VALU_DEP_2)
	v_mul_f32_e32 v1, v1, v2
	v_fma_f32 v2, v3, v9, 1.0
	s_delay_alu instid0(VALU_DEP_2) | instskip(NEXT) | instid1(VALU_DEP_2)
	v_mul_f32_e32 v1, v3, v1
	v_div_scale_f32 v9, null, v2, v2, v0
	s_delay_alu instid0(VALU_DEP_2) | instskip(SKIP_1) | instid1(VALU_DEP_3)
	v_div_scale_f32 v3, null, v2, v2, v1
	v_div_scale_f32 v20, vcc_lo, v1, v2, v1
	v_rcp_f32_e32 v11, v9
	s_delay_alu instid0(VALU_DEP_2) | instskip(SKIP_3) | instid1(VALU_DEP_1)
	v_rcp_f32_e32 v10, v3
	s_waitcnt_depctr 0xfff
	v_fma_f32 v19, -v9, v11, 1.0
	v_fma_f32 v18, -v3, v10, 1.0
	v_dual_fmac_f32 v11, v19, v11 :: v_dual_fmac_f32 v10, v18, v10
	v_div_scale_f32 v18, s0, v0, v2, v0
	s_delay_alu instid0(VALU_DEP_2) | instskip(NEXT) | instid1(VALU_DEP_2)
	v_mul_f32_e32 v19, v20, v10
	v_mul_f32_e32 v21, v18, v11
	s_delay_alu instid0(VALU_DEP_2) | instskip(NEXT) | instid1(VALU_DEP_2)
	v_fma_f32 v22, -v3, v19, v20
	v_fma_f32 v23, -v9, v21, v18
	s_delay_alu instid0(VALU_DEP_2) | instskip(NEXT) | instid1(VALU_DEP_2)
	v_fmac_f32_e32 v19, v22, v10
	v_fmac_f32_e32 v21, v23, v11
	s_delay_alu instid0(VALU_DEP_2) | instskip(NEXT) | instid1(VALU_DEP_2)
	v_fma_f32 v3, -v3, v19, v20
	v_fma_f32 v9, -v9, v21, v18
	s_delay_alu instid0(VALU_DEP_2) | instskip(SKIP_1) | instid1(VALU_DEP_2)
	v_div_fmas_f32 v3, v3, v10, v19
	s_mov_b32 vcc_lo, s0
	v_div_fmas_f32 v9, v9, v11, v21
	s_delay_alu instid0(VALU_DEP_2) | instskip(NEXT) | instid1(VALU_DEP_2)
	v_div_fixup_f32 v18, v3, v2, v1
	v_div_fixup_f32 v10, v9, v2, v0
                                        ; implicit-def: $vgpr0_vgpr1_vgpr2_vgpr3
                                        ; implicit-def: $vgpr0
.LBB101_302:                            ;   in Loop: Header=BB101_180 Depth=1
	s_and_not1_saveexec_b32 s16, s16
	s_cbranch_execz .LBB101_312
; %bb.303:                              ;   in Loop: Header=BB101_180 Depth=1
	v_lshrrev_b32_e32 v1, 23, v0
	v_cmp_ngt_f32_e64 s17, 0x48000000, |v2|
	v_and_or_b32 v9, v0, s4, 0x800000
                                        ; implicit-def: $vgpr10
	s_delay_alu instid0(VALU_DEP_3) | instskip(NEXT) | instid1(VALU_DEP_3)
	v_add_nc_u32_e32 v18, 0xffffff88, v1
                                        ; implicit-def: $vgpr1
	s_and_saveexec_b32 s0, s17
	s_delay_alu instid0(SALU_CYCLE_1)
	s_xor_b32 s18, exec_lo, s0
	s_cbranch_execz .LBB101_305
; %bb.304:                              ;   in Loop: Header=BB101_180 Depth=1
	v_mad_u64_u32 v[10:11], null, 0xfe5163ab, v9, 0
	v_cmp_lt_u32_e32 vcc_lo, 63, v18
	v_cndmask_b32_e64 v1, 0, 0xffffffc0, vcc_lo
	s_delay_alu instid0(VALU_DEP_3) | instskip(NEXT) | instid1(VALU_DEP_2)
	v_mad_u64_u32 v[19:20], null, 0x3c439041, v9, v[11:12]
	v_add_nc_u32_e32 v1, v1, v18
	s_delay_alu instid0(VALU_DEP_2) | instskip(NEXT) | instid1(VALU_DEP_2)
	v_mov_b32_e32 v11, v20
	v_cmp_lt_u32_e64 s0, 31, v1
	s_delay_alu instid0(VALU_DEP_2) | instskip(NEXT) | instid1(VALU_DEP_2)
	v_mad_u64_u32 v[20:21], null, 0xdb629599, v9, v[11:12]
	v_cndmask_b32_e64 v25, 0, 0xffffffe0, s0
	s_delay_alu instid0(VALU_DEP_1) | instskip(NEXT) | instid1(VALU_DEP_3)
	v_add_nc_u32_e32 v1, v25, v1
	v_dual_mov_b32 v11, v21 :: v_dual_cndmask_b32 v10, v20, v10
	s_delay_alu instid0(VALU_DEP_2) | instskip(NEXT) | instid1(VALU_DEP_2)
	v_cmp_lt_u32_e64 s1, 31, v1
	v_mad_u64_u32 v[21:22], null, 0xf534ddc0, v9, v[11:12]
	s_delay_alu instid0(VALU_DEP_1) | instskip(NEXT) | instid1(VALU_DEP_1)
	v_mov_b32_e32 v11, v22
	v_mad_u64_u32 v[22:23], null, 0xfc2757d1, v9, v[11:12]
	s_delay_alu instid0(VALU_DEP_1) | instskip(NEXT) | instid1(VALU_DEP_1)
	v_mov_b32_e32 v11, v23
	v_mad_u64_u32 v[23:24], null, 0x4e441529, v9, v[11:12]
	s_delay_alu instid0(VALU_DEP_1) | instskip(NEXT) | instid1(VALU_DEP_1)
	v_dual_mov_b32 v11, v24 :: v_dual_cndmask_b32 v26, v23, v21
	v_mad_u64_u32 v[24:25], null, 0xa2f9836e, v9, v[11:12]
	v_cndmask_b32_e64 v11, 0, 0xffffffe0, s1
	s_delay_alu instid0(VALU_DEP_1) | instskip(NEXT) | instid1(VALU_DEP_3)
	v_dual_cndmask_b32 v24, v24, v22 :: v_dual_add_nc_u32 v1, v11, v1
	v_dual_cndmask_b32 v23, v25, v23 :: v_dual_cndmask_b32 v22, v22, v20
	v_cndmask_b32_e32 v11, v21, v19, vcc_lo
	s_delay_alu instid0(VALU_DEP_3) | instskip(NEXT) | instid1(VALU_DEP_4)
	v_cmp_eq_u32_e64 s2, 0, v1
	v_cndmask_b32_e64 v19, v24, v26, s0
	s_delay_alu instid0(VALU_DEP_4)
	v_cndmask_b32_e64 v21, v23, v24, s0
	v_cndmask_b32_e64 v23, v26, v22, s0
	v_sub_nc_u32_e32 v24, 32, v1
	v_cndmask_b32_e64 v22, v22, v11, s0
	v_cndmask_b32_e64 v10, v11, v10, s0
	;; [unrolled: 1-line block ×4, first 2 shown]
	s_delay_alu instid0(VALU_DEP_4) | instskip(NEXT) | instid1(VALU_DEP_4)
	v_cndmask_b32_e64 v23, v23, v22, s1
	v_cndmask_b32_e64 v10, v22, v10, s1
	s_delay_alu instid0(VALU_DEP_3) | instskip(NEXT) | instid1(VALU_DEP_3)
	v_alignbit_b32 v25, v21, v19, v24
	v_alignbit_b32 v26, v19, v23, v24
	s_delay_alu instid0(VALU_DEP_3) | instskip(NEXT) | instid1(VALU_DEP_3)
	v_alignbit_b32 v24, v23, v10, v24
	v_cndmask_b32_e64 v1, v25, v21, s2
	s_delay_alu instid0(VALU_DEP_3) | instskip(NEXT) | instid1(VALU_DEP_3)
	v_cndmask_b32_e64 v19, v26, v19, s2
	v_cndmask_b32_e64 v23, v24, v23, s2
	s_delay_alu instid0(VALU_DEP_3) | instskip(NEXT) | instid1(VALU_DEP_3)
	v_bfe_u32 v20, v1, 29, 1
	v_alignbit_b32 v11, v1, v19, 30
	s_delay_alu instid0(VALU_DEP_3) | instskip(SKIP_1) | instid1(VALU_DEP_4)
	v_alignbit_b32 v19, v19, v23, 30
	v_alignbit_b32 v10, v23, v10, 30
	v_sub_nc_u32_e32 v21, 0, v20
	s_delay_alu instid0(VALU_DEP_1) | instskip(SKIP_3) | instid1(VALU_DEP_4)
	v_xor_b32_e32 v22, v11, v21
	v_cmp_ne_u32_e32 vcc_lo, v11, v21
	v_xor_b32_e32 v19, v19, v21
	v_xor_b32_e32 v10, v10, v21
	v_clz_i32_u32_e32 v25, v22
	s_delay_alu instid0(VALU_DEP_1) | instskip(NEXT) | instid1(VALU_DEP_1)
	v_add_nc_u32_e32 v24, 1, v25
	v_cndmask_b32_e32 v11, 33, v24, vcc_lo
	s_delay_alu instid0(VALU_DEP_1) | instskip(NEXT) | instid1(VALU_DEP_1)
	v_sub_nc_u32_e32 v23, 32, v11
	v_alignbit_b32 v21, v22, v19, v23
	v_alignbit_b32 v10, v19, v10, v23
	v_lshrrev_b32_e32 v19, 29, v1
	s_delay_alu instid0(VALU_DEP_2) | instskip(NEXT) | instid1(VALU_DEP_2)
	v_alignbit_b32 v22, v21, v10, 9
	v_lshlrev_b32_e32 v19, 31, v19
	v_alignbit_b32 v21, v11, v21, 9
	s_delay_alu instid0(VALU_DEP_3) | instskip(NEXT) | instid1(VALU_DEP_2)
	v_clz_i32_u32_e32 v23, v22
	v_or_b32_e32 v21, v21, v19
	v_or_b32_e32 v19, 0x33800000, v19
	s_delay_alu instid0(VALU_DEP_3) | instskip(NEXT) | instid1(VALU_DEP_3)
	v_min_u32_e32 v23, 32, v23
	v_xor_b32_e32 v21, 1.0, v21
	s_delay_alu instid0(VALU_DEP_2) | instskip(SKIP_1) | instid1(VALU_DEP_3)
	v_sub_nc_u32_e32 v24, 31, v23
	v_add_lshl_u32 v11, v23, v11, 23
	v_mul_f32_e32 v23, 0x3fc90fda, v21
	s_delay_alu instid0(VALU_DEP_3) | instskip(NEXT) | instid1(VALU_DEP_3)
	v_alignbit_b32 v10, v22, v10, v24
	v_sub_nc_u32_e32 v11, v19, v11
	s_delay_alu instid0(VALU_DEP_3) | instskip(NEXT) | instid1(VALU_DEP_3)
	v_fma_f32 v19, 0x3fc90fda, v21, -v23
	v_lshrrev_b32_e32 v10, 9, v10
	s_delay_alu instid0(VALU_DEP_2) | instskip(NEXT) | instid1(VALU_DEP_2)
	v_fmac_f32_e32 v19, 0x33a22168, v21
	v_or_b32_e32 v10, v11, v10
	s_delay_alu instid0(VALU_DEP_1) | instskip(SKIP_1) | instid1(VALU_DEP_1)
	v_fmac_f32_e32 v19, 0x3fc90fda, v10
	v_lshrrev_b32_e32 v10, 30, v1
	v_dual_add_f32 v1, v23, v19 :: v_dual_add_nc_u32 v10, v20, v10
	s_and_not1_saveexec_b32 s0, s18
	s_branch .LBB101_306
.LBB101_305:                            ;   in Loop: Header=BB101_180 Depth=1
	s_and_not1_saveexec_b32 s0, s18
.LBB101_306:                            ;   in Loop: Header=BB101_180 Depth=1
	v_mul_f32_e64 v1, 0x3f22f983, |v2|
	s_delay_alu instid0(VALU_DEP_1) | instskip(NEXT) | instid1(VALU_DEP_1)
	v_rndne_f32_e32 v10, v1
	v_fma_f32 v1, 0xbfc90fda, v10, |v2|
	s_delay_alu instid0(VALU_DEP_1) | instskip(NEXT) | instid1(VALU_DEP_1)
	v_fmac_f32_e32 v1, 0xb3a22168, v10
	v_fmac_f32_e32 v1, 0xa7c234c4, v10
	v_cvt_i32_f32_e32 v10, v10
; %bb.307:                              ;   in Loop: Header=BB101_180 Depth=1
	s_or_b32 exec_lo, exec_lo, s0
                                        ; implicit-def: $vgpr19
                                        ; implicit-def: $vgpr11
	s_and_saveexec_b32 s0, s17
	s_delay_alu instid0(SALU_CYCLE_1)
	s_xor_b32 s17, exec_lo, s0
	s_cbranch_execz .LBB101_309
; %bb.308:                              ;   in Loop: Header=BB101_180 Depth=1
	v_mad_u64_u32 v[19:20], null, 0xfe5163ab, v9, 0
	v_cmp_lt_u32_e32 vcc_lo, 63, v18
	v_cndmask_b32_e64 v25, 0, 0xffffffc0, vcc_lo
	s_delay_alu instid0(VALU_DEP_1) | instskip(NEXT) | instid1(VALU_DEP_1)
	v_dual_mov_b32 v11, v20 :: v_dual_add_nc_u32 v18, v25, v18
	v_mad_u64_u32 v[20:21], null, 0x3c439041, v9, v[11:12]
	s_delay_alu instid0(VALU_DEP_2) | instskip(NEXT) | instid1(VALU_DEP_1)
	v_cmp_lt_u32_e64 s0, 31, v18
	v_cndmask_b32_e64 v26, 0, 0xffffffe0, s0
	s_delay_alu instid0(VALU_DEP_1) | instskip(NEXT) | instid1(VALU_DEP_1)
	v_dual_mov_b32 v11, v21 :: v_dual_add_nc_u32 v18, v26, v18
	v_mad_u64_u32 v[21:22], null, 0xdb629599, v9, v[11:12]
	s_delay_alu instid0(VALU_DEP_2) | instskip(NEXT) | instid1(VALU_DEP_2)
	v_cmp_lt_u32_e64 s1, 31, v18
	v_mov_b32_e32 v11, v22
	s_delay_alu instid0(VALU_DEP_3) | instskip(NEXT) | instid1(VALU_DEP_2)
	v_cndmask_b32_e32 v19, v21, v19, vcc_lo
	v_mad_u64_u32 v[22:23], null, 0xf534ddc0, v9, v[11:12]
	s_delay_alu instid0(VALU_DEP_1) | instskip(NEXT) | instid1(VALU_DEP_1)
	v_mov_b32_e32 v11, v23
	v_mad_u64_u32 v[23:24], null, 0xfc2757d1, v9, v[11:12]
	s_delay_alu instid0(VALU_DEP_1) | instskip(NEXT) | instid1(VALU_DEP_1)
	v_mov_b32_e32 v11, v24
	;; [unrolled: 3-line block ×3, first 2 shown]
	v_mad_u64_u32 v[25:26], null, 0xa2f9836e, v9, v[11:12]
	v_cndmask_b32_e64 v9, 0, 0xffffffe0, s1
	s_delay_alu instid0(VALU_DEP_4) | instskip(NEXT) | instid1(VALU_DEP_2)
	v_cndmask_b32_e32 v11, v24, v22, vcc_lo
	v_add_nc_u32_e32 v9, v9, v18
	s_delay_alu instid0(VALU_DEP_4) | instskip(SKIP_1) | instid1(VALU_DEP_3)
	v_dual_cndmask_b32 v25, v25, v23 :: v_dual_cndmask_b32 v24, v26, v24
	v_dual_cndmask_b32 v23, v23, v21 :: v_dual_cndmask_b32 v18, v22, v20
	v_cmp_eq_u32_e64 s2, 0, v9
	s_delay_alu instid0(VALU_DEP_3) | instskip(NEXT) | instid1(VALU_DEP_4)
	v_cndmask_b32_e64 v20, v25, v11, s0
	v_cndmask_b32_e64 v22, v24, v25, s0
	s_delay_alu instid0(VALU_DEP_4)
	v_cndmask_b32_e64 v11, v11, v23, s0
	v_sub_nc_u32_e32 v24, 32, v9
	v_cndmask_b32_e64 v23, v23, v18, s0
	v_cndmask_b32_e64 v18, v18, v19, s0
	;; [unrolled: 1-line block ×4, first 2 shown]
	s_delay_alu instid0(VALU_DEP_4) | instskip(NEXT) | instid1(VALU_DEP_4)
	v_cndmask_b32_e64 v11, v11, v23, s1
	v_cndmask_b32_e64 v18, v23, v18, s1
	s_delay_alu instid0(VALU_DEP_3) | instskip(NEXT) | instid1(VALU_DEP_3)
	v_alignbit_b32 v25, v22, v20, v24
	v_alignbit_b32 v26, v20, v11, v24
	s_delay_alu instid0(VALU_DEP_3) | instskip(NEXT) | instid1(VALU_DEP_3)
	v_alignbit_b32 v24, v11, v18, v24
	v_cndmask_b32_e64 v9, v25, v22, s2
	s_delay_alu instid0(VALU_DEP_3) | instskip(NEXT) | instid1(VALU_DEP_3)
	v_cndmask_b32_e64 v20, v26, v20, s2
	v_cndmask_b32_e64 v11, v24, v11, s2
	s_delay_alu instid0(VALU_DEP_3) | instskip(NEXT) | instid1(VALU_DEP_3)
	v_bfe_u32 v21, v9, 29, 1
	v_alignbit_b32 v19, v9, v20, 30
	s_delay_alu instid0(VALU_DEP_3) | instskip(SKIP_1) | instid1(VALU_DEP_4)
	v_alignbit_b32 v20, v20, v11, 30
	v_alignbit_b32 v11, v11, v18, 30
	v_sub_nc_u32_e32 v22, 0, v21
	s_delay_alu instid0(VALU_DEP_1) | instskip(SKIP_3) | instid1(VALU_DEP_4)
	v_xor_b32_e32 v23, v19, v22
	v_cmp_ne_u32_e32 vcc_lo, v19, v22
	v_xor_b32_e32 v18, v20, v22
	v_xor_b32_e32 v11, v11, v22
	v_clz_i32_u32_e32 v25, v23
	s_delay_alu instid0(VALU_DEP_1) | instskip(NEXT) | instid1(VALU_DEP_1)
	v_add_nc_u32_e32 v24, 1, v25
	v_cndmask_b32_e32 v19, 33, v24, vcc_lo
	s_delay_alu instid0(VALU_DEP_1) | instskip(NEXT) | instid1(VALU_DEP_1)
	v_sub_nc_u32_e32 v20, 32, v19
	v_alignbit_b32 v22, v23, v18, v20
	v_alignbit_b32 v11, v18, v11, v20
	v_lshrrev_b32_e32 v18, 29, v9
	v_lshrrev_b32_e32 v9, 30, v9
	s_delay_alu instid0(VALU_DEP_3) | instskip(NEXT) | instid1(VALU_DEP_3)
	v_alignbit_b32 v20, v22, v11, 9
	v_lshlrev_b32_e32 v18, 31, v18
	v_alignbit_b32 v22, v19, v22, 9
	s_delay_alu instid0(VALU_DEP_3) | instskip(NEXT) | instid1(VALU_DEP_2)
	v_clz_i32_u32_e32 v23, v20
	v_or_b32_e32 v22, v22, v18
	v_or_b32_e32 v18, 0x33800000, v18
	s_delay_alu instid0(VALU_DEP_3) | instskip(NEXT) | instid1(VALU_DEP_3)
	v_min_u32_e32 v23, 32, v23
	v_xor_b32_e32 v22, 1.0, v22
	s_delay_alu instid0(VALU_DEP_2) | instskip(SKIP_1) | instid1(VALU_DEP_3)
	v_sub_nc_u32_e32 v24, 31, v23
	v_add_lshl_u32 v19, v23, v19, 23
	v_mul_f32_e32 v23, 0x3fc90fda, v22
	s_delay_alu instid0(VALU_DEP_3) | instskip(NEXT) | instid1(VALU_DEP_3)
	v_alignbit_b32 v11, v20, v11, v24
	v_sub_nc_u32_e32 v18, v18, v19
	s_delay_alu instid0(VALU_DEP_3) | instskip(NEXT) | instid1(VALU_DEP_3)
	v_fma_f32 v19, 0x3fc90fda, v22, -v23
	v_lshrrev_b32_e32 v11, 9, v11
	s_delay_alu instid0(VALU_DEP_2) | instskip(NEXT) | instid1(VALU_DEP_2)
	v_fmac_f32_e32 v19, 0x33a22168, v22
	v_or_b32_e32 v11, v18, v11
	s_delay_alu instid0(VALU_DEP_1) | instskip(NEXT) | instid1(VALU_DEP_1)
	v_fmac_f32_e32 v19, 0x3fc90fda, v11
	v_add_f32_e32 v11, v23, v19
	v_add_nc_u32_e32 v19, v21, v9
	s_and_not1_saveexec_b32 s0, s17
	s_cbranch_execnz .LBB101_310
	s_branch .LBB101_311
.LBB101_309:                            ;   in Loop: Header=BB101_180 Depth=1
	s_and_not1_saveexec_b32 s0, s17
.LBB101_310:                            ;   in Loop: Header=BB101_180 Depth=1
	v_mul_f32_e64 v9, 0x3f22f983, |v2|
	s_delay_alu instid0(VALU_DEP_1) | instskip(NEXT) | instid1(VALU_DEP_1)
	v_rndne_f32_e32 v9, v9
	v_fma_f32 v11, 0xbfc90fda, v9, |v2|
	v_cvt_i32_f32_e32 v19, v9
	s_delay_alu instid0(VALU_DEP_2) | instskip(NEXT) | instid1(VALU_DEP_1)
	v_fmac_f32_e32 v11, 0xb3a22168, v9
	v_fmac_f32_e32 v11, 0xa7c234c4, v9
.LBB101_311:                            ;   in Loop: Header=BB101_180 Depth=1
	s_or_b32 exec_lo, exec_lo, s0
	v_dual_mul_f32 v9, v1, v1 :: v_dual_and_b32 v18, 1, v10
	v_mul_f32_e64 v20, 0xbfb8aa3b, |v3|
	s_delay_alu instid0(VALU_DEP_3) | instskip(NEXT) | instid1(VALU_DEP_3)
	v_dual_mul_f32 v23, v11, v11 :: v_dual_lshlrev_b32 v10, 30, v10
	v_fmaak_f32 v21, s12, v9, 0x3c0881c4
	v_fmaak_f32 v22, s13, v9, 0xbab64f3b
	s_delay_alu instid0(VALU_DEP_4) | instskip(SKIP_2) | instid1(VALU_DEP_3)
	v_rndne_f32_e32 v24, v20
	v_fma_f32 v25, 0xbfb8aa3b, |v3|, -v20
	v_cmp_eq_u32_e32 vcc_lo, 0, v18
	v_dual_fmaak_f32 v21, v9, v21, 0xbe2aaa9d :: v_dual_sub_f32 v20, v20, v24
	s_delay_alu instid0(VALU_DEP_3) | instskip(NEXT) | instid1(VALU_DEP_2)
	v_fma_f32 v25, 0xb2a5705f, |v3|, v25
	v_dual_fmaak_f32 v26, s12, v23, 0x3c0881c4 :: v_dual_mul_f32 v21, v9, v21
	s_delay_alu instid0(VALU_DEP_2) | instskip(SKIP_1) | instid1(VALU_DEP_3)
	v_dual_fmaak_f32 v27, s13, v23, 0xbab64f3b :: v_dual_add_f32 v20, v20, v25
	v_fmaak_f32 v22, v9, v22, 0x3d2aabf7
	v_dual_fmaak_f32 v26, v23, v26, 0xbe2aaa9d :: v_dual_fmac_f32 v1, v1, v21
	s_delay_alu instid0(VALU_DEP_3) | instskip(NEXT) | instid1(VALU_DEP_4)
	v_fmaak_f32 v21, v23, v27, 0x3d2aabf7
	v_exp_f32_e32 v20, v20
	s_delay_alu instid0(VALU_DEP_3) | instskip(NEXT) | instid1(VALU_DEP_1)
	v_fmaak_f32 v22, v9, v22, 0xbf000004
	v_fma_f32 v9, v9, v22, 1.0
	v_and_b32_e32 v10, 0x80000000, v10
	s_delay_alu instid0(VALU_DEP_2) | instskip(NEXT) | instid1(VALU_DEP_2)
	v_dual_mul_f32 v22, v23, v26 :: v_dual_cndmask_b32 v1, v9, v1
	v_xor_b32_e32 v0, v0, v10
	v_cvt_i32_f32_e32 v10, v24
	v_fmaak_f32 v9, v23, v21, 0xbf000004
	s_delay_alu instid0(VALU_DEP_3)
	v_xor3_b32 v0, v0, v1, v2
	s_delay_alu instid0(TRANS32_DEP_1) | instid1(VALU_DEP_3)
	v_ldexp_f32 v1, v20, v10
	v_and_b32_e32 v18, 1, v19
	s_delay_alu instid0(VALU_DEP_4) | instskip(SKIP_2) | instid1(VALU_DEP_4)
	v_fma_f32 v9, v23, v9, 1.0
	v_lshlrev_b32_e32 v19, 30, v19
	v_dual_fmac_f32 v11, v11, v22 :: v_dual_mul_f32 v0, 4.0, v0
	v_cmp_eq_u32_e32 vcc_lo, 0, v18
	s_delay_alu instid0(VALU_DEP_2) | instskip(NEXT) | instid1(VALU_DEP_4)
	v_cndmask_b32_e64 v2, -v11, v9, vcc_lo
	v_and_b32_e32 v9, 0x80000000, v19
	v_cmp_nlt_f32_e64 vcc_lo, 0x42ce8ed0, |v3|
	s_delay_alu instid0(VALU_DEP_2) | instskip(SKIP_2) | instid1(VALU_DEP_3)
	v_xor_b32_e32 v2, v9, v2
	v_cndmask_b32_e32 v1, 0, v1, vcc_lo
	v_cmp_ngt_f32_e64 vcc_lo, 0xc2b17218, |v3|
	v_mul_f32_e32 v0, v0, v2
	v_xor_b32_e32 v2, 0x80000000, v3
	s_delay_alu instid0(VALU_DEP_4) | instskip(NEXT) | instid1(VALU_DEP_2)
	v_cndmask_b32_e32 v1, 0x7f800000, v1, vcc_lo
	v_bfi_b32 v18, 0x7fffffff, 1.0, v2
	s_delay_alu instid0(VALU_DEP_2) | instskip(NEXT) | instid1(VALU_DEP_1)
	v_mul_f32_e32 v0, v1, v0
	v_mul_f32_e32 v10, v1, v0
.LBB101_312:                            ;   in Loop: Header=BB101_180 Depth=1
	s_or_b32 exec_lo, exec_lo, s16
                                        ; implicit-def: $vgpr0_vgpr1_vgpr2_vgpr3
.LBB101_313:                            ;   in Loop: Header=BB101_180 Depth=1
	s_and_not1_saveexec_b32 s0, s15
; %bb.314:                              ;   in Loop: Header=BB101_180 Depth=1
	v_sub_f32_e32 v10, v2, v2
	s_delay_alu instid0(VALU_DEP_1)
	v_mov_b32_e32 v18, v10
; %bb.315:                              ;   in Loop: Header=BB101_180 Depth=1
	s_or_b32 exec_lo, exec_lo, s0
                                        ; implicit-def: $vgpr0_vgpr1_vgpr2_vgpr3
.LBB101_316:                            ;   in Loop: Header=BB101_180 Depth=1
	s_and_not1_saveexec_b32 s14, s14
	s_cbranch_execz .LBB101_179
; %bb.317:                              ;   in Loop: Header=BB101_180 Depth=1
	v_xor_b32_e32 v18, 0x80000000, v3
	s_mov_b32 s0, exec_lo
	s_delay_alu instid0(VALU_DEP_1) | instskip(NEXT) | instid1(VALU_DEP_1)
	v_and_b32_e32 v0, 0x7fffff, v18
	v_cmpx_ne_u32_e32 0, v0
	s_xor_b32 s0, exec_lo, s0
; %bb.318:                              ;   in Loop: Header=BB101_180 Depth=1
	v_mul_f32_e64 v0, v2, -v3
	v_cmp_eq_f32_e32 vcc_lo, 0, v2
	s_delay_alu instid0(VALU_DEP_2)
	v_cndmask_b32_e32 v10, v0, v2, vcc_lo
                                        ; implicit-def: $vgpr0_vgpr1_vgpr2_vgpr3
; %bb.319:                              ;   in Loop: Header=BB101_180 Depth=1
	s_and_not1_saveexec_b32 s15, s0
	s_cbranch_execz .LBB101_178
; %bb.320:                              ;   in Loop: Header=BB101_180 Depth=1
	s_mov_b32 s16, exec_lo
	v_cmpx_neq_f32_e64 0x7f800000, |v2|
	s_cbranch_execz .LBB101_177
; %bb.321:                              ;   in Loop: Header=BB101_180 Depth=1
	v_and_b32_e32 v0, 0x7fffffff, v2
	v_cmp_ngt_f32_e64 s17, 0x48000000, |v2|
                                        ; implicit-def: $vgpr3
	s_delay_alu instid0(VALU_DEP_2) | instskip(SKIP_1) | instid1(VALU_DEP_2)
	v_lshrrev_b32_e32 v1, 23, v0
	v_and_or_b32 v9, v0, s4, 0x800000
	v_add_nc_u32_e32 v10, 0xffffff88, v1
                                        ; implicit-def: $vgpr1
	s_delay_alu instid0(VALU_DEP_4) | instskip(NEXT) | instid1(SALU_CYCLE_1)
	s_and_saveexec_b32 s0, s17
	s_xor_b32 s18, exec_lo, s0
	s_cbranch_execz .LBB101_323
; %bb.322:                              ;   in Loop: Header=BB101_180 Depth=1
	v_mad_u64_u32 v[19:20], null, 0xfe5163ab, v9, 0
	v_cmp_lt_u32_e32 vcc_lo, 63, v10
	v_cndmask_b32_e64 v1, 0, 0xffffffc0, vcc_lo
	s_delay_alu instid0(VALU_DEP_3) | instskip(NEXT) | instid1(VALU_DEP_2)
	v_mov_b32_e32 v11, v20
	v_add_nc_u32_e32 v1, v1, v10
	s_delay_alu instid0(VALU_DEP_2) | instskip(NEXT) | instid1(VALU_DEP_2)
	v_mad_u64_u32 v[20:21], null, 0x3c439041, v9, v[11:12]
	v_cmp_lt_u32_e64 s0, 31, v1
	s_delay_alu instid0(VALU_DEP_2) | instskip(NEXT) | instid1(VALU_DEP_2)
	v_mov_b32_e32 v11, v21
	v_cndmask_b32_e64 v3, 0, 0xffffffe0, s0
	s_delay_alu instid0(VALU_DEP_2) | instskip(NEXT) | instid1(VALU_DEP_2)
	v_mad_u64_u32 v[21:22], null, 0xdb629599, v9, v[11:12]
	v_add_nc_u32_e32 v1, v3, v1
	s_delay_alu instid0(VALU_DEP_1) | instskip(NEXT) | instid1(VALU_DEP_3)
	v_cmp_lt_u32_e64 s1, 31, v1
	v_mov_b32_e32 v11, v22
	s_delay_alu instid0(VALU_DEP_4) | instskip(NEXT) | instid1(VALU_DEP_3)
	v_cndmask_b32_e32 v19, v21, v19, vcc_lo
	v_cndmask_b32_e64 v3, 0, 0xffffffe0, s1
	s_delay_alu instid0(VALU_DEP_3) | instskip(NEXT) | instid1(VALU_DEP_2)
	v_mad_u64_u32 v[22:23], null, 0xf534ddc0, v9, v[11:12]
	v_add_nc_u32_e32 v1, v3, v1
	s_delay_alu instid0(VALU_DEP_2) | instskip(NEXT) | instid1(VALU_DEP_3)
	v_mov_b32_e32 v11, v23
	v_cndmask_b32_e32 v3, v22, v20, vcc_lo
	s_delay_alu instid0(VALU_DEP_3) | instskip(NEXT) | instid1(VALU_DEP_3)
	v_cmp_eq_u32_e64 s2, 0, v1
	v_mad_u64_u32 v[23:24], null, 0xfc2757d1, v9, v[11:12]
	s_delay_alu instid0(VALU_DEP_1) | instskip(NEXT) | instid1(VALU_DEP_1)
	v_mov_b32_e32 v11, v24
	v_mad_u64_u32 v[24:25], null, 0x4e441529, v9, v[11:12]
	s_delay_alu instid0(VALU_DEP_1) | instskip(NEXT) | instid1(VALU_DEP_1)
	v_mov_b32_e32 v11, v25
	v_mad_u64_u32 v[25:26], null, 0xa2f9836e, v9, v[11:12]
	s_delay_alu instid0(VALU_DEP_3) | instskip(NEXT) | instid1(VALU_DEP_2)
	v_cndmask_b32_e32 v11, v24, v22, vcc_lo
	v_dual_cndmask_b32 v25, v25, v23 :: v_dual_cndmask_b32 v24, v26, v24
	v_cndmask_b32_e32 v23, v23, v21, vcc_lo
	s_delay_alu instid0(VALU_DEP_2) | instskip(NEXT) | instid1(VALU_DEP_3)
	v_cndmask_b32_e64 v20, v25, v11, s0
	v_cndmask_b32_e64 v22, v24, v25, s0
	s_delay_alu instid0(VALU_DEP_3)
	v_cndmask_b32_e64 v11, v11, v23, s0
	v_sub_nc_u32_e32 v24, 32, v1
	v_cndmask_b32_e64 v23, v23, v3, s0
	v_cndmask_b32_e64 v3, v3, v19, s0
	;; [unrolled: 1-line block ×4, first 2 shown]
	s_delay_alu instid0(VALU_DEP_4) | instskip(NEXT) | instid1(VALU_DEP_4)
	v_cndmask_b32_e64 v11, v11, v23, s1
	v_cndmask_b32_e64 v3, v23, v3, s1
	s_delay_alu instid0(VALU_DEP_3) | instskip(NEXT) | instid1(VALU_DEP_3)
	v_alignbit_b32 v25, v22, v20, v24
	v_alignbit_b32 v26, v20, v11, v24
	s_delay_alu instid0(VALU_DEP_3) | instskip(NEXT) | instid1(VALU_DEP_3)
	v_alignbit_b32 v24, v11, v3, v24
	v_cndmask_b32_e64 v1, v25, v22, s2
	s_delay_alu instid0(VALU_DEP_3) | instskip(NEXT) | instid1(VALU_DEP_3)
	v_cndmask_b32_e64 v20, v26, v20, s2
	v_cndmask_b32_e64 v11, v24, v11, s2
	s_delay_alu instid0(VALU_DEP_3) | instskip(NEXT) | instid1(VALU_DEP_3)
	v_bfe_u32 v21, v1, 29, 1
	v_alignbit_b32 v19, v1, v20, 30
	s_delay_alu instid0(VALU_DEP_3) | instskip(SKIP_1) | instid1(VALU_DEP_4)
	v_alignbit_b32 v20, v20, v11, 30
	v_alignbit_b32 v3, v11, v3, 30
	v_sub_nc_u32_e32 v22, 0, v21
	s_delay_alu instid0(VALU_DEP_1) | instskip(SKIP_3) | instid1(VALU_DEP_4)
	v_xor_b32_e32 v23, v19, v22
	v_cmp_ne_u32_e32 vcc_lo, v19, v22
	v_xor_b32_e32 v11, v20, v22
	v_xor_b32_e32 v3, v3, v22
	v_clz_i32_u32_e32 v25, v23
	s_delay_alu instid0(VALU_DEP_1) | instskip(NEXT) | instid1(VALU_DEP_1)
	v_add_nc_u32_e32 v24, 1, v25
	v_cndmask_b32_e32 v19, 33, v24, vcc_lo
	s_delay_alu instid0(VALU_DEP_1) | instskip(NEXT) | instid1(VALU_DEP_1)
	v_sub_nc_u32_e32 v20, 32, v19
	v_alignbit_b32 v22, v23, v11, v20
	v_alignbit_b32 v3, v11, v3, v20
	v_lshrrev_b32_e32 v11, 29, v1
	s_delay_alu instid0(VALU_DEP_2) | instskip(NEXT) | instid1(VALU_DEP_2)
	v_alignbit_b32 v20, v22, v3, 9
	v_lshlrev_b32_e32 v11, 31, v11
	v_alignbit_b32 v22, v19, v22, 9
	s_delay_alu instid0(VALU_DEP_3) | instskip(NEXT) | instid1(VALU_DEP_2)
	v_clz_i32_u32_e32 v23, v20
	v_or_b32_e32 v22, v22, v11
	v_or_b32_e32 v11, 0x33800000, v11
	s_delay_alu instid0(VALU_DEP_3) | instskip(NEXT) | instid1(VALU_DEP_3)
	v_min_u32_e32 v23, 32, v23
	v_xor_b32_e32 v22, 1.0, v22
	s_delay_alu instid0(VALU_DEP_2) | instskip(SKIP_1) | instid1(VALU_DEP_3)
	v_sub_nc_u32_e32 v24, 31, v23
	v_add_lshl_u32 v19, v23, v19, 23
	v_mul_f32_e32 v23, 0x3fc90fda, v22
	s_delay_alu instid0(VALU_DEP_3) | instskip(NEXT) | instid1(VALU_DEP_3)
	v_alignbit_b32 v3, v20, v3, v24
	v_sub_nc_u32_e32 v11, v11, v19
	s_delay_alu instid0(VALU_DEP_3) | instskip(NEXT) | instid1(VALU_DEP_3)
	v_fma_f32 v19, 0x3fc90fda, v22, -v23
	v_lshrrev_b32_e32 v3, 9, v3
	s_delay_alu instid0(VALU_DEP_2) | instskip(NEXT) | instid1(VALU_DEP_2)
	v_fmac_f32_e32 v19, 0x33a22168, v22
	v_or_b32_e32 v3, v11, v3
	s_delay_alu instid0(VALU_DEP_1) | instskip(SKIP_1) | instid1(VALU_DEP_2)
	v_fmac_f32_e32 v19, 0x3fc90fda, v3
	v_lshrrev_b32_e32 v3, 30, v1
	v_add_f32_e32 v1, v23, v19
	s_delay_alu instid0(VALU_DEP_2)
	v_add_nc_u32_e32 v3, v21, v3
.LBB101_323:                            ;   in Loop: Header=BB101_180 Depth=1
	s_or_saveexec_b32 s0, s18
	v_mul_f32_e64 v11, 0x3f22f983, |v2|
	s_delay_alu instid0(VALU_DEP_1)
	v_rndne_f32_e32 v20, v11
	s_xor_b32 exec_lo, exec_lo, s0
; %bb.324:                              ;   in Loop: Header=BB101_180 Depth=1
	s_delay_alu instid0(VALU_DEP_1) | instskip(SKIP_1) | instid1(VALU_DEP_2)
	v_fma_f32 v1, 0xbfc90fda, v20, |v2|
	v_cvt_i32_f32_e32 v3, v20
	v_fmac_f32_e32 v1, 0xb3a22168, v20
	s_delay_alu instid0(VALU_DEP_1)
	v_fmac_f32_e32 v1, 0xa7c234c4, v20
; %bb.325:                              ;   in Loop: Header=BB101_180 Depth=1
	s_or_b32 exec_lo, exec_lo, s0
                                        ; implicit-def: $vgpr19
                                        ; implicit-def: $vgpr11
	s_and_saveexec_b32 s0, s17
	s_delay_alu instid0(SALU_CYCLE_1)
	s_xor_b32 s17, exec_lo, s0
	s_cbranch_execz .LBB101_327
; %bb.326:                              ;   in Loop: Header=BB101_180 Depth=1
	v_mad_u64_u32 v[19:20], null, 0xfe5163ab, v9, 0
	v_cmp_lt_u32_e32 vcc_lo, 63, v10
	v_cndmask_b32_e64 v25, 0, 0xffffffc0, vcc_lo
	s_delay_alu instid0(VALU_DEP_1) | instskip(NEXT) | instid1(VALU_DEP_1)
	v_dual_mov_b32 v11, v20 :: v_dual_add_nc_u32 v10, v25, v10
	v_mad_u64_u32 v[20:21], null, 0x3c439041, v9, v[11:12]
	s_delay_alu instid0(VALU_DEP_2) | instskip(NEXT) | instid1(VALU_DEP_1)
	v_cmp_lt_u32_e64 s0, 31, v10
	v_cndmask_b32_e64 v26, 0, 0xffffffe0, s0
	s_delay_alu instid0(VALU_DEP_1) | instskip(NEXT) | instid1(VALU_DEP_1)
	v_dual_mov_b32 v11, v21 :: v_dual_add_nc_u32 v10, v26, v10
	v_mad_u64_u32 v[21:22], null, 0xdb629599, v9, v[11:12]
	s_delay_alu instid0(VALU_DEP_2) | instskip(NEXT) | instid1(VALU_DEP_2)
	v_cmp_lt_u32_e64 s1, 31, v10
	v_mov_b32_e32 v11, v22
	s_delay_alu instid0(VALU_DEP_3) | instskip(NEXT) | instid1(VALU_DEP_2)
	v_cndmask_b32_e32 v19, v21, v19, vcc_lo
	v_mad_u64_u32 v[22:23], null, 0xf534ddc0, v9, v[11:12]
	s_delay_alu instid0(VALU_DEP_1) | instskip(NEXT) | instid1(VALU_DEP_1)
	v_mov_b32_e32 v11, v23
	v_mad_u64_u32 v[23:24], null, 0xfc2757d1, v9, v[11:12]
	s_delay_alu instid0(VALU_DEP_1) | instskip(NEXT) | instid1(VALU_DEP_1)
	v_mov_b32_e32 v11, v24
	;; [unrolled: 3-line block ×3, first 2 shown]
	v_mad_u64_u32 v[25:26], null, 0xa2f9836e, v9, v[11:12]
	v_cndmask_b32_e64 v9, 0, 0xffffffe0, s1
	s_delay_alu instid0(VALU_DEP_4) | instskip(NEXT) | instid1(VALU_DEP_2)
	v_cndmask_b32_e32 v11, v24, v22, vcc_lo
	v_dual_cndmask_b32 v10, v22, v20 :: v_dual_add_nc_u32 v9, v9, v10
	s_delay_alu instid0(VALU_DEP_4) | instskip(SKIP_1) | instid1(VALU_DEP_3)
	v_dual_cndmask_b32 v25, v25, v23 :: v_dual_cndmask_b32 v24, v26, v24
	v_cndmask_b32_e32 v23, v23, v21, vcc_lo
	v_cmp_eq_u32_e64 s2, 0, v9
	s_delay_alu instid0(VALU_DEP_3) | instskip(NEXT) | instid1(VALU_DEP_4)
	v_cndmask_b32_e64 v20, v25, v11, s0
	v_cndmask_b32_e64 v22, v24, v25, s0
	s_delay_alu instid0(VALU_DEP_4)
	v_cndmask_b32_e64 v11, v11, v23, s0
	v_sub_nc_u32_e32 v24, 32, v9
	v_cndmask_b32_e64 v23, v23, v10, s0
	v_cndmask_b32_e64 v10, v10, v19, s0
	;; [unrolled: 1-line block ×4, first 2 shown]
	s_delay_alu instid0(VALU_DEP_4) | instskip(NEXT) | instid1(VALU_DEP_4)
	v_cndmask_b32_e64 v11, v11, v23, s1
	v_cndmask_b32_e64 v10, v23, v10, s1
	s_delay_alu instid0(VALU_DEP_3) | instskip(NEXT) | instid1(VALU_DEP_3)
	v_alignbit_b32 v25, v22, v20, v24
	v_alignbit_b32 v26, v20, v11, v24
	s_delay_alu instid0(VALU_DEP_3) | instskip(NEXT) | instid1(VALU_DEP_3)
	v_alignbit_b32 v24, v11, v10, v24
	v_cndmask_b32_e64 v9, v25, v22, s2
	s_delay_alu instid0(VALU_DEP_3) | instskip(NEXT) | instid1(VALU_DEP_3)
	v_cndmask_b32_e64 v20, v26, v20, s2
	v_cndmask_b32_e64 v11, v24, v11, s2
	s_delay_alu instid0(VALU_DEP_3) | instskip(NEXT) | instid1(VALU_DEP_3)
	v_bfe_u32 v21, v9, 29, 1
	v_alignbit_b32 v19, v9, v20, 30
	s_delay_alu instid0(VALU_DEP_3) | instskip(SKIP_1) | instid1(VALU_DEP_4)
	v_alignbit_b32 v20, v20, v11, 30
	v_alignbit_b32 v10, v11, v10, 30
	v_sub_nc_u32_e32 v22, 0, v21
	s_delay_alu instid0(VALU_DEP_1) | instskip(SKIP_3) | instid1(VALU_DEP_4)
	v_xor_b32_e32 v23, v19, v22
	v_cmp_ne_u32_e32 vcc_lo, v19, v22
	v_xor_b32_e32 v11, v20, v22
	v_xor_b32_e32 v10, v10, v22
	v_clz_i32_u32_e32 v25, v23
	s_delay_alu instid0(VALU_DEP_1) | instskip(NEXT) | instid1(VALU_DEP_1)
	v_add_nc_u32_e32 v24, 1, v25
	v_cndmask_b32_e32 v19, 33, v24, vcc_lo
	s_delay_alu instid0(VALU_DEP_1) | instskip(NEXT) | instid1(VALU_DEP_1)
	v_sub_nc_u32_e32 v20, 32, v19
	v_alignbit_b32 v22, v23, v11, v20
	v_alignbit_b32 v10, v11, v10, v20
	v_lshrrev_b32_e32 v11, 29, v9
	v_lshrrev_b32_e32 v9, 30, v9
	s_delay_alu instid0(VALU_DEP_3) | instskip(NEXT) | instid1(VALU_DEP_3)
	v_alignbit_b32 v20, v22, v10, 9
	v_lshlrev_b32_e32 v11, 31, v11
	v_alignbit_b32 v22, v19, v22, 9
	s_delay_alu instid0(VALU_DEP_3) | instskip(NEXT) | instid1(VALU_DEP_2)
	v_clz_i32_u32_e32 v23, v20
	v_or_b32_e32 v22, v22, v11
	v_or_b32_e32 v11, 0x33800000, v11
	s_delay_alu instid0(VALU_DEP_3) | instskip(NEXT) | instid1(VALU_DEP_3)
	v_min_u32_e32 v23, 32, v23
	v_xor_b32_e32 v22, 1.0, v22
	s_delay_alu instid0(VALU_DEP_2) | instskip(SKIP_1) | instid1(VALU_DEP_3)
	v_sub_nc_u32_e32 v24, 31, v23
	v_add_lshl_u32 v19, v23, v19, 23
	v_mul_f32_e32 v23, 0x3fc90fda, v22
	s_delay_alu instid0(VALU_DEP_3) | instskip(NEXT) | instid1(VALU_DEP_3)
	v_alignbit_b32 v10, v20, v10, v24
	v_sub_nc_u32_e32 v11, v11, v19
	s_delay_alu instid0(VALU_DEP_3) | instskip(NEXT) | instid1(VALU_DEP_3)
	v_fma_f32 v19, 0x3fc90fda, v22, -v23
                                        ; implicit-def: $vgpr20
	v_lshrrev_b32_e32 v10, 9, v10
	s_delay_alu instid0(VALU_DEP_2) | instskip(NEXT) | instid1(VALU_DEP_2)
	v_fmac_f32_e32 v19, 0x33a22168, v22
	v_or_b32_e32 v10, v11, v10
	s_delay_alu instid0(VALU_DEP_1) | instskip(NEXT) | instid1(VALU_DEP_1)
	v_fmac_f32_e32 v19, 0x3fc90fda, v10
	v_add_f32_e32 v11, v23, v19
	v_add_nc_u32_e32 v19, v21, v9
	s_and_not1_saveexec_b32 s0, s17
	s_cbranch_execz .LBB101_176
	s_branch .LBB101_328
.LBB101_327:                            ;   in Loop: Header=BB101_180 Depth=1
	s_and_not1_saveexec_b32 s0, s17
	s_cbranch_execz .LBB101_176
.LBB101_328:                            ;   in Loop: Header=BB101_180 Depth=1
	v_fma_f32 v11, 0xbfc90fda, v20, |v2|
	v_cvt_i32_f32_e32 v19, v20
	s_delay_alu instid0(VALU_DEP_2) | instskip(NEXT) | instid1(VALU_DEP_1)
	v_fmac_f32_e32 v11, 0xb3a22168, v20
	v_fmac_f32_e32 v11, 0xa7c234c4, v20
	s_branch .LBB101_176
.LBB101_329:
	s_nop 0
	s_sendmsg sendmsg(MSG_DEALLOC_VGPRS)
	s_endpgm
	.section	.rodata,"a",@progbits
	.p2align	6, 0x0
	.amdhsa_kernel _ZN2at6native12_GLOBAL__N_125multi_tensor_apply_kernelINS1_18TensorListMetadataILi1EEENS1_14UnaryOpFunctorIN3c107complexIfEELi1ELi1ELi0EEEJNS0_3TanIS8_EEEEEvT_T0_DpT1_
		.amdhsa_group_segment_fixed_size 0
		.amdhsa_private_segment_fixed_size 0
		.amdhsa_kernarg_size 3632
		.amdhsa_user_sgpr_count 15
		.amdhsa_user_sgpr_dispatch_ptr 0
		.amdhsa_user_sgpr_queue_ptr 0
		.amdhsa_user_sgpr_kernarg_segment_ptr 1
		.amdhsa_user_sgpr_dispatch_id 0
		.amdhsa_user_sgpr_private_segment_size 0
		.amdhsa_wavefront_size32 1
		.amdhsa_uses_dynamic_stack 0
		.amdhsa_enable_private_segment 0
		.amdhsa_system_sgpr_workgroup_id_x 1
		.amdhsa_system_sgpr_workgroup_id_y 0
		.amdhsa_system_sgpr_workgroup_id_z 0
		.amdhsa_system_sgpr_workgroup_info 0
		.amdhsa_system_vgpr_workitem_id 0
		.amdhsa_next_free_vgpr 37
		.amdhsa_next_free_sgpr 35
		.amdhsa_reserve_vcc 1
		.amdhsa_float_round_mode_32 0
		.amdhsa_float_round_mode_16_64 0
		.amdhsa_float_denorm_mode_32 3
		.amdhsa_float_denorm_mode_16_64 3
		.amdhsa_dx10_clamp 1
		.amdhsa_ieee_mode 1
		.amdhsa_fp16_overflow 0
		.amdhsa_workgroup_processor_mode 1
		.amdhsa_memory_ordered 1
		.amdhsa_forward_progress 0
		.amdhsa_shared_vgpr_count 0
		.amdhsa_exception_fp_ieee_invalid_op 0
		.amdhsa_exception_fp_denorm_src 0
		.amdhsa_exception_fp_ieee_div_zero 0
		.amdhsa_exception_fp_ieee_overflow 0
		.amdhsa_exception_fp_ieee_underflow 0
		.amdhsa_exception_fp_ieee_inexact 0
		.amdhsa_exception_int_div_zero 0
	.end_amdhsa_kernel
	.section	.text._ZN2at6native12_GLOBAL__N_125multi_tensor_apply_kernelINS1_18TensorListMetadataILi1EEENS1_14UnaryOpFunctorIN3c107complexIfEELi1ELi1ELi0EEEJNS0_3TanIS8_EEEEEvT_T0_DpT1_,"axG",@progbits,_ZN2at6native12_GLOBAL__N_125multi_tensor_apply_kernelINS1_18TensorListMetadataILi1EEENS1_14UnaryOpFunctorIN3c107complexIfEELi1ELi1ELi0EEEJNS0_3TanIS8_EEEEEvT_T0_DpT1_,comdat
.Lfunc_end101:
	.size	_ZN2at6native12_GLOBAL__N_125multi_tensor_apply_kernelINS1_18TensorListMetadataILi1EEENS1_14UnaryOpFunctorIN3c107complexIfEELi1ELi1ELi0EEEJNS0_3TanIS8_EEEEEvT_T0_DpT1_, .Lfunc_end101-_ZN2at6native12_GLOBAL__N_125multi_tensor_apply_kernelINS1_18TensorListMetadataILi1EEENS1_14UnaryOpFunctorIN3c107complexIfEELi1ELi1ELi0EEEJNS0_3TanIS8_EEEEEvT_T0_DpT1_
                                        ; -- End function
	.section	.AMDGPU.csdata,"",@progbits
; Kernel info:
; codeLenInByte = 49220
; NumSgprs: 37
; NumVgprs: 37
; ScratchSize: 0
; MemoryBound: 1
; FloatMode: 240
; IeeeMode: 1
; LDSByteSize: 0 bytes/workgroup (compile time only)
; SGPRBlocks: 4
; VGPRBlocks: 4
; NumSGPRsForWavesPerEU: 37
; NumVGPRsForWavesPerEU: 37
; Occupancy: 16
; WaveLimiterHint : 0
; COMPUTE_PGM_RSRC2:SCRATCH_EN: 0
; COMPUTE_PGM_RSRC2:USER_SGPR: 15
; COMPUTE_PGM_RSRC2:TRAP_HANDLER: 0
; COMPUTE_PGM_RSRC2:TGID_X_EN: 1
; COMPUTE_PGM_RSRC2:TGID_Y_EN: 0
; COMPUTE_PGM_RSRC2:TGID_Z_EN: 0
; COMPUTE_PGM_RSRC2:TIDIG_COMP_CNT: 0
	.section	.text._ZN2at6native12_GLOBAL__N_125multi_tensor_apply_kernelINS1_18TensorListMetadataILi1EEENS1_14UnaryOpFunctorIN3c104HalfELi1ELi1ELi0EEEJNS0_3TanIfEEEEEvT_T0_DpT1_,"axG",@progbits,_ZN2at6native12_GLOBAL__N_125multi_tensor_apply_kernelINS1_18TensorListMetadataILi1EEENS1_14UnaryOpFunctorIN3c104HalfELi1ELi1ELi0EEEJNS0_3TanIfEEEEEvT_T0_DpT1_,comdat
	.globl	_ZN2at6native12_GLOBAL__N_125multi_tensor_apply_kernelINS1_18TensorListMetadataILi1EEENS1_14UnaryOpFunctorIN3c104HalfELi1ELi1ELi0EEEJNS0_3TanIfEEEEEvT_T0_DpT1_ ; -- Begin function _ZN2at6native12_GLOBAL__N_125multi_tensor_apply_kernelINS1_18TensorListMetadataILi1EEENS1_14UnaryOpFunctorIN3c104HalfELi1ELi1ELi0EEEJNS0_3TanIfEEEEEvT_T0_DpT1_
	.p2align	8
	.type	_ZN2at6native12_GLOBAL__N_125multi_tensor_apply_kernelINS1_18TensorListMetadataILi1EEENS1_14UnaryOpFunctorIN3c104HalfELi1ELi1ELi0EEEJNS0_3TanIfEEEEEvT_T0_DpT1_,@function
_ZN2at6native12_GLOBAL__N_125multi_tensor_apply_kernelINS1_18TensorListMetadataILi1EEENS1_14UnaryOpFunctorIN3c104HalfELi1ELi1ELi0EEEJNS0_3TanIfEEEEEvT_T0_DpT1_: ; @_ZN2at6native12_GLOBAL__N_125multi_tensor_apply_kernelINS1_18TensorListMetadataILi1EEENS1_14UnaryOpFunctorIN3c104HalfELi1ELi1ELi0EEEJNS0_3TanIfEEEEEvT_T0_DpT1_
; %bb.0:
	v_mov_b32_e32 v1, s15
	s_add_u32 s2, s0, s15
	s_mul_hi_u32 s3, s15, 3
	s_mul_i32 s15, s15, 3
	s_addc_u32 s4, s1, 0
	global_load_u8 v1, v1, s[0:1] offset:1760
	s_add_u32 s2, s2, s15
	s_addc_u32 s3, s4, s3
	s_mov_b32 s7, 0
	s_load_b32 s2, s[2:3], 0x820
	s_waitcnt vmcnt(0)
	v_readfirstlane_b32 s5, v1
	s_delay_alu instid0(VALU_DEP_1)
	s_lshl_b32 s3, s5, 3
	s_clause 0x1
	s_load_b64 s[12:13], s[0:1], s3 offset:0x0
	s_load_b64 s[4:5], s[0:1], s3 offset:0x370
	s_waitcnt lgkmcnt(0)
	s_ashr_i32 s3, s2, 31
	s_delay_alu instid0(SALU_CYCLE_1)
	s_lshl_b64 s[14:15], s[2:3], 17
	s_lshl_b64 s[2:3], s[2:3], 16
	s_and_b32 s6, s12, 7
	s_sub_u32 s10, s4, s2
	s_subb_u32 s11, s5, s3
	s_and_b32 s2, s4, 3
	s_mov_b32 s3, s7
	s_delay_alu instid0(SALU_CYCLE_1) | instskip(NEXT) | instid1(SALU_CYCLE_1)
	s_or_b64 s[2:3], s[6:7], s[2:3]
	s_cmp_eq_u64 s[2:3], 0
	s_cbranch_scc1 .LBB102_37
; %bb.1:
	v_cmp_lt_i64_e64 s2, s[10:11], 1
	s_delay_alu instid0(VALU_DEP_1)
	s_and_b32 vcc_lo, exec_lo, s2
	s_cbranch_vccnz .LBB102_36
; %bb.2:
	s_load_b32 s2, s[0:1], 0xd3c
	v_cmp_gt_u64_e64 s3, 0x10000, s[10:11]
	v_dual_mov_b32 v2, 0 :: v_dual_lshlrev_b32 v1, 1, v0
	s_mov_b64 s[18:19], 0
	s_mov_b32 s22, 0x7fffff
	s_mov_b32 s23, 0xbc8cedd3
	;; [unrolled: 1-line block ×3, first 2 shown]
	s_waitcnt lgkmcnt(0)
	s_and_b32 s2, s2, 0xffff
	s_and_b32 s3, s3, exec_lo
	v_add_co_u32 v7, s5, v0, s2
	s_cselect_b32 s17, s11, 0
	s_cselect_b32 s16, s10, 0x10000
	s_lshl_b32 s3, s2, 1
	s_mul_i32 s4, s2, 3
	s_lshl_b32 s9, s2, 2
	v_add_co_ci_u32_e64 v8, null, 0, 0, s5
	s_add_u32 s5, s12, s14
	s_mul_i32 s20, s2, 6
	s_addc_u32 s6, s13, s15
	s_lshl_b32 s21, s2, 3
	v_add_co_u32 v9, s2, s4, v0
	s_delay_alu instid0(VALU_DEP_1) | instskip(SKIP_4) | instid1(VALU_DEP_1)
	v_add_co_ci_u32_e64 v10, null, 0, 0, s2
	v_add_co_u32 v3, s2, s5, v1
	v_lshlrev_b32_e32 v1, 1, v7
	v_add_co_ci_u32_e64 v4, null, s6, 0, s2
	v_add_co_u32 v11, s2, s3, v0
	v_add_co_ci_u32_e64 v12, null, 0, 0, s2
	s_delay_alu instid0(VALU_DEP_4) | instskip(NEXT) | instid1(VALU_DEP_1)
	v_add_co_u32 v5, s2, s5, v1
	v_add_co_ci_u32_e64 v6, null, s6, 0, s2
	s_branch .LBB102_4
.LBB102_3:                              ;   in Loop: Header=BB102_4 Depth=1
	s_or_b32 exec_lo, exec_lo, s2
	s_add_u32 s18, s18, s9
	s_addc_u32 s19, s19, 0
	v_add_co_u32 v3, vcc_lo, v3, s21
	v_cmp_ge_i64_e64 s2, s[18:19], s[10:11]
	v_cmp_lt_u64_e64 s3, 0xffff, s[18:19]
	v_add_co_ci_u32_e32 v4, vcc_lo, 0, v4, vcc_lo
	v_add_co_u32 v5, vcc_lo, v5, s21
	v_add_co_ci_u32_e32 v6, vcc_lo, 0, v6, vcc_lo
	s_delay_alu instid0(VALU_DEP_4) | instskip(NEXT) | instid1(SALU_CYCLE_1)
	s_or_b32 s2, s2, s3
	s_and_b32 vcc_lo, exec_lo, s2
	s_cbranch_vccnz .LBB102_36
.LBB102_4:                              ; =>This Inner Loop Header: Depth=1
	v_add_co_u32 v13, s2, v0, s18
	s_delay_alu instid0(VALU_DEP_1) | instskip(SKIP_1) | instid1(VALU_DEP_2)
	v_add_co_ci_u32_e64 v14, null, 0, s19, s2
	v_mov_b32_e32 v1, 0
	v_cmp_gt_u64_e64 s4, s[16:17], v[13:14]
	s_delay_alu instid0(VALU_DEP_1)
	s_and_saveexec_b32 s2, s4
	s_cbranch_execz .LBB102_6
; %bb.5:                                ;   in Loop: Header=BB102_4 Depth=1
	global_load_u16 v1, v[3:4], off
.LBB102_6:                              ;   in Loop: Header=BB102_4 Depth=1
	s_or_b32 exec_lo, exec_lo, s2
	v_add_co_u32 v13, vcc_lo, v7, s18
	v_add_co_ci_u32_e32 v14, vcc_lo, s19, v8, vcc_lo
	v_mov_b32_e32 v17, 0
	s_delay_alu instid0(VALU_DEP_2) | instskip(NEXT) | instid1(VALU_DEP_1)
	v_cmp_gt_u64_e64 s3, s[16:17], v[13:14]
	s_and_saveexec_b32 s2, s3
	s_cbranch_execz .LBB102_8
; %bb.7:                                ;   in Loop: Header=BB102_4 Depth=1
	global_load_u16 v17, v[5:6], off
.LBB102_8:                              ;   in Loop: Header=BB102_4 Depth=1
	s_or_b32 exec_lo, exec_lo, s2
	v_add_co_u32 v13, vcc_lo, v11, s18
	v_add_co_ci_u32_e32 v14, vcc_lo, s19, v12, vcc_lo
	v_mov_b32_e32 v19, 0
	v_mov_b32_e32 v21, 0
	s_delay_alu instid0(VALU_DEP_3) | instskip(NEXT) | instid1(VALU_DEP_1)
	v_cmp_gt_u64_e64 s2, s[16:17], v[13:14]
	s_and_saveexec_b32 s5, s2
	s_cbranch_execz .LBB102_10
; %bb.9:                                ;   in Loop: Header=BB102_4 Depth=1
	v_add_co_u32 v13, vcc_lo, v3, s9
	v_add_co_ci_u32_e32 v14, vcc_lo, 0, v4, vcc_lo
	global_load_u16 v21, v[13:14], off
.LBB102_10:                             ;   in Loop: Header=BB102_4 Depth=1
	s_or_b32 exec_lo, exec_lo, s5
	v_add_co_u32 v13, vcc_lo, v9, s18
	v_add_co_ci_u32_e32 v14, vcc_lo, s19, v10, vcc_lo
	s_delay_alu instid0(VALU_DEP_1)
	v_cmp_gt_u64_e32 vcc_lo, s[16:17], v[13:14]
	s_and_saveexec_b32 s6, vcc_lo
	s_cbranch_execz .LBB102_12
; %bb.11:                               ;   in Loop: Header=BB102_4 Depth=1
	v_add_co_u32 v13, s5, v3, s20
	s_delay_alu instid0(VALU_DEP_1)
	v_add_co_ci_u32_e64 v14, s5, 0, v4, s5
	global_load_u16 v19, v[13:14], off
.LBB102_12:                             ;   in Loop: Header=BB102_4 Depth=1
	s_or_b32 exec_lo, exec_lo, s6
	s_waitcnt vmcnt(0)
	v_cvt_f32_f16_e32 v13, v1
                                        ; implicit-def: $vgpr16
                                        ; implicit-def: $vgpr15
	s_mov_b32 s6, exec_lo
	s_delay_alu instid0(VALU_DEP_1)
	v_and_b32_e32 v14, 0x7fffffff, v13
	v_cmpx_ngt_f32_e64 0x48000000, |v13|
	s_xor_b32 s25, exec_lo, s6
	s_cbranch_execz .LBB102_14
; %bb.13:                               ;   in Loop: Header=BB102_4 Depth=1
	s_delay_alu instid0(VALU_DEP_2) | instskip(NEXT) | instid1(VALU_DEP_1)
	v_and_or_b32 v18, v14, s22, 0x800000
	v_mad_u64_u32 v[15:16], null, 0xfe5163ab, v18, 0
	s_delay_alu instid0(VALU_DEP_1) | instskip(SKIP_1) | instid1(VALU_DEP_1)
	v_mov_b32_e32 v1, v16
	v_lshrrev_b32_e32 v16, 23, v14
	v_add_nc_u32_e32 v16, 0xffffff88, v16
	s_delay_alu instid0(VALU_DEP_3) | instskip(NEXT) | instid1(VALU_DEP_2)
	v_mad_u64_u32 v[22:23], null, 0x3c439041, v18, v[1:2]
	v_cmp_lt_u32_e64 s5, 63, v16
	s_delay_alu instid0(VALU_DEP_1) | instskip(NEXT) | instid1(VALU_DEP_1)
	v_cndmask_b32_e64 v20, 0, 0xffffffc0, s5
	v_dual_mov_b32 v1, v23 :: v_dual_add_nc_u32 v16, v20, v16
	s_delay_alu instid0(VALU_DEP_1) | instskip(NEXT) | instid1(VALU_DEP_2)
	v_mad_u64_u32 v[23:24], null, 0xdb629599, v18, v[1:2]
	v_cmp_lt_u32_e64 s6, 31, v16
	s_delay_alu instid0(VALU_DEP_2) | instskip(NEXT) | instid1(VALU_DEP_2)
	v_mov_b32_e32 v1, v24
	v_cndmask_b32_e64 v20, 0, 0xffffffe0, s6
	s_delay_alu instid0(VALU_DEP_4) | instskip(NEXT) | instid1(VALU_DEP_3)
	v_cndmask_b32_e64 v15, v23, v15, s5
	v_mad_u64_u32 v[24:25], null, 0xf534ddc0, v18, v[1:2]
	s_delay_alu instid0(VALU_DEP_3) | instskip(NEXT) | instid1(VALU_DEP_1)
	v_add_nc_u32_e32 v16, v20, v16
	v_cmp_lt_u32_e64 s7, 31, v16
	s_delay_alu instid0(VALU_DEP_3) | instskip(NEXT) | instid1(VALU_DEP_1)
	v_mov_b32_e32 v1, v25
	v_mad_u64_u32 v[25:26], null, 0xfc2757d1, v18, v[1:2]
	s_delay_alu instid0(VALU_DEP_1) | instskip(NEXT) | instid1(VALU_DEP_1)
	v_mov_b32_e32 v1, v26
	v_mad_u64_u32 v[26:27], null, 0x4e441529, v18, v[1:2]
	s_delay_alu instid0(VALU_DEP_1) | instskip(NEXT) | instid1(VALU_DEP_1)
	v_mov_b32_e32 v1, v27
	v_mad_u64_u32 v[27:28], null, 0xa2f9836e, v18, v[1:2]
	v_cndmask_b32_e64 v1, 0, 0xffffffe0, s7
	s_delay_alu instid0(VALU_DEP_4) | instskip(NEXT) | instid1(VALU_DEP_2)
	v_cndmask_b32_e64 v18, v26, v24, s5
	v_add_nc_u32_e32 v1, v1, v16
	s_delay_alu instid0(VALU_DEP_4)
	v_cndmask_b32_e64 v20, v27, v25, s5
	v_cndmask_b32_e64 v26, v28, v26, s5
	;; [unrolled: 1-line block ×4, first 2 shown]
	v_sub_nc_u32_e32 v24, 32, v1
	v_cndmask_b32_e64 v22, v20, v18, s6
	v_cndmask_b32_e64 v20, v26, v20, s6
	;; [unrolled: 1-line block ×4, first 2 shown]
	v_cmp_eq_u32_e64 s8, 0, v1
	v_cndmask_b32_e64 v15, v16, v15, s6
	v_cndmask_b32_e64 v20, v20, v22, s7
	;; [unrolled: 1-line block ×4, first 2 shown]
	s_delay_alu instid0(VALU_DEP_4) | instskip(NEXT) | instid1(VALU_DEP_3)
	v_cndmask_b32_e64 v15, v25, v15, s7
	v_alignbit_b32 v26, v20, v22, v24
	s_delay_alu instid0(VALU_DEP_3) | instskip(NEXT) | instid1(VALU_DEP_3)
	v_alignbit_b32 v27, v22, v18, v24
	v_alignbit_b32 v24, v18, v15, v24
	s_delay_alu instid0(VALU_DEP_3) | instskip(NEXT) | instid1(VALU_DEP_3)
	v_cndmask_b32_e64 v1, v26, v20, s8
	v_cndmask_b32_e64 v20, v27, v22, s8
	s_delay_alu instid0(VALU_DEP_3) | instskip(NEXT) | instid1(VALU_DEP_3)
	v_cndmask_b32_e64 v18, v24, v18, s8
	v_bfe_u32 v22, v1, 29, 1
	s_delay_alu instid0(VALU_DEP_3) | instskip(NEXT) | instid1(VALU_DEP_3)
	v_alignbit_b32 v16, v1, v20, 30
	v_alignbit_b32 v20, v20, v18, 30
	v_alignbit_b32 v15, v18, v15, 30
	s_delay_alu instid0(VALU_DEP_4) | instskip(NEXT) | instid1(VALU_DEP_1)
	v_sub_nc_u32_e32 v23, 0, v22
	v_xor_b32_e32 v25, v16, v23
	v_cmp_ne_u32_e64 s5, v16, v23
	v_xor_b32_e32 v18, v20, v23
	v_xor_b32_e32 v15, v15, v23
	s_delay_alu instid0(VALU_DEP_4) | instskip(NEXT) | instid1(VALU_DEP_1)
	v_clz_i32_u32_e32 v26, v25
	v_add_nc_u32_e32 v24, 1, v26
	s_delay_alu instid0(VALU_DEP_1) | instskip(NEXT) | instid1(VALU_DEP_1)
	v_cndmask_b32_e64 v16, 33, v24, s5
	v_sub_nc_u32_e32 v20, 32, v16
	s_delay_alu instid0(VALU_DEP_1) | instskip(SKIP_3) | instid1(VALU_DEP_3)
	v_alignbit_b32 v23, v25, v18, v20
	v_alignbit_b32 v15, v18, v15, v20
	v_lshrrev_b32_e32 v18, 29, v1
	v_lshrrev_b32_e32 v1, 30, v1
	v_alignbit_b32 v20, v23, v15, 9
	s_delay_alu instid0(VALU_DEP_3) | instskip(SKIP_1) | instid1(VALU_DEP_3)
	v_lshlrev_b32_e32 v18, 31, v18
	v_alignbit_b32 v23, v16, v23, 9
	v_clz_i32_u32_e32 v24, v20
	s_delay_alu instid0(VALU_DEP_2) | instskip(SKIP_1) | instid1(VALU_DEP_3)
	v_or_b32_e32 v23, v23, v18
	v_or_b32_e32 v18, 0x33800000, v18
	v_min_u32_e32 v24, 32, v24
	s_delay_alu instid0(VALU_DEP_3) | instskip(NEXT) | instid1(VALU_DEP_2)
	v_xor_b32_e32 v23, 1.0, v23
	v_sub_nc_u32_e32 v25, 31, v24
	v_add_lshl_u32 v16, v24, v16, 23
	s_delay_alu instid0(VALU_DEP_3) | instskip(NEXT) | instid1(VALU_DEP_3)
	v_mul_f32_e32 v24, 0x3fc90fda, v23
	v_alignbit_b32 v15, v20, v15, v25
	s_delay_alu instid0(VALU_DEP_3) | instskip(NEXT) | instid1(VALU_DEP_3)
	v_sub_nc_u32_e32 v16, v18, v16
	v_fma_f32 v18, 0x3fc90fda, v23, -v24
	s_delay_alu instid0(VALU_DEP_3) | instskip(NEXT) | instid1(VALU_DEP_2)
	v_lshrrev_b32_e32 v15, 9, v15
	v_fmac_f32_e32 v18, 0x33a22168, v23
	s_delay_alu instid0(VALU_DEP_2) | instskip(SKIP_1) | instid1(VALU_DEP_2)
	v_or_b32_e32 v15, v16, v15
	v_add_nc_u32_e32 v16, v22, v1
	v_fmac_f32_e32 v18, 0x3fc90fda, v15
	s_delay_alu instid0(VALU_DEP_1)
	v_add_f32_e32 v15, v24, v18
.LBB102_14:                             ;   in Loop: Header=BB102_4 Depth=1
	s_and_not1_saveexec_b32 s5, s25
; %bb.15:                               ;   in Loop: Header=BB102_4 Depth=1
	v_mul_f32_e64 v1, 0x3f22f983, |v13|
	s_delay_alu instid0(VALU_DEP_1) | instskip(NEXT) | instid1(VALU_DEP_1)
	v_rndne_f32_e32 v1, v1
	v_fma_f32 v15, 0xbfc90fda, v1, |v13|
	v_cvt_i32_f32_e32 v16, v1
	s_delay_alu instid0(VALU_DEP_2) | instskip(NEXT) | instid1(VALU_DEP_1)
	v_fmac_f32_e32 v15, 0xb3a22168, v1
	v_fmac_f32_e32 v15, 0xa7c234c4, v1
; %bb.16:                               ;   in Loop: Header=BB102_4 Depth=1
	s_or_b32 exec_lo, exec_lo, s5
	v_cvt_f32_f16_e32 v17, v17
                                        ; implicit-def: $vgpr22
                                        ; implicit-def: $vgpr20
	s_mov_b32 s6, exec_lo
	s_delay_alu instid0(VALU_DEP_1)
	v_and_b32_e32 v18, 0x7fffffff, v17
	v_cmpx_ngt_f32_e64 0x48000000, |v17|
	s_xor_b32 s25, exec_lo, s6
	s_cbranch_execz .LBB102_18
; %bb.17:                               ;   in Loop: Header=BB102_4 Depth=1
	s_delay_alu instid0(VALU_DEP_2) | instskip(SKIP_1) | instid1(VALU_DEP_2)
	v_and_or_b32 v20, v18, s22, 0x800000
	v_lshrrev_b32_e32 v27, 23, v18
	v_mad_u64_u32 v[22:23], null, 0xfe5163ab, v20, 0
	s_delay_alu instid0(VALU_DEP_2) | instskip(NEXT) | instid1(VALU_DEP_1)
	v_add_nc_u32_e32 v28, 0xffffff88, v27
	v_cmp_lt_u32_e64 s5, 63, v28
	s_delay_alu instid0(VALU_DEP_3) | instskip(NEXT) | instid1(VALU_DEP_2)
	v_mov_b32_e32 v1, v23
	v_cndmask_b32_e64 v29, 0, 0xffffffc0, s5
	s_delay_alu instid0(VALU_DEP_2) | instskip(NEXT) | instid1(VALU_DEP_2)
	v_mad_u64_u32 v[23:24], null, 0x3c439041, v20, v[1:2]
	v_add_nc_u32_e32 v29, v29, v28
	s_delay_alu instid0(VALU_DEP_1) | instskip(NEXT) | instid1(VALU_DEP_1)
	v_cmp_lt_u32_e64 s6, 31, v29
	v_cndmask_b32_e64 v30, 0, 0xffffffe0, s6
	s_delay_alu instid0(VALU_DEP_1) | instskip(NEXT) | instid1(VALU_DEP_1)
	v_dual_mov_b32 v1, v24 :: v_dual_add_nc_u32 v30, v30, v29
	v_mad_u64_u32 v[24:25], null, 0xdb629599, v20, v[1:2]
	s_delay_alu instid0(VALU_DEP_2) | instskip(NEXT) | instid1(VALU_DEP_2)
	v_cmp_lt_u32_e64 s7, 31, v30
	v_mov_b32_e32 v1, v25
	s_delay_alu instid0(VALU_DEP_3) | instskip(NEXT) | instid1(VALU_DEP_2)
	v_cndmask_b32_e64 v22, v24, v22, s5
	v_mad_u64_u32 v[25:26], null, 0xf534ddc0, v20, v[1:2]
	s_delay_alu instid0(VALU_DEP_1) | instskip(NEXT) | instid1(VALU_DEP_2)
	v_mov_b32_e32 v1, v26
	v_cndmask_b32_e64 v23, v25, v23, s5
	s_delay_alu instid0(VALU_DEP_2) | instskip(NEXT) | instid1(VALU_DEP_2)
	v_mad_u64_u32 v[26:27], null, 0xfc2757d1, v20, v[1:2]
	v_cndmask_b32_e64 v22, v23, v22, s6
	s_delay_alu instid0(VALU_DEP_2) | instskip(NEXT) | instid1(VALU_DEP_1)
	v_mov_b32_e32 v1, v27
	v_mad_u64_u32 v[27:28], null, 0x4e441529, v20, v[1:2]
	s_delay_alu instid0(VALU_DEP_1) | instskip(NEXT) | instid1(VALU_DEP_1)
	v_mov_b32_e32 v1, v28
	v_mad_u64_u32 v[28:29], null, 0xa2f9836e, v20, v[1:2]
	v_cndmask_b32_e64 v1, 0, 0xffffffe0, s7
	s_delay_alu instid0(VALU_DEP_4) | instskip(NEXT) | instid1(VALU_DEP_2)
	v_cndmask_b32_e64 v20, v27, v25, s5
	v_add_nc_u32_e32 v1, v1, v30
	s_delay_alu instid0(VALU_DEP_4) | instskip(SKIP_2) | instid1(VALU_DEP_4)
	v_cndmask_b32_e64 v28, v28, v26, s5
	v_cndmask_b32_e64 v27, v29, v27, s5
	v_cndmask_b32_e64 v26, v26, v24, s5
	v_cmp_eq_u32_e64 s8, 0, v1
	s_delay_alu instid0(VALU_DEP_4) | instskip(NEXT) | instid1(VALU_DEP_4)
	v_cndmask_b32_e64 v25, v28, v20, s6
	v_cndmask_b32_e64 v27, v27, v28, s6
	s_delay_alu instid0(VALU_DEP_4) | instskip(SKIP_2) | instid1(VALU_DEP_4)
	v_cndmask_b32_e64 v20, v20, v26, s6
	v_sub_nc_u32_e32 v28, 32, v1
	v_cndmask_b32_e64 v26, v26, v23, s6
	v_cndmask_b32_e64 v27, v27, v25, s7
	s_delay_alu instid0(VALU_DEP_4) | instskip(NEXT) | instid1(VALU_DEP_3)
	v_cndmask_b32_e64 v25, v25, v20, s7
	v_cndmask_b32_e64 v20, v20, v26, s7
	;; [unrolled: 1-line block ×3, first 2 shown]
	s_delay_alu instid0(VALU_DEP_3) | instskip(NEXT) | instid1(VALU_DEP_3)
	v_alignbit_b32 v29, v27, v25, v28
	v_alignbit_b32 v30, v25, v20, v28
	s_delay_alu instid0(VALU_DEP_3) | instskip(NEXT) | instid1(VALU_DEP_3)
	v_alignbit_b32 v28, v20, v22, v28
	v_cndmask_b32_e64 v1, v29, v27, s8
	s_delay_alu instid0(VALU_DEP_3) | instskip(NEXT) | instid1(VALU_DEP_3)
	v_cndmask_b32_e64 v24, v30, v25, s8
	v_cndmask_b32_e64 v20, v28, v20, s8
	s_delay_alu instid0(VALU_DEP_3) | instskip(NEXT) | instid1(VALU_DEP_3)
	v_bfe_u32 v25, v1, 29, 1
	v_alignbit_b32 v23, v1, v24, 30
	s_delay_alu instid0(VALU_DEP_3) | instskip(SKIP_1) | instid1(VALU_DEP_4)
	v_alignbit_b32 v24, v24, v20, 30
	v_alignbit_b32 v20, v20, v22, 30
	v_sub_nc_u32_e32 v27, 0, v25
	s_delay_alu instid0(VALU_DEP_1) | instskip(SKIP_3) | instid1(VALU_DEP_4)
	v_xor_b32_e32 v26, v23, v27
	v_cmp_ne_u32_e64 s5, v23, v27
	v_xor_b32_e32 v22, v24, v27
	v_xor_b32_e32 v20, v20, v27
	v_clz_i32_u32_e32 v29, v26
	s_delay_alu instid0(VALU_DEP_1) | instskip(NEXT) | instid1(VALU_DEP_1)
	v_add_nc_u32_e32 v28, 1, v29
	v_cndmask_b32_e64 v23, 33, v28, s5
	s_delay_alu instid0(VALU_DEP_1) | instskip(NEXT) | instid1(VALU_DEP_1)
	v_sub_nc_u32_e32 v24, 32, v23
	v_alignbit_b32 v26, v26, v22, v24
	v_alignbit_b32 v20, v22, v20, v24
	v_lshrrev_b32_e32 v22, 29, v1
	v_lshrrev_b32_e32 v1, 30, v1
	s_delay_alu instid0(VALU_DEP_3) | instskip(NEXT) | instid1(VALU_DEP_3)
	v_alignbit_b32 v24, v26, v20, 9
	v_lshlrev_b32_e32 v22, 31, v22
	v_alignbit_b32 v26, v23, v26, 9
	s_delay_alu instid0(VALU_DEP_3) | instskip(NEXT) | instid1(VALU_DEP_2)
	v_clz_i32_u32_e32 v27, v24
	v_or_b32_e32 v26, v26, v22
	v_or_b32_e32 v22, 0x33800000, v22
	s_delay_alu instid0(VALU_DEP_3) | instskip(NEXT) | instid1(VALU_DEP_3)
	v_min_u32_e32 v27, 32, v27
	v_xor_b32_e32 v26, 1.0, v26
	s_delay_alu instid0(VALU_DEP_2) | instskip(SKIP_1) | instid1(VALU_DEP_3)
	v_sub_nc_u32_e32 v28, 31, v27
	v_add_lshl_u32 v23, v27, v23, 23
	v_mul_f32_e32 v27, 0x3fc90fda, v26
	s_delay_alu instid0(VALU_DEP_3) | instskip(NEXT) | instid1(VALU_DEP_3)
	v_alignbit_b32 v20, v24, v20, v28
	v_sub_nc_u32_e32 v22, v22, v23
	s_delay_alu instid0(VALU_DEP_2) | instskip(NEXT) | instid1(VALU_DEP_1)
	v_lshrrev_b32_e32 v20, 9, v20
	v_or_b32_e32 v20, v22, v20
	v_add_nc_u32_e32 v22, v25, v1
	v_fma_f32 v23, 0x3fc90fda, v26, -v27
	s_delay_alu instid0(VALU_DEP_1) | instskip(NEXT) | instid1(VALU_DEP_1)
	v_fmac_f32_e32 v23, 0x33a22168, v26
	v_fmac_f32_e32 v23, 0x3fc90fda, v20
	s_delay_alu instid0(VALU_DEP_1)
	v_add_f32_e32 v20, v27, v23
.LBB102_18:                             ;   in Loop: Header=BB102_4 Depth=1
	s_and_not1_saveexec_b32 s5, s25
; %bb.19:                               ;   in Loop: Header=BB102_4 Depth=1
	v_mul_f32_e64 v1, 0x3f22f983, |v17|
	s_delay_alu instid0(VALU_DEP_1) | instskip(NEXT) | instid1(VALU_DEP_1)
	v_rndne_f32_e32 v1, v1
	v_fma_f32 v20, 0xbfc90fda, v1, |v17|
	v_cvt_i32_f32_e32 v22, v1
	s_delay_alu instid0(VALU_DEP_2) | instskip(NEXT) | instid1(VALU_DEP_1)
	v_fmac_f32_e32 v20, 0xb3a22168, v1
	v_fmac_f32_e32 v20, 0xa7c234c4, v1
; %bb.20:                               ;   in Loop: Header=BB102_4 Depth=1
	s_or_b32 exec_lo, exec_lo, s5
	v_cvt_f32_f16_e32 v21, v21
                                        ; implicit-def: $vgpr26
                                        ; implicit-def: $vgpr25
	s_mov_b32 s6, exec_lo
	s_delay_alu instid0(VALU_DEP_1)
	v_and_b32_e32 v23, 0x7fffffff, v21
	v_cmpx_ngt_f32_e64 0x48000000, |v21|
	s_xor_b32 s25, exec_lo, s6
	s_cbranch_execz .LBB102_22
; %bb.21:                               ;   in Loop: Header=BB102_4 Depth=1
	s_delay_alu instid0(VALU_DEP_2) | instskip(SKIP_1) | instid1(VALU_DEP_2)
	v_and_or_b32 v32, v23, s22, 0x800000
	v_lshrrev_b32_e32 v29, 23, v23
	v_mad_u64_u32 v[24:25], null, 0xfe5163ab, v32, 0
	s_delay_alu instid0(VALU_DEP_2) | instskip(NEXT) | instid1(VALU_DEP_1)
	v_add_nc_u32_e32 v30, 0xffffff88, v29
	v_cmp_lt_u32_e64 s5, 63, v30
	s_delay_alu instid0(VALU_DEP_3) | instskip(NEXT) | instid1(VALU_DEP_2)
	v_mov_b32_e32 v1, v25
	v_cndmask_b32_e64 v31, 0, 0xffffffc0, s5
	s_delay_alu instid0(VALU_DEP_2) | instskip(NEXT) | instid1(VALU_DEP_2)
	v_mad_u64_u32 v[25:26], null, 0x3c439041, v32, v[1:2]
	v_add_nc_u32_e32 v31, v31, v30
	s_delay_alu instid0(VALU_DEP_2) | instskip(NEXT) | instid1(VALU_DEP_2)
	v_mov_b32_e32 v1, v26
	v_cmp_lt_u32_e64 s6, 31, v31
	s_delay_alu instid0(VALU_DEP_2) | instskip(NEXT) | instid1(VALU_DEP_2)
	v_mad_u64_u32 v[26:27], null, 0xdb629599, v32, v[1:2]
	v_cndmask_b32_e64 v33, 0, 0xffffffe0, s6
	s_delay_alu instid0(VALU_DEP_1) | instskip(NEXT) | instid1(VALU_DEP_3)
	v_add_nc_u32_e32 v33, v33, v31
	v_mov_b32_e32 v1, v27
	s_delay_alu instid0(VALU_DEP_4) | instskip(NEXT) | instid1(VALU_DEP_3)
	v_cndmask_b32_e64 v24, v26, v24, s5
	v_cmp_lt_u32_e64 s7, 31, v33
	s_delay_alu instid0(VALU_DEP_3) | instskip(NEXT) | instid1(VALU_DEP_1)
	v_mad_u64_u32 v[27:28], null, 0xf534ddc0, v32, v[1:2]
	v_mov_b32_e32 v1, v28
	s_delay_alu instid0(VALU_DEP_2) | instskip(NEXT) | instid1(VALU_DEP_2)
	v_cndmask_b32_e64 v25, v27, v25, s5
	v_mad_u64_u32 v[28:29], null, 0xfc2757d1, v32, v[1:2]
	s_delay_alu instid0(VALU_DEP_2) | instskip(NEXT) | instid1(VALU_DEP_2)
	v_cndmask_b32_e64 v24, v25, v24, s6
	v_mov_b32_e32 v1, v29
	s_delay_alu instid0(VALU_DEP_1) | instskip(NEXT) | instid1(VALU_DEP_1)
	v_mad_u64_u32 v[29:30], null, 0x4e441529, v32, v[1:2]
	v_mov_b32_e32 v1, v30
	s_delay_alu instid0(VALU_DEP_1) | instskip(SKIP_1) | instid1(VALU_DEP_4)
	v_mad_u64_u32 v[30:31], null, 0xa2f9836e, v32, v[1:2]
	v_cndmask_b32_e64 v1, 0, 0xffffffe0, s7
	v_cndmask_b32_e64 v32, v29, v27, s5
	s_delay_alu instid0(VALU_DEP_2) | instskip(NEXT) | instid1(VALU_DEP_4)
	v_add_nc_u32_e32 v1, v1, v33
	v_cndmask_b32_e64 v30, v30, v28, s5
	v_cndmask_b32_e64 v29, v31, v29, s5
	;; [unrolled: 1-line block ×3, first 2 shown]
	s_delay_alu instid0(VALU_DEP_4) | instskip(NEXT) | instid1(VALU_DEP_4)
	v_sub_nc_u32_e32 v31, 32, v1
	v_cndmask_b32_e64 v27, v30, v32, s6
	s_delay_alu instid0(VALU_DEP_4) | instskip(NEXT) | instid1(VALU_DEP_4)
	v_cndmask_b32_e64 v29, v29, v30, s6
	v_cndmask_b32_e64 v30, v32, v28, s6
	;; [unrolled: 1-line block ×3, first 2 shown]
	v_cmp_eq_u32_e64 s8, 0, v1
	s_delay_alu instid0(VALU_DEP_4) | instskip(NEXT) | instid1(VALU_DEP_4)
	v_cndmask_b32_e64 v29, v29, v27, s7
	v_cndmask_b32_e64 v27, v27, v30, s7
	s_delay_alu instid0(VALU_DEP_4) | instskip(SKIP_1) | instid1(VALU_DEP_3)
	v_cndmask_b32_e64 v30, v30, v28, s7
	v_cndmask_b32_e64 v24, v28, v24, s7
	v_alignbit_b32 v32, v29, v27, v31
	s_delay_alu instid0(VALU_DEP_3) | instskip(NEXT) | instid1(VALU_DEP_3)
	v_alignbit_b32 v33, v27, v30, v31
	v_alignbit_b32 v31, v30, v24, v31
	s_delay_alu instid0(VALU_DEP_3) | instskip(NEXT) | instid1(VALU_DEP_3)
	v_cndmask_b32_e64 v1, v32, v29, s8
	v_cndmask_b32_e64 v26, v33, v27, s8
	s_delay_alu instid0(VALU_DEP_3) | instskip(NEXT) | instid1(VALU_DEP_3)
	v_cndmask_b32_e64 v30, v31, v30, s8
	v_bfe_u32 v27, v1, 29, 1
	s_delay_alu instid0(VALU_DEP_3) | instskip(NEXT) | instid1(VALU_DEP_3)
	v_alignbit_b32 v25, v1, v26, 30
	v_alignbit_b32 v26, v26, v30, 30
	;; [unrolled: 1-line block ×3, first 2 shown]
	s_delay_alu instid0(VALU_DEP_4) | instskip(NEXT) | instid1(VALU_DEP_1)
	v_sub_nc_u32_e32 v29, 0, v27
	v_xor_b32_e32 v28, v25, v29
	v_cmp_ne_u32_e64 s5, v25, v29
	v_xor_b32_e32 v26, v26, v29
	v_xor_b32_e32 v24, v24, v29
	s_delay_alu instid0(VALU_DEP_4) | instskip(NEXT) | instid1(VALU_DEP_1)
	v_clz_i32_u32_e32 v32, v28
	v_add_nc_u32_e32 v31, 1, v32
	s_delay_alu instid0(VALU_DEP_1) | instskip(NEXT) | instid1(VALU_DEP_1)
	v_cndmask_b32_e64 v25, 33, v31, s5
	v_sub_nc_u32_e32 v30, 32, v25
	s_delay_alu instid0(VALU_DEP_1) | instskip(SKIP_3) | instid1(VALU_DEP_3)
	v_alignbit_b32 v28, v28, v26, v30
	v_alignbit_b32 v24, v26, v24, v30
	v_lshrrev_b32_e32 v26, 29, v1
	v_lshrrev_b32_e32 v1, 30, v1
	v_alignbit_b32 v29, v28, v24, 9
	s_delay_alu instid0(VALU_DEP_3) | instskip(SKIP_1) | instid1(VALU_DEP_3)
	v_lshlrev_b32_e32 v26, 31, v26
	v_alignbit_b32 v28, v25, v28, 9
	v_clz_i32_u32_e32 v30, v29
	s_delay_alu instid0(VALU_DEP_2) | instskip(SKIP_1) | instid1(VALU_DEP_3)
	v_or_b32_e32 v28, v28, v26
	v_or_b32_e32 v26, 0x33800000, v26
	v_min_u32_e32 v30, 32, v30
	s_delay_alu instid0(VALU_DEP_3) | instskip(NEXT) | instid1(VALU_DEP_2)
	v_xor_b32_e32 v28, 1.0, v28
	v_sub_nc_u32_e32 v31, 31, v30
	v_add_lshl_u32 v25, v30, v25, 23
	s_delay_alu instid0(VALU_DEP_3) | instskip(NEXT) | instid1(VALU_DEP_3)
	v_mul_f32_e32 v30, 0x3fc90fda, v28
	v_alignbit_b32 v24, v29, v24, v31
	s_delay_alu instid0(VALU_DEP_3) | instskip(NEXT) | instid1(VALU_DEP_3)
	v_sub_nc_u32_e32 v25, v26, v25
	v_fma_f32 v26, 0x3fc90fda, v28, -v30
	s_delay_alu instid0(VALU_DEP_3) | instskip(NEXT) | instid1(VALU_DEP_2)
	v_lshrrev_b32_e32 v24, 9, v24
	v_fmac_f32_e32 v26, 0x33a22168, v28
	s_delay_alu instid0(VALU_DEP_2) | instskip(NEXT) | instid1(VALU_DEP_1)
	v_or_b32_e32 v24, v25, v24
	v_fmac_f32_e32 v26, 0x3fc90fda, v24
	s_delay_alu instid0(VALU_DEP_1)
	v_dual_add_f32 v25, v30, v26 :: v_dual_add_nc_u32 v26, v27, v1
.LBB102_22:                             ;   in Loop: Header=BB102_4 Depth=1
	s_and_not1_saveexec_b32 s5, s25
; %bb.23:                               ;   in Loop: Header=BB102_4 Depth=1
	v_mul_f32_e64 v1, 0x3f22f983, |v21|
	s_delay_alu instid0(VALU_DEP_1) | instskip(NEXT) | instid1(VALU_DEP_1)
	v_rndne_f32_e32 v1, v1
	v_fma_f32 v25, 0xbfc90fda, v1, |v21|
	v_cvt_i32_f32_e32 v26, v1
	s_delay_alu instid0(VALU_DEP_2) | instskip(NEXT) | instid1(VALU_DEP_1)
	v_fmac_f32_e32 v25, 0xb3a22168, v1
	v_fmac_f32_e32 v25, 0xa7c234c4, v1
; %bb.24:                               ;   in Loop: Header=BB102_4 Depth=1
	s_or_b32 exec_lo, exec_lo, s5
	v_cvt_f32_f16_e32 v19, v19
                                        ; implicit-def: $vgpr27
                                        ; implicit-def: $vgpr1
	s_mov_b32 s6, exec_lo
	s_delay_alu instid0(VALU_DEP_1)
	v_and_b32_e32 v24, 0x7fffffff, v19
	v_cmpx_ngt_f32_e64 0x48000000, |v19|
	s_xor_b32 s25, exec_lo, s6
	s_cbranch_execnz .LBB102_30
; %bb.25:                               ;   in Loop: Header=BB102_4 Depth=1
	s_and_not1_saveexec_b32 s5, s25
	s_cbranch_execnz .LBB102_31
.LBB102_26:                             ;   in Loop: Header=BB102_4 Depth=1
	s_or_b32 exec_lo, exec_lo, s5
	s_and_saveexec_b32 s5, s4
	s_delay_alu instid0(SALU_CYCLE_1)
	s_xor_b32 s5, exec_lo, s5
	s_cbranch_execnz .LBB102_32
.LBB102_27:                             ;   in Loop: Header=BB102_4 Depth=1
	s_or_b32 exec_lo, exec_lo, s5
	s_and_saveexec_b32 s4, s3
	s_cbranch_execnz .LBB102_33
.LBB102_28:                             ;   in Loop: Header=BB102_4 Depth=1
	s_or_b32 exec_lo, exec_lo, s4
	s_and_saveexec_b32 s3, s2
	s_cbranch_execnz .LBB102_34
.LBB102_29:                             ;   in Loop: Header=BB102_4 Depth=1
	s_or_b32 exec_lo, exec_lo, s3
	s_and_saveexec_b32 s2, vcc_lo
	s_cbranch_execz .LBB102_3
	s_branch .LBB102_35
.LBB102_30:                             ;   in Loop: Header=BB102_4 Depth=1
	s_delay_alu instid0(VALU_DEP_2) | instskip(SKIP_1) | instid1(VALU_DEP_2)
	v_lshrrev_b32_e32 v32, 23, v24
	v_and_or_b32 v35, v24, s22, 0x800000
	v_add_nc_u32_e32 v33, 0xffffff88, v32
	s_delay_alu instid0(VALU_DEP_2) | instskip(NEXT) | instid1(VALU_DEP_2)
	v_mad_u64_u32 v[27:28], null, 0xfe5163ab, v35, 0
	v_cmp_lt_u32_e64 s5, 63, v33
	s_delay_alu instid0(VALU_DEP_1) | instskip(NEXT) | instid1(VALU_DEP_1)
	v_cndmask_b32_e64 v34, 0, 0xffffffc0, s5
	v_dual_mov_b32 v1, v28 :: v_dual_add_nc_u32 v34, v34, v33
	s_delay_alu instid0(VALU_DEP_1) | instskip(NEXT) | instid1(VALU_DEP_2)
	v_mad_u64_u32 v[28:29], null, 0x3c439041, v35, v[1:2]
	v_cmp_lt_u32_e64 s6, 31, v34
	s_delay_alu instid0(VALU_DEP_1) | instskip(NEXT) | instid1(VALU_DEP_1)
	v_cndmask_b32_e64 v36, 0, 0xffffffe0, s6
	v_dual_mov_b32 v1, v29 :: v_dual_add_nc_u32 v36, v36, v34
	s_delay_alu instid0(VALU_DEP_1) | instskip(NEXT) | instid1(VALU_DEP_2)
	v_mad_u64_u32 v[29:30], null, 0xdb629599, v35, v[1:2]
	v_cmp_lt_u32_e64 s7, 31, v36
	s_delay_alu instid0(VALU_DEP_2) | instskip(NEXT) | instid1(VALU_DEP_3)
	v_mov_b32_e32 v1, v30
	v_cndmask_b32_e64 v27, v29, v27, s5
	s_delay_alu instid0(VALU_DEP_2) | instskip(NEXT) | instid1(VALU_DEP_1)
	v_mad_u64_u32 v[30:31], null, 0xf534ddc0, v35, v[1:2]
	v_mov_b32_e32 v1, v31
	s_delay_alu instid0(VALU_DEP_2) | instskip(NEXT) | instid1(VALU_DEP_2)
	v_cndmask_b32_e64 v28, v30, v28, s5
	v_mad_u64_u32 v[31:32], null, 0xfc2757d1, v35, v[1:2]
	s_delay_alu instid0(VALU_DEP_2) | instskip(NEXT) | instid1(VALU_DEP_2)
	v_cndmask_b32_e64 v27, v28, v27, s6
	v_mov_b32_e32 v1, v32
	s_delay_alu instid0(VALU_DEP_1) | instskip(NEXT) | instid1(VALU_DEP_1)
	v_mad_u64_u32 v[32:33], null, 0x4e441529, v35, v[1:2]
	v_mov_b32_e32 v1, v33
	s_delay_alu instid0(VALU_DEP_1) | instskip(SKIP_1) | instid1(VALU_DEP_4)
	v_mad_u64_u32 v[33:34], null, 0xa2f9836e, v35, v[1:2]
	v_cndmask_b32_e64 v1, 0, 0xffffffe0, s7
	v_cndmask_b32_e64 v35, v32, v30, s5
	s_delay_alu instid0(VALU_DEP_2) | instskip(NEXT) | instid1(VALU_DEP_4)
	v_add_nc_u32_e32 v1, v1, v36
	v_cndmask_b32_e64 v33, v33, v31, s5
	v_cndmask_b32_e64 v32, v34, v32, s5
	;; [unrolled: 1-line block ×3, first 2 shown]
	s_delay_alu instid0(VALU_DEP_4) | instskip(NEXT) | instid1(VALU_DEP_4)
	v_sub_nc_u32_e32 v34, 32, v1
	v_cndmask_b32_e64 v30, v33, v35, s6
	s_delay_alu instid0(VALU_DEP_4) | instskip(NEXT) | instid1(VALU_DEP_4)
	v_cndmask_b32_e64 v32, v32, v33, s6
	v_cndmask_b32_e64 v33, v35, v31, s6
	;; [unrolled: 1-line block ×3, first 2 shown]
	v_cmp_eq_u32_e64 s8, 0, v1
	s_delay_alu instid0(VALU_DEP_4) | instskip(NEXT) | instid1(VALU_DEP_4)
	v_cndmask_b32_e64 v32, v32, v30, s7
	v_cndmask_b32_e64 v30, v30, v33, s7
	s_delay_alu instid0(VALU_DEP_4) | instskip(SKIP_1) | instid1(VALU_DEP_3)
	v_cndmask_b32_e64 v33, v33, v31, s7
	v_cndmask_b32_e64 v27, v31, v27, s7
	v_alignbit_b32 v35, v32, v30, v34
	s_delay_alu instid0(VALU_DEP_3) | instskip(NEXT) | instid1(VALU_DEP_3)
	v_alignbit_b32 v36, v30, v33, v34
	v_alignbit_b32 v34, v33, v27, v34
	s_delay_alu instid0(VALU_DEP_3) | instskip(NEXT) | instid1(VALU_DEP_3)
	v_cndmask_b32_e64 v1, v35, v32, s8
	v_cndmask_b32_e64 v29, v36, v30, s8
	s_delay_alu instid0(VALU_DEP_3) | instskip(NEXT) | instid1(VALU_DEP_3)
	v_cndmask_b32_e64 v33, v34, v33, s8
	v_bfe_u32 v30, v1, 29, 1
	s_delay_alu instid0(VALU_DEP_3) | instskip(NEXT) | instid1(VALU_DEP_3)
	v_alignbit_b32 v28, v1, v29, 30
	v_alignbit_b32 v29, v29, v33, 30
	;; [unrolled: 1-line block ×3, first 2 shown]
	s_delay_alu instid0(VALU_DEP_4) | instskip(NEXT) | instid1(VALU_DEP_1)
	v_sub_nc_u32_e32 v32, 0, v30
	v_xor_b32_e32 v31, v28, v32
	v_cmp_ne_u32_e64 s5, v28, v32
	v_xor_b32_e32 v29, v29, v32
	v_xor_b32_e32 v27, v27, v32
	s_delay_alu instid0(VALU_DEP_4) | instskip(NEXT) | instid1(VALU_DEP_1)
	v_clz_i32_u32_e32 v35, v31
	v_add_nc_u32_e32 v34, 1, v35
	s_delay_alu instid0(VALU_DEP_1) | instskip(NEXT) | instid1(VALU_DEP_1)
	v_cndmask_b32_e64 v28, 33, v34, s5
	v_sub_nc_u32_e32 v33, 32, v28
	s_delay_alu instid0(VALU_DEP_1) | instskip(SKIP_2) | instid1(VALU_DEP_2)
	v_alignbit_b32 v31, v31, v29, v33
	v_alignbit_b32 v27, v29, v27, v33
	v_lshrrev_b32_e32 v29, 29, v1
	v_alignbit_b32 v32, v31, v27, 9
	s_delay_alu instid0(VALU_DEP_2) | instskip(SKIP_1) | instid1(VALU_DEP_3)
	v_lshlrev_b32_e32 v29, 31, v29
	v_alignbit_b32 v31, v28, v31, 9
	v_clz_i32_u32_e32 v33, v32
	s_delay_alu instid0(VALU_DEP_2) | instskip(SKIP_1) | instid1(VALU_DEP_3)
	v_or_b32_e32 v31, v31, v29
	v_or_b32_e32 v29, 0x33800000, v29
	v_min_u32_e32 v33, 32, v33
	s_delay_alu instid0(VALU_DEP_3) | instskip(NEXT) | instid1(VALU_DEP_2)
	v_xor_b32_e32 v31, 1.0, v31
	v_sub_nc_u32_e32 v34, 31, v33
	v_add_lshl_u32 v28, v33, v28, 23
	s_delay_alu instid0(VALU_DEP_3) | instskip(NEXT) | instid1(VALU_DEP_3)
	v_mul_f32_e32 v33, 0x3fc90fda, v31
	v_alignbit_b32 v27, v32, v27, v34
	s_delay_alu instid0(VALU_DEP_3) | instskip(NEXT) | instid1(VALU_DEP_3)
	v_sub_nc_u32_e32 v28, v29, v28
	v_fma_f32 v29, 0x3fc90fda, v31, -v33
	s_delay_alu instid0(VALU_DEP_3) | instskip(NEXT) | instid1(VALU_DEP_2)
	v_lshrrev_b32_e32 v27, 9, v27
	v_fmac_f32_e32 v29, 0x33a22168, v31
	s_delay_alu instid0(VALU_DEP_2) | instskip(NEXT) | instid1(VALU_DEP_1)
	v_or_b32_e32 v27, v28, v27
	v_fmac_f32_e32 v29, 0x3fc90fda, v27
	v_lshrrev_b32_e32 v27, 30, v1
	s_delay_alu instid0(VALU_DEP_2) | instskip(NEXT) | instid1(VALU_DEP_2)
	v_add_f32_e32 v1, v33, v29
	v_add_nc_u32_e32 v27, v30, v27
	s_and_not1_saveexec_b32 s5, s25
	s_cbranch_execz .LBB102_26
.LBB102_31:                             ;   in Loop: Header=BB102_4 Depth=1
	v_mul_f32_e64 v1, 0x3f22f983, |v19|
	s_delay_alu instid0(VALU_DEP_1) | instskip(NEXT) | instid1(VALU_DEP_1)
	v_rndne_f32_e32 v27, v1
	v_fma_f32 v1, 0xbfc90fda, v27, |v19|
	s_delay_alu instid0(VALU_DEP_1) | instskip(NEXT) | instid1(VALU_DEP_1)
	v_fmac_f32_e32 v1, 0xb3a22168, v27
	v_fmac_f32_e32 v1, 0xa7c234c4, v27
	v_cvt_i32_f32_e32 v27, v27
	s_or_b32 exec_lo, exec_lo, s5
	s_and_saveexec_b32 s5, s4
	s_delay_alu instid0(SALU_CYCLE_1)
	s_xor_b32 s5, exec_lo, s5
	s_cbranch_execz .LBB102_27
.LBB102_32:                             ;   in Loop: Header=BB102_4 Depth=1
	v_mul_f32_e32 v28, v15, v15
	v_and_b32_e32 v16, 1, v16
	s_delay_alu instid0(VALU_DEP_2) | instskip(SKIP_1) | instid1(VALU_DEP_3)
	v_fmaak_f32 v29, s24, v28, 0xbf039337
	v_fmaak_f32 v30, s23, v28, 0x3ec54587
	v_cmp_eq_u32_e64 s4, 0, v16
	s_delay_alu instid0(VALU_DEP_3) | instskip(NEXT) | instid1(VALU_DEP_1)
	v_fmaak_f32 v29, v28, v29, 0x3f93f425
	v_rcp_f32_e32 v29, v29
	s_waitcnt_depctr 0xfff
	v_mul_f32_e32 v29, v30, v29
	s_delay_alu instid0(VALU_DEP_1) | instskip(NEXT) | instid1(VALU_DEP_1)
	v_mul_f32_e32 v28, v28, v29
	v_fma_f32 v29, v28, v15, v15
	s_delay_alu instid0(VALU_DEP_1) | instskip(SKIP_1) | instid1(VALU_DEP_1)
	v_rcp_f32_e32 v30, v29
	v_sub_f32_e32 v31, v29, v15
	v_fma_f32 v15, v28, v15, -v31
	s_waitcnt_depctr 0xfff
	v_fma_f32 v28, v29, -v30, 1.0
	s_delay_alu instid0(VALU_DEP_1) | instskip(NEXT) | instid1(VALU_DEP_1)
	v_fma_f32 v15, v15, -v30, v28
	v_fma_f32 v15, v15, -v30, -v30
	s_delay_alu instid0(VALU_DEP_1) | instskip(SKIP_1) | instid1(VALU_DEP_2)
	v_cndmask_b32_e64 v15, v15, v29, s4
	v_cmp_class_f32_e64 s4, v13, 0x1f8
	v_xor3_b32 v14, v14, v13, v15
	s_delay_alu instid0(VALU_DEP_1) | instskip(NEXT) | instid1(VALU_DEP_1)
	v_cndmask_b32_e64 v13, 0x7fc00000, v14, s4
	v_cvt_f16_f32_e32 v13, v13
	global_store_b16 v[3:4], v13, off
	s_or_b32 exec_lo, exec_lo, s5
	s_and_saveexec_b32 s4, s3
	s_cbranch_execz .LBB102_28
.LBB102_33:                             ;   in Loop: Header=BB102_4 Depth=1
	v_mul_f32_e32 v13, v20, v20
	s_delay_alu instid0(VALU_DEP_1) | instskip(SKIP_1) | instid1(VALU_DEP_2)
	v_fmaak_f32 v14, s24, v13, 0xbf039337
	v_fmaak_f32 v15, s23, v13, 0x3ec54587
	;; [unrolled: 1-line block ×3, first 2 shown]
	s_delay_alu instid0(VALU_DEP_1) | instskip(SKIP_2) | instid1(VALU_DEP_1)
	v_rcp_f32_e32 v14, v14
	s_waitcnt_depctr 0xfff
	v_mul_f32_e32 v14, v15, v14
	v_mul_f32_e32 v13, v13, v14
	s_delay_alu instid0(VALU_DEP_1) | instskip(NEXT) | instid1(VALU_DEP_1)
	v_fma_f32 v14, v13, v20, v20
	v_sub_f32_e32 v16, v14, v20
	v_rcp_f32_e32 v15, v14
	s_delay_alu instid0(VALU_DEP_1) | instskip(SKIP_2) | instid1(VALU_DEP_1)
	v_fma_f32 v13, v13, v20, -v16
	s_waitcnt_depctr 0xfff
	v_fma_f32 v16, v14, -v15, 1.0
	v_fma_f32 v13, v13, -v15, v16
	v_and_b32_e32 v16, 1, v22
	s_delay_alu instid0(VALU_DEP_2) | instskip(NEXT) | instid1(VALU_DEP_2)
	v_fma_f32 v13, v13, -v15, -v15
	v_cmp_eq_u32_e64 s3, 0, v16
	s_delay_alu instid0(VALU_DEP_1) | instskip(SKIP_1) | instid1(VALU_DEP_2)
	v_cndmask_b32_e64 v13, v13, v14, s3
	v_cmp_class_f32_e64 s3, v17, 0x1f8
	v_xor3_b32 v13, v18, v17, v13
	s_delay_alu instid0(VALU_DEP_1) | instskip(NEXT) | instid1(VALU_DEP_1)
	v_cndmask_b32_e64 v13, 0x7fc00000, v13, s3
	v_cvt_f16_f32_e32 v13, v13
	global_store_b16 v[5:6], v13, off
	s_or_b32 exec_lo, exec_lo, s4
	s_and_saveexec_b32 s3, s2
	s_cbranch_execz .LBB102_29
.LBB102_34:                             ;   in Loop: Header=BB102_4 Depth=1
	v_mul_f32_e32 v13, v25, v25
	s_delay_alu instid0(VALU_DEP_1) | instskip(SKIP_1) | instid1(VALU_DEP_2)
	v_fmaak_f32 v14, s24, v13, 0xbf039337
	v_fmaak_f32 v15, s23, v13, 0x3ec54587
	;; [unrolled: 1-line block ×3, first 2 shown]
	s_delay_alu instid0(VALU_DEP_1) | instskip(SKIP_2) | instid1(VALU_DEP_1)
	v_rcp_f32_e32 v14, v14
	s_waitcnt_depctr 0xfff
	v_mul_f32_e32 v14, v15, v14
	v_mul_f32_e32 v13, v13, v14
	s_delay_alu instid0(VALU_DEP_1) | instskip(NEXT) | instid1(VALU_DEP_1)
	v_fma_f32 v14, v13, v25, v25
	v_sub_f32_e32 v16, v14, v25
	v_rcp_f32_e32 v15, v14
	s_delay_alu instid0(VALU_DEP_1) | instskip(SKIP_2) | instid1(VALU_DEP_1)
	v_fma_f32 v13, v13, v25, -v16
	s_waitcnt_depctr 0xfff
	v_fma_f32 v16, v14, -v15, 1.0
	v_fma_f32 v13, v13, -v15, v16
	v_and_b32_e32 v16, 1, v26
	s_delay_alu instid0(VALU_DEP_2) | instskip(NEXT) | instid1(VALU_DEP_2)
	v_fma_f32 v13, v13, -v15, -v15
	v_cmp_eq_u32_e64 s2, 0, v16
	s_delay_alu instid0(VALU_DEP_1) | instskip(SKIP_1) | instid1(VALU_DEP_2)
	v_cndmask_b32_e64 v13, v13, v14, s2
	v_cmp_class_f32_e64 s2, v21, 0x1f8
	v_xor3_b32 v13, v23, v21, v13
	s_delay_alu instid0(VALU_DEP_1) | instskip(NEXT) | instid1(VALU_DEP_1)
	v_cndmask_b32_e64 v13, 0x7fc00000, v13, s2
	v_cvt_f16_f32_e32 v15, v13
	v_add_co_u32 v13, s2, v3, s9
	s_delay_alu instid0(VALU_DEP_1)
	v_add_co_ci_u32_e64 v14, s2, 0, v4, s2
	global_store_b16 v[13:14], v15, off
	s_or_b32 exec_lo, exec_lo, s3
	s_and_saveexec_b32 s2, vcc_lo
	s_cbranch_execz .LBB102_3
.LBB102_35:                             ;   in Loop: Header=BB102_4 Depth=1
	v_mul_f32_e32 v13, v1, v1
	s_delay_alu instid0(VALU_DEP_1) | instskip(SKIP_1) | instid1(VALU_DEP_2)
	v_fmaak_f32 v14, s24, v13, 0xbf039337
	v_fmaak_f32 v15, s23, v13, 0x3ec54587
	;; [unrolled: 1-line block ×3, first 2 shown]
	s_delay_alu instid0(VALU_DEP_1) | instskip(SKIP_2) | instid1(VALU_DEP_1)
	v_rcp_f32_e32 v14, v14
	s_waitcnt_depctr 0xfff
	v_mul_f32_e32 v14, v15, v14
	v_mul_f32_e32 v13, v13, v14
	s_delay_alu instid0(VALU_DEP_1) | instskip(NEXT) | instid1(VALU_DEP_1)
	v_fma_f32 v14, v13, v1, v1
	v_sub_f32_e32 v16, v14, v1
	v_rcp_f32_e32 v15, v14
	s_delay_alu instid0(VALU_DEP_1) | instskip(SKIP_2) | instid1(VALU_DEP_1)
	v_fma_f32 v1, v13, v1, -v16
	s_waitcnt_depctr 0xfff
	v_fma_f32 v13, v14, -v15, 1.0
	v_fma_f32 v1, v1, -v15, v13
	v_and_b32_e32 v13, 1, v27
	s_delay_alu instid0(VALU_DEP_2) | instskip(NEXT) | instid1(VALU_DEP_2)
	v_fma_f32 v1, v1, -v15, -v15
	v_cmp_eq_u32_e32 vcc_lo, 0, v13
	s_delay_alu instid0(VALU_DEP_2) | instskip(SKIP_1) | instid1(VALU_DEP_2)
	v_cndmask_b32_e32 v1, v1, v14, vcc_lo
	v_cmp_class_f32_e64 vcc_lo, v19, 0x1f8
	v_xor3_b32 v1, v24, v19, v1
	s_delay_alu instid0(VALU_DEP_1) | instskip(SKIP_2) | instid1(VALU_DEP_3)
	v_cndmask_b32_e32 v1, 0x7fc00000, v1, vcc_lo
	v_add_co_u32 v13, vcc_lo, v3, s20
	v_add_co_ci_u32_e32 v14, vcc_lo, 0, v4, vcc_lo
	v_cvt_f16_f32_e32 v1, v1
	global_store_b16 v[13:14], v1, off
	s_branch .LBB102_3
.LBB102_36:
	s_cbranch_execz .LBB102_38
	s_branch .LBB102_57
.LBB102_37:
.LBB102_38:
	v_dual_mov_b32 v2, 0 :: v_dual_lshlrev_b32 v1, 2, v0
	s_mov_b32 s3, 0
	s_mov_b32 s2, exec_lo
	s_delay_alu instid0(VALU_DEP_1)
	v_cmpx_gt_i64_e64 s[10:11], v[1:2]
	s_cbranch_execz .LBB102_57
; %bb.39:
	s_load_b32 s0, s[0:1], 0xd3c
	s_mov_b32 s6, 0x7fffff
	s_mov_b32 s7, 0xbc8cedd3
	;; [unrolled: 1-line block ×3, first 2 shown]
	s_waitcnt lgkmcnt(0)
	s_and_b32 s0, s0, 0xffff
	s_delay_alu instid0(SALU_CYCLE_1) | instskip(SKIP_4) | instid1(VALU_DEP_1)
	v_add_lshl_u32 v1, v0, s0, 2
	v_dual_mov_b32 v6, v2 :: v_dual_lshlrev_b32 v3, 3, v0
	s_lshl_b32 s4, s0, 2
	s_add_u32 s1, s12, s14
	s_addc_u32 s2, s13, s15
	v_add_co_u32 v0, s1, s1, v3
	s_delay_alu instid0(VALU_DEP_1) | instskip(SKIP_1) | instid1(VALU_DEP_3)
	v_add_co_ci_u32_e64 v4, null, s2, 0, s1
	v_mov_b32_e32 v5, v1
	v_add_co_u32 v3, vcc_lo, v0, 4
	s_delay_alu instid0(VALU_DEP_3)
	v_add_co_ci_u32_e32 v4, vcc_lo, 0, v4, vcc_lo
	s_lshl_b32 s5, s0, 3
	s_branch .LBB102_41
.LBB102_40:                             ;   in Loop: Header=BB102_41 Depth=1
	s_or_b32 exec_lo, exec_lo, s0
	s_delay_alu instid0(VALU_DEP_1) | instskip(SKIP_2) | instid1(VALU_DEP_3)
	v_dual_mul_f32 v21, v17, v17 :: v_dual_mul_f32 v24, v20, v20
	v_dual_mul_f32 v22, v13, v13 :: v_dual_mul_f32 v23, v11, v11
	v_cmp_lt_u64_e64 s0, 0xffff, v[5:6]
	v_dual_fmaak_f32 v25, s8, v21, 0xbf039337 :: v_dual_fmaak_f32 v28, s8, v24, 0xbf039337
	s_delay_alu instid0(VALU_DEP_3) | instskip(SKIP_1) | instid1(VALU_DEP_2)
	v_dual_fmaak_f32 v26, s8, v22, 0xbf039337 :: v_dual_fmaak_f32 v27, s8, v23, 0xbf039337
	v_dual_fmaak_f32 v29, s7, v21, 0x3ec54587 :: v_dual_fmaak_f32 v30, s7, v22, 0x3ec54587
	;; [unrolled: 1-line block ×3, first 2 shown]
	s_delay_alu instid0(VALU_DEP_3) | instskip(SKIP_1) | instid1(VALU_DEP_3)
	v_dual_fmaak_f32 v27, v23, v27, 0x3f93f425 :: v_dual_fmaak_f32 v28, v24, v28, 0x3f93f425
	v_dual_fmaak_f32 v31, s7, v23, 0x3ec54587 :: v_dual_fmaak_f32 v32, s7, v24, 0x3ec54587
	v_rcp_f32_e32 v25, v25
	s_delay_alu instid0(VALU_DEP_3) | instskip(NEXT) | instid1(VALU_DEP_2)
	v_rcp_f32_e32 v26, v26
	v_rcp_f32_e32 v27, v27
	;; [unrolled: 1-line block ×3, first 2 shown]
	v_and_b32_e32 v14, 1, v14
	v_dual_mul_f32 v25, v29, v25 :: v_dual_and_b32 v10, 1, v10
	s_waitcnt_depctr 0xfff
	v_dual_mul_f32 v26, v30, v26 :: v_dual_mul_f32 v27, v31, v27
	v_dual_mul_f32 v28, v32, v28 :: v_dual_mul_f32 v21, v21, v25
	s_delay_alu instid0(VALU_DEP_2) | instskip(NEXT) | instid1(VALU_DEP_2)
	v_dual_mul_f32 v22, v22, v26 :: v_dual_mul_f32 v23, v23, v27
	v_mul_f32_e32 v24, v24, v28
	s_delay_alu instid0(VALU_DEP_3) | instskip(NEXT) | instid1(VALU_DEP_3)
	v_fma_f32 v25, v21, v17, v17
	v_fma_f32 v26, v22, v13, v13
	s_delay_alu instid0(VALU_DEP_4) | instskip(NEXT) | instid1(VALU_DEP_4)
	v_fma_f32 v27, v23, v11, v11
	v_fma_f32 v28, v24, v20, v20
	v_and_b32_e32 v19, 1, v19
	v_rcp_f32_e32 v30, v25
	v_sub_f32_e32 v29, v25, v17
	v_rcp_f32_e32 v32, v26
	v_sub_f32_e32 v31, v26, v13
	;; [unrolled: 2-line block ×3, first 2 shown]
	v_fma_f32 v17, v21, v17, -v29
	v_rcp_f32_e32 v35, v28
	v_fma_f32 v13, v22, v13, -v31
	v_sub_f32_e32 v36, v28, v20
	v_fma_f32 v21, v25, -v30, 1.0
	v_fma_f32 v11, v23, v11, -v33
	v_fma_f32 v22, v26, -v32, 1.0
	v_cmp_eq_u32_e32 vcc_lo, 0, v19
	v_fma_f32 v23, v27, -v34, 1.0
	v_fma_f32 v17, v17, -v30, v21
	v_fma_f32 v20, v24, v20, -v36
	v_fma_f32 v13, v13, -v32, v22
	v_fma_f32 v24, v28, -v35, 1.0
	v_fma_f32 v11, v11, -v34, v23
	v_fma_f32 v17, v17, -v30, -v30
	s_delay_alu instid0(VALU_DEP_4) | instskip(NEXT) | instid1(VALU_DEP_4)
	v_fma_f32 v13, v13, -v32, -v32
	v_fma_f32 v20, v20, -v35, v24
	s_delay_alu instid0(VALU_DEP_4) | instskip(NEXT) | instid1(VALU_DEP_4)
	v_fma_f32 v11, v11, -v34, -v34
	v_cndmask_b32_e32 v17, v17, v25, vcc_lo
	v_cmp_eq_u32_e32 vcc_lo, 0, v14
	s_delay_alu instid0(VALU_DEP_4) | instskip(SKIP_3) | instid1(VALU_DEP_3)
	v_fma_f32 v20, v20, -v35, -v35
	v_cndmask_b32_e32 v13, v13, v26, vcc_lo
	v_cmp_eq_u32_e32 vcc_lo, 0, v10
	v_and_b32_e32 v1, 1, v1
	v_xor3_b32 v12, v12, v7, v13
	v_cndmask_b32_e32 v10, v11, v27, vcc_lo
	s_delay_alu instid0(VALU_DEP_3) | instskip(SKIP_1) | instid1(VALU_DEP_3)
	v_cmp_eq_u32_e32 vcc_lo, 0, v1
	v_xor3_b32 v11, v16, v15, v17
	v_xor3_b32 v9, v9, v0, v10
	v_cndmask_b32_e32 v1, v20, v28, vcc_lo
	v_cmp_class_f32_e64 vcc_lo, v15, 0x1f8
	s_delay_alu instid0(VALU_DEP_2) | instskip(SKIP_4) | instid1(VALU_DEP_4)
	v_xor3_b32 v1, v18, v8, v1
	v_cndmask_b32_e32 v10, 0x7fc00000, v11, vcc_lo
	v_cmp_class_f32_e64 vcc_lo, v7, 0x1f8
	v_cndmask_b32_e32 v7, 0x7fc00000, v12, vcc_lo
	v_cmp_class_f32_e64 vcc_lo, v8, 0x1f8
	v_cvt_f16_f32_e32 v8, v10
	s_delay_alu instid0(VALU_DEP_3) | instskip(SKIP_2) | instid1(VALU_DEP_2)
	v_cvt_f16_f32_e32 v7, v7
	v_cndmask_b32_e32 v1, 0x7fc00000, v1, vcc_lo
	v_cmp_class_f32_e64 vcc_lo, v0, 0x1f8
	v_cvt_f16_f32_e32 v1, v1
	v_cndmask_b32_e32 v0, 0x7fc00000, v9, vcc_lo
	v_cmp_le_i64_e32 vcc_lo, s[10:11], v[5:6]
	s_delay_alu instid0(VALU_DEP_3) | instskip(NEXT) | instid1(VALU_DEP_3)
	v_pack_b32_f16 v1, v8, v1
	v_cvt_f16_f32_e32 v0, v0
	s_or_b32 s0, vcc_lo, s0
	v_add_co_u32 v5, vcc_lo, v5, s4
	s_delay_alu instid0(VALU_DEP_2)
	v_pack_b32_f16 v0, v0, v7
	v_add_co_ci_u32_e32 v6, vcc_lo, 0, v6, vcc_lo
	s_and_b32 s0, exec_lo, s0
	global_store_b64 v[3:4], v[0:1], off offset:-4
	v_add_co_u32 v3, vcc_lo, v3, s5
	v_add_co_ci_u32_e32 v4, vcc_lo, 0, v4, vcc_lo
	s_or_b32 s3, s0, s3
	s_delay_alu instid0(SALU_CYCLE_1)
	s_and_not1_b32 exec_lo, exec_lo, s3
	s_cbranch_execz .LBB102_57
.LBB102_41:                             ; =>This Inner Loop Header: Depth=1
	global_load_b64 v[7:8], v[3:4], off offset:-4
                                        ; implicit-def: $vgpr10
                                        ; implicit-def: $vgpr11
	s_mov_b32 s1, exec_lo
	s_waitcnt vmcnt(0)
	v_cvt_f32_f16_e32 v0, v7
	s_delay_alu instid0(VALU_DEP_1)
	v_and_b32_e32 v9, 0x7fffffff, v0
	v_cmpx_ngt_f32_e64 0x48000000, |v0|
	s_xor_b32 s9, exec_lo, s1
	s_cbranch_execz .LBB102_43
; %bb.42:                               ;   in Loop: Header=BB102_41 Depth=1
	s_delay_alu instid0(VALU_DEP_2) | instskip(SKIP_1) | instid1(VALU_DEP_2)
	v_and_or_b32 v18, v9, s6, 0x800000
	v_lshrrev_b32_e32 v15, 23, v9
	v_mad_u64_u32 v[10:11], null, 0xfe5163ab, v18, 0
	s_delay_alu instid0(VALU_DEP_2) | instskip(NEXT) | instid1(VALU_DEP_1)
	v_add_nc_u32_e32 v16, 0xffffff88, v15
	v_cmp_lt_u32_e32 vcc_lo, 63, v16
	s_delay_alu instid0(VALU_DEP_3) | instskip(SKIP_1) | instid1(VALU_DEP_2)
	v_mov_b32_e32 v1, v11
	v_cndmask_b32_e64 v17, 0, 0xffffffc0, vcc_lo
	v_mad_u64_u32 v[11:12], null, 0x3c439041, v18, v[1:2]
	s_delay_alu instid0(VALU_DEP_2) | instskip(NEXT) | instid1(VALU_DEP_2)
	v_add_nc_u32_e32 v17, v17, v16
	v_mov_b32_e32 v1, v12
	s_delay_alu instid0(VALU_DEP_2) | instskip(NEXT) | instid1(VALU_DEP_2)
	v_cmp_lt_u32_e64 s0, 31, v17
	v_mad_u64_u32 v[12:13], null, 0xdb629599, v18, v[1:2]
	s_delay_alu instid0(VALU_DEP_2) | instskip(NEXT) | instid1(VALU_DEP_1)
	v_cndmask_b32_e64 v19, 0, 0xffffffe0, s0
	v_add_nc_u32_e32 v19, v19, v17
	s_delay_alu instid0(VALU_DEP_3) | instskip(NEXT) | instid1(VALU_DEP_2)
	v_dual_mov_b32 v1, v13 :: v_dual_cndmask_b32 v10, v12, v10
	v_cmp_lt_u32_e64 s1, 31, v19
	s_delay_alu instid0(VALU_DEP_2) | instskip(NEXT) | instid1(VALU_DEP_1)
	v_mad_u64_u32 v[13:14], null, 0xf534ddc0, v18, v[1:2]
	v_mov_b32_e32 v1, v14
	s_delay_alu instid0(VALU_DEP_2) | instskip(NEXT) | instid1(VALU_DEP_2)
	v_cndmask_b32_e32 v11, v13, v11, vcc_lo
	v_mad_u64_u32 v[14:15], null, 0xfc2757d1, v18, v[1:2]
	s_delay_alu instid0(VALU_DEP_2) | instskip(NEXT) | instid1(VALU_DEP_2)
	v_cndmask_b32_e64 v10, v11, v10, s0
	v_mov_b32_e32 v1, v15
	s_delay_alu instid0(VALU_DEP_1) | instskip(NEXT) | instid1(VALU_DEP_1)
	v_mad_u64_u32 v[15:16], null, 0x4e441529, v18, v[1:2]
	v_mov_b32_e32 v1, v16
	s_delay_alu instid0(VALU_DEP_1) | instskip(SKIP_1) | instid1(VALU_DEP_1)
	v_mad_u64_u32 v[16:17], null, 0xa2f9836e, v18, v[1:2]
	v_cndmask_b32_e64 v1, 0, 0xffffffe0, s1
	v_dual_cndmask_b32 v18, v15, v13 :: v_dual_add_nc_u32 v1, v1, v19
	s_delay_alu instid0(VALU_DEP_3) | instskip(SKIP_1) | instid1(VALU_DEP_3)
	v_dual_cndmask_b32 v16, v16, v14 :: v_dual_cndmask_b32 v15, v17, v15
	v_cndmask_b32_e32 v14, v14, v12, vcc_lo
	v_sub_nc_u32_e32 v17, 32, v1
	s_delay_alu instid0(VALU_DEP_3) | instskip(NEXT) | instid1(VALU_DEP_4)
	v_cndmask_b32_e64 v13, v16, v18, s0
	v_cndmask_b32_e64 v15, v15, v16, s0
	s_delay_alu instid0(VALU_DEP_4) | instskip(SKIP_2) | instid1(VALU_DEP_4)
	v_cndmask_b32_e64 v16, v18, v14, s0
	v_cndmask_b32_e64 v14, v14, v11, s0
	v_cmp_eq_u32_e64 s2, 0, v1
	v_cndmask_b32_e64 v15, v15, v13, s1
	s_delay_alu instid0(VALU_DEP_4) | instskip(NEXT) | instid1(VALU_DEP_4)
	v_cndmask_b32_e64 v13, v13, v16, s1
	v_cndmask_b32_e64 v16, v16, v14, s1
	;; [unrolled: 1-line block ×3, first 2 shown]
	s_delay_alu instid0(VALU_DEP_3) | instskip(NEXT) | instid1(VALU_DEP_3)
	v_alignbit_b32 v18, v15, v13, v17
	v_alignbit_b32 v19, v13, v16, v17
	s_delay_alu instid0(VALU_DEP_3) | instskip(NEXT) | instid1(VALU_DEP_3)
	v_alignbit_b32 v17, v16, v10, v17
	v_cndmask_b32_e64 v1, v18, v15, s2
	s_delay_alu instid0(VALU_DEP_3) | instskip(NEXT) | instid1(VALU_DEP_3)
	v_cndmask_b32_e64 v12, v19, v13, s2
	v_cndmask_b32_e64 v16, v17, v16, s2
	s_delay_alu instid0(VALU_DEP_3) | instskip(NEXT) | instid1(VALU_DEP_3)
	v_bfe_u32 v13, v1, 29, 1
	v_alignbit_b32 v11, v1, v12, 30
	s_delay_alu instid0(VALU_DEP_3) | instskip(SKIP_1) | instid1(VALU_DEP_4)
	v_alignbit_b32 v12, v12, v16, 30
	v_alignbit_b32 v10, v16, v10, 30
	v_sub_nc_u32_e32 v15, 0, v13
	s_delay_alu instid0(VALU_DEP_1) | instskip(SKIP_3) | instid1(VALU_DEP_4)
	v_xor_b32_e32 v14, v11, v15
	v_cmp_ne_u32_e32 vcc_lo, v11, v15
	v_xor_b32_e32 v12, v12, v15
	v_xor_b32_e32 v10, v10, v15
	v_clz_i32_u32_e32 v18, v14
	s_delay_alu instid0(VALU_DEP_1) | instskip(NEXT) | instid1(VALU_DEP_1)
	v_add_nc_u32_e32 v17, 1, v18
	v_cndmask_b32_e32 v11, 33, v17, vcc_lo
	s_delay_alu instid0(VALU_DEP_1) | instskip(NEXT) | instid1(VALU_DEP_1)
	v_sub_nc_u32_e32 v16, 32, v11
	v_alignbit_b32 v14, v14, v12, v16
	v_alignbit_b32 v10, v12, v10, v16
	v_lshrrev_b32_e32 v12, 29, v1
	v_lshrrev_b32_e32 v1, 30, v1
	s_delay_alu instid0(VALU_DEP_3) | instskip(NEXT) | instid1(VALU_DEP_3)
	v_alignbit_b32 v15, v14, v10, 9
	v_lshlrev_b32_e32 v12, 31, v12
	v_alignbit_b32 v14, v11, v14, 9
	s_delay_alu instid0(VALU_DEP_3) | instskip(NEXT) | instid1(VALU_DEP_2)
	v_clz_i32_u32_e32 v16, v15
	v_or_b32_e32 v14, v14, v12
	v_or_b32_e32 v12, 0x33800000, v12
	s_delay_alu instid0(VALU_DEP_3) | instskip(NEXT) | instid1(VALU_DEP_3)
	v_min_u32_e32 v16, 32, v16
	v_xor_b32_e32 v14, 1.0, v14
	s_delay_alu instid0(VALU_DEP_2) | instskip(SKIP_1) | instid1(VALU_DEP_3)
	v_sub_nc_u32_e32 v17, 31, v16
	v_add_lshl_u32 v11, v16, v11, 23
	v_mul_f32_e32 v16, 0x3fc90fda, v14
	s_delay_alu instid0(VALU_DEP_3) | instskip(NEXT) | instid1(VALU_DEP_3)
	v_alignbit_b32 v10, v15, v10, v17
	v_sub_nc_u32_e32 v11, v12, v11
	s_delay_alu instid0(VALU_DEP_3) | instskip(NEXT) | instid1(VALU_DEP_3)
	v_fma_f32 v12, 0x3fc90fda, v14, -v16
	v_lshrrev_b32_e32 v10, 9, v10
	s_delay_alu instid0(VALU_DEP_2) | instskip(NEXT) | instid1(VALU_DEP_2)
	v_fmac_f32_e32 v12, 0x33a22168, v14
	v_or_b32_e32 v10, v11, v10
	s_delay_alu instid0(VALU_DEP_1) | instskip(NEXT) | instid1(VALU_DEP_1)
	v_fmac_f32_e32 v12, 0x3fc90fda, v10
	v_dual_add_f32 v11, v16, v12 :: v_dual_add_nc_u32 v10, v13, v1
.LBB102_43:                             ;   in Loop: Header=BB102_41 Depth=1
	s_and_not1_saveexec_b32 s0, s9
; %bb.44:                               ;   in Loop: Header=BB102_41 Depth=1
	v_mul_f32_e64 v1, 0x3f22f983, |v0|
	s_delay_alu instid0(VALU_DEP_1) | instskip(NEXT) | instid1(VALU_DEP_1)
	v_rndne_f32_e32 v1, v1
	v_fma_f32 v11, 0xbfc90fda, v1, |v0|
	v_cvt_i32_f32_e32 v10, v1
	s_delay_alu instid0(VALU_DEP_2) | instskip(NEXT) | instid1(VALU_DEP_1)
	v_fmac_f32_e32 v11, 0xb3a22168, v1
	v_fmac_f32_e32 v11, 0xa7c234c4, v1
; %bb.45:                               ;   in Loop: Header=BB102_41 Depth=1
	s_or_b32 exec_lo, exec_lo, s0
	v_lshrrev_b32_e32 v1, 16, v7
                                        ; implicit-def: $vgpr14
                                        ; implicit-def: $vgpr13
	s_mov_b32 s1, exec_lo
	s_delay_alu instid0(VALU_DEP_1) | instskip(NEXT) | instid1(VALU_DEP_1)
	v_cvt_f32_f16_e32 v7, v1
	v_and_b32_e32 v12, 0x7fffffff, v7
	v_cmpx_ngt_f32_e64 0x48000000, |v7|
	s_xor_b32 s9, exec_lo, s1
	s_cbranch_execz .LBB102_47
; %bb.46:                               ;   in Loop: Header=BB102_41 Depth=1
	s_delay_alu instid0(VALU_DEP_2) | instskip(SKIP_1) | instid1(VALU_DEP_2)
	v_lshrrev_b32_e32 v18, 23, v12
	v_and_or_b32 v21, v12, s6, 0x800000
	v_add_nc_u32_e32 v19, 0xffffff88, v18
	s_delay_alu instid0(VALU_DEP_2) | instskip(NEXT) | instid1(VALU_DEP_2)
	v_mad_u64_u32 v[13:14], null, 0xfe5163ab, v21, 0
	v_cmp_lt_u32_e32 vcc_lo, 63, v19
	v_cndmask_b32_e64 v20, 0, 0xffffffc0, vcc_lo
	s_delay_alu instid0(VALU_DEP_1) | instskip(NEXT) | instid1(VALU_DEP_1)
	v_dual_mov_b32 v1, v14 :: v_dual_add_nc_u32 v20, v20, v19
	v_mad_u64_u32 v[14:15], null, 0x3c439041, v21, v[1:2]
	s_delay_alu instid0(VALU_DEP_2) | instskip(NEXT) | instid1(VALU_DEP_1)
	v_cmp_lt_u32_e64 s0, 31, v20
	v_cndmask_b32_e64 v22, 0, 0xffffffe0, s0
	s_delay_alu instid0(VALU_DEP_1) | instskip(NEXT) | instid1(VALU_DEP_1)
	v_dual_mov_b32 v1, v15 :: v_dual_add_nc_u32 v22, v22, v20
	v_mad_u64_u32 v[15:16], null, 0xdb629599, v21, v[1:2]
	s_delay_alu instid0(VALU_DEP_2) | instskip(NEXT) | instid1(VALU_DEP_2)
	v_cmp_lt_u32_e64 s1, 31, v22
	v_mov_b32_e32 v1, v16
	s_delay_alu instid0(VALU_DEP_3) | instskip(NEXT) | instid1(VALU_DEP_2)
	v_cndmask_b32_e32 v13, v15, v13, vcc_lo
	v_mad_u64_u32 v[16:17], null, 0xf534ddc0, v21, v[1:2]
	s_delay_alu instid0(VALU_DEP_1) | instskip(NEXT) | instid1(VALU_DEP_1)
	v_dual_mov_b32 v1, v17 :: v_dual_cndmask_b32 v14, v16, v14
	v_mad_u64_u32 v[17:18], null, 0xfc2757d1, v21, v[1:2]
	s_delay_alu instid0(VALU_DEP_2) | instskip(NEXT) | instid1(VALU_DEP_2)
	v_cndmask_b32_e64 v13, v14, v13, s0
	v_mov_b32_e32 v1, v18
	s_delay_alu instid0(VALU_DEP_1) | instskip(NEXT) | instid1(VALU_DEP_1)
	v_mad_u64_u32 v[18:19], null, 0x4e441529, v21, v[1:2]
	v_mov_b32_e32 v1, v19
	s_delay_alu instid0(VALU_DEP_1) | instskip(SKIP_1) | instid1(VALU_DEP_4)
	v_mad_u64_u32 v[19:20], null, 0xa2f9836e, v21, v[1:2]
	v_cndmask_b32_e64 v1, 0, 0xffffffe0, s1
	v_cndmask_b32_e32 v21, v18, v16, vcc_lo
	s_delay_alu instid0(VALU_DEP_2) | instskip(NEXT) | instid1(VALU_DEP_4)
	v_add_nc_u32_e32 v1, v1, v22
	v_dual_cndmask_b32 v19, v19, v17 :: v_dual_cndmask_b32 v18, v20, v18
	v_cndmask_b32_e32 v17, v17, v15, vcc_lo
	s_delay_alu instid0(VALU_DEP_3) | instskip(NEXT) | instid1(VALU_DEP_3)
	v_sub_nc_u32_e32 v20, 32, v1
	v_cndmask_b32_e64 v16, v19, v21, s0
	s_delay_alu instid0(VALU_DEP_4) | instskip(NEXT) | instid1(VALU_DEP_4)
	v_cndmask_b32_e64 v18, v18, v19, s0
	v_cndmask_b32_e64 v19, v21, v17, s0
	;; [unrolled: 1-line block ×3, first 2 shown]
	v_cmp_eq_u32_e64 s2, 0, v1
	s_delay_alu instid0(VALU_DEP_4) | instskip(NEXT) | instid1(VALU_DEP_4)
	v_cndmask_b32_e64 v18, v18, v16, s1
	v_cndmask_b32_e64 v16, v16, v19, s1
	s_delay_alu instid0(VALU_DEP_4) | instskip(SKIP_1) | instid1(VALU_DEP_3)
	v_cndmask_b32_e64 v19, v19, v17, s1
	v_cndmask_b32_e64 v13, v17, v13, s1
	v_alignbit_b32 v21, v18, v16, v20
	s_delay_alu instid0(VALU_DEP_3) | instskip(NEXT) | instid1(VALU_DEP_3)
	v_alignbit_b32 v22, v16, v19, v20
	v_alignbit_b32 v20, v19, v13, v20
	s_delay_alu instid0(VALU_DEP_3) | instskip(NEXT) | instid1(VALU_DEP_3)
	v_cndmask_b32_e64 v1, v21, v18, s2
	v_cndmask_b32_e64 v15, v22, v16, s2
	s_delay_alu instid0(VALU_DEP_3) | instskip(NEXT) | instid1(VALU_DEP_3)
	v_cndmask_b32_e64 v19, v20, v19, s2
	v_bfe_u32 v16, v1, 29, 1
	s_delay_alu instid0(VALU_DEP_3) | instskip(NEXT) | instid1(VALU_DEP_3)
	v_alignbit_b32 v14, v1, v15, 30
	v_alignbit_b32 v15, v15, v19, 30
	;; [unrolled: 1-line block ×3, first 2 shown]
	s_delay_alu instid0(VALU_DEP_4) | instskip(NEXT) | instid1(VALU_DEP_1)
	v_sub_nc_u32_e32 v18, 0, v16
	v_xor_b32_e32 v17, v14, v18
	v_cmp_ne_u32_e32 vcc_lo, v14, v18
	v_xor_b32_e32 v15, v15, v18
	v_xor_b32_e32 v13, v13, v18
	s_delay_alu instid0(VALU_DEP_4) | instskip(NEXT) | instid1(VALU_DEP_1)
	v_clz_i32_u32_e32 v21, v17
	v_add_nc_u32_e32 v20, 1, v21
	s_delay_alu instid0(VALU_DEP_1) | instskip(NEXT) | instid1(VALU_DEP_1)
	v_cndmask_b32_e32 v14, 33, v20, vcc_lo
	v_sub_nc_u32_e32 v19, 32, v14
	s_delay_alu instid0(VALU_DEP_1) | instskip(SKIP_3) | instid1(VALU_DEP_3)
	v_alignbit_b32 v17, v17, v15, v19
	v_alignbit_b32 v13, v15, v13, v19
	v_lshrrev_b32_e32 v15, 29, v1
	v_lshrrev_b32_e32 v1, 30, v1
	v_alignbit_b32 v18, v17, v13, 9
	s_delay_alu instid0(VALU_DEP_3) | instskip(SKIP_1) | instid1(VALU_DEP_3)
	v_lshlrev_b32_e32 v15, 31, v15
	v_alignbit_b32 v17, v14, v17, 9
	v_clz_i32_u32_e32 v19, v18
	s_delay_alu instid0(VALU_DEP_2) | instskip(SKIP_1) | instid1(VALU_DEP_3)
	v_or_b32_e32 v17, v17, v15
	v_or_b32_e32 v15, 0x33800000, v15
	v_min_u32_e32 v19, 32, v19
	s_delay_alu instid0(VALU_DEP_3) | instskip(NEXT) | instid1(VALU_DEP_2)
	v_xor_b32_e32 v17, 1.0, v17
	v_sub_nc_u32_e32 v20, 31, v19
	v_add_lshl_u32 v14, v19, v14, 23
	s_delay_alu instid0(VALU_DEP_3) | instskip(NEXT) | instid1(VALU_DEP_3)
	v_mul_f32_e32 v19, 0x3fc90fda, v17
	v_alignbit_b32 v13, v18, v13, v20
	s_delay_alu instid0(VALU_DEP_3) | instskip(NEXT) | instid1(VALU_DEP_3)
	v_sub_nc_u32_e32 v14, v15, v14
	v_fma_f32 v15, 0x3fc90fda, v17, -v19
	s_delay_alu instid0(VALU_DEP_3) | instskip(NEXT) | instid1(VALU_DEP_2)
	v_lshrrev_b32_e32 v13, 9, v13
	v_fmac_f32_e32 v15, 0x33a22168, v17
	s_delay_alu instid0(VALU_DEP_2) | instskip(SKIP_1) | instid1(VALU_DEP_2)
	v_or_b32_e32 v13, v14, v13
	v_add_nc_u32_e32 v14, v16, v1
	v_fmac_f32_e32 v15, 0x3fc90fda, v13
	s_delay_alu instid0(VALU_DEP_1)
	v_add_f32_e32 v13, v19, v15
.LBB102_47:                             ;   in Loop: Header=BB102_41 Depth=1
	s_and_not1_saveexec_b32 s0, s9
; %bb.48:                               ;   in Loop: Header=BB102_41 Depth=1
	v_mul_f32_e64 v1, 0x3f22f983, |v7|
	s_delay_alu instid0(VALU_DEP_1) | instskip(NEXT) | instid1(VALU_DEP_1)
	v_rndne_f32_e32 v1, v1
	v_fma_f32 v13, 0xbfc90fda, v1, |v7|
	v_cvt_i32_f32_e32 v14, v1
	s_delay_alu instid0(VALU_DEP_2) | instskip(NEXT) | instid1(VALU_DEP_1)
	v_fmac_f32_e32 v13, 0xb3a22168, v1
	v_fmac_f32_e32 v13, 0xa7c234c4, v1
; %bb.49:                               ;   in Loop: Header=BB102_41 Depth=1
	s_or_b32 exec_lo, exec_lo, s0
	v_cvt_f32_f16_e32 v15, v8
                                        ; implicit-def: $vgpr19
                                        ; implicit-def: $vgpr17
	s_mov_b32 s1, exec_lo
	s_delay_alu instid0(VALU_DEP_1)
	v_and_b32_e32 v16, 0x7fffffff, v15
	v_cmpx_ngt_f32_e64 0x48000000, |v15|
	s_xor_b32 s9, exec_lo, s1
	s_cbranch_execz .LBB102_51
; %bb.50:                               ;   in Loop: Header=BB102_41 Depth=1
	s_delay_alu instid0(VALU_DEP_2) | instskip(SKIP_1) | instid1(VALU_DEP_2)
	v_lshrrev_b32_e32 v22, 23, v16
	v_and_or_b32 v25, v16, s6, 0x800000
	v_add_nc_u32_e32 v23, 0xffffff88, v22
	s_delay_alu instid0(VALU_DEP_2) | instskip(NEXT) | instid1(VALU_DEP_2)
	v_mad_u64_u32 v[17:18], null, 0xfe5163ab, v25, 0
	v_cmp_lt_u32_e32 vcc_lo, 63, v23
	v_cndmask_b32_e64 v24, 0, 0xffffffc0, vcc_lo
	s_delay_alu instid0(VALU_DEP_1) | instskip(NEXT) | instid1(VALU_DEP_1)
	v_dual_mov_b32 v1, v18 :: v_dual_add_nc_u32 v24, v24, v23
	v_mad_u64_u32 v[18:19], null, 0x3c439041, v25, v[1:2]
	s_delay_alu instid0(VALU_DEP_2) | instskip(NEXT) | instid1(VALU_DEP_1)
	v_cmp_lt_u32_e64 s0, 31, v24
	v_cndmask_b32_e64 v26, 0, 0xffffffe0, s0
	s_delay_alu instid0(VALU_DEP_1) | instskip(NEXT) | instid1(VALU_DEP_1)
	v_dual_mov_b32 v1, v19 :: v_dual_add_nc_u32 v26, v26, v24
	v_mad_u64_u32 v[19:20], null, 0xdb629599, v25, v[1:2]
	s_delay_alu instid0(VALU_DEP_2) | instskip(NEXT) | instid1(VALU_DEP_2)
	v_cmp_lt_u32_e64 s1, 31, v26
	v_mov_b32_e32 v1, v20
	s_delay_alu instid0(VALU_DEP_3) | instskip(NEXT) | instid1(VALU_DEP_2)
	v_cndmask_b32_e32 v17, v19, v17, vcc_lo
	v_mad_u64_u32 v[20:21], null, 0xf534ddc0, v25, v[1:2]
	s_delay_alu instid0(VALU_DEP_1) | instskip(NEXT) | instid1(VALU_DEP_1)
	v_dual_mov_b32 v1, v21 :: v_dual_cndmask_b32 v18, v20, v18
	v_mad_u64_u32 v[21:22], null, 0xfc2757d1, v25, v[1:2]
	s_delay_alu instid0(VALU_DEP_2) | instskip(NEXT) | instid1(VALU_DEP_2)
	v_cndmask_b32_e64 v17, v18, v17, s0
	v_mov_b32_e32 v1, v22
	s_delay_alu instid0(VALU_DEP_1) | instskip(NEXT) | instid1(VALU_DEP_1)
	v_mad_u64_u32 v[22:23], null, 0x4e441529, v25, v[1:2]
	v_mov_b32_e32 v1, v23
	s_delay_alu instid0(VALU_DEP_1) | instskip(SKIP_1) | instid1(VALU_DEP_4)
	v_mad_u64_u32 v[23:24], null, 0xa2f9836e, v25, v[1:2]
	v_cndmask_b32_e64 v1, 0, 0xffffffe0, s1
	v_cndmask_b32_e32 v25, v22, v20, vcc_lo
	s_delay_alu instid0(VALU_DEP_2) | instskip(NEXT) | instid1(VALU_DEP_4)
	v_add_nc_u32_e32 v1, v1, v26
	v_dual_cndmask_b32 v23, v23, v21 :: v_dual_cndmask_b32 v22, v24, v22
	v_cndmask_b32_e32 v21, v21, v19, vcc_lo
	s_delay_alu instid0(VALU_DEP_3) | instskip(NEXT) | instid1(VALU_DEP_3)
	v_sub_nc_u32_e32 v24, 32, v1
	v_cndmask_b32_e64 v20, v23, v25, s0
	s_delay_alu instid0(VALU_DEP_4) | instskip(NEXT) | instid1(VALU_DEP_4)
	v_cndmask_b32_e64 v22, v22, v23, s0
	v_cndmask_b32_e64 v23, v25, v21, s0
	;; [unrolled: 1-line block ×3, first 2 shown]
	v_cmp_eq_u32_e64 s2, 0, v1
	s_delay_alu instid0(VALU_DEP_4) | instskip(NEXT) | instid1(VALU_DEP_4)
	v_cndmask_b32_e64 v22, v22, v20, s1
	v_cndmask_b32_e64 v20, v20, v23, s1
	s_delay_alu instid0(VALU_DEP_4) | instskip(SKIP_1) | instid1(VALU_DEP_3)
	v_cndmask_b32_e64 v23, v23, v21, s1
	v_cndmask_b32_e64 v17, v21, v17, s1
	v_alignbit_b32 v25, v22, v20, v24
	s_delay_alu instid0(VALU_DEP_3) | instskip(NEXT) | instid1(VALU_DEP_3)
	v_alignbit_b32 v26, v20, v23, v24
	v_alignbit_b32 v24, v23, v17, v24
	s_delay_alu instid0(VALU_DEP_3) | instskip(NEXT) | instid1(VALU_DEP_3)
	v_cndmask_b32_e64 v1, v25, v22, s2
	v_cndmask_b32_e64 v19, v26, v20, s2
	s_delay_alu instid0(VALU_DEP_3) | instskip(NEXT) | instid1(VALU_DEP_3)
	v_cndmask_b32_e64 v23, v24, v23, s2
	v_bfe_u32 v20, v1, 29, 1
	s_delay_alu instid0(VALU_DEP_3) | instskip(NEXT) | instid1(VALU_DEP_3)
	v_alignbit_b32 v18, v1, v19, 30
	v_alignbit_b32 v19, v19, v23, 30
	;; [unrolled: 1-line block ×3, first 2 shown]
	s_delay_alu instid0(VALU_DEP_4) | instskip(NEXT) | instid1(VALU_DEP_1)
	v_sub_nc_u32_e32 v22, 0, v20
	v_xor_b32_e32 v21, v18, v22
	v_cmp_ne_u32_e32 vcc_lo, v18, v22
	v_xor_b32_e32 v19, v19, v22
	v_xor_b32_e32 v17, v17, v22
	s_delay_alu instid0(VALU_DEP_4) | instskip(NEXT) | instid1(VALU_DEP_1)
	v_clz_i32_u32_e32 v25, v21
	v_add_nc_u32_e32 v24, 1, v25
	s_delay_alu instid0(VALU_DEP_1) | instskip(NEXT) | instid1(VALU_DEP_1)
	v_cndmask_b32_e32 v18, 33, v24, vcc_lo
	v_sub_nc_u32_e32 v23, 32, v18
	s_delay_alu instid0(VALU_DEP_1) | instskip(SKIP_3) | instid1(VALU_DEP_3)
	v_alignbit_b32 v21, v21, v19, v23
	v_alignbit_b32 v17, v19, v17, v23
	v_lshrrev_b32_e32 v19, 29, v1
	v_lshrrev_b32_e32 v1, 30, v1
	v_alignbit_b32 v22, v21, v17, 9
	s_delay_alu instid0(VALU_DEP_3) | instskip(SKIP_1) | instid1(VALU_DEP_3)
	v_lshlrev_b32_e32 v19, 31, v19
	v_alignbit_b32 v21, v18, v21, 9
	v_clz_i32_u32_e32 v23, v22
	s_delay_alu instid0(VALU_DEP_2) | instskip(SKIP_1) | instid1(VALU_DEP_3)
	v_or_b32_e32 v21, v21, v19
	v_or_b32_e32 v19, 0x33800000, v19
	v_min_u32_e32 v23, 32, v23
	s_delay_alu instid0(VALU_DEP_3) | instskip(NEXT) | instid1(VALU_DEP_2)
	v_xor_b32_e32 v21, 1.0, v21
	v_sub_nc_u32_e32 v24, 31, v23
	v_add_lshl_u32 v18, v23, v18, 23
	s_delay_alu instid0(VALU_DEP_3) | instskip(NEXT) | instid1(VALU_DEP_3)
	v_mul_f32_e32 v23, 0x3fc90fda, v21
	v_alignbit_b32 v17, v22, v17, v24
	s_delay_alu instid0(VALU_DEP_3) | instskip(NEXT) | instid1(VALU_DEP_3)
	v_sub_nc_u32_e32 v18, v19, v18
	v_fma_f32 v19, 0x3fc90fda, v21, -v23
	s_delay_alu instid0(VALU_DEP_3) | instskip(NEXT) | instid1(VALU_DEP_2)
	v_lshrrev_b32_e32 v17, 9, v17
	v_fmac_f32_e32 v19, 0x33a22168, v21
	s_delay_alu instid0(VALU_DEP_2) | instskip(NEXT) | instid1(VALU_DEP_1)
	v_or_b32_e32 v17, v18, v17
	v_fmac_f32_e32 v19, 0x3fc90fda, v17
	s_delay_alu instid0(VALU_DEP_1)
	v_add_f32_e32 v17, v23, v19
	v_add_nc_u32_e32 v19, v20, v1
.LBB102_51:                             ;   in Loop: Header=BB102_41 Depth=1
	s_and_not1_saveexec_b32 s0, s9
; %bb.52:                               ;   in Loop: Header=BB102_41 Depth=1
	v_mul_f32_e64 v1, 0x3f22f983, |v15|
	s_delay_alu instid0(VALU_DEP_1) | instskip(NEXT) | instid1(VALU_DEP_1)
	v_rndne_f32_e32 v1, v1
	v_fma_f32 v17, 0xbfc90fda, v1, |v15|
	v_cvt_i32_f32_e32 v19, v1
	s_delay_alu instid0(VALU_DEP_2) | instskip(NEXT) | instid1(VALU_DEP_1)
	v_fmac_f32_e32 v17, 0xb3a22168, v1
	v_fmac_f32_e32 v17, 0xa7c234c4, v1
; %bb.53:                               ;   in Loop: Header=BB102_41 Depth=1
	s_or_b32 exec_lo, exec_lo, s0
	v_lshrrev_b32_e32 v1, 16, v8
                                        ; implicit-def: $vgpr20
	s_mov_b32 s1, exec_lo
	s_delay_alu instid0(VALU_DEP_1) | instskip(NEXT) | instid1(VALU_DEP_1)
	v_cvt_f32_f16_e32 v8, v1
                                        ; implicit-def: $vgpr1
	v_and_b32_e32 v18, 0x7fffffff, v8
	v_cmpx_ngt_f32_e64 0x48000000, |v8|
	s_xor_b32 s9, exec_lo, s1
	s_cbranch_execz .LBB102_55
; %bb.54:                               ;   in Loop: Header=BB102_41 Depth=1
	s_delay_alu instid0(VALU_DEP_2) | instskip(SKIP_1) | instid1(VALU_DEP_2)
	v_and_or_b32 v28, v18, s6, 0x800000
	v_lshrrev_b32_e32 v25, 23, v18
	v_mad_u64_u32 v[20:21], null, 0xfe5163ab, v28, 0
	s_delay_alu instid0(VALU_DEP_2) | instskip(NEXT) | instid1(VALU_DEP_1)
	v_add_nc_u32_e32 v26, 0xffffff88, v25
	v_cmp_lt_u32_e32 vcc_lo, 63, v26
	s_delay_alu instid0(VALU_DEP_3) | instskip(SKIP_1) | instid1(VALU_DEP_2)
	v_mov_b32_e32 v1, v21
	v_cndmask_b32_e64 v27, 0, 0xffffffc0, vcc_lo
	v_mad_u64_u32 v[21:22], null, 0x3c439041, v28, v[1:2]
	s_delay_alu instid0(VALU_DEP_2) | instskip(NEXT) | instid1(VALU_DEP_2)
	v_add_nc_u32_e32 v27, v27, v26
	v_mov_b32_e32 v1, v22
	s_delay_alu instid0(VALU_DEP_2) | instskip(NEXT) | instid1(VALU_DEP_2)
	v_cmp_lt_u32_e64 s0, 31, v27
	v_mad_u64_u32 v[22:23], null, 0xdb629599, v28, v[1:2]
	s_delay_alu instid0(VALU_DEP_2) | instskip(NEXT) | instid1(VALU_DEP_1)
	v_cndmask_b32_e64 v29, 0, 0xffffffe0, s0
	v_add_nc_u32_e32 v29, v29, v27
	s_delay_alu instid0(VALU_DEP_3) | instskip(NEXT) | instid1(VALU_DEP_2)
	v_dual_mov_b32 v1, v23 :: v_dual_cndmask_b32 v20, v22, v20
	v_cmp_lt_u32_e64 s1, 31, v29
	s_delay_alu instid0(VALU_DEP_2) | instskip(NEXT) | instid1(VALU_DEP_1)
	v_mad_u64_u32 v[23:24], null, 0xf534ddc0, v28, v[1:2]
	v_mov_b32_e32 v1, v24
	s_delay_alu instid0(VALU_DEP_2) | instskip(NEXT) | instid1(VALU_DEP_2)
	v_cndmask_b32_e32 v21, v23, v21, vcc_lo
	v_mad_u64_u32 v[24:25], null, 0xfc2757d1, v28, v[1:2]
	s_delay_alu instid0(VALU_DEP_2) | instskip(NEXT) | instid1(VALU_DEP_2)
	v_cndmask_b32_e64 v20, v21, v20, s0
	v_mov_b32_e32 v1, v25
	s_delay_alu instid0(VALU_DEP_1) | instskip(NEXT) | instid1(VALU_DEP_1)
	v_mad_u64_u32 v[25:26], null, 0x4e441529, v28, v[1:2]
	v_mov_b32_e32 v1, v26
	s_delay_alu instid0(VALU_DEP_1) | instskip(SKIP_1) | instid1(VALU_DEP_4)
	v_mad_u64_u32 v[26:27], null, 0xa2f9836e, v28, v[1:2]
	v_cndmask_b32_e64 v1, 0, 0xffffffe0, s1
	v_cndmask_b32_e32 v28, v25, v23, vcc_lo
	s_delay_alu instid0(VALU_DEP_2) | instskip(NEXT) | instid1(VALU_DEP_4)
	v_dual_cndmask_b32 v26, v26, v24 :: v_dual_add_nc_u32 v1, v1, v29
	v_dual_cndmask_b32 v25, v27, v25 :: v_dual_cndmask_b32 v24, v24, v22
	s_delay_alu instid0(VALU_DEP_2) | instskip(NEXT) | instid1(VALU_DEP_3)
	v_sub_nc_u32_e32 v27, 32, v1
	v_cndmask_b32_e64 v23, v26, v28, s0
	s_delay_alu instid0(VALU_DEP_3) | instskip(NEXT) | instid1(VALU_DEP_4)
	v_cndmask_b32_e64 v25, v25, v26, s0
	v_cndmask_b32_e64 v26, v28, v24, s0
	v_cndmask_b32_e64 v24, v24, v21, s0
	v_cmp_eq_u32_e64 s2, 0, v1
	s_delay_alu instid0(VALU_DEP_4) | instskip(NEXT) | instid1(VALU_DEP_4)
	v_cndmask_b32_e64 v25, v25, v23, s1
	v_cndmask_b32_e64 v23, v23, v26, s1
	s_delay_alu instid0(VALU_DEP_4) | instskip(SKIP_1) | instid1(VALU_DEP_3)
	v_cndmask_b32_e64 v26, v26, v24, s1
	v_cndmask_b32_e64 v20, v24, v20, s1
	v_alignbit_b32 v28, v25, v23, v27
	s_delay_alu instid0(VALU_DEP_3) | instskip(NEXT) | instid1(VALU_DEP_3)
	v_alignbit_b32 v29, v23, v26, v27
	v_alignbit_b32 v27, v26, v20, v27
	s_delay_alu instid0(VALU_DEP_3) | instskip(NEXT) | instid1(VALU_DEP_3)
	v_cndmask_b32_e64 v1, v28, v25, s2
	v_cndmask_b32_e64 v22, v29, v23, s2
	s_delay_alu instid0(VALU_DEP_3) | instskip(NEXT) | instid1(VALU_DEP_3)
	v_cndmask_b32_e64 v26, v27, v26, s2
	v_bfe_u32 v23, v1, 29, 1
	s_delay_alu instid0(VALU_DEP_3) | instskip(NEXT) | instid1(VALU_DEP_3)
	v_alignbit_b32 v21, v1, v22, 30
	v_alignbit_b32 v22, v22, v26, 30
	;; [unrolled: 1-line block ×3, first 2 shown]
	s_delay_alu instid0(VALU_DEP_4) | instskip(NEXT) | instid1(VALU_DEP_1)
	v_sub_nc_u32_e32 v25, 0, v23
	v_xor_b32_e32 v24, v21, v25
	v_cmp_ne_u32_e32 vcc_lo, v21, v25
	v_xor_b32_e32 v22, v22, v25
	v_xor_b32_e32 v20, v20, v25
	s_delay_alu instid0(VALU_DEP_4) | instskip(NEXT) | instid1(VALU_DEP_1)
	v_clz_i32_u32_e32 v28, v24
	v_add_nc_u32_e32 v27, 1, v28
	s_delay_alu instid0(VALU_DEP_1) | instskip(NEXT) | instid1(VALU_DEP_1)
	v_cndmask_b32_e32 v21, 33, v27, vcc_lo
	v_sub_nc_u32_e32 v26, 32, v21
	s_delay_alu instid0(VALU_DEP_1) | instskip(SKIP_3) | instid1(VALU_DEP_3)
	v_alignbit_b32 v24, v24, v22, v26
	v_alignbit_b32 v20, v22, v20, v26
	v_lshrrev_b32_e32 v22, 29, v1
	v_lshrrev_b32_e32 v1, 30, v1
	v_alignbit_b32 v25, v24, v20, 9
	s_delay_alu instid0(VALU_DEP_3) | instskip(SKIP_1) | instid1(VALU_DEP_4)
	v_lshlrev_b32_e32 v22, 31, v22
	v_alignbit_b32 v24, v21, v24, 9
	v_add_nc_u32_e32 v1, v23, v1
	s_delay_alu instid0(VALU_DEP_4) | instskip(NEXT) | instid1(VALU_DEP_3)
	v_clz_i32_u32_e32 v26, v25
	v_or_b32_e32 v24, v24, v22
	v_or_b32_e32 v22, 0x33800000, v22
	s_delay_alu instid0(VALU_DEP_3) | instskip(NEXT) | instid1(VALU_DEP_3)
	v_min_u32_e32 v26, 32, v26
	v_xor_b32_e32 v24, 1.0, v24
	s_delay_alu instid0(VALU_DEP_2) | instskip(SKIP_1) | instid1(VALU_DEP_3)
	v_sub_nc_u32_e32 v27, 31, v26
	v_add_lshl_u32 v21, v26, v21, 23
	v_mul_f32_e32 v26, 0x3fc90fda, v24
	s_delay_alu instid0(VALU_DEP_3) | instskip(NEXT) | instid1(VALU_DEP_3)
	v_alignbit_b32 v20, v25, v20, v27
	v_sub_nc_u32_e32 v21, v22, v21
	s_delay_alu instid0(VALU_DEP_3) | instskip(NEXT) | instid1(VALU_DEP_3)
	v_fma_f32 v22, 0x3fc90fda, v24, -v26
	v_lshrrev_b32_e32 v20, 9, v20
	s_delay_alu instid0(VALU_DEP_2) | instskip(NEXT) | instid1(VALU_DEP_2)
	v_fmac_f32_e32 v22, 0x33a22168, v24
	v_or_b32_e32 v20, v21, v20
	s_delay_alu instid0(VALU_DEP_1) | instskip(NEXT) | instid1(VALU_DEP_1)
	v_fmac_f32_e32 v22, 0x3fc90fda, v20
	v_add_f32_e32 v20, v26, v22
.LBB102_55:                             ;   in Loop: Header=BB102_41 Depth=1
	s_and_not1_saveexec_b32 s0, s9
	s_cbranch_execz .LBB102_40
; %bb.56:                               ;   in Loop: Header=BB102_41 Depth=1
	v_mul_f32_e64 v1, 0x3f22f983, |v8|
	s_delay_alu instid0(VALU_DEP_1) | instskip(NEXT) | instid1(VALU_DEP_1)
	v_rndne_f32_e32 v1, v1
	v_fma_f32 v20, 0xbfc90fda, v1, |v8|
	s_delay_alu instid0(VALU_DEP_1) | instskip(NEXT) | instid1(VALU_DEP_1)
	v_fmac_f32_e32 v20, 0xb3a22168, v1
	v_fmac_f32_e32 v20, 0xa7c234c4, v1
	v_cvt_i32_f32_e32 v1, v1
	s_branch .LBB102_40
.LBB102_57:
	s_nop 0
	s_sendmsg sendmsg(MSG_DEALLOC_VGPRS)
	s_endpgm
	.section	.rodata,"a",@progbits
	.p2align	6, 0x0
	.amdhsa_kernel _ZN2at6native12_GLOBAL__N_125multi_tensor_apply_kernelINS1_18TensorListMetadataILi1EEENS1_14UnaryOpFunctorIN3c104HalfELi1ELi1ELi0EEEJNS0_3TanIfEEEEEvT_T0_DpT1_
		.amdhsa_group_segment_fixed_size 0
		.amdhsa_private_segment_fixed_size 0
		.amdhsa_kernarg_size 3632
		.amdhsa_user_sgpr_count 15
		.amdhsa_user_sgpr_dispatch_ptr 0
		.amdhsa_user_sgpr_queue_ptr 0
		.amdhsa_user_sgpr_kernarg_segment_ptr 1
		.amdhsa_user_sgpr_dispatch_id 0
		.amdhsa_user_sgpr_private_segment_size 0
		.amdhsa_wavefront_size32 1
		.amdhsa_uses_dynamic_stack 0
		.amdhsa_enable_private_segment 0
		.amdhsa_system_sgpr_workgroup_id_x 1
		.amdhsa_system_sgpr_workgroup_id_y 0
		.amdhsa_system_sgpr_workgroup_id_z 0
		.amdhsa_system_sgpr_workgroup_info 0
		.amdhsa_system_vgpr_workitem_id 0
		.amdhsa_next_free_vgpr 37
		.amdhsa_next_free_sgpr 26
		.amdhsa_reserve_vcc 1
		.amdhsa_float_round_mode_32 0
		.amdhsa_float_round_mode_16_64 0
		.amdhsa_float_denorm_mode_32 3
		.amdhsa_float_denorm_mode_16_64 3
		.amdhsa_dx10_clamp 1
		.amdhsa_ieee_mode 1
		.amdhsa_fp16_overflow 0
		.amdhsa_workgroup_processor_mode 1
		.amdhsa_memory_ordered 1
		.amdhsa_forward_progress 0
		.amdhsa_shared_vgpr_count 0
		.amdhsa_exception_fp_ieee_invalid_op 0
		.amdhsa_exception_fp_denorm_src 0
		.amdhsa_exception_fp_ieee_div_zero 0
		.amdhsa_exception_fp_ieee_overflow 0
		.amdhsa_exception_fp_ieee_underflow 0
		.amdhsa_exception_fp_ieee_inexact 0
		.amdhsa_exception_int_div_zero 0
	.end_amdhsa_kernel
	.section	.text._ZN2at6native12_GLOBAL__N_125multi_tensor_apply_kernelINS1_18TensorListMetadataILi1EEENS1_14UnaryOpFunctorIN3c104HalfELi1ELi1ELi0EEEJNS0_3TanIfEEEEEvT_T0_DpT1_,"axG",@progbits,_ZN2at6native12_GLOBAL__N_125multi_tensor_apply_kernelINS1_18TensorListMetadataILi1EEENS1_14UnaryOpFunctorIN3c104HalfELi1ELi1ELi0EEEJNS0_3TanIfEEEEEvT_T0_DpT1_,comdat
.Lfunc_end102:
	.size	_ZN2at6native12_GLOBAL__N_125multi_tensor_apply_kernelINS1_18TensorListMetadataILi1EEENS1_14UnaryOpFunctorIN3c104HalfELi1ELi1ELi0EEEJNS0_3TanIfEEEEEvT_T0_DpT1_, .Lfunc_end102-_ZN2at6native12_GLOBAL__N_125multi_tensor_apply_kernelINS1_18TensorListMetadataILi1EEENS1_14UnaryOpFunctorIN3c104HalfELi1ELi1ELi0EEEJNS0_3TanIfEEEEEvT_T0_DpT1_
                                        ; -- End function
	.section	.AMDGPU.csdata,"",@progbits
; Kernel info:
; codeLenInByte = 8988
; NumSgprs: 28
; NumVgprs: 37
; ScratchSize: 0
; MemoryBound: 0
; FloatMode: 240
; IeeeMode: 1
; LDSByteSize: 0 bytes/workgroup (compile time only)
; SGPRBlocks: 3
; VGPRBlocks: 4
; NumSGPRsForWavesPerEU: 28
; NumVGPRsForWavesPerEU: 37
; Occupancy: 16
; WaveLimiterHint : 0
; COMPUTE_PGM_RSRC2:SCRATCH_EN: 0
; COMPUTE_PGM_RSRC2:USER_SGPR: 15
; COMPUTE_PGM_RSRC2:TRAP_HANDLER: 0
; COMPUTE_PGM_RSRC2:TGID_X_EN: 1
; COMPUTE_PGM_RSRC2:TGID_Y_EN: 0
; COMPUTE_PGM_RSRC2:TGID_Z_EN: 0
; COMPUTE_PGM_RSRC2:TIDIG_COMP_CNT: 0
	.section	.text._ZN2at6native12_GLOBAL__N_125multi_tensor_apply_kernelINS1_18TensorListMetadataILi1EEENS1_14UnaryOpFunctorIN3c108BFloat16ELi1ELi1ELi0EEEJNS0_3TanIfEEEEEvT_T0_DpT1_,"axG",@progbits,_ZN2at6native12_GLOBAL__N_125multi_tensor_apply_kernelINS1_18TensorListMetadataILi1EEENS1_14UnaryOpFunctorIN3c108BFloat16ELi1ELi1ELi0EEEJNS0_3TanIfEEEEEvT_T0_DpT1_,comdat
	.globl	_ZN2at6native12_GLOBAL__N_125multi_tensor_apply_kernelINS1_18TensorListMetadataILi1EEENS1_14UnaryOpFunctorIN3c108BFloat16ELi1ELi1ELi0EEEJNS0_3TanIfEEEEEvT_T0_DpT1_ ; -- Begin function _ZN2at6native12_GLOBAL__N_125multi_tensor_apply_kernelINS1_18TensorListMetadataILi1EEENS1_14UnaryOpFunctorIN3c108BFloat16ELi1ELi1ELi0EEEJNS0_3TanIfEEEEEvT_T0_DpT1_
	.p2align	8
	.type	_ZN2at6native12_GLOBAL__N_125multi_tensor_apply_kernelINS1_18TensorListMetadataILi1EEENS1_14UnaryOpFunctorIN3c108BFloat16ELi1ELi1ELi0EEEJNS0_3TanIfEEEEEvT_T0_DpT1_,@function
_ZN2at6native12_GLOBAL__N_125multi_tensor_apply_kernelINS1_18TensorListMetadataILi1EEENS1_14UnaryOpFunctorIN3c108BFloat16ELi1ELi1ELi0EEEJNS0_3TanIfEEEEEvT_T0_DpT1_: ; @_ZN2at6native12_GLOBAL__N_125multi_tensor_apply_kernelINS1_18TensorListMetadataILi1EEENS1_14UnaryOpFunctorIN3c108BFloat16ELi1ELi1ELi0EEEJNS0_3TanIfEEEEEvT_T0_DpT1_
; %bb.0:
	v_mov_b32_e32 v1, s15
	s_add_u32 s2, s0, s15
	s_mul_hi_u32 s3, s15, 3
	s_mul_i32 s15, s15, 3
	s_addc_u32 s4, s1, 0
	global_load_u8 v1, v1, s[0:1] offset:1760
	s_add_u32 s2, s2, s15
	s_addc_u32 s3, s4, s3
	s_mov_b32 s7, 0
	s_load_b32 s2, s[2:3], 0x820
	s_waitcnt vmcnt(0)
	v_readfirstlane_b32 s5, v1
	s_delay_alu instid0(VALU_DEP_1)
	s_lshl_b32 s3, s5, 3
	s_clause 0x1
	s_load_b64 s[12:13], s[0:1], s3 offset:0x0
	s_load_b64 s[4:5], s[0:1], s3 offset:0x370
	s_waitcnt lgkmcnt(0)
	s_ashr_i32 s3, s2, 31
	s_delay_alu instid0(SALU_CYCLE_1)
	s_lshl_b64 s[14:15], s[2:3], 17
	s_lshl_b64 s[2:3], s[2:3], 16
	s_and_b32 s6, s12, 7
	s_sub_u32 s10, s4, s2
	s_subb_u32 s11, s5, s3
	s_and_b32 s2, s4, 3
	s_mov_b32 s3, s7
	s_delay_alu instid0(SALU_CYCLE_1) | instskip(NEXT) | instid1(SALU_CYCLE_1)
	s_or_b64 s[2:3], s[6:7], s[2:3]
	s_cmp_eq_u64 s[2:3], 0
	s_cbranch_scc1 .LBB103_37
; %bb.1:
	v_cmp_lt_i64_e64 s2, s[10:11], 1
	s_delay_alu instid0(VALU_DEP_1)
	s_and_b32 vcc_lo, exec_lo, s2
	s_cbranch_vccnz .LBB103_36
; %bb.2:
	s_load_b32 s2, s[0:1], 0xd3c
	v_cmp_gt_u64_e64 s3, 0x10000, s[10:11]
	v_dual_mov_b32 v2, 0 :: v_dual_lshlrev_b32 v1, 1, v0
	s_mov_b64 s[18:19], 0
	s_mov_b32 s22, 0x7fffff
	s_mov_b32 s23, 0xbc8cedd3
	;; [unrolled: 1-line block ×3, first 2 shown]
	s_waitcnt lgkmcnt(0)
	s_and_b32 s2, s2, 0xffff
	s_and_b32 s3, s3, exec_lo
	v_add_co_u32 v7, s5, v0, s2
	s_cselect_b32 s17, s11, 0
	s_cselect_b32 s16, s10, 0x10000
	s_lshl_b32 s3, s2, 1
	s_mul_i32 s4, s2, 3
	s_lshl_b32 s9, s2, 2
	v_add_co_ci_u32_e64 v8, null, 0, 0, s5
	s_add_u32 s5, s12, s14
	s_mul_i32 s20, s2, 6
	s_addc_u32 s6, s13, s15
	s_lshl_b32 s21, s2, 3
	v_add_co_u32 v9, s2, s4, v0
	s_delay_alu instid0(VALU_DEP_1) | instskip(SKIP_4) | instid1(VALU_DEP_1)
	v_add_co_ci_u32_e64 v10, null, 0, 0, s2
	v_add_co_u32 v3, s2, s5, v1
	v_lshlrev_b32_e32 v1, 1, v7
	v_add_co_ci_u32_e64 v4, null, s6, 0, s2
	v_add_co_u32 v11, s2, s3, v0
	v_add_co_ci_u32_e64 v12, null, 0, 0, s2
	s_delay_alu instid0(VALU_DEP_4) | instskip(NEXT) | instid1(VALU_DEP_1)
	v_add_co_u32 v5, s2, s5, v1
	v_add_co_ci_u32_e64 v6, null, s6, 0, s2
	s_branch .LBB103_4
.LBB103_3:                              ;   in Loop: Header=BB103_4 Depth=1
	s_or_b32 exec_lo, exec_lo, s2
	s_add_u32 s18, s18, s9
	s_addc_u32 s19, s19, 0
	v_add_co_u32 v3, vcc_lo, v3, s21
	v_cmp_ge_i64_e64 s2, s[18:19], s[10:11]
	v_cmp_lt_u64_e64 s3, 0xffff, s[18:19]
	v_add_co_ci_u32_e32 v4, vcc_lo, 0, v4, vcc_lo
	v_add_co_u32 v5, vcc_lo, v5, s21
	v_add_co_ci_u32_e32 v6, vcc_lo, 0, v6, vcc_lo
	s_delay_alu instid0(VALU_DEP_4) | instskip(NEXT) | instid1(SALU_CYCLE_1)
	s_or_b32 s2, s2, s3
	s_and_b32 vcc_lo, exec_lo, s2
	s_cbranch_vccnz .LBB103_36
.LBB103_4:                              ; =>This Inner Loop Header: Depth=1
	v_add_co_u32 v13, s2, v0, s18
	s_delay_alu instid0(VALU_DEP_1) | instskip(SKIP_1) | instid1(VALU_DEP_2)
	v_add_co_ci_u32_e64 v14, null, 0, s19, s2
	v_mov_b32_e32 v1, 0
	v_cmp_gt_u64_e64 s4, s[16:17], v[13:14]
	s_delay_alu instid0(VALU_DEP_1)
	s_and_saveexec_b32 s2, s4
	s_cbranch_execz .LBB103_6
; %bb.5:                                ;   in Loop: Header=BB103_4 Depth=1
	global_load_u16 v1, v[3:4], off
.LBB103_6:                              ;   in Loop: Header=BB103_4 Depth=1
	s_or_b32 exec_lo, exec_lo, s2
	v_add_co_u32 v13, vcc_lo, v7, s18
	v_add_co_ci_u32_e32 v14, vcc_lo, s19, v8, vcc_lo
	v_mov_b32_e32 v15, 0
	s_delay_alu instid0(VALU_DEP_2) | instskip(NEXT) | instid1(VALU_DEP_1)
	v_cmp_gt_u64_e64 s3, s[16:17], v[13:14]
	s_and_saveexec_b32 s2, s3
	s_cbranch_execz .LBB103_8
; %bb.7:                                ;   in Loop: Header=BB103_4 Depth=1
	global_load_u16 v15, v[5:6], off
.LBB103_8:                              ;   in Loop: Header=BB103_4 Depth=1
	s_or_b32 exec_lo, exec_lo, s2
	v_add_co_u32 v13, vcc_lo, v11, s18
	v_add_co_ci_u32_e32 v14, vcc_lo, s19, v12, vcc_lo
	v_dual_mov_b32 v19, 0 :: v_dual_mov_b32 v20, 0
	s_delay_alu instid0(VALU_DEP_2) | instskip(NEXT) | instid1(VALU_DEP_1)
	v_cmp_gt_u64_e64 s2, s[16:17], v[13:14]
	s_and_saveexec_b32 s5, s2
	s_cbranch_execz .LBB103_10
; %bb.9:                                ;   in Loop: Header=BB103_4 Depth=1
	v_add_co_u32 v13, vcc_lo, v3, s9
	v_add_co_ci_u32_e32 v14, vcc_lo, 0, v4, vcc_lo
	global_load_u16 v20, v[13:14], off
.LBB103_10:                             ;   in Loop: Header=BB103_4 Depth=1
	s_or_b32 exec_lo, exec_lo, s5
	v_add_co_u32 v13, vcc_lo, v9, s18
	v_add_co_ci_u32_e32 v14, vcc_lo, s19, v10, vcc_lo
	s_delay_alu instid0(VALU_DEP_1)
	v_cmp_gt_u64_e32 vcc_lo, s[16:17], v[13:14]
	s_and_saveexec_b32 s6, vcc_lo
	s_cbranch_execz .LBB103_12
; %bb.11:                               ;   in Loop: Header=BB103_4 Depth=1
	v_add_co_u32 v13, s5, v3, s20
	s_delay_alu instid0(VALU_DEP_1)
	v_add_co_ci_u32_e64 v14, s5, 0, v4, s5
	global_load_u16 v19, v[13:14], off
.LBB103_12:                             ;   in Loop: Header=BB103_4 Depth=1
	s_or_b32 exec_lo, exec_lo, s6
	s_waitcnt vmcnt(0)
	v_lshlrev_b32_e32 v13, 16, v1
                                        ; implicit-def: $vgpr18
                                        ; implicit-def: $vgpr16
	s_mov_b32 s6, exec_lo
	s_delay_alu instid0(VALU_DEP_1)
	v_and_b32_e32 v14, 0x7fffffff, v13
	v_cmpx_ngt_f32_e64 0x48000000, |v13|
	s_xor_b32 s25, exec_lo, s6
	s_cbranch_execz .LBB103_14
; %bb.13:                               ;   in Loop: Header=BB103_4 Depth=1
	s_delay_alu instid0(VALU_DEP_2) | instskip(NEXT) | instid1(VALU_DEP_1)
	v_and_or_b32 v27, v14, s22, 0x800000
	v_mad_u64_u32 v[16:17], null, 0xfe5163ab, v27, 0
	s_delay_alu instid0(VALU_DEP_1) | instskip(NEXT) | instid1(VALU_DEP_1)
	v_mov_b32_e32 v1, v17
	v_mad_u64_u32 v[17:18], null, 0x3c439041, v27, v[1:2]
	s_delay_alu instid0(VALU_DEP_1) | instskip(SKIP_1) | instid1(VALU_DEP_1)
	v_mov_b32_e32 v1, v18
	v_lshrrev_b32_e32 v18, 23, v14
	v_add_nc_u32_e32 v18, 0xffffff88, v18
	s_delay_alu instid0(VALU_DEP_1) | instskip(NEXT) | instid1(VALU_DEP_1)
	v_cmp_lt_u32_e64 s5, 63, v18
	v_cndmask_b32_e64 v25, 0, 0xffffffc0, s5
	s_delay_alu instid0(VALU_DEP_1) | instskip(SKIP_1) | instid1(VALU_DEP_2)
	v_add_nc_u32_e32 v18, v25, v18
	v_mad_u64_u32 v[21:22], null, 0xdb629599, v27, v[1:2]
	v_cmp_lt_u32_e64 s6, 31, v18
	s_delay_alu instid0(VALU_DEP_2) | instskip(NEXT) | instid1(VALU_DEP_2)
	v_mov_b32_e32 v1, v22
	v_cndmask_b32_e64 v26, 0, 0xffffffe0, s6
	s_delay_alu instid0(VALU_DEP_4) | instskip(NEXT) | instid1(VALU_DEP_3)
	v_cndmask_b32_e64 v16, v21, v16, s5
	v_mad_u64_u32 v[22:23], null, 0xf534ddc0, v27, v[1:2]
	s_delay_alu instid0(VALU_DEP_3) | instskip(NEXT) | instid1(VALU_DEP_1)
	v_add_nc_u32_e32 v18, v26, v18
	v_cmp_lt_u32_e64 s7, 31, v18
	s_delay_alu instid0(VALU_DEP_3) | instskip(NEXT) | instid1(VALU_DEP_4)
	v_mov_b32_e32 v1, v23
	v_cndmask_b32_e64 v17, v22, v17, s5
	s_delay_alu instid0(VALU_DEP_2) | instskip(NEXT) | instid1(VALU_DEP_2)
	v_mad_u64_u32 v[23:24], null, 0xfc2757d1, v27, v[1:2]
	v_cndmask_b32_e64 v16, v17, v16, s6
	s_delay_alu instid0(VALU_DEP_2) | instskip(NEXT) | instid1(VALU_DEP_1)
	v_mov_b32_e32 v1, v24
	v_mad_u64_u32 v[24:25], null, 0x4e441529, v27, v[1:2]
	s_delay_alu instid0(VALU_DEP_1) | instskip(NEXT) | instid1(VALU_DEP_1)
	v_mov_b32_e32 v1, v25
	v_mad_u64_u32 v[25:26], null, 0xa2f9836e, v27, v[1:2]
	v_cndmask_b32_e64 v1, 0, 0xffffffe0, s7
	s_delay_alu instid0(VALU_DEP_4) | instskip(NEXT) | instid1(VALU_DEP_2)
	v_cndmask_b32_e64 v27, v24, v22, s5
	v_add_nc_u32_e32 v1, v1, v18
	s_delay_alu instid0(VALU_DEP_4) | instskip(SKIP_2) | instid1(VALU_DEP_4)
	v_cndmask_b32_e64 v25, v25, v23, s5
	v_cndmask_b32_e64 v24, v26, v24, s5
	;; [unrolled: 1-line block ×3, first 2 shown]
	v_cmp_eq_u32_e64 s8, 0, v1
	s_delay_alu instid0(VALU_DEP_4) | instskip(NEXT) | instid1(VALU_DEP_4)
	v_cndmask_b32_e64 v18, v25, v27, s6
	v_cndmask_b32_e64 v22, v24, v25, s6
	s_delay_alu instid0(VALU_DEP_4) | instskip(SKIP_2) | instid1(VALU_DEP_4)
	v_cndmask_b32_e64 v24, v27, v23, s6
	v_sub_nc_u32_e32 v25, 32, v1
	v_cndmask_b32_e64 v23, v23, v17, s6
	v_cndmask_b32_e64 v22, v22, v18, s7
	s_delay_alu instid0(VALU_DEP_4) | instskip(NEXT) | instid1(VALU_DEP_3)
	v_cndmask_b32_e64 v18, v18, v24, s7
	v_cndmask_b32_e64 v24, v24, v23, s7
	;; [unrolled: 1-line block ×3, first 2 shown]
	s_delay_alu instid0(VALU_DEP_3) | instskip(NEXT) | instid1(VALU_DEP_3)
	v_alignbit_b32 v26, v22, v18, v25
	v_alignbit_b32 v27, v18, v24, v25
	s_delay_alu instid0(VALU_DEP_3) | instskip(NEXT) | instid1(VALU_DEP_3)
	v_alignbit_b32 v25, v24, v16, v25
	v_cndmask_b32_e64 v1, v26, v22, s8
	s_delay_alu instid0(VALU_DEP_3) | instskip(NEXT) | instid1(VALU_DEP_3)
	v_cndmask_b32_e64 v18, v27, v18, s8
	v_cndmask_b32_e64 v24, v25, v24, s8
	s_delay_alu instid0(VALU_DEP_3) | instskip(NEXT) | instid1(VALU_DEP_3)
	v_bfe_u32 v21, v1, 29, 1
	v_alignbit_b32 v17, v1, v18, 30
	s_delay_alu instid0(VALU_DEP_3) | instskip(SKIP_1) | instid1(VALU_DEP_4)
	v_alignbit_b32 v18, v18, v24, 30
	v_alignbit_b32 v16, v24, v16, 30
	v_sub_nc_u32_e32 v22, 0, v21
	s_delay_alu instid0(VALU_DEP_1) | instskip(SKIP_3) | instid1(VALU_DEP_4)
	v_xor_b32_e32 v23, v17, v22
	v_cmp_ne_u32_e64 s5, v17, v22
	v_xor_b32_e32 v18, v18, v22
	v_xor_b32_e32 v16, v16, v22
	v_clz_i32_u32_e32 v26, v23
	s_delay_alu instid0(VALU_DEP_1) | instskip(NEXT) | instid1(VALU_DEP_1)
	v_add_nc_u32_e32 v25, 1, v26
	v_cndmask_b32_e64 v17, 33, v25, s5
	s_delay_alu instid0(VALU_DEP_1) | instskip(NEXT) | instid1(VALU_DEP_1)
	v_sub_nc_u32_e32 v24, 32, v17
	v_alignbit_b32 v22, v23, v18, v24
	v_alignbit_b32 v16, v18, v16, v24
	v_lshrrev_b32_e32 v18, 29, v1
	v_lshrrev_b32_e32 v1, 30, v1
	s_delay_alu instid0(VALU_DEP_3) | instskip(NEXT) | instid1(VALU_DEP_3)
	v_alignbit_b32 v23, v22, v16, 9
	v_lshlrev_b32_e32 v18, 31, v18
	v_alignbit_b32 v22, v17, v22, 9
	s_delay_alu instid0(VALU_DEP_3) | instskip(NEXT) | instid1(VALU_DEP_2)
	v_clz_i32_u32_e32 v24, v23
	v_or_b32_e32 v22, v22, v18
	v_or_b32_e32 v18, 0x33800000, v18
	s_delay_alu instid0(VALU_DEP_3) | instskip(NEXT) | instid1(VALU_DEP_3)
	v_min_u32_e32 v24, 32, v24
	v_xor_b32_e32 v22, 1.0, v22
	s_delay_alu instid0(VALU_DEP_2) | instskip(SKIP_1) | instid1(VALU_DEP_3)
	v_sub_nc_u32_e32 v25, 31, v24
	v_add_lshl_u32 v17, v24, v17, 23
	v_mul_f32_e32 v24, 0x3fc90fda, v22
	s_delay_alu instid0(VALU_DEP_3) | instskip(NEXT) | instid1(VALU_DEP_3)
	v_alignbit_b32 v16, v23, v16, v25
	v_sub_nc_u32_e32 v17, v18, v17
	s_delay_alu instid0(VALU_DEP_3) | instskip(NEXT) | instid1(VALU_DEP_3)
	v_fma_f32 v18, 0x3fc90fda, v22, -v24
	v_lshrrev_b32_e32 v16, 9, v16
	s_delay_alu instid0(VALU_DEP_2) | instskip(NEXT) | instid1(VALU_DEP_2)
	v_fmac_f32_e32 v18, 0x33a22168, v22
	v_or_b32_e32 v16, v17, v16
	s_delay_alu instid0(VALU_DEP_1) | instskip(NEXT) | instid1(VALU_DEP_1)
	v_fmac_f32_e32 v18, 0x3fc90fda, v16
	v_add_f32_e32 v16, v24, v18
	v_add_nc_u32_e32 v18, v21, v1
.LBB103_14:                             ;   in Loop: Header=BB103_4 Depth=1
	s_and_not1_saveexec_b32 s5, s25
; %bb.15:                               ;   in Loop: Header=BB103_4 Depth=1
	v_mul_f32_e64 v1, 0x3f22f983, |v13|
	s_delay_alu instid0(VALU_DEP_1) | instskip(NEXT) | instid1(VALU_DEP_1)
	v_rndne_f32_e32 v1, v1
	v_fma_f32 v16, 0xbfc90fda, v1, |v13|
	v_cvt_i32_f32_e32 v18, v1
	s_delay_alu instid0(VALU_DEP_2) | instskip(NEXT) | instid1(VALU_DEP_1)
	v_fmac_f32_e32 v16, 0xb3a22168, v1
	v_fmac_f32_e32 v16, 0xa7c234c4, v1
; %bb.16:                               ;   in Loop: Header=BB103_4 Depth=1
	s_or_b32 exec_lo, exec_lo, s5
	v_lshlrev_b32_e32 v15, 16, v15
                                        ; implicit-def: $vgpr23
                                        ; implicit-def: $vgpr22
	s_mov_b32 s6, exec_lo
	s_delay_alu instid0(VALU_DEP_1)
	v_and_b32_e32 v17, 0x7fffffff, v15
	v_cmpx_ngt_f32_e64 0x48000000, |v15|
	s_xor_b32 s25, exec_lo, s6
	s_cbranch_execz .LBB103_18
; %bb.17:                               ;   in Loop: Header=BB103_4 Depth=1
	s_delay_alu instid0(VALU_DEP_2) | instskip(SKIP_1) | instid1(VALU_DEP_2)
	v_lshrrev_b32_e32 v26, 23, v17
	v_and_or_b32 v29, v17, s22, 0x800000
	v_add_nc_u32_e32 v27, 0xffffff88, v26
	s_delay_alu instid0(VALU_DEP_2) | instskip(NEXT) | instid1(VALU_DEP_2)
	v_mad_u64_u32 v[21:22], null, 0xfe5163ab, v29, 0
	v_cmp_lt_u32_e64 s5, 63, v27
	s_delay_alu instid0(VALU_DEP_1) | instskip(NEXT) | instid1(VALU_DEP_1)
	v_cndmask_b32_e64 v28, 0, 0xffffffc0, s5
	v_dual_mov_b32 v1, v22 :: v_dual_add_nc_u32 v28, v28, v27
	s_delay_alu instid0(VALU_DEP_1) | instskip(NEXT) | instid1(VALU_DEP_2)
	v_mad_u64_u32 v[22:23], null, 0x3c439041, v29, v[1:2]
	v_cmp_lt_u32_e64 s6, 31, v28
	s_delay_alu instid0(VALU_DEP_1) | instskip(NEXT) | instid1(VALU_DEP_1)
	v_cndmask_b32_e64 v30, 0, 0xffffffe0, s6
	v_dual_mov_b32 v1, v23 :: v_dual_add_nc_u32 v30, v30, v28
	s_delay_alu instid0(VALU_DEP_1) | instskip(NEXT) | instid1(VALU_DEP_2)
	v_mad_u64_u32 v[23:24], null, 0xdb629599, v29, v[1:2]
	v_cmp_lt_u32_e64 s7, 31, v30
	s_delay_alu instid0(VALU_DEP_2) | instskip(NEXT) | instid1(VALU_DEP_3)
	v_mov_b32_e32 v1, v24
	v_cndmask_b32_e64 v21, v23, v21, s5
	s_delay_alu instid0(VALU_DEP_2) | instskip(NEXT) | instid1(VALU_DEP_1)
	v_mad_u64_u32 v[24:25], null, 0xf534ddc0, v29, v[1:2]
	v_mov_b32_e32 v1, v25
	s_delay_alu instid0(VALU_DEP_2) | instskip(NEXT) | instid1(VALU_DEP_2)
	v_cndmask_b32_e64 v22, v24, v22, s5
	v_mad_u64_u32 v[25:26], null, 0xfc2757d1, v29, v[1:2]
	s_delay_alu instid0(VALU_DEP_2) | instskip(NEXT) | instid1(VALU_DEP_2)
	v_cndmask_b32_e64 v21, v22, v21, s6
	v_mov_b32_e32 v1, v26
	s_delay_alu instid0(VALU_DEP_1) | instskip(NEXT) | instid1(VALU_DEP_1)
	v_mad_u64_u32 v[26:27], null, 0x4e441529, v29, v[1:2]
	v_mov_b32_e32 v1, v27
	s_delay_alu instid0(VALU_DEP_1) | instskip(SKIP_1) | instid1(VALU_DEP_4)
	v_mad_u64_u32 v[27:28], null, 0xa2f9836e, v29, v[1:2]
	v_cndmask_b32_e64 v1, 0, 0xffffffe0, s7
	v_cndmask_b32_e64 v29, v26, v24, s5
	s_delay_alu instid0(VALU_DEP_2) | instskip(NEXT) | instid1(VALU_DEP_4)
	v_add_nc_u32_e32 v1, v1, v30
	v_cndmask_b32_e64 v27, v27, v25, s5
	v_cndmask_b32_e64 v26, v28, v26, s5
	;; [unrolled: 1-line block ×3, first 2 shown]
	s_delay_alu instid0(VALU_DEP_4) | instskip(NEXT) | instid1(VALU_DEP_4)
	v_sub_nc_u32_e32 v28, 32, v1
	v_cndmask_b32_e64 v24, v27, v29, s6
	s_delay_alu instid0(VALU_DEP_4) | instskip(NEXT) | instid1(VALU_DEP_4)
	v_cndmask_b32_e64 v26, v26, v27, s6
	v_cndmask_b32_e64 v27, v29, v25, s6
	;; [unrolled: 1-line block ×3, first 2 shown]
	v_cmp_eq_u32_e64 s8, 0, v1
	s_delay_alu instid0(VALU_DEP_4) | instskip(NEXT) | instid1(VALU_DEP_4)
	v_cndmask_b32_e64 v26, v26, v24, s7
	v_cndmask_b32_e64 v24, v24, v27, s7
	s_delay_alu instid0(VALU_DEP_4) | instskip(SKIP_1) | instid1(VALU_DEP_3)
	v_cndmask_b32_e64 v27, v27, v25, s7
	v_cndmask_b32_e64 v21, v25, v21, s7
	v_alignbit_b32 v29, v26, v24, v28
	s_delay_alu instid0(VALU_DEP_3) | instskip(NEXT) | instid1(VALU_DEP_3)
	v_alignbit_b32 v30, v24, v27, v28
	v_alignbit_b32 v28, v27, v21, v28
	s_delay_alu instid0(VALU_DEP_3) | instskip(NEXT) | instid1(VALU_DEP_3)
	v_cndmask_b32_e64 v1, v29, v26, s8
	v_cndmask_b32_e64 v23, v30, v24, s8
	s_delay_alu instid0(VALU_DEP_3) | instskip(NEXT) | instid1(VALU_DEP_3)
	v_cndmask_b32_e64 v27, v28, v27, s8
	v_bfe_u32 v24, v1, 29, 1
	s_delay_alu instid0(VALU_DEP_3) | instskip(NEXT) | instid1(VALU_DEP_3)
	v_alignbit_b32 v22, v1, v23, 30
	v_alignbit_b32 v23, v23, v27, 30
	;; [unrolled: 1-line block ×3, first 2 shown]
	s_delay_alu instid0(VALU_DEP_4) | instskip(NEXT) | instid1(VALU_DEP_1)
	v_sub_nc_u32_e32 v26, 0, v24
	v_xor_b32_e32 v25, v22, v26
	v_cmp_ne_u32_e64 s5, v22, v26
	v_xor_b32_e32 v23, v23, v26
	v_xor_b32_e32 v21, v21, v26
	s_delay_alu instid0(VALU_DEP_4) | instskip(NEXT) | instid1(VALU_DEP_1)
	v_clz_i32_u32_e32 v29, v25
	v_add_nc_u32_e32 v28, 1, v29
	s_delay_alu instid0(VALU_DEP_1) | instskip(NEXT) | instid1(VALU_DEP_1)
	v_cndmask_b32_e64 v22, 33, v28, s5
	v_sub_nc_u32_e32 v27, 32, v22
	s_delay_alu instid0(VALU_DEP_1) | instskip(SKIP_3) | instid1(VALU_DEP_3)
	v_alignbit_b32 v25, v25, v23, v27
	v_alignbit_b32 v21, v23, v21, v27
	v_lshrrev_b32_e32 v23, 29, v1
	v_lshrrev_b32_e32 v1, 30, v1
	v_alignbit_b32 v26, v25, v21, 9
	s_delay_alu instid0(VALU_DEP_3) | instskip(SKIP_1) | instid1(VALU_DEP_3)
	v_lshlrev_b32_e32 v23, 31, v23
	v_alignbit_b32 v25, v22, v25, 9
	v_clz_i32_u32_e32 v27, v26
	s_delay_alu instid0(VALU_DEP_2) | instskip(SKIP_1) | instid1(VALU_DEP_3)
	v_or_b32_e32 v25, v25, v23
	v_or_b32_e32 v23, 0x33800000, v23
	v_min_u32_e32 v27, 32, v27
	s_delay_alu instid0(VALU_DEP_3) | instskip(NEXT) | instid1(VALU_DEP_2)
	v_xor_b32_e32 v25, 1.0, v25
	v_sub_nc_u32_e32 v28, 31, v27
	v_add_lshl_u32 v22, v27, v22, 23
	s_delay_alu instid0(VALU_DEP_3) | instskip(NEXT) | instid1(VALU_DEP_3)
	v_mul_f32_e32 v27, 0x3fc90fda, v25
	v_alignbit_b32 v21, v26, v21, v28
	s_delay_alu instid0(VALU_DEP_3) | instskip(NEXT) | instid1(VALU_DEP_3)
	v_sub_nc_u32_e32 v22, v23, v22
	v_fma_f32 v23, 0x3fc90fda, v25, -v27
	s_delay_alu instid0(VALU_DEP_3) | instskip(NEXT) | instid1(VALU_DEP_2)
	v_lshrrev_b32_e32 v21, 9, v21
	v_fmac_f32_e32 v23, 0x33a22168, v25
	s_delay_alu instid0(VALU_DEP_2) | instskip(NEXT) | instid1(VALU_DEP_1)
	v_or_b32_e32 v21, v22, v21
	v_fmac_f32_e32 v23, 0x3fc90fda, v21
	s_delay_alu instid0(VALU_DEP_1)
	v_dual_add_f32 v22, v27, v23 :: v_dual_add_nc_u32 v23, v24, v1
.LBB103_18:                             ;   in Loop: Header=BB103_4 Depth=1
	s_and_not1_saveexec_b32 s5, s25
; %bb.19:                               ;   in Loop: Header=BB103_4 Depth=1
	v_mul_f32_e64 v1, 0x3f22f983, |v15|
	s_delay_alu instid0(VALU_DEP_1) | instskip(NEXT) | instid1(VALU_DEP_1)
	v_rndne_f32_e32 v1, v1
	v_fma_f32 v22, 0xbfc90fda, v1, |v15|
	v_cvt_i32_f32_e32 v23, v1
	s_delay_alu instid0(VALU_DEP_2) | instskip(NEXT) | instid1(VALU_DEP_1)
	v_fmac_f32_e32 v22, 0xb3a22168, v1
	v_fmac_f32_e32 v22, 0xa7c234c4, v1
; %bb.20:                               ;   in Loop: Header=BB103_4 Depth=1
	s_or_b32 exec_lo, exec_lo, s5
	v_lshlrev_b32_e32 v20, 16, v20
                                        ; implicit-def: $vgpr26
                                        ; implicit-def: $vgpr25
	s_mov_b32 s6, exec_lo
	s_delay_alu instid0(VALU_DEP_1)
	v_and_b32_e32 v21, 0x7fffffff, v20
	v_cmpx_ngt_f32_e64 0x48000000, |v20|
	s_xor_b32 s25, exec_lo, s6
	s_cbranch_execz .LBB103_22
; %bb.21:                               ;   in Loop: Header=BB103_4 Depth=1
	s_delay_alu instid0(VALU_DEP_2) | instskip(SKIP_1) | instid1(VALU_DEP_2)
	v_and_or_b32 v32, v21, s22, 0x800000
	v_lshrrev_b32_e32 v29, 23, v21
	v_mad_u64_u32 v[24:25], null, 0xfe5163ab, v32, 0
	s_delay_alu instid0(VALU_DEP_2) | instskip(NEXT) | instid1(VALU_DEP_1)
	v_add_nc_u32_e32 v30, 0xffffff88, v29
	v_cmp_lt_u32_e64 s5, 63, v30
	s_delay_alu instid0(VALU_DEP_3) | instskip(NEXT) | instid1(VALU_DEP_2)
	v_mov_b32_e32 v1, v25
	v_cndmask_b32_e64 v31, 0, 0xffffffc0, s5
	s_delay_alu instid0(VALU_DEP_2) | instskip(NEXT) | instid1(VALU_DEP_2)
	v_mad_u64_u32 v[25:26], null, 0x3c439041, v32, v[1:2]
	v_add_nc_u32_e32 v31, v31, v30
	s_delay_alu instid0(VALU_DEP_2) | instskip(NEXT) | instid1(VALU_DEP_2)
	v_mov_b32_e32 v1, v26
	v_cmp_lt_u32_e64 s6, 31, v31
	s_delay_alu instid0(VALU_DEP_2) | instskip(NEXT) | instid1(VALU_DEP_2)
	v_mad_u64_u32 v[26:27], null, 0xdb629599, v32, v[1:2]
	v_cndmask_b32_e64 v33, 0, 0xffffffe0, s6
	s_delay_alu instid0(VALU_DEP_1) | instskip(NEXT) | instid1(VALU_DEP_3)
	v_add_nc_u32_e32 v33, v33, v31
	v_mov_b32_e32 v1, v27
	s_delay_alu instid0(VALU_DEP_4) | instskip(NEXT) | instid1(VALU_DEP_3)
	v_cndmask_b32_e64 v24, v26, v24, s5
	v_cmp_lt_u32_e64 s7, 31, v33
	s_delay_alu instid0(VALU_DEP_3) | instskip(NEXT) | instid1(VALU_DEP_1)
	v_mad_u64_u32 v[27:28], null, 0xf534ddc0, v32, v[1:2]
	v_mov_b32_e32 v1, v28
	s_delay_alu instid0(VALU_DEP_2) | instskip(NEXT) | instid1(VALU_DEP_2)
	v_cndmask_b32_e64 v25, v27, v25, s5
	v_mad_u64_u32 v[28:29], null, 0xfc2757d1, v32, v[1:2]
	s_delay_alu instid0(VALU_DEP_2) | instskip(NEXT) | instid1(VALU_DEP_2)
	v_cndmask_b32_e64 v24, v25, v24, s6
	v_mov_b32_e32 v1, v29
	s_delay_alu instid0(VALU_DEP_1) | instskip(NEXT) | instid1(VALU_DEP_1)
	v_mad_u64_u32 v[29:30], null, 0x4e441529, v32, v[1:2]
	v_mov_b32_e32 v1, v30
	s_delay_alu instid0(VALU_DEP_1) | instskip(SKIP_1) | instid1(VALU_DEP_4)
	v_mad_u64_u32 v[30:31], null, 0xa2f9836e, v32, v[1:2]
	v_cndmask_b32_e64 v1, 0, 0xffffffe0, s7
	v_cndmask_b32_e64 v32, v29, v27, s5
	s_delay_alu instid0(VALU_DEP_2) | instskip(NEXT) | instid1(VALU_DEP_4)
	v_add_nc_u32_e32 v1, v1, v33
	v_cndmask_b32_e64 v30, v30, v28, s5
	v_cndmask_b32_e64 v29, v31, v29, s5
	;; [unrolled: 1-line block ×3, first 2 shown]
	s_delay_alu instid0(VALU_DEP_4) | instskip(NEXT) | instid1(VALU_DEP_4)
	v_sub_nc_u32_e32 v31, 32, v1
	v_cndmask_b32_e64 v27, v30, v32, s6
	s_delay_alu instid0(VALU_DEP_4) | instskip(NEXT) | instid1(VALU_DEP_4)
	v_cndmask_b32_e64 v29, v29, v30, s6
	v_cndmask_b32_e64 v30, v32, v28, s6
	;; [unrolled: 1-line block ×3, first 2 shown]
	v_cmp_eq_u32_e64 s8, 0, v1
	s_delay_alu instid0(VALU_DEP_4) | instskip(NEXT) | instid1(VALU_DEP_4)
	v_cndmask_b32_e64 v29, v29, v27, s7
	v_cndmask_b32_e64 v27, v27, v30, s7
	s_delay_alu instid0(VALU_DEP_4) | instskip(SKIP_1) | instid1(VALU_DEP_3)
	v_cndmask_b32_e64 v30, v30, v28, s7
	v_cndmask_b32_e64 v24, v28, v24, s7
	v_alignbit_b32 v32, v29, v27, v31
	s_delay_alu instid0(VALU_DEP_3) | instskip(NEXT) | instid1(VALU_DEP_3)
	v_alignbit_b32 v33, v27, v30, v31
	v_alignbit_b32 v31, v30, v24, v31
	s_delay_alu instid0(VALU_DEP_3) | instskip(NEXT) | instid1(VALU_DEP_3)
	v_cndmask_b32_e64 v1, v32, v29, s8
	v_cndmask_b32_e64 v26, v33, v27, s8
	s_delay_alu instid0(VALU_DEP_3) | instskip(NEXT) | instid1(VALU_DEP_3)
	v_cndmask_b32_e64 v30, v31, v30, s8
	v_bfe_u32 v27, v1, 29, 1
	s_delay_alu instid0(VALU_DEP_3) | instskip(NEXT) | instid1(VALU_DEP_3)
	v_alignbit_b32 v25, v1, v26, 30
	v_alignbit_b32 v26, v26, v30, 30
	;; [unrolled: 1-line block ×3, first 2 shown]
	s_delay_alu instid0(VALU_DEP_4) | instskip(NEXT) | instid1(VALU_DEP_1)
	v_sub_nc_u32_e32 v29, 0, v27
	v_xor_b32_e32 v28, v25, v29
	v_cmp_ne_u32_e64 s5, v25, v29
	v_xor_b32_e32 v26, v26, v29
	v_xor_b32_e32 v24, v24, v29
	s_delay_alu instid0(VALU_DEP_4) | instskip(NEXT) | instid1(VALU_DEP_1)
	v_clz_i32_u32_e32 v32, v28
	v_add_nc_u32_e32 v31, 1, v32
	s_delay_alu instid0(VALU_DEP_1) | instskip(NEXT) | instid1(VALU_DEP_1)
	v_cndmask_b32_e64 v25, 33, v31, s5
	v_sub_nc_u32_e32 v30, 32, v25
	s_delay_alu instid0(VALU_DEP_1) | instskip(SKIP_3) | instid1(VALU_DEP_3)
	v_alignbit_b32 v28, v28, v26, v30
	v_alignbit_b32 v24, v26, v24, v30
	v_lshrrev_b32_e32 v26, 29, v1
	v_lshrrev_b32_e32 v1, 30, v1
	v_alignbit_b32 v29, v28, v24, 9
	s_delay_alu instid0(VALU_DEP_3) | instskip(SKIP_1) | instid1(VALU_DEP_3)
	v_lshlrev_b32_e32 v26, 31, v26
	v_alignbit_b32 v28, v25, v28, 9
	v_clz_i32_u32_e32 v30, v29
	s_delay_alu instid0(VALU_DEP_2) | instskip(SKIP_1) | instid1(VALU_DEP_3)
	v_or_b32_e32 v28, v28, v26
	v_or_b32_e32 v26, 0x33800000, v26
	v_min_u32_e32 v30, 32, v30
	s_delay_alu instid0(VALU_DEP_3) | instskip(NEXT) | instid1(VALU_DEP_2)
	v_xor_b32_e32 v28, 1.0, v28
	v_sub_nc_u32_e32 v31, 31, v30
	v_add_lshl_u32 v25, v30, v25, 23
	s_delay_alu instid0(VALU_DEP_3) | instskip(NEXT) | instid1(VALU_DEP_3)
	v_mul_f32_e32 v30, 0x3fc90fda, v28
	v_alignbit_b32 v24, v29, v24, v31
	s_delay_alu instid0(VALU_DEP_3) | instskip(NEXT) | instid1(VALU_DEP_3)
	v_sub_nc_u32_e32 v25, v26, v25
	v_fma_f32 v26, 0x3fc90fda, v28, -v30
	s_delay_alu instid0(VALU_DEP_3) | instskip(NEXT) | instid1(VALU_DEP_2)
	v_lshrrev_b32_e32 v24, 9, v24
	v_fmac_f32_e32 v26, 0x33a22168, v28
	s_delay_alu instid0(VALU_DEP_2) | instskip(NEXT) | instid1(VALU_DEP_1)
	v_or_b32_e32 v24, v25, v24
	v_fmac_f32_e32 v26, 0x3fc90fda, v24
	s_delay_alu instid0(VALU_DEP_1)
	v_dual_add_f32 v25, v30, v26 :: v_dual_add_nc_u32 v26, v27, v1
.LBB103_22:                             ;   in Loop: Header=BB103_4 Depth=1
	s_and_not1_saveexec_b32 s5, s25
; %bb.23:                               ;   in Loop: Header=BB103_4 Depth=1
	v_mul_f32_e64 v1, 0x3f22f983, |v20|
	s_delay_alu instid0(VALU_DEP_1) | instskip(NEXT) | instid1(VALU_DEP_1)
	v_rndne_f32_e32 v1, v1
	v_fma_f32 v25, 0xbfc90fda, v1, |v20|
	v_cvt_i32_f32_e32 v26, v1
	s_delay_alu instid0(VALU_DEP_2) | instskip(NEXT) | instid1(VALU_DEP_1)
	v_fmac_f32_e32 v25, 0xb3a22168, v1
	v_fmac_f32_e32 v25, 0xa7c234c4, v1
; %bb.24:                               ;   in Loop: Header=BB103_4 Depth=1
	s_or_b32 exec_lo, exec_lo, s5
	v_lshlrev_b32_e32 v19, 16, v19
                                        ; implicit-def: $vgpr27
                                        ; implicit-def: $vgpr1
	s_mov_b32 s6, exec_lo
	s_delay_alu instid0(VALU_DEP_1)
	v_and_b32_e32 v24, 0x7fffffff, v19
	v_cmpx_ngt_f32_e64 0x48000000, |v19|
	s_xor_b32 s25, exec_lo, s6
	s_cbranch_execnz .LBB103_30
; %bb.25:                               ;   in Loop: Header=BB103_4 Depth=1
	s_and_not1_saveexec_b32 s5, s25
	s_cbranch_execnz .LBB103_31
.LBB103_26:                             ;   in Loop: Header=BB103_4 Depth=1
	s_or_b32 exec_lo, exec_lo, s5
	s_and_saveexec_b32 s5, s4
	s_delay_alu instid0(SALU_CYCLE_1)
	s_xor_b32 s5, exec_lo, s5
	s_cbranch_execnz .LBB103_32
.LBB103_27:                             ;   in Loop: Header=BB103_4 Depth=1
	s_or_b32 exec_lo, exec_lo, s5
	s_and_saveexec_b32 s4, s3
	s_cbranch_execnz .LBB103_33
.LBB103_28:                             ;   in Loop: Header=BB103_4 Depth=1
	s_or_b32 exec_lo, exec_lo, s4
	s_and_saveexec_b32 s3, s2
	s_cbranch_execnz .LBB103_34
.LBB103_29:                             ;   in Loop: Header=BB103_4 Depth=1
	s_or_b32 exec_lo, exec_lo, s3
	s_and_saveexec_b32 s2, vcc_lo
	s_cbranch_execz .LBB103_3
	s_branch .LBB103_35
.LBB103_30:                             ;   in Loop: Header=BB103_4 Depth=1
	s_delay_alu instid0(VALU_DEP_2) | instskip(SKIP_1) | instid1(VALU_DEP_2)
	v_lshrrev_b32_e32 v32, 23, v24
	v_and_or_b32 v35, v24, s22, 0x800000
	v_add_nc_u32_e32 v33, 0xffffff88, v32
	s_delay_alu instid0(VALU_DEP_2) | instskip(NEXT) | instid1(VALU_DEP_2)
	v_mad_u64_u32 v[27:28], null, 0xfe5163ab, v35, 0
	v_cmp_lt_u32_e64 s5, 63, v33
	s_delay_alu instid0(VALU_DEP_1) | instskip(NEXT) | instid1(VALU_DEP_1)
	v_cndmask_b32_e64 v34, 0, 0xffffffc0, s5
	v_dual_mov_b32 v1, v28 :: v_dual_add_nc_u32 v34, v34, v33
	s_delay_alu instid0(VALU_DEP_1) | instskip(NEXT) | instid1(VALU_DEP_2)
	v_mad_u64_u32 v[28:29], null, 0x3c439041, v35, v[1:2]
	v_cmp_lt_u32_e64 s6, 31, v34
	s_delay_alu instid0(VALU_DEP_1) | instskip(NEXT) | instid1(VALU_DEP_1)
	v_cndmask_b32_e64 v36, 0, 0xffffffe0, s6
	v_dual_mov_b32 v1, v29 :: v_dual_add_nc_u32 v36, v36, v34
	s_delay_alu instid0(VALU_DEP_1) | instskip(NEXT) | instid1(VALU_DEP_2)
	v_mad_u64_u32 v[29:30], null, 0xdb629599, v35, v[1:2]
	v_cmp_lt_u32_e64 s7, 31, v36
	s_delay_alu instid0(VALU_DEP_2) | instskip(NEXT) | instid1(VALU_DEP_3)
	v_mov_b32_e32 v1, v30
	v_cndmask_b32_e64 v27, v29, v27, s5
	s_delay_alu instid0(VALU_DEP_2) | instskip(NEXT) | instid1(VALU_DEP_1)
	v_mad_u64_u32 v[30:31], null, 0xf534ddc0, v35, v[1:2]
	v_mov_b32_e32 v1, v31
	s_delay_alu instid0(VALU_DEP_2) | instskip(NEXT) | instid1(VALU_DEP_2)
	v_cndmask_b32_e64 v28, v30, v28, s5
	v_mad_u64_u32 v[31:32], null, 0xfc2757d1, v35, v[1:2]
	s_delay_alu instid0(VALU_DEP_2) | instskip(NEXT) | instid1(VALU_DEP_2)
	v_cndmask_b32_e64 v27, v28, v27, s6
	v_mov_b32_e32 v1, v32
	s_delay_alu instid0(VALU_DEP_1) | instskip(NEXT) | instid1(VALU_DEP_1)
	v_mad_u64_u32 v[32:33], null, 0x4e441529, v35, v[1:2]
	v_mov_b32_e32 v1, v33
	s_delay_alu instid0(VALU_DEP_1) | instskip(SKIP_1) | instid1(VALU_DEP_4)
	v_mad_u64_u32 v[33:34], null, 0xa2f9836e, v35, v[1:2]
	v_cndmask_b32_e64 v1, 0, 0xffffffe0, s7
	v_cndmask_b32_e64 v35, v32, v30, s5
	s_delay_alu instid0(VALU_DEP_2) | instskip(NEXT) | instid1(VALU_DEP_4)
	v_add_nc_u32_e32 v1, v1, v36
	v_cndmask_b32_e64 v33, v33, v31, s5
	v_cndmask_b32_e64 v32, v34, v32, s5
	v_cndmask_b32_e64 v31, v31, v29, s5
	s_delay_alu instid0(VALU_DEP_4) | instskip(NEXT) | instid1(VALU_DEP_4)
	v_sub_nc_u32_e32 v34, 32, v1
	v_cndmask_b32_e64 v30, v33, v35, s6
	s_delay_alu instid0(VALU_DEP_4) | instskip(NEXT) | instid1(VALU_DEP_4)
	v_cndmask_b32_e64 v32, v32, v33, s6
	v_cndmask_b32_e64 v33, v35, v31, s6
	;; [unrolled: 1-line block ×3, first 2 shown]
	v_cmp_eq_u32_e64 s8, 0, v1
	s_delay_alu instid0(VALU_DEP_4) | instskip(NEXT) | instid1(VALU_DEP_4)
	v_cndmask_b32_e64 v32, v32, v30, s7
	v_cndmask_b32_e64 v30, v30, v33, s7
	s_delay_alu instid0(VALU_DEP_4) | instskip(SKIP_1) | instid1(VALU_DEP_3)
	v_cndmask_b32_e64 v33, v33, v31, s7
	v_cndmask_b32_e64 v27, v31, v27, s7
	v_alignbit_b32 v35, v32, v30, v34
	s_delay_alu instid0(VALU_DEP_3) | instskip(NEXT) | instid1(VALU_DEP_3)
	v_alignbit_b32 v36, v30, v33, v34
	v_alignbit_b32 v34, v33, v27, v34
	s_delay_alu instid0(VALU_DEP_3) | instskip(NEXT) | instid1(VALU_DEP_3)
	v_cndmask_b32_e64 v1, v35, v32, s8
	v_cndmask_b32_e64 v29, v36, v30, s8
	s_delay_alu instid0(VALU_DEP_3) | instskip(NEXT) | instid1(VALU_DEP_3)
	v_cndmask_b32_e64 v33, v34, v33, s8
	v_bfe_u32 v30, v1, 29, 1
	s_delay_alu instid0(VALU_DEP_3) | instskip(NEXT) | instid1(VALU_DEP_3)
	v_alignbit_b32 v28, v1, v29, 30
	v_alignbit_b32 v29, v29, v33, 30
	;; [unrolled: 1-line block ×3, first 2 shown]
	s_delay_alu instid0(VALU_DEP_4) | instskip(NEXT) | instid1(VALU_DEP_1)
	v_sub_nc_u32_e32 v32, 0, v30
	v_xor_b32_e32 v31, v28, v32
	v_cmp_ne_u32_e64 s5, v28, v32
	v_xor_b32_e32 v29, v29, v32
	v_xor_b32_e32 v27, v27, v32
	s_delay_alu instid0(VALU_DEP_4) | instskip(NEXT) | instid1(VALU_DEP_1)
	v_clz_i32_u32_e32 v35, v31
	v_add_nc_u32_e32 v34, 1, v35
	s_delay_alu instid0(VALU_DEP_1) | instskip(NEXT) | instid1(VALU_DEP_1)
	v_cndmask_b32_e64 v28, 33, v34, s5
	v_sub_nc_u32_e32 v33, 32, v28
	s_delay_alu instid0(VALU_DEP_1) | instskip(SKIP_2) | instid1(VALU_DEP_2)
	v_alignbit_b32 v31, v31, v29, v33
	v_alignbit_b32 v27, v29, v27, v33
	v_lshrrev_b32_e32 v29, 29, v1
	v_alignbit_b32 v32, v31, v27, 9
	s_delay_alu instid0(VALU_DEP_2) | instskip(SKIP_1) | instid1(VALU_DEP_3)
	v_lshlrev_b32_e32 v29, 31, v29
	v_alignbit_b32 v31, v28, v31, 9
	v_clz_i32_u32_e32 v33, v32
	s_delay_alu instid0(VALU_DEP_2) | instskip(SKIP_1) | instid1(VALU_DEP_3)
	v_or_b32_e32 v31, v31, v29
	v_or_b32_e32 v29, 0x33800000, v29
	v_min_u32_e32 v33, 32, v33
	s_delay_alu instid0(VALU_DEP_3) | instskip(NEXT) | instid1(VALU_DEP_2)
	v_xor_b32_e32 v31, 1.0, v31
	v_sub_nc_u32_e32 v34, 31, v33
	v_add_lshl_u32 v28, v33, v28, 23
	s_delay_alu instid0(VALU_DEP_3) | instskip(NEXT) | instid1(VALU_DEP_3)
	v_mul_f32_e32 v33, 0x3fc90fda, v31
	v_alignbit_b32 v27, v32, v27, v34
	s_delay_alu instid0(VALU_DEP_3) | instskip(NEXT) | instid1(VALU_DEP_3)
	v_sub_nc_u32_e32 v28, v29, v28
	v_fma_f32 v29, 0x3fc90fda, v31, -v33
	s_delay_alu instid0(VALU_DEP_3) | instskip(NEXT) | instid1(VALU_DEP_2)
	v_lshrrev_b32_e32 v27, 9, v27
	v_fmac_f32_e32 v29, 0x33a22168, v31
	s_delay_alu instid0(VALU_DEP_2) | instskip(NEXT) | instid1(VALU_DEP_1)
	v_or_b32_e32 v27, v28, v27
	v_fmac_f32_e32 v29, 0x3fc90fda, v27
	v_lshrrev_b32_e32 v27, 30, v1
	s_delay_alu instid0(VALU_DEP_2) | instskip(NEXT) | instid1(VALU_DEP_2)
	v_add_f32_e32 v1, v33, v29
	v_add_nc_u32_e32 v27, v30, v27
	s_and_not1_saveexec_b32 s5, s25
	s_cbranch_execz .LBB103_26
.LBB103_31:                             ;   in Loop: Header=BB103_4 Depth=1
	v_mul_f32_e64 v1, 0x3f22f983, |v19|
	s_delay_alu instid0(VALU_DEP_1) | instskip(NEXT) | instid1(VALU_DEP_1)
	v_rndne_f32_e32 v27, v1
	v_fma_f32 v1, 0xbfc90fda, v27, |v19|
	s_delay_alu instid0(VALU_DEP_1) | instskip(NEXT) | instid1(VALU_DEP_1)
	v_fmac_f32_e32 v1, 0xb3a22168, v27
	v_fmac_f32_e32 v1, 0xa7c234c4, v27
	v_cvt_i32_f32_e32 v27, v27
	s_or_b32 exec_lo, exec_lo, s5
	s_and_saveexec_b32 s5, s4
	s_delay_alu instid0(SALU_CYCLE_1)
	s_xor_b32 s5, exec_lo, s5
	s_cbranch_execz .LBB103_27
.LBB103_32:                             ;   in Loop: Header=BB103_4 Depth=1
	v_mul_f32_e32 v28, v16, v16
	s_delay_alu instid0(VALU_DEP_1) | instskip(SKIP_1) | instid1(VALU_DEP_2)
	v_dual_fmaak_f32 v29, s24, v28, 0xbf039337 :: v_dual_and_b32 v18, 1, v18
	v_fmaak_f32 v30, s23, v28, 0x3ec54587
	v_cmp_eq_u32_e64 s4, 0, v18
	s_delay_alu instid0(VALU_DEP_3) | instskip(NEXT) | instid1(VALU_DEP_1)
	v_fmaak_f32 v29, v28, v29, 0x3f93f425
	v_rcp_f32_e32 v29, v29
	s_waitcnt_depctr 0xfff
	v_mul_f32_e32 v29, v30, v29
	s_delay_alu instid0(VALU_DEP_1) | instskip(NEXT) | instid1(VALU_DEP_1)
	v_mul_f32_e32 v28, v28, v29
	v_fma_f32 v29, v28, v16, v16
	s_delay_alu instid0(VALU_DEP_1) | instskip(SKIP_1) | instid1(VALU_DEP_1)
	v_sub_f32_e32 v31, v29, v16
	v_rcp_f32_e32 v30, v29
	v_fma_f32 v16, v28, v16, -v31
	s_waitcnt_depctr 0xfff
	v_fma_f32 v28, v29, -v30, 1.0
	s_delay_alu instid0(VALU_DEP_1) | instskip(NEXT) | instid1(VALU_DEP_1)
	v_fma_f32 v16, v16, -v30, v28
	v_fma_f32 v16, v16, -v30, -v30
	s_delay_alu instid0(VALU_DEP_1) | instskip(SKIP_1) | instid1(VALU_DEP_2)
	v_cndmask_b32_e64 v16, v16, v29, s4
	v_cmp_class_f32_e64 s4, v13, 0x1f8
	v_xor3_b32 v14, v14, v16, v13
	s_delay_alu instid0(VALU_DEP_1) | instskip(NEXT) | instid1(VALU_DEP_1)
	v_cndmask_b32_e64 v13, 0x7fc00000, v14, s4
	v_bfe_u32 v14, v13, 16, 1
	v_cmp_o_f32_e64 s4, v13, v13
	s_delay_alu instid0(VALU_DEP_2) | instskip(NEXT) | instid1(VALU_DEP_1)
	v_add3_u32 v14, v13, v14, 0x7fff
	v_lshrrev_b32_e32 v14, 16, v14
	s_delay_alu instid0(VALU_DEP_1)
	v_cndmask_b32_e64 v13, 0x7fc0, v14, s4
	global_store_b16 v[3:4], v13, off
	s_or_b32 exec_lo, exec_lo, s5
	s_and_saveexec_b32 s4, s3
	s_cbranch_execz .LBB103_28
.LBB103_33:                             ;   in Loop: Header=BB103_4 Depth=1
	v_mul_f32_e32 v13, v22, v22
	s_delay_alu instid0(VALU_DEP_1) | instskip(SKIP_1) | instid1(VALU_DEP_2)
	v_fmaak_f32 v14, s24, v13, 0xbf039337
	v_fmaak_f32 v16, s23, v13, 0x3ec54587
	;; [unrolled: 1-line block ×3, first 2 shown]
	s_delay_alu instid0(VALU_DEP_1) | instskip(SKIP_2) | instid1(VALU_DEP_1)
	v_rcp_f32_e32 v14, v14
	s_waitcnt_depctr 0xfff
	v_mul_f32_e32 v14, v16, v14
	v_mul_f32_e32 v13, v13, v14
	s_delay_alu instid0(VALU_DEP_1) | instskip(NEXT) | instid1(VALU_DEP_1)
	v_fma_f32 v14, v13, v22, v22
	v_rcp_f32_e32 v16, v14
	v_sub_f32_e32 v18, v14, v22
	s_delay_alu instid0(VALU_DEP_1) | instskip(SKIP_2) | instid1(VALU_DEP_1)
	v_fma_f32 v13, v13, v22, -v18
	s_waitcnt_depctr 0xfff
	v_fma_f32 v18, v14, -v16, 1.0
	v_fma_f32 v13, v13, -v16, v18
	v_and_b32_e32 v18, 1, v23
	s_delay_alu instid0(VALU_DEP_2) | instskip(NEXT) | instid1(VALU_DEP_2)
	v_fma_f32 v13, v13, -v16, -v16
	v_cmp_eq_u32_e64 s3, 0, v18
	s_delay_alu instid0(VALU_DEP_1) | instskip(SKIP_1) | instid1(VALU_DEP_2)
	v_cndmask_b32_e64 v13, v13, v14, s3
	v_cmp_class_f32_e64 s3, v15, 0x1f8
	v_xor3_b32 v13, v17, v13, v15
	s_delay_alu instid0(VALU_DEP_1) | instskip(NEXT) | instid1(VALU_DEP_1)
	v_cndmask_b32_e64 v13, 0x7fc00000, v13, s3
	v_bfe_u32 v14, v13, 16, 1
	v_cmp_o_f32_e64 s3, v13, v13
	s_delay_alu instid0(VALU_DEP_2) | instskip(NEXT) | instid1(VALU_DEP_1)
	v_add3_u32 v14, v13, v14, 0x7fff
	v_lshrrev_b32_e32 v14, 16, v14
	s_delay_alu instid0(VALU_DEP_1)
	v_cndmask_b32_e64 v13, 0x7fc0, v14, s3
	global_store_b16 v[5:6], v13, off
	s_or_b32 exec_lo, exec_lo, s4
	s_and_saveexec_b32 s3, s2
	s_cbranch_execz .LBB103_29
.LBB103_34:                             ;   in Loop: Header=BB103_4 Depth=1
	v_mul_f32_e32 v13, v25, v25
	s_delay_alu instid0(VALU_DEP_1) | instskip(SKIP_1) | instid1(VALU_DEP_2)
	v_fmaak_f32 v14, s24, v13, 0xbf039337
	v_fmaak_f32 v15, s23, v13, 0x3ec54587
	;; [unrolled: 1-line block ×3, first 2 shown]
	s_delay_alu instid0(VALU_DEP_1) | instskip(SKIP_2) | instid1(VALU_DEP_1)
	v_rcp_f32_e32 v14, v14
	s_waitcnt_depctr 0xfff
	v_mul_f32_e32 v14, v15, v14
	v_mul_f32_e32 v13, v13, v14
	s_delay_alu instid0(VALU_DEP_1) | instskip(NEXT) | instid1(VALU_DEP_1)
	v_fma_f32 v14, v13, v25, v25
	v_sub_f32_e32 v16, v14, v25
	v_rcp_f32_e32 v15, v14
	s_delay_alu instid0(VALU_DEP_1) | instskip(SKIP_2) | instid1(VALU_DEP_1)
	v_fma_f32 v13, v13, v25, -v16
	s_waitcnt_depctr 0xfff
	v_fma_f32 v16, v14, -v15, 1.0
	v_fma_f32 v13, v13, -v15, v16
	v_and_b32_e32 v16, 1, v26
	s_delay_alu instid0(VALU_DEP_2) | instskip(NEXT) | instid1(VALU_DEP_2)
	v_fma_f32 v13, v13, -v15, -v15
	v_cmp_eq_u32_e64 s2, 0, v16
	s_delay_alu instid0(VALU_DEP_1) | instskip(SKIP_1) | instid1(VALU_DEP_2)
	v_cndmask_b32_e64 v13, v13, v14, s2
	v_cmp_class_f32_e64 s2, v20, 0x1f8
	v_xor3_b32 v13, v21, v13, v20
	s_delay_alu instid0(VALU_DEP_1) | instskip(NEXT) | instid1(VALU_DEP_1)
	v_cndmask_b32_e64 v13, 0x7fc00000, v13, s2
	v_bfe_u32 v14, v13, 16, 1
	v_cmp_o_f32_e64 s2, v13, v13
	s_delay_alu instid0(VALU_DEP_2) | instskip(NEXT) | instid1(VALU_DEP_1)
	v_add3_u32 v14, v13, v14, 0x7fff
	v_lshrrev_b32_e32 v14, 16, v14
	s_delay_alu instid0(VALU_DEP_1) | instskip(SKIP_1) | instid1(VALU_DEP_1)
	v_cndmask_b32_e64 v15, 0x7fc0, v14, s2
	v_add_co_u32 v13, s2, v3, s9
	v_add_co_ci_u32_e64 v14, s2, 0, v4, s2
	global_store_b16 v[13:14], v15, off
	s_or_b32 exec_lo, exec_lo, s3
	s_and_saveexec_b32 s2, vcc_lo
	s_cbranch_execz .LBB103_3
.LBB103_35:                             ;   in Loop: Header=BB103_4 Depth=1
	v_mul_f32_e32 v13, v1, v1
	s_delay_alu instid0(VALU_DEP_1) | instskip(SKIP_1) | instid1(VALU_DEP_2)
	v_fmaak_f32 v14, s24, v13, 0xbf039337
	v_fmaak_f32 v15, s23, v13, 0x3ec54587
	v_fmaak_f32 v14, v13, v14, 0x3f93f425
	s_delay_alu instid0(VALU_DEP_1) | instskip(SKIP_2) | instid1(VALU_DEP_1)
	v_rcp_f32_e32 v14, v14
	s_waitcnt_depctr 0xfff
	v_mul_f32_e32 v14, v15, v14
	v_mul_f32_e32 v13, v13, v14
	s_delay_alu instid0(VALU_DEP_1) | instskip(NEXT) | instid1(VALU_DEP_1)
	v_fma_f32 v14, v13, v1, v1
	v_sub_f32_e32 v16, v14, v1
	v_rcp_f32_e32 v15, v14
	s_delay_alu instid0(VALU_DEP_1) | instskip(SKIP_2) | instid1(VALU_DEP_1)
	v_fma_f32 v1, v13, v1, -v16
	s_waitcnt_depctr 0xfff
	v_fma_f32 v13, v14, -v15, 1.0
	v_fma_f32 v1, v1, -v15, v13
	v_and_b32_e32 v13, 1, v27
	s_delay_alu instid0(VALU_DEP_2) | instskip(NEXT) | instid1(VALU_DEP_2)
	v_fma_f32 v1, v1, -v15, -v15
	v_cmp_eq_u32_e32 vcc_lo, 0, v13
	s_delay_alu instid0(VALU_DEP_2) | instskip(SKIP_1) | instid1(VALU_DEP_2)
	v_cndmask_b32_e32 v1, v1, v14, vcc_lo
	v_cmp_class_f32_e64 vcc_lo, v19, 0x1f8
	v_xor3_b32 v1, v24, v1, v19
	s_delay_alu instid0(VALU_DEP_1) | instskip(NEXT) | instid1(VALU_DEP_1)
	v_cndmask_b32_e32 v1, 0x7fc00000, v1, vcc_lo
	v_bfe_u32 v13, v1, 16, 1
	v_cmp_o_f32_e32 vcc_lo, v1, v1
	s_delay_alu instid0(VALU_DEP_2) | instskip(NEXT) | instid1(VALU_DEP_1)
	v_add3_u32 v13, v1, v13, 0x7fff
	v_lshrrev_b32_e32 v13, 16, v13
	s_delay_alu instid0(VALU_DEP_1)
	v_cndmask_b32_e32 v1, 0x7fc0, v13, vcc_lo
	v_add_co_u32 v13, vcc_lo, v3, s20
	v_add_co_ci_u32_e32 v14, vcc_lo, 0, v4, vcc_lo
	global_store_b16 v[13:14], v1, off
	s_branch .LBB103_3
.LBB103_36:
	s_cbranch_execz .LBB103_38
	s_branch .LBB103_57
.LBB103_37:
.LBB103_38:
	v_dual_mov_b32 v2, 0 :: v_dual_lshlrev_b32 v1, 2, v0
	s_mov_b32 s3, 0
	s_mov_b32 s2, exec_lo
	s_delay_alu instid0(VALU_DEP_1)
	v_cmpx_gt_i64_e64 s[10:11], v[1:2]
	s_cbranch_execz .LBB103_57
; %bb.39:
	s_load_b32 s0, s[0:1], 0xd3c
	s_mov_b32 s6, 0x7fffff
	s_mov_b32 s7, 0xbc8cedd3
	;; [unrolled: 1-line block ×3, first 2 shown]
	s_waitcnt lgkmcnt(0)
	s_and_b32 s0, s0, 0xffff
	s_add_u32 s1, s12, s14
	v_add_lshl_u32 v1, v0, s0, 2
	v_dual_mov_b32 v6, v2 :: v_dual_lshlrev_b32 v3, 3, v0
	s_addc_u32 s2, s13, s15
	s_lshl_b32 s4, s0, 3
	s_delay_alu instid0(VALU_DEP_2) | instskip(NEXT) | instid1(VALU_DEP_2)
	v_mov_b32_e32 v5, v1
	v_add_co_u32 v3, s1, s1, v3
	s_delay_alu instid0(VALU_DEP_1)
	v_add_co_ci_u32_e64 v4, null, s2, 0, s1
	s_lshl_b32 s5, s0, 2
	s_branch .LBB103_41
.LBB103_40:                             ;   in Loop: Header=BB103_41 Depth=1
	s_or_b32 exec_lo, exec_lo, s0
	v_dual_mul_f32 v21, v17, v17 :: v_dual_mul_f32 v22, v14, v14
	v_dual_mul_f32 v23, v11, v11 :: v_dual_mul_f32 v24, v20, v20
	v_and_b32_e32 v15, 1, v15
	s_delay_alu instid0(VALU_DEP_3) | instskip(SKIP_1) | instid1(VALU_DEP_4)
	v_dual_fmaak_f32 v25, s8, v21, 0xbf039337 :: v_dual_fmaak_f32 v26, s8, v22, 0xbf039337
	v_dual_fmaak_f32 v29, s7, v21, 0x3ec54587 :: v_dual_fmaak_f32 v30, s7, v22, 0x3ec54587
	;; [unrolled: 1-line block ×3, first 2 shown]
	s_delay_alu instid0(VALU_DEP_3) | instskip(SKIP_1) | instid1(VALU_DEP_3)
	v_dual_fmaak_f32 v25, v21, v25, 0x3f93f425 :: v_dual_fmaak_f32 v26, v22, v26, 0x3f93f425
	v_dual_fmaak_f32 v31, s7, v23, 0x3ec54587 :: v_dual_fmaak_f32 v32, s7, v24, 0x3ec54587
	;; [unrolled: 1-line block ×3, first 2 shown]
	s_delay_alu instid0(VALU_DEP_3) | instskip(NEXT) | instid1(VALU_DEP_3)
	v_rcp_f32_e32 v25, v25
	v_rcp_f32_e32 v26, v26
	v_and_b32_e32 v1, 1, v1
	s_delay_alu instid0(VALU_DEP_2)
	v_rcp_f32_e32 v27, v27
	v_rcp_f32_e32 v28, v28
	v_cmp_lt_u64_e64 s0, 0xffff, v[5:6]
	v_dual_mul_f32 v25, v29, v25 :: v_dual_and_b32 v10, 1, v10
	s_waitcnt_depctr 0xfff
	v_dual_mul_f32 v26, v30, v26 :: v_dual_mul_f32 v27, v31, v27
	v_dual_mul_f32 v28, v32, v28 :: v_dual_mul_f32 v21, v21, v25
	s_delay_alu instid0(VALU_DEP_2) | instskip(NEXT) | instid1(VALU_DEP_2)
	v_dual_mul_f32 v22, v22, v26 :: v_dual_mul_f32 v23, v23, v27
	v_mul_f32_e32 v24, v24, v28
	s_delay_alu instid0(VALU_DEP_3) | instskip(NEXT) | instid1(VALU_DEP_3)
	v_fma_f32 v25, v21, v17, v17
	v_fma_f32 v26, v22, v14, v14
	s_delay_alu instid0(VALU_DEP_4) | instskip(NEXT) | instid1(VALU_DEP_4)
	v_fma_f32 v27, v23, v11, v11
	v_fma_f32 v28, v24, v20, v20
	s_delay_alu instid0(VALU_DEP_4)
	v_rcp_f32_e32 v30, v25
	v_sub_f32_e32 v29, v25, v17
	v_and_b32_e32 v19, 1, v19
	v_rcp_f32_e32 v34, v27
	v_sub_f32_e32 v36, v28, v20
	v_rcp_f32_e32 v32, v26
	v_fma_f32 v17, v21, v17, -v29
	v_cmp_eq_u32_e32 vcc_lo, 0, v19
	v_rcp_f32_e32 v35, v28
	v_fma_f32 v20, v24, v20, -v36
	v_fma_f32 v21, v25, -v30, 1.0
	s_delay_alu instid0(VALU_DEP_1) | instskip(SKIP_3) | instid1(VALU_DEP_2)
	v_fma_f32 v17, v17, -v30, v21
	s_waitcnt_depctr 0xfff
	v_fma_f32 v24, v28, -v35, 1.0
	v_fma_f32 v17, v17, -v30, -v30
	v_fma_f32 v20, v20, -v35, v24
	s_delay_alu instid0(VALU_DEP_2) | instskip(SKIP_2) | instid1(VALU_DEP_4)
	v_cndmask_b32_e32 v17, v17, v25, vcc_lo
	v_cmp_eq_u32_e32 vcc_lo, 0, v15
	v_sub_f32_e32 v33, v27, v11
	v_fma_f32 v20, v20, -v35, -v35
	s_delay_alu instid0(VALU_DEP_2) | instskip(SKIP_1) | instid1(VALU_DEP_1)
	v_fma_f32 v11, v23, v11, -v33
	v_fma_f32 v23, v27, -v34, 1.0
	v_fma_f32 v11, v11, -v34, v23
	s_delay_alu instid0(VALU_DEP_1) | instskip(SKIP_1) | instid1(VALU_DEP_1)
	v_fma_f32 v11, v11, -v34, -v34
	v_sub_f32_e32 v31, v26, v14
	v_fma_f32 v14, v22, v14, -v31
	v_fma_f32 v22, v26, -v32, 1.0
	s_delay_alu instid0(VALU_DEP_1) | instskip(NEXT) | instid1(VALU_DEP_1)
	v_fma_f32 v14, v14, -v32, v22
	v_fma_f32 v14, v14, -v32, -v32
	s_delay_alu instid0(VALU_DEP_1) | instskip(SKIP_1) | instid1(VALU_DEP_2)
	v_cndmask_b32_e32 v14, v14, v26, vcc_lo
	v_cmp_eq_u32_e32 vcc_lo, 0, v10
	v_xor3_b32 v13, v13, v14, v12
	v_cndmask_b32_e32 v10, v11, v27, vcc_lo
	v_cmp_eq_u32_e32 vcc_lo, 0, v1
	v_xor3_b32 v11, v16, v17, v7
	s_delay_alu instid0(VALU_DEP_3) | instskip(SKIP_2) | instid1(VALU_DEP_2)
	v_xor3_b32 v9, v9, v10, v0
	v_cndmask_b32_e32 v1, v20, v28, vcc_lo
	v_cmp_class_f32_e64 vcc_lo, v7, 0x1f8
	v_xor3_b32 v1, v18, v1, v8
	v_cndmask_b32_e32 v7, 0x7fc00000, v11, vcc_lo
	v_cmp_class_f32_e64 vcc_lo, v12, 0x1f8
	v_cndmask_b32_e32 v10, 0x7fc00000, v13, vcc_lo
	v_cmp_class_f32_e64 vcc_lo, v0, 0x1f8
	;; [unrolled: 2-line block ×3, first 2 shown]
	s_delay_alu instid0(VALU_DEP_4) | instskip(SKIP_1) | instid1(VALU_DEP_4)
	v_bfe_u32 v8, v10, 16, 1
	v_bfe_u32 v9, v7, 16, 1
	v_bfe_u32 v11, v0, 16, 1
	v_cndmask_b32_e32 v1, 0x7fc00000, v1, vcc_lo
	s_delay_alu instid0(VALU_DEP_4)
	v_add3_u32 v8, v10, v8, 0x7fff
	v_cmp_o_f32_e32 vcc_lo, v10, v10
	v_add3_u32 v9, v7, v9, 0x7fff
	v_add3_u32 v11, v0, v11, 0x7fff
	v_bfe_u32 v12, v1, 16, 1
	v_and_b32_e32 v8, 0xffff0000, v8
	s_delay_alu instid0(VALU_DEP_4) | instskip(NEXT) | instid1(VALU_DEP_4)
	v_lshrrev_b32_e32 v9, 16, v9
	v_lshrrev_b32_e32 v11, 16, v11
	s_delay_alu instid0(VALU_DEP_4) | instskip(NEXT) | instid1(VALU_DEP_4)
	v_add3_u32 v12, v1, v12, 0x7fff
	v_cndmask_b32_e32 v8, 0x7fc00000, v8, vcc_lo
	v_cmp_o_f32_e32 vcc_lo, v0, v0
	s_delay_alu instid0(VALU_DEP_3) | instskip(SKIP_2) | instid1(VALU_DEP_2)
	v_and_b32_e32 v12, 0xffff0000, v12
	v_cndmask_b32_e32 v0, 0x7fc0, v11, vcc_lo
	v_cmp_o_f32_e32 vcc_lo, v1, v1
	v_or_b32_e32 v0, v8, v0
	s_delay_alu instid0(VALU_DEP_4) | instskip(SKIP_1) | instid1(VALU_DEP_3)
	v_cndmask_b32_e32 v1, 0x7fc00000, v12, vcc_lo
	v_cmp_o_f32_e32 vcc_lo, v7, v7
	v_or3_b32 v0, v0, 0, 0
	v_cndmask_b32_e32 v7, 0x7fc0, v9, vcc_lo
	v_cmp_le_i64_e32 vcc_lo, s[10:11], v[5:6]
	s_delay_alu instid0(VALU_DEP_2) | instskip(SKIP_1) | instid1(SALU_CYCLE_1)
	v_or3_b32 v1, 0, v7, v1
	s_or_b32 s0, vcc_lo, s0
	s_and_b32 s0, exec_lo, s0
	global_store_b64 v[3:4], v[0:1], off
	v_add_co_u32 v3, vcc_lo, v3, s4
	v_add_co_ci_u32_e32 v4, vcc_lo, 0, v4, vcc_lo
	v_add_co_u32 v5, vcc_lo, v5, s5
	v_add_co_ci_u32_e32 v6, vcc_lo, 0, v6, vcc_lo
	s_or_b32 s3, s0, s3
	s_delay_alu instid0(SALU_CYCLE_1)
	s_and_not1_b32 exec_lo, exec_lo, s3
	s_cbranch_execz .LBB103_57
.LBB103_41:                             ; =>This Inner Loop Header: Depth=1
	global_load_b64 v[7:8], v[3:4], off
                                        ; implicit-def: $vgpr10
                                        ; implicit-def: $vgpr11
	s_mov_b32 s1, exec_lo
	s_waitcnt vmcnt(0)
	v_lshlrev_b32_e32 v0, 16, v7
	s_delay_alu instid0(VALU_DEP_1)
	v_and_b32_e32 v9, 0x7fffffff, v0
	v_cmpx_ngt_f32_e64 0x48000000, |v0|
	s_xor_b32 s9, exec_lo, s1
	s_cbranch_execz .LBB103_43
; %bb.42:                               ;   in Loop: Header=BB103_41 Depth=1
	s_delay_alu instid0(VALU_DEP_2) | instskip(SKIP_1) | instid1(VALU_DEP_2)
	v_and_or_b32 v18, v9, s6, 0x800000
	v_lshrrev_b32_e32 v15, 23, v9
	v_mad_u64_u32 v[10:11], null, 0xfe5163ab, v18, 0
	s_delay_alu instid0(VALU_DEP_2) | instskip(NEXT) | instid1(VALU_DEP_1)
	v_add_nc_u32_e32 v16, 0xffffff88, v15
	v_cmp_lt_u32_e32 vcc_lo, 63, v16
	s_delay_alu instid0(VALU_DEP_3) | instskip(SKIP_1) | instid1(VALU_DEP_2)
	v_mov_b32_e32 v1, v11
	v_cndmask_b32_e64 v17, 0, 0xffffffc0, vcc_lo
	v_mad_u64_u32 v[11:12], null, 0x3c439041, v18, v[1:2]
	s_delay_alu instid0(VALU_DEP_2) | instskip(NEXT) | instid1(VALU_DEP_2)
	v_add_nc_u32_e32 v17, v17, v16
	v_mov_b32_e32 v1, v12
	s_delay_alu instid0(VALU_DEP_2) | instskip(NEXT) | instid1(VALU_DEP_2)
	v_cmp_lt_u32_e64 s0, 31, v17
	v_mad_u64_u32 v[12:13], null, 0xdb629599, v18, v[1:2]
	s_delay_alu instid0(VALU_DEP_2) | instskip(NEXT) | instid1(VALU_DEP_1)
	v_cndmask_b32_e64 v19, 0, 0xffffffe0, s0
	v_add_nc_u32_e32 v19, v19, v17
	s_delay_alu instid0(VALU_DEP_3) | instskip(NEXT) | instid1(VALU_DEP_2)
	v_dual_mov_b32 v1, v13 :: v_dual_cndmask_b32 v10, v12, v10
	v_cmp_lt_u32_e64 s1, 31, v19
	s_delay_alu instid0(VALU_DEP_2) | instskip(NEXT) | instid1(VALU_DEP_1)
	v_mad_u64_u32 v[13:14], null, 0xf534ddc0, v18, v[1:2]
	v_mov_b32_e32 v1, v14
	s_delay_alu instid0(VALU_DEP_2) | instskip(NEXT) | instid1(VALU_DEP_2)
	v_cndmask_b32_e32 v11, v13, v11, vcc_lo
	v_mad_u64_u32 v[14:15], null, 0xfc2757d1, v18, v[1:2]
	s_delay_alu instid0(VALU_DEP_2) | instskip(NEXT) | instid1(VALU_DEP_2)
	v_cndmask_b32_e64 v10, v11, v10, s0
	v_mov_b32_e32 v1, v15
	s_delay_alu instid0(VALU_DEP_1) | instskip(NEXT) | instid1(VALU_DEP_1)
	v_mad_u64_u32 v[15:16], null, 0x4e441529, v18, v[1:2]
	v_mov_b32_e32 v1, v16
	s_delay_alu instid0(VALU_DEP_1) | instskip(SKIP_1) | instid1(VALU_DEP_1)
	v_mad_u64_u32 v[16:17], null, 0xa2f9836e, v18, v[1:2]
	v_cndmask_b32_e64 v1, 0, 0xffffffe0, s1
	v_dual_cndmask_b32 v18, v15, v13 :: v_dual_add_nc_u32 v1, v1, v19
	s_delay_alu instid0(VALU_DEP_3) | instskip(SKIP_1) | instid1(VALU_DEP_3)
	v_dual_cndmask_b32 v16, v16, v14 :: v_dual_cndmask_b32 v15, v17, v15
	v_cndmask_b32_e32 v14, v14, v12, vcc_lo
	v_sub_nc_u32_e32 v17, 32, v1
	s_delay_alu instid0(VALU_DEP_3) | instskip(NEXT) | instid1(VALU_DEP_4)
	v_cndmask_b32_e64 v13, v16, v18, s0
	v_cndmask_b32_e64 v15, v15, v16, s0
	s_delay_alu instid0(VALU_DEP_4) | instskip(SKIP_2) | instid1(VALU_DEP_4)
	v_cndmask_b32_e64 v16, v18, v14, s0
	v_cndmask_b32_e64 v14, v14, v11, s0
	v_cmp_eq_u32_e64 s2, 0, v1
	v_cndmask_b32_e64 v15, v15, v13, s1
	s_delay_alu instid0(VALU_DEP_4) | instskip(NEXT) | instid1(VALU_DEP_4)
	v_cndmask_b32_e64 v13, v13, v16, s1
	v_cndmask_b32_e64 v16, v16, v14, s1
	;; [unrolled: 1-line block ×3, first 2 shown]
	s_delay_alu instid0(VALU_DEP_3) | instskip(NEXT) | instid1(VALU_DEP_3)
	v_alignbit_b32 v18, v15, v13, v17
	v_alignbit_b32 v19, v13, v16, v17
	s_delay_alu instid0(VALU_DEP_3) | instskip(NEXT) | instid1(VALU_DEP_3)
	v_alignbit_b32 v17, v16, v10, v17
	v_cndmask_b32_e64 v1, v18, v15, s2
	s_delay_alu instid0(VALU_DEP_3) | instskip(NEXT) | instid1(VALU_DEP_3)
	v_cndmask_b32_e64 v12, v19, v13, s2
	v_cndmask_b32_e64 v16, v17, v16, s2
	s_delay_alu instid0(VALU_DEP_3) | instskip(NEXT) | instid1(VALU_DEP_3)
	v_bfe_u32 v13, v1, 29, 1
	v_alignbit_b32 v11, v1, v12, 30
	s_delay_alu instid0(VALU_DEP_3) | instskip(SKIP_1) | instid1(VALU_DEP_4)
	v_alignbit_b32 v12, v12, v16, 30
	v_alignbit_b32 v10, v16, v10, 30
	v_sub_nc_u32_e32 v15, 0, v13
	s_delay_alu instid0(VALU_DEP_1) | instskip(SKIP_3) | instid1(VALU_DEP_4)
	v_xor_b32_e32 v14, v11, v15
	v_cmp_ne_u32_e32 vcc_lo, v11, v15
	v_xor_b32_e32 v12, v12, v15
	v_xor_b32_e32 v10, v10, v15
	v_clz_i32_u32_e32 v18, v14
	s_delay_alu instid0(VALU_DEP_1) | instskip(NEXT) | instid1(VALU_DEP_1)
	v_add_nc_u32_e32 v17, 1, v18
	v_cndmask_b32_e32 v11, 33, v17, vcc_lo
	s_delay_alu instid0(VALU_DEP_1) | instskip(NEXT) | instid1(VALU_DEP_1)
	v_sub_nc_u32_e32 v16, 32, v11
	v_alignbit_b32 v14, v14, v12, v16
	v_alignbit_b32 v10, v12, v10, v16
	v_lshrrev_b32_e32 v12, 29, v1
	v_lshrrev_b32_e32 v1, 30, v1
	s_delay_alu instid0(VALU_DEP_3) | instskip(NEXT) | instid1(VALU_DEP_3)
	v_alignbit_b32 v15, v14, v10, 9
	v_lshlrev_b32_e32 v12, 31, v12
	v_alignbit_b32 v14, v11, v14, 9
	s_delay_alu instid0(VALU_DEP_3) | instskip(NEXT) | instid1(VALU_DEP_2)
	v_clz_i32_u32_e32 v16, v15
	v_or_b32_e32 v14, v14, v12
	v_or_b32_e32 v12, 0x33800000, v12
	s_delay_alu instid0(VALU_DEP_3) | instskip(NEXT) | instid1(VALU_DEP_3)
	v_min_u32_e32 v16, 32, v16
	v_xor_b32_e32 v14, 1.0, v14
	s_delay_alu instid0(VALU_DEP_2) | instskip(SKIP_1) | instid1(VALU_DEP_3)
	v_sub_nc_u32_e32 v17, 31, v16
	v_add_lshl_u32 v11, v16, v11, 23
	v_mul_f32_e32 v16, 0x3fc90fda, v14
	s_delay_alu instid0(VALU_DEP_3) | instskip(NEXT) | instid1(VALU_DEP_3)
	v_alignbit_b32 v10, v15, v10, v17
	v_sub_nc_u32_e32 v11, v12, v11
	s_delay_alu instid0(VALU_DEP_3) | instskip(NEXT) | instid1(VALU_DEP_3)
	v_fma_f32 v12, 0x3fc90fda, v14, -v16
	v_lshrrev_b32_e32 v10, 9, v10
	s_delay_alu instid0(VALU_DEP_2) | instskip(NEXT) | instid1(VALU_DEP_2)
	v_fmac_f32_e32 v12, 0x33a22168, v14
	v_or_b32_e32 v10, v11, v10
	s_delay_alu instid0(VALU_DEP_1) | instskip(NEXT) | instid1(VALU_DEP_1)
	v_fmac_f32_e32 v12, 0x3fc90fda, v10
	v_dual_add_f32 v11, v16, v12 :: v_dual_add_nc_u32 v10, v13, v1
.LBB103_43:                             ;   in Loop: Header=BB103_41 Depth=1
	s_and_not1_saveexec_b32 s0, s9
; %bb.44:                               ;   in Loop: Header=BB103_41 Depth=1
	v_mul_f32_e64 v1, 0x3f22f983, |v0|
	s_delay_alu instid0(VALU_DEP_1) | instskip(NEXT) | instid1(VALU_DEP_1)
	v_rndne_f32_e32 v1, v1
	v_fma_f32 v11, 0xbfc90fda, v1, |v0|
	v_cvt_i32_f32_e32 v10, v1
	s_delay_alu instid0(VALU_DEP_2) | instskip(NEXT) | instid1(VALU_DEP_1)
	v_fmac_f32_e32 v11, 0xb3a22168, v1
	v_fmac_f32_e32 v11, 0xa7c234c4, v1
; %bb.45:                               ;   in Loop: Header=BB103_41 Depth=1
	s_or_b32 exec_lo, exec_lo, s0
	v_and_b32_e32 v12, 0xffff0000, v7
                                        ; implicit-def: $vgpr15
                                        ; implicit-def: $vgpr14
	s_mov_b32 s1, exec_lo
	s_delay_alu instid0(VALU_DEP_1)
	v_and_b32_e32 v13, 0x7fffffff, v12
	v_cmpx_ngt_f32_e64 0x48000000, |v12|
	s_xor_b32 s9, exec_lo, s1
	s_cbranch_execz .LBB103_47
; %bb.46:                               ;   in Loop: Header=BB103_41 Depth=1
	s_delay_alu instid0(VALU_DEP_2) | instskip(SKIP_1) | instid1(VALU_DEP_2)
	v_and_or_b32 v22, v13, s6, 0x800000
	v_lshrrev_b32_e32 v19, 23, v13
	v_mad_u64_u32 v[14:15], null, 0xfe5163ab, v22, 0
	s_delay_alu instid0(VALU_DEP_2) | instskip(NEXT) | instid1(VALU_DEP_1)
	v_add_nc_u32_e32 v20, 0xffffff88, v19
	v_cmp_lt_u32_e32 vcc_lo, 63, v20
	s_delay_alu instid0(VALU_DEP_3) | instskip(SKIP_1) | instid1(VALU_DEP_2)
	v_mov_b32_e32 v1, v15
	v_cndmask_b32_e64 v21, 0, 0xffffffc0, vcc_lo
	v_mad_u64_u32 v[15:16], null, 0x3c439041, v22, v[1:2]
	s_delay_alu instid0(VALU_DEP_2) | instskip(NEXT) | instid1(VALU_DEP_2)
	v_add_nc_u32_e32 v21, v21, v20
	v_mov_b32_e32 v1, v16
	s_delay_alu instid0(VALU_DEP_2) | instskip(NEXT) | instid1(VALU_DEP_2)
	v_cmp_lt_u32_e64 s0, 31, v21
	v_mad_u64_u32 v[16:17], null, 0xdb629599, v22, v[1:2]
	s_delay_alu instid0(VALU_DEP_2) | instskip(NEXT) | instid1(VALU_DEP_1)
	v_cndmask_b32_e64 v23, 0, 0xffffffe0, s0
	v_add_nc_u32_e32 v23, v23, v21
	s_delay_alu instid0(VALU_DEP_3) | instskip(NEXT) | instid1(VALU_DEP_2)
	v_dual_mov_b32 v1, v17 :: v_dual_cndmask_b32 v14, v16, v14
	v_cmp_lt_u32_e64 s1, 31, v23
	s_delay_alu instid0(VALU_DEP_2) | instskip(NEXT) | instid1(VALU_DEP_1)
	v_mad_u64_u32 v[17:18], null, 0xf534ddc0, v22, v[1:2]
	v_mov_b32_e32 v1, v18
	s_delay_alu instid0(VALU_DEP_2) | instskip(NEXT) | instid1(VALU_DEP_2)
	v_cndmask_b32_e32 v15, v17, v15, vcc_lo
	v_mad_u64_u32 v[18:19], null, 0xfc2757d1, v22, v[1:2]
	s_delay_alu instid0(VALU_DEP_2) | instskip(NEXT) | instid1(VALU_DEP_2)
	v_cndmask_b32_e64 v14, v15, v14, s0
	v_mov_b32_e32 v1, v19
	s_delay_alu instid0(VALU_DEP_1) | instskip(NEXT) | instid1(VALU_DEP_1)
	v_mad_u64_u32 v[19:20], null, 0x4e441529, v22, v[1:2]
	v_mov_b32_e32 v1, v20
	s_delay_alu instid0(VALU_DEP_1) | instskip(SKIP_1) | instid1(VALU_DEP_1)
	v_mad_u64_u32 v[20:21], null, 0xa2f9836e, v22, v[1:2]
	v_cndmask_b32_e64 v1, 0, 0xffffffe0, s1
	v_dual_cndmask_b32 v22, v19, v17 :: v_dual_add_nc_u32 v1, v1, v23
	s_delay_alu instid0(VALU_DEP_3) | instskip(SKIP_1) | instid1(VALU_DEP_3)
	v_dual_cndmask_b32 v20, v20, v18 :: v_dual_cndmask_b32 v19, v21, v19
	v_cndmask_b32_e32 v18, v18, v16, vcc_lo
	v_sub_nc_u32_e32 v21, 32, v1
	s_delay_alu instid0(VALU_DEP_3) | instskip(NEXT) | instid1(VALU_DEP_4)
	v_cndmask_b32_e64 v17, v20, v22, s0
	v_cndmask_b32_e64 v19, v19, v20, s0
	s_delay_alu instid0(VALU_DEP_4) | instskip(SKIP_2) | instid1(VALU_DEP_4)
	v_cndmask_b32_e64 v20, v22, v18, s0
	v_cndmask_b32_e64 v18, v18, v15, s0
	v_cmp_eq_u32_e64 s2, 0, v1
	v_cndmask_b32_e64 v19, v19, v17, s1
	s_delay_alu instid0(VALU_DEP_4) | instskip(NEXT) | instid1(VALU_DEP_4)
	v_cndmask_b32_e64 v17, v17, v20, s1
	v_cndmask_b32_e64 v20, v20, v18, s1
	;; [unrolled: 1-line block ×3, first 2 shown]
	s_delay_alu instid0(VALU_DEP_3) | instskip(NEXT) | instid1(VALU_DEP_3)
	v_alignbit_b32 v22, v19, v17, v21
	v_alignbit_b32 v23, v17, v20, v21
	s_delay_alu instid0(VALU_DEP_3) | instskip(NEXT) | instid1(VALU_DEP_3)
	v_alignbit_b32 v21, v20, v14, v21
	v_cndmask_b32_e64 v1, v22, v19, s2
	s_delay_alu instid0(VALU_DEP_3) | instskip(NEXT) | instid1(VALU_DEP_3)
	v_cndmask_b32_e64 v16, v23, v17, s2
	v_cndmask_b32_e64 v20, v21, v20, s2
	s_delay_alu instid0(VALU_DEP_3) | instskip(NEXT) | instid1(VALU_DEP_3)
	v_bfe_u32 v17, v1, 29, 1
	v_alignbit_b32 v15, v1, v16, 30
	s_delay_alu instid0(VALU_DEP_3) | instskip(SKIP_1) | instid1(VALU_DEP_4)
	v_alignbit_b32 v16, v16, v20, 30
	v_alignbit_b32 v14, v20, v14, 30
	v_sub_nc_u32_e32 v19, 0, v17
	s_delay_alu instid0(VALU_DEP_1) | instskip(SKIP_3) | instid1(VALU_DEP_4)
	v_xor_b32_e32 v18, v15, v19
	v_cmp_ne_u32_e32 vcc_lo, v15, v19
	v_xor_b32_e32 v16, v16, v19
	v_xor_b32_e32 v14, v14, v19
	v_clz_i32_u32_e32 v22, v18
	s_delay_alu instid0(VALU_DEP_1) | instskip(NEXT) | instid1(VALU_DEP_1)
	v_add_nc_u32_e32 v21, 1, v22
	v_cndmask_b32_e32 v15, 33, v21, vcc_lo
	s_delay_alu instid0(VALU_DEP_1) | instskip(NEXT) | instid1(VALU_DEP_1)
	v_sub_nc_u32_e32 v20, 32, v15
	v_alignbit_b32 v18, v18, v16, v20
	v_alignbit_b32 v14, v16, v14, v20
	v_lshrrev_b32_e32 v16, 29, v1
	v_lshrrev_b32_e32 v1, 30, v1
	s_delay_alu instid0(VALU_DEP_3) | instskip(NEXT) | instid1(VALU_DEP_3)
	v_alignbit_b32 v19, v18, v14, 9
	v_lshlrev_b32_e32 v16, 31, v16
	v_alignbit_b32 v18, v15, v18, 9
	s_delay_alu instid0(VALU_DEP_3) | instskip(NEXT) | instid1(VALU_DEP_2)
	v_clz_i32_u32_e32 v20, v19
	v_or_b32_e32 v18, v18, v16
	v_or_b32_e32 v16, 0x33800000, v16
	s_delay_alu instid0(VALU_DEP_3) | instskip(NEXT) | instid1(VALU_DEP_3)
	v_min_u32_e32 v20, 32, v20
	v_xor_b32_e32 v18, 1.0, v18
	s_delay_alu instid0(VALU_DEP_2) | instskip(SKIP_1) | instid1(VALU_DEP_3)
	v_sub_nc_u32_e32 v21, 31, v20
	v_add_lshl_u32 v15, v20, v15, 23
	v_mul_f32_e32 v20, 0x3fc90fda, v18
	s_delay_alu instid0(VALU_DEP_3) | instskip(NEXT) | instid1(VALU_DEP_3)
	v_alignbit_b32 v14, v19, v14, v21
	v_sub_nc_u32_e32 v15, v16, v15
	s_delay_alu instid0(VALU_DEP_3) | instskip(NEXT) | instid1(VALU_DEP_3)
	v_fma_f32 v16, 0x3fc90fda, v18, -v20
	v_lshrrev_b32_e32 v14, 9, v14
	s_delay_alu instid0(VALU_DEP_2) | instskip(NEXT) | instid1(VALU_DEP_2)
	v_fmac_f32_e32 v16, 0x33a22168, v18
	v_or_b32_e32 v14, v15, v14
	s_delay_alu instid0(VALU_DEP_1) | instskip(NEXT) | instid1(VALU_DEP_1)
	v_dual_fmac_f32 v16, 0x3fc90fda, v14 :: v_dual_add_nc_u32 v15, v17, v1
	v_add_f32_e32 v14, v20, v16
.LBB103_47:                             ;   in Loop: Header=BB103_41 Depth=1
	s_and_not1_saveexec_b32 s0, s9
; %bb.48:                               ;   in Loop: Header=BB103_41 Depth=1
	v_mul_f32_e64 v1, 0x3f22f983, |v12|
	s_delay_alu instid0(VALU_DEP_1) | instskip(NEXT) | instid1(VALU_DEP_1)
	v_rndne_f32_e32 v1, v1
	v_fma_f32 v14, 0xbfc90fda, v1, |v12|
	v_cvt_i32_f32_e32 v15, v1
	s_delay_alu instid0(VALU_DEP_2) | instskip(NEXT) | instid1(VALU_DEP_1)
	v_fmac_f32_e32 v14, 0xb3a22168, v1
	v_fmac_f32_e32 v14, 0xa7c234c4, v1
; %bb.49:                               ;   in Loop: Header=BB103_41 Depth=1
	s_or_b32 exec_lo, exec_lo, s0
	v_alignbit_b32 v1, v8, v7, 16
                                        ; implicit-def: $vgpr19
                                        ; implicit-def: $vgpr17
	s_mov_b32 s1, exec_lo
	s_delay_alu instid0(VALU_DEP_1) | instskip(NEXT) | instid1(VALU_DEP_1)
	v_and_b32_e32 v7, 0xffff0000, v1
	v_and_b32_e32 v16, 0x7fffffff, v7
	v_cmpx_ngt_f32_e64 0x48000000, |v7|
	s_xor_b32 s9, exec_lo, s1
	s_cbranch_execz .LBB103_51
; %bb.50:                               ;   in Loop: Header=BB103_41 Depth=1
	s_delay_alu instid0(VALU_DEP_2) | instskip(SKIP_1) | instid1(VALU_DEP_2)
	v_lshrrev_b32_e32 v22, 23, v16
	v_and_or_b32 v25, v16, s6, 0x800000
	v_add_nc_u32_e32 v23, 0xffffff88, v22
	s_delay_alu instid0(VALU_DEP_2) | instskip(NEXT) | instid1(VALU_DEP_2)
	v_mad_u64_u32 v[17:18], null, 0xfe5163ab, v25, 0
	v_cmp_lt_u32_e32 vcc_lo, 63, v23
	v_cndmask_b32_e64 v24, 0, 0xffffffc0, vcc_lo
	s_delay_alu instid0(VALU_DEP_1) | instskip(NEXT) | instid1(VALU_DEP_1)
	v_dual_mov_b32 v1, v18 :: v_dual_add_nc_u32 v24, v24, v23
	v_mad_u64_u32 v[18:19], null, 0x3c439041, v25, v[1:2]
	s_delay_alu instid0(VALU_DEP_2) | instskip(NEXT) | instid1(VALU_DEP_1)
	v_cmp_lt_u32_e64 s0, 31, v24
	v_cndmask_b32_e64 v26, 0, 0xffffffe0, s0
	s_delay_alu instid0(VALU_DEP_1) | instskip(NEXT) | instid1(VALU_DEP_1)
	v_dual_mov_b32 v1, v19 :: v_dual_add_nc_u32 v26, v26, v24
	v_mad_u64_u32 v[19:20], null, 0xdb629599, v25, v[1:2]
	s_delay_alu instid0(VALU_DEP_2) | instskip(NEXT) | instid1(VALU_DEP_2)
	v_cmp_lt_u32_e64 s1, 31, v26
	v_mov_b32_e32 v1, v20
	s_delay_alu instid0(VALU_DEP_3) | instskip(NEXT) | instid1(VALU_DEP_2)
	v_cndmask_b32_e32 v17, v19, v17, vcc_lo
	v_mad_u64_u32 v[20:21], null, 0xf534ddc0, v25, v[1:2]
	s_delay_alu instid0(VALU_DEP_1) | instskip(NEXT) | instid1(VALU_DEP_1)
	v_dual_mov_b32 v1, v21 :: v_dual_cndmask_b32 v18, v20, v18
	v_mad_u64_u32 v[21:22], null, 0xfc2757d1, v25, v[1:2]
	s_delay_alu instid0(VALU_DEP_2) | instskip(NEXT) | instid1(VALU_DEP_2)
	v_cndmask_b32_e64 v17, v18, v17, s0
	v_mov_b32_e32 v1, v22
	s_delay_alu instid0(VALU_DEP_1) | instskip(NEXT) | instid1(VALU_DEP_1)
	v_mad_u64_u32 v[22:23], null, 0x4e441529, v25, v[1:2]
	v_mov_b32_e32 v1, v23
	s_delay_alu instid0(VALU_DEP_1) | instskip(SKIP_1) | instid1(VALU_DEP_4)
	v_mad_u64_u32 v[23:24], null, 0xa2f9836e, v25, v[1:2]
	v_cndmask_b32_e64 v1, 0, 0xffffffe0, s1
	v_cndmask_b32_e32 v25, v22, v20, vcc_lo
	s_delay_alu instid0(VALU_DEP_2) | instskip(NEXT) | instid1(VALU_DEP_4)
	v_add_nc_u32_e32 v1, v1, v26
	v_dual_cndmask_b32 v23, v23, v21 :: v_dual_cndmask_b32 v22, v24, v22
	v_cndmask_b32_e32 v21, v21, v19, vcc_lo
	s_delay_alu instid0(VALU_DEP_3) | instskip(NEXT) | instid1(VALU_DEP_3)
	v_sub_nc_u32_e32 v24, 32, v1
	v_cndmask_b32_e64 v20, v23, v25, s0
	s_delay_alu instid0(VALU_DEP_4) | instskip(NEXT) | instid1(VALU_DEP_4)
	v_cndmask_b32_e64 v22, v22, v23, s0
	v_cndmask_b32_e64 v23, v25, v21, s0
	;; [unrolled: 1-line block ×3, first 2 shown]
	v_cmp_eq_u32_e64 s2, 0, v1
	s_delay_alu instid0(VALU_DEP_4) | instskip(NEXT) | instid1(VALU_DEP_4)
	v_cndmask_b32_e64 v22, v22, v20, s1
	v_cndmask_b32_e64 v20, v20, v23, s1
	s_delay_alu instid0(VALU_DEP_4) | instskip(SKIP_1) | instid1(VALU_DEP_3)
	v_cndmask_b32_e64 v23, v23, v21, s1
	v_cndmask_b32_e64 v17, v21, v17, s1
	v_alignbit_b32 v25, v22, v20, v24
	s_delay_alu instid0(VALU_DEP_3) | instskip(NEXT) | instid1(VALU_DEP_3)
	v_alignbit_b32 v26, v20, v23, v24
	v_alignbit_b32 v24, v23, v17, v24
	s_delay_alu instid0(VALU_DEP_3) | instskip(NEXT) | instid1(VALU_DEP_3)
	v_cndmask_b32_e64 v1, v25, v22, s2
	v_cndmask_b32_e64 v19, v26, v20, s2
	s_delay_alu instid0(VALU_DEP_3) | instskip(NEXT) | instid1(VALU_DEP_3)
	v_cndmask_b32_e64 v23, v24, v23, s2
	v_bfe_u32 v20, v1, 29, 1
	s_delay_alu instid0(VALU_DEP_3) | instskip(NEXT) | instid1(VALU_DEP_3)
	v_alignbit_b32 v18, v1, v19, 30
	v_alignbit_b32 v19, v19, v23, 30
	;; [unrolled: 1-line block ×3, first 2 shown]
	s_delay_alu instid0(VALU_DEP_4) | instskip(NEXT) | instid1(VALU_DEP_1)
	v_sub_nc_u32_e32 v22, 0, v20
	v_xor_b32_e32 v21, v18, v22
	v_cmp_ne_u32_e32 vcc_lo, v18, v22
	v_xor_b32_e32 v19, v19, v22
	v_xor_b32_e32 v17, v17, v22
	s_delay_alu instid0(VALU_DEP_4) | instskip(NEXT) | instid1(VALU_DEP_1)
	v_clz_i32_u32_e32 v25, v21
	v_add_nc_u32_e32 v24, 1, v25
	s_delay_alu instid0(VALU_DEP_1) | instskip(NEXT) | instid1(VALU_DEP_1)
	v_cndmask_b32_e32 v18, 33, v24, vcc_lo
	v_sub_nc_u32_e32 v23, 32, v18
	s_delay_alu instid0(VALU_DEP_1) | instskip(SKIP_3) | instid1(VALU_DEP_3)
	v_alignbit_b32 v21, v21, v19, v23
	v_alignbit_b32 v17, v19, v17, v23
	v_lshrrev_b32_e32 v19, 29, v1
	v_lshrrev_b32_e32 v1, 30, v1
	v_alignbit_b32 v22, v21, v17, 9
	s_delay_alu instid0(VALU_DEP_3) | instskip(SKIP_1) | instid1(VALU_DEP_3)
	v_lshlrev_b32_e32 v19, 31, v19
	v_alignbit_b32 v21, v18, v21, 9
	v_clz_i32_u32_e32 v23, v22
	s_delay_alu instid0(VALU_DEP_2) | instskip(SKIP_1) | instid1(VALU_DEP_3)
	v_or_b32_e32 v21, v21, v19
	v_or_b32_e32 v19, 0x33800000, v19
	v_min_u32_e32 v23, 32, v23
	s_delay_alu instid0(VALU_DEP_3) | instskip(NEXT) | instid1(VALU_DEP_2)
	v_xor_b32_e32 v21, 1.0, v21
	v_sub_nc_u32_e32 v24, 31, v23
	v_add_lshl_u32 v18, v23, v18, 23
	s_delay_alu instid0(VALU_DEP_3) | instskip(NEXT) | instid1(VALU_DEP_3)
	v_mul_f32_e32 v23, 0x3fc90fda, v21
	v_alignbit_b32 v17, v22, v17, v24
	s_delay_alu instid0(VALU_DEP_3) | instskip(NEXT) | instid1(VALU_DEP_3)
	v_sub_nc_u32_e32 v18, v19, v18
	v_fma_f32 v19, 0x3fc90fda, v21, -v23
	s_delay_alu instid0(VALU_DEP_3) | instskip(NEXT) | instid1(VALU_DEP_2)
	v_lshrrev_b32_e32 v17, 9, v17
	v_fmac_f32_e32 v19, 0x33a22168, v21
	s_delay_alu instid0(VALU_DEP_2) | instskip(NEXT) | instid1(VALU_DEP_1)
	v_or_b32_e32 v17, v18, v17
	v_fmac_f32_e32 v19, 0x3fc90fda, v17
	s_delay_alu instid0(VALU_DEP_1)
	v_add_f32_e32 v17, v23, v19
	v_add_nc_u32_e32 v19, v20, v1
.LBB103_51:                             ;   in Loop: Header=BB103_41 Depth=1
	s_and_not1_saveexec_b32 s0, s9
; %bb.52:                               ;   in Loop: Header=BB103_41 Depth=1
	v_mul_f32_e64 v1, 0x3f22f983, |v7|
	s_delay_alu instid0(VALU_DEP_1) | instskip(NEXT) | instid1(VALU_DEP_1)
	v_rndne_f32_e32 v1, v1
	v_fma_f32 v17, 0xbfc90fda, v1, |v7|
	v_cvt_i32_f32_e32 v19, v1
	s_delay_alu instid0(VALU_DEP_2) | instskip(NEXT) | instid1(VALU_DEP_1)
	v_fmac_f32_e32 v17, 0xb3a22168, v1
	v_fmac_f32_e32 v17, 0xa7c234c4, v1
; %bb.53:                               ;   in Loop: Header=BB103_41 Depth=1
	s_or_b32 exec_lo, exec_lo, s0
	v_and_b32_e32 v8, 0xffff0000, v8
                                        ; implicit-def: $vgpr1
                                        ; implicit-def: $vgpr20
	s_mov_b32 s1, exec_lo
	s_delay_alu instid0(VALU_DEP_1)
	v_and_b32_e32 v18, 0x7fffffff, v8
	v_cmpx_ngt_f32_e64 0x48000000, |v8|
	s_xor_b32 s9, exec_lo, s1
	s_cbranch_execz .LBB103_55
; %bb.54:                               ;   in Loop: Header=BB103_41 Depth=1
	s_delay_alu instid0(VALU_DEP_2) | instskip(SKIP_1) | instid1(VALU_DEP_2)
	v_and_or_b32 v28, v18, s6, 0x800000
	v_lshrrev_b32_e32 v25, 23, v18
	v_mad_u64_u32 v[20:21], null, 0xfe5163ab, v28, 0
	s_delay_alu instid0(VALU_DEP_2) | instskip(NEXT) | instid1(VALU_DEP_1)
	v_add_nc_u32_e32 v26, 0xffffff88, v25
	v_cmp_lt_u32_e32 vcc_lo, 63, v26
	s_delay_alu instid0(VALU_DEP_3) | instskip(SKIP_1) | instid1(VALU_DEP_2)
	v_mov_b32_e32 v1, v21
	v_cndmask_b32_e64 v27, 0, 0xffffffc0, vcc_lo
	v_mad_u64_u32 v[21:22], null, 0x3c439041, v28, v[1:2]
	s_delay_alu instid0(VALU_DEP_2) | instskip(NEXT) | instid1(VALU_DEP_2)
	v_add_nc_u32_e32 v27, v27, v26
	v_mov_b32_e32 v1, v22
	s_delay_alu instid0(VALU_DEP_2) | instskip(NEXT) | instid1(VALU_DEP_2)
	v_cmp_lt_u32_e64 s0, 31, v27
	v_mad_u64_u32 v[22:23], null, 0xdb629599, v28, v[1:2]
	s_delay_alu instid0(VALU_DEP_2) | instskip(NEXT) | instid1(VALU_DEP_1)
	v_cndmask_b32_e64 v29, 0, 0xffffffe0, s0
	v_add_nc_u32_e32 v29, v29, v27
	s_delay_alu instid0(VALU_DEP_3) | instskip(NEXT) | instid1(VALU_DEP_2)
	v_dual_mov_b32 v1, v23 :: v_dual_cndmask_b32 v20, v22, v20
	v_cmp_lt_u32_e64 s1, 31, v29
	s_delay_alu instid0(VALU_DEP_2) | instskip(NEXT) | instid1(VALU_DEP_1)
	v_mad_u64_u32 v[23:24], null, 0xf534ddc0, v28, v[1:2]
	v_mov_b32_e32 v1, v24
	s_delay_alu instid0(VALU_DEP_2) | instskip(NEXT) | instid1(VALU_DEP_2)
	v_cndmask_b32_e32 v21, v23, v21, vcc_lo
	v_mad_u64_u32 v[24:25], null, 0xfc2757d1, v28, v[1:2]
	s_delay_alu instid0(VALU_DEP_2) | instskip(NEXT) | instid1(VALU_DEP_2)
	v_cndmask_b32_e64 v20, v21, v20, s0
	v_mov_b32_e32 v1, v25
	s_delay_alu instid0(VALU_DEP_1) | instskip(NEXT) | instid1(VALU_DEP_1)
	v_mad_u64_u32 v[25:26], null, 0x4e441529, v28, v[1:2]
	v_mov_b32_e32 v1, v26
	s_delay_alu instid0(VALU_DEP_1) | instskip(SKIP_1) | instid1(VALU_DEP_4)
	v_mad_u64_u32 v[26:27], null, 0xa2f9836e, v28, v[1:2]
	v_cndmask_b32_e64 v1, 0, 0xffffffe0, s1
	v_cndmask_b32_e32 v28, v25, v23, vcc_lo
	s_delay_alu instid0(VALU_DEP_2) | instskip(NEXT) | instid1(VALU_DEP_4)
	v_dual_cndmask_b32 v26, v26, v24 :: v_dual_add_nc_u32 v1, v1, v29
	v_dual_cndmask_b32 v25, v27, v25 :: v_dual_cndmask_b32 v24, v24, v22
	s_delay_alu instid0(VALU_DEP_2) | instskip(NEXT) | instid1(VALU_DEP_3)
	v_sub_nc_u32_e32 v27, 32, v1
	v_cndmask_b32_e64 v23, v26, v28, s0
	s_delay_alu instid0(VALU_DEP_3) | instskip(NEXT) | instid1(VALU_DEP_4)
	v_cndmask_b32_e64 v25, v25, v26, s0
	v_cndmask_b32_e64 v26, v28, v24, s0
	;; [unrolled: 1-line block ×3, first 2 shown]
	v_cmp_eq_u32_e64 s2, 0, v1
	s_delay_alu instid0(VALU_DEP_4) | instskip(NEXT) | instid1(VALU_DEP_4)
	v_cndmask_b32_e64 v25, v25, v23, s1
	v_cndmask_b32_e64 v23, v23, v26, s1
	s_delay_alu instid0(VALU_DEP_4) | instskip(SKIP_1) | instid1(VALU_DEP_3)
	v_cndmask_b32_e64 v26, v26, v24, s1
	v_cndmask_b32_e64 v20, v24, v20, s1
	v_alignbit_b32 v28, v25, v23, v27
	s_delay_alu instid0(VALU_DEP_3) | instskip(NEXT) | instid1(VALU_DEP_3)
	v_alignbit_b32 v29, v23, v26, v27
	v_alignbit_b32 v27, v26, v20, v27
	s_delay_alu instid0(VALU_DEP_3) | instskip(NEXT) | instid1(VALU_DEP_3)
	v_cndmask_b32_e64 v1, v28, v25, s2
	v_cndmask_b32_e64 v22, v29, v23, s2
	s_delay_alu instid0(VALU_DEP_3) | instskip(NEXT) | instid1(VALU_DEP_3)
	v_cndmask_b32_e64 v26, v27, v26, s2
	v_bfe_u32 v23, v1, 29, 1
	s_delay_alu instid0(VALU_DEP_3) | instskip(NEXT) | instid1(VALU_DEP_3)
	v_alignbit_b32 v21, v1, v22, 30
	v_alignbit_b32 v22, v22, v26, 30
	;; [unrolled: 1-line block ×3, first 2 shown]
	s_delay_alu instid0(VALU_DEP_4) | instskip(NEXT) | instid1(VALU_DEP_1)
	v_sub_nc_u32_e32 v25, 0, v23
	v_xor_b32_e32 v24, v21, v25
	v_cmp_ne_u32_e32 vcc_lo, v21, v25
	v_xor_b32_e32 v22, v22, v25
	v_xor_b32_e32 v20, v20, v25
	s_delay_alu instid0(VALU_DEP_4) | instskip(NEXT) | instid1(VALU_DEP_1)
	v_clz_i32_u32_e32 v28, v24
	v_add_nc_u32_e32 v27, 1, v28
	s_delay_alu instid0(VALU_DEP_1) | instskip(NEXT) | instid1(VALU_DEP_1)
	v_cndmask_b32_e32 v21, 33, v27, vcc_lo
	v_sub_nc_u32_e32 v26, 32, v21
	s_delay_alu instid0(VALU_DEP_1) | instskip(SKIP_3) | instid1(VALU_DEP_3)
	v_alignbit_b32 v24, v24, v22, v26
	v_alignbit_b32 v20, v22, v20, v26
	v_lshrrev_b32_e32 v22, 29, v1
	v_lshrrev_b32_e32 v1, 30, v1
	v_alignbit_b32 v25, v24, v20, 9
	s_delay_alu instid0(VALU_DEP_3) | instskip(SKIP_1) | instid1(VALU_DEP_4)
	v_lshlrev_b32_e32 v22, 31, v22
	v_alignbit_b32 v24, v21, v24, 9
	v_add_nc_u32_e32 v1, v23, v1
	s_delay_alu instid0(VALU_DEP_4) | instskip(NEXT) | instid1(VALU_DEP_3)
	v_clz_i32_u32_e32 v26, v25
	v_or_b32_e32 v24, v24, v22
	v_or_b32_e32 v22, 0x33800000, v22
	s_delay_alu instid0(VALU_DEP_3) | instskip(NEXT) | instid1(VALU_DEP_3)
	v_min_u32_e32 v26, 32, v26
	v_xor_b32_e32 v24, 1.0, v24
	s_delay_alu instid0(VALU_DEP_2) | instskip(SKIP_1) | instid1(VALU_DEP_3)
	v_sub_nc_u32_e32 v27, 31, v26
	v_add_lshl_u32 v21, v26, v21, 23
	v_mul_f32_e32 v26, 0x3fc90fda, v24
	s_delay_alu instid0(VALU_DEP_3) | instskip(NEXT) | instid1(VALU_DEP_3)
	v_alignbit_b32 v20, v25, v20, v27
	v_sub_nc_u32_e32 v21, v22, v21
	s_delay_alu instid0(VALU_DEP_3) | instskip(NEXT) | instid1(VALU_DEP_3)
	v_fma_f32 v22, 0x3fc90fda, v24, -v26
	v_lshrrev_b32_e32 v20, 9, v20
	s_delay_alu instid0(VALU_DEP_2) | instskip(NEXT) | instid1(VALU_DEP_2)
	v_fmac_f32_e32 v22, 0x33a22168, v24
	v_or_b32_e32 v20, v21, v20
	s_delay_alu instid0(VALU_DEP_1) | instskip(NEXT) | instid1(VALU_DEP_1)
	v_fmac_f32_e32 v22, 0x3fc90fda, v20
	v_add_f32_e32 v20, v26, v22
.LBB103_55:                             ;   in Loop: Header=BB103_41 Depth=1
	s_and_not1_saveexec_b32 s0, s9
	s_cbranch_execz .LBB103_40
; %bb.56:                               ;   in Loop: Header=BB103_41 Depth=1
	v_mul_f32_e64 v1, 0x3f22f983, |v8|
	s_delay_alu instid0(VALU_DEP_1) | instskip(NEXT) | instid1(VALU_DEP_1)
	v_rndne_f32_e32 v1, v1
	v_fma_f32 v20, 0xbfc90fda, v1, |v8|
	s_delay_alu instid0(VALU_DEP_1) | instskip(NEXT) | instid1(VALU_DEP_1)
	v_fmac_f32_e32 v20, 0xb3a22168, v1
	v_fmac_f32_e32 v20, 0xa7c234c4, v1
	v_cvt_i32_f32_e32 v1, v1
	s_branch .LBB103_40
.LBB103_57:
	s_nop 0
	s_sendmsg sendmsg(MSG_DEALLOC_VGPRS)
	s_endpgm
	.section	.rodata,"a",@progbits
	.p2align	6, 0x0
	.amdhsa_kernel _ZN2at6native12_GLOBAL__N_125multi_tensor_apply_kernelINS1_18TensorListMetadataILi1EEENS1_14UnaryOpFunctorIN3c108BFloat16ELi1ELi1ELi0EEEJNS0_3TanIfEEEEEvT_T0_DpT1_
		.amdhsa_group_segment_fixed_size 0
		.amdhsa_private_segment_fixed_size 0
		.amdhsa_kernarg_size 3632
		.amdhsa_user_sgpr_count 15
		.amdhsa_user_sgpr_dispatch_ptr 0
		.amdhsa_user_sgpr_queue_ptr 0
		.amdhsa_user_sgpr_kernarg_segment_ptr 1
		.amdhsa_user_sgpr_dispatch_id 0
		.amdhsa_user_sgpr_private_segment_size 0
		.amdhsa_wavefront_size32 1
		.amdhsa_uses_dynamic_stack 0
		.amdhsa_enable_private_segment 0
		.amdhsa_system_sgpr_workgroup_id_x 1
		.amdhsa_system_sgpr_workgroup_id_y 0
		.amdhsa_system_sgpr_workgroup_id_z 0
		.amdhsa_system_sgpr_workgroup_info 0
		.amdhsa_system_vgpr_workitem_id 0
		.amdhsa_next_free_vgpr 37
		.amdhsa_next_free_sgpr 26
		.amdhsa_reserve_vcc 1
		.amdhsa_float_round_mode_32 0
		.amdhsa_float_round_mode_16_64 0
		.amdhsa_float_denorm_mode_32 3
		.amdhsa_float_denorm_mode_16_64 3
		.amdhsa_dx10_clamp 1
		.amdhsa_ieee_mode 1
		.amdhsa_fp16_overflow 0
		.amdhsa_workgroup_processor_mode 1
		.amdhsa_memory_ordered 1
		.amdhsa_forward_progress 0
		.amdhsa_shared_vgpr_count 0
		.amdhsa_exception_fp_ieee_invalid_op 0
		.amdhsa_exception_fp_denorm_src 0
		.amdhsa_exception_fp_ieee_div_zero 0
		.amdhsa_exception_fp_ieee_overflow 0
		.amdhsa_exception_fp_ieee_underflow 0
		.amdhsa_exception_fp_ieee_inexact 0
		.amdhsa_exception_int_div_zero 0
	.end_amdhsa_kernel
	.section	.text._ZN2at6native12_GLOBAL__N_125multi_tensor_apply_kernelINS1_18TensorListMetadataILi1EEENS1_14UnaryOpFunctorIN3c108BFloat16ELi1ELi1ELi0EEEJNS0_3TanIfEEEEEvT_T0_DpT1_,"axG",@progbits,_ZN2at6native12_GLOBAL__N_125multi_tensor_apply_kernelINS1_18TensorListMetadataILi1EEENS1_14UnaryOpFunctorIN3c108BFloat16ELi1ELi1ELi0EEEJNS0_3TanIfEEEEEvT_T0_DpT1_,comdat
.Lfunc_end103:
	.size	_ZN2at6native12_GLOBAL__N_125multi_tensor_apply_kernelINS1_18TensorListMetadataILi1EEENS1_14UnaryOpFunctorIN3c108BFloat16ELi1ELi1ELi0EEEJNS0_3TanIfEEEEEvT_T0_DpT1_, .Lfunc_end103-_ZN2at6native12_GLOBAL__N_125multi_tensor_apply_kernelINS1_18TensorListMetadataILi1EEENS1_14UnaryOpFunctorIN3c108BFloat16ELi1ELi1ELi0EEEJNS0_3TanIfEEEEEvT_T0_DpT1_
                                        ; -- End function
	.section	.AMDGPU.csdata,"",@progbits
; Kernel info:
; codeLenInByte = 9348
; NumSgprs: 28
; NumVgprs: 37
; ScratchSize: 0
; MemoryBound: 0
; FloatMode: 240
; IeeeMode: 1
; LDSByteSize: 0 bytes/workgroup (compile time only)
; SGPRBlocks: 3
; VGPRBlocks: 4
; NumSGPRsForWavesPerEU: 28
; NumVGPRsForWavesPerEU: 37
; Occupancy: 16
; WaveLimiterHint : 0
; COMPUTE_PGM_RSRC2:SCRATCH_EN: 0
; COMPUTE_PGM_RSRC2:USER_SGPR: 15
; COMPUTE_PGM_RSRC2:TRAP_HANDLER: 0
; COMPUTE_PGM_RSRC2:TGID_X_EN: 1
; COMPUTE_PGM_RSRC2:TGID_Y_EN: 0
; COMPUTE_PGM_RSRC2:TGID_Z_EN: 0
; COMPUTE_PGM_RSRC2:TIDIG_COMP_CNT: 0
	.section	.text._ZN2at6native12_GLOBAL__N_125multi_tensor_apply_kernelINS1_18TensorListMetadataILi2EEENS1_14UnaryOpFunctorIdLi2ELi1ELi1EEEJNS0_3SinIdEEEEEvT_T0_DpT1_,"axG",@progbits,_ZN2at6native12_GLOBAL__N_125multi_tensor_apply_kernelINS1_18TensorListMetadataILi2EEENS1_14UnaryOpFunctorIdLi2ELi1ELi1EEEJNS0_3SinIdEEEEEvT_T0_DpT1_,comdat
	.globl	_ZN2at6native12_GLOBAL__N_125multi_tensor_apply_kernelINS1_18TensorListMetadataILi2EEENS1_14UnaryOpFunctorIdLi2ELi1ELi1EEEJNS0_3SinIdEEEEEvT_T0_DpT1_ ; -- Begin function _ZN2at6native12_GLOBAL__N_125multi_tensor_apply_kernelINS1_18TensorListMetadataILi2EEENS1_14UnaryOpFunctorIdLi2ELi1ELi1EEEJNS0_3SinIdEEEEEvT_T0_DpT1_
	.p2align	8
	.type	_ZN2at6native12_GLOBAL__N_125multi_tensor_apply_kernelINS1_18TensorListMetadataILi2EEENS1_14UnaryOpFunctorIdLi2ELi1ELi1EEEJNS0_3SinIdEEEEEvT_T0_DpT1_,@function
_ZN2at6native12_GLOBAL__N_125multi_tensor_apply_kernelINS1_18TensorListMetadataILi2EEENS1_14UnaryOpFunctorIdLi2ELi1ELi1EEEJNS0_3SinIdEEEEEvT_T0_DpT1_: ; @_ZN2at6native12_GLOBAL__N_125multi_tensor_apply_kernelINS1_18TensorListMetadataILi2EEENS1_14UnaryOpFunctorIdLi2ELi1ELi1EEEJNS0_3SinIdEEEEEvT_T0_DpT1_
; %bb.0:
	v_mov_b32_e32 v1, s15
	s_add_u32 s2, s0, s15
	s_mul_hi_u32 s3, s15, 3
	s_mul_i32 s15, s15, 3
	s_addc_u32 s4, s1, 0
	global_load_u8 v1, v1, s[0:1] offset:1536
	s_add_u32 s2, s2, s15
	s_addc_u32 s3, s4, s3
	s_mov_b32 s7, 0
	s_load_b32 s2, s[2:3], 0x740
	s_mov_b32 s9, s7
	s_mov_b32 s11, s7
	s_waitcnt vmcnt(0)
	v_readfirstlane_b32 s5, v1
	s_delay_alu instid0(VALU_DEP_1)
	s_lshl_b32 s3, s5, 3
	s_clause 0x2
	s_load_b64 s[16:17], s[0:1], s3 offset:0x0
	s_load_b64 s[18:19], s[0:1], s3 offset:0x200
	;; [unrolled: 1-line block ×3, first 2 shown]
	s_waitcnt lgkmcnt(0)
	s_ashr_i32 s3, s2, 31
	s_delay_alu instid0(SALU_CYCLE_1) | instskip(NEXT) | instid1(SALU_CYCLE_1)
	s_lshl_b64 s[12:13], s[2:3], 19
	s_add_u32 s33, s16, s12
	s_addc_u32 s60, s17, s13
	s_and_b32 s6, s33, 31
	s_add_u32 s61, s18, s12
	s_addc_u32 s62, s19, s13
	s_and_b32 s8, s4, 3
	s_and_b32 s10, s61, 31
	s_or_b64 s[6:7], s[6:7], s[8:9]
	s_lshl_b64 s[2:3], s[2:3], 16
	s_or_b64 s[6:7], s[10:11], s[6:7]
	s_sub_u32 s14, s4, s2
	s_subb_u32 s15, s5, s3
	s_cmp_eq_u64 s[6:7], 0
	s_mov_b32 s2, -1
	s_cbranch_scc0 .LBB104_21
; %bb.1:
	v_mov_b32_e32 v9, 0
	v_lshlrev_b32_e32 v1, 2, v0
	s_mov_b32 s63, exec_lo
	s_delay_alu instid0(VALU_DEP_2) | instskip(NEXT) | instid1(VALU_DEP_1)
	v_mov_b32_e32 v2, v9
	v_cmpx_gt_i64_e64 s[14:15], v[1:2]
	s_cbranch_execz .LBB104_20
; %bb.2:
	s_load_b32 s2, s[0:1], 0xc5c
	v_dual_mov_b32 v12, v9 :: v_dual_lshlrev_b32 v29, 5, v0
	s_mov_b32 s22, 0x54442d18
	s_mov_b32 s28, 0x6dc9c883
	;; [unrolled: 1-line block ×17, first 2 shown]
	s_waitcnt lgkmcnt(0)
	s_and_b32 s2, s2, 0xffff
	s_mov_b32 s23, 0xbff921fb
	v_add_lshl_u32 v11, v0, s2, 2
	s_mov_b32 s25, 0x3c91a626
	s_mov_b32 s26, 0x33145c07
	;; [unrolled: 1-line block ×7, first 2 shown]
	s_lshl_b32 s65, s2, 2
	s_lshl_b32 s66, s2, 5
	s_mov_b32 s41, 0xbe927e4f
	s_mov_b32 s43, 0x3efa01a0
	;; [unrolled: 1-line block ×11, first 2 shown]
	s_branch .LBB104_4
.LBB104_3:                              ;   in Loop: Header=BB104_4 Depth=1
	s_or_b32 exec_lo, exec_lo, s2
	v_mul_f64 v[34:35], v[21:22], v[21:22]
	v_mul_f64 v[36:37], v[17:18], v[17:18]
	v_mul_f64 v[38:39], v[13:14], v[13:14]
	v_mul_f64 v[42:43], v[25:26], v[25:26]
	v_mul_f64 v[68:69], v[23:24], 0.5
	v_mul_f64 v[80:81], v[19:20], 0.5
	v_mul_f64 v[82:83], v[15:16], 0.5
	v_mul_f64 v[84:85], v[27:28], 0.5
	v_cmp_class_f64_e64 s2, v[5:6], 0x1f8
	v_cmp_class_f64_e64 s4, v[3:4], 0x1f8
	;; [unrolled: 1-line block ×4, first 2 shown]
	v_cmp_lt_u64_e64 s10, 0xffff, v[11:12]
	v_fma_f64 v[40:41], v[34:35], s[48:49], s[46:47]
	v_mul_f64 v[44:45], v[34:35], 0.5
	v_fma_f64 v[46:47], v[36:37], s[48:49], s[46:47]
	v_fma_f64 v[48:49], v[38:39], s[48:49], s[46:47]
	;; [unrolled: 1-line block ×4, first 2 shown]
	v_mul_f64 v[54:55], v[36:37], 0.5
	v_fma_f64 v[56:57], v[36:37], s[38:39], s[36:37]
	v_mul_f64 v[60:61], v[38:39], 0.5
	v_fma_f64 v[62:63], v[38:39], s[38:39], s[36:37]
	v_fma_f64 v[64:65], v[42:43], s[38:39], s[36:37]
	v_mul_f64 v[66:67], v[42:43], 0.5
	v_mul_f64 v[70:71], v[21:22], -v[34:35]
	v_mul_f64 v[86:87], v[17:18], -v[36:37]
	v_mul_f64 v[88:89], v[13:14], -v[38:39]
	v_mul_f64 v[90:91], v[25:26], -v[42:43]
	v_fma_f64 v[40:41], v[34:35], v[40:41], s[50:51]
	v_add_f64 v[58:59], -v[44:45], 1.0
	v_fma_f64 v[46:47], v[36:37], v[46:47], s[50:51]
	v_fma_f64 v[48:49], v[38:39], v[48:49], s[50:51]
	;; [unrolled: 1-line block ×4, first 2 shown]
	v_add_f64 v[72:73], -v[54:55], 1.0
	v_fma_f64 v[56:57], v[36:37], v[56:57], s[40:41]
	v_add_f64 v[76:77], -v[60:61], 1.0
	v_fma_f64 v[62:63], v[38:39], v[62:63], s[40:41]
	v_fma_f64 v[64:65], v[42:43], v[64:65], s[40:41]
	v_add_f64 v[78:79], -v[66:67], 1.0
	v_fma_f64 v[40:41], v[34:35], v[40:41], s[52:53]
	v_add_f64 v[74:75], -v[58:59], 1.0
	v_fma_f64 v[46:47], v[36:37], v[46:47], s[52:53]
	v_fma_f64 v[48:49], v[38:39], v[48:49], s[52:53]
	;; [unrolled: 1-line block ×4, first 2 shown]
	v_add_f64 v[92:93], -v[72:73], 1.0
	v_fma_f64 v[56:57], v[36:37], v[56:57], s[42:43]
	v_fma_f64 v[62:63], v[38:39], v[62:63], s[42:43]
	;; [unrolled: 1-line block ×4, first 2 shown]
	v_add_f64 v[44:45], v[74:75], -v[44:45]
	v_add_f64 v[74:75], -v[76:77], 1.0
	v_fma_f64 v[46:47], v[36:37], v[46:47], s[54:55]
	v_fma_f64 v[48:49], v[38:39], v[48:49], s[54:55]
	;; [unrolled: 1-line block ×5, first 2 shown]
	v_add_f64 v[54:55], v[92:93], -v[54:55]
	v_fma_f64 v[62:63], v[38:39], v[62:63], s[44:45]
	v_fma_f64 v[64:65], v[42:43], v[64:65], s[44:45]
	;; [unrolled: 1-line block ×3, first 2 shown]
	v_add_f64 v[68:69], -v[78:79], 1.0
	v_add_f64 v[60:61], v[74:75], -v[60:61]
	v_fma_f64 v[46:47], v[86:87], v[46:47], v[80:81]
	v_fma_f64 v[48:49], v[88:89], v[48:49], v[82:83]
	;; [unrolled: 1-line block ×4, first 2 shown]
	v_fma_f64 v[44:45], v[21:22], -v[23:24], v[44:45]
	v_mul_f64 v[74:75], v[36:37], v[36:37]
	v_mul_f64 v[80:81], v[38:39], v[38:39]
	;; [unrolled: 1-line block ×3, first 2 shown]
	v_fma_f64 v[23:24], v[34:35], v[40:41], -v[23:24]
	v_add_f64 v[66:67], v[68:69], -v[66:67]
	v_mul_f64 v[68:69], v[34:35], v[34:35]
	v_fma_f64 v[34:35], v[36:37], v[56:57], s[56:57]
	v_fma_f64 v[40:41], v[17:18], -v[19:20], v[54:55]
	v_fma_f64 v[19:20], v[36:37], v[46:47], -v[19:20]
	v_fma_f64 v[36:37], v[38:39], v[62:63], s[56:57]
	v_fma_f64 v[46:47], v[13:14], -v[15:16], v[60:61]
	v_fma_f64 v[15:16], v[38:39], v[48:49], -v[15:16]
	v_fma_f64 v[38:39], v[42:43], v[64:65], s[56:57]
	v_fma_f64 v[23:24], v[70:71], s[58:59], v[23:24]
	v_fma_f64 v[48:49], v[25:26], -v[27:28], v[66:67]
	v_fma_f64 v[27:28], v[42:43], v[50:51], -v[27:28]
	v_fma_f64 v[42:43], v[68:69], v[52:53], v[44:45]
	v_fma_f64 v[34:35], v[74:75], v[34:35], v[40:41]
	;; [unrolled: 1-line block ×5, first 2 shown]
	v_add_f64 v[21:22], v[21:22], -v[23:24]
	v_fma_f64 v[38:39], v[82:83], v[38:39], v[48:49]
	v_fma_f64 v[27:28], v[90:91], s[58:59], v[27:28]
	v_add_f64 v[40:41], v[58:59], v[42:43]
	v_add_f64 v[23:24], v[72:73], v[34:35]
	v_add_f64 v[17:18], v[17:18], -v[19:20]
	v_and_b32_e32 v10, 1, v32
	v_add_f64 v[19:20], v[76:77], v[36:37]
	v_add_f64 v[13:14], v[13:14], -v[15:16]
	v_lshlrev_b32_e32 v32, 30, v32
	v_and_b32_e32 v34, 1, v33
	v_cmp_eq_u32_e32 vcc_lo, 0, v10
	v_lshlrev_b32_e32 v33, 30, v33
	s_delay_alu instid0(VALU_DEP_4) | instskip(NEXT) | instid1(VALU_DEP_4)
	v_xor_b32_e32 v1, v32, v6
	v_cmp_eq_u32_e64 s7, 0, v34
	s_delay_alu instid0(VALU_DEP_3) | instskip(NEXT) | instid1(VALU_DEP_3)
	v_xor_b32_e32 v6, v33, v8
	v_and_b32_e32 v1, 0x80000000, v1
	s_delay_alu instid0(VALU_DEP_2)
	v_and_b32_e32 v6, 0x80000000, v6
	v_add_f64 v[15:16], v[78:79], v[38:39]
	v_add_f64 v[25:26], v[25:26], -v[27:28]
	v_cndmask_b32_e32 v7, v41, v22, vcc_lo
	v_dual_cndmask_b32 v10, v40, v21 :: v_dual_and_b32 v27, 1, v31
	v_lshlrev_b32_e32 v31, 30, v31
	v_and_b32_e32 v28, 1, v30
	v_lshlrev_b32_e32 v30, 30, v30
	s_delay_alu instid0(VALU_DEP_4) | instskip(SKIP_1) | instid1(VALU_DEP_4)
	v_cmp_eq_u32_e64 s3, 0, v27
	v_add_co_u32 v27, s9, s61, v29
	v_cmp_eq_u32_e64 s5, 0, v28
	v_xor_b32_e32 v4, v31, v4
	v_xor_b32_e32 v2, v30, v2
	v_add_co_ci_u32_e64 v28, null, s62, 0, s9
	v_cmp_le_i64_e64 s9, s[14:15], v[11:12]
	s_delay_alu instid0(VALU_DEP_4) | instskip(NEXT) | instid1(VALU_DEP_4)
	v_and_b32_e32 v4, 0x80000000, v4
	v_and_b32_e32 v2, 0x80000000, v2
	v_cndmask_b32_e64 v8, v24, v18, s3
	v_cndmask_b32_e64 v14, v20, v14, s5
	;; [unrolled: 1-line block ×4, first 2 shown]
	s_or_b32 s9, s9, s10
	v_xor_b32_e32 v4, v8, v4
	s_add_u32 s33, s33, s66
	v_add_co_u32 v11, s11, v11, s65
	s_addc_u32 s60, s60, 0
	s_add_u32 s61, s61, s66
	v_add_co_ci_u32_e64 v12, s11, 0, v12, s11
	s_addc_u32 s62, s62, 0
	v_cndmask_b32_e64 v8, 0x7ff80000, v4, s4
	v_cndmask_b32_e64 v13, v15, v25, s7
	;; [unrolled: 1-line block ×3, first 2 shown]
	v_xor_b32_e32 v16, v7, v1
	v_cndmask_b32_e64 v1, 0, v10, s2
	v_xor_b32_e32 v10, v14, v2
	v_cndmask_b32_e64 v7, 0, v5, s4
	;; [unrolled: 2-line block ×3, first 2 shown]
	v_cndmask_b32_e64 v3, 0, v13, s8
	v_cndmask_b32_e64 v6, 0x7ff80000, v10, s6
	;; [unrolled: 1-line block ×4, first 2 shown]
	s_and_b32 s2, exec_lo, s9
	s_clause 0x1
	global_store_b128 v[27:28], v[5:8], off
	global_store_b128 v[27:28], v[1:4], off offset:16
	s_or_b32 s64, s2, s64
	s_delay_alu instid0(SALU_CYCLE_1)
	s_and_not1_b32 exec_lo, exec_lo, s64
	s_cbranch_execz .LBB104_20
.LBB104_4:                              ; =>This Inner Loop Header: Depth=1
	v_add_co_u32 v5, s2, s33, v29
	s_delay_alu instid0(VALU_DEP_1)
	v_add_co_ci_u32_e64 v6, null, s60, 0, s2
	s_mov_b32 s3, exec_lo
                                        ; implicit-def: $vgpr30
                                        ; implicit-def: $vgpr13_vgpr14
                                        ; implicit-def: $vgpr15_vgpr16
	s_clause 0x1
	global_load_b128 v[1:4], v[5:6], off
	global_load_b128 v[5:8], v[5:6], off offset:16
	s_waitcnt vmcnt(1)
	v_cmpx_ngt_f64_e64 0x41d00000, |v[1:2]|
	s_xor_b32 s3, exec_lo, s3
	s_cbranch_execz .LBB104_6
; %bb.5:                                ;   in Loop: Header=BB104_4 Depth=1
	v_ldexp_f64 v[13:14], |v[1:2]|, 0xffffff80
	v_cmp_le_f64_e64 vcc_lo, 0x7b000000, |v[1:2]|
	v_trig_preop_f64 v[15:16], |v[1:2]|, 0
	v_and_b32_e32 v10, 0x7fffffff, v2
	v_trig_preop_f64 v[17:18], |v[1:2]|, 1
	v_trig_preop_f64 v[27:28], |v[1:2]|, 2
	s_mov_b32 s20, s22
	s_mov_b32 s27, s25
	v_dual_cndmask_b32 v13, v1, v13 :: v_dual_cndmask_b32 v14, v10, v14
	s_delay_alu instid0(VALU_DEP_1) | instskip(NEXT) | instid1(VALU_DEP_4)
	v_mul_f64 v[19:20], v[15:16], v[13:14]
	v_mul_f64 v[21:22], v[17:18], v[13:14]
	s_delay_alu instid0(VALU_DEP_2) | instskip(NEXT) | instid1(VALU_DEP_2)
	v_fma_f64 v[15:16], v[15:16], v[13:14], -v[19:20]
	v_fma_f64 v[17:18], v[17:18], v[13:14], -v[21:22]
	s_delay_alu instid0(VALU_DEP_2) | instskip(NEXT) | instid1(VALU_DEP_1)
	v_add_f64 v[23:24], v[21:22], v[15:16]
	v_add_f64 v[25:26], v[23:24], -v[21:22]
	v_add_f64 v[32:33], v[19:20], v[23:24]
	s_delay_alu instid0(VALU_DEP_2) | instskip(SKIP_1) | instid1(VALU_DEP_3)
	v_add_f64 v[30:31], v[23:24], -v[25:26]
	v_add_f64 v[15:16], v[15:16], -v[25:26]
	v_ldexp_f64 v[25:26], v[32:33], -2
	v_add_f64 v[19:20], v[32:33], -v[19:20]
	s_delay_alu instid0(VALU_DEP_4) | instskip(NEXT) | instid1(VALU_DEP_3)
	v_add_f64 v[21:22], v[21:22], -v[30:31]
	v_cmp_neq_f64_e64 vcc_lo, 0x7ff00000, |v[25:26]|
	s_delay_alu instid0(VALU_DEP_3) | instskip(NEXT) | instid1(VALU_DEP_3)
	v_add_f64 v[19:20], v[23:24], -v[19:20]
	v_add_f64 v[15:16], v[15:16], v[21:22]
	v_fract_f64_e32 v[21:22], v[25:26]
	s_delay_alu instid0(VALU_DEP_1) | instskip(SKIP_1) | instid1(VALU_DEP_3)
	v_cndmask_b32_e32 v21, 0, v21, vcc_lo
	v_mul_f64 v[34:35], v[27:28], v[13:14]
	v_cndmask_b32_e32 v22, 0, v22, vcc_lo
	s_delay_alu instid0(VALU_DEP_1) | instskip(NEXT) | instid1(VALU_DEP_3)
	v_ldexp_f64 v[21:22], v[21:22], 2
	v_add_f64 v[30:31], v[34:35], v[17:18]
	v_fma_f64 v[13:14], v[27:28], v[13:14], -v[34:35]
	s_delay_alu instid0(VALU_DEP_2) | instskip(NEXT) | instid1(VALU_DEP_1)
	v_add_f64 v[23:24], v[30:31], v[15:16]
	v_add_f64 v[25:26], v[19:20], v[23:24]
	v_add_f64 v[36:37], v[23:24], -v[30:31]
	s_delay_alu instid0(VALU_DEP_2) | instskip(NEXT) | instid1(VALU_DEP_2)
	v_add_f64 v[32:33], v[25:26], v[21:22]
	v_add_f64 v[42:43], v[23:24], -v[36:37]
	v_add_f64 v[15:16], v[15:16], -v[36:37]
	v_add_f64 v[19:20], v[25:26], -v[19:20]
	s_delay_alu instid0(VALU_DEP_4) | instskip(SKIP_1) | instid1(VALU_DEP_3)
	v_cmp_gt_f64_e32 vcc_lo, 0, v[32:33]
	v_add_f64 v[32:33], v[30:31], -v[34:35]
	v_add_f64 v[19:20], v[23:24], -v[19:20]
	v_cndmask_b32_e64 v10, 0, 0x40100000, vcc_lo
	s_delay_alu instid0(VALU_DEP_3) | instskip(SKIP_2) | instid1(VALU_DEP_4)
	v_add_f64 v[40:41], v[30:31], -v[32:33]
	v_add_f64 v[17:18], v[17:18], -v[32:33]
	v_add_f64 v[30:31], v[30:31], -v[42:43]
	v_add_f64 v[21:22], v[21:22], v[9:10]
	s_delay_alu instid0(VALU_DEP_4) | instskip(NEXT) | instid1(VALU_DEP_3)
	v_add_f64 v[32:33], v[34:35], -v[40:41]
	v_add_f64 v[15:16], v[15:16], v[30:31]
	s_delay_alu instid0(VALU_DEP_3) | instskip(NEXT) | instid1(VALU_DEP_3)
	v_add_f64 v[38:39], v[25:26], v[21:22]
	v_add_f64 v[17:18], v[17:18], v[32:33]
	s_delay_alu instid0(VALU_DEP_2) | instskip(NEXT) | instid1(VALU_DEP_2)
	v_cvt_i32_f64_e32 v10, v[38:39]
	v_add_f64 v[15:16], v[17:18], v[15:16]
	s_delay_alu instid0(VALU_DEP_2) | instskip(NEXT) | instid1(VALU_DEP_2)
	v_cvt_f64_i32_e32 v[36:37], v10
	v_add_f64 v[13:14], v[13:14], v[15:16]
	s_delay_alu instid0(VALU_DEP_2) | instskip(NEXT) | instid1(VALU_DEP_2)
	v_add_f64 v[21:22], v[21:22], -v[36:37]
	v_add_f64 v[13:14], v[19:20], v[13:14]
	s_delay_alu instid0(VALU_DEP_2) | instskip(NEXT) | instid1(VALU_DEP_1)
	v_add_f64 v[17:18], v[25:26], v[21:22]
	v_add_f64 v[15:16], v[17:18], -v[21:22]
	v_cmp_le_f64_e32 vcc_lo, 0.5, v[17:18]
	s_delay_alu instid0(VALU_DEP_2) | instskip(SKIP_2) | instid1(VALU_DEP_3)
	v_add_f64 v[15:16], v[25:26], -v[15:16]
	v_add_co_ci_u32_e64 v30, s2, 0, v10, vcc_lo
	v_cndmask_b32_e64 v10, 0, 0x3ff00000, vcc_lo
	v_add_f64 v[13:14], v[13:14], v[15:16]
	s_delay_alu instid0(VALU_DEP_2) | instskip(NEXT) | instid1(VALU_DEP_1)
	v_add_f64 v[15:16], v[17:18], -v[9:10]
	v_add_f64 v[17:18], v[15:16], v[13:14]
	s_delay_alu instid0(VALU_DEP_1) | instskip(SKIP_1) | instid1(VALU_DEP_2)
	v_mul_f64 v[19:20], v[17:18], s[20:21]
	v_add_f64 v[15:16], v[17:18], -v[15:16]
	v_fma_f64 v[21:22], v[17:18], s[20:21], -v[19:20]
	s_delay_alu instid0(VALU_DEP_2) | instskip(NEXT) | instid1(VALU_DEP_2)
	v_add_f64 v[13:14], v[13:14], -v[15:16]
	v_fma_f64 v[15:16], v[17:18], s[26:27], v[21:22]
	s_delay_alu instid0(VALU_DEP_1) | instskip(NEXT) | instid1(VALU_DEP_1)
	v_fma_f64 v[15:16], v[13:14], s[20:21], v[15:16]
	v_add_f64 v[13:14], v[19:20], v[15:16]
	s_delay_alu instid0(VALU_DEP_1) | instskip(NEXT) | instid1(VALU_DEP_1)
	v_add_f64 v[17:18], v[13:14], -v[19:20]
	v_add_f64 v[15:16], v[15:16], -v[17:18]
.LBB104_6:                              ;   in Loop: Header=BB104_4 Depth=1
	s_and_not1_saveexec_b32 s2, s3
	s_cbranch_execz .LBB104_8
; %bb.7:                                ;   in Loop: Header=BB104_4 Depth=1
	v_mul_f64 v[13:14], |v[1:2]|, s[28:29]
	s_mov_b32 s24, s30
	s_delay_alu instid0(VALU_DEP_1) | instskip(NEXT) | instid1(VALU_DEP_1)
	v_rndne_f64_e32 v[17:18], v[13:14]
	v_fma_f64 v[13:14], v[17:18], s[22:23], |v[1:2]|
	v_mul_f64 v[15:16], v[17:18], s[30:31]
	v_cvt_i32_f64_e32 v30, v[17:18]
	s_delay_alu instid0(VALU_DEP_3) | instskip(NEXT) | instid1(VALU_DEP_3)
	v_fma_f64 v[21:22], v[17:18], s[30:31], v[13:14]
	v_add_f64 v[19:20], v[13:14], v[15:16]
	s_delay_alu instid0(VALU_DEP_1) | instskip(NEXT) | instid1(VALU_DEP_3)
	v_add_f64 v[13:14], v[13:14], -v[19:20]
	v_add_f64 v[19:20], v[19:20], -v[21:22]
	s_delay_alu instid0(VALU_DEP_2) | instskip(SKIP_1) | instid1(VALU_DEP_2)
	v_add_f64 v[13:14], v[13:14], v[15:16]
	v_fma_f64 v[15:16], v[17:18], s[24:25], v[15:16]
	v_add_f64 v[13:14], v[19:20], v[13:14]
	s_delay_alu instid0(VALU_DEP_1) | instskip(NEXT) | instid1(VALU_DEP_1)
	v_add_f64 v[13:14], v[13:14], -v[15:16]
	v_fma_f64 v[15:16], v[17:18], s[34:35], v[13:14]
	s_delay_alu instid0(VALU_DEP_1) | instskip(NEXT) | instid1(VALU_DEP_1)
	v_add_f64 v[13:14], v[21:22], v[15:16]
	v_add_f64 v[19:20], v[13:14], -v[21:22]
	s_delay_alu instid0(VALU_DEP_1)
	v_add_f64 v[15:16], v[15:16], -v[19:20]
.LBB104_8:                              ;   in Loop: Header=BB104_4 Depth=1
	s_or_b32 exec_lo, exec_lo, s2
	s_delay_alu instid0(SALU_CYCLE_1)
	s_mov_b32 s3, exec_lo
                                        ; implicit-def: $vgpr31
                                        ; implicit-def: $vgpr17_vgpr18
                                        ; implicit-def: $vgpr19_vgpr20
	v_cmpx_ngt_f64_e64 0x41d00000, |v[3:4]|
	s_xor_b32 s3, exec_lo, s3
	s_cbranch_execz .LBB104_10
; %bb.9:                                ;   in Loop: Header=BB104_4 Depth=1
	v_ldexp_f64 v[17:18], |v[3:4]|, 0xffffff80
	v_cmp_le_f64_e64 vcc_lo, 0x7b000000, |v[3:4]|
	v_trig_preop_f64 v[19:20], |v[3:4]|, 0
	v_and_b32_e32 v10, 0x7fffffff, v4
	v_trig_preop_f64 v[21:22], |v[3:4]|, 1
	v_trig_preop_f64 v[33:34], |v[3:4]|, 2
	s_mov_b32 s20, s22
	s_mov_b32 s27, s25
	v_dual_cndmask_b32 v17, v3, v17 :: v_dual_cndmask_b32 v18, v10, v18
	s_delay_alu instid0(VALU_DEP_1) | instskip(NEXT) | instid1(VALU_DEP_4)
	v_mul_f64 v[23:24], v[19:20], v[17:18]
	v_mul_f64 v[25:26], v[21:22], v[17:18]
	s_delay_alu instid0(VALU_DEP_2) | instskip(NEXT) | instid1(VALU_DEP_2)
	v_fma_f64 v[19:20], v[19:20], v[17:18], -v[23:24]
	v_fma_f64 v[21:22], v[21:22], v[17:18], -v[25:26]
	s_delay_alu instid0(VALU_DEP_2) | instskip(NEXT) | instid1(VALU_DEP_1)
	v_add_f64 v[27:28], v[25:26], v[19:20]
	v_add_f64 v[31:32], v[27:28], -v[25:26]
	v_add_f64 v[37:38], v[23:24], v[27:28]
	s_delay_alu instid0(VALU_DEP_2) | instskip(SKIP_1) | instid1(VALU_DEP_3)
	v_add_f64 v[35:36], v[27:28], -v[31:32]
	v_add_f64 v[19:20], v[19:20], -v[31:32]
	v_ldexp_f64 v[31:32], v[37:38], -2
	v_add_f64 v[23:24], v[37:38], -v[23:24]
	s_delay_alu instid0(VALU_DEP_4) | instskip(NEXT) | instid1(VALU_DEP_3)
	v_add_f64 v[25:26], v[25:26], -v[35:36]
	v_cmp_neq_f64_e64 vcc_lo, 0x7ff00000, |v[31:32]|
	s_delay_alu instid0(VALU_DEP_3) | instskip(NEXT) | instid1(VALU_DEP_3)
	v_add_f64 v[23:24], v[27:28], -v[23:24]
	v_add_f64 v[19:20], v[19:20], v[25:26]
	v_fract_f64_e32 v[25:26], v[31:32]
	s_delay_alu instid0(VALU_DEP_1) | instskip(SKIP_1) | instid1(VALU_DEP_3)
	v_cndmask_b32_e32 v25, 0, v25, vcc_lo
	v_mul_f64 v[39:40], v[33:34], v[17:18]
	v_cndmask_b32_e32 v26, 0, v26, vcc_lo
	s_delay_alu instid0(VALU_DEP_1) | instskip(NEXT) | instid1(VALU_DEP_3)
	v_ldexp_f64 v[25:26], v[25:26], 2
	v_add_f64 v[35:36], v[39:40], v[21:22]
	v_fma_f64 v[17:18], v[33:34], v[17:18], -v[39:40]
	s_delay_alu instid0(VALU_DEP_2) | instskip(NEXT) | instid1(VALU_DEP_1)
	v_add_f64 v[27:28], v[35:36], v[19:20]
	v_add_f64 v[31:32], v[23:24], v[27:28]
	v_add_f64 v[41:42], v[27:28], -v[35:36]
	s_delay_alu instid0(VALU_DEP_2) | instskip(NEXT) | instid1(VALU_DEP_2)
	v_add_f64 v[37:38], v[31:32], v[25:26]
	v_add_f64 v[47:48], v[27:28], -v[41:42]
	v_add_f64 v[19:20], v[19:20], -v[41:42]
	;; [unrolled: 1-line block ×3, first 2 shown]
	s_delay_alu instid0(VALU_DEP_4) | instskip(SKIP_1) | instid1(VALU_DEP_3)
	v_cmp_gt_f64_e32 vcc_lo, 0, v[37:38]
	v_add_f64 v[37:38], v[35:36], -v[39:40]
	v_add_f64 v[23:24], v[27:28], -v[23:24]
	v_cndmask_b32_e64 v10, 0, 0x40100000, vcc_lo
	s_delay_alu instid0(VALU_DEP_3) | instskip(SKIP_2) | instid1(VALU_DEP_4)
	v_add_f64 v[45:46], v[35:36], -v[37:38]
	v_add_f64 v[21:22], v[21:22], -v[37:38]
	;; [unrolled: 1-line block ×3, first 2 shown]
	v_add_f64 v[25:26], v[25:26], v[9:10]
	s_delay_alu instid0(VALU_DEP_4) | instskip(NEXT) | instid1(VALU_DEP_3)
	v_add_f64 v[37:38], v[39:40], -v[45:46]
	v_add_f64 v[19:20], v[19:20], v[35:36]
	s_delay_alu instid0(VALU_DEP_3) | instskip(NEXT) | instid1(VALU_DEP_3)
	v_add_f64 v[43:44], v[31:32], v[25:26]
	v_add_f64 v[21:22], v[21:22], v[37:38]
	s_delay_alu instid0(VALU_DEP_2) | instskip(NEXT) | instid1(VALU_DEP_2)
	v_cvt_i32_f64_e32 v10, v[43:44]
	v_add_f64 v[19:20], v[21:22], v[19:20]
	s_delay_alu instid0(VALU_DEP_2) | instskip(NEXT) | instid1(VALU_DEP_2)
	v_cvt_f64_i32_e32 v[41:42], v10
	v_add_f64 v[17:18], v[17:18], v[19:20]
	s_delay_alu instid0(VALU_DEP_2) | instskip(NEXT) | instid1(VALU_DEP_2)
	v_add_f64 v[25:26], v[25:26], -v[41:42]
	v_add_f64 v[17:18], v[23:24], v[17:18]
	s_delay_alu instid0(VALU_DEP_2) | instskip(NEXT) | instid1(VALU_DEP_1)
	v_add_f64 v[21:22], v[31:32], v[25:26]
	v_add_f64 v[19:20], v[21:22], -v[25:26]
	v_cmp_le_f64_e32 vcc_lo, 0.5, v[21:22]
	s_delay_alu instid0(VALU_DEP_2) | instskip(SKIP_2) | instid1(VALU_DEP_3)
	v_add_f64 v[19:20], v[31:32], -v[19:20]
	v_add_co_ci_u32_e64 v31, s2, 0, v10, vcc_lo
	v_cndmask_b32_e64 v10, 0, 0x3ff00000, vcc_lo
	v_add_f64 v[17:18], v[17:18], v[19:20]
	s_delay_alu instid0(VALU_DEP_2) | instskip(NEXT) | instid1(VALU_DEP_1)
	v_add_f64 v[19:20], v[21:22], -v[9:10]
	v_add_f64 v[21:22], v[19:20], v[17:18]
	s_delay_alu instid0(VALU_DEP_1) | instskip(SKIP_1) | instid1(VALU_DEP_2)
	v_mul_f64 v[23:24], v[21:22], s[20:21]
	v_add_f64 v[19:20], v[21:22], -v[19:20]
	v_fma_f64 v[25:26], v[21:22], s[20:21], -v[23:24]
	s_delay_alu instid0(VALU_DEP_2) | instskip(NEXT) | instid1(VALU_DEP_2)
	v_add_f64 v[17:18], v[17:18], -v[19:20]
	v_fma_f64 v[19:20], v[21:22], s[26:27], v[25:26]
	s_delay_alu instid0(VALU_DEP_1) | instskip(NEXT) | instid1(VALU_DEP_1)
	v_fma_f64 v[19:20], v[17:18], s[20:21], v[19:20]
	v_add_f64 v[17:18], v[23:24], v[19:20]
	s_delay_alu instid0(VALU_DEP_1) | instskip(NEXT) | instid1(VALU_DEP_1)
	v_add_f64 v[21:22], v[17:18], -v[23:24]
	v_add_f64 v[19:20], v[19:20], -v[21:22]
.LBB104_10:                             ;   in Loop: Header=BB104_4 Depth=1
	s_and_not1_saveexec_b32 s2, s3
	s_cbranch_execz .LBB104_12
; %bb.11:                               ;   in Loop: Header=BB104_4 Depth=1
	v_mul_f64 v[17:18], |v[3:4]|, s[28:29]
	s_mov_b32 s24, s30
	s_delay_alu instid0(VALU_DEP_1) | instskip(NEXT) | instid1(VALU_DEP_1)
	v_rndne_f64_e32 v[21:22], v[17:18]
	v_fma_f64 v[17:18], v[21:22], s[22:23], |v[3:4]|
	v_mul_f64 v[19:20], v[21:22], s[30:31]
	v_cvt_i32_f64_e32 v31, v[21:22]
	s_delay_alu instid0(VALU_DEP_3) | instskip(NEXT) | instid1(VALU_DEP_3)
	v_fma_f64 v[25:26], v[21:22], s[30:31], v[17:18]
	v_add_f64 v[23:24], v[17:18], v[19:20]
	s_delay_alu instid0(VALU_DEP_1) | instskip(NEXT) | instid1(VALU_DEP_3)
	v_add_f64 v[17:18], v[17:18], -v[23:24]
	v_add_f64 v[23:24], v[23:24], -v[25:26]
	s_delay_alu instid0(VALU_DEP_2) | instskip(SKIP_1) | instid1(VALU_DEP_2)
	v_add_f64 v[17:18], v[17:18], v[19:20]
	v_fma_f64 v[19:20], v[21:22], s[24:25], v[19:20]
	v_add_f64 v[17:18], v[23:24], v[17:18]
	s_delay_alu instid0(VALU_DEP_1) | instskip(NEXT) | instid1(VALU_DEP_1)
	v_add_f64 v[17:18], v[17:18], -v[19:20]
	v_fma_f64 v[19:20], v[21:22], s[34:35], v[17:18]
	s_delay_alu instid0(VALU_DEP_1) | instskip(NEXT) | instid1(VALU_DEP_1)
	v_add_f64 v[17:18], v[25:26], v[19:20]
	v_add_f64 v[23:24], v[17:18], -v[25:26]
	s_delay_alu instid0(VALU_DEP_1)
	v_add_f64 v[19:20], v[19:20], -v[23:24]
.LBB104_12:                             ;   in Loop: Header=BB104_4 Depth=1
	s_or_b32 exec_lo, exec_lo, s2
	s_delay_alu instid0(SALU_CYCLE_1)
	s_mov_b32 s3, exec_lo
                                        ; implicit-def: $vgpr32
                                        ; implicit-def: $vgpr21_vgpr22
                                        ; implicit-def: $vgpr23_vgpr24
	s_waitcnt vmcnt(0)
	v_cmpx_ngt_f64_e64 0x41d00000, |v[5:6]|
	s_xor_b32 s3, exec_lo, s3
	s_cbranch_execz .LBB104_14
; %bb.13:                               ;   in Loop: Header=BB104_4 Depth=1
	v_ldexp_f64 v[21:22], |v[5:6]|, 0xffffff80
	v_cmp_le_f64_e64 vcc_lo, 0x7b000000, |v[5:6]|
	v_trig_preop_f64 v[23:24], |v[5:6]|, 0
	v_and_b32_e32 v10, 0x7fffffff, v6
	v_trig_preop_f64 v[25:26], |v[5:6]|, 1
	v_trig_preop_f64 v[38:39], |v[5:6]|, 2
	s_mov_b32 s20, s22
	s_mov_b32 s27, s25
	v_dual_cndmask_b32 v21, v5, v21 :: v_dual_cndmask_b32 v22, v10, v22
	s_delay_alu instid0(VALU_DEP_1) | instskip(NEXT) | instid1(VALU_DEP_4)
	v_mul_f64 v[27:28], v[23:24], v[21:22]
	v_mul_f64 v[32:33], v[25:26], v[21:22]
	s_delay_alu instid0(VALU_DEP_2) | instskip(NEXT) | instid1(VALU_DEP_2)
	v_fma_f64 v[23:24], v[23:24], v[21:22], -v[27:28]
	v_fma_f64 v[25:26], v[25:26], v[21:22], -v[32:33]
	s_delay_alu instid0(VALU_DEP_2) | instskip(NEXT) | instid1(VALU_DEP_1)
	v_add_f64 v[34:35], v[32:33], v[23:24]
	v_add_f64 v[36:37], v[34:35], -v[32:33]
	v_add_f64 v[42:43], v[27:28], v[34:35]
	s_delay_alu instid0(VALU_DEP_2) | instskip(SKIP_1) | instid1(VALU_DEP_3)
	v_add_f64 v[40:41], v[34:35], -v[36:37]
	v_add_f64 v[23:24], v[23:24], -v[36:37]
	v_ldexp_f64 v[36:37], v[42:43], -2
	v_add_f64 v[27:28], v[42:43], -v[27:28]
	s_delay_alu instid0(VALU_DEP_4) | instskip(NEXT) | instid1(VALU_DEP_3)
	v_add_f64 v[32:33], v[32:33], -v[40:41]
	v_cmp_neq_f64_e64 vcc_lo, 0x7ff00000, |v[36:37]|
	s_delay_alu instid0(VALU_DEP_3) | instskip(NEXT) | instid1(VALU_DEP_3)
	v_add_f64 v[27:28], v[34:35], -v[27:28]
	v_add_f64 v[23:24], v[23:24], v[32:33]
	v_fract_f64_e32 v[32:33], v[36:37]
	s_delay_alu instid0(VALU_DEP_1) | instskip(SKIP_1) | instid1(VALU_DEP_3)
	v_cndmask_b32_e32 v33, 0, v33, vcc_lo
	v_mul_f64 v[44:45], v[38:39], v[21:22]
	v_cndmask_b32_e32 v32, 0, v32, vcc_lo
	s_delay_alu instid0(VALU_DEP_1) | instskip(NEXT) | instid1(VALU_DEP_3)
	v_ldexp_f64 v[32:33], v[32:33], 2
	v_add_f64 v[40:41], v[44:45], v[25:26]
	v_fma_f64 v[21:22], v[38:39], v[21:22], -v[44:45]
	s_delay_alu instid0(VALU_DEP_2) | instskip(NEXT) | instid1(VALU_DEP_1)
	v_add_f64 v[34:35], v[40:41], v[23:24]
	v_add_f64 v[36:37], v[27:28], v[34:35]
	v_add_f64 v[46:47], v[34:35], -v[40:41]
	s_delay_alu instid0(VALU_DEP_2) | instskip(NEXT) | instid1(VALU_DEP_2)
	v_add_f64 v[42:43], v[36:37], v[32:33]
	v_add_f64 v[52:53], v[34:35], -v[46:47]
	v_add_f64 v[23:24], v[23:24], -v[46:47]
	;; [unrolled: 1-line block ×3, first 2 shown]
	s_delay_alu instid0(VALU_DEP_4) | instskip(SKIP_1) | instid1(VALU_DEP_3)
	v_cmp_gt_f64_e32 vcc_lo, 0, v[42:43]
	v_add_f64 v[42:43], v[40:41], -v[44:45]
	v_add_f64 v[27:28], v[34:35], -v[27:28]
	v_cndmask_b32_e64 v10, 0, 0x40100000, vcc_lo
	s_delay_alu instid0(VALU_DEP_3) | instskip(SKIP_2) | instid1(VALU_DEP_4)
	v_add_f64 v[50:51], v[40:41], -v[42:43]
	v_add_f64 v[25:26], v[25:26], -v[42:43]
	;; [unrolled: 1-line block ×3, first 2 shown]
	v_add_f64 v[32:33], v[32:33], v[9:10]
	s_delay_alu instid0(VALU_DEP_4) | instskip(NEXT) | instid1(VALU_DEP_3)
	v_add_f64 v[42:43], v[44:45], -v[50:51]
	v_add_f64 v[23:24], v[23:24], v[40:41]
	s_delay_alu instid0(VALU_DEP_3) | instskip(NEXT) | instid1(VALU_DEP_3)
	v_add_f64 v[48:49], v[36:37], v[32:33]
	v_add_f64 v[25:26], v[25:26], v[42:43]
	s_delay_alu instid0(VALU_DEP_2) | instskip(NEXT) | instid1(VALU_DEP_2)
	v_cvt_i32_f64_e32 v10, v[48:49]
	v_add_f64 v[23:24], v[25:26], v[23:24]
	s_delay_alu instid0(VALU_DEP_2) | instskip(NEXT) | instid1(VALU_DEP_2)
	v_cvt_f64_i32_e32 v[46:47], v10
	v_add_f64 v[21:22], v[21:22], v[23:24]
	s_delay_alu instid0(VALU_DEP_2) | instskip(NEXT) | instid1(VALU_DEP_2)
	v_add_f64 v[32:33], v[32:33], -v[46:47]
	v_add_f64 v[21:22], v[27:28], v[21:22]
	s_delay_alu instid0(VALU_DEP_2) | instskip(NEXT) | instid1(VALU_DEP_1)
	v_add_f64 v[25:26], v[36:37], v[32:33]
	v_add_f64 v[23:24], v[25:26], -v[32:33]
	v_cmp_le_f64_e32 vcc_lo, 0.5, v[25:26]
	s_delay_alu instid0(VALU_DEP_2) | instskip(SKIP_2) | instid1(VALU_DEP_3)
	v_add_f64 v[23:24], v[36:37], -v[23:24]
	v_add_co_ci_u32_e64 v32, s2, 0, v10, vcc_lo
	v_cndmask_b32_e64 v10, 0, 0x3ff00000, vcc_lo
	v_add_f64 v[21:22], v[21:22], v[23:24]
	s_delay_alu instid0(VALU_DEP_2) | instskip(NEXT) | instid1(VALU_DEP_1)
	v_add_f64 v[23:24], v[25:26], -v[9:10]
	v_add_f64 v[25:26], v[23:24], v[21:22]
	s_delay_alu instid0(VALU_DEP_1) | instskip(SKIP_1) | instid1(VALU_DEP_2)
	v_mul_f64 v[27:28], v[25:26], s[20:21]
	v_add_f64 v[23:24], v[25:26], -v[23:24]
	v_fma_f64 v[33:34], v[25:26], s[20:21], -v[27:28]
	s_delay_alu instid0(VALU_DEP_2) | instskip(NEXT) | instid1(VALU_DEP_2)
	v_add_f64 v[21:22], v[21:22], -v[23:24]
	v_fma_f64 v[23:24], v[25:26], s[26:27], v[33:34]
	s_delay_alu instid0(VALU_DEP_1) | instskip(NEXT) | instid1(VALU_DEP_1)
	v_fma_f64 v[23:24], v[21:22], s[20:21], v[23:24]
	v_add_f64 v[21:22], v[27:28], v[23:24]
	s_delay_alu instid0(VALU_DEP_1) | instskip(NEXT) | instid1(VALU_DEP_1)
	v_add_f64 v[25:26], v[21:22], -v[27:28]
	v_add_f64 v[23:24], v[23:24], -v[25:26]
.LBB104_14:                             ;   in Loop: Header=BB104_4 Depth=1
	s_and_not1_saveexec_b32 s2, s3
	s_cbranch_execz .LBB104_16
; %bb.15:                               ;   in Loop: Header=BB104_4 Depth=1
	v_mul_f64 v[21:22], |v[5:6]|, s[28:29]
	s_mov_b32 s24, s30
	s_delay_alu instid0(VALU_DEP_1) | instskip(NEXT) | instid1(VALU_DEP_1)
	v_rndne_f64_e32 v[25:26], v[21:22]
	v_fma_f64 v[21:22], v[25:26], s[22:23], |v[5:6]|
	v_mul_f64 v[23:24], v[25:26], s[30:31]
	s_delay_alu instid0(VALU_DEP_2) | instskip(NEXT) | instid1(VALU_DEP_2)
	v_fma_f64 v[32:33], v[25:26], s[30:31], v[21:22]
	v_add_f64 v[27:28], v[21:22], v[23:24]
	s_delay_alu instid0(VALU_DEP_1) | instskip(NEXT) | instid1(VALU_DEP_3)
	v_add_f64 v[21:22], v[21:22], -v[27:28]
	v_add_f64 v[27:28], v[27:28], -v[32:33]
	s_delay_alu instid0(VALU_DEP_2) | instskip(SKIP_1) | instid1(VALU_DEP_2)
	v_add_f64 v[21:22], v[21:22], v[23:24]
	v_fma_f64 v[23:24], v[25:26], s[24:25], v[23:24]
	v_add_f64 v[21:22], v[27:28], v[21:22]
	s_delay_alu instid0(VALU_DEP_1) | instskip(NEXT) | instid1(VALU_DEP_1)
	v_add_f64 v[21:22], v[21:22], -v[23:24]
	v_fma_f64 v[23:24], v[25:26], s[34:35], v[21:22]
	s_delay_alu instid0(VALU_DEP_1) | instskip(NEXT) | instid1(VALU_DEP_1)
	v_add_f64 v[21:22], v[32:33], v[23:24]
	v_add_f64 v[27:28], v[21:22], -v[32:33]
	v_cvt_i32_f64_e32 v32, v[25:26]
	s_delay_alu instid0(VALU_DEP_2)
	v_add_f64 v[23:24], v[23:24], -v[27:28]
.LBB104_16:                             ;   in Loop: Header=BB104_4 Depth=1
	s_or_b32 exec_lo, exec_lo, s2
	s_delay_alu instid0(SALU_CYCLE_1)
	s_mov_b32 s3, exec_lo
                                        ; implicit-def: $vgpr33
                                        ; implicit-def: $vgpr25_vgpr26
                                        ; implicit-def: $vgpr27_vgpr28
	v_cmpx_ngt_f64_e64 0x41d00000, |v[7:8]|
	s_xor_b32 s3, exec_lo, s3
	s_cbranch_execz .LBB104_18
; %bb.17:                               ;   in Loop: Header=BB104_4 Depth=1
	v_ldexp_f64 v[25:26], |v[7:8]|, 0xffffff80
	v_cmp_le_f64_e64 vcc_lo, 0x7b000000, |v[7:8]|
	v_trig_preop_f64 v[27:28], |v[7:8]|, 0
	v_and_b32_e32 v10, 0x7fffffff, v8
	v_trig_preop_f64 v[33:34], |v[7:8]|, 1
	v_trig_preop_f64 v[43:44], |v[7:8]|, 2
	s_mov_b32 s20, s22
	s_mov_b32 s27, s25
	v_dual_cndmask_b32 v25, v7, v25 :: v_dual_cndmask_b32 v26, v10, v26
	s_delay_alu instid0(VALU_DEP_1) | instskip(NEXT) | instid1(VALU_DEP_4)
	v_mul_f64 v[35:36], v[27:28], v[25:26]
	v_mul_f64 v[37:38], v[33:34], v[25:26]
	s_delay_alu instid0(VALU_DEP_2) | instskip(NEXT) | instid1(VALU_DEP_2)
	v_fma_f64 v[27:28], v[27:28], v[25:26], -v[35:36]
	v_fma_f64 v[33:34], v[33:34], v[25:26], -v[37:38]
	s_delay_alu instid0(VALU_DEP_2) | instskip(NEXT) | instid1(VALU_DEP_1)
	v_add_f64 v[39:40], v[37:38], v[27:28]
	v_add_f64 v[41:42], v[39:40], -v[37:38]
	v_add_f64 v[47:48], v[35:36], v[39:40]
	s_delay_alu instid0(VALU_DEP_2) | instskip(SKIP_1) | instid1(VALU_DEP_3)
	v_add_f64 v[45:46], v[39:40], -v[41:42]
	v_add_f64 v[27:28], v[27:28], -v[41:42]
	v_ldexp_f64 v[41:42], v[47:48], -2
	v_add_f64 v[35:36], v[47:48], -v[35:36]
	s_delay_alu instid0(VALU_DEP_4) | instskip(NEXT) | instid1(VALU_DEP_3)
	v_add_f64 v[37:38], v[37:38], -v[45:46]
	v_cmp_neq_f64_e64 vcc_lo, 0x7ff00000, |v[41:42]|
	s_delay_alu instid0(VALU_DEP_3) | instskip(NEXT) | instid1(VALU_DEP_3)
	v_add_f64 v[35:36], v[39:40], -v[35:36]
	v_add_f64 v[27:28], v[27:28], v[37:38]
	v_fract_f64_e32 v[37:38], v[41:42]
	s_delay_alu instid0(VALU_DEP_1) | instskip(SKIP_1) | instid1(VALU_DEP_3)
	v_cndmask_b32_e32 v37, 0, v37, vcc_lo
	v_mul_f64 v[49:50], v[43:44], v[25:26]
	v_cndmask_b32_e32 v38, 0, v38, vcc_lo
	s_delay_alu instid0(VALU_DEP_1) | instskip(NEXT) | instid1(VALU_DEP_3)
	v_ldexp_f64 v[37:38], v[37:38], 2
	v_add_f64 v[45:46], v[49:50], v[33:34]
	v_fma_f64 v[25:26], v[43:44], v[25:26], -v[49:50]
	s_delay_alu instid0(VALU_DEP_2) | instskip(NEXT) | instid1(VALU_DEP_1)
	v_add_f64 v[39:40], v[45:46], v[27:28]
	v_add_f64 v[41:42], v[35:36], v[39:40]
	v_add_f64 v[51:52], v[39:40], -v[45:46]
	s_delay_alu instid0(VALU_DEP_2) | instskip(NEXT) | instid1(VALU_DEP_2)
	v_add_f64 v[47:48], v[41:42], v[37:38]
	v_add_f64 v[57:58], v[39:40], -v[51:52]
	v_add_f64 v[27:28], v[27:28], -v[51:52]
	;; [unrolled: 1-line block ×3, first 2 shown]
	s_delay_alu instid0(VALU_DEP_4) | instskip(SKIP_2) | instid1(VALU_DEP_2)
	v_cmp_gt_f64_e32 vcc_lo, 0, v[47:48]
	v_add_f64 v[47:48], v[45:46], -v[49:50]
	v_cndmask_b32_e64 v10, 0, 0x40100000, vcc_lo
	v_add_f64 v[55:56], v[45:46], -v[47:48]
	v_add_f64 v[33:34], v[33:34], -v[47:48]
	;; [unrolled: 1-line block ×3, first 2 shown]
	s_delay_alu instid0(VALU_DEP_4) | instskip(NEXT) | instid1(VALU_DEP_4)
	v_add_f64 v[37:38], v[37:38], v[9:10]
	v_add_f64 v[47:48], v[49:50], -v[55:56]
	s_delay_alu instid0(VALU_DEP_3) | instskip(NEXT) | instid1(VALU_DEP_3)
	v_add_f64 v[27:28], v[27:28], v[45:46]
	v_add_f64 v[53:54], v[41:42], v[37:38]
	s_delay_alu instid0(VALU_DEP_3) | instskip(NEXT) | instid1(VALU_DEP_2)
	v_add_f64 v[33:34], v[33:34], v[47:48]
	v_cvt_i32_f64_e32 v10, v[53:54]
	s_delay_alu instid0(VALU_DEP_2) | instskip(SKIP_1) | instid1(VALU_DEP_3)
	v_add_f64 v[27:28], v[33:34], v[27:28]
	v_add_f64 v[33:34], v[39:40], -v[35:36]
	v_cvt_f64_i32_e32 v[51:52], v10
	s_delay_alu instid0(VALU_DEP_3) | instskip(NEXT) | instid1(VALU_DEP_2)
	v_add_f64 v[25:26], v[25:26], v[27:28]
	v_add_f64 v[37:38], v[37:38], -v[51:52]
	s_delay_alu instid0(VALU_DEP_2) | instskip(NEXT) | instid1(VALU_DEP_2)
	v_add_f64 v[25:26], v[33:34], v[25:26]
	v_add_f64 v[43:44], v[41:42], v[37:38]
	s_delay_alu instid0(VALU_DEP_1) | instskip(SKIP_1) | instid1(VALU_DEP_2)
	v_add_f64 v[27:28], v[43:44], -v[37:38]
	v_cmp_le_f64_e32 vcc_lo, 0.5, v[43:44]
	v_add_f64 v[27:28], v[41:42], -v[27:28]
	v_add_co_ci_u32_e64 v33, s2, 0, v10, vcc_lo
	v_cndmask_b32_e64 v10, 0, 0x3ff00000, vcc_lo
	s_delay_alu instid0(VALU_DEP_3) | instskip(NEXT) | instid1(VALU_DEP_2)
	v_add_f64 v[25:26], v[25:26], v[27:28]
	v_add_f64 v[27:28], v[43:44], -v[9:10]
	s_delay_alu instid0(VALU_DEP_1) | instskip(NEXT) | instid1(VALU_DEP_1)
	v_add_f64 v[34:35], v[27:28], v[25:26]
	v_mul_f64 v[36:37], v[34:35], s[20:21]
	v_add_f64 v[27:28], v[34:35], -v[27:28]
	s_delay_alu instid0(VALU_DEP_2) | instskip(NEXT) | instid1(VALU_DEP_2)
	v_fma_f64 v[38:39], v[34:35], s[20:21], -v[36:37]
	v_add_f64 v[25:26], v[25:26], -v[27:28]
	s_delay_alu instid0(VALU_DEP_2) | instskip(NEXT) | instid1(VALU_DEP_1)
	v_fma_f64 v[27:28], v[34:35], s[26:27], v[38:39]
	v_fma_f64 v[27:28], v[25:26], s[20:21], v[27:28]
	s_delay_alu instid0(VALU_DEP_1) | instskip(NEXT) | instid1(VALU_DEP_1)
	v_add_f64 v[25:26], v[36:37], v[27:28]
	v_add_f64 v[34:35], v[25:26], -v[36:37]
	s_delay_alu instid0(VALU_DEP_1)
	v_add_f64 v[27:28], v[27:28], -v[34:35]
.LBB104_18:                             ;   in Loop: Header=BB104_4 Depth=1
	s_and_not1_saveexec_b32 s2, s3
	s_cbranch_execz .LBB104_3
; %bb.19:                               ;   in Loop: Header=BB104_4 Depth=1
	v_mul_f64 v[25:26], |v[7:8]|, s[28:29]
	s_mov_b32 s24, s30
	s_delay_alu instid0(VALU_DEP_1) | instskip(NEXT) | instid1(VALU_DEP_1)
	v_rndne_f64_e32 v[33:34], v[25:26]
	v_fma_f64 v[25:26], v[33:34], s[22:23], |v[7:8]|
	v_mul_f64 v[27:28], v[33:34], s[30:31]
	s_delay_alu instid0(VALU_DEP_2) | instskip(NEXT) | instid1(VALU_DEP_2)
	v_fma_f64 v[37:38], v[33:34], s[30:31], v[25:26]
	v_add_f64 v[35:36], v[25:26], v[27:28]
	s_delay_alu instid0(VALU_DEP_1) | instskip(NEXT) | instid1(VALU_DEP_3)
	v_add_f64 v[25:26], v[25:26], -v[35:36]
	v_add_f64 v[35:36], v[35:36], -v[37:38]
	s_delay_alu instid0(VALU_DEP_2) | instskip(SKIP_1) | instid1(VALU_DEP_2)
	v_add_f64 v[25:26], v[25:26], v[27:28]
	v_fma_f64 v[27:28], v[33:34], s[24:25], v[27:28]
	v_add_f64 v[25:26], v[35:36], v[25:26]
	s_delay_alu instid0(VALU_DEP_1) | instskip(NEXT) | instid1(VALU_DEP_1)
	v_add_f64 v[25:26], v[25:26], -v[27:28]
	v_fma_f64 v[27:28], v[33:34], s[34:35], v[25:26]
	v_cvt_i32_f64_e32 v33, v[33:34]
	s_delay_alu instid0(VALU_DEP_2) | instskip(NEXT) | instid1(VALU_DEP_1)
	v_add_f64 v[25:26], v[37:38], v[27:28]
	v_add_f64 v[35:36], v[25:26], -v[37:38]
	s_delay_alu instid0(VALU_DEP_1)
	v_add_f64 v[27:28], v[27:28], -v[35:36]
	s_branch .LBB104_3
.LBB104_20:
	s_or_b32 exec_lo, exec_lo, s63
	s_mov_b32 s2, 0
.LBB104_21:
	s_delay_alu instid0(SALU_CYCLE_1)
	s_and_not1_b32 vcc_lo, exec_lo, s2
	s_cbranch_vccnz .LBB104_57
; %bb.22:
	v_cmp_lt_i64_e64 s2, s[14:15], 1
	s_delay_alu instid0(VALU_DEP_1)
	s_and_b32 vcc_lo, exec_lo, s2
	s_cbranch_vccnz .LBB104_57
; %bb.23:
	s_load_b32 s0, s[0:1], 0xc5c
	v_dual_mov_b32 v1, 0 :: v_dual_lshlrev_b32 v2, 3, v0
	v_cmp_gt_u64_e64 s1, 0x10000, s[14:15]
	s_mov_b32 s10, 0x54442d18
	s_mov_b32 s20, 0x252049c0
	s_delay_alu instid0(VALU_DEP_2) | instskip(SKIP_1) | instid1(VALU_DEP_1)
	v_mov_b32_e32 v3, v1
	v_add_co_u32 v27, s2, s16, v2
	v_add_co_ci_u32_e64 v28, null, s17, 0, s2
	v_add_co_u32 v29, s2, s18, v2
	s_delay_alu instid0(VALU_DEP_1)
	v_add_co_ci_u32_e64 v30, null, s19, 0, s2
	s_mov_b32 s22, 0x9037ab78
	s_mov_b32 s24, 0x46cc5e42
	;; [unrolled: 1-line block ×5, first 2 shown]
	s_waitcnt lgkmcnt(0)
	s_and_b32 s0, s0, 0xffff
	s_and_b32 s1, s1, exec_lo
	v_mad_u64_u32 v[4:5], null, s0, 24, v[2:3]
	s_cselect_b32 s7, s15, 0
	s_cselect_b32 s6, s14, 0x10000
	s_lshl_b32 s3, s0, 4
	s_lshl_b32 s1, s0, 1
	v_add_co_u32 v2, s3, s3, v2
	s_delay_alu instid0(VALU_DEP_2) | instskip(NEXT) | instid1(VALU_DEP_3)
	v_add_co_u32 v31, vcc_lo, s16, v4
	v_add_co_ci_u32_e32 v32, vcc_lo, s17, v5, vcc_lo
	v_add_co_u32 v33, vcc_lo, s18, v4
	v_add_co_ci_u32_e64 v3, null, 0, 0, s3
	s_mul_i32 s2, s0, 3
	s_lshl_b32 s33, s0, 2
	s_lshl_b32 s52, s0, 5
	v_add_co_u32 v39, s0, v0, s0
	v_add_co_ci_u32_e32 v34, vcc_lo, s19, v5, vcc_lo
	v_add_co_u32 v37, vcc_lo, s16, v2
	v_add_co_ci_u32_e32 v38, vcc_lo, s17, v3, vcc_lo
	v_add_co_u32 v40, vcc_lo, s18, v2
	v_lshlrev_b32_e32 v2, 3, v39
	v_add_co_ci_u32_e64 v42, null, 0, 0, s0
	v_add_co_u32 v43, s0, s1, v0
	s_delay_alu instid0(VALU_DEP_1) | instskip(NEXT) | instid1(VALU_DEP_4)
	v_add_co_ci_u32_e64 v44, null, 0, 0, s0
	v_add_co_u32 v45, s0, s16, v2
	v_add_co_u32 v35, s2, s2, v0
	v_add_co_ci_u32_e64 v46, null, s17, 0, s0
	v_add_co_u32 v47, s0, s18, v2
	v_add_co_ci_u32_e64 v36, null, 0, 0, s2
	v_add_co_ci_u32_e32 v41, vcc_lo, s19, v3, vcc_lo
	v_add_co_ci_u32_e64 v48, null, s19, 0, s0
	s_mov_b32 s16, 0x6dc9c883
	s_mov_b32 s18, 0x33145c00
	;; [unrolled: 1-line block ×8, first 2 shown]
	s_mov_b64 s[8:9], 0
	s_mov_b32 s11, 0xbff921fb
	s_mov_b32 s17, 0x3fe45f30
	;; [unrolled: 1-line block ×19, first 2 shown]
	s_branch .LBB104_25
.LBB104_24:                             ;   in Loop: Header=BB104_25 Depth=1
	s_or_b32 exec_lo, exec_lo, s1
	v_add_co_u32 v27, vcc_lo, v27, s52
	v_add_co_ci_u32_e32 v28, vcc_lo, 0, v28, vcc_lo
	v_add_co_u32 v29, vcc_lo, v29, s52
	v_add_co_ci_u32_e32 v30, vcc_lo, 0, v30, vcc_lo
	;; [unrolled: 2-line block ×5, first 2 shown]
	s_add_u32 s8, s8, s33
	v_add_co_u32 v40, vcc_lo, v40, s52
	s_addc_u32 s9, s9, 0
	v_add_co_ci_u32_e32 v41, vcc_lo, 0, v41, vcc_lo
	v_cmp_ge_i64_e64 s0, s[8:9], s[14:15]
	v_cmp_lt_u64_e64 s1, 0xffff, s[8:9]
	v_add_co_u32 v45, vcc_lo, v45, s52
	v_add_co_ci_u32_e32 v46, vcc_lo, 0, v46, vcc_lo
	v_add_co_u32 v47, vcc_lo, v47, s52
	v_add_co_ci_u32_e32 v48, vcc_lo, 0, v48, vcc_lo
	s_or_b32 s0, s0, s1
	s_delay_alu instid0(SALU_CYCLE_1)
	s_and_b32 vcc_lo, exec_lo, s0
	s_cbranch_vccnz .LBB104_57
.LBB104_25:                             ; =>This Inner Loop Header: Depth=1
	v_add_co_u32 v2, s0, v0, s8
	s_delay_alu instid0(VALU_DEP_1) | instskip(SKIP_1) | instid1(VALU_DEP_2)
	v_add_co_ci_u32_e64 v3, null, 0, s9, s0
	v_dual_mov_b32 v9, 0 :: v_dual_mov_b32 v10, 0
	v_cmp_gt_u64_e64 s2, s[6:7], v[2:3]
	s_delay_alu instid0(VALU_DEP_1)
	s_and_saveexec_b32 s0, s2
	s_cbranch_execz .LBB104_27
; %bb.26:                               ;   in Loop: Header=BB104_25 Depth=1
	v_add_co_u32 v2, vcc_lo, v27, s12
	v_add_co_ci_u32_e32 v3, vcc_lo, s13, v28, vcc_lo
	global_load_b64 v[9:10], v[2:3], off
.LBB104_27:                             ;   in Loop: Header=BB104_25 Depth=1
	s_or_b32 exec_lo, exec_lo, s0
	v_add_co_u32 v2, vcc_lo, v39, s8
	v_add_co_ci_u32_e32 v3, vcc_lo, s9, v42, vcc_lo
	v_dual_mov_b32 v5, 0 :: v_dual_mov_b32 v8, 0
	v_mov_b32_e32 v7, 0
	s_delay_alu instid0(VALU_DEP_3) | instskip(NEXT) | instid1(VALU_DEP_1)
	v_cmp_gt_u64_e64 s1, s[6:7], v[2:3]
	s_and_saveexec_b32 s0, s1
	s_cbranch_execz .LBB104_29
; %bb.28:                               ;   in Loop: Header=BB104_25 Depth=1
	v_add_co_u32 v2, vcc_lo, v45, s12
	v_add_co_ci_u32_e32 v3, vcc_lo, s13, v46, vcc_lo
	global_load_b64 v[7:8], v[2:3], off
.LBB104_29:                             ;   in Loop: Header=BB104_25 Depth=1
	s_or_b32 exec_lo, exec_lo, s0
	v_add_co_u32 v2, vcc_lo, v43, s8
	v_add_co_ci_u32_e32 v3, vcc_lo, s9, v44, vcc_lo
	v_mov_b32_e32 v6, 0
	s_delay_alu instid0(VALU_DEP_2) | instskip(NEXT) | instid1(VALU_DEP_1)
	v_cmp_gt_u64_e64 s0, s[6:7], v[2:3]
	s_and_saveexec_b32 s3, s0
	s_cbranch_execz .LBB104_31
; %bb.30:                               ;   in Loop: Header=BB104_25 Depth=1
	v_add_co_u32 v2, vcc_lo, v37, s12
	v_add_co_ci_u32_e32 v3, vcc_lo, s13, v38, vcc_lo
	global_load_b64 v[5:6], v[2:3], off
.LBB104_31:                             ;   in Loop: Header=BB104_25 Depth=1
	s_or_b32 exec_lo, exec_lo, s3
	v_add_co_u32 v2, vcc_lo, v35, s8
	v_add_co_ci_u32_e32 v3, vcc_lo, s9, v36, vcc_lo
	s_delay_alu instid0(VALU_DEP_1)
	v_cmp_gt_u64_e32 vcc_lo, s[6:7], v[2:3]
	v_mov_b32_e32 v3, 0
	v_mov_b32_e32 v4, 0
	s_and_saveexec_b32 s4, vcc_lo
	s_cbranch_execz .LBB104_33
; %bb.32:                               ;   in Loop: Header=BB104_25 Depth=1
	v_add_co_u32 v2, s3, v31, s12
	s_delay_alu instid0(VALU_DEP_1)
	v_add_co_ci_u32_e64 v3, s3, s13, v32, s3
	global_load_b64 v[3:4], v[2:3], off
.LBB104_33:                             ;   in Loop: Header=BB104_25 Depth=1
	s_or_b32 exec_lo, exec_lo, s4
                                        ; implicit-def: $vgpr49
                                        ; implicit-def: $vgpr11_vgpr12
                                        ; implicit-def: $vgpr13_vgpr14
	s_delay_alu instid0(SALU_CYCLE_1)
	s_mov_b32 s4, exec_lo
	s_waitcnt vmcnt(0)
	v_cmpx_ngt_f64_e64 0x41d00000, |v[9:10]|
	s_xor_b32 s46, exec_lo, s4
	s_cbranch_execz .LBB104_35
; %bb.34:                               ;   in Loop: Header=BB104_25 Depth=1
	v_ldexp_f64 v[11:12], |v[9:10]|, 0xffffff80
	v_cmp_le_f64_e64 s3, 0x7b000000, |v[9:10]|
	v_trig_preop_f64 v[13:14], |v[9:10]|, 0
	v_and_b32_e32 v2, 0x7fffffff, v10
	v_trig_preop_f64 v[15:16], |v[9:10]|, 1
	v_trig_preop_f64 v[25:26], |v[9:10]|, 2
	s_mov_b32 s49, s47
	s_delay_alu instid0(VALU_DEP_3) | instskip(SKIP_1) | instid1(VALU_DEP_1)
	v_cndmask_b32_e64 v12, v2, v12, s3
	v_cndmask_b32_e64 v11, v9, v11, s3
	v_mul_f64 v[17:18], v[13:14], v[11:12]
	v_mul_f64 v[19:20], v[15:16], v[11:12]
	;; [unrolled: 1-line block ×3, first 2 shown]
	s_delay_alu instid0(VALU_DEP_3) | instskip(NEXT) | instid1(VALU_DEP_3)
	v_fma_f64 v[13:14], v[13:14], v[11:12], -v[17:18]
	v_fma_f64 v[15:16], v[15:16], v[11:12], -v[19:20]
	s_delay_alu instid0(VALU_DEP_3) | instskip(NEXT) | instid1(VALU_DEP_3)
	v_fma_f64 v[11:12], v[25:26], v[11:12], -v[53:54]
	v_add_f64 v[21:22], v[19:20], v[13:14]
	s_delay_alu instid0(VALU_DEP_1) | instskip(SKIP_1) | instid1(VALU_DEP_2)
	v_add_f64 v[23:24], v[21:22], -v[19:20]
	v_add_f64 v[51:52], v[17:18], v[21:22]
	v_add_f64 v[49:50], v[21:22], -v[23:24]
	v_add_f64 v[13:14], v[13:14], -v[23:24]
	s_delay_alu instid0(VALU_DEP_3) | instskip(SKIP_1) | instid1(VALU_DEP_4)
	v_ldexp_f64 v[23:24], v[51:52], -2
	v_add_f64 v[17:18], v[51:52], -v[17:18]
	v_add_f64 v[19:20], v[19:20], -v[49:50]
	v_add_f64 v[49:50], v[53:54], v[15:16]
	s_delay_alu instid0(VALU_DEP_4) | instskip(NEXT) | instid1(VALU_DEP_4)
	v_cmp_neq_f64_e64 s3, 0x7ff00000, |v[23:24]|
	v_add_f64 v[17:18], v[21:22], -v[17:18]
	s_delay_alu instid0(VALU_DEP_4) | instskip(SKIP_1) | instid1(VALU_DEP_2)
	v_add_f64 v[13:14], v[13:14], v[19:20]
	v_fract_f64_e32 v[19:20], v[23:24]
	v_add_f64 v[21:22], v[49:50], v[13:14]
	s_delay_alu instid0(VALU_DEP_2) | instskip(NEXT) | instid1(VALU_DEP_3)
	v_cndmask_b32_e64 v20, 0, v20, s3
	v_cndmask_b32_e64 v19, 0, v19, s3
	s_delay_alu instid0(VALU_DEP_1) | instskip(NEXT) | instid1(VALU_DEP_4)
	v_ldexp_f64 v[19:20], v[19:20], 2
	v_add_f64 v[23:24], v[17:18], v[21:22]
	v_add_f64 v[55:56], v[21:22], -v[49:50]
	s_delay_alu instid0(VALU_DEP_2) | instskip(NEXT) | instid1(VALU_DEP_2)
	v_add_f64 v[51:52], v[23:24], v[19:20]
	v_add_f64 v[61:62], v[21:22], -v[55:56]
	v_add_f64 v[13:14], v[13:14], -v[55:56]
	;; [unrolled: 1-line block ×3, first 2 shown]
	s_delay_alu instid0(VALU_DEP_4) | instskip(SKIP_1) | instid1(VALU_DEP_3)
	v_cmp_gt_f64_e64 s3, 0, v[51:52]
	v_add_f64 v[51:52], v[49:50], -v[53:54]
	v_add_f64 v[17:18], v[21:22], -v[17:18]
	s_delay_alu instid0(VALU_DEP_3) | instskip(NEXT) | instid1(VALU_DEP_3)
	v_cndmask_b32_e64 v2, 0, 0x40100000, s3
	v_add_f64 v[59:60], v[49:50], -v[51:52]
	v_add_f64 v[15:16], v[15:16], -v[51:52]
	;; [unrolled: 1-line block ×3, first 2 shown]
	s_delay_alu instid0(VALU_DEP_4) | instskip(NEXT) | instid1(VALU_DEP_4)
	v_add_f64 v[19:20], v[19:20], v[1:2]
	v_add_f64 v[51:52], v[53:54], -v[59:60]
	s_delay_alu instid0(VALU_DEP_3) | instskip(NEXT) | instid1(VALU_DEP_3)
	v_add_f64 v[13:14], v[13:14], v[49:50]
	v_add_f64 v[57:58], v[23:24], v[19:20]
	s_delay_alu instid0(VALU_DEP_3) | instskip(NEXT) | instid1(VALU_DEP_2)
	v_add_f64 v[15:16], v[15:16], v[51:52]
	v_cvt_i32_f64_e32 v2, v[57:58]
	s_delay_alu instid0(VALU_DEP_2) | instskip(NEXT) | instid1(VALU_DEP_2)
	v_add_f64 v[13:14], v[15:16], v[13:14]
	v_cvt_f64_i32_e32 v[55:56], v2
	s_delay_alu instid0(VALU_DEP_2) | instskip(NEXT) | instid1(VALU_DEP_2)
	v_add_f64 v[11:12], v[11:12], v[13:14]
	v_add_f64 v[19:20], v[19:20], -v[55:56]
	s_delay_alu instid0(VALU_DEP_2) | instskip(NEXT) | instid1(VALU_DEP_2)
	v_add_f64 v[11:12], v[17:18], v[11:12]
	v_add_f64 v[15:16], v[23:24], v[19:20]
	s_delay_alu instid0(VALU_DEP_1) | instskip(SKIP_1) | instid1(VALU_DEP_2)
	v_add_f64 v[13:14], v[15:16], -v[19:20]
	v_cmp_le_f64_e64 s3, 0.5, v[15:16]
	v_add_f64 v[13:14], v[23:24], -v[13:14]
	s_delay_alu instid0(VALU_DEP_2) | instskip(SKIP_2) | instid1(VALU_DEP_3)
	v_add_co_ci_u32_e64 v49, s4, 0, v2, s3
	v_cndmask_b32_e64 v2, 0, 0x3ff00000, s3
	s_mov_b32 s4, s10
	v_add_f64 v[11:12], v[11:12], v[13:14]
	s_delay_alu instid0(VALU_DEP_2) | instskip(NEXT) | instid1(VALU_DEP_1)
	v_add_f64 v[13:14], v[15:16], -v[1:2]
	v_add_f64 v[15:16], v[13:14], v[11:12]
	s_delay_alu instid0(VALU_DEP_1) | instskip(SKIP_1) | instid1(VALU_DEP_2)
	v_mul_f64 v[17:18], v[15:16], s[4:5]
	v_add_f64 v[13:14], v[15:16], -v[13:14]
	v_fma_f64 v[19:20], v[15:16], s[4:5], -v[17:18]
	s_delay_alu instid0(VALU_DEP_2) | instskip(NEXT) | instid1(VALU_DEP_2)
	v_add_f64 v[11:12], v[11:12], -v[13:14]
	v_fma_f64 v[13:14], v[15:16], s[48:49], v[19:20]
	s_delay_alu instid0(VALU_DEP_1) | instskip(NEXT) | instid1(VALU_DEP_1)
	v_fma_f64 v[13:14], v[11:12], s[4:5], v[13:14]
	v_add_f64 v[11:12], v[17:18], v[13:14]
	s_delay_alu instid0(VALU_DEP_1) | instskip(NEXT) | instid1(VALU_DEP_1)
	v_add_f64 v[15:16], v[11:12], -v[17:18]
	v_add_f64 v[13:14], v[13:14], -v[15:16]
.LBB104_35:                             ;   in Loop: Header=BB104_25 Depth=1
	s_and_not1_saveexec_b32 s3, s46
	s_cbranch_execz .LBB104_37
; %bb.36:                               ;   in Loop: Header=BB104_25 Depth=1
	v_mul_f64 v[11:12], |v[9:10]|, s[16:17]
	s_mov_b32 s46, s18
	s_delay_alu instid0(VALU_DEP_1) | instskip(NEXT) | instid1(VALU_DEP_1)
	v_rndne_f64_e32 v[15:16], v[11:12]
	v_fma_f64 v[11:12], v[15:16], s[10:11], |v[9:10]|
	v_mul_f64 v[13:14], v[15:16], s[18:19]
	v_cvt_i32_f64_e32 v49, v[15:16]
	s_delay_alu instid0(VALU_DEP_3) | instskip(NEXT) | instid1(VALU_DEP_3)
	v_fma_f64 v[19:20], v[15:16], s[18:19], v[11:12]
	v_add_f64 v[17:18], v[11:12], v[13:14]
	s_delay_alu instid0(VALU_DEP_1) | instskip(NEXT) | instid1(VALU_DEP_3)
	v_add_f64 v[11:12], v[11:12], -v[17:18]
	v_add_f64 v[17:18], v[17:18], -v[19:20]
	s_delay_alu instid0(VALU_DEP_2) | instskip(SKIP_1) | instid1(VALU_DEP_2)
	v_add_f64 v[11:12], v[11:12], v[13:14]
	v_fma_f64 v[13:14], v[15:16], s[46:47], v[13:14]
	v_add_f64 v[11:12], v[17:18], v[11:12]
	s_delay_alu instid0(VALU_DEP_1) | instskip(NEXT) | instid1(VALU_DEP_1)
	v_add_f64 v[11:12], v[11:12], -v[13:14]
	v_fma_f64 v[13:14], v[15:16], s[20:21], v[11:12]
	s_delay_alu instid0(VALU_DEP_1) | instskip(NEXT) | instid1(VALU_DEP_1)
	v_add_f64 v[11:12], v[19:20], v[13:14]
	v_add_f64 v[17:18], v[11:12], -v[19:20]
	s_delay_alu instid0(VALU_DEP_1)
	v_add_f64 v[13:14], v[13:14], -v[17:18]
.LBB104_37:                             ;   in Loop: Header=BB104_25 Depth=1
	s_or_b32 exec_lo, exec_lo, s3
                                        ; implicit-def: $vgpr50
                                        ; implicit-def: $vgpr15_vgpr16
                                        ; implicit-def: $vgpr17_vgpr18
	s_delay_alu instid0(SALU_CYCLE_1)
	s_mov_b32 s4, exec_lo
	v_cmpx_ngt_f64_e64 0x41d00000, |v[7:8]|
	s_xor_b32 s46, exec_lo, s4
	s_cbranch_execz .LBB104_39
; %bb.38:                               ;   in Loop: Header=BB104_25 Depth=1
	v_ldexp_f64 v[15:16], |v[7:8]|, 0xffffff80
	v_cmp_le_f64_e64 s3, 0x7b000000, |v[7:8]|
	v_trig_preop_f64 v[17:18], |v[7:8]|, 0
	v_and_b32_e32 v2, 0x7fffffff, v8
	v_trig_preop_f64 v[19:20], |v[7:8]|, 1
	v_trig_preop_f64 v[52:53], |v[7:8]|, 2
	s_mov_b32 s49, s47
	s_delay_alu instid0(VALU_DEP_3) | instskip(SKIP_1) | instid1(VALU_DEP_1)
	v_cndmask_b32_e64 v16, v2, v16, s3
	v_cndmask_b32_e64 v15, v7, v15, s3
	v_mul_f64 v[21:22], v[17:18], v[15:16]
	v_mul_f64 v[23:24], v[19:20], v[15:16]
	;; [unrolled: 1-line block ×3, first 2 shown]
	s_delay_alu instid0(VALU_DEP_3) | instskip(NEXT) | instid1(VALU_DEP_3)
	v_fma_f64 v[17:18], v[17:18], v[15:16], -v[21:22]
	v_fma_f64 v[19:20], v[19:20], v[15:16], -v[23:24]
	s_delay_alu instid0(VALU_DEP_3) | instskip(NEXT) | instid1(VALU_DEP_3)
	v_fma_f64 v[15:16], v[52:53], v[15:16], -v[58:59]
	v_add_f64 v[25:26], v[23:24], v[17:18]
	s_delay_alu instid0(VALU_DEP_1) | instskip(SKIP_1) | instid1(VALU_DEP_2)
	v_add_f64 v[50:51], v[25:26], -v[23:24]
	v_add_f64 v[56:57], v[21:22], v[25:26]
	v_add_f64 v[54:55], v[25:26], -v[50:51]
	v_add_f64 v[17:18], v[17:18], -v[50:51]
	s_delay_alu instid0(VALU_DEP_3) | instskip(SKIP_1) | instid1(VALU_DEP_4)
	v_ldexp_f64 v[50:51], v[56:57], -2
	v_add_f64 v[21:22], v[56:57], -v[21:22]
	v_add_f64 v[23:24], v[23:24], -v[54:55]
	v_add_f64 v[54:55], v[58:59], v[19:20]
	s_delay_alu instid0(VALU_DEP_4) | instskip(NEXT) | instid1(VALU_DEP_4)
	v_cmp_neq_f64_e64 s3, 0x7ff00000, |v[50:51]|
	v_add_f64 v[21:22], v[25:26], -v[21:22]
	s_delay_alu instid0(VALU_DEP_4) | instskip(SKIP_1) | instid1(VALU_DEP_2)
	v_add_f64 v[17:18], v[17:18], v[23:24]
	v_fract_f64_e32 v[23:24], v[50:51]
	v_add_f64 v[25:26], v[54:55], v[17:18]
	s_delay_alu instid0(VALU_DEP_2) | instskip(NEXT) | instid1(VALU_DEP_3)
	v_cndmask_b32_e64 v24, 0, v24, s3
	v_cndmask_b32_e64 v23, 0, v23, s3
	s_delay_alu instid0(VALU_DEP_1) | instskip(NEXT) | instid1(VALU_DEP_4)
	v_ldexp_f64 v[23:24], v[23:24], 2
	v_add_f64 v[50:51], v[21:22], v[25:26]
	v_add_f64 v[60:61], v[25:26], -v[54:55]
	s_delay_alu instid0(VALU_DEP_2) | instskip(NEXT) | instid1(VALU_DEP_2)
	v_add_f64 v[56:57], v[50:51], v[23:24]
	v_add_f64 v[66:67], v[25:26], -v[60:61]
	v_add_f64 v[17:18], v[17:18], -v[60:61]
	;; [unrolled: 1-line block ×3, first 2 shown]
	s_delay_alu instid0(VALU_DEP_4) | instskip(SKIP_1) | instid1(VALU_DEP_3)
	v_cmp_gt_f64_e64 s3, 0, v[56:57]
	v_add_f64 v[56:57], v[54:55], -v[58:59]
	v_add_f64 v[21:22], v[25:26], -v[21:22]
	s_delay_alu instid0(VALU_DEP_3) | instskip(NEXT) | instid1(VALU_DEP_3)
	v_cndmask_b32_e64 v2, 0, 0x40100000, s3
	v_add_f64 v[64:65], v[54:55], -v[56:57]
	v_add_f64 v[19:20], v[19:20], -v[56:57]
	;; [unrolled: 1-line block ×3, first 2 shown]
	s_delay_alu instid0(VALU_DEP_4) | instskip(NEXT) | instid1(VALU_DEP_4)
	v_add_f64 v[23:24], v[23:24], v[1:2]
	v_add_f64 v[56:57], v[58:59], -v[64:65]
	s_delay_alu instid0(VALU_DEP_3) | instskip(NEXT) | instid1(VALU_DEP_3)
	v_add_f64 v[17:18], v[17:18], v[54:55]
	v_add_f64 v[62:63], v[50:51], v[23:24]
	s_delay_alu instid0(VALU_DEP_3) | instskip(NEXT) | instid1(VALU_DEP_2)
	v_add_f64 v[19:20], v[19:20], v[56:57]
	v_cvt_i32_f64_e32 v2, v[62:63]
	s_delay_alu instid0(VALU_DEP_2) | instskip(NEXT) | instid1(VALU_DEP_2)
	v_add_f64 v[17:18], v[19:20], v[17:18]
	v_cvt_f64_i32_e32 v[60:61], v2
	s_delay_alu instid0(VALU_DEP_2) | instskip(NEXT) | instid1(VALU_DEP_2)
	v_add_f64 v[15:16], v[15:16], v[17:18]
	v_add_f64 v[23:24], v[23:24], -v[60:61]
	s_delay_alu instid0(VALU_DEP_2) | instskip(NEXT) | instid1(VALU_DEP_2)
	v_add_f64 v[15:16], v[21:22], v[15:16]
	v_add_f64 v[19:20], v[50:51], v[23:24]
	s_delay_alu instid0(VALU_DEP_1) | instskip(SKIP_1) | instid1(VALU_DEP_2)
	v_add_f64 v[17:18], v[19:20], -v[23:24]
	v_cmp_le_f64_e64 s3, 0.5, v[19:20]
	v_add_f64 v[17:18], v[50:51], -v[17:18]
	s_delay_alu instid0(VALU_DEP_2) | instskip(SKIP_2) | instid1(VALU_DEP_3)
	v_add_co_ci_u32_e64 v50, s4, 0, v2, s3
	v_cndmask_b32_e64 v2, 0, 0x3ff00000, s3
	s_mov_b32 s4, s10
	v_add_f64 v[15:16], v[15:16], v[17:18]
	s_delay_alu instid0(VALU_DEP_2) | instskip(NEXT) | instid1(VALU_DEP_1)
	v_add_f64 v[17:18], v[19:20], -v[1:2]
	v_add_f64 v[19:20], v[17:18], v[15:16]
	s_delay_alu instid0(VALU_DEP_1) | instskip(SKIP_1) | instid1(VALU_DEP_2)
	v_mul_f64 v[21:22], v[19:20], s[4:5]
	v_add_f64 v[17:18], v[19:20], -v[17:18]
	v_fma_f64 v[23:24], v[19:20], s[4:5], -v[21:22]
	s_delay_alu instid0(VALU_DEP_2) | instskip(NEXT) | instid1(VALU_DEP_2)
	v_add_f64 v[15:16], v[15:16], -v[17:18]
	v_fma_f64 v[17:18], v[19:20], s[48:49], v[23:24]
	s_delay_alu instid0(VALU_DEP_1) | instskip(NEXT) | instid1(VALU_DEP_1)
	v_fma_f64 v[17:18], v[15:16], s[4:5], v[17:18]
	v_add_f64 v[15:16], v[21:22], v[17:18]
	s_delay_alu instid0(VALU_DEP_1) | instskip(NEXT) | instid1(VALU_DEP_1)
	v_add_f64 v[19:20], v[15:16], -v[21:22]
	v_add_f64 v[17:18], v[17:18], -v[19:20]
.LBB104_39:                             ;   in Loop: Header=BB104_25 Depth=1
	s_and_not1_saveexec_b32 s3, s46
	s_cbranch_execz .LBB104_41
; %bb.40:                               ;   in Loop: Header=BB104_25 Depth=1
	v_mul_f64 v[15:16], |v[7:8]|, s[16:17]
	s_mov_b32 s46, s18
	s_delay_alu instid0(VALU_DEP_1) | instskip(NEXT) | instid1(VALU_DEP_1)
	v_rndne_f64_e32 v[19:20], v[15:16]
	v_fma_f64 v[15:16], v[19:20], s[10:11], |v[7:8]|
	v_mul_f64 v[17:18], v[19:20], s[18:19]
	v_cvt_i32_f64_e32 v50, v[19:20]
	s_delay_alu instid0(VALU_DEP_3) | instskip(NEXT) | instid1(VALU_DEP_3)
	v_fma_f64 v[23:24], v[19:20], s[18:19], v[15:16]
	v_add_f64 v[21:22], v[15:16], v[17:18]
	s_delay_alu instid0(VALU_DEP_1) | instskip(NEXT) | instid1(VALU_DEP_3)
	v_add_f64 v[15:16], v[15:16], -v[21:22]
	v_add_f64 v[21:22], v[21:22], -v[23:24]
	s_delay_alu instid0(VALU_DEP_2) | instskip(SKIP_1) | instid1(VALU_DEP_2)
	v_add_f64 v[15:16], v[15:16], v[17:18]
	v_fma_f64 v[17:18], v[19:20], s[46:47], v[17:18]
	v_add_f64 v[15:16], v[21:22], v[15:16]
	s_delay_alu instid0(VALU_DEP_1) | instskip(NEXT) | instid1(VALU_DEP_1)
	v_add_f64 v[15:16], v[15:16], -v[17:18]
	v_fma_f64 v[17:18], v[19:20], s[20:21], v[15:16]
	s_delay_alu instid0(VALU_DEP_1) | instskip(NEXT) | instid1(VALU_DEP_1)
	v_add_f64 v[15:16], v[23:24], v[17:18]
	v_add_f64 v[21:22], v[15:16], -v[23:24]
	s_delay_alu instid0(VALU_DEP_1)
	v_add_f64 v[17:18], v[17:18], -v[21:22]
.LBB104_41:                             ;   in Loop: Header=BB104_25 Depth=1
	s_or_b32 exec_lo, exec_lo, s3
                                        ; implicit-def: $vgpr51
                                        ; implicit-def: $vgpr19_vgpr20
                                        ; implicit-def: $vgpr21_vgpr22
	s_delay_alu instid0(SALU_CYCLE_1)
	s_mov_b32 s4, exec_lo
	v_cmpx_ngt_f64_e64 0x41d00000, |v[5:6]|
	s_xor_b32 s46, exec_lo, s4
	s_cbranch_execz .LBB104_43
; %bb.42:                               ;   in Loop: Header=BB104_25 Depth=1
	v_ldexp_f64 v[19:20], |v[5:6]|, 0xffffff80
	v_cmp_le_f64_e64 s3, 0x7b000000, |v[5:6]|
	v_trig_preop_f64 v[21:22], |v[5:6]|, 0
	v_and_b32_e32 v2, 0x7fffffff, v6
	v_trig_preop_f64 v[23:24], |v[5:6]|, 1
	v_trig_preop_f64 v[57:58], |v[5:6]|, 2
	s_mov_b32 s49, s47
	s_delay_alu instid0(VALU_DEP_3) | instskip(SKIP_1) | instid1(VALU_DEP_1)
	v_cndmask_b32_e64 v20, v2, v20, s3
	v_cndmask_b32_e64 v19, v5, v19, s3
	v_mul_f64 v[25:26], v[21:22], v[19:20]
	v_mul_f64 v[51:52], v[23:24], v[19:20]
	;; [unrolled: 1-line block ×3, first 2 shown]
	s_delay_alu instid0(VALU_DEP_3) | instskip(NEXT) | instid1(VALU_DEP_3)
	v_fma_f64 v[21:22], v[21:22], v[19:20], -v[25:26]
	v_fma_f64 v[23:24], v[23:24], v[19:20], -v[51:52]
	s_delay_alu instid0(VALU_DEP_3) | instskip(NEXT) | instid1(VALU_DEP_3)
	v_fma_f64 v[19:20], v[57:58], v[19:20], -v[63:64]
	v_add_f64 v[53:54], v[51:52], v[21:22]
	s_delay_alu instid0(VALU_DEP_1) | instskip(SKIP_1) | instid1(VALU_DEP_2)
	v_add_f64 v[55:56], v[53:54], -v[51:52]
	v_add_f64 v[61:62], v[25:26], v[53:54]
	v_add_f64 v[59:60], v[53:54], -v[55:56]
	v_add_f64 v[21:22], v[21:22], -v[55:56]
	s_delay_alu instid0(VALU_DEP_3) | instskip(SKIP_1) | instid1(VALU_DEP_4)
	v_ldexp_f64 v[55:56], v[61:62], -2
	v_add_f64 v[25:26], v[61:62], -v[25:26]
	v_add_f64 v[51:52], v[51:52], -v[59:60]
	v_add_f64 v[59:60], v[63:64], v[23:24]
	s_delay_alu instid0(VALU_DEP_4) | instskip(NEXT) | instid1(VALU_DEP_4)
	v_cmp_neq_f64_e64 s3, 0x7ff00000, |v[55:56]|
	v_add_f64 v[25:26], v[53:54], -v[25:26]
	s_delay_alu instid0(VALU_DEP_4) | instskip(SKIP_1) | instid1(VALU_DEP_2)
	v_add_f64 v[21:22], v[21:22], v[51:52]
	v_fract_f64_e32 v[51:52], v[55:56]
	v_add_f64 v[53:54], v[59:60], v[21:22]
	s_delay_alu instid0(VALU_DEP_2) | instskip(NEXT) | instid1(VALU_DEP_3)
	v_cndmask_b32_e64 v52, 0, v52, s3
	v_cndmask_b32_e64 v51, 0, v51, s3
	s_delay_alu instid0(VALU_DEP_1) | instskip(NEXT) | instid1(VALU_DEP_4)
	v_ldexp_f64 v[51:52], v[51:52], 2
	v_add_f64 v[55:56], v[25:26], v[53:54]
	v_add_f64 v[65:66], v[53:54], -v[59:60]
	s_delay_alu instid0(VALU_DEP_2) | instskip(NEXT) | instid1(VALU_DEP_2)
	v_add_f64 v[61:62], v[55:56], v[51:52]
	v_add_f64 v[71:72], v[53:54], -v[65:66]
	v_add_f64 v[21:22], v[21:22], -v[65:66]
	;; [unrolled: 1-line block ×3, first 2 shown]
	s_delay_alu instid0(VALU_DEP_4) | instskip(SKIP_1) | instid1(VALU_DEP_3)
	v_cmp_gt_f64_e64 s3, 0, v[61:62]
	v_add_f64 v[61:62], v[59:60], -v[63:64]
	v_add_f64 v[25:26], v[53:54], -v[25:26]
	s_delay_alu instid0(VALU_DEP_3) | instskip(NEXT) | instid1(VALU_DEP_3)
	v_cndmask_b32_e64 v2, 0, 0x40100000, s3
	v_add_f64 v[69:70], v[59:60], -v[61:62]
	v_add_f64 v[23:24], v[23:24], -v[61:62]
	;; [unrolled: 1-line block ×3, first 2 shown]
	s_delay_alu instid0(VALU_DEP_4) | instskip(NEXT) | instid1(VALU_DEP_4)
	v_add_f64 v[51:52], v[51:52], v[1:2]
	v_add_f64 v[61:62], v[63:64], -v[69:70]
	s_delay_alu instid0(VALU_DEP_3) | instskip(NEXT) | instid1(VALU_DEP_3)
	v_add_f64 v[21:22], v[21:22], v[59:60]
	v_add_f64 v[67:68], v[55:56], v[51:52]
	s_delay_alu instid0(VALU_DEP_3) | instskip(NEXT) | instid1(VALU_DEP_2)
	v_add_f64 v[23:24], v[23:24], v[61:62]
	v_cvt_i32_f64_e32 v2, v[67:68]
	s_delay_alu instid0(VALU_DEP_2) | instskip(NEXT) | instid1(VALU_DEP_2)
	v_add_f64 v[21:22], v[23:24], v[21:22]
	v_cvt_f64_i32_e32 v[65:66], v2
	s_delay_alu instid0(VALU_DEP_2) | instskip(NEXT) | instid1(VALU_DEP_2)
	v_add_f64 v[19:20], v[19:20], v[21:22]
	v_add_f64 v[51:52], v[51:52], -v[65:66]
	s_delay_alu instid0(VALU_DEP_2) | instskip(NEXT) | instid1(VALU_DEP_2)
	v_add_f64 v[19:20], v[25:26], v[19:20]
	v_add_f64 v[23:24], v[55:56], v[51:52]
	s_delay_alu instid0(VALU_DEP_1) | instskip(SKIP_1) | instid1(VALU_DEP_2)
	v_add_f64 v[21:22], v[23:24], -v[51:52]
	v_cmp_le_f64_e64 s3, 0.5, v[23:24]
	v_add_f64 v[21:22], v[55:56], -v[21:22]
	s_delay_alu instid0(VALU_DEP_2) | instskip(SKIP_2) | instid1(VALU_DEP_3)
	v_add_co_ci_u32_e64 v51, s4, 0, v2, s3
	v_cndmask_b32_e64 v2, 0, 0x3ff00000, s3
	s_mov_b32 s4, s10
	v_add_f64 v[19:20], v[19:20], v[21:22]
	s_delay_alu instid0(VALU_DEP_2) | instskip(NEXT) | instid1(VALU_DEP_1)
	v_add_f64 v[21:22], v[23:24], -v[1:2]
	v_add_f64 v[23:24], v[21:22], v[19:20]
	s_delay_alu instid0(VALU_DEP_1) | instskip(SKIP_1) | instid1(VALU_DEP_2)
	v_mul_f64 v[25:26], v[23:24], s[4:5]
	v_add_f64 v[21:22], v[23:24], -v[21:22]
	v_fma_f64 v[52:53], v[23:24], s[4:5], -v[25:26]
	s_delay_alu instid0(VALU_DEP_2) | instskip(NEXT) | instid1(VALU_DEP_2)
	v_add_f64 v[19:20], v[19:20], -v[21:22]
	v_fma_f64 v[21:22], v[23:24], s[48:49], v[52:53]
	s_delay_alu instid0(VALU_DEP_1) | instskip(NEXT) | instid1(VALU_DEP_1)
	v_fma_f64 v[21:22], v[19:20], s[4:5], v[21:22]
	v_add_f64 v[19:20], v[25:26], v[21:22]
	s_delay_alu instid0(VALU_DEP_1) | instskip(NEXT) | instid1(VALU_DEP_1)
	v_add_f64 v[23:24], v[19:20], -v[25:26]
	v_add_f64 v[21:22], v[21:22], -v[23:24]
.LBB104_43:                             ;   in Loop: Header=BB104_25 Depth=1
	s_and_not1_saveexec_b32 s3, s46
	s_cbranch_execz .LBB104_45
; %bb.44:                               ;   in Loop: Header=BB104_25 Depth=1
	v_mul_f64 v[19:20], |v[5:6]|, s[16:17]
	s_mov_b32 s46, s18
	s_delay_alu instid0(VALU_DEP_1) | instskip(NEXT) | instid1(VALU_DEP_1)
	v_rndne_f64_e32 v[23:24], v[19:20]
	v_fma_f64 v[19:20], v[23:24], s[10:11], |v[5:6]|
	v_mul_f64 v[21:22], v[23:24], s[18:19]
	s_delay_alu instid0(VALU_DEP_2) | instskip(NEXT) | instid1(VALU_DEP_2)
	v_fma_f64 v[51:52], v[23:24], s[18:19], v[19:20]
	v_add_f64 v[25:26], v[19:20], v[21:22]
	s_delay_alu instid0(VALU_DEP_1) | instskip(NEXT) | instid1(VALU_DEP_3)
	v_add_f64 v[19:20], v[19:20], -v[25:26]
	v_add_f64 v[25:26], v[25:26], -v[51:52]
	s_delay_alu instid0(VALU_DEP_2) | instskip(SKIP_1) | instid1(VALU_DEP_2)
	v_add_f64 v[19:20], v[19:20], v[21:22]
	v_fma_f64 v[21:22], v[23:24], s[46:47], v[21:22]
	v_add_f64 v[19:20], v[25:26], v[19:20]
	s_delay_alu instid0(VALU_DEP_1) | instskip(NEXT) | instid1(VALU_DEP_1)
	v_add_f64 v[19:20], v[19:20], -v[21:22]
	v_fma_f64 v[21:22], v[23:24], s[20:21], v[19:20]
	s_delay_alu instid0(VALU_DEP_1) | instskip(NEXT) | instid1(VALU_DEP_1)
	v_add_f64 v[19:20], v[51:52], v[21:22]
	v_add_f64 v[25:26], v[19:20], -v[51:52]
	v_cvt_i32_f64_e32 v51, v[23:24]
	s_delay_alu instid0(VALU_DEP_2)
	v_add_f64 v[21:22], v[21:22], -v[25:26]
.LBB104_45:                             ;   in Loop: Header=BB104_25 Depth=1
	s_or_b32 exec_lo, exec_lo, s3
                                        ; implicit-def: $vgpr52
                                        ; implicit-def: $vgpr23_vgpr24
                                        ; implicit-def: $vgpr25_vgpr26
	s_delay_alu instid0(SALU_CYCLE_1)
	s_mov_b32 s4, exec_lo
	v_cmpx_ngt_f64_e64 0x41d00000, |v[3:4]|
	s_xor_b32 s46, exec_lo, s4
	s_cbranch_execnz .LBB104_51
; %bb.46:                               ;   in Loop: Header=BB104_25 Depth=1
	s_and_not1_saveexec_b32 s3, s46
	s_cbranch_execnz .LBB104_52
.LBB104_47:                             ;   in Loop: Header=BB104_25 Depth=1
	s_or_b32 exec_lo, exec_lo, s3
	s_and_saveexec_b32 s3, s2
	s_delay_alu instid0(SALU_CYCLE_1)
	s_xor_b32 s4, exec_lo, s3
	s_cbranch_execnz .LBB104_53
.LBB104_48:                             ;   in Loop: Header=BB104_25 Depth=1
	s_or_b32 exec_lo, exec_lo, s4
	s_and_saveexec_b32 s3, s1
	s_cbranch_execnz .LBB104_54
.LBB104_49:                             ;   in Loop: Header=BB104_25 Depth=1
	s_or_b32 exec_lo, exec_lo, s3
	s_and_saveexec_b32 s2, s0
	s_cbranch_execnz .LBB104_55
.LBB104_50:                             ;   in Loop: Header=BB104_25 Depth=1
	s_or_b32 exec_lo, exec_lo, s2
	s_and_saveexec_b32 s1, vcc_lo
	s_cbranch_execz .LBB104_24
	s_branch .LBB104_56
.LBB104_51:                             ;   in Loop: Header=BB104_25 Depth=1
	v_ldexp_f64 v[23:24], |v[3:4]|, 0xffffff80
	v_cmp_le_f64_e64 s3, 0x7b000000, |v[3:4]|
	v_trig_preop_f64 v[25:26], |v[3:4]|, 0
	v_and_b32_e32 v2, 0x7fffffff, v4
	v_trig_preop_f64 v[52:53], |v[3:4]|, 1
	v_trig_preop_f64 v[62:63], |v[3:4]|, 2
	s_mov_b32 s49, s47
	s_delay_alu instid0(VALU_DEP_3) | instskip(SKIP_1) | instid1(VALU_DEP_1)
	v_cndmask_b32_e64 v24, v2, v24, s3
	v_cndmask_b32_e64 v23, v3, v23, s3
	v_mul_f64 v[54:55], v[25:26], v[23:24]
	v_mul_f64 v[56:57], v[52:53], v[23:24]
	;; [unrolled: 1-line block ×3, first 2 shown]
	s_delay_alu instid0(VALU_DEP_3) | instskip(NEXT) | instid1(VALU_DEP_3)
	v_fma_f64 v[25:26], v[25:26], v[23:24], -v[54:55]
	v_fma_f64 v[52:53], v[52:53], v[23:24], -v[56:57]
	s_delay_alu instid0(VALU_DEP_3) | instskip(NEXT) | instid1(VALU_DEP_3)
	v_fma_f64 v[23:24], v[62:63], v[23:24], -v[68:69]
	v_add_f64 v[58:59], v[56:57], v[25:26]
	s_delay_alu instid0(VALU_DEP_1) | instskip(SKIP_1) | instid1(VALU_DEP_2)
	v_add_f64 v[60:61], v[58:59], -v[56:57]
	v_add_f64 v[66:67], v[54:55], v[58:59]
	v_add_f64 v[64:65], v[58:59], -v[60:61]
	v_add_f64 v[25:26], v[25:26], -v[60:61]
	s_delay_alu instid0(VALU_DEP_3) | instskip(SKIP_1) | instid1(VALU_DEP_4)
	v_ldexp_f64 v[60:61], v[66:67], -2
	v_add_f64 v[54:55], v[66:67], -v[54:55]
	v_add_f64 v[56:57], v[56:57], -v[64:65]
	v_add_f64 v[64:65], v[68:69], v[52:53]
	s_delay_alu instid0(VALU_DEP_4) | instskip(NEXT) | instid1(VALU_DEP_4)
	v_cmp_neq_f64_e64 s3, 0x7ff00000, |v[60:61]|
	v_add_f64 v[54:55], v[58:59], -v[54:55]
	s_delay_alu instid0(VALU_DEP_4) | instskip(SKIP_1) | instid1(VALU_DEP_2)
	v_add_f64 v[25:26], v[25:26], v[56:57]
	v_fract_f64_e32 v[56:57], v[60:61]
	v_add_f64 v[58:59], v[64:65], v[25:26]
	s_delay_alu instid0(VALU_DEP_2) | instskip(NEXT) | instid1(VALU_DEP_3)
	v_cndmask_b32_e64 v57, 0, v57, s3
	v_cndmask_b32_e64 v56, 0, v56, s3
	s_delay_alu instid0(VALU_DEP_1) | instskip(NEXT) | instid1(VALU_DEP_4)
	v_ldexp_f64 v[56:57], v[56:57], 2
	v_add_f64 v[60:61], v[54:55], v[58:59]
	v_add_f64 v[70:71], v[58:59], -v[64:65]
	s_delay_alu instid0(VALU_DEP_2) | instskip(NEXT) | instid1(VALU_DEP_2)
	v_add_f64 v[66:67], v[60:61], v[56:57]
	v_add_f64 v[76:77], v[58:59], -v[70:71]
	v_add_f64 v[25:26], v[25:26], -v[70:71]
	;; [unrolled: 1-line block ×3, first 2 shown]
	s_delay_alu instid0(VALU_DEP_4) | instskip(SKIP_1) | instid1(VALU_DEP_2)
	v_cmp_gt_f64_e64 s3, 0, v[66:67]
	v_add_f64 v[66:67], v[64:65], -v[68:69]
	v_cndmask_b32_e64 v2, 0, 0x40100000, s3
	s_delay_alu instid0(VALU_DEP_2) | instskip(SKIP_2) | instid1(VALU_DEP_4)
	v_add_f64 v[74:75], v[64:65], -v[66:67]
	v_add_f64 v[52:53], v[52:53], -v[66:67]
	;; [unrolled: 1-line block ×3, first 2 shown]
	v_add_f64 v[56:57], v[56:57], v[1:2]
	s_delay_alu instid0(VALU_DEP_4) | instskip(NEXT) | instid1(VALU_DEP_3)
	v_add_f64 v[66:67], v[68:69], -v[74:75]
	v_add_f64 v[25:26], v[25:26], v[64:65]
	s_delay_alu instid0(VALU_DEP_3) | instskip(NEXT) | instid1(VALU_DEP_3)
	v_add_f64 v[72:73], v[60:61], v[56:57]
	v_add_f64 v[52:53], v[52:53], v[66:67]
	s_delay_alu instid0(VALU_DEP_2) | instskip(NEXT) | instid1(VALU_DEP_2)
	v_cvt_i32_f64_e32 v2, v[72:73]
	v_add_f64 v[25:26], v[52:53], v[25:26]
	v_add_f64 v[52:53], v[58:59], -v[54:55]
	s_delay_alu instid0(VALU_DEP_3) | instskip(NEXT) | instid1(VALU_DEP_3)
	v_cvt_f64_i32_e32 v[70:71], v2
	v_add_f64 v[23:24], v[23:24], v[25:26]
	s_delay_alu instid0(VALU_DEP_2) | instskip(NEXT) | instid1(VALU_DEP_2)
	v_add_f64 v[56:57], v[56:57], -v[70:71]
	v_add_f64 v[23:24], v[52:53], v[23:24]
	s_delay_alu instid0(VALU_DEP_2) | instskip(NEXT) | instid1(VALU_DEP_1)
	v_add_f64 v[62:63], v[60:61], v[56:57]
	v_add_f64 v[25:26], v[62:63], -v[56:57]
	v_cmp_le_f64_e64 s3, 0.5, v[62:63]
	s_delay_alu instid0(VALU_DEP_2) | instskip(NEXT) | instid1(VALU_DEP_2)
	v_add_f64 v[25:26], v[60:61], -v[25:26]
	v_add_co_ci_u32_e64 v52, s4, 0, v2, s3
	v_cndmask_b32_e64 v2, 0, 0x3ff00000, s3
	s_mov_b32 s4, s10
	s_delay_alu instid0(VALU_DEP_3) | instskip(NEXT) | instid1(VALU_DEP_2)
	v_add_f64 v[23:24], v[23:24], v[25:26]
	v_add_f64 v[25:26], v[62:63], -v[1:2]
	s_delay_alu instid0(VALU_DEP_1) | instskip(NEXT) | instid1(VALU_DEP_1)
	v_add_f64 v[53:54], v[25:26], v[23:24]
	v_mul_f64 v[55:56], v[53:54], s[4:5]
	v_add_f64 v[25:26], v[53:54], -v[25:26]
	s_delay_alu instid0(VALU_DEP_2) | instskip(NEXT) | instid1(VALU_DEP_2)
	v_fma_f64 v[57:58], v[53:54], s[4:5], -v[55:56]
	v_add_f64 v[23:24], v[23:24], -v[25:26]
	s_delay_alu instid0(VALU_DEP_2) | instskip(NEXT) | instid1(VALU_DEP_1)
	v_fma_f64 v[25:26], v[53:54], s[48:49], v[57:58]
	v_fma_f64 v[25:26], v[23:24], s[4:5], v[25:26]
	s_delay_alu instid0(VALU_DEP_1) | instskip(NEXT) | instid1(VALU_DEP_1)
	v_add_f64 v[23:24], v[55:56], v[25:26]
	v_add_f64 v[53:54], v[23:24], -v[55:56]
	s_delay_alu instid0(VALU_DEP_1)
	v_add_f64 v[25:26], v[25:26], -v[53:54]
	s_and_not1_saveexec_b32 s3, s46
	s_cbranch_execz .LBB104_47
.LBB104_52:                             ;   in Loop: Header=BB104_25 Depth=1
	v_mul_f64 v[23:24], |v[3:4]|, s[16:17]
	s_mov_b32 s46, s18
	s_delay_alu instid0(VALU_DEP_1) | instskip(NEXT) | instid1(VALU_DEP_1)
	v_rndne_f64_e32 v[52:53], v[23:24]
	v_fma_f64 v[23:24], v[52:53], s[10:11], |v[3:4]|
	v_mul_f64 v[25:26], v[52:53], s[18:19]
	s_delay_alu instid0(VALU_DEP_2) | instskip(NEXT) | instid1(VALU_DEP_2)
	v_fma_f64 v[56:57], v[52:53], s[18:19], v[23:24]
	v_add_f64 v[54:55], v[23:24], v[25:26]
	s_delay_alu instid0(VALU_DEP_1) | instskip(NEXT) | instid1(VALU_DEP_3)
	v_add_f64 v[23:24], v[23:24], -v[54:55]
	v_add_f64 v[54:55], v[54:55], -v[56:57]
	s_delay_alu instid0(VALU_DEP_2) | instskip(SKIP_1) | instid1(VALU_DEP_2)
	v_add_f64 v[23:24], v[23:24], v[25:26]
	v_fma_f64 v[25:26], v[52:53], s[46:47], v[25:26]
	v_add_f64 v[23:24], v[54:55], v[23:24]
	s_delay_alu instid0(VALU_DEP_1) | instskip(NEXT) | instid1(VALU_DEP_1)
	v_add_f64 v[23:24], v[23:24], -v[25:26]
	v_fma_f64 v[25:26], v[52:53], s[20:21], v[23:24]
	v_cvt_i32_f64_e32 v52, v[52:53]
	s_delay_alu instid0(VALU_DEP_2) | instskip(NEXT) | instid1(VALU_DEP_1)
	v_add_f64 v[23:24], v[56:57], v[25:26]
	v_add_f64 v[54:55], v[23:24], -v[56:57]
	s_delay_alu instid0(VALU_DEP_1) | instskip(SKIP_2) | instid1(SALU_CYCLE_1)
	v_add_f64 v[25:26], v[25:26], -v[54:55]
	s_or_b32 exec_lo, exec_lo, s3
	s_and_saveexec_b32 s3, s2
	s_xor_b32 s4, exec_lo, s3
	s_cbranch_execz .LBB104_48
.LBB104_53:                             ;   in Loop: Header=BB104_25 Depth=1
	v_mul_f64 v[53:54], v[11:12], v[11:12]
	v_mul_f64 v[63:64], v[13:14], 0.5
	s_mov_b32 s50, s34
	v_cmp_class_f64_e64 s3, v[9:10], 0x1f8
	v_and_b32_e32 v2, 1, v49
	v_lshlrev_b32_e32 v9, 30, v49
	s_delay_alu instid0(VALU_DEP_2) | instskip(NEXT) | instid1(VALU_DEP_2)
	v_cmp_eq_u32_e64 s2, 0, v2
	v_xor_b32_e32 v9, v9, v10
	s_delay_alu instid0(VALU_DEP_1) | instskip(SKIP_4) | instid1(VALU_DEP_4)
	v_and_b32_e32 v9, 0x80000000, v9
	v_fma_f64 v[55:56], v[53:54], s[38:39], s[36:37]
	v_fma_f64 v[57:58], v[53:54], s[24:25], s[22:23]
	v_mul_f64 v[59:60], v[53:54], 0.5
	v_mul_f64 v[65:66], v[11:12], -v[53:54]
	v_fma_f64 v[55:56], v[53:54], v[55:56], s[40:41]
	s_delay_alu instid0(VALU_DEP_4) | instskip(NEXT) | instid1(VALU_DEP_4)
	v_fma_f64 v[57:58], v[53:54], v[57:58], s[26:27]
	v_add_f64 v[61:62], -v[59:60], 1.0
	s_delay_alu instid0(VALU_DEP_3) | instskip(NEXT) | instid1(VALU_DEP_3)
	v_fma_f64 v[55:56], v[53:54], v[55:56], s[42:43]
	v_fma_f64 v[57:58], v[53:54], v[57:58], s[28:29]
	s_delay_alu instid0(VALU_DEP_3) | instskip(NEXT) | instid1(VALU_DEP_3)
	v_add_f64 v[67:68], -v[61:62], 1.0
	v_fma_f64 v[55:56], v[53:54], v[55:56], s[44:45]
	s_delay_alu instid0(VALU_DEP_3) | instskip(NEXT) | instid1(VALU_DEP_3)
	v_fma_f64 v[57:58], v[53:54], v[57:58], s[30:31]
	v_add_f64 v[59:60], v[67:68], -v[59:60]
	s_delay_alu instid0(VALU_DEP_3) | instskip(SKIP_1) | instid1(VALU_DEP_4)
	v_fma_f64 v[55:56], v[65:66], v[55:56], v[63:64]
	v_mul_f64 v[63:64], v[53:54], v[53:54]
	v_fma_f64 v[57:58], v[53:54], v[57:58], s[34:35]
	s_delay_alu instid0(VALU_DEP_4) | instskip(NEXT) | instid1(VALU_DEP_4)
	v_fma_f64 v[59:60], v[11:12], -v[13:14], v[59:60]
	v_fma_f64 v[13:14], v[53:54], v[55:56], -v[13:14]
	s_delay_alu instid0(VALU_DEP_2) | instskip(NEXT) | instid1(VALU_DEP_2)
	v_fma_f64 v[53:54], v[63:64], v[57:58], v[59:60]
	v_fma_f64 v[13:14], v[65:66], s[50:51], v[13:14]
	s_delay_alu instid0(VALU_DEP_2) | instskip(NEXT) | instid1(VALU_DEP_2)
	v_add_f64 v[53:54], v[61:62], v[53:54]
	v_add_f64 v[11:12], v[11:12], -v[13:14]
	s_delay_alu instid0(VALU_DEP_1) | instskip(NEXT) | instid1(VALU_DEP_2)
	v_cndmask_b32_e64 v10, v54, v12, s2
	v_cndmask_b32_e64 v2, v53, v11, s2
	v_add_co_u32 v11, s2, v29, s12
	s_delay_alu instid0(VALU_DEP_1) | instskip(NEXT) | instid1(VALU_DEP_4)
	v_add_co_ci_u32_e64 v12, s2, s13, v30, s2
	v_xor_b32_e32 v10, v10, v9
	s_delay_alu instid0(VALU_DEP_4) | instskip(NEXT) | instid1(VALU_DEP_2)
	v_cndmask_b32_e64 v9, 0, v2, s3
	v_cndmask_b32_e64 v10, 0x7ff80000, v10, s3
	global_store_b64 v[11:12], v[9:10], off
	s_or_b32 exec_lo, exec_lo, s4
	s_and_saveexec_b32 s3, s1
	s_cbranch_execz .LBB104_49
.LBB104_54:                             ;   in Loop: Header=BB104_25 Depth=1
	v_mul_f64 v[9:10], v[15:16], v[15:16]
	s_delay_alu instid0(VALU_DEP_4) | instskip(SKIP_4) | instid1(VALU_DEP_2)
	v_mul_f64 v[57:58], v[17:18], 0.5
	s_mov_b32 s50, s34
	v_cmp_class_f64_e64 s2, v[7:8], 0x1f8
	v_and_b32_e32 v2, 1, v50
	v_lshlrev_b32_e32 v7, 30, v50
	v_cmp_eq_u32_e64 s1, 0, v2
	s_delay_alu instid0(VALU_DEP_2) | instskip(NEXT) | instid1(VALU_DEP_1)
	v_xor_b32_e32 v7, v7, v8
	v_and_b32_e32 v7, 0x80000000, v7
	v_fma_f64 v[11:12], v[9:10], s[38:39], s[36:37]
	v_fma_f64 v[13:14], v[9:10], s[24:25], s[22:23]
	v_mul_f64 v[53:54], v[9:10], 0.5
	v_mul_f64 v[59:60], v[15:16], -v[9:10]
	s_delay_alu instid0(VALU_DEP_4) | instskip(NEXT) | instid1(VALU_DEP_4)
	v_fma_f64 v[11:12], v[9:10], v[11:12], s[40:41]
	v_fma_f64 v[13:14], v[9:10], v[13:14], s[26:27]
	s_delay_alu instid0(VALU_DEP_4) | instskip(NEXT) | instid1(VALU_DEP_3)
	v_add_f64 v[55:56], -v[53:54], 1.0
	v_fma_f64 v[11:12], v[9:10], v[11:12], s[42:43]
	s_delay_alu instid0(VALU_DEP_3) | instskip(NEXT) | instid1(VALU_DEP_3)
	v_fma_f64 v[13:14], v[9:10], v[13:14], s[28:29]
	v_add_f64 v[61:62], -v[55:56], 1.0
	s_delay_alu instid0(VALU_DEP_3) | instskip(NEXT) | instid1(VALU_DEP_3)
	v_fma_f64 v[11:12], v[9:10], v[11:12], s[44:45]
	v_fma_f64 v[13:14], v[9:10], v[13:14], s[30:31]
	s_delay_alu instid0(VALU_DEP_3) | instskip(NEXT) | instid1(VALU_DEP_3)
	v_add_f64 v[53:54], v[61:62], -v[53:54]
	v_fma_f64 v[11:12], v[59:60], v[11:12], v[57:58]
	v_mul_f64 v[57:58], v[9:10], v[9:10]
	s_delay_alu instid0(VALU_DEP_4) | instskip(NEXT) | instid1(VALU_DEP_4)
	v_fma_f64 v[13:14], v[9:10], v[13:14], s[34:35]
	v_fma_f64 v[53:54], v[15:16], -v[17:18], v[53:54]
	s_delay_alu instid0(VALU_DEP_4) | instskip(NEXT) | instid1(VALU_DEP_2)
	v_fma_f64 v[9:10], v[9:10], v[11:12], -v[17:18]
	v_fma_f64 v[11:12], v[57:58], v[13:14], v[53:54]
	s_delay_alu instid0(VALU_DEP_2) | instskip(NEXT) | instid1(VALU_DEP_2)
	v_fma_f64 v[9:10], v[59:60], s[50:51], v[9:10]
	v_add_f64 v[11:12], v[55:56], v[11:12]
	s_delay_alu instid0(VALU_DEP_2) | instskip(NEXT) | instid1(VALU_DEP_1)
	v_add_f64 v[9:10], v[15:16], -v[9:10]
	v_cndmask_b32_e64 v8, v12, v10, s1
	s_delay_alu instid0(VALU_DEP_2) | instskip(SKIP_1) | instid1(VALU_DEP_1)
	v_cndmask_b32_e64 v2, v11, v9, s1
	v_add_co_u32 v9, s1, v47, s12
	v_add_co_ci_u32_e64 v10, s1, s13, v48, s1
	s_delay_alu instid0(VALU_DEP_4) | instskip(NEXT) | instid1(VALU_DEP_4)
	v_xor_b32_e32 v8, v8, v7
	v_cndmask_b32_e64 v7, 0, v2, s2
	s_delay_alu instid0(VALU_DEP_2)
	v_cndmask_b32_e64 v8, 0x7ff80000, v8, s2
	global_store_b64 v[9:10], v[7:8], off
	s_or_b32 exec_lo, exec_lo, s3
	s_and_saveexec_b32 s2, s0
	s_cbranch_execz .LBB104_50
.LBB104_55:                             ;   in Loop: Header=BB104_25 Depth=1
	v_mul_f64 v[7:8], v[19:20], v[19:20]
	s_delay_alu instid0(VALU_DEP_3) | instskip(SKIP_4) | instid1(VALU_DEP_2)
	v_mul_f64 v[17:18], v[21:22], 0.5
	s_mov_b32 s50, s34
	v_cmp_class_f64_e64 s1, v[5:6], 0x1f8
	v_and_b32_e32 v2, 1, v51
	v_lshlrev_b32_e32 v5, 30, v51
	v_cmp_eq_u32_e64 s0, 0, v2
	s_delay_alu instid0(VALU_DEP_2) | instskip(NEXT) | instid1(VALU_DEP_1)
	v_xor_b32_e32 v5, v5, v6
	v_and_b32_e32 v5, 0x80000000, v5
	v_fma_f64 v[9:10], v[7:8], s[38:39], s[36:37]
	v_fma_f64 v[11:12], v[7:8], s[24:25], s[22:23]
	v_mul_f64 v[13:14], v[7:8], 0.5
	v_mul_f64 v[49:50], v[19:20], -v[7:8]
	s_delay_alu instid0(VALU_DEP_4) | instskip(NEXT) | instid1(VALU_DEP_4)
	v_fma_f64 v[9:10], v[7:8], v[9:10], s[40:41]
	v_fma_f64 v[11:12], v[7:8], v[11:12], s[26:27]
	s_delay_alu instid0(VALU_DEP_4) | instskip(NEXT) | instid1(VALU_DEP_3)
	v_add_f64 v[15:16], -v[13:14], 1.0
	v_fma_f64 v[9:10], v[7:8], v[9:10], s[42:43]
	s_delay_alu instid0(VALU_DEP_3) | instskip(NEXT) | instid1(VALU_DEP_3)
	v_fma_f64 v[11:12], v[7:8], v[11:12], s[28:29]
	v_add_f64 v[53:54], -v[15:16], 1.0
	s_delay_alu instid0(VALU_DEP_3) | instskip(NEXT) | instid1(VALU_DEP_3)
	v_fma_f64 v[9:10], v[7:8], v[9:10], s[44:45]
	v_fma_f64 v[11:12], v[7:8], v[11:12], s[30:31]
	s_delay_alu instid0(VALU_DEP_3) | instskip(NEXT) | instid1(VALU_DEP_3)
	v_add_f64 v[13:14], v[53:54], -v[13:14]
	v_fma_f64 v[9:10], v[49:50], v[9:10], v[17:18]
	v_mul_f64 v[17:18], v[7:8], v[7:8]
	s_delay_alu instid0(VALU_DEP_4) | instskip(NEXT) | instid1(VALU_DEP_4)
	v_fma_f64 v[11:12], v[7:8], v[11:12], s[34:35]
	v_fma_f64 v[13:14], v[19:20], -v[21:22], v[13:14]
	s_delay_alu instid0(VALU_DEP_4) | instskip(NEXT) | instid1(VALU_DEP_2)
	v_fma_f64 v[7:8], v[7:8], v[9:10], -v[21:22]
	v_fma_f64 v[9:10], v[17:18], v[11:12], v[13:14]
	s_delay_alu instid0(VALU_DEP_2) | instskip(NEXT) | instid1(VALU_DEP_2)
	v_fma_f64 v[7:8], v[49:50], s[50:51], v[7:8]
	v_add_f64 v[9:10], v[15:16], v[9:10]
	s_delay_alu instid0(VALU_DEP_2) | instskip(NEXT) | instid1(VALU_DEP_1)
	v_add_f64 v[7:8], v[19:20], -v[7:8]
	v_cndmask_b32_e64 v6, v10, v8, s0
	s_delay_alu instid0(VALU_DEP_2) | instskip(SKIP_1) | instid1(VALU_DEP_1)
	v_cndmask_b32_e64 v2, v9, v7, s0
	v_add_co_u32 v7, s0, v40, s12
	v_add_co_ci_u32_e64 v8, s0, s13, v41, s0
	s_delay_alu instid0(VALU_DEP_4) | instskip(NEXT) | instid1(VALU_DEP_4)
	v_xor_b32_e32 v6, v6, v5
	v_cndmask_b32_e64 v5, 0, v2, s1
	s_delay_alu instid0(VALU_DEP_2)
	v_cndmask_b32_e64 v6, 0x7ff80000, v6, s1
	global_store_b64 v[7:8], v[5:6], off
	s_or_b32 exec_lo, exec_lo, s2
	s_and_saveexec_b32 s1, vcc_lo
	s_cbranch_execz .LBB104_24
.LBB104_56:                             ;   in Loop: Header=BB104_25 Depth=1
	v_mul_f64 v[5:6], v[23:24], v[23:24]
	s_delay_alu instid0(VALU_DEP_2) | instskip(SKIP_4) | instid1(VALU_DEP_2)
	v_mul_f64 v[15:16], v[25:26], 0.5
	s_mov_b32 s50, s34
	v_cmp_class_f64_e64 s0, v[3:4], 0x1f8
	v_and_b32_e32 v2, 1, v52
	v_lshlrev_b32_e32 v3, 30, v52
	v_cmp_eq_u32_e32 vcc_lo, 0, v2
	s_delay_alu instid0(VALU_DEP_2) | instskip(SKIP_4) | instid1(VALU_DEP_4)
	v_xor_b32_e32 v3, v3, v4
	v_fma_f64 v[7:8], v[5:6], s[38:39], s[36:37]
	v_fma_f64 v[9:10], v[5:6], s[24:25], s[22:23]
	v_mul_f64 v[11:12], v[5:6], 0.5
	v_mul_f64 v[17:18], v[23:24], -v[5:6]
	v_fma_f64 v[7:8], v[5:6], v[7:8], s[40:41]
	s_delay_alu instid0(VALU_DEP_4) | instskip(NEXT) | instid1(VALU_DEP_4)
	v_fma_f64 v[9:10], v[5:6], v[9:10], s[26:27]
	v_add_f64 v[13:14], -v[11:12], 1.0
	s_delay_alu instid0(VALU_DEP_3) | instskip(NEXT) | instid1(VALU_DEP_3)
	v_fma_f64 v[7:8], v[5:6], v[7:8], s[42:43]
	v_fma_f64 v[9:10], v[5:6], v[9:10], s[28:29]
	s_delay_alu instid0(VALU_DEP_3) | instskip(NEXT) | instid1(VALU_DEP_3)
	v_add_f64 v[19:20], -v[13:14], 1.0
	v_fma_f64 v[7:8], v[5:6], v[7:8], s[44:45]
	s_delay_alu instid0(VALU_DEP_3) | instskip(NEXT) | instid1(VALU_DEP_3)
	v_fma_f64 v[9:10], v[5:6], v[9:10], s[30:31]
	v_add_f64 v[11:12], v[19:20], -v[11:12]
	s_delay_alu instid0(VALU_DEP_3) | instskip(SKIP_1) | instid1(VALU_DEP_4)
	v_fma_f64 v[7:8], v[17:18], v[7:8], v[15:16]
	v_mul_f64 v[15:16], v[5:6], v[5:6]
	v_fma_f64 v[9:10], v[5:6], v[9:10], s[34:35]
	s_delay_alu instid0(VALU_DEP_4) | instskip(NEXT) | instid1(VALU_DEP_4)
	v_fma_f64 v[11:12], v[23:24], -v[25:26], v[11:12]
	v_fma_f64 v[5:6], v[5:6], v[7:8], -v[25:26]
	s_delay_alu instid0(VALU_DEP_2) | instskip(NEXT) | instid1(VALU_DEP_2)
	v_fma_f64 v[7:8], v[15:16], v[9:10], v[11:12]
	v_fma_f64 v[5:6], v[17:18], s[50:51], v[5:6]
	s_delay_alu instid0(VALU_DEP_2) | instskip(NEXT) | instid1(VALU_DEP_2)
	v_add_f64 v[7:8], v[13:14], v[7:8]
	v_add_f64 v[5:6], v[23:24], -v[5:6]
	s_delay_alu instid0(VALU_DEP_1) | instskip(NEXT) | instid1(VALU_DEP_2)
	v_dual_cndmask_b32 v4, v8, v6 :: v_dual_and_b32 v3, 0x80000000, v3
	v_cndmask_b32_e32 v2, v7, v5, vcc_lo
	s_delay_alu instid0(VALU_DEP_2) | instskip(SKIP_1) | instid1(VALU_DEP_3)
	v_xor_b32_e32 v3, v4, v3
	v_add_co_u32 v4, vcc_lo, v33, s12
	v_cndmask_b32_e64 v2, 0, v2, s0
	v_add_co_ci_u32_e32 v5, vcc_lo, s13, v34, vcc_lo
	s_delay_alu instid0(VALU_DEP_4)
	v_cndmask_b32_e64 v3, 0x7ff80000, v3, s0
	global_store_b64 v[4:5], v[2:3], off
	s_branch .LBB104_24
.LBB104_57:
	s_nop 0
	s_sendmsg sendmsg(MSG_DEALLOC_VGPRS)
	s_endpgm
	.section	.rodata,"a",@progbits
	.p2align	6, 0x0
	.amdhsa_kernel _ZN2at6native12_GLOBAL__N_125multi_tensor_apply_kernelINS1_18TensorListMetadataILi2EEENS1_14UnaryOpFunctorIdLi2ELi1ELi1EEEJNS0_3SinIdEEEEEvT_T0_DpT1_
		.amdhsa_group_segment_fixed_size 0
		.amdhsa_private_segment_fixed_size 0
		.amdhsa_kernarg_size 3408
		.amdhsa_user_sgpr_count 15
		.amdhsa_user_sgpr_dispatch_ptr 0
		.amdhsa_user_sgpr_queue_ptr 0
		.amdhsa_user_sgpr_kernarg_segment_ptr 1
		.amdhsa_user_sgpr_dispatch_id 0
		.amdhsa_user_sgpr_private_segment_size 0
		.amdhsa_wavefront_size32 1
		.amdhsa_uses_dynamic_stack 0
		.amdhsa_enable_private_segment 0
		.amdhsa_system_sgpr_workgroup_id_x 1
		.amdhsa_system_sgpr_workgroup_id_y 0
		.amdhsa_system_sgpr_workgroup_id_z 0
		.amdhsa_system_sgpr_workgroup_info 0
		.amdhsa_system_vgpr_workitem_id 0
		.amdhsa_next_free_vgpr 94
		.amdhsa_next_free_sgpr 67
		.amdhsa_reserve_vcc 1
		.amdhsa_float_round_mode_32 0
		.amdhsa_float_round_mode_16_64 0
		.amdhsa_float_denorm_mode_32 3
		.amdhsa_float_denorm_mode_16_64 3
		.amdhsa_dx10_clamp 1
		.amdhsa_ieee_mode 1
		.amdhsa_fp16_overflow 0
		.amdhsa_workgroup_processor_mode 1
		.amdhsa_memory_ordered 1
		.amdhsa_forward_progress 0
		.amdhsa_shared_vgpr_count 0
		.amdhsa_exception_fp_ieee_invalid_op 0
		.amdhsa_exception_fp_denorm_src 0
		.amdhsa_exception_fp_ieee_div_zero 0
		.amdhsa_exception_fp_ieee_overflow 0
		.amdhsa_exception_fp_ieee_underflow 0
		.amdhsa_exception_fp_ieee_inexact 0
		.amdhsa_exception_int_div_zero 0
	.end_amdhsa_kernel
	.section	.text._ZN2at6native12_GLOBAL__N_125multi_tensor_apply_kernelINS1_18TensorListMetadataILi2EEENS1_14UnaryOpFunctorIdLi2ELi1ELi1EEEJNS0_3SinIdEEEEEvT_T0_DpT1_,"axG",@progbits,_ZN2at6native12_GLOBAL__N_125multi_tensor_apply_kernelINS1_18TensorListMetadataILi2EEENS1_14UnaryOpFunctorIdLi2ELi1ELi1EEEJNS0_3SinIdEEEEEvT_T0_DpT1_,comdat
.Lfunc_end104:
	.size	_ZN2at6native12_GLOBAL__N_125multi_tensor_apply_kernelINS1_18TensorListMetadataILi2EEENS1_14UnaryOpFunctorIdLi2ELi1ELi1EEEJNS0_3SinIdEEEEEvT_T0_DpT1_, .Lfunc_end104-_ZN2at6native12_GLOBAL__N_125multi_tensor_apply_kernelINS1_18TensorListMetadataILi2EEENS1_14UnaryOpFunctorIdLi2ELi1ELi1EEEJNS0_3SinIdEEEEEvT_T0_DpT1_
                                        ; -- End function
	.section	.AMDGPU.csdata,"",@progbits
; Kernel info:
; codeLenInByte = 11432
; NumSgprs: 69
; NumVgprs: 94
; ScratchSize: 0
; MemoryBound: 0
; FloatMode: 240
; IeeeMode: 1
; LDSByteSize: 0 bytes/workgroup (compile time only)
; SGPRBlocks: 8
; VGPRBlocks: 11
; NumSGPRsForWavesPerEU: 69
; NumVGPRsForWavesPerEU: 94
; Occupancy: 16
; WaveLimiterHint : 0
; COMPUTE_PGM_RSRC2:SCRATCH_EN: 0
; COMPUTE_PGM_RSRC2:USER_SGPR: 15
; COMPUTE_PGM_RSRC2:TRAP_HANDLER: 0
; COMPUTE_PGM_RSRC2:TGID_X_EN: 1
; COMPUTE_PGM_RSRC2:TGID_Y_EN: 0
; COMPUTE_PGM_RSRC2:TGID_Z_EN: 0
; COMPUTE_PGM_RSRC2:TIDIG_COMP_CNT: 0
	.section	.text._ZN2at6native12_GLOBAL__N_125multi_tensor_apply_kernelINS1_18TensorListMetadataILi2EEENS1_14UnaryOpFunctorIfLi2ELi1ELi1EEEJNS0_3SinIfEEEEEvT_T0_DpT1_,"axG",@progbits,_ZN2at6native12_GLOBAL__N_125multi_tensor_apply_kernelINS1_18TensorListMetadataILi2EEENS1_14UnaryOpFunctorIfLi2ELi1ELi1EEEJNS0_3SinIfEEEEEvT_T0_DpT1_,comdat
	.globl	_ZN2at6native12_GLOBAL__N_125multi_tensor_apply_kernelINS1_18TensorListMetadataILi2EEENS1_14UnaryOpFunctorIfLi2ELi1ELi1EEEJNS0_3SinIfEEEEEvT_T0_DpT1_ ; -- Begin function _ZN2at6native12_GLOBAL__N_125multi_tensor_apply_kernelINS1_18TensorListMetadataILi2EEENS1_14UnaryOpFunctorIfLi2ELi1ELi1EEEJNS0_3SinIfEEEEEvT_T0_DpT1_
	.p2align	8
	.type	_ZN2at6native12_GLOBAL__N_125multi_tensor_apply_kernelINS1_18TensorListMetadataILi2EEENS1_14UnaryOpFunctorIfLi2ELi1ELi1EEEJNS0_3SinIfEEEEEvT_T0_DpT1_,@function
_ZN2at6native12_GLOBAL__N_125multi_tensor_apply_kernelINS1_18TensorListMetadataILi2EEENS1_14UnaryOpFunctorIfLi2ELi1ELi1EEEJNS0_3SinIfEEEEEvT_T0_DpT1_: ; @_ZN2at6native12_GLOBAL__N_125multi_tensor_apply_kernelINS1_18TensorListMetadataILi2EEENS1_14UnaryOpFunctorIfLi2ELi1ELi1EEEJNS0_3SinIfEEEEEvT_T0_DpT1_
; %bb.0:
	v_mov_b32_e32 v1, s15
	s_add_u32 s2, s0, s15
	s_mul_hi_u32 s3, s15, 3
	s_mul_i32 s15, s15, 3
	s_addc_u32 s4, s1, 0
	global_load_u8 v1, v1, s[0:1] offset:1536
	s_add_u32 s2, s2, s15
	s_addc_u32 s3, s4, s3
	s_mov_b32 s19, 0
	s_load_b32 s2, s[2:3], 0x740
	s_mov_b32 s21, s19
	s_mov_b32 s23, s19
	s_waitcnt vmcnt(0)
	v_readfirstlane_b32 s5, v1
	s_delay_alu instid0(VALU_DEP_1)
	s_lshl_b32 s3, s5, 3
	s_clause 0x2
	s_load_b64 s[6:7], s[0:1], s3 offset:0x0
	s_load_b64 s[14:15], s[0:1], s3 offset:0x200
	;; [unrolled: 1-line block ×3, first 2 shown]
	s_waitcnt lgkmcnt(0)
	s_ashr_i32 s3, s2, 31
	s_delay_alu instid0(SALU_CYCLE_1) | instskip(NEXT) | instid1(SALU_CYCLE_1)
	s_lshl_b64 s[8:9], s[2:3], 18
	s_add_u32 s5, s6, s8
	s_addc_u32 s12, s7, s9
	s_and_b32 s18, s5, 15
	s_add_u32 s13, s14, s8
	s_addc_u32 s16, s15, s9
	s_and_b32 s20, s10, 3
	s_and_b32 s22, s13, 15
	s_or_b64 s[18:19], s[18:19], s[20:21]
	s_lshl_b64 s[2:3], s[2:3], 16
	s_or_b64 s[18:19], s[22:23], s[18:19]
	s_sub_u32 s10, s10, s2
	s_subb_u32 s11, s11, s3
	s_cmp_eq_u64 s[18:19], 0
	s_mov_b32 s2, -1
	s_cbranch_scc0 .LBB105_21
; %bb.1:
	v_dual_mov_b32 v6, 0 :: v_dual_lshlrev_b32 v5, 2, v0
	s_mov_b32 s17, exec_lo
	s_delay_alu instid0(VALU_DEP_1)
	v_cmpx_gt_i64_e64 s[10:11], v[5:6]
	s_cbranch_execz .LBB105_20
; %bb.2:
	s_load_b32 s2, s[0:1], 0xc5c
	s_mov_b32 s18, 0
	s_mov_b32 s21, 0x7fffff
	;; [unrolled: 1-line block ×4, first 2 shown]
	s_waitcnt lgkmcnt(0)
	s_and_b32 s2, s2, 0xffff
	s_delay_alu instid0(SALU_CYCLE_1) | instskip(SKIP_3) | instid1(VALU_DEP_2)
	v_add_lshl_u32 v5, v0, s2, 2
	v_dual_mov_b32 v8, v6 :: v_dual_lshlrev_b32 v9, 4, v0
	s_lshl_b32 s19, s2, 2
	s_lshl_b32 s20, s2, 4
	v_mov_b32_e32 v7, v5
	s_branch .LBB105_4
.LBB105_3:                              ;   in Loop: Header=BB105_4 Depth=1
	s_or_b32 exec_lo, exec_lo, s2
	v_dual_mul_f32 v21, v18, v18 :: v_dual_and_b32 v22, 1, v19
	v_lshlrev_b32_e32 v19, 30, v19
	v_xor_b32_e32 v16, v16, v3
	v_xor_b32_e32 v13, v13, v2
	s_delay_alu instid0(VALU_DEP_4) | instskip(SKIP_3) | instid1(VALU_DEP_4)
	v_fmaak_f32 v24, s23, v21, 0xbab64f3b
	v_dual_fmaak_f32 v23, s22, v21, 0x3c0881c4 :: v_dual_and_b32 v26, 1, v15
	v_mul_f32_e32 v25, v14, v14
	v_cmp_eq_u32_e32 vcc_lo, 0, v22
	v_fmaak_f32 v24, v21, v24, 0x3d2aabf7
	s_delay_alu instid0(VALU_DEP_4) | instskip(SKIP_2) | instid1(VALU_DEP_4)
	v_fmaak_f32 v23, v21, v23, 0xbe2aaa9d
	v_mul_f32_e32 v27, v11, v11
	v_dual_fmaak_f32 v28, s22, v25, 0x3c0881c4 :: v_dual_lshlrev_b32 v15, 30, v15
	v_fmaak_f32 v24, v21, v24, 0xbf000004
	s_delay_alu instid0(VALU_DEP_4)
	v_mul_f32_e32 v23, v21, v23
	v_fmaak_f32 v29, s23, v25, 0xbab64f3b
	v_xor_b32_e32 v10, v10, v1
	v_cmp_lt_u64_e64 s2, 0xffff, v[7:8]
	v_fma_f32 v21, v21, v24, 1.0
	v_fmac_f32_e32 v18, v18, v23
	v_fmaak_f32 v23, s22, v27, 0x3c0881c4
	v_fmaak_f32 v28, v25, v28, 0xbe2aaa9d
	v_cmp_class_f32_e64 s3, v4, 0x1f8
	s_delay_alu instid0(VALU_DEP_4) | instskip(NEXT) | instid1(VALU_DEP_4)
	v_dual_cndmask_b32 v18, v21, v18 :: v_dual_and_b32 v15, 0x80000000, v15
	v_fmaak_f32 v23, v27, v23, 0xbe2aaa9d
	s_delay_alu instid0(VALU_DEP_4) | instskip(SKIP_2) | instid1(VALU_DEP_3)
	v_dual_mul_f32 v24, v25, v28 :: v_dual_and_b32 v19, 0x80000000, v19
	v_fmaak_f32 v21, s23, v27, 0xbab64f3b
	v_cmp_eq_u32_e32 vcc_lo, 0, v26
	v_xor3_b32 v16, v16, v19, v18
	v_mul_f32_e32 v18, v5, v5
	s_delay_alu instid0(VALU_DEP_4) | instskip(SKIP_1) | instid1(VALU_DEP_3)
	v_fmaak_f32 v19, v27, v21, 0x3d2aabf7
	v_dual_mul_f32 v21, v27, v23 :: v_dual_fmac_f32 v14, v14, v24
	v_fmaak_f32 v23, s23, v18, 0xbab64f3b
	v_fmaak_f32 v29, v25, v29, 0x3d2aabf7
	s_delay_alu instid0(VALU_DEP_1) | instskip(NEXT) | instid1(VALU_DEP_1)
	v_dual_fmaak_f32 v19, v27, v19, 0xbf000004 :: v_dual_fmaak_f32 v28, v25, v29, 0xbf000004
	v_fma_f32 v19, v27, v19, 1.0
	s_delay_alu instid0(VALU_DEP_2) | instskip(NEXT) | instid1(VALU_DEP_1)
	v_fma_f32 v22, v25, v28, 1.0
	v_cndmask_b32_e32 v14, v22, v14, vcc_lo
	v_dual_fmaak_f32 v22, s22, v18, 0x3c0881c4 :: v_dual_fmac_f32 v11, v11, v21
	s_delay_alu instid0(VALU_DEP_2) | instskip(NEXT) | instid1(VALU_DEP_2)
	v_xor3_b32 v13, v13, v15, v14
	v_fmaak_f32 v21, v18, v22, 0xbe2aaa9d
	s_delay_alu instid0(VALU_DEP_1) | instskip(SKIP_1) | instid1(VALU_DEP_2)
	v_mul_f32_e32 v14, v18, v21
	v_dual_fmaak_f32 v22, v18, v23, 0x3d2aabf7 :: v_dual_and_b32 v23, 1, v12
	v_dual_fmac_f32 v5, v5, v14 :: v_dual_lshlrev_b32 v12, 30, v12
	s_delay_alu instid0(VALU_DEP_2) | instskip(NEXT) | instid1(VALU_DEP_3)
	v_fmaak_f32 v15, v18, v22, 0xbf000004
	v_cmp_eq_u32_e32 vcc_lo, 0, v23
	v_and_b32_e32 v14, 1, v20
	s_delay_alu instid0(VALU_DEP_4) | instskip(NEXT) | instid1(VALU_DEP_4)
	v_and_b32_e32 v12, 0x80000000, v12
	v_fma_f32 v15, v18, v15, 1.0
	v_dual_cndmask_b32 v11, v19, v11 :: v_dual_lshlrev_b32 v18, 30, v20
	s_delay_alu instid0(VALU_DEP_4) | instskip(NEXT) | instid1(VALU_DEP_2)
	v_cmp_eq_u32_e32 vcc_lo, 0, v14
	v_and_b32_e32 v14, 0x80000000, v18
	s_delay_alu instid0(VALU_DEP_3)
	v_xor3_b32 v10, v10, v12, v11
	v_cndmask_b32_e32 v5, v15, v5, vcc_lo
	v_cmp_class_f32_e64 vcc_lo, v3, 0x1f8
	v_xor_b32_e32 v15, v17, v4
	v_cndmask_b32_e32 v3, 0x7fc00000, v16, vcc_lo
	v_cmp_class_f32_e64 vcc_lo, v2, 0x1f8
	s_delay_alu instid0(VALU_DEP_3) | instskip(SKIP_2) | instid1(VALU_DEP_3)
	v_xor3_b32 v5, v15, v14, v5
	v_cndmask_b32_e32 v2, 0x7fc00000, v13, vcc_lo
	v_cmp_class_f32_e64 vcc_lo, v1, 0x1f8
	v_cndmask_b32_e64 v4, 0x7fc00000, v5, s3
	v_cndmask_b32_e32 v1, 0x7fc00000, v10, vcc_lo
	v_cmp_le_i64_e32 vcc_lo, s[10:11], v[7:8]
	v_add_co_u32 v10, s3, s13, v9
	s_delay_alu instid0(VALU_DEP_1)
	v_add_co_ci_u32_e64 v11, null, s16, 0, s3
	s_or_b32 s2, vcc_lo, s2
	s_add_u32 s5, s5, s20
	v_add_co_u32 v7, vcc_lo, v7, s19
	s_addc_u32 s12, s12, 0
	s_add_u32 s13, s13, s20
	v_add_co_ci_u32_e32 v8, vcc_lo, 0, v8, vcc_lo
	s_addc_u32 s16, s16, 0
	s_and_b32 s2, exec_lo, s2
	global_store_b128 v[10:11], v[1:4], off
	s_or_b32 s18, s2, s18
	s_delay_alu instid0(SALU_CYCLE_1)
	s_and_not1_b32 exec_lo, exec_lo, s18
	s_cbranch_execz .LBB105_20
.LBB105_4:                              ; =>This Inner Loop Header: Depth=1
	v_add_co_u32 v1, s2, s5, v9
	s_delay_alu instid0(VALU_DEP_1)
	v_add_co_ci_u32_e64 v2, null, s12, 0, s2
                                        ; implicit-def: $vgpr12
                                        ; implicit-def: $vgpr11
	s_mov_b32 s3, exec_lo
	global_load_b128 v[1:4], v[1:2], off
	s_waitcnt vmcnt(0)
	v_and_b32_e32 v10, 0x7fffffff, v1
	v_cmpx_ngt_f32_e64 0x48000000, |v1|
	s_xor_b32 s24, exec_lo, s3
	s_cbranch_execz .LBB105_6
; %bb.5:                                ;   in Loop: Header=BB105_4 Depth=1
	s_delay_alu instid0(VALU_DEP_2) | instskip(SKIP_1) | instid1(VALU_DEP_2)
	v_lshrrev_b32_e32 v16, 23, v10
	v_and_or_b32 v19, v10, s21, 0x800000
	v_add_nc_u32_e32 v17, 0xffffff88, v16
	s_delay_alu instid0(VALU_DEP_2) | instskip(NEXT) | instid1(VALU_DEP_2)
	v_mad_u64_u32 v[11:12], null, 0xfe5163ab, v19, 0
	v_cmp_lt_u32_e32 vcc_lo, 63, v17
	v_cndmask_b32_e64 v18, 0, 0xffffffc0, vcc_lo
	s_delay_alu instid0(VALU_DEP_1) | instskip(NEXT) | instid1(VALU_DEP_1)
	v_dual_mov_b32 v5, v12 :: v_dual_add_nc_u32 v18, v18, v17
	v_mad_u64_u32 v[12:13], null, 0x3c439041, v19, v[5:6]
	s_delay_alu instid0(VALU_DEP_2) | instskip(NEXT) | instid1(VALU_DEP_1)
	v_cmp_lt_u32_e64 s2, 31, v18
	v_cndmask_b32_e64 v20, 0, 0xffffffe0, s2
	s_delay_alu instid0(VALU_DEP_1) | instskip(NEXT) | instid1(VALU_DEP_1)
	v_dual_mov_b32 v5, v13 :: v_dual_add_nc_u32 v20, v20, v18
	v_mad_u64_u32 v[13:14], null, 0xdb629599, v19, v[5:6]
	s_delay_alu instid0(VALU_DEP_2) | instskip(NEXT) | instid1(VALU_DEP_2)
	v_cmp_lt_u32_e64 s3, 31, v20
	v_mov_b32_e32 v5, v14
	s_delay_alu instid0(VALU_DEP_3) | instskip(NEXT) | instid1(VALU_DEP_2)
	v_cndmask_b32_e32 v11, v13, v11, vcc_lo
	v_mad_u64_u32 v[14:15], null, 0xf534ddc0, v19, v[5:6]
	s_delay_alu instid0(VALU_DEP_1) | instskip(NEXT) | instid1(VALU_DEP_1)
	v_dual_mov_b32 v5, v15 :: v_dual_cndmask_b32 v12, v14, v12
	v_mad_u64_u32 v[15:16], null, 0xfc2757d1, v19, v[5:6]
	s_delay_alu instid0(VALU_DEP_2) | instskip(NEXT) | instid1(VALU_DEP_2)
	v_cndmask_b32_e64 v11, v12, v11, s2
	v_mov_b32_e32 v5, v16
	s_delay_alu instid0(VALU_DEP_1) | instskip(NEXT) | instid1(VALU_DEP_1)
	v_mad_u64_u32 v[16:17], null, 0x4e441529, v19, v[5:6]
	v_mov_b32_e32 v5, v17
	s_delay_alu instid0(VALU_DEP_1) | instskip(SKIP_1) | instid1(VALU_DEP_4)
	v_mad_u64_u32 v[17:18], null, 0xa2f9836e, v19, v[5:6]
	v_cndmask_b32_e64 v5, 0, 0xffffffe0, s3
	v_cndmask_b32_e32 v19, v16, v14, vcc_lo
	s_delay_alu instid0(VALU_DEP_2) | instskip(NEXT) | instid1(VALU_DEP_4)
	v_add_nc_u32_e32 v5, v5, v20
	v_dual_cndmask_b32 v17, v17, v15 :: v_dual_cndmask_b32 v16, v18, v16
	v_cndmask_b32_e32 v15, v15, v13, vcc_lo
	s_delay_alu instid0(VALU_DEP_3) | instskip(NEXT) | instid1(VALU_DEP_3)
	v_sub_nc_u32_e32 v18, 32, v5
	v_cndmask_b32_e64 v14, v17, v19, s2
	s_delay_alu instid0(VALU_DEP_4) | instskip(NEXT) | instid1(VALU_DEP_4)
	v_cndmask_b32_e64 v16, v16, v17, s2
	v_cndmask_b32_e64 v17, v19, v15, s2
	;; [unrolled: 1-line block ×3, first 2 shown]
	v_cmp_eq_u32_e64 s4, 0, v5
	s_delay_alu instid0(VALU_DEP_4) | instskip(NEXT) | instid1(VALU_DEP_4)
	v_cndmask_b32_e64 v16, v16, v14, s3
	v_cndmask_b32_e64 v14, v14, v17, s3
	s_delay_alu instid0(VALU_DEP_4) | instskip(SKIP_1) | instid1(VALU_DEP_3)
	v_cndmask_b32_e64 v17, v17, v15, s3
	v_cndmask_b32_e64 v11, v15, v11, s3
	v_alignbit_b32 v19, v16, v14, v18
	s_delay_alu instid0(VALU_DEP_3) | instskip(NEXT) | instid1(VALU_DEP_3)
	v_alignbit_b32 v20, v14, v17, v18
	v_alignbit_b32 v18, v17, v11, v18
	s_delay_alu instid0(VALU_DEP_3) | instskip(NEXT) | instid1(VALU_DEP_3)
	v_cndmask_b32_e64 v5, v19, v16, s4
	v_cndmask_b32_e64 v13, v20, v14, s4
	s_delay_alu instid0(VALU_DEP_3) | instskip(NEXT) | instid1(VALU_DEP_3)
	v_cndmask_b32_e64 v17, v18, v17, s4
	v_bfe_u32 v14, v5, 29, 1
	s_delay_alu instid0(VALU_DEP_3) | instskip(NEXT) | instid1(VALU_DEP_3)
	v_alignbit_b32 v12, v5, v13, 30
	v_alignbit_b32 v13, v13, v17, 30
	;; [unrolled: 1-line block ×3, first 2 shown]
	s_delay_alu instid0(VALU_DEP_4) | instskip(NEXT) | instid1(VALU_DEP_1)
	v_sub_nc_u32_e32 v16, 0, v14
	v_xor_b32_e32 v15, v12, v16
	v_cmp_ne_u32_e32 vcc_lo, v12, v16
	v_xor_b32_e32 v13, v13, v16
	v_xor_b32_e32 v11, v11, v16
	s_delay_alu instid0(VALU_DEP_4) | instskip(NEXT) | instid1(VALU_DEP_1)
	v_clz_i32_u32_e32 v19, v15
	v_add_nc_u32_e32 v18, 1, v19
	s_delay_alu instid0(VALU_DEP_1) | instskip(NEXT) | instid1(VALU_DEP_1)
	v_cndmask_b32_e32 v12, 33, v18, vcc_lo
	v_sub_nc_u32_e32 v17, 32, v12
	s_delay_alu instid0(VALU_DEP_1) | instskip(SKIP_3) | instid1(VALU_DEP_3)
	v_alignbit_b32 v15, v15, v13, v17
	v_alignbit_b32 v11, v13, v11, v17
	v_lshrrev_b32_e32 v13, 29, v5
	v_lshrrev_b32_e32 v5, 30, v5
	v_alignbit_b32 v16, v15, v11, 9
	s_delay_alu instid0(VALU_DEP_3) | instskip(SKIP_1) | instid1(VALU_DEP_3)
	v_lshlrev_b32_e32 v13, 31, v13
	v_alignbit_b32 v15, v12, v15, 9
	v_clz_i32_u32_e32 v17, v16
	s_delay_alu instid0(VALU_DEP_2) | instskip(SKIP_1) | instid1(VALU_DEP_3)
	v_or_b32_e32 v15, v15, v13
	v_or_b32_e32 v13, 0x33800000, v13
	v_min_u32_e32 v17, 32, v17
	s_delay_alu instid0(VALU_DEP_3) | instskip(NEXT) | instid1(VALU_DEP_2)
	v_xor_b32_e32 v15, 1.0, v15
	v_sub_nc_u32_e32 v18, 31, v17
	v_add_lshl_u32 v12, v17, v12, 23
	s_delay_alu instid0(VALU_DEP_3) | instskip(NEXT) | instid1(VALU_DEP_3)
	v_mul_f32_e32 v17, 0x3fc90fda, v15
	v_alignbit_b32 v11, v16, v11, v18
	s_delay_alu instid0(VALU_DEP_3) | instskip(NEXT) | instid1(VALU_DEP_3)
	v_sub_nc_u32_e32 v12, v13, v12
	v_fma_f32 v13, 0x3fc90fda, v15, -v17
	s_delay_alu instid0(VALU_DEP_3) | instskip(NEXT) | instid1(VALU_DEP_2)
	v_lshrrev_b32_e32 v11, 9, v11
	v_fmac_f32_e32 v13, 0x33a22168, v15
	s_delay_alu instid0(VALU_DEP_2) | instskip(NEXT) | instid1(VALU_DEP_1)
	v_or_b32_e32 v11, v12, v11
	v_dual_fmac_f32 v13, 0x3fc90fda, v11 :: v_dual_add_nc_u32 v12, v14, v5
	s_delay_alu instid0(VALU_DEP_1)
	v_add_f32_e32 v11, v17, v13
.LBB105_6:                              ;   in Loop: Header=BB105_4 Depth=1
	s_and_not1_saveexec_b32 s2, s24
; %bb.7:                                ;   in Loop: Header=BB105_4 Depth=1
	v_mul_f32_e64 v5, 0x3f22f983, |v1|
	s_delay_alu instid0(VALU_DEP_1) | instskip(NEXT) | instid1(VALU_DEP_1)
	v_rndne_f32_e32 v5, v5
	v_fma_f32 v11, 0xbfc90fda, v5, |v1|
	v_cvt_i32_f32_e32 v12, v5
	s_delay_alu instid0(VALU_DEP_2) | instskip(NEXT) | instid1(VALU_DEP_1)
	v_fmac_f32_e32 v11, 0xb3a22168, v5
	v_fmac_f32_e32 v11, 0xa7c234c4, v5
; %bb.8:                                ;   in Loop: Header=BB105_4 Depth=1
	s_or_b32 exec_lo, exec_lo, s2
	v_and_b32_e32 v13, 0x7fffffff, v2
                                        ; implicit-def: $vgpr15
                                        ; implicit-def: $vgpr14
	s_mov_b32 s3, exec_lo
	v_cmpx_ngt_f32_e64 0x48000000, |v2|
	s_xor_b32 s24, exec_lo, s3
	s_cbranch_execz .LBB105_10
; %bb.9:                                ;   in Loop: Header=BB105_4 Depth=1
	v_and_or_b32 v22, v13, s21, 0x800000
	v_lshrrev_b32_e32 v19, 23, v13
	s_delay_alu instid0(VALU_DEP_2) | instskip(NEXT) | instid1(VALU_DEP_2)
	v_mad_u64_u32 v[14:15], null, 0xfe5163ab, v22, 0
	v_add_nc_u32_e32 v20, 0xffffff88, v19
	s_delay_alu instid0(VALU_DEP_1) | instskip(NEXT) | instid1(VALU_DEP_3)
	v_cmp_lt_u32_e32 vcc_lo, 63, v20
	v_mov_b32_e32 v5, v15
	v_cndmask_b32_e64 v21, 0, 0xffffffc0, vcc_lo
	s_delay_alu instid0(VALU_DEP_2) | instskip(NEXT) | instid1(VALU_DEP_2)
	v_mad_u64_u32 v[15:16], null, 0x3c439041, v22, v[5:6]
	v_add_nc_u32_e32 v21, v21, v20
	s_delay_alu instid0(VALU_DEP_2) | instskip(NEXT) | instid1(VALU_DEP_2)
	v_mov_b32_e32 v5, v16
	v_cmp_lt_u32_e64 s2, 31, v21
	s_delay_alu instid0(VALU_DEP_2) | instskip(NEXT) | instid1(VALU_DEP_2)
	v_mad_u64_u32 v[16:17], null, 0xdb629599, v22, v[5:6]
	v_cndmask_b32_e64 v23, 0, 0xffffffe0, s2
	s_delay_alu instid0(VALU_DEP_1) | instskip(NEXT) | instid1(VALU_DEP_3)
	v_add_nc_u32_e32 v23, v23, v21
	v_dual_mov_b32 v5, v17 :: v_dual_cndmask_b32 v14, v16, v14
	s_delay_alu instid0(VALU_DEP_2) | instskip(NEXT) | instid1(VALU_DEP_2)
	v_cmp_lt_u32_e64 s3, 31, v23
	v_mad_u64_u32 v[17:18], null, 0xf534ddc0, v22, v[5:6]
	s_delay_alu instid0(VALU_DEP_1) | instskip(NEXT) | instid1(VALU_DEP_2)
	v_mov_b32_e32 v5, v18
	v_cndmask_b32_e32 v15, v17, v15, vcc_lo
	s_delay_alu instid0(VALU_DEP_2) | instskip(NEXT) | instid1(VALU_DEP_2)
	v_mad_u64_u32 v[18:19], null, 0xfc2757d1, v22, v[5:6]
	v_cndmask_b32_e64 v14, v15, v14, s2
	s_delay_alu instid0(VALU_DEP_2) | instskip(NEXT) | instid1(VALU_DEP_1)
	v_mov_b32_e32 v5, v19
	v_mad_u64_u32 v[19:20], null, 0x4e441529, v22, v[5:6]
	s_delay_alu instid0(VALU_DEP_1) | instskip(NEXT) | instid1(VALU_DEP_1)
	v_mov_b32_e32 v5, v20
	v_mad_u64_u32 v[20:21], null, 0xa2f9836e, v22, v[5:6]
	v_cndmask_b32_e64 v5, 0, 0xffffffe0, s3
	s_delay_alu instid0(VALU_DEP_1) | instskip(NEXT) | instid1(VALU_DEP_3)
	v_dual_cndmask_b32 v22, v19, v17 :: v_dual_add_nc_u32 v5, v5, v23
	v_dual_cndmask_b32 v20, v20, v18 :: v_dual_cndmask_b32 v19, v21, v19
	v_cndmask_b32_e32 v18, v18, v16, vcc_lo
	s_delay_alu instid0(VALU_DEP_3) | instskip(NEXT) | instid1(VALU_DEP_3)
	v_sub_nc_u32_e32 v21, 32, v5
	v_cndmask_b32_e64 v17, v20, v22, s2
	s_delay_alu instid0(VALU_DEP_4) | instskip(NEXT) | instid1(VALU_DEP_4)
	v_cndmask_b32_e64 v19, v19, v20, s2
	v_cndmask_b32_e64 v20, v22, v18, s2
	v_cndmask_b32_e64 v18, v18, v15, s2
	v_cmp_eq_u32_e64 s4, 0, v5
	s_delay_alu instid0(VALU_DEP_4) | instskip(NEXT) | instid1(VALU_DEP_4)
	v_cndmask_b32_e64 v19, v19, v17, s3
	v_cndmask_b32_e64 v17, v17, v20, s3
	s_delay_alu instid0(VALU_DEP_4) | instskip(SKIP_1) | instid1(VALU_DEP_3)
	v_cndmask_b32_e64 v20, v20, v18, s3
	v_cndmask_b32_e64 v14, v18, v14, s3
	v_alignbit_b32 v22, v19, v17, v21
	s_delay_alu instid0(VALU_DEP_3) | instskip(NEXT) | instid1(VALU_DEP_3)
	v_alignbit_b32 v23, v17, v20, v21
	v_alignbit_b32 v21, v20, v14, v21
	s_delay_alu instid0(VALU_DEP_3) | instskip(NEXT) | instid1(VALU_DEP_3)
	v_cndmask_b32_e64 v5, v22, v19, s4
	v_cndmask_b32_e64 v16, v23, v17, s4
	s_delay_alu instid0(VALU_DEP_3) | instskip(NEXT) | instid1(VALU_DEP_3)
	v_cndmask_b32_e64 v20, v21, v20, s4
	v_bfe_u32 v17, v5, 29, 1
	s_delay_alu instid0(VALU_DEP_3) | instskip(NEXT) | instid1(VALU_DEP_3)
	v_alignbit_b32 v15, v5, v16, 30
	v_alignbit_b32 v16, v16, v20, 30
	;; [unrolled: 1-line block ×3, first 2 shown]
	s_delay_alu instid0(VALU_DEP_4) | instskip(NEXT) | instid1(VALU_DEP_1)
	v_sub_nc_u32_e32 v19, 0, v17
	v_xor_b32_e32 v18, v15, v19
	v_cmp_ne_u32_e32 vcc_lo, v15, v19
	v_xor_b32_e32 v16, v16, v19
	v_xor_b32_e32 v14, v14, v19
	s_delay_alu instid0(VALU_DEP_4) | instskip(NEXT) | instid1(VALU_DEP_1)
	v_clz_i32_u32_e32 v22, v18
	v_add_nc_u32_e32 v21, 1, v22
	s_delay_alu instid0(VALU_DEP_1) | instskip(NEXT) | instid1(VALU_DEP_1)
	v_cndmask_b32_e32 v15, 33, v21, vcc_lo
	v_sub_nc_u32_e32 v20, 32, v15
	s_delay_alu instid0(VALU_DEP_1) | instskip(SKIP_3) | instid1(VALU_DEP_3)
	v_alignbit_b32 v18, v18, v16, v20
	v_alignbit_b32 v14, v16, v14, v20
	v_lshrrev_b32_e32 v16, 29, v5
	v_lshrrev_b32_e32 v5, 30, v5
	v_alignbit_b32 v19, v18, v14, 9
	s_delay_alu instid0(VALU_DEP_3) | instskip(SKIP_1) | instid1(VALU_DEP_3)
	v_lshlrev_b32_e32 v16, 31, v16
	v_alignbit_b32 v18, v15, v18, 9
	v_clz_i32_u32_e32 v20, v19
	s_delay_alu instid0(VALU_DEP_2) | instskip(SKIP_1) | instid1(VALU_DEP_3)
	v_or_b32_e32 v18, v18, v16
	v_or_b32_e32 v16, 0x33800000, v16
	v_min_u32_e32 v20, 32, v20
	s_delay_alu instid0(VALU_DEP_3) | instskip(NEXT) | instid1(VALU_DEP_2)
	v_xor_b32_e32 v18, 1.0, v18
	v_sub_nc_u32_e32 v21, 31, v20
	v_add_lshl_u32 v15, v20, v15, 23
	s_delay_alu instid0(VALU_DEP_3) | instskip(NEXT) | instid1(VALU_DEP_3)
	v_mul_f32_e32 v20, 0x3fc90fda, v18
	v_alignbit_b32 v14, v19, v14, v21
	s_delay_alu instid0(VALU_DEP_3) | instskip(NEXT) | instid1(VALU_DEP_3)
	v_sub_nc_u32_e32 v15, v16, v15
	v_fma_f32 v16, 0x3fc90fda, v18, -v20
	s_delay_alu instid0(VALU_DEP_3) | instskip(NEXT) | instid1(VALU_DEP_2)
	v_lshrrev_b32_e32 v14, 9, v14
	v_fmac_f32_e32 v16, 0x33a22168, v18
	s_delay_alu instid0(VALU_DEP_2) | instskip(NEXT) | instid1(VALU_DEP_1)
	v_or_b32_e32 v14, v15, v14
	v_dual_fmac_f32 v16, 0x3fc90fda, v14 :: v_dual_add_nc_u32 v15, v17, v5
	s_delay_alu instid0(VALU_DEP_1)
	v_add_f32_e32 v14, v20, v16
.LBB105_10:                             ;   in Loop: Header=BB105_4 Depth=1
	s_and_not1_saveexec_b32 s2, s24
; %bb.11:                               ;   in Loop: Header=BB105_4 Depth=1
	v_mul_f32_e64 v5, 0x3f22f983, |v2|
	s_delay_alu instid0(VALU_DEP_1) | instskip(NEXT) | instid1(VALU_DEP_1)
	v_rndne_f32_e32 v5, v5
	v_fma_f32 v14, 0xbfc90fda, v5, |v2|
	v_cvt_i32_f32_e32 v15, v5
	s_delay_alu instid0(VALU_DEP_2) | instskip(NEXT) | instid1(VALU_DEP_1)
	v_fmac_f32_e32 v14, 0xb3a22168, v5
	v_fmac_f32_e32 v14, 0xa7c234c4, v5
; %bb.12:                               ;   in Loop: Header=BB105_4 Depth=1
	s_or_b32 exec_lo, exec_lo, s2
	v_and_b32_e32 v16, 0x7fffffff, v3
                                        ; implicit-def: $vgpr19
                                        ; implicit-def: $vgpr18
	s_mov_b32 s3, exec_lo
	v_cmpx_ngt_f32_e64 0x48000000, |v3|
	s_xor_b32 s24, exec_lo, s3
	s_cbranch_execz .LBB105_14
; %bb.13:                               ;   in Loop: Header=BB105_4 Depth=1
	v_lshrrev_b32_e32 v22, 23, v16
	v_and_or_b32 v25, v16, s21, 0x800000
	s_delay_alu instid0(VALU_DEP_2) | instskip(NEXT) | instid1(VALU_DEP_2)
	v_add_nc_u32_e32 v23, 0xffffff88, v22
	v_mad_u64_u32 v[17:18], null, 0xfe5163ab, v25, 0
	s_delay_alu instid0(VALU_DEP_2) | instskip(SKIP_1) | instid1(VALU_DEP_1)
	v_cmp_lt_u32_e32 vcc_lo, 63, v23
	v_cndmask_b32_e64 v24, 0, 0xffffffc0, vcc_lo
	v_dual_mov_b32 v5, v18 :: v_dual_add_nc_u32 v24, v24, v23
	s_delay_alu instid0(VALU_DEP_1) | instskip(NEXT) | instid1(VALU_DEP_2)
	v_mad_u64_u32 v[18:19], null, 0x3c439041, v25, v[5:6]
	v_cmp_lt_u32_e64 s2, 31, v24
	s_delay_alu instid0(VALU_DEP_1) | instskip(NEXT) | instid1(VALU_DEP_1)
	v_cndmask_b32_e64 v26, 0, 0xffffffe0, s2
	v_dual_mov_b32 v5, v19 :: v_dual_add_nc_u32 v26, v26, v24
	s_delay_alu instid0(VALU_DEP_1) | instskip(NEXT) | instid1(VALU_DEP_2)
	v_mad_u64_u32 v[19:20], null, 0xdb629599, v25, v[5:6]
	v_cmp_lt_u32_e64 s3, 31, v26
	s_delay_alu instid0(VALU_DEP_2) | instskip(NEXT) | instid1(VALU_DEP_3)
	v_mov_b32_e32 v5, v20
	v_cndmask_b32_e32 v17, v19, v17, vcc_lo
	s_delay_alu instid0(VALU_DEP_2) | instskip(NEXT) | instid1(VALU_DEP_1)
	v_mad_u64_u32 v[20:21], null, 0xf534ddc0, v25, v[5:6]
	v_dual_mov_b32 v5, v21 :: v_dual_cndmask_b32 v18, v20, v18
	s_delay_alu instid0(VALU_DEP_1) | instskip(NEXT) | instid1(VALU_DEP_2)
	v_mad_u64_u32 v[21:22], null, 0xfc2757d1, v25, v[5:6]
	v_cndmask_b32_e64 v17, v18, v17, s2
	s_delay_alu instid0(VALU_DEP_2) | instskip(NEXT) | instid1(VALU_DEP_1)
	v_mov_b32_e32 v5, v22
	v_mad_u64_u32 v[22:23], null, 0x4e441529, v25, v[5:6]
	s_delay_alu instid0(VALU_DEP_1) | instskip(NEXT) | instid1(VALU_DEP_1)
	v_mov_b32_e32 v5, v23
	v_mad_u64_u32 v[23:24], null, 0xa2f9836e, v25, v[5:6]
	v_cndmask_b32_e64 v5, 0, 0xffffffe0, s3
	s_delay_alu instid0(VALU_DEP_4) | instskip(NEXT) | instid1(VALU_DEP_2)
	v_cndmask_b32_e32 v25, v22, v20, vcc_lo
	v_add_nc_u32_e32 v5, v5, v26
	s_delay_alu instid0(VALU_DEP_4) | instskip(SKIP_1) | instid1(VALU_DEP_3)
	v_dual_cndmask_b32 v23, v23, v21 :: v_dual_cndmask_b32 v22, v24, v22
	v_cndmask_b32_e32 v21, v21, v19, vcc_lo
	v_sub_nc_u32_e32 v24, 32, v5
	s_delay_alu instid0(VALU_DEP_3) | instskip(NEXT) | instid1(VALU_DEP_4)
	v_cndmask_b32_e64 v20, v23, v25, s2
	v_cndmask_b32_e64 v22, v22, v23, s2
	s_delay_alu instid0(VALU_DEP_4) | instskip(SKIP_2) | instid1(VALU_DEP_4)
	v_cndmask_b32_e64 v23, v25, v21, s2
	v_cndmask_b32_e64 v21, v21, v18, s2
	v_cmp_eq_u32_e64 s4, 0, v5
	v_cndmask_b32_e64 v22, v22, v20, s3
	s_delay_alu instid0(VALU_DEP_4) | instskip(NEXT) | instid1(VALU_DEP_4)
	v_cndmask_b32_e64 v20, v20, v23, s3
	v_cndmask_b32_e64 v23, v23, v21, s3
	;; [unrolled: 1-line block ×3, first 2 shown]
	s_delay_alu instid0(VALU_DEP_3) | instskip(NEXT) | instid1(VALU_DEP_3)
	v_alignbit_b32 v25, v22, v20, v24
	v_alignbit_b32 v26, v20, v23, v24
	s_delay_alu instid0(VALU_DEP_3) | instskip(NEXT) | instid1(VALU_DEP_3)
	v_alignbit_b32 v24, v23, v17, v24
	v_cndmask_b32_e64 v5, v25, v22, s4
	s_delay_alu instid0(VALU_DEP_3) | instskip(NEXT) | instid1(VALU_DEP_3)
	v_cndmask_b32_e64 v19, v26, v20, s4
	v_cndmask_b32_e64 v23, v24, v23, s4
	s_delay_alu instid0(VALU_DEP_3) | instskip(NEXT) | instid1(VALU_DEP_3)
	v_bfe_u32 v20, v5, 29, 1
	v_alignbit_b32 v18, v5, v19, 30
	s_delay_alu instid0(VALU_DEP_3) | instskip(SKIP_1) | instid1(VALU_DEP_4)
	v_alignbit_b32 v19, v19, v23, 30
	v_alignbit_b32 v17, v23, v17, 30
	v_sub_nc_u32_e32 v22, 0, v20
	s_delay_alu instid0(VALU_DEP_1) | instskip(SKIP_3) | instid1(VALU_DEP_4)
	v_xor_b32_e32 v21, v18, v22
	v_cmp_ne_u32_e32 vcc_lo, v18, v22
	v_xor_b32_e32 v19, v19, v22
	v_xor_b32_e32 v17, v17, v22
	v_clz_i32_u32_e32 v25, v21
	s_delay_alu instid0(VALU_DEP_1) | instskip(NEXT) | instid1(VALU_DEP_1)
	v_add_nc_u32_e32 v24, 1, v25
	v_cndmask_b32_e32 v18, 33, v24, vcc_lo
	s_delay_alu instid0(VALU_DEP_1) | instskip(NEXT) | instid1(VALU_DEP_1)
	v_sub_nc_u32_e32 v23, 32, v18
	v_alignbit_b32 v21, v21, v19, v23
	v_alignbit_b32 v17, v19, v17, v23
	v_lshrrev_b32_e32 v19, 29, v5
	v_lshrrev_b32_e32 v5, 30, v5
	s_delay_alu instid0(VALU_DEP_3) | instskip(NEXT) | instid1(VALU_DEP_3)
	v_alignbit_b32 v22, v21, v17, 9
	v_lshlrev_b32_e32 v19, 31, v19
	v_alignbit_b32 v21, v18, v21, 9
	s_delay_alu instid0(VALU_DEP_3) | instskip(NEXT) | instid1(VALU_DEP_2)
	v_clz_i32_u32_e32 v23, v22
	v_or_b32_e32 v21, v21, v19
	v_or_b32_e32 v19, 0x33800000, v19
	s_delay_alu instid0(VALU_DEP_3) | instskip(NEXT) | instid1(VALU_DEP_3)
	v_min_u32_e32 v23, 32, v23
	v_xor_b32_e32 v21, 1.0, v21
	s_delay_alu instid0(VALU_DEP_2) | instskip(SKIP_1) | instid1(VALU_DEP_3)
	v_sub_nc_u32_e32 v24, 31, v23
	v_add_lshl_u32 v18, v23, v18, 23
	v_mul_f32_e32 v23, 0x3fc90fda, v21
	s_delay_alu instid0(VALU_DEP_3) | instskip(NEXT) | instid1(VALU_DEP_3)
	v_alignbit_b32 v17, v22, v17, v24
	v_sub_nc_u32_e32 v18, v19, v18
	s_delay_alu instid0(VALU_DEP_3) | instskip(NEXT) | instid1(VALU_DEP_3)
	v_fma_f32 v19, 0x3fc90fda, v21, -v23
	v_lshrrev_b32_e32 v17, 9, v17
	s_delay_alu instid0(VALU_DEP_2) | instskip(NEXT) | instid1(VALU_DEP_2)
	v_fmac_f32_e32 v19, 0x33a22168, v21
	v_or_b32_e32 v17, v18, v17
	s_delay_alu instid0(VALU_DEP_1) | instskip(NEXT) | instid1(VALU_DEP_1)
	v_fmac_f32_e32 v19, 0x3fc90fda, v17
	v_dual_add_f32 v18, v23, v19 :: v_dual_add_nc_u32 v19, v20, v5
.LBB105_14:                             ;   in Loop: Header=BB105_4 Depth=1
	s_and_not1_saveexec_b32 s2, s24
; %bb.15:                               ;   in Loop: Header=BB105_4 Depth=1
	v_mul_f32_e64 v5, 0x3f22f983, |v3|
	s_delay_alu instid0(VALU_DEP_1) | instskip(NEXT) | instid1(VALU_DEP_1)
	v_rndne_f32_e32 v5, v5
	v_fma_f32 v18, 0xbfc90fda, v5, |v3|
	v_cvt_i32_f32_e32 v19, v5
	s_delay_alu instid0(VALU_DEP_2) | instskip(NEXT) | instid1(VALU_DEP_1)
	v_fmac_f32_e32 v18, 0xb3a22168, v5
	v_fmac_f32_e32 v18, 0xa7c234c4, v5
; %bb.16:                               ;   in Loop: Header=BB105_4 Depth=1
	s_or_b32 exec_lo, exec_lo, s2
	v_and_b32_e32 v17, 0x7fffffff, v4
                                        ; implicit-def: $vgpr20
                                        ; implicit-def: $vgpr5
	s_mov_b32 s3, exec_lo
	v_cmpx_ngt_f32_e64 0x48000000, |v4|
	s_xor_b32 s24, exec_lo, s3
	s_cbranch_execz .LBB105_18
; %bb.17:                               ;   in Loop: Header=BB105_4 Depth=1
	v_and_or_b32 v28, v17, s21, 0x800000
	v_lshrrev_b32_e32 v25, 23, v17
	s_delay_alu instid0(VALU_DEP_2) | instskip(NEXT) | instid1(VALU_DEP_2)
	v_mad_u64_u32 v[20:21], null, 0xfe5163ab, v28, 0
	v_add_nc_u32_e32 v26, 0xffffff88, v25
	s_delay_alu instid0(VALU_DEP_1) | instskip(NEXT) | instid1(VALU_DEP_3)
	v_cmp_lt_u32_e32 vcc_lo, 63, v26
	v_mov_b32_e32 v5, v21
	v_cndmask_b32_e64 v27, 0, 0xffffffc0, vcc_lo
	s_delay_alu instid0(VALU_DEP_2) | instskip(NEXT) | instid1(VALU_DEP_2)
	v_mad_u64_u32 v[21:22], null, 0x3c439041, v28, v[5:6]
	v_add_nc_u32_e32 v27, v27, v26
	s_delay_alu instid0(VALU_DEP_2) | instskip(NEXT) | instid1(VALU_DEP_2)
	v_mov_b32_e32 v5, v22
	v_cmp_lt_u32_e64 s2, 31, v27
	s_delay_alu instid0(VALU_DEP_2) | instskip(NEXT) | instid1(VALU_DEP_2)
	v_mad_u64_u32 v[22:23], null, 0xdb629599, v28, v[5:6]
	v_cndmask_b32_e64 v29, 0, 0xffffffe0, s2
	s_delay_alu instid0(VALU_DEP_1) | instskip(NEXT) | instid1(VALU_DEP_3)
	v_add_nc_u32_e32 v29, v29, v27
	v_dual_mov_b32 v5, v23 :: v_dual_cndmask_b32 v20, v22, v20
	s_delay_alu instid0(VALU_DEP_2) | instskip(NEXT) | instid1(VALU_DEP_2)
	v_cmp_lt_u32_e64 s3, 31, v29
	v_mad_u64_u32 v[23:24], null, 0xf534ddc0, v28, v[5:6]
	s_delay_alu instid0(VALU_DEP_1) | instskip(NEXT) | instid1(VALU_DEP_2)
	v_mov_b32_e32 v5, v24
	v_cndmask_b32_e32 v21, v23, v21, vcc_lo
	s_delay_alu instid0(VALU_DEP_2) | instskip(NEXT) | instid1(VALU_DEP_2)
	v_mad_u64_u32 v[24:25], null, 0xfc2757d1, v28, v[5:6]
	v_cndmask_b32_e64 v20, v21, v20, s2
	s_delay_alu instid0(VALU_DEP_2) | instskip(NEXT) | instid1(VALU_DEP_1)
	v_mov_b32_e32 v5, v25
	v_mad_u64_u32 v[25:26], null, 0x4e441529, v28, v[5:6]
	s_delay_alu instid0(VALU_DEP_1) | instskip(NEXT) | instid1(VALU_DEP_1)
	v_mov_b32_e32 v5, v26
	v_mad_u64_u32 v[26:27], null, 0xa2f9836e, v28, v[5:6]
	v_cndmask_b32_e64 v5, 0, 0xffffffe0, s3
	s_delay_alu instid0(VALU_DEP_4) | instskip(NEXT) | instid1(VALU_DEP_2)
	v_cndmask_b32_e32 v28, v25, v23, vcc_lo
	v_dual_cndmask_b32 v26, v26, v24 :: v_dual_add_nc_u32 v5, v5, v29
	s_delay_alu instid0(VALU_DEP_4) | instskip(NEXT) | instid1(VALU_DEP_2)
	v_dual_cndmask_b32 v25, v27, v25 :: v_dual_cndmask_b32 v24, v24, v22
	v_sub_nc_u32_e32 v27, 32, v5
	s_delay_alu instid0(VALU_DEP_3) | instskip(NEXT) | instid1(VALU_DEP_3)
	v_cndmask_b32_e64 v23, v26, v28, s2
	v_cndmask_b32_e64 v25, v25, v26, s2
	s_delay_alu instid0(VALU_DEP_4) | instskip(SKIP_2) | instid1(VALU_DEP_4)
	v_cndmask_b32_e64 v26, v28, v24, s2
	v_cndmask_b32_e64 v24, v24, v21, s2
	v_cmp_eq_u32_e64 s4, 0, v5
	v_cndmask_b32_e64 v25, v25, v23, s3
	s_delay_alu instid0(VALU_DEP_4) | instskip(NEXT) | instid1(VALU_DEP_4)
	v_cndmask_b32_e64 v23, v23, v26, s3
	v_cndmask_b32_e64 v26, v26, v24, s3
	;; [unrolled: 1-line block ×3, first 2 shown]
	s_delay_alu instid0(VALU_DEP_3) | instskip(NEXT) | instid1(VALU_DEP_3)
	v_alignbit_b32 v28, v25, v23, v27
	v_alignbit_b32 v29, v23, v26, v27
	s_delay_alu instid0(VALU_DEP_3) | instskip(NEXT) | instid1(VALU_DEP_3)
	v_alignbit_b32 v27, v26, v20, v27
	v_cndmask_b32_e64 v5, v28, v25, s4
	s_delay_alu instid0(VALU_DEP_3) | instskip(NEXT) | instid1(VALU_DEP_3)
	v_cndmask_b32_e64 v22, v29, v23, s4
	v_cndmask_b32_e64 v26, v27, v26, s4
	s_delay_alu instid0(VALU_DEP_3) | instskip(NEXT) | instid1(VALU_DEP_3)
	v_bfe_u32 v23, v5, 29, 1
	v_alignbit_b32 v21, v5, v22, 30
	s_delay_alu instid0(VALU_DEP_3) | instskip(SKIP_1) | instid1(VALU_DEP_4)
	v_alignbit_b32 v22, v22, v26, 30
	v_alignbit_b32 v20, v26, v20, 30
	v_sub_nc_u32_e32 v25, 0, v23
	s_delay_alu instid0(VALU_DEP_1) | instskip(SKIP_3) | instid1(VALU_DEP_4)
	v_xor_b32_e32 v24, v21, v25
	v_cmp_ne_u32_e32 vcc_lo, v21, v25
	v_xor_b32_e32 v22, v22, v25
	v_xor_b32_e32 v20, v20, v25
	v_clz_i32_u32_e32 v28, v24
	s_delay_alu instid0(VALU_DEP_1) | instskip(NEXT) | instid1(VALU_DEP_1)
	v_add_nc_u32_e32 v27, 1, v28
	v_cndmask_b32_e32 v21, 33, v27, vcc_lo
	s_delay_alu instid0(VALU_DEP_1) | instskip(NEXT) | instid1(VALU_DEP_1)
	v_sub_nc_u32_e32 v26, 32, v21
	v_alignbit_b32 v24, v24, v22, v26
	v_alignbit_b32 v20, v22, v20, v26
	v_lshrrev_b32_e32 v22, 29, v5
	s_delay_alu instid0(VALU_DEP_2) | instskip(NEXT) | instid1(VALU_DEP_2)
	v_alignbit_b32 v25, v24, v20, 9
	v_lshlrev_b32_e32 v22, 31, v22
	v_alignbit_b32 v24, v21, v24, 9
	s_delay_alu instid0(VALU_DEP_3) | instskip(NEXT) | instid1(VALU_DEP_2)
	v_clz_i32_u32_e32 v26, v25
	v_or_b32_e32 v24, v24, v22
	v_or_b32_e32 v22, 0x33800000, v22
	s_delay_alu instid0(VALU_DEP_3) | instskip(NEXT) | instid1(VALU_DEP_3)
	v_min_u32_e32 v26, 32, v26
	v_xor_b32_e32 v24, 1.0, v24
	s_delay_alu instid0(VALU_DEP_2) | instskip(SKIP_1) | instid1(VALU_DEP_3)
	v_sub_nc_u32_e32 v27, 31, v26
	v_add_lshl_u32 v21, v26, v21, 23
	v_mul_f32_e32 v26, 0x3fc90fda, v24
	s_delay_alu instid0(VALU_DEP_3) | instskip(NEXT) | instid1(VALU_DEP_3)
	v_alignbit_b32 v20, v25, v20, v27
	v_sub_nc_u32_e32 v21, v22, v21
	s_delay_alu instid0(VALU_DEP_3) | instskip(NEXT) | instid1(VALU_DEP_3)
	v_fma_f32 v22, 0x3fc90fda, v24, -v26
	v_lshrrev_b32_e32 v20, 9, v20
	s_delay_alu instid0(VALU_DEP_2) | instskip(NEXT) | instid1(VALU_DEP_2)
	v_fmac_f32_e32 v22, 0x33a22168, v24
	v_or_b32_e32 v20, v21, v20
	s_delay_alu instid0(VALU_DEP_1) | instskip(SKIP_1) | instid1(VALU_DEP_1)
	v_fmac_f32_e32 v22, 0x3fc90fda, v20
	v_lshrrev_b32_e32 v20, 30, v5
	v_dual_add_f32 v5, v26, v22 :: v_dual_add_nc_u32 v20, v23, v20
.LBB105_18:                             ;   in Loop: Header=BB105_4 Depth=1
	s_and_not1_saveexec_b32 s2, s24
	s_cbranch_execz .LBB105_3
; %bb.19:                               ;   in Loop: Header=BB105_4 Depth=1
	v_mul_f32_e64 v5, 0x3f22f983, |v4|
	s_delay_alu instid0(VALU_DEP_1) | instskip(NEXT) | instid1(VALU_DEP_1)
	v_rndne_f32_e32 v20, v5
	v_fma_f32 v5, 0xbfc90fda, v20, |v4|
	s_delay_alu instid0(VALU_DEP_1) | instskip(NEXT) | instid1(VALU_DEP_1)
	v_fmac_f32_e32 v5, 0xb3a22168, v20
	v_fmac_f32_e32 v5, 0xa7c234c4, v20
	v_cvt_i32_f32_e32 v20, v20
	s_branch .LBB105_3
.LBB105_20:
	s_or_b32 exec_lo, exec_lo, s17
	s_mov_b32 s2, 0
.LBB105_21:
	s_delay_alu instid0(SALU_CYCLE_1)
	s_and_not1_b32 vcc_lo, exec_lo, s2
	s_cbranch_vccnz .LBB105_57
; %bb.22:
	v_cmp_lt_i64_e64 s2, s[10:11], 1
	s_delay_alu instid0(VALU_DEP_1)
	s_and_b32 vcc_lo, exec_lo, s2
	s_cbranch_vccnz .LBB105_57
; %bb.23:
	s_load_b32 s0, s[0:1], 0xc5c
	v_dual_mov_b32 v2, 0 :: v_dual_lshlrev_b32 v1, 2, v0
	v_cmp_gt_u64_e64 s1, 0x10000, s[10:11]
	s_mov_b32 s18, 0xb94c1982
	s_mov_b32 s19, 0x37d75334
	s_delay_alu instid0(VALU_DEP_2) | instskip(NEXT) | instid1(VALU_DEP_1)
	v_add_co_u32 v3, s2, s6, v1
	v_add_co_ci_u32_e64 v4, null, s7, 0, s2
	v_add_co_u32 v5, s2, s14, v1
	s_delay_alu instid0(VALU_DEP_1)
	v_add_co_ci_u32_e64 v6, null, s15, 0, s2
	s_waitcnt lgkmcnt(0)
	s_and_b32 s0, s0, 0xffff
	s_and_b32 s1, s1, exec_lo
	v_mad_u64_u32 v[9:10], null, s0, 12, v[1:2]
	s_cselect_b32 s13, s11, 0
	s_cselect_b32 s12, s10, 0x10000
	s_lshl_b32 s3, s0, 3
	s_lshl_b32 s1, s0, 1
	v_add_co_u32 v1, s3, s3, v1
	s_delay_alu instid0(VALU_DEP_2) | instskip(NEXT) | instid1(VALU_DEP_3)
	v_add_co_u32 v7, vcc_lo, s6, v9
	v_add_co_ci_u32_e32 v8, vcc_lo, s7, v10, vcc_lo
	v_add_co_u32 v9, vcc_lo, s14, v9
	v_add_co_ci_u32_e64 v17, null, 0, 0, s3
	s_mul_i32 s2, s0, 3
	s_lshl_b32 s16, s0, 2
	s_lshl_b32 s17, s0, 4
	v_add_co_u32 v15, s0, v0, s0
	v_add_co_ci_u32_e32 v10, vcc_lo, s15, v10, vcc_lo
	v_add_co_u32 v13, vcc_lo, s6, v1
	v_add_co_ci_u32_e32 v14, vcc_lo, s7, v17, vcc_lo
	v_add_co_u32 v16, vcc_lo, s14, v1
	v_lshlrev_b32_e32 v1, 2, v15
	v_add_co_ci_u32_e64 v18, null, 0, 0, s0
	v_add_co_u32 v19, s0, s1, v0
	s_delay_alu instid0(VALU_DEP_1) | instskip(NEXT) | instid1(VALU_DEP_4)
	v_add_co_ci_u32_e64 v20, null, 0, 0, s0
	v_add_co_u32 v21, s0, s6, v1
	v_add_co_u32 v11, s2, s2, v0
	v_add_co_ci_u32_e64 v22, null, s7, 0, s0
	v_add_co_u32 v23, s0, s14, v1
	v_add_co_ci_u32_e64 v12, null, 0, 0, s2
	v_add_co_ci_u32_e32 v17, vcc_lo, s15, v17, vcc_lo
	v_add_co_ci_u32_e64 v24, null, s15, 0, s0
	s_mov_b64 s[14:15], 0
	s_mov_b32 s7, 0x7fffff
	s_branch .LBB105_25
.LBB105_24:                             ;   in Loop: Header=BB105_25 Depth=1
	s_or_b32 exec_lo, exec_lo, s0
	v_add_co_u32 v3, vcc_lo, v3, s17
	v_add_co_ci_u32_e32 v4, vcc_lo, 0, v4, vcc_lo
	v_add_co_u32 v5, vcc_lo, v5, s17
	v_add_co_ci_u32_e32 v6, vcc_lo, 0, v6, vcc_lo
	;; [unrolled: 2-line block ×5, first 2 shown]
	s_add_u32 s14, s14, s16
	v_add_co_u32 v16, vcc_lo, v16, s17
	s_addc_u32 s15, s15, 0
	v_add_co_ci_u32_e32 v17, vcc_lo, 0, v17, vcc_lo
	v_cmp_ge_i64_e64 s0, s[14:15], s[10:11]
	v_cmp_lt_u64_e64 s1, 0xffff, s[14:15]
	v_add_co_u32 v21, vcc_lo, v21, s17
	v_add_co_ci_u32_e32 v22, vcc_lo, 0, v22, vcc_lo
	v_add_co_u32 v23, vcc_lo, v23, s17
	v_add_co_ci_u32_e32 v24, vcc_lo, 0, v24, vcc_lo
	s_or_b32 s0, s0, s1
	s_delay_alu instid0(SALU_CYCLE_1)
	s_and_b32 vcc_lo, exec_lo, s0
	s_cbranch_vccnz .LBB105_57
.LBB105_25:                             ; =>This Inner Loop Header: Depth=1
	v_add_co_u32 v25, s0, v0, s14
	s_delay_alu instid0(VALU_DEP_1) | instskip(SKIP_1) | instid1(VALU_DEP_2)
	v_add_co_ci_u32_e64 v26, null, 0, s15, s0
	v_mov_b32_e32 v28, 0
	v_cmp_gt_u64_e64 s2, s[12:13], v[25:26]
	s_delay_alu instid0(VALU_DEP_1)
	s_and_saveexec_b32 s0, s2
	s_cbranch_execz .LBB105_27
; %bb.26:                               ;   in Loop: Header=BB105_25 Depth=1
	v_add_co_u32 v25, vcc_lo, v3, s8
	v_add_co_ci_u32_e32 v26, vcc_lo, s9, v4, vcc_lo
	global_load_b32 v28, v[25:26], off
.LBB105_27:                             ;   in Loop: Header=BB105_25 Depth=1
	s_or_b32 exec_lo, exec_lo, s0
	v_add_co_u32 v25, vcc_lo, v15, s14
	v_add_co_ci_u32_e32 v26, vcc_lo, s15, v18, vcc_lo
	v_mov_b32_e32 v27, 0
	s_delay_alu instid0(VALU_DEP_2) | instskip(NEXT) | instid1(VALU_DEP_1)
	v_cmp_gt_u64_e64 s1, s[12:13], v[25:26]
	s_and_saveexec_b32 s0, s1
	s_cbranch_execz .LBB105_29
; %bb.28:                               ;   in Loop: Header=BB105_25 Depth=1
	v_add_co_u32 v25, vcc_lo, v21, s8
	v_add_co_ci_u32_e32 v26, vcc_lo, s9, v22, vcc_lo
	global_load_b32 v27, v[25:26], off
.LBB105_29:                             ;   in Loop: Header=BB105_25 Depth=1
	s_or_b32 exec_lo, exec_lo, s0
	v_add_co_u32 v25, vcc_lo, v19, s14
	v_add_co_ci_u32_e32 v26, vcc_lo, s15, v20, vcc_lo
	s_delay_alu instid0(VALU_DEP_1) | instskip(SKIP_1) | instid1(VALU_DEP_2)
	v_cmp_gt_u64_e64 s0, s[12:13], v[25:26]
	v_dual_mov_b32 v25, 0 :: v_dual_mov_b32 v26, 0
	s_and_saveexec_b32 s3, s0
	s_cbranch_execz .LBB105_31
; %bb.30:                               ;   in Loop: Header=BB105_25 Depth=1
	v_add_co_u32 v29, vcc_lo, v13, s8
	v_add_co_ci_u32_e32 v30, vcc_lo, s9, v14, vcc_lo
	global_load_b32 v26, v[29:30], off
.LBB105_31:                             ;   in Loop: Header=BB105_25 Depth=1
	s_or_b32 exec_lo, exec_lo, s3
	v_add_co_u32 v29, vcc_lo, v11, s14
	v_add_co_ci_u32_e32 v30, vcc_lo, s15, v12, vcc_lo
	s_delay_alu instid0(VALU_DEP_1)
	v_cmp_gt_u64_e32 vcc_lo, s[12:13], v[29:30]
	s_and_saveexec_b32 s4, vcc_lo
	s_cbranch_execz .LBB105_33
; %bb.32:                               ;   in Loop: Header=BB105_25 Depth=1
	v_add_co_u32 v29, s3, v7, s8
	s_delay_alu instid0(VALU_DEP_1)
	v_add_co_ci_u32_e64 v30, s3, s9, v8, s3
	global_load_b32 v25, v[29:30], off
.LBB105_33:                             ;   in Loop: Header=BB105_25 Depth=1
	s_or_b32 exec_lo, exec_lo, s4
	s_waitcnt vmcnt(0)
	v_and_b32_e32 v29, 0x7fffffff, v28
                                        ; implicit-def: $vgpr32
                                        ; implicit-def: $vgpr30
	s_mov_b32 s4, exec_lo
	v_cmpx_ngt_f32_e64 0x48000000, |v28|
	s_xor_b32 s20, exec_lo, s4
	s_cbranch_execz .LBB105_35
; %bb.34:                               ;   in Loop: Header=BB105_25 Depth=1
	v_and_or_b32 v38, v29, s7, 0x800000
	v_lshrrev_b32_e32 v35, 23, v29
	s_delay_alu instid0(VALU_DEP_2) | instskip(NEXT) | instid1(VALU_DEP_2)
	v_mad_u64_u32 v[30:31], null, 0xfe5163ab, v38, 0
	v_add_nc_u32_e32 v36, 0xffffff88, v35
	s_delay_alu instid0(VALU_DEP_1) | instskip(NEXT) | instid1(VALU_DEP_3)
	v_cmp_lt_u32_e64 s3, 63, v36
	v_mov_b32_e32 v1, v31
	s_delay_alu instid0(VALU_DEP_2) | instskip(NEXT) | instid1(VALU_DEP_2)
	v_cndmask_b32_e64 v37, 0, 0xffffffc0, s3
	v_mad_u64_u32 v[31:32], null, 0x3c439041, v38, v[1:2]
	s_delay_alu instid0(VALU_DEP_2) | instskip(NEXT) | instid1(VALU_DEP_2)
	v_add_nc_u32_e32 v37, v37, v36
	v_mov_b32_e32 v1, v32
	s_delay_alu instid0(VALU_DEP_2) | instskip(NEXT) | instid1(VALU_DEP_2)
	v_cmp_lt_u32_e64 s4, 31, v37
	v_mad_u64_u32 v[32:33], null, 0xdb629599, v38, v[1:2]
	s_delay_alu instid0(VALU_DEP_2) | instskip(NEXT) | instid1(VALU_DEP_1)
	v_cndmask_b32_e64 v39, 0, 0xffffffe0, s4
	v_add_nc_u32_e32 v39, v39, v37
	s_delay_alu instid0(VALU_DEP_3) | instskip(NEXT) | instid1(VALU_DEP_4)
	v_mov_b32_e32 v1, v33
	v_cndmask_b32_e64 v30, v32, v30, s3
	s_delay_alu instid0(VALU_DEP_3) | instskip(NEXT) | instid1(VALU_DEP_3)
	v_cmp_lt_u32_e64 s5, 31, v39
	v_mad_u64_u32 v[33:34], null, 0xf534ddc0, v38, v[1:2]
	s_delay_alu instid0(VALU_DEP_1) | instskip(NEXT) | instid1(VALU_DEP_2)
	v_mov_b32_e32 v1, v34
	v_cndmask_b32_e64 v31, v33, v31, s3
	s_delay_alu instid0(VALU_DEP_2) | instskip(NEXT) | instid1(VALU_DEP_2)
	v_mad_u64_u32 v[34:35], null, 0xfc2757d1, v38, v[1:2]
	v_cndmask_b32_e64 v30, v31, v30, s4
	s_delay_alu instid0(VALU_DEP_2) | instskip(NEXT) | instid1(VALU_DEP_1)
	v_mov_b32_e32 v1, v35
	v_mad_u64_u32 v[35:36], null, 0x4e441529, v38, v[1:2]
	s_delay_alu instid0(VALU_DEP_1) | instskip(NEXT) | instid1(VALU_DEP_1)
	v_mov_b32_e32 v1, v36
	v_mad_u64_u32 v[36:37], null, 0xa2f9836e, v38, v[1:2]
	v_cndmask_b32_e64 v1, 0, 0xffffffe0, s5
	s_delay_alu instid0(VALU_DEP_4) | instskip(NEXT) | instid1(VALU_DEP_2)
	v_cndmask_b32_e64 v38, v35, v33, s3
	v_add_nc_u32_e32 v1, v1, v39
	s_delay_alu instid0(VALU_DEP_4) | instskip(SKIP_2) | instid1(VALU_DEP_4)
	v_cndmask_b32_e64 v36, v36, v34, s3
	v_cndmask_b32_e64 v35, v37, v35, s3
	;; [unrolled: 1-line block ×3, first 2 shown]
	v_sub_nc_u32_e32 v37, 32, v1
	s_delay_alu instid0(VALU_DEP_4) | instskip(NEXT) | instid1(VALU_DEP_4)
	v_cndmask_b32_e64 v33, v36, v38, s4
	v_cndmask_b32_e64 v35, v35, v36, s4
	s_delay_alu instid0(VALU_DEP_4) | instskip(SKIP_2) | instid1(VALU_DEP_4)
	v_cndmask_b32_e64 v36, v38, v34, s4
	v_cndmask_b32_e64 v34, v34, v31, s4
	v_cmp_eq_u32_e64 s6, 0, v1
	v_cndmask_b32_e64 v35, v35, v33, s5
	s_delay_alu instid0(VALU_DEP_4) | instskip(NEXT) | instid1(VALU_DEP_4)
	v_cndmask_b32_e64 v33, v33, v36, s5
	v_cndmask_b32_e64 v36, v36, v34, s5
	;; [unrolled: 1-line block ×3, first 2 shown]
	s_delay_alu instid0(VALU_DEP_3) | instskip(NEXT) | instid1(VALU_DEP_3)
	v_alignbit_b32 v38, v35, v33, v37
	v_alignbit_b32 v39, v33, v36, v37
	s_delay_alu instid0(VALU_DEP_3) | instskip(NEXT) | instid1(VALU_DEP_3)
	v_alignbit_b32 v37, v36, v30, v37
	v_cndmask_b32_e64 v1, v38, v35, s6
	s_delay_alu instid0(VALU_DEP_3) | instskip(NEXT) | instid1(VALU_DEP_3)
	v_cndmask_b32_e64 v32, v39, v33, s6
	v_cndmask_b32_e64 v36, v37, v36, s6
	s_delay_alu instid0(VALU_DEP_3) | instskip(NEXT) | instid1(VALU_DEP_3)
	v_bfe_u32 v33, v1, 29, 1
	v_alignbit_b32 v31, v1, v32, 30
	s_delay_alu instid0(VALU_DEP_3) | instskip(SKIP_1) | instid1(VALU_DEP_4)
	v_alignbit_b32 v32, v32, v36, 30
	v_alignbit_b32 v30, v36, v30, 30
	v_sub_nc_u32_e32 v35, 0, v33
	s_delay_alu instid0(VALU_DEP_1) | instskip(SKIP_3) | instid1(VALU_DEP_4)
	v_xor_b32_e32 v34, v31, v35
	v_cmp_ne_u32_e64 s3, v31, v35
	v_xor_b32_e32 v32, v32, v35
	v_xor_b32_e32 v30, v30, v35
	v_clz_i32_u32_e32 v38, v34
	s_delay_alu instid0(VALU_DEP_1) | instskip(NEXT) | instid1(VALU_DEP_1)
	v_add_nc_u32_e32 v37, 1, v38
	v_cndmask_b32_e64 v31, 33, v37, s3
	s_delay_alu instid0(VALU_DEP_1) | instskip(NEXT) | instid1(VALU_DEP_1)
	v_sub_nc_u32_e32 v36, 32, v31
	v_alignbit_b32 v34, v34, v32, v36
	v_alignbit_b32 v30, v32, v30, v36
	v_lshrrev_b32_e32 v32, 29, v1
	v_lshrrev_b32_e32 v1, 30, v1
	s_delay_alu instid0(VALU_DEP_3) | instskip(NEXT) | instid1(VALU_DEP_3)
	v_alignbit_b32 v35, v34, v30, 9
	v_lshlrev_b32_e32 v32, 31, v32
	v_alignbit_b32 v34, v31, v34, 9
	s_delay_alu instid0(VALU_DEP_3) | instskip(NEXT) | instid1(VALU_DEP_2)
	v_clz_i32_u32_e32 v36, v35
	v_or_b32_e32 v34, v34, v32
	v_or_b32_e32 v32, 0x33800000, v32
	s_delay_alu instid0(VALU_DEP_3) | instskip(NEXT) | instid1(VALU_DEP_3)
	v_min_u32_e32 v36, 32, v36
	v_xor_b32_e32 v34, 1.0, v34
	s_delay_alu instid0(VALU_DEP_2) | instskip(SKIP_1) | instid1(VALU_DEP_3)
	v_sub_nc_u32_e32 v37, 31, v36
	v_add_lshl_u32 v31, v36, v31, 23
	v_mul_f32_e32 v36, 0x3fc90fda, v34
	s_delay_alu instid0(VALU_DEP_3) | instskip(NEXT) | instid1(VALU_DEP_3)
	v_alignbit_b32 v30, v35, v30, v37
	v_sub_nc_u32_e32 v31, v32, v31
	s_delay_alu instid0(VALU_DEP_3) | instskip(NEXT) | instid1(VALU_DEP_3)
	v_fma_f32 v32, 0x3fc90fda, v34, -v36
	v_lshrrev_b32_e32 v30, 9, v30
	s_delay_alu instid0(VALU_DEP_2) | instskip(NEXT) | instid1(VALU_DEP_2)
	v_fmac_f32_e32 v32, 0x33a22168, v34
	v_or_b32_e32 v30, v31, v30
	s_delay_alu instid0(VALU_DEP_1) | instskip(NEXT) | instid1(VALU_DEP_1)
	v_fmac_f32_e32 v32, 0x3fc90fda, v30
	v_add_f32_e32 v30, v36, v32
	v_add_nc_u32_e32 v32, v33, v1
.LBB105_35:                             ;   in Loop: Header=BB105_25 Depth=1
	s_and_not1_saveexec_b32 s3, s20
; %bb.36:                               ;   in Loop: Header=BB105_25 Depth=1
	v_mul_f32_e64 v1, 0x3f22f983, |v28|
	s_delay_alu instid0(VALU_DEP_1) | instskip(NEXT) | instid1(VALU_DEP_1)
	v_rndne_f32_e32 v1, v1
	v_fma_f32 v30, 0xbfc90fda, v1, |v28|
	v_cvt_i32_f32_e32 v32, v1
	s_delay_alu instid0(VALU_DEP_2) | instskip(NEXT) | instid1(VALU_DEP_1)
	v_fmac_f32_e32 v30, 0xb3a22168, v1
	v_fmac_f32_e32 v30, 0xa7c234c4, v1
; %bb.37:                               ;   in Loop: Header=BB105_25 Depth=1
	s_or_b32 exec_lo, exec_lo, s3
	v_and_b32_e32 v31, 0x7fffffff, v27
                                        ; implicit-def: $vgpr35
                                        ; implicit-def: $vgpr33
	s_mov_b32 s4, exec_lo
	v_cmpx_ngt_f32_e64 0x48000000, |v27|
	s_xor_b32 s20, exec_lo, s4
	s_cbranch_execz .LBB105_39
; %bb.38:                               ;   in Loop: Header=BB105_25 Depth=1
	v_lshrrev_b32_e32 v38, 23, v31
	v_and_or_b32 v41, v31, s7, 0x800000
	s_delay_alu instid0(VALU_DEP_2) | instskip(NEXT) | instid1(VALU_DEP_2)
	v_add_nc_u32_e32 v39, 0xffffff88, v38
	v_mad_u64_u32 v[33:34], null, 0xfe5163ab, v41, 0
	s_delay_alu instid0(VALU_DEP_2) | instskip(NEXT) | instid1(VALU_DEP_1)
	v_cmp_lt_u32_e64 s3, 63, v39
	v_cndmask_b32_e64 v40, 0, 0xffffffc0, s3
	s_delay_alu instid0(VALU_DEP_1) | instskip(NEXT) | instid1(VALU_DEP_1)
	v_dual_mov_b32 v1, v34 :: v_dual_add_nc_u32 v40, v40, v39
	v_mad_u64_u32 v[34:35], null, 0x3c439041, v41, v[1:2]
	s_delay_alu instid0(VALU_DEP_2) | instskip(NEXT) | instid1(VALU_DEP_1)
	v_cmp_lt_u32_e64 s4, 31, v40
	v_cndmask_b32_e64 v42, 0, 0xffffffe0, s4
	s_delay_alu instid0(VALU_DEP_1) | instskip(NEXT) | instid1(VALU_DEP_1)
	v_dual_mov_b32 v1, v35 :: v_dual_add_nc_u32 v42, v42, v40
	v_mad_u64_u32 v[35:36], null, 0xdb629599, v41, v[1:2]
	s_delay_alu instid0(VALU_DEP_2) | instskip(NEXT) | instid1(VALU_DEP_2)
	v_cmp_lt_u32_e64 s5, 31, v42
	v_mov_b32_e32 v1, v36
	s_delay_alu instid0(VALU_DEP_3) | instskip(NEXT) | instid1(VALU_DEP_2)
	v_cndmask_b32_e64 v33, v35, v33, s3
	v_mad_u64_u32 v[36:37], null, 0xf534ddc0, v41, v[1:2]
	s_delay_alu instid0(VALU_DEP_1) | instskip(NEXT) | instid1(VALU_DEP_2)
	v_mov_b32_e32 v1, v37
	v_cndmask_b32_e64 v34, v36, v34, s3
	s_delay_alu instid0(VALU_DEP_2) | instskip(NEXT) | instid1(VALU_DEP_2)
	v_mad_u64_u32 v[37:38], null, 0xfc2757d1, v41, v[1:2]
	v_cndmask_b32_e64 v33, v34, v33, s4
	s_delay_alu instid0(VALU_DEP_2) | instskip(NEXT) | instid1(VALU_DEP_1)
	v_mov_b32_e32 v1, v38
	v_mad_u64_u32 v[38:39], null, 0x4e441529, v41, v[1:2]
	s_delay_alu instid0(VALU_DEP_1) | instskip(NEXT) | instid1(VALU_DEP_1)
	v_mov_b32_e32 v1, v39
	v_mad_u64_u32 v[39:40], null, 0xa2f9836e, v41, v[1:2]
	v_cndmask_b32_e64 v1, 0, 0xffffffe0, s5
	s_delay_alu instid0(VALU_DEP_4) | instskip(NEXT) | instid1(VALU_DEP_2)
	v_cndmask_b32_e64 v41, v38, v36, s3
	v_add_nc_u32_e32 v1, v1, v42
	s_delay_alu instid0(VALU_DEP_4) | instskip(SKIP_2) | instid1(VALU_DEP_4)
	v_cndmask_b32_e64 v39, v39, v37, s3
	v_cndmask_b32_e64 v38, v40, v38, s3
	;; [unrolled: 1-line block ×3, first 2 shown]
	v_sub_nc_u32_e32 v40, 32, v1
	s_delay_alu instid0(VALU_DEP_4) | instskip(NEXT) | instid1(VALU_DEP_4)
	v_cndmask_b32_e64 v36, v39, v41, s4
	v_cndmask_b32_e64 v38, v38, v39, s4
	s_delay_alu instid0(VALU_DEP_4) | instskip(SKIP_2) | instid1(VALU_DEP_4)
	v_cndmask_b32_e64 v39, v41, v37, s4
	v_cndmask_b32_e64 v37, v37, v34, s4
	v_cmp_eq_u32_e64 s6, 0, v1
	v_cndmask_b32_e64 v38, v38, v36, s5
	s_delay_alu instid0(VALU_DEP_4) | instskip(NEXT) | instid1(VALU_DEP_4)
	v_cndmask_b32_e64 v36, v36, v39, s5
	v_cndmask_b32_e64 v39, v39, v37, s5
	;; [unrolled: 1-line block ×3, first 2 shown]
	s_delay_alu instid0(VALU_DEP_3) | instskip(NEXT) | instid1(VALU_DEP_3)
	v_alignbit_b32 v41, v38, v36, v40
	v_alignbit_b32 v42, v36, v39, v40
	s_delay_alu instid0(VALU_DEP_3) | instskip(NEXT) | instid1(VALU_DEP_3)
	v_alignbit_b32 v40, v39, v33, v40
	v_cndmask_b32_e64 v1, v41, v38, s6
	s_delay_alu instid0(VALU_DEP_3) | instskip(NEXT) | instid1(VALU_DEP_3)
	v_cndmask_b32_e64 v35, v42, v36, s6
	v_cndmask_b32_e64 v39, v40, v39, s6
	s_delay_alu instid0(VALU_DEP_3) | instskip(NEXT) | instid1(VALU_DEP_3)
	v_bfe_u32 v36, v1, 29, 1
	v_alignbit_b32 v34, v1, v35, 30
	s_delay_alu instid0(VALU_DEP_3) | instskip(SKIP_1) | instid1(VALU_DEP_4)
	v_alignbit_b32 v35, v35, v39, 30
	v_alignbit_b32 v33, v39, v33, 30
	v_sub_nc_u32_e32 v38, 0, v36
	s_delay_alu instid0(VALU_DEP_1) | instskip(SKIP_3) | instid1(VALU_DEP_4)
	v_xor_b32_e32 v37, v34, v38
	v_cmp_ne_u32_e64 s3, v34, v38
	v_xor_b32_e32 v35, v35, v38
	v_xor_b32_e32 v33, v33, v38
	v_clz_i32_u32_e32 v41, v37
	s_delay_alu instid0(VALU_DEP_1) | instskip(NEXT) | instid1(VALU_DEP_1)
	v_add_nc_u32_e32 v40, 1, v41
	v_cndmask_b32_e64 v34, 33, v40, s3
	s_delay_alu instid0(VALU_DEP_1) | instskip(NEXT) | instid1(VALU_DEP_1)
	v_sub_nc_u32_e32 v39, 32, v34
	v_alignbit_b32 v37, v37, v35, v39
	v_alignbit_b32 v33, v35, v33, v39
	v_lshrrev_b32_e32 v35, 29, v1
	v_lshrrev_b32_e32 v1, 30, v1
	s_delay_alu instid0(VALU_DEP_3) | instskip(NEXT) | instid1(VALU_DEP_3)
	v_alignbit_b32 v38, v37, v33, 9
	v_lshlrev_b32_e32 v35, 31, v35
	v_alignbit_b32 v37, v34, v37, 9
	s_delay_alu instid0(VALU_DEP_3) | instskip(NEXT) | instid1(VALU_DEP_2)
	v_clz_i32_u32_e32 v39, v38
	v_or_b32_e32 v37, v37, v35
	v_or_b32_e32 v35, 0x33800000, v35
	s_delay_alu instid0(VALU_DEP_3) | instskip(NEXT) | instid1(VALU_DEP_3)
	v_min_u32_e32 v39, 32, v39
	v_xor_b32_e32 v37, 1.0, v37
	s_delay_alu instid0(VALU_DEP_2) | instskip(SKIP_1) | instid1(VALU_DEP_3)
	v_sub_nc_u32_e32 v40, 31, v39
	v_add_lshl_u32 v34, v39, v34, 23
	v_mul_f32_e32 v39, 0x3fc90fda, v37
	s_delay_alu instid0(VALU_DEP_3) | instskip(NEXT) | instid1(VALU_DEP_3)
	v_alignbit_b32 v33, v38, v33, v40
	v_sub_nc_u32_e32 v34, v35, v34
	s_delay_alu instid0(VALU_DEP_3) | instskip(NEXT) | instid1(VALU_DEP_3)
	v_fma_f32 v35, 0x3fc90fda, v37, -v39
	v_lshrrev_b32_e32 v33, 9, v33
	s_delay_alu instid0(VALU_DEP_2) | instskip(NEXT) | instid1(VALU_DEP_2)
	v_fmac_f32_e32 v35, 0x33a22168, v37
	v_or_b32_e32 v33, v34, v33
	s_delay_alu instid0(VALU_DEP_1) | instskip(NEXT) | instid1(VALU_DEP_1)
	v_fmac_f32_e32 v35, 0x3fc90fda, v33
	v_add_f32_e32 v33, v39, v35
	v_add_nc_u32_e32 v35, v36, v1
.LBB105_39:                             ;   in Loop: Header=BB105_25 Depth=1
	s_and_not1_saveexec_b32 s3, s20
; %bb.40:                               ;   in Loop: Header=BB105_25 Depth=1
	v_mul_f32_e64 v1, 0x3f22f983, |v27|
	s_delay_alu instid0(VALU_DEP_1) | instskip(NEXT) | instid1(VALU_DEP_1)
	v_rndne_f32_e32 v1, v1
	v_fma_f32 v33, 0xbfc90fda, v1, |v27|
	v_cvt_i32_f32_e32 v35, v1
	s_delay_alu instid0(VALU_DEP_2) | instskip(NEXT) | instid1(VALU_DEP_1)
	v_fmac_f32_e32 v33, 0xb3a22168, v1
	v_fmac_f32_e32 v33, 0xa7c234c4, v1
; %bb.41:                               ;   in Loop: Header=BB105_25 Depth=1
	s_or_b32 exec_lo, exec_lo, s3
	v_and_b32_e32 v34, 0x7fffffff, v26
                                        ; implicit-def: $vgpr38
                                        ; implicit-def: $vgpr36
	s_mov_b32 s4, exec_lo
	v_cmpx_ngt_f32_e64 0x48000000, |v26|
	s_xor_b32 s20, exec_lo, s4
	s_cbranch_execz .LBB105_43
; %bb.42:                               ;   in Loop: Header=BB105_25 Depth=1
	v_and_or_b32 v44, v34, s7, 0x800000
	v_lshrrev_b32_e32 v41, 23, v34
	s_delay_alu instid0(VALU_DEP_2) | instskip(NEXT) | instid1(VALU_DEP_2)
	v_mad_u64_u32 v[36:37], null, 0xfe5163ab, v44, 0
	v_add_nc_u32_e32 v42, 0xffffff88, v41
	s_delay_alu instid0(VALU_DEP_1) | instskip(NEXT) | instid1(VALU_DEP_3)
	v_cmp_lt_u32_e64 s3, 63, v42
	v_mov_b32_e32 v1, v37
	s_delay_alu instid0(VALU_DEP_2) | instskip(NEXT) | instid1(VALU_DEP_2)
	v_cndmask_b32_e64 v43, 0, 0xffffffc0, s3
	v_mad_u64_u32 v[37:38], null, 0x3c439041, v44, v[1:2]
	s_delay_alu instid0(VALU_DEP_2) | instskip(NEXT) | instid1(VALU_DEP_2)
	v_add_nc_u32_e32 v43, v43, v42
	v_mov_b32_e32 v1, v38
	s_delay_alu instid0(VALU_DEP_2) | instskip(NEXT) | instid1(VALU_DEP_2)
	v_cmp_lt_u32_e64 s4, 31, v43
	v_mad_u64_u32 v[38:39], null, 0xdb629599, v44, v[1:2]
	s_delay_alu instid0(VALU_DEP_2) | instskip(NEXT) | instid1(VALU_DEP_1)
	v_cndmask_b32_e64 v45, 0, 0xffffffe0, s4
	v_add_nc_u32_e32 v45, v45, v43
	s_delay_alu instid0(VALU_DEP_3) | instskip(NEXT) | instid1(VALU_DEP_4)
	v_mov_b32_e32 v1, v39
	v_cndmask_b32_e64 v36, v38, v36, s3
	s_delay_alu instid0(VALU_DEP_3) | instskip(NEXT) | instid1(VALU_DEP_3)
	v_cmp_lt_u32_e64 s5, 31, v45
	v_mad_u64_u32 v[39:40], null, 0xf534ddc0, v44, v[1:2]
	s_delay_alu instid0(VALU_DEP_1) | instskip(NEXT) | instid1(VALU_DEP_2)
	v_mov_b32_e32 v1, v40
	v_cndmask_b32_e64 v37, v39, v37, s3
	s_delay_alu instid0(VALU_DEP_2) | instskip(NEXT) | instid1(VALU_DEP_2)
	v_mad_u64_u32 v[40:41], null, 0xfc2757d1, v44, v[1:2]
	v_cndmask_b32_e64 v36, v37, v36, s4
	s_delay_alu instid0(VALU_DEP_2) | instskip(NEXT) | instid1(VALU_DEP_1)
	v_mov_b32_e32 v1, v41
	v_mad_u64_u32 v[41:42], null, 0x4e441529, v44, v[1:2]
	s_delay_alu instid0(VALU_DEP_1) | instskip(NEXT) | instid1(VALU_DEP_1)
	v_mov_b32_e32 v1, v42
	v_mad_u64_u32 v[42:43], null, 0xa2f9836e, v44, v[1:2]
	v_cndmask_b32_e64 v1, 0, 0xffffffe0, s5
	s_delay_alu instid0(VALU_DEP_4) | instskip(NEXT) | instid1(VALU_DEP_2)
	v_cndmask_b32_e64 v44, v41, v39, s3
	v_add_nc_u32_e32 v1, v1, v45
	s_delay_alu instid0(VALU_DEP_4) | instskip(SKIP_2) | instid1(VALU_DEP_4)
	v_cndmask_b32_e64 v42, v42, v40, s3
	v_cndmask_b32_e64 v41, v43, v41, s3
	;; [unrolled: 1-line block ×3, first 2 shown]
	v_sub_nc_u32_e32 v43, 32, v1
	s_delay_alu instid0(VALU_DEP_4) | instskip(NEXT) | instid1(VALU_DEP_4)
	v_cndmask_b32_e64 v39, v42, v44, s4
	v_cndmask_b32_e64 v41, v41, v42, s4
	s_delay_alu instid0(VALU_DEP_4) | instskip(SKIP_2) | instid1(VALU_DEP_4)
	v_cndmask_b32_e64 v42, v44, v40, s4
	v_cndmask_b32_e64 v40, v40, v37, s4
	v_cmp_eq_u32_e64 s6, 0, v1
	v_cndmask_b32_e64 v41, v41, v39, s5
	s_delay_alu instid0(VALU_DEP_4) | instskip(NEXT) | instid1(VALU_DEP_4)
	v_cndmask_b32_e64 v39, v39, v42, s5
	v_cndmask_b32_e64 v42, v42, v40, s5
	;; [unrolled: 1-line block ×3, first 2 shown]
	s_delay_alu instid0(VALU_DEP_3) | instskip(NEXT) | instid1(VALU_DEP_3)
	v_alignbit_b32 v44, v41, v39, v43
	v_alignbit_b32 v45, v39, v42, v43
	s_delay_alu instid0(VALU_DEP_3) | instskip(NEXT) | instid1(VALU_DEP_3)
	v_alignbit_b32 v43, v42, v36, v43
	v_cndmask_b32_e64 v1, v44, v41, s6
	s_delay_alu instid0(VALU_DEP_3) | instskip(NEXT) | instid1(VALU_DEP_3)
	v_cndmask_b32_e64 v38, v45, v39, s6
	v_cndmask_b32_e64 v42, v43, v42, s6
	s_delay_alu instid0(VALU_DEP_3) | instskip(NEXT) | instid1(VALU_DEP_3)
	v_bfe_u32 v39, v1, 29, 1
	v_alignbit_b32 v37, v1, v38, 30
	s_delay_alu instid0(VALU_DEP_3) | instskip(SKIP_1) | instid1(VALU_DEP_4)
	v_alignbit_b32 v38, v38, v42, 30
	v_alignbit_b32 v36, v42, v36, 30
	v_sub_nc_u32_e32 v41, 0, v39
	s_delay_alu instid0(VALU_DEP_1) | instskip(SKIP_3) | instid1(VALU_DEP_4)
	v_xor_b32_e32 v40, v37, v41
	v_cmp_ne_u32_e64 s3, v37, v41
	v_xor_b32_e32 v38, v38, v41
	v_xor_b32_e32 v36, v36, v41
	v_clz_i32_u32_e32 v44, v40
	s_delay_alu instid0(VALU_DEP_1) | instskip(NEXT) | instid1(VALU_DEP_1)
	v_add_nc_u32_e32 v43, 1, v44
	v_cndmask_b32_e64 v37, 33, v43, s3
	s_delay_alu instid0(VALU_DEP_1) | instskip(NEXT) | instid1(VALU_DEP_1)
	v_sub_nc_u32_e32 v42, 32, v37
	v_alignbit_b32 v40, v40, v38, v42
	v_alignbit_b32 v36, v38, v36, v42
	v_lshrrev_b32_e32 v38, 29, v1
	v_lshrrev_b32_e32 v1, 30, v1
	s_delay_alu instid0(VALU_DEP_3) | instskip(NEXT) | instid1(VALU_DEP_3)
	v_alignbit_b32 v41, v40, v36, 9
	v_lshlrev_b32_e32 v38, 31, v38
	v_alignbit_b32 v40, v37, v40, 9
	s_delay_alu instid0(VALU_DEP_3) | instskip(NEXT) | instid1(VALU_DEP_2)
	v_clz_i32_u32_e32 v42, v41
	v_or_b32_e32 v40, v40, v38
	v_or_b32_e32 v38, 0x33800000, v38
	s_delay_alu instid0(VALU_DEP_3) | instskip(NEXT) | instid1(VALU_DEP_3)
	v_min_u32_e32 v42, 32, v42
	v_xor_b32_e32 v40, 1.0, v40
	s_delay_alu instid0(VALU_DEP_2) | instskip(SKIP_1) | instid1(VALU_DEP_3)
	v_sub_nc_u32_e32 v43, 31, v42
	v_add_lshl_u32 v37, v42, v37, 23
	v_mul_f32_e32 v42, 0x3fc90fda, v40
	s_delay_alu instid0(VALU_DEP_3) | instskip(NEXT) | instid1(VALU_DEP_3)
	v_alignbit_b32 v36, v41, v36, v43
	v_sub_nc_u32_e32 v37, v38, v37
	s_delay_alu instid0(VALU_DEP_3) | instskip(NEXT) | instid1(VALU_DEP_3)
	v_fma_f32 v38, 0x3fc90fda, v40, -v42
	v_lshrrev_b32_e32 v36, 9, v36
	s_delay_alu instid0(VALU_DEP_2) | instskip(NEXT) | instid1(VALU_DEP_2)
	v_fmac_f32_e32 v38, 0x33a22168, v40
	v_or_b32_e32 v36, v37, v36
	s_delay_alu instid0(VALU_DEP_1) | instskip(NEXT) | instid1(VALU_DEP_1)
	v_fmac_f32_e32 v38, 0x3fc90fda, v36
	v_add_f32_e32 v36, v42, v38
	v_add_nc_u32_e32 v38, v39, v1
.LBB105_43:                             ;   in Loop: Header=BB105_25 Depth=1
	s_and_not1_saveexec_b32 s3, s20
; %bb.44:                               ;   in Loop: Header=BB105_25 Depth=1
	v_mul_f32_e64 v1, 0x3f22f983, |v26|
	s_delay_alu instid0(VALU_DEP_1) | instskip(NEXT) | instid1(VALU_DEP_1)
	v_rndne_f32_e32 v1, v1
	v_fma_f32 v36, 0xbfc90fda, v1, |v26|
	v_cvt_i32_f32_e32 v38, v1
	s_delay_alu instid0(VALU_DEP_2) | instskip(NEXT) | instid1(VALU_DEP_1)
	v_fmac_f32_e32 v36, 0xb3a22168, v1
	v_fmac_f32_e32 v36, 0xa7c234c4, v1
; %bb.45:                               ;   in Loop: Header=BB105_25 Depth=1
	s_or_b32 exec_lo, exec_lo, s3
	v_and_b32_e32 v37, 0x7fffffff, v25
                                        ; implicit-def: $vgpr39
                                        ; implicit-def: $vgpr1
	s_mov_b32 s4, exec_lo
	v_cmpx_ngt_f32_e64 0x48000000, |v25|
	s_xor_b32 s20, exec_lo, s4
	s_cbranch_execnz .LBB105_51
; %bb.46:                               ;   in Loop: Header=BB105_25 Depth=1
	s_and_not1_saveexec_b32 s3, s20
	s_cbranch_execnz .LBB105_52
.LBB105_47:                             ;   in Loop: Header=BB105_25 Depth=1
	s_or_b32 exec_lo, exec_lo, s3
	s_and_saveexec_b32 s3, s2
	s_delay_alu instid0(SALU_CYCLE_1)
	s_xor_b32 s3, exec_lo, s3
	s_cbranch_execnz .LBB105_53
.LBB105_48:                             ;   in Loop: Header=BB105_25 Depth=1
	s_or_b32 exec_lo, exec_lo, s3
	s_and_saveexec_b32 s2, s1
	s_cbranch_execnz .LBB105_54
.LBB105_49:                             ;   in Loop: Header=BB105_25 Depth=1
	s_or_b32 exec_lo, exec_lo, s2
	s_and_saveexec_b32 s1, s0
	s_cbranch_execnz .LBB105_55
.LBB105_50:                             ;   in Loop: Header=BB105_25 Depth=1
	s_or_b32 exec_lo, exec_lo, s1
	s_and_saveexec_b32 s0, vcc_lo
	s_cbranch_execz .LBB105_24
	s_branch .LBB105_56
.LBB105_51:                             ;   in Loop: Header=BB105_25 Depth=1
	v_lshrrev_b32_e32 v44, 23, v37
	v_and_or_b32 v47, v37, s7, 0x800000
	s_delay_alu instid0(VALU_DEP_2) | instskip(NEXT) | instid1(VALU_DEP_2)
	v_add_nc_u32_e32 v45, 0xffffff88, v44
	v_mad_u64_u32 v[39:40], null, 0xfe5163ab, v47, 0
	s_delay_alu instid0(VALU_DEP_2) | instskip(NEXT) | instid1(VALU_DEP_1)
	v_cmp_lt_u32_e64 s3, 63, v45
	v_cndmask_b32_e64 v46, 0, 0xffffffc0, s3
	s_delay_alu instid0(VALU_DEP_1) | instskip(NEXT) | instid1(VALU_DEP_1)
	v_dual_mov_b32 v1, v40 :: v_dual_add_nc_u32 v46, v46, v45
	v_mad_u64_u32 v[40:41], null, 0x3c439041, v47, v[1:2]
	s_delay_alu instid0(VALU_DEP_2) | instskip(NEXT) | instid1(VALU_DEP_1)
	v_cmp_lt_u32_e64 s4, 31, v46
	v_cndmask_b32_e64 v48, 0, 0xffffffe0, s4
	s_delay_alu instid0(VALU_DEP_1) | instskip(NEXT) | instid1(VALU_DEP_1)
	v_dual_mov_b32 v1, v41 :: v_dual_add_nc_u32 v48, v48, v46
	v_mad_u64_u32 v[41:42], null, 0xdb629599, v47, v[1:2]
	s_delay_alu instid0(VALU_DEP_2) | instskip(NEXT) | instid1(VALU_DEP_2)
	v_cmp_lt_u32_e64 s5, 31, v48
	v_mov_b32_e32 v1, v42
	s_delay_alu instid0(VALU_DEP_3) | instskip(NEXT) | instid1(VALU_DEP_2)
	v_cndmask_b32_e64 v39, v41, v39, s3
	v_mad_u64_u32 v[42:43], null, 0xf534ddc0, v47, v[1:2]
	s_delay_alu instid0(VALU_DEP_1) | instskip(NEXT) | instid1(VALU_DEP_2)
	v_mov_b32_e32 v1, v43
	v_cndmask_b32_e64 v40, v42, v40, s3
	s_delay_alu instid0(VALU_DEP_2) | instskip(NEXT) | instid1(VALU_DEP_2)
	v_mad_u64_u32 v[43:44], null, 0xfc2757d1, v47, v[1:2]
	v_cndmask_b32_e64 v39, v40, v39, s4
	s_delay_alu instid0(VALU_DEP_2) | instskip(NEXT) | instid1(VALU_DEP_1)
	v_mov_b32_e32 v1, v44
	v_mad_u64_u32 v[44:45], null, 0x4e441529, v47, v[1:2]
	s_delay_alu instid0(VALU_DEP_1) | instskip(NEXT) | instid1(VALU_DEP_1)
	v_mov_b32_e32 v1, v45
	v_mad_u64_u32 v[45:46], null, 0xa2f9836e, v47, v[1:2]
	v_cndmask_b32_e64 v1, 0, 0xffffffe0, s5
	s_delay_alu instid0(VALU_DEP_4) | instskip(NEXT) | instid1(VALU_DEP_2)
	v_cndmask_b32_e64 v47, v44, v42, s3
	v_add_nc_u32_e32 v1, v1, v48
	s_delay_alu instid0(VALU_DEP_4) | instskip(SKIP_2) | instid1(VALU_DEP_4)
	v_cndmask_b32_e64 v45, v45, v43, s3
	v_cndmask_b32_e64 v44, v46, v44, s3
	;; [unrolled: 1-line block ×3, first 2 shown]
	v_sub_nc_u32_e32 v46, 32, v1
	s_delay_alu instid0(VALU_DEP_4) | instskip(NEXT) | instid1(VALU_DEP_4)
	v_cndmask_b32_e64 v42, v45, v47, s4
	v_cndmask_b32_e64 v44, v44, v45, s4
	s_delay_alu instid0(VALU_DEP_4) | instskip(SKIP_2) | instid1(VALU_DEP_4)
	v_cndmask_b32_e64 v45, v47, v43, s4
	v_cndmask_b32_e64 v43, v43, v40, s4
	v_cmp_eq_u32_e64 s6, 0, v1
	v_cndmask_b32_e64 v44, v44, v42, s5
	s_delay_alu instid0(VALU_DEP_4) | instskip(NEXT) | instid1(VALU_DEP_4)
	v_cndmask_b32_e64 v42, v42, v45, s5
	v_cndmask_b32_e64 v45, v45, v43, s5
	v_cndmask_b32_e64 v39, v43, v39, s5
	s_delay_alu instid0(VALU_DEP_3) | instskip(NEXT) | instid1(VALU_DEP_3)
	v_alignbit_b32 v47, v44, v42, v46
	v_alignbit_b32 v48, v42, v45, v46
	s_delay_alu instid0(VALU_DEP_3) | instskip(NEXT) | instid1(VALU_DEP_3)
	v_alignbit_b32 v46, v45, v39, v46
	v_cndmask_b32_e64 v1, v47, v44, s6
	s_delay_alu instid0(VALU_DEP_3) | instskip(NEXT) | instid1(VALU_DEP_3)
	v_cndmask_b32_e64 v41, v48, v42, s6
	v_cndmask_b32_e64 v45, v46, v45, s6
	s_delay_alu instid0(VALU_DEP_3) | instskip(NEXT) | instid1(VALU_DEP_3)
	v_bfe_u32 v42, v1, 29, 1
	v_alignbit_b32 v40, v1, v41, 30
	s_delay_alu instid0(VALU_DEP_3) | instskip(SKIP_1) | instid1(VALU_DEP_4)
	v_alignbit_b32 v41, v41, v45, 30
	v_alignbit_b32 v39, v45, v39, 30
	v_sub_nc_u32_e32 v44, 0, v42
	s_delay_alu instid0(VALU_DEP_1) | instskip(SKIP_3) | instid1(VALU_DEP_4)
	v_xor_b32_e32 v43, v40, v44
	v_cmp_ne_u32_e64 s3, v40, v44
	v_xor_b32_e32 v41, v41, v44
	v_xor_b32_e32 v39, v39, v44
	v_clz_i32_u32_e32 v47, v43
	s_delay_alu instid0(VALU_DEP_1) | instskip(NEXT) | instid1(VALU_DEP_1)
	v_add_nc_u32_e32 v46, 1, v47
	v_cndmask_b32_e64 v40, 33, v46, s3
	s_delay_alu instid0(VALU_DEP_1) | instskip(NEXT) | instid1(VALU_DEP_1)
	v_sub_nc_u32_e32 v45, 32, v40
	v_alignbit_b32 v43, v43, v41, v45
	v_alignbit_b32 v39, v41, v39, v45
	v_lshrrev_b32_e32 v41, 29, v1
	s_delay_alu instid0(VALU_DEP_2) | instskip(NEXT) | instid1(VALU_DEP_2)
	v_alignbit_b32 v44, v43, v39, 9
	v_lshlrev_b32_e32 v41, 31, v41
	v_alignbit_b32 v43, v40, v43, 9
	s_delay_alu instid0(VALU_DEP_3) | instskip(NEXT) | instid1(VALU_DEP_2)
	v_clz_i32_u32_e32 v45, v44
	v_or_b32_e32 v43, v43, v41
	v_or_b32_e32 v41, 0x33800000, v41
	s_delay_alu instid0(VALU_DEP_3) | instskip(NEXT) | instid1(VALU_DEP_3)
	v_min_u32_e32 v45, 32, v45
	v_xor_b32_e32 v43, 1.0, v43
	s_delay_alu instid0(VALU_DEP_2) | instskip(SKIP_1) | instid1(VALU_DEP_3)
	v_sub_nc_u32_e32 v46, 31, v45
	v_add_lshl_u32 v40, v45, v40, 23
	v_mul_f32_e32 v45, 0x3fc90fda, v43
	s_delay_alu instid0(VALU_DEP_3) | instskip(NEXT) | instid1(VALU_DEP_3)
	v_alignbit_b32 v39, v44, v39, v46
	v_sub_nc_u32_e32 v40, v41, v40
	s_delay_alu instid0(VALU_DEP_3) | instskip(NEXT) | instid1(VALU_DEP_3)
	v_fma_f32 v41, 0x3fc90fda, v43, -v45
	v_lshrrev_b32_e32 v39, 9, v39
	s_delay_alu instid0(VALU_DEP_2) | instskip(NEXT) | instid1(VALU_DEP_2)
	v_fmac_f32_e32 v41, 0x33a22168, v43
	v_or_b32_e32 v39, v40, v39
	s_delay_alu instid0(VALU_DEP_1) | instskip(SKIP_1) | instid1(VALU_DEP_2)
	v_fmac_f32_e32 v41, 0x3fc90fda, v39
	v_lshrrev_b32_e32 v39, 30, v1
	v_add_f32_e32 v1, v45, v41
	s_delay_alu instid0(VALU_DEP_2)
	v_add_nc_u32_e32 v39, v42, v39
	s_and_not1_saveexec_b32 s3, s20
	s_cbranch_execz .LBB105_47
.LBB105_52:                             ;   in Loop: Header=BB105_25 Depth=1
	v_mul_f32_e64 v1, 0x3f22f983, |v25|
	s_delay_alu instid0(VALU_DEP_1) | instskip(NEXT) | instid1(VALU_DEP_1)
	v_rndne_f32_e32 v39, v1
	v_fma_f32 v1, 0xbfc90fda, v39, |v25|
	s_delay_alu instid0(VALU_DEP_1) | instskip(NEXT) | instid1(VALU_DEP_1)
	v_fmac_f32_e32 v1, 0xb3a22168, v39
	v_fmac_f32_e32 v1, 0xa7c234c4, v39
	v_cvt_i32_f32_e32 v39, v39
	s_or_b32 exec_lo, exec_lo, s3
	s_and_saveexec_b32 s3, s2
	s_delay_alu instid0(SALU_CYCLE_1)
	s_xor_b32 s3, exec_lo, s3
	s_cbranch_execz .LBB105_48
.LBB105_53:                             ;   in Loop: Header=BB105_25 Depth=1
	v_dual_mul_f32 v40, v30, v30 :: v_dual_and_b32 v43, 1, v32
	v_xor_b32_e32 v29, v29, v28
	v_lshlrev_b32_e32 v32, 30, v32
	s_delay_alu instid0(VALU_DEP_3) | instskip(NEXT) | instid1(VALU_DEP_4)
	v_fmaak_f32 v41, s18, v40, 0x3c0881c4
	v_cmp_eq_u32_e64 s2, 0, v43
	s_delay_alu instid0(VALU_DEP_3) | instskip(NEXT) | instid1(VALU_DEP_3)
	v_and_b32_e32 v32, 0x80000000, v32
	v_fmaak_f32 v41, v40, v41, 0xbe2aaa9d
	s_delay_alu instid0(VALU_DEP_1) | instskip(NEXT) | instid1(VALU_DEP_1)
	v_dual_fmaak_f32 v42, s19, v40, 0xbab64f3b :: v_dual_mul_f32 v41, v40, v41
	v_fmaak_f32 v42, v40, v42, 0x3d2aabf7
	s_delay_alu instid0(VALU_DEP_2) | instskip(NEXT) | instid1(VALU_DEP_2)
	v_fmac_f32_e32 v30, v30, v41
	v_fmaak_f32 v42, v40, v42, 0xbf000004
	s_delay_alu instid0(VALU_DEP_1) | instskip(NEXT) | instid1(VALU_DEP_1)
	v_fma_f32 v40, v40, v42, 1.0
	v_cndmask_b32_e64 v30, v40, v30, s2
	v_cmp_class_f32_e64 s2, v28, 0x1f8
	s_delay_alu instid0(VALU_DEP_2) | instskip(NEXT) | instid1(VALU_DEP_1)
	v_xor3_b32 v29, v29, v32, v30
	v_cndmask_b32_e64 v30, 0x7fc00000, v29, s2
	v_add_co_u32 v28, s2, v5, s8
	s_delay_alu instid0(VALU_DEP_1)
	v_add_co_ci_u32_e64 v29, s2, s9, v6, s2
	global_store_b32 v[28:29], v30, off
	s_or_b32 exec_lo, exec_lo, s3
	s_and_saveexec_b32 s2, s1
	s_cbranch_execz .LBB105_49
.LBB105_54:                             ;   in Loop: Header=BB105_25 Depth=1
	v_mul_f32_e32 v28, v33, v33
	v_and_b32_e32 v32, 1, v35
	v_lshlrev_b32_e32 v35, 30, v35
	s_delay_alu instid0(VALU_DEP_3) | instskip(NEXT) | instid1(VALU_DEP_3)
	v_fmaak_f32 v29, s18, v28, 0x3c0881c4
	v_cmp_eq_u32_e64 s1, 0, v32
	s_delay_alu instid0(VALU_DEP_2) | instskip(NEXT) | instid1(VALU_DEP_1)
	v_fmaak_f32 v29, v28, v29, 0xbe2aaa9d
	v_dual_fmaak_f32 v30, s19, v28, 0xbab64f3b :: v_dual_mul_f32 v29, v28, v29
	s_delay_alu instid0(VALU_DEP_1) | instskip(NEXT) | instid1(VALU_DEP_1)
	v_dual_fmaak_f32 v30, v28, v30, 0x3d2aabf7 :: v_dual_fmac_f32 v33, v33, v29
	v_fmaak_f32 v30, v28, v30, 0xbf000004
	v_xor_b32_e32 v29, v31, v27
	s_delay_alu instid0(VALU_DEP_2) | instskip(SKIP_1) | instid1(VALU_DEP_2)
	v_fma_f32 v28, v28, v30, 1.0
	v_and_b32_e32 v30, 0x80000000, v35
	v_cndmask_b32_e64 v28, v28, v33, s1
	v_cmp_class_f32_e64 s1, v27, 0x1f8
	s_delay_alu instid0(VALU_DEP_2) | instskip(NEXT) | instid1(VALU_DEP_1)
	v_xor3_b32 v28, v29, v30, v28
	v_cndmask_b32_e64 v29, 0x7fc00000, v28, s1
	v_add_co_u32 v27, s1, v23, s8
	s_delay_alu instid0(VALU_DEP_1)
	v_add_co_ci_u32_e64 v28, s1, s9, v24, s1
	global_store_b32 v[27:28], v29, off
	s_or_b32 exec_lo, exec_lo, s2
	s_and_saveexec_b32 s1, s0
	s_cbranch_execz .LBB105_50
.LBB105_55:                             ;   in Loop: Header=BB105_25 Depth=1
	v_dual_mul_f32 v27, v36, v36 :: v_dual_and_b32 v30, 1, v38
	s_delay_alu instid0(VALU_DEP_1) | instskip(NEXT) | instid1(VALU_DEP_2)
	v_dual_fmaak_f32 v28, s18, v27, 0x3c0881c4 :: v_dual_lshlrev_b32 v31, 30, v38
	v_cmp_eq_u32_e64 s0, 0, v30
	s_delay_alu instid0(VALU_DEP_2) | instskip(NEXT) | instid1(VALU_DEP_1)
	v_fmaak_f32 v28, v27, v28, 0xbe2aaa9d
	v_dual_fmaak_f32 v29, s19, v27, 0xbab64f3b :: v_dual_mul_f32 v28, v27, v28
	s_delay_alu instid0(VALU_DEP_1) | instskip(NEXT) | instid1(VALU_DEP_1)
	v_dual_fmaak_f32 v29, v27, v29, 0x3d2aabf7 :: v_dual_fmac_f32 v36, v36, v28
	v_fmaak_f32 v29, v27, v29, 0xbf000004
	v_xor_b32_e32 v28, v34, v26
	s_delay_alu instid0(VALU_DEP_2) | instskip(SKIP_1) | instid1(VALU_DEP_2)
	v_fma_f32 v27, v27, v29, 1.0
	v_and_b32_e32 v29, 0x80000000, v31
	v_cndmask_b32_e64 v27, v27, v36, s0
	v_cmp_class_f32_e64 s0, v26, 0x1f8
	s_delay_alu instid0(VALU_DEP_2) | instskip(NEXT) | instid1(VALU_DEP_1)
	v_xor3_b32 v27, v28, v29, v27
	v_cndmask_b32_e64 v28, 0x7fc00000, v27, s0
	v_add_co_u32 v26, s0, v16, s8
	s_delay_alu instid0(VALU_DEP_1)
	v_add_co_ci_u32_e64 v27, s0, s9, v17, s0
	global_store_b32 v[26:27], v28, off
	s_or_b32 exec_lo, exec_lo, s1
	s_and_saveexec_b32 s0, vcc_lo
	s_cbranch_execz .LBB105_24
.LBB105_56:                             ;   in Loop: Header=BB105_25 Depth=1
	v_dual_mul_f32 v26, v1, v1 :: v_dual_and_b32 v29, 1, v39
	s_delay_alu instid0(VALU_DEP_1) | instskip(NEXT) | instid1(VALU_DEP_2)
	v_dual_fmaak_f32 v27, s18, v26, 0x3c0881c4 :: v_dual_lshlrev_b32 v30, 30, v39
	v_cmp_eq_u32_e32 vcc_lo, 0, v29
	s_delay_alu instid0(VALU_DEP_2) | instskip(NEXT) | instid1(VALU_DEP_1)
	v_fmaak_f32 v27, v26, v27, 0xbe2aaa9d
	v_dual_fmaak_f32 v28, s19, v26, 0xbab64f3b :: v_dual_mul_f32 v27, v26, v27
	s_delay_alu instid0(VALU_DEP_1) | instskip(NEXT) | instid1(VALU_DEP_1)
	v_dual_fmaak_f32 v28, v26, v28, 0x3d2aabf7 :: v_dual_fmac_f32 v1, v1, v27
	v_fmaak_f32 v28, v26, v28, 0xbf000004
	v_xor_b32_e32 v27, v37, v25
	s_delay_alu instid0(VALU_DEP_2) | instskip(NEXT) | instid1(VALU_DEP_1)
	v_fma_f32 v26, v26, v28, 1.0
	v_dual_cndmask_b32 v1, v26, v1 :: v_dual_and_b32 v28, 0x80000000, v30
	v_cmp_class_f32_e64 vcc_lo, v25, 0x1f8
	s_delay_alu instid0(VALU_DEP_2) | instskip(NEXT) | instid1(VALU_DEP_1)
	v_xor3_b32 v1, v27, v28, v1
	v_cndmask_b32_e32 v1, 0x7fc00000, v1, vcc_lo
	v_add_co_u32 v25, vcc_lo, v9, s8
	v_add_co_ci_u32_e32 v26, vcc_lo, s9, v10, vcc_lo
	global_store_b32 v[25:26], v1, off
	s_branch .LBB105_24
.LBB105_57:
	s_nop 0
	s_sendmsg sendmsg(MSG_DEALLOC_VGPRS)
	s_endpgm
	.section	.rodata,"a",@progbits
	.p2align	6, 0x0
	.amdhsa_kernel _ZN2at6native12_GLOBAL__N_125multi_tensor_apply_kernelINS1_18TensorListMetadataILi2EEENS1_14UnaryOpFunctorIfLi2ELi1ELi1EEEJNS0_3SinIfEEEEEvT_T0_DpT1_
		.amdhsa_group_segment_fixed_size 0
		.amdhsa_private_segment_fixed_size 0
		.amdhsa_kernarg_size 3408
		.amdhsa_user_sgpr_count 15
		.amdhsa_user_sgpr_dispatch_ptr 0
		.amdhsa_user_sgpr_queue_ptr 0
		.amdhsa_user_sgpr_kernarg_segment_ptr 1
		.amdhsa_user_sgpr_dispatch_id 0
		.amdhsa_user_sgpr_private_segment_size 0
		.amdhsa_wavefront_size32 1
		.amdhsa_uses_dynamic_stack 0
		.amdhsa_enable_private_segment 0
		.amdhsa_system_sgpr_workgroup_id_x 1
		.amdhsa_system_sgpr_workgroup_id_y 0
		.amdhsa_system_sgpr_workgroup_id_z 0
		.amdhsa_system_sgpr_workgroup_info 0
		.amdhsa_system_vgpr_workitem_id 0
		.amdhsa_next_free_vgpr 49
		.amdhsa_next_free_sgpr 25
		.amdhsa_reserve_vcc 1
		.amdhsa_float_round_mode_32 0
		.amdhsa_float_round_mode_16_64 0
		.amdhsa_float_denorm_mode_32 3
		.amdhsa_float_denorm_mode_16_64 3
		.amdhsa_dx10_clamp 1
		.amdhsa_ieee_mode 1
		.amdhsa_fp16_overflow 0
		.amdhsa_workgroup_processor_mode 1
		.amdhsa_memory_ordered 1
		.amdhsa_forward_progress 0
		.amdhsa_shared_vgpr_count 0
		.amdhsa_exception_fp_ieee_invalid_op 0
		.amdhsa_exception_fp_denorm_src 0
		.amdhsa_exception_fp_ieee_div_zero 0
		.amdhsa_exception_fp_ieee_overflow 0
		.amdhsa_exception_fp_ieee_underflow 0
		.amdhsa_exception_fp_ieee_inexact 0
		.amdhsa_exception_int_div_zero 0
	.end_amdhsa_kernel
	.section	.text._ZN2at6native12_GLOBAL__N_125multi_tensor_apply_kernelINS1_18TensorListMetadataILi2EEENS1_14UnaryOpFunctorIfLi2ELi1ELi1EEEJNS0_3SinIfEEEEEvT_T0_DpT1_,"axG",@progbits,_ZN2at6native12_GLOBAL__N_125multi_tensor_apply_kernelINS1_18TensorListMetadataILi2EEENS1_14UnaryOpFunctorIfLi2ELi1ELi1EEEJNS0_3SinIfEEEEEvT_T0_DpT1_,comdat
.Lfunc_end105:
	.size	_ZN2at6native12_GLOBAL__N_125multi_tensor_apply_kernelINS1_18TensorListMetadataILi2EEENS1_14UnaryOpFunctorIfLi2ELi1ELi1EEEJNS0_3SinIfEEEEEvT_T0_DpT1_, .Lfunc_end105-_ZN2at6native12_GLOBAL__N_125multi_tensor_apply_kernelINS1_18TensorListMetadataILi2EEENS1_14UnaryOpFunctorIfLi2ELi1ELi1EEEJNS0_3SinIfEEEEEvT_T0_DpT1_
                                        ; -- End function
	.section	.AMDGPU.csdata,"",@progbits
; Kernel info:
; codeLenInByte = 9016
; NumSgprs: 27
; NumVgprs: 49
; ScratchSize: 0
; MemoryBound: 0
; FloatMode: 240
; IeeeMode: 1
; LDSByteSize: 0 bytes/workgroup (compile time only)
; SGPRBlocks: 3
; VGPRBlocks: 6
; NumSGPRsForWavesPerEU: 27
; NumVGPRsForWavesPerEU: 49
; Occupancy: 16
; WaveLimiterHint : 0
; COMPUTE_PGM_RSRC2:SCRATCH_EN: 0
; COMPUTE_PGM_RSRC2:USER_SGPR: 15
; COMPUTE_PGM_RSRC2:TRAP_HANDLER: 0
; COMPUTE_PGM_RSRC2:TGID_X_EN: 1
; COMPUTE_PGM_RSRC2:TGID_Y_EN: 0
; COMPUTE_PGM_RSRC2:TGID_Z_EN: 0
; COMPUTE_PGM_RSRC2:TIDIG_COMP_CNT: 0
	.text
	.p2align	2                               ; -- Begin function _ZN6thrust23THRUST_200600_302600_NS6detail7complex5csinhERKNS0_7complexIdEE
	.type	_ZN6thrust23THRUST_200600_302600_NS6detail7complex5csinhERKNS0_7complexIdEE,@function
_ZN6thrust23THRUST_200600_302600_NS6detail7complex5csinhERKNS0_7complexIdEE: ; @_ZN6thrust23THRUST_200600_302600_NS6detail7complex5csinhERKNS0_7complexIdEE
; %bb.0:
	s_waitcnt vmcnt(0) expcnt(0) lgkmcnt(0)
	v_and_b32_e32 v8, 0x7fffffff, v1
	v_and_b32_e32 v9, 0x7fffffff, v3
                                        ; implicit-def: $vgpr6_vgpr7
	s_delay_alu instid0(VALU_DEP_2) | instskip(NEXT) | instid1(VALU_DEP_2)
	v_cmp_gt_u32_e64 s0, 0x7ff00000, v8
	v_max_u32_e32 v4, v8, v9
	s_delay_alu instid0(VALU_DEP_1) | instskip(SKIP_1) | instid1(SALU_CYCLE_1)
	v_cmp_lt_u32_e32 vcc_lo, 0x7fefffff, v4
                                        ; implicit-def: $vgpr4_vgpr5
	s_and_saveexec_b32 s1, vcc_lo
	s_xor_b32 s4, exec_lo, s1
	s_cbranch_execz .LBB106_32
; %bb.1:
	v_or_b32_e32 v4, v8, v0
	v_cmp_lt_u32_e64 s1, 0x7fefffff, v9
	v_cmp_gt_u32_e32 vcc_lo, 0x7ff00000, v9
                                        ; implicit-def: $vgpr6_vgpr7
	s_delay_alu instid0(VALU_DEP_3) | instskip(NEXT) | instid1(VALU_DEP_3)
	v_cmp_ne_u32_e64 s2, 0, v4
	s_xor_b32 s3, s1, -1
                                        ; implicit-def: $vgpr4_vgpr5
	s_delay_alu instid0(VALU_DEP_1) | instid1(SALU_CYCLE_1)
	s_or_b32 s2, s2, s3
	s_delay_alu instid0(SALU_CYCLE_1) | instskip(NEXT) | instid1(SALU_CYCLE_1)
	s_and_saveexec_b32 s3, s2
	s_xor_b32 s5, exec_lo, s3
	s_cbranch_execz .LBB106_29
; %bb.2:
	v_or_b32_e32 v4, v9, v2
	v_cmp_gt_u32_e64 s7, 0x7ff00000, v8
	v_cmp_lt_u32_e64 s2, 0x7fefffff, v8
                                        ; implicit-def: $vgpr6_vgpr7
	s_delay_alu instid0(VALU_DEP_3) | instskip(NEXT) | instid1(VALU_DEP_1)
	v_cmp_ne_u32_e64 s3, 0, v4
                                        ; implicit-def: $vgpr4_vgpr5
	s_or_b32 s3, s7, s3
	s_delay_alu instid0(SALU_CYCLE_1) | instskip(NEXT) | instid1(SALU_CYCLE_1)
	s_and_saveexec_b32 s6, s3
	s_xor_b32 s3, exec_lo, s6
	s_cbranch_execz .LBB106_26
; %bb.3:
	s_and_b32 s0, s0, s1
                                        ; implicit-def: $vgpr4_vgpr5
                                        ; implicit-def: $vgpr6_vgpr7
	s_delay_alu instid0(SALU_CYCLE_1) | instskip(NEXT) | instid1(SALU_CYCLE_1)
	s_xor_b32 s0, s0, -1
	s_and_saveexec_b32 s1, s0
	s_delay_alu instid0(SALU_CYCLE_1)
	s_xor_b32 s6, exec_lo, s1
	s_cbranch_execz .LBB106_23
; %bb.4:
	s_mov_b32 s1, 0
	s_and_saveexec_b32 s8, s2
; %bb.5:
	v_and_or_b32 v4, 0xfffff, v1, v0
	s_and_not1_b32 s2, s7, exec_lo
	s_mov_b32 s1, exec_lo
	s_delay_alu instid0(VALU_DEP_1) | instskip(NEXT) | instid1(VALU_DEP_1)
	v_cmp_ne_u32_e64 s0, 0, v4
	s_and_b32 s0, s0, exec_lo
	s_delay_alu instid0(SALU_CYCLE_1)
	s_or_b32 s7, s2, s0
; %bb.6:
	s_or_b32 exec_lo, exec_lo, s8
                                        ; implicit-def: $vgpr4_vgpr5
                                        ; implicit-def: $vgpr6_vgpr7
	s_and_saveexec_b32 s0, s7
	s_delay_alu instid0(SALU_CYCLE_1)
	s_xor_b32 s0, exec_lo, s0
	s_cbranch_execz .LBB106_8
; %bb.7:
	v_mul_f64 v[4:5], v[0:1], v[0:1]
	v_add_f64 v[8:9], v[2:3], -v[2:3]
	v_add_f64 v[10:11], v[0:1], v[0:1]
	s_and_not1_b32 s1, s1, exec_lo
	s_delay_alu instid0(VALU_DEP_2) | instskip(NEXT) | instid1(VALU_DEP_2)
	v_mul_f64 v[6:7], v[4:5], v[8:9]
	v_mul_f64 v[4:5], v[10:11], v[8:9]
	s_or_b32 exec_lo, exec_lo, s0
	s_and_saveexec_b32 s2, s1
	s_cbranch_execz .LBB106_22
	s_branch .LBB106_9
.LBB106_8:
	s_or_b32 exec_lo, exec_lo, s0
	s_and_saveexec_b32 s2, s1
	s_cbranch_execz .LBB106_22
.LBB106_9:
                                        ; implicit-def: $vgpr4_vgpr5
                                        ; implicit-def: $vgpr6_vgpr7
	s_and_saveexec_b32 s0, vcc_lo
	s_delay_alu instid0(SALU_CYCLE_1)
	s_xor_b32 s7, exec_lo, s0
	s_cbranch_execz .LBB106_19
; %bb.10:
	v_cmp_ngt_f64_e64 s1, 0x41d00000, |v[2:3]|
                                        ; implicit-def: $vgpr12
                                        ; implicit-def: $vgpr4_vgpr5
                                        ; implicit-def: $vgpr6_vgpr7
	s_delay_alu instid0(VALU_DEP_1) | instskip(NEXT) | instid1(SALU_CYCLE_1)
	s_and_saveexec_b32 s0, s1
	s_xor_b32 s8, exec_lo, s0
	s_cbranch_execz .LBB106_12
; %bb.11:
	v_ldexp_f64 v[4:5], |v[2:3]|, 0xffffff80
	v_cmp_le_f64_e64 vcc_lo, 0x7b000000, |v[2:3]|
	v_trig_preop_f64 v[6:7], |v[2:3]|, 0
	v_and_b32_e32 v8, 0x7fffffff, v3
	v_trig_preop_f64 v[18:19], |v[2:3]|, 2
	v_mov_b32_e32 v26, 0
	s_mov_b32 s10, 0x54442d18
	s_mov_b32 s11, 0x3ff921fb
	;; [unrolled: 1-line block ×4, first 2 shown]
	v_dual_cndmask_b32 v5, v8, v5 :: v_dual_cndmask_b32 v4, v2, v4
	v_trig_preop_f64 v[8:9], |v[2:3]|, 1
	s_delay_alu instid0(VALU_DEP_2) | instskip(SKIP_1) | instid1(VALU_DEP_3)
	v_mul_f64 v[10:11], v[6:7], v[4:5]
	v_mul_f64 v[24:25], v[18:19], v[4:5]
	;; [unrolled: 1-line block ×3, first 2 shown]
	s_delay_alu instid0(VALU_DEP_3) | instskip(NEXT) | instid1(VALU_DEP_2)
	v_fma_f64 v[6:7], v[6:7], v[4:5], -v[10:11]
	v_fma_f64 v[8:9], v[8:9], v[4:5], -v[12:13]
	s_delay_alu instid0(VALU_DEP_4) | instskip(NEXT) | instid1(VALU_DEP_3)
	v_fma_f64 v[4:5], v[18:19], v[4:5], -v[24:25]
	v_add_f64 v[14:15], v[12:13], v[6:7]
	s_delay_alu instid0(VALU_DEP_1) | instskip(SKIP_1) | instid1(VALU_DEP_2)
	v_add_f64 v[16:17], v[14:15], -v[12:13]
	v_add_f64 v[22:23], v[10:11], v[14:15]
	v_add_f64 v[20:21], v[14:15], -v[16:17]
	v_add_f64 v[6:7], v[6:7], -v[16:17]
	s_delay_alu instid0(VALU_DEP_3) | instskip(SKIP_1) | instid1(VALU_DEP_4)
	v_ldexp_f64 v[16:17], v[22:23], -2
	v_add_f64 v[10:11], v[22:23], -v[10:11]
	v_add_f64 v[12:13], v[12:13], -v[20:21]
	v_add_f64 v[20:21], v[24:25], v[8:9]
	s_delay_alu instid0(VALU_DEP_4) | instskip(NEXT) | instid1(VALU_DEP_4)
	v_cmp_neq_f64_e64 vcc_lo, 0x7ff00000, |v[16:17]|
	v_add_f64 v[10:11], v[14:15], -v[10:11]
	s_delay_alu instid0(VALU_DEP_4) | instskip(SKIP_1) | instid1(VALU_DEP_2)
	v_add_f64 v[6:7], v[6:7], v[12:13]
	v_fract_f64_e32 v[12:13], v[16:17]
	v_add_f64 v[14:15], v[20:21], v[6:7]
	s_delay_alu instid0(VALU_DEP_2) | instskip(NEXT) | instid1(VALU_DEP_1)
	v_dual_cndmask_b32 v13, 0, v13 :: v_dual_cndmask_b32 v12, 0, v12
	v_ldexp_f64 v[12:13], v[12:13], 2
	s_delay_alu instid0(VALU_DEP_3) | instskip(NEXT) | instid1(VALU_DEP_1)
	v_add_f64 v[16:17], v[10:11], v[14:15]
	v_add_f64 v[22:23], v[16:17], v[12:13]
	v_add_f64 v[10:11], v[16:17], -v[10:11]
	s_delay_alu instid0(VALU_DEP_2) | instskip(SKIP_1) | instid1(VALU_DEP_3)
	v_cmp_gt_f64_e32 vcc_lo, 0, v[22:23]
	v_add_f64 v[22:23], v[20:21], -v[24:25]
	v_add_f64 v[10:11], v[14:15], -v[10:11]
	v_cndmask_b32_e64 v27, 0, 0x40100000, vcc_lo
	s_delay_alu instid0(VALU_DEP_3) | instskip(SKIP_1) | instid1(VALU_DEP_3)
	v_add_f64 v[31:32], v[20:21], -v[22:23]
	v_add_f64 v[8:9], v[8:9], -v[22:23]
	v_add_f64 v[12:13], v[12:13], v[26:27]
	v_add_f64 v[27:28], v[14:15], -v[20:21]
	s_delay_alu instid0(VALU_DEP_4) | instskip(NEXT) | instid1(VALU_DEP_3)
	v_add_f64 v[22:23], v[24:25], -v[31:32]
	v_add_f64 v[29:30], v[16:17], v[12:13]
	s_delay_alu instid0(VALU_DEP_3) | instskip(SKIP_1) | instid1(VALU_DEP_4)
	v_add_f64 v[33:34], v[14:15], -v[27:28]
	v_add_f64 v[6:7], v[6:7], -v[27:28]
	v_add_f64 v[8:9], v[8:9], v[22:23]
	s_delay_alu instid0(VALU_DEP_4) | instskip(NEXT) | instid1(VALU_DEP_4)
	v_cvt_i32_f64_e32 v29, v[29:30]
	v_add_f64 v[20:21], v[20:21], -v[33:34]
	s_delay_alu instid0(VALU_DEP_2) | instskip(NEXT) | instid1(VALU_DEP_2)
	v_cvt_f64_i32_e32 v[27:28], v29
	v_add_f64 v[6:7], v[6:7], v[20:21]
	s_delay_alu instid0(VALU_DEP_2) | instskip(NEXT) | instid1(VALU_DEP_2)
	v_add_f64 v[12:13], v[12:13], -v[27:28]
	v_add_f64 v[6:7], v[8:9], v[6:7]
	s_delay_alu instid0(VALU_DEP_2) | instskip(NEXT) | instid1(VALU_DEP_2)
	v_add_f64 v[8:9], v[16:17], v[12:13]
	v_add_f64 v[4:5], v[4:5], v[6:7]
	s_delay_alu instid0(VALU_DEP_2) | instskip(SKIP_1) | instid1(VALU_DEP_3)
	v_add_f64 v[6:7], v[8:9], -v[12:13]
	v_cmp_le_f64_e32 vcc_lo, 0.5, v[8:9]
	v_add_f64 v[4:5], v[10:11], v[4:5]
	s_delay_alu instid0(VALU_DEP_3) | instskip(SKIP_2) | instid1(VALU_DEP_3)
	v_add_f64 v[6:7], v[16:17], -v[6:7]
	v_cndmask_b32_e64 v27, 0, 0x3ff00000, vcc_lo
	v_add_co_ci_u32_e64 v12, s0, 0, v29, vcc_lo
	v_add_f64 v[4:5], v[4:5], v[6:7]
	s_delay_alu instid0(VALU_DEP_3) | instskip(NEXT) | instid1(VALU_DEP_1)
	v_add_f64 v[6:7], v[8:9], -v[26:27]
	v_add_f64 v[8:9], v[6:7], v[4:5]
	s_delay_alu instid0(VALU_DEP_1) | instskip(SKIP_1) | instid1(VALU_DEP_2)
	v_mul_f64 v[10:11], v[8:9], s[10:11]
	v_add_f64 v[6:7], v[8:9], -v[6:7]
	v_fma_f64 v[13:14], v[8:9], s[10:11], -v[10:11]
	s_delay_alu instid0(VALU_DEP_2) | instskip(NEXT) | instid1(VALU_DEP_2)
	v_add_f64 v[4:5], v[4:5], -v[6:7]
	v_fma_f64 v[6:7], v[8:9], s[12:13], v[13:14]
	s_delay_alu instid0(VALU_DEP_1) | instskip(NEXT) | instid1(VALU_DEP_1)
	v_fma_f64 v[6:7], v[4:5], s[10:11], v[6:7]
	v_add_f64 v[4:5], v[10:11], v[6:7]
	s_delay_alu instid0(VALU_DEP_1) | instskip(NEXT) | instid1(VALU_DEP_1)
	v_add_f64 v[8:9], v[4:5], -v[10:11]
	v_add_f64 v[6:7], v[6:7], -v[8:9]
	s_and_not1_saveexec_b32 s0, s8
	s_cbranch_execz .LBB106_14
	s_branch .LBB106_13
.LBB106_12:
	s_and_not1_saveexec_b32 s0, s8
	s_cbranch_execz .LBB106_14
.LBB106_13:
	s_mov_b32 s8, 0x6dc9c883
	s_mov_b32 s9, 0x3fe45f30
	;; [unrolled: 1-line block ×3, first 2 shown]
	v_mul_f64 v[4:5], |v[2:3]|, s[8:9]
	s_mov_b32 s8, 0x54442d18
	s_mov_b32 s9, 0xbff921fb
	;; [unrolled: 1-line block ×3, first 2 shown]
	s_delay_alu instid0(VALU_DEP_1) | instskip(NEXT) | instid1(VALU_DEP_1)
	v_rndne_f64_e32 v[8:9], v[4:5]
	v_fma_f64 v[4:5], v[8:9], s[8:9], |v[2:3]|
	v_mul_f64 v[6:7], v[8:9], s[10:11]
	s_mov_b32 s8, 0x252049c0
	s_mov_b32 s9, 0xb97b839a
	s_delay_alu instid0(VALU_DEP_2) | instskip(NEXT) | instid1(VALU_DEP_2)
	v_fma_f64 v[12:13], v[8:9], s[10:11], v[4:5]
	v_add_f64 v[10:11], v[4:5], v[6:7]
	s_mov_b32 s11, 0x3c91a626
	s_delay_alu instid0(VALU_DEP_1) | instskip(NEXT) | instid1(VALU_DEP_3)
	v_add_f64 v[4:5], v[4:5], -v[10:11]
	v_add_f64 v[10:11], v[10:11], -v[12:13]
	s_delay_alu instid0(VALU_DEP_2) | instskip(SKIP_1) | instid1(VALU_DEP_2)
	v_add_f64 v[4:5], v[4:5], v[6:7]
	v_fma_f64 v[6:7], v[8:9], s[10:11], v[6:7]
	v_add_f64 v[4:5], v[10:11], v[4:5]
	s_delay_alu instid0(VALU_DEP_1) | instskip(NEXT) | instid1(VALU_DEP_1)
	v_add_f64 v[4:5], v[4:5], -v[6:7]
	v_fma_f64 v[6:7], v[8:9], s[8:9], v[4:5]
	s_delay_alu instid0(VALU_DEP_1) | instskip(NEXT) | instid1(VALU_DEP_1)
	v_add_f64 v[4:5], v[12:13], v[6:7]
	v_add_f64 v[10:11], v[4:5], -v[12:13]
	v_cvt_i32_f64_e32 v12, v[8:9]
	s_delay_alu instid0(VALU_DEP_2)
	v_add_f64 v[6:7], v[6:7], -v[10:11]
.LBB106_14:
	s_or_b32 exec_lo, exec_lo, s0
                                        ; implicit-def: $vgpr13
                                        ; implicit-def: $vgpr8_vgpr9
                                        ; implicit-def: $vgpr10_vgpr11
	s_and_saveexec_b32 s0, s1
	s_delay_alu instid0(SALU_CYCLE_1)
	s_xor_b32 s1, exec_lo, s0
	s_cbranch_execz .LBB106_16
; %bb.15:
	v_ldexp_f64 v[8:9], |v[2:3]|, 0xffffff80
	v_cmp_le_f64_e64 vcc_lo, 0x7b000000, |v[2:3]|
	v_trig_preop_f64 v[10:11], |v[2:3]|, 0
	v_and_b32_e32 v13, 0x7fffffff, v3
	v_trig_preop_f64 v[23:24], |v[2:3]|, 2
	v_mov_b32_e32 v31, 0
	s_mov_b32 s8, 0x54442d18
	s_mov_b32 s9, 0x3ff921fb
	;; [unrolled: 1-line block ×4, first 2 shown]
	v_dual_cndmask_b32 v8, v2, v8 :: v_dual_cndmask_b32 v9, v13, v9
	v_trig_preop_f64 v[13:14], |v[2:3]|, 1
	s_delay_alu instid0(VALU_DEP_2) | instskip(NEXT) | instid1(VALU_DEP_2)
	v_mul_f64 v[15:16], v[10:11], v[8:9]
	v_mul_f64 v[17:18], v[13:14], v[8:9]
	s_delay_alu instid0(VALU_DEP_2) | instskip(NEXT) | instid1(VALU_DEP_2)
	v_fma_f64 v[10:11], v[10:11], v[8:9], -v[15:16]
	v_fma_f64 v[13:14], v[13:14], v[8:9], -v[17:18]
	s_delay_alu instid0(VALU_DEP_2) | instskip(NEXT) | instid1(VALU_DEP_1)
	v_add_f64 v[19:20], v[17:18], v[10:11]
	v_add_f64 v[21:22], v[19:20], -v[17:18]
	v_add_f64 v[27:28], v[15:16], v[19:20]
	s_delay_alu instid0(VALU_DEP_2) | instskip(SKIP_1) | instid1(VALU_DEP_3)
	v_add_f64 v[25:26], v[19:20], -v[21:22]
	v_add_f64 v[10:11], v[10:11], -v[21:22]
	v_ldexp_f64 v[21:22], v[27:28], -2
	v_add_f64 v[15:16], v[27:28], -v[15:16]
	s_delay_alu instid0(VALU_DEP_4) | instskip(NEXT) | instid1(VALU_DEP_3)
	v_add_f64 v[17:18], v[17:18], -v[25:26]
	v_cmp_neq_f64_e64 vcc_lo, 0x7ff00000, |v[21:22]|
	s_delay_alu instid0(VALU_DEP_3) | instskip(NEXT) | instid1(VALU_DEP_3)
	v_add_f64 v[15:16], v[19:20], -v[15:16]
	v_add_f64 v[10:11], v[10:11], v[17:18]
	v_fract_f64_e32 v[17:18], v[21:22]
	s_delay_alu instid0(VALU_DEP_1) | instskip(SKIP_1) | instid1(VALU_DEP_3)
	v_cndmask_b32_e32 v18, 0, v18, vcc_lo
	v_mul_f64 v[29:30], v[23:24], v[8:9]
	v_cndmask_b32_e32 v17, 0, v17, vcc_lo
	s_delay_alu instid0(VALU_DEP_1) | instskip(NEXT) | instid1(VALU_DEP_3)
	v_ldexp_f64 v[17:18], v[17:18], 2
	v_add_f64 v[25:26], v[29:30], v[13:14]
	v_fma_f64 v[8:9], v[23:24], v[8:9], -v[29:30]
	s_delay_alu instid0(VALU_DEP_2) | instskip(NEXT) | instid1(VALU_DEP_1)
	v_add_f64 v[19:20], v[25:26], v[10:11]
	v_add_f64 v[21:22], v[15:16], v[19:20]
	s_delay_alu instid0(VALU_DEP_1) | instskip(SKIP_1) | instid1(VALU_DEP_2)
	v_add_f64 v[27:28], v[21:22], v[17:18]
	v_add_f64 v[15:16], v[21:22], -v[15:16]
	v_cmp_gt_f64_e32 vcc_lo, 0, v[27:28]
	v_add_f64 v[27:28], v[25:26], -v[29:30]
	v_cndmask_b32_e64 v32, 0, 0x40100000, vcc_lo
	s_delay_alu instid0(VALU_DEP_2) | instskip(SKIP_1) | instid1(VALU_DEP_3)
	v_add_f64 v[36:37], v[25:26], -v[27:28]
	v_add_f64 v[13:14], v[13:14], -v[27:28]
	v_add_f64 v[17:18], v[17:18], v[31:32]
	v_add_f64 v[32:33], v[19:20], -v[25:26]
	s_delay_alu instid0(VALU_DEP_4) | instskip(NEXT) | instid1(VALU_DEP_3)
	v_add_f64 v[27:28], v[29:30], -v[36:37]
	v_add_f64 v[34:35], v[21:22], v[17:18]
	s_delay_alu instid0(VALU_DEP_3) | instskip(SKIP_1) | instid1(VALU_DEP_4)
	v_add_f64 v[38:39], v[19:20], -v[32:33]
	v_add_f64 v[10:11], v[10:11], -v[32:33]
	v_add_f64 v[13:14], v[13:14], v[27:28]
	s_delay_alu instid0(VALU_DEP_4) | instskip(NEXT) | instid1(VALU_DEP_4)
	v_cvt_i32_f64_e32 v34, v[34:35]
	v_add_f64 v[25:26], v[25:26], -v[38:39]
	s_delay_alu instid0(VALU_DEP_2) | instskip(NEXT) | instid1(VALU_DEP_2)
	v_cvt_f64_i32_e32 v[32:33], v34
	v_add_f64 v[10:11], v[10:11], v[25:26]
	s_delay_alu instid0(VALU_DEP_2) | instskip(NEXT) | instid1(VALU_DEP_2)
	v_add_f64 v[17:18], v[17:18], -v[32:33]
	v_add_f64 v[10:11], v[13:14], v[10:11]
	v_add_f64 v[13:14], v[19:20], -v[15:16]
	s_delay_alu instid0(VALU_DEP_3) | instskip(NEXT) | instid1(VALU_DEP_3)
	v_add_f64 v[23:24], v[21:22], v[17:18]
	v_add_f64 v[8:9], v[8:9], v[10:11]
	s_delay_alu instid0(VALU_DEP_2) | instskip(SKIP_1) | instid1(VALU_DEP_3)
	v_add_f64 v[10:11], v[23:24], -v[17:18]
	v_cmp_le_f64_e32 vcc_lo, 0.5, v[23:24]
	v_add_f64 v[8:9], v[13:14], v[8:9]
	s_delay_alu instid0(VALU_DEP_3) | instskip(SKIP_2) | instid1(VALU_DEP_3)
	v_add_f64 v[10:11], v[21:22], -v[10:11]
	v_cndmask_b32_e64 v32, 0, 0x3ff00000, vcc_lo
	v_add_co_ci_u32_e64 v13, s0, 0, v34, vcc_lo
	v_add_f64 v[8:9], v[8:9], v[10:11]
	s_delay_alu instid0(VALU_DEP_3) | instskip(NEXT) | instid1(VALU_DEP_1)
	v_add_f64 v[10:11], v[23:24], -v[31:32]
	v_add_f64 v[14:15], v[10:11], v[8:9]
	s_delay_alu instid0(VALU_DEP_1) | instskip(SKIP_1) | instid1(VALU_DEP_2)
	v_mul_f64 v[16:17], v[14:15], s[8:9]
	v_add_f64 v[10:11], v[14:15], -v[10:11]
	v_fma_f64 v[18:19], v[14:15], s[8:9], -v[16:17]
	s_delay_alu instid0(VALU_DEP_2) | instskip(NEXT) | instid1(VALU_DEP_2)
	v_add_f64 v[8:9], v[8:9], -v[10:11]
	v_fma_f64 v[10:11], v[14:15], s[10:11], v[18:19]
	s_delay_alu instid0(VALU_DEP_1) | instskip(NEXT) | instid1(VALU_DEP_1)
	v_fma_f64 v[10:11], v[8:9], s[8:9], v[10:11]
	v_add_f64 v[8:9], v[16:17], v[10:11]
	s_delay_alu instid0(VALU_DEP_1) | instskip(NEXT) | instid1(VALU_DEP_1)
	v_add_f64 v[14:15], v[8:9], -v[16:17]
	v_add_f64 v[10:11], v[10:11], -v[14:15]
	s_and_not1_saveexec_b32 s0, s1
	s_cbranch_execnz .LBB106_17
	s_branch .LBB106_18
.LBB106_16:
	s_and_not1_saveexec_b32 s0, s1
	s_cbranch_execz .LBB106_18
.LBB106_17:
	s_mov_b32 s8, 0x6dc9c883
	s_mov_b32 s9, 0x3fe45f30
	;; [unrolled: 1-line block ×3, first 2 shown]
	v_mul_f64 v[8:9], |v[2:3]|, s[8:9]
	s_mov_b32 s8, 0x54442d18
	s_mov_b32 s9, 0xbff921fb
	;; [unrolled: 1-line block ×3, first 2 shown]
	s_delay_alu instid0(VALU_DEP_1) | instskip(NEXT) | instid1(VALU_DEP_1)
	v_rndne_f64_e32 v[13:14], v[8:9]
	v_fma_f64 v[8:9], v[13:14], s[8:9], |v[2:3]|
	v_mul_f64 v[10:11], v[13:14], s[10:11]
	s_mov_b32 s8, 0x252049c0
	s_mov_b32 s9, 0xb97b839a
	s_delay_alu instid0(VALU_DEP_2) | instskip(NEXT) | instid1(VALU_DEP_2)
	v_fma_f64 v[17:18], v[13:14], s[10:11], v[8:9]
	v_add_f64 v[15:16], v[8:9], v[10:11]
	s_mov_b32 s11, 0x3c91a626
	s_delay_alu instid0(VALU_DEP_1) | instskip(NEXT) | instid1(VALU_DEP_3)
	v_add_f64 v[8:9], v[8:9], -v[15:16]
	v_add_f64 v[15:16], v[15:16], -v[17:18]
	s_delay_alu instid0(VALU_DEP_2) | instskip(SKIP_1) | instid1(VALU_DEP_2)
	v_add_f64 v[8:9], v[8:9], v[10:11]
	v_fma_f64 v[10:11], v[13:14], s[10:11], v[10:11]
	v_add_f64 v[8:9], v[15:16], v[8:9]
	s_delay_alu instid0(VALU_DEP_1) | instskip(NEXT) | instid1(VALU_DEP_1)
	v_add_f64 v[8:9], v[8:9], -v[10:11]
	v_fma_f64 v[10:11], v[13:14], s[8:9], v[8:9]
	v_cvt_i32_f64_e32 v13, v[13:14]
	s_delay_alu instid0(VALU_DEP_2) | instskip(NEXT) | instid1(VALU_DEP_1)
	v_add_f64 v[8:9], v[17:18], v[10:11]
	v_add_f64 v[15:16], v[8:9], -v[17:18]
	s_delay_alu instid0(VALU_DEP_1)
	v_add_f64 v[10:11], v[10:11], -v[15:16]
.LBB106_18:
	s_or_b32 exec_lo, exec_lo, s0
	s_delay_alu instid0(VALU_DEP_2)
	v_mul_f64 v[14:15], v[4:5], v[4:5]
	v_mul_f64 v[16:17], v[8:9], v[8:9]
	s_mov_b32 s0, 0xb42fdfa7
	s_mov_b32 s8, 0xf9a43bb8
	;; [unrolled: 1-line block ×6, first 2 shown]
	s_delay_alu instid0(VALU_DEP_3) | instskip(NEXT) | instid1(VALU_DEP_4)
	v_mul_f64 v[34:35], v[6:7], 0.5
	v_mul_f64 v[48:49], v[10:11], 0.5
	s_delay_alu instid0(VALU_DEP_4) | instskip(NEXT) | instid1(VALU_DEP_4)
	v_fma_f64 v[18:19], v[14:15], s[8:9], s[0:1]
	v_fma_f64 v[20:21], v[16:17], s[8:9], s[0:1]
	v_mul_f64 v[24:25], v[14:15], 0.5
	s_mov_b32 s0, 0x9037ab78
	s_mov_b32 s8, 0x46cc5e42
	;; [unrolled: 1-line block ×4, first 2 shown]
	v_mul_f64 v[26:27], v[16:17], 0.5
	v_fma_f64 v[22:23], v[14:15], s[8:9], s[0:1]
	v_fma_f64 v[28:29], v[16:17], s[8:9], s[0:1]
	s_mov_b32 s8, 0x19e83e5c
	s_mov_b32 s9, 0xbf2a01a0
	;; [unrolled: 1-line block ×4, first 2 shown]
	v_mul_f64 v[36:37], v[4:5], -v[14:15]
	v_mul_f64 v[50:51], v[8:9], -v[16:17]
	v_fma_f64 v[18:19], v[14:15], v[18:19], s[10:11]
	v_fma_f64 v[20:21], v[16:17], v[20:21], s[10:11]
	v_add_f64 v[30:31], -v[24:25], 1.0
	v_add_f64 v[32:33], -v[26:27], 1.0
	v_fma_f64 v[22:23], v[14:15], v[22:23], s[0:1]
	v_fma_f64 v[28:29], v[16:17], v[28:29], s[0:1]
	s_mov_b32 s0, 0x19f4ec90
	s_mov_b32 s1, 0x3efa01a0
	v_fma_f64 v[18:19], v[14:15], v[18:19], s[8:9]
	v_fma_f64 v[20:21], v[16:17], v[20:21], s[8:9]
	s_mov_b32 s8, 0x11110bb3
	s_mov_b32 s9, 0x3f811111
	v_add_f64 v[38:39], -v[30:31], 1.0
	v_add_f64 v[52:53], -v[32:33], 1.0
	v_fma_f64 v[22:23], v[14:15], v[22:23], s[0:1]
	v_fma_f64 v[28:29], v[16:17], v[28:29], s[0:1]
	s_mov_b32 s0, 0x16c16967
	s_mov_b32 s1, 0xbf56c16c
	v_fma_f64 v[18:19], v[14:15], v[18:19], s[8:9]
	v_fma_f64 v[20:21], v[16:17], v[20:21], s[8:9]
	v_add_f64 v[24:25], v[38:39], -v[24:25]
	v_add_f64 v[26:27], v[52:53], -v[26:27]
	v_fma_f64 v[22:23], v[14:15], v[22:23], s[0:1]
	v_fma_f64 v[28:29], v[16:17], v[28:29], s[0:1]
	s_mov_b32 s0, 0x55555555
	s_mov_b32 s1, 0x3fa55555
	v_fma_f64 v[18:19], v[36:37], v[18:19], v[34:35]
	v_fma_f64 v[20:21], v[50:51], v[20:21], v[48:49]
	v_mul_f64 v[34:35], v[14:15], v[14:15]
	v_fma_f64 v[24:25], v[4:5], -v[6:7], v[24:25]
	v_fma_f64 v[26:27], v[8:9], -v[10:11], v[26:27]
	v_fma_f64 v[22:23], v[14:15], v[22:23], s[0:1]
	v_fma_f64 v[6:7], v[14:15], v[18:19], -v[6:7]
	v_mul_f64 v[14:15], v[16:17], v[16:17]
	v_fma_f64 v[18:19], v[16:17], v[28:29], s[0:1]
	v_fma_f64 v[10:11], v[16:17], v[20:21], -v[10:11]
	s_mov_b32 s1, 0xbfc55555
	v_fma_f64 v[16:17], v[34:35], v[22:23], v[24:25]
	v_fma_f64 v[6:7], v[36:37], s[0:1], v[6:7]
	s_delay_alu instid0(VALU_DEP_4) | instskip(NEXT) | instid1(VALU_DEP_4)
	v_fma_f64 v[14:15], v[14:15], v[18:19], v[26:27]
	v_fma_f64 v[10:11], v[50:51], s[0:1], v[10:11]
	v_cmp_class_f64_e64 s0, v[2:3], 0x1f8
	v_lshlrev_b32_e32 v2, 30, v13
	v_add_f64 v[16:17], v[30:31], v[16:17]
	s_delay_alu instid0(VALU_DEP_2) | instskip(NEXT) | instid1(VALU_DEP_1)
	v_xor_b32_e32 v2, v2, v3
	v_and_b32_e32 v2, 0x80000000, v2
	v_add_f64 v[4:5], v[4:5], -v[6:7]
	v_add_f64 v[6:7], v[32:33], v[14:15]
	v_add_f64 v[8:9], v[8:9], -v[10:11]
	v_lshlrev_b32_e32 v11, 30, v12
	s_delay_alu instid0(VALU_DEP_4) | instskip(SKIP_1) | instid1(VALU_DEP_3)
	v_xor_b32_e32 v3, 0x80000000, v5
	v_and_b32_e32 v10, 1, v12
	v_and_b32_e32 v5, 0x80000000, v11
	s_delay_alu instid0(VALU_DEP_2) | instskip(SKIP_2) | instid1(VALU_DEP_2)
	v_cmp_eq_u32_e32 vcc_lo, 0, v10
	v_and_b32_e32 v10, 1, v13
	v_cndmask_b32_e32 v3, v3, v17, vcc_lo
	v_cmp_eq_u32_e64 s1, 0, v10
	v_cndmask_b32_e32 v4, v4, v16, vcc_lo
	s_delay_alu instid0(VALU_DEP_3) | instskip(NEXT) | instid1(VALU_DEP_3)
	v_xor_b32_e32 v3, v3, v5
	v_cndmask_b32_e64 v7, v7, v9, s1
	v_cndmask_b32_e64 v6, v6, v8, s1
	s_delay_alu instid0(VALU_DEP_3) | instskip(NEXT) | instid1(VALU_DEP_3)
	v_cndmask_b32_e64 v3, 0x7ff80000, v3, s0
	v_xor_b32_e32 v5, v7, v2
	v_cndmask_b32_e64 v2, 0, v4, s0
	s_delay_alu instid0(VALU_DEP_4) | instskip(NEXT) | instid1(VALU_DEP_3)
	v_cndmask_b32_e64 v4, 0, v6, s0
	v_cndmask_b32_e64 v5, 0x7ff80000, v5, s0
	s_delay_alu instid0(VALU_DEP_3) | instskip(NEXT) | instid1(VALU_DEP_2)
	v_mul_f64 v[6:7], v[2:3], v[0:1]
                                        ; implicit-def: $vgpr0_vgpr1
                                        ; implicit-def: $vgpr2_vgpr3
	v_mul_f64 v[4:5], 0x7ff00000, v[4:5]
.LBB106_19:
	s_and_not1_saveexec_b32 s0, s7
; %bb.20:
	v_add_f64 v[2:3], v[2:3], -v[2:3]
	v_mul_f64 v[6:7], v[0:1], v[0:1]
	s_delay_alu instid0(VALU_DEP_2)
	v_mul_f64 v[4:5], v[2:3], v[0:1]
; %bb.21:
	s_or_b32 exec_lo, exec_lo, s0
.LBB106_22:
	s_delay_alu instid0(SALU_CYCLE_1)
	s_or_b32 exec_lo, exec_lo, s2
                                        ; implicit-def: $vgpr2_vgpr3
                                        ; implicit-def: $vgpr0_vgpr1
.LBB106_23:
	s_and_not1_saveexec_b32 s0, s6
; %bb.24:
	v_add_f64 v[6:7], v[2:3], -v[2:3]
	s_delay_alu instid0(VALU_DEP_1)
	v_mul_f64 v[4:5], v[6:7], v[0:1]
; %bb.25:
	s_or_b32 exec_lo, exec_lo, s0
                                        ; implicit-def: $vgpr1
                                        ; implicit-def: $vgpr2_vgpr3
.LBB106_26:
	s_and_not1_saveexec_b32 s0, s3
; %bb.27:
	v_and_or_b32 v4, 0xfffff, v1, v0
	v_dual_mov_b32 v7, v1 :: v_dual_mov_b32 v6, v0
	s_delay_alu instid0(VALU_DEP_2) | instskip(SKIP_1) | instid1(VALU_DEP_1)
	v_cmp_eq_u32_e32 vcc_lo, 0, v4
	v_dual_cndmask_b32 v4, 0, v2 :: v_dual_and_b32 v5, 0x80000000, v3
	v_cndmask_b32_e32 v5, v5, v3, vcc_lo
; %bb.28:
	s_or_b32 exec_lo, exec_lo, s0
                                        ; implicit-def: $vgpr2_vgpr3
                                        ; implicit-def: $vgpr0_vgpr1
.LBB106_29:
	s_and_not1_saveexec_b32 s0, s5
; %bb.30:
	v_add_f64 v[4:5], v[2:3], -v[2:3]
	v_mov_b32_e32 v6, 0
	s_delay_alu instid0(VALU_DEP_2) | instskip(NEXT) | instid1(VALU_DEP_1)
	v_mul_f64 v[0:1], v[4:5], v[0:1]
	v_bfi_b32 v7, 0x7fffffff, 0, v1
; %bb.31:
	s_or_b32 exec_lo, exec_lo, s0
                                        ; implicit-def: $vgpr2_vgpr3
                                        ; implicit-def: $vgpr0_vgpr1
                                        ; implicit-def: $vgpr9
                                        ; implicit-def: $vgpr8
.LBB106_32:
	s_and_not1_saveexec_b32 s4, s4
	s_cbranch_execz .LBB106_82
; %bb.33:
	v_or_b32_e32 v4, v9, v2
                                        ; implicit-def: $vgpr6_vgpr7
	s_delay_alu instid0(VALU_DEP_1) | instskip(SKIP_1) | instid1(SALU_CYCLE_1)
	v_cmp_ne_u32_e32 vcc_lo, 0, v4
                                        ; implicit-def: $vgpr4_vgpr5
	s_and_saveexec_b32 s0, vcc_lo
	s_xor_b32 s5, exec_lo, s0
	s_cbranch_execz .LBB106_79
; %bb.34:
                                        ; implicit-def: $vgpr4_vgpr5
                                        ; implicit-def: $vgpr6_vgpr7
	s_mov_b32 s0, exec_lo
	v_cmpx_lt_u32_e32 0x4035ffff, v8
	s_xor_b32 s3, exec_lo, s0
	s_cbranch_execz .LBB106_68
; %bb.35:
                                        ; implicit-def: $vgpr4_vgpr5
                                        ; implicit-def: $vgpr6_vgpr7
	s_mov_b32 s0, exec_lo
	v_cmpx_lt_u32_e32 0x40862e41, v8
	s_xor_b32 s6, exec_lo, s0
	s_cbranch_execz .LBB106_57
; %bb.36:
	v_cmp_ngt_f64_e64 s2, 0x41d00000, |v[2:3]|
                                        ; implicit-def: $vgpr4_vgpr5
                                        ; implicit-def: $vgpr6_vgpr7
	s_mov_b32 s0, exec_lo
	v_cmpx_lt_u32_e32 0x4096bba9, v8
	s_xor_b32 s7, exec_lo, s0
	s_cbranch_execz .LBB106_46
; %bb.37:
                                        ; implicit-def: $vgpr12
                                        ; implicit-def: $vgpr4_vgpr5
                                        ; implicit-def: $vgpr6_vgpr7
	s_delay_alu instid0(VALU_DEP_2) | instskip(NEXT) | instid1(SALU_CYCLE_1)
	s_and_saveexec_b32 s0, s2
	s_xor_b32 s1, exec_lo, s0
	s_cbranch_execz .LBB106_39
; %bb.38:
	v_ldexp_f64 v[4:5], |v[2:3]|, 0xffffff80
	v_cmp_le_f64_e64 vcc_lo, 0x7b000000, |v[2:3]|
	v_trig_preop_f64 v[6:7], |v[2:3]|, 0
	v_and_b32_e32 v8, 0x7fffffff, v3
	v_trig_preop_f64 v[18:19], |v[2:3]|, 2
	v_mov_b32_e32 v26, 0
	s_mov_b32 s8, 0x54442d18
	s_mov_b32 s9, 0x3ff921fb
	;; [unrolled: 1-line block ×4, first 2 shown]
	v_dual_cndmask_b32 v5, v8, v5 :: v_dual_cndmask_b32 v4, v2, v4
	v_trig_preop_f64 v[8:9], |v[2:3]|, 1
	s_delay_alu instid0(VALU_DEP_2) | instskip(SKIP_1) | instid1(VALU_DEP_3)
	v_mul_f64 v[10:11], v[6:7], v[4:5]
	v_mul_f64 v[24:25], v[18:19], v[4:5]
	;; [unrolled: 1-line block ×3, first 2 shown]
	s_delay_alu instid0(VALU_DEP_3) | instskip(NEXT) | instid1(VALU_DEP_2)
	v_fma_f64 v[6:7], v[6:7], v[4:5], -v[10:11]
	v_fma_f64 v[8:9], v[8:9], v[4:5], -v[12:13]
	s_delay_alu instid0(VALU_DEP_4) | instskip(NEXT) | instid1(VALU_DEP_3)
	v_fma_f64 v[4:5], v[18:19], v[4:5], -v[24:25]
	v_add_f64 v[14:15], v[12:13], v[6:7]
	s_delay_alu instid0(VALU_DEP_1) | instskip(SKIP_1) | instid1(VALU_DEP_2)
	v_add_f64 v[16:17], v[14:15], -v[12:13]
	v_add_f64 v[22:23], v[10:11], v[14:15]
	v_add_f64 v[20:21], v[14:15], -v[16:17]
	v_add_f64 v[6:7], v[6:7], -v[16:17]
	s_delay_alu instid0(VALU_DEP_3) | instskip(SKIP_1) | instid1(VALU_DEP_4)
	v_ldexp_f64 v[16:17], v[22:23], -2
	v_add_f64 v[10:11], v[22:23], -v[10:11]
	v_add_f64 v[12:13], v[12:13], -v[20:21]
	v_add_f64 v[20:21], v[24:25], v[8:9]
	s_delay_alu instid0(VALU_DEP_4) | instskip(NEXT) | instid1(VALU_DEP_4)
	v_cmp_neq_f64_e64 vcc_lo, 0x7ff00000, |v[16:17]|
	v_add_f64 v[10:11], v[14:15], -v[10:11]
	s_delay_alu instid0(VALU_DEP_4) | instskip(SKIP_1) | instid1(VALU_DEP_2)
	v_add_f64 v[6:7], v[6:7], v[12:13]
	v_fract_f64_e32 v[12:13], v[16:17]
	v_add_f64 v[14:15], v[20:21], v[6:7]
	s_delay_alu instid0(VALU_DEP_2) | instskip(NEXT) | instid1(VALU_DEP_1)
	v_dual_cndmask_b32 v13, 0, v13 :: v_dual_cndmask_b32 v12, 0, v12
	v_ldexp_f64 v[12:13], v[12:13], 2
	s_delay_alu instid0(VALU_DEP_3) | instskip(NEXT) | instid1(VALU_DEP_1)
	v_add_f64 v[16:17], v[10:11], v[14:15]
	v_add_f64 v[22:23], v[16:17], v[12:13]
	v_add_f64 v[10:11], v[16:17], -v[10:11]
	s_delay_alu instid0(VALU_DEP_2) | instskip(SKIP_1) | instid1(VALU_DEP_3)
	v_cmp_gt_f64_e32 vcc_lo, 0, v[22:23]
	v_add_f64 v[22:23], v[20:21], -v[24:25]
	v_add_f64 v[10:11], v[14:15], -v[10:11]
	v_cndmask_b32_e64 v27, 0, 0x40100000, vcc_lo
	s_delay_alu instid0(VALU_DEP_3) | instskip(SKIP_1) | instid1(VALU_DEP_3)
	v_add_f64 v[31:32], v[20:21], -v[22:23]
	v_add_f64 v[8:9], v[8:9], -v[22:23]
	v_add_f64 v[12:13], v[12:13], v[26:27]
	v_add_f64 v[27:28], v[14:15], -v[20:21]
	s_delay_alu instid0(VALU_DEP_4) | instskip(NEXT) | instid1(VALU_DEP_3)
	v_add_f64 v[22:23], v[24:25], -v[31:32]
	v_add_f64 v[29:30], v[16:17], v[12:13]
	s_delay_alu instid0(VALU_DEP_3) | instskip(SKIP_1) | instid1(VALU_DEP_4)
	v_add_f64 v[33:34], v[14:15], -v[27:28]
	v_add_f64 v[6:7], v[6:7], -v[27:28]
	v_add_f64 v[8:9], v[8:9], v[22:23]
	s_delay_alu instid0(VALU_DEP_4) | instskip(NEXT) | instid1(VALU_DEP_4)
	v_cvt_i32_f64_e32 v29, v[29:30]
	v_add_f64 v[20:21], v[20:21], -v[33:34]
	s_delay_alu instid0(VALU_DEP_2) | instskip(NEXT) | instid1(VALU_DEP_2)
	v_cvt_f64_i32_e32 v[27:28], v29
	v_add_f64 v[6:7], v[6:7], v[20:21]
	s_delay_alu instid0(VALU_DEP_2) | instskip(NEXT) | instid1(VALU_DEP_2)
	v_add_f64 v[12:13], v[12:13], -v[27:28]
	v_add_f64 v[6:7], v[8:9], v[6:7]
	s_delay_alu instid0(VALU_DEP_2) | instskip(NEXT) | instid1(VALU_DEP_2)
	v_add_f64 v[8:9], v[16:17], v[12:13]
	v_add_f64 v[4:5], v[4:5], v[6:7]
	s_delay_alu instid0(VALU_DEP_2) | instskip(SKIP_1) | instid1(VALU_DEP_3)
	v_add_f64 v[6:7], v[8:9], -v[12:13]
	v_cmp_le_f64_e32 vcc_lo, 0.5, v[8:9]
	v_add_f64 v[4:5], v[10:11], v[4:5]
	s_delay_alu instid0(VALU_DEP_3) | instskip(SKIP_2) | instid1(VALU_DEP_3)
	v_add_f64 v[6:7], v[16:17], -v[6:7]
	v_cndmask_b32_e64 v27, 0, 0x3ff00000, vcc_lo
	v_add_co_ci_u32_e64 v12, s0, 0, v29, vcc_lo
	v_add_f64 v[4:5], v[4:5], v[6:7]
	s_delay_alu instid0(VALU_DEP_3) | instskip(NEXT) | instid1(VALU_DEP_1)
	v_add_f64 v[6:7], v[8:9], -v[26:27]
	v_add_f64 v[8:9], v[6:7], v[4:5]
	s_delay_alu instid0(VALU_DEP_1) | instskip(SKIP_1) | instid1(VALU_DEP_2)
	v_mul_f64 v[10:11], v[8:9], s[8:9]
	v_add_f64 v[6:7], v[8:9], -v[6:7]
	v_fma_f64 v[13:14], v[8:9], s[8:9], -v[10:11]
	s_delay_alu instid0(VALU_DEP_2) | instskip(NEXT) | instid1(VALU_DEP_2)
	v_add_f64 v[4:5], v[4:5], -v[6:7]
	v_fma_f64 v[6:7], v[8:9], s[10:11], v[13:14]
	s_delay_alu instid0(VALU_DEP_1) | instskip(NEXT) | instid1(VALU_DEP_1)
	v_fma_f64 v[6:7], v[4:5], s[8:9], v[6:7]
	v_add_f64 v[4:5], v[10:11], v[6:7]
	s_delay_alu instid0(VALU_DEP_1) | instskip(NEXT) | instid1(VALU_DEP_1)
	v_add_f64 v[8:9], v[4:5], -v[10:11]
	v_add_f64 v[6:7], v[6:7], -v[8:9]
	s_and_not1_saveexec_b32 s0, s1
	s_cbranch_execz .LBB106_41
	s_branch .LBB106_40
.LBB106_39:
	s_and_not1_saveexec_b32 s0, s1
	s_cbranch_execz .LBB106_41
.LBB106_40:
	s_mov_b32 s8, 0x6dc9c883
	s_mov_b32 s9, 0x3fe45f30
	;; [unrolled: 1-line block ×3, first 2 shown]
	v_mul_f64 v[4:5], |v[2:3]|, s[8:9]
	s_mov_b32 s8, 0x54442d18
	s_mov_b32 s9, 0xbff921fb
	s_mov_b32 s10, 0x33145c00
	s_delay_alu instid0(VALU_DEP_1) | instskip(NEXT) | instid1(VALU_DEP_1)
	v_rndne_f64_e32 v[8:9], v[4:5]
	v_fma_f64 v[4:5], v[8:9], s[8:9], |v[2:3]|
	v_mul_f64 v[6:7], v[8:9], s[10:11]
	s_mov_b32 s8, 0x252049c0
	s_mov_b32 s9, 0xb97b839a
	s_delay_alu instid0(VALU_DEP_2) | instskip(NEXT) | instid1(VALU_DEP_2)
	v_fma_f64 v[12:13], v[8:9], s[10:11], v[4:5]
	v_add_f64 v[10:11], v[4:5], v[6:7]
	s_mov_b32 s11, 0x3c91a626
	s_delay_alu instid0(VALU_DEP_1) | instskip(NEXT) | instid1(VALU_DEP_3)
	v_add_f64 v[4:5], v[4:5], -v[10:11]
	v_add_f64 v[10:11], v[10:11], -v[12:13]
	s_delay_alu instid0(VALU_DEP_2) | instskip(SKIP_1) | instid1(VALU_DEP_2)
	v_add_f64 v[4:5], v[4:5], v[6:7]
	v_fma_f64 v[6:7], v[8:9], s[10:11], v[6:7]
	v_add_f64 v[4:5], v[10:11], v[4:5]
	s_delay_alu instid0(VALU_DEP_1) | instskip(NEXT) | instid1(VALU_DEP_1)
	v_add_f64 v[4:5], v[4:5], -v[6:7]
	v_fma_f64 v[6:7], v[8:9], s[8:9], v[4:5]
	s_delay_alu instid0(VALU_DEP_1) | instskip(NEXT) | instid1(VALU_DEP_1)
	v_add_f64 v[4:5], v[12:13], v[6:7]
	v_add_f64 v[10:11], v[4:5], -v[12:13]
	v_cvt_i32_f64_e32 v12, v[8:9]
	s_delay_alu instid0(VALU_DEP_2)
	v_add_f64 v[6:7], v[6:7], -v[10:11]
.LBB106_41:
	s_or_b32 exec_lo, exec_lo, s0
                                        ; implicit-def: $vgpr13
                                        ; implicit-def: $vgpr8_vgpr9
                                        ; implicit-def: $vgpr10_vgpr11
	s_and_saveexec_b32 s0, s2
	s_delay_alu instid0(SALU_CYCLE_1)
	s_xor_b32 s1, exec_lo, s0
	s_cbranch_execz .LBB106_43
; %bb.42:
	v_ldexp_f64 v[8:9], |v[2:3]|, 0xffffff80
	v_cmp_le_f64_e64 vcc_lo, 0x7b000000, |v[2:3]|
	v_trig_preop_f64 v[10:11], |v[2:3]|, 0
	v_and_b32_e32 v13, 0x7fffffff, v3
	v_trig_preop_f64 v[23:24], |v[2:3]|, 2
	v_mov_b32_e32 v31, 0
	s_mov_b32 s8, 0x54442d18
	s_mov_b32 s9, 0x3ff921fb
	;; [unrolled: 1-line block ×4, first 2 shown]
	v_dual_cndmask_b32 v8, v2, v8 :: v_dual_cndmask_b32 v9, v13, v9
	v_trig_preop_f64 v[13:14], |v[2:3]|, 1
	s_delay_alu instid0(VALU_DEP_2) | instskip(NEXT) | instid1(VALU_DEP_2)
	v_mul_f64 v[15:16], v[10:11], v[8:9]
	v_mul_f64 v[17:18], v[13:14], v[8:9]
	s_delay_alu instid0(VALU_DEP_2) | instskip(NEXT) | instid1(VALU_DEP_2)
	v_fma_f64 v[10:11], v[10:11], v[8:9], -v[15:16]
	v_fma_f64 v[13:14], v[13:14], v[8:9], -v[17:18]
	s_delay_alu instid0(VALU_DEP_2) | instskip(NEXT) | instid1(VALU_DEP_1)
	v_add_f64 v[19:20], v[17:18], v[10:11]
	v_add_f64 v[21:22], v[19:20], -v[17:18]
	v_add_f64 v[27:28], v[15:16], v[19:20]
	s_delay_alu instid0(VALU_DEP_2) | instskip(SKIP_1) | instid1(VALU_DEP_3)
	v_add_f64 v[25:26], v[19:20], -v[21:22]
	v_add_f64 v[10:11], v[10:11], -v[21:22]
	v_ldexp_f64 v[21:22], v[27:28], -2
	v_add_f64 v[15:16], v[27:28], -v[15:16]
	s_delay_alu instid0(VALU_DEP_4) | instskip(NEXT) | instid1(VALU_DEP_3)
	v_add_f64 v[17:18], v[17:18], -v[25:26]
	v_cmp_neq_f64_e64 vcc_lo, 0x7ff00000, |v[21:22]|
	s_delay_alu instid0(VALU_DEP_3) | instskip(NEXT) | instid1(VALU_DEP_3)
	v_add_f64 v[15:16], v[19:20], -v[15:16]
	v_add_f64 v[10:11], v[10:11], v[17:18]
	v_fract_f64_e32 v[17:18], v[21:22]
	s_delay_alu instid0(VALU_DEP_1) | instskip(SKIP_1) | instid1(VALU_DEP_3)
	v_cndmask_b32_e32 v18, 0, v18, vcc_lo
	v_mul_f64 v[29:30], v[23:24], v[8:9]
	v_cndmask_b32_e32 v17, 0, v17, vcc_lo
	s_delay_alu instid0(VALU_DEP_1) | instskip(NEXT) | instid1(VALU_DEP_3)
	v_ldexp_f64 v[17:18], v[17:18], 2
	v_add_f64 v[25:26], v[29:30], v[13:14]
	v_fma_f64 v[8:9], v[23:24], v[8:9], -v[29:30]
	s_delay_alu instid0(VALU_DEP_2) | instskip(NEXT) | instid1(VALU_DEP_1)
	v_add_f64 v[19:20], v[25:26], v[10:11]
	v_add_f64 v[21:22], v[15:16], v[19:20]
	s_delay_alu instid0(VALU_DEP_1) | instskip(SKIP_1) | instid1(VALU_DEP_2)
	v_add_f64 v[27:28], v[21:22], v[17:18]
	v_add_f64 v[15:16], v[21:22], -v[15:16]
	v_cmp_gt_f64_e32 vcc_lo, 0, v[27:28]
	v_add_f64 v[27:28], v[25:26], -v[29:30]
	v_cndmask_b32_e64 v32, 0, 0x40100000, vcc_lo
	s_delay_alu instid0(VALU_DEP_2) | instskip(SKIP_1) | instid1(VALU_DEP_3)
	v_add_f64 v[36:37], v[25:26], -v[27:28]
	v_add_f64 v[13:14], v[13:14], -v[27:28]
	v_add_f64 v[17:18], v[17:18], v[31:32]
	v_add_f64 v[32:33], v[19:20], -v[25:26]
	s_delay_alu instid0(VALU_DEP_4) | instskip(NEXT) | instid1(VALU_DEP_3)
	v_add_f64 v[27:28], v[29:30], -v[36:37]
	v_add_f64 v[34:35], v[21:22], v[17:18]
	s_delay_alu instid0(VALU_DEP_3) | instskip(SKIP_1) | instid1(VALU_DEP_4)
	v_add_f64 v[38:39], v[19:20], -v[32:33]
	v_add_f64 v[10:11], v[10:11], -v[32:33]
	v_add_f64 v[13:14], v[13:14], v[27:28]
	s_delay_alu instid0(VALU_DEP_4) | instskip(NEXT) | instid1(VALU_DEP_4)
	v_cvt_i32_f64_e32 v34, v[34:35]
	v_add_f64 v[25:26], v[25:26], -v[38:39]
	s_delay_alu instid0(VALU_DEP_2) | instskip(NEXT) | instid1(VALU_DEP_2)
	v_cvt_f64_i32_e32 v[32:33], v34
	v_add_f64 v[10:11], v[10:11], v[25:26]
	s_delay_alu instid0(VALU_DEP_2) | instskip(NEXT) | instid1(VALU_DEP_2)
	v_add_f64 v[17:18], v[17:18], -v[32:33]
	v_add_f64 v[10:11], v[13:14], v[10:11]
	v_add_f64 v[13:14], v[19:20], -v[15:16]
	s_delay_alu instid0(VALU_DEP_3) | instskip(NEXT) | instid1(VALU_DEP_3)
	v_add_f64 v[23:24], v[21:22], v[17:18]
	v_add_f64 v[8:9], v[8:9], v[10:11]
	s_delay_alu instid0(VALU_DEP_2) | instskip(SKIP_1) | instid1(VALU_DEP_3)
	v_add_f64 v[10:11], v[23:24], -v[17:18]
	v_cmp_le_f64_e32 vcc_lo, 0.5, v[23:24]
	v_add_f64 v[8:9], v[13:14], v[8:9]
	s_delay_alu instid0(VALU_DEP_3) | instskip(SKIP_2) | instid1(VALU_DEP_3)
	v_add_f64 v[10:11], v[21:22], -v[10:11]
	v_cndmask_b32_e64 v32, 0, 0x3ff00000, vcc_lo
	v_add_co_ci_u32_e64 v13, s0, 0, v34, vcc_lo
	v_add_f64 v[8:9], v[8:9], v[10:11]
	s_delay_alu instid0(VALU_DEP_3) | instskip(NEXT) | instid1(VALU_DEP_1)
	v_add_f64 v[10:11], v[23:24], -v[31:32]
	v_add_f64 v[14:15], v[10:11], v[8:9]
	s_delay_alu instid0(VALU_DEP_1) | instskip(SKIP_1) | instid1(VALU_DEP_2)
	v_mul_f64 v[16:17], v[14:15], s[8:9]
	v_add_f64 v[10:11], v[14:15], -v[10:11]
	v_fma_f64 v[18:19], v[14:15], s[8:9], -v[16:17]
	s_delay_alu instid0(VALU_DEP_2) | instskip(NEXT) | instid1(VALU_DEP_2)
	v_add_f64 v[8:9], v[8:9], -v[10:11]
	v_fma_f64 v[10:11], v[14:15], s[10:11], v[18:19]
	s_delay_alu instid0(VALU_DEP_1) | instskip(NEXT) | instid1(VALU_DEP_1)
	v_fma_f64 v[10:11], v[8:9], s[8:9], v[10:11]
	v_add_f64 v[8:9], v[16:17], v[10:11]
	s_delay_alu instid0(VALU_DEP_1) | instskip(NEXT) | instid1(VALU_DEP_1)
	v_add_f64 v[14:15], v[8:9], -v[16:17]
	v_add_f64 v[10:11], v[10:11], -v[14:15]
	s_and_not1_saveexec_b32 s0, s1
	s_cbranch_execnz .LBB106_44
	s_branch .LBB106_45
.LBB106_43:
	s_and_not1_saveexec_b32 s0, s1
	s_cbranch_execz .LBB106_45
.LBB106_44:
	s_mov_b32 s8, 0x6dc9c883
	s_mov_b32 s9, 0x3fe45f30
	;; [unrolled: 1-line block ×3, first 2 shown]
	v_mul_f64 v[8:9], |v[2:3]|, s[8:9]
	s_mov_b32 s8, 0x54442d18
	s_mov_b32 s9, 0xbff921fb
	;; [unrolled: 1-line block ×3, first 2 shown]
	s_delay_alu instid0(VALU_DEP_1) | instskip(NEXT) | instid1(VALU_DEP_1)
	v_rndne_f64_e32 v[13:14], v[8:9]
	v_fma_f64 v[8:9], v[13:14], s[8:9], |v[2:3]|
	v_mul_f64 v[10:11], v[13:14], s[10:11]
	s_mov_b32 s8, 0x252049c0
	s_mov_b32 s9, 0xb97b839a
	s_delay_alu instid0(VALU_DEP_2) | instskip(NEXT) | instid1(VALU_DEP_2)
	v_fma_f64 v[17:18], v[13:14], s[10:11], v[8:9]
	v_add_f64 v[15:16], v[8:9], v[10:11]
	s_mov_b32 s11, 0x3c91a626
	s_delay_alu instid0(VALU_DEP_1) | instskip(NEXT) | instid1(VALU_DEP_3)
	v_add_f64 v[8:9], v[8:9], -v[15:16]
	v_add_f64 v[15:16], v[15:16], -v[17:18]
	s_delay_alu instid0(VALU_DEP_2) | instskip(SKIP_1) | instid1(VALU_DEP_2)
	v_add_f64 v[8:9], v[8:9], v[10:11]
	v_fma_f64 v[10:11], v[13:14], s[10:11], v[10:11]
	v_add_f64 v[8:9], v[15:16], v[8:9]
	s_delay_alu instid0(VALU_DEP_1) | instskip(NEXT) | instid1(VALU_DEP_1)
	v_add_f64 v[8:9], v[8:9], -v[10:11]
	v_fma_f64 v[10:11], v[13:14], s[8:9], v[8:9]
	v_cvt_i32_f64_e32 v13, v[13:14]
	s_delay_alu instid0(VALU_DEP_2) | instskip(NEXT) | instid1(VALU_DEP_1)
	v_add_f64 v[8:9], v[17:18], v[10:11]
	v_add_f64 v[15:16], v[8:9], -v[17:18]
	s_delay_alu instid0(VALU_DEP_1)
	v_add_f64 v[10:11], v[10:11], -v[15:16]
.LBB106_45:
	s_or_b32 exec_lo, exec_lo, s0
	v_mul_f64 v[14:15], v[4:5], v[4:5]
	v_mul_f64 v[16:17], v[8:9], v[8:9]
	s_mov_b32 s0, 0xb42fdfa7
	s_mov_b32 s8, 0xf9a43bb8
	;; [unrolled: 1-line block ×6, first 2 shown]
	s_delay_alu instid0(VALU_DEP_3) | instskip(NEXT) | instid1(VALU_DEP_4)
	v_mul_f64 v[34:35], v[6:7], 0.5
	v_mul_f64 v[48:49], v[10:11], 0.5
	v_ldexp_f64 v[0:1], v[0:1], 0x3ff
	v_fma_f64 v[18:19], v[14:15], s[8:9], s[0:1]
	v_fma_f64 v[20:21], v[16:17], s[8:9], s[0:1]
	v_mul_f64 v[24:25], v[14:15], 0.5
	s_mov_b32 s0, 0x9037ab78
	s_mov_b32 s8, 0x46cc5e42
	;; [unrolled: 1-line block ×4, first 2 shown]
	v_mul_f64 v[26:27], v[16:17], 0.5
	v_fma_f64 v[22:23], v[14:15], s[8:9], s[0:1]
	v_fma_f64 v[28:29], v[16:17], s[8:9], s[0:1]
	s_mov_b32 s8, 0x19e83e5c
	s_mov_b32 s9, 0xbf2a01a0
	;; [unrolled: 1-line block ×4, first 2 shown]
	v_mul_f64 v[36:37], v[4:5], -v[14:15]
	v_mul_f64 v[50:51], v[8:9], -v[16:17]
	v_fma_f64 v[18:19], v[14:15], v[18:19], s[10:11]
	v_fma_f64 v[20:21], v[16:17], v[20:21], s[10:11]
	v_add_f64 v[30:31], -v[24:25], 1.0
	v_add_f64 v[32:33], -v[26:27], 1.0
	v_fma_f64 v[22:23], v[14:15], v[22:23], s[0:1]
	v_fma_f64 v[28:29], v[16:17], v[28:29], s[0:1]
	s_mov_b32 s0, 0x19f4ec90
	s_mov_b32 s1, 0x3efa01a0
	v_fma_f64 v[18:19], v[14:15], v[18:19], s[8:9]
	v_fma_f64 v[20:21], v[16:17], v[20:21], s[8:9]
	s_mov_b32 s8, 0x11110bb3
	s_mov_b32 s9, 0x3f811111
	v_add_f64 v[38:39], -v[30:31], 1.0
	v_add_f64 v[52:53], -v[32:33], 1.0
	v_fma_f64 v[22:23], v[14:15], v[22:23], s[0:1]
	v_fma_f64 v[28:29], v[16:17], v[28:29], s[0:1]
	s_mov_b32 s0, 0x16c16967
	s_mov_b32 s1, 0xbf56c16c
	v_fma_f64 v[18:19], v[14:15], v[18:19], s[8:9]
	v_fma_f64 v[20:21], v[16:17], v[20:21], s[8:9]
	v_add_f64 v[24:25], v[38:39], -v[24:25]
	v_add_f64 v[26:27], v[52:53], -v[26:27]
	v_fma_f64 v[22:23], v[14:15], v[22:23], s[0:1]
	v_fma_f64 v[28:29], v[16:17], v[28:29], s[0:1]
	s_mov_b32 s0, 0x55555555
	s_mov_b32 s1, 0x3fa55555
	v_fma_f64 v[18:19], v[36:37], v[18:19], v[34:35]
	v_fma_f64 v[20:21], v[50:51], v[20:21], v[48:49]
	v_mul_f64 v[34:35], v[14:15], v[14:15]
	v_fma_f64 v[24:25], v[4:5], -v[6:7], v[24:25]
	v_fma_f64 v[26:27], v[8:9], -v[10:11], v[26:27]
	v_fma_f64 v[22:23], v[14:15], v[22:23], s[0:1]
	v_fma_f64 v[6:7], v[14:15], v[18:19], -v[6:7]
	v_mul_f64 v[14:15], v[16:17], v[16:17]
	v_fma_f64 v[18:19], v[16:17], v[28:29], s[0:1]
	v_fma_f64 v[10:11], v[16:17], v[20:21], -v[10:11]
	s_mov_b32 s1, 0xbfc55555
	v_fma_f64 v[16:17], v[34:35], v[22:23], v[24:25]
	v_fma_f64 v[6:7], v[36:37], s[0:1], v[6:7]
	s_delay_alu instid0(VALU_DEP_4) | instskip(NEXT) | instid1(VALU_DEP_4)
	v_fma_f64 v[14:15], v[14:15], v[18:19], v[26:27]
	v_fma_f64 v[10:11], v[50:51], s[0:1], v[10:11]
	v_cmp_class_f64_e64 s0, v[2:3], 0x1f8
	v_lshlrev_b32_e32 v2, 30, v13
	v_and_b32_e32 v13, 1, v13
	v_add_f64 v[16:17], v[30:31], v[16:17]
	s_delay_alu instid0(VALU_DEP_3) | instskip(NEXT) | instid1(VALU_DEP_3)
	v_xor_b32_e32 v2, v2, v3
	v_cmp_eq_u32_e64 s1, 0, v13
	s_delay_alu instid0(VALU_DEP_2) | instskip(SKIP_3) | instid1(VALU_DEP_3)
	v_and_b32_e32 v2, 0x80000000, v2
	v_add_f64 v[4:5], v[4:5], -v[6:7]
	v_add_f64 v[6:7], v[32:33], v[14:15]
	v_add_f64 v[8:9], v[8:9], -v[10:11]
	v_xor_b32_e32 v3, 0x80000000, v5
	v_and_b32_e32 v10, 1, v12
	v_lshlrev_b32_e32 v12, 30, v12
	s_delay_alu instid0(VALU_DEP_4) | instskip(SKIP_1) | instid1(VALU_DEP_4)
	v_cndmask_b32_e64 v7, v7, v9, s1
	v_cndmask_b32_e64 v6, v6, v8, s1
	v_cmp_eq_u32_e32 vcc_lo, 0, v10
	v_mul_f64 v[10:11], v[0:1], v[0:1]
	v_and_b32_e32 v5, 0x80000000, v12
	v_dual_cndmask_b32 v3, v3, v17 :: v_dual_cndmask_b32 v4, v4, v16
	s_delay_alu instid0(VALU_DEP_1) | instskip(SKIP_1) | instid1(VALU_DEP_3)
	v_xor_b32_e32 v3, v3, v5
	v_xor_b32_e32 v5, v7, v2
	v_cndmask_b32_e64 v2, 0, v4, s0
	v_cndmask_b32_e64 v4, 0, v6, s0
	s_delay_alu instid0(VALU_DEP_4) | instskip(NEXT) | instid1(VALU_DEP_4)
	v_cndmask_b32_e64 v3, 0x7ff80000, v3, s0
	v_cndmask_b32_e64 v5, 0x7ff80000, v5, s0
	s_delay_alu instid0(VALU_DEP_2) | instskip(NEXT) | instid1(VALU_DEP_2)
	v_mul_f64 v[6:7], v[0:1], v[2:3]
                                        ; implicit-def: $vgpr2_vgpr3
                                        ; implicit-def: $vgpr0_vgpr1
	v_mul_f64 v[4:5], v[10:11], v[4:5]
.LBB106_46:
	s_and_not1_saveexec_b32 s7, s7
	s_cbranch_execz .LBB106_56
; %bb.47:
                                        ; implicit-def: $vgpr12
                                        ; implicit-def: $vgpr4_vgpr5
                                        ; implicit-def: $vgpr6_vgpr7
	s_delay_alu instid0(VALU_DEP_2) | instskip(NEXT) | instid1(SALU_CYCLE_1)
	s_and_saveexec_b32 s0, s2
	s_xor_b32 s1, exec_lo, s0
	s_cbranch_execz .LBB106_49
; %bb.48:
	v_ldexp_f64 v[4:5], |v[2:3]|, 0xffffff80
	v_cmp_le_f64_e64 vcc_lo, 0x7b000000, |v[2:3]|
	v_trig_preop_f64 v[6:7], |v[2:3]|, 0
	v_and_b32_e32 v8, 0x7fffffff, v3
	v_trig_preop_f64 v[18:19], |v[2:3]|, 2
	v_mov_b32_e32 v26, 0
	s_mov_b32 s8, 0x54442d18
	s_mov_b32 s9, 0x3ff921fb
	;; [unrolled: 1-line block ×4, first 2 shown]
	v_dual_cndmask_b32 v5, v8, v5 :: v_dual_cndmask_b32 v4, v2, v4
	v_trig_preop_f64 v[8:9], |v[2:3]|, 1
	s_delay_alu instid0(VALU_DEP_2) | instskip(SKIP_1) | instid1(VALU_DEP_3)
	v_mul_f64 v[10:11], v[6:7], v[4:5]
	v_mul_f64 v[24:25], v[18:19], v[4:5]
	;; [unrolled: 1-line block ×3, first 2 shown]
	s_delay_alu instid0(VALU_DEP_3) | instskip(NEXT) | instid1(VALU_DEP_2)
	v_fma_f64 v[6:7], v[6:7], v[4:5], -v[10:11]
	v_fma_f64 v[8:9], v[8:9], v[4:5], -v[12:13]
	s_delay_alu instid0(VALU_DEP_4) | instskip(NEXT) | instid1(VALU_DEP_3)
	v_fma_f64 v[4:5], v[18:19], v[4:5], -v[24:25]
	v_add_f64 v[14:15], v[12:13], v[6:7]
	s_delay_alu instid0(VALU_DEP_1) | instskip(SKIP_1) | instid1(VALU_DEP_2)
	v_add_f64 v[16:17], v[14:15], -v[12:13]
	v_add_f64 v[22:23], v[10:11], v[14:15]
	v_add_f64 v[20:21], v[14:15], -v[16:17]
	v_add_f64 v[6:7], v[6:7], -v[16:17]
	s_delay_alu instid0(VALU_DEP_3) | instskip(SKIP_1) | instid1(VALU_DEP_4)
	v_ldexp_f64 v[16:17], v[22:23], -2
	v_add_f64 v[10:11], v[22:23], -v[10:11]
	v_add_f64 v[12:13], v[12:13], -v[20:21]
	v_add_f64 v[20:21], v[24:25], v[8:9]
	s_delay_alu instid0(VALU_DEP_4) | instskip(NEXT) | instid1(VALU_DEP_4)
	v_cmp_neq_f64_e64 vcc_lo, 0x7ff00000, |v[16:17]|
	v_add_f64 v[10:11], v[14:15], -v[10:11]
	s_delay_alu instid0(VALU_DEP_4) | instskip(SKIP_1) | instid1(VALU_DEP_2)
	v_add_f64 v[6:7], v[6:7], v[12:13]
	v_fract_f64_e32 v[12:13], v[16:17]
	v_add_f64 v[14:15], v[20:21], v[6:7]
	s_delay_alu instid0(VALU_DEP_2) | instskip(NEXT) | instid1(VALU_DEP_1)
	v_dual_cndmask_b32 v13, 0, v13 :: v_dual_cndmask_b32 v12, 0, v12
	v_ldexp_f64 v[12:13], v[12:13], 2
	s_delay_alu instid0(VALU_DEP_3) | instskip(NEXT) | instid1(VALU_DEP_1)
	v_add_f64 v[16:17], v[10:11], v[14:15]
	v_add_f64 v[22:23], v[16:17], v[12:13]
	v_add_f64 v[10:11], v[16:17], -v[10:11]
	s_delay_alu instid0(VALU_DEP_2) | instskip(SKIP_1) | instid1(VALU_DEP_3)
	v_cmp_gt_f64_e32 vcc_lo, 0, v[22:23]
	v_add_f64 v[22:23], v[20:21], -v[24:25]
	v_add_f64 v[10:11], v[14:15], -v[10:11]
	v_cndmask_b32_e64 v27, 0, 0x40100000, vcc_lo
	s_delay_alu instid0(VALU_DEP_3) | instskip(SKIP_1) | instid1(VALU_DEP_3)
	v_add_f64 v[31:32], v[20:21], -v[22:23]
	v_add_f64 v[8:9], v[8:9], -v[22:23]
	v_add_f64 v[12:13], v[12:13], v[26:27]
	v_add_f64 v[27:28], v[14:15], -v[20:21]
	s_delay_alu instid0(VALU_DEP_4) | instskip(NEXT) | instid1(VALU_DEP_3)
	v_add_f64 v[22:23], v[24:25], -v[31:32]
	v_add_f64 v[29:30], v[16:17], v[12:13]
	s_delay_alu instid0(VALU_DEP_3) | instskip(SKIP_1) | instid1(VALU_DEP_4)
	v_add_f64 v[33:34], v[14:15], -v[27:28]
	v_add_f64 v[6:7], v[6:7], -v[27:28]
	v_add_f64 v[8:9], v[8:9], v[22:23]
	s_delay_alu instid0(VALU_DEP_4) | instskip(NEXT) | instid1(VALU_DEP_4)
	v_cvt_i32_f64_e32 v29, v[29:30]
	v_add_f64 v[20:21], v[20:21], -v[33:34]
	s_delay_alu instid0(VALU_DEP_2) | instskip(NEXT) | instid1(VALU_DEP_2)
	v_cvt_f64_i32_e32 v[27:28], v29
	v_add_f64 v[6:7], v[6:7], v[20:21]
	s_delay_alu instid0(VALU_DEP_2) | instskip(NEXT) | instid1(VALU_DEP_2)
	v_add_f64 v[12:13], v[12:13], -v[27:28]
	v_add_f64 v[6:7], v[8:9], v[6:7]
	s_delay_alu instid0(VALU_DEP_2) | instskip(NEXT) | instid1(VALU_DEP_2)
	v_add_f64 v[8:9], v[16:17], v[12:13]
	v_add_f64 v[4:5], v[4:5], v[6:7]
	s_delay_alu instid0(VALU_DEP_2) | instskip(SKIP_1) | instid1(VALU_DEP_3)
	v_add_f64 v[6:7], v[8:9], -v[12:13]
	v_cmp_le_f64_e32 vcc_lo, 0.5, v[8:9]
	v_add_f64 v[4:5], v[10:11], v[4:5]
	s_delay_alu instid0(VALU_DEP_3) | instskip(SKIP_2) | instid1(VALU_DEP_3)
	v_add_f64 v[6:7], v[16:17], -v[6:7]
	v_cndmask_b32_e64 v27, 0, 0x3ff00000, vcc_lo
	v_add_co_ci_u32_e64 v12, s0, 0, v29, vcc_lo
	v_add_f64 v[4:5], v[4:5], v[6:7]
	s_delay_alu instid0(VALU_DEP_3) | instskip(NEXT) | instid1(VALU_DEP_1)
	v_add_f64 v[6:7], v[8:9], -v[26:27]
	v_add_f64 v[8:9], v[6:7], v[4:5]
	s_delay_alu instid0(VALU_DEP_1) | instskip(SKIP_1) | instid1(VALU_DEP_2)
	v_mul_f64 v[10:11], v[8:9], s[8:9]
	v_add_f64 v[6:7], v[8:9], -v[6:7]
	v_fma_f64 v[13:14], v[8:9], s[8:9], -v[10:11]
	s_delay_alu instid0(VALU_DEP_2) | instskip(NEXT) | instid1(VALU_DEP_2)
	v_add_f64 v[4:5], v[4:5], -v[6:7]
	v_fma_f64 v[6:7], v[8:9], s[10:11], v[13:14]
	s_delay_alu instid0(VALU_DEP_1) | instskip(NEXT) | instid1(VALU_DEP_1)
	v_fma_f64 v[6:7], v[4:5], s[8:9], v[6:7]
	v_add_f64 v[4:5], v[10:11], v[6:7]
	s_delay_alu instid0(VALU_DEP_1) | instskip(NEXT) | instid1(VALU_DEP_1)
	v_add_f64 v[8:9], v[4:5], -v[10:11]
	v_add_f64 v[6:7], v[6:7], -v[8:9]
	s_and_not1_saveexec_b32 s0, s1
	s_cbranch_execz .LBB106_51
	s_branch .LBB106_50
.LBB106_49:
	s_and_not1_saveexec_b32 s0, s1
	s_cbranch_execz .LBB106_51
.LBB106_50:
	s_mov_b32 s8, 0x6dc9c883
	s_mov_b32 s9, 0x3fe45f30
	;; [unrolled: 1-line block ×3, first 2 shown]
	v_mul_f64 v[4:5], |v[2:3]|, s[8:9]
	s_mov_b32 s8, 0x54442d18
	s_mov_b32 s9, 0xbff921fb
	;; [unrolled: 1-line block ×3, first 2 shown]
	s_delay_alu instid0(VALU_DEP_1) | instskip(NEXT) | instid1(VALU_DEP_1)
	v_rndne_f64_e32 v[8:9], v[4:5]
	v_fma_f64 v[4:5], v[8:9], s[8:9], |v[2:3]|
	v_mul_f64 v[6:7], v[8:9], s[10:11]
	s_mov_b32 s8, 0x252049c0
	s_mov_b32 s9, 0xb97b839a
	s_delay_alu instid0(VALU_DEP_2) | instskip(NEXT) | instid1(VALU_DEP_2)
	v_fma_f64 v[12:13], v[8:9], s[10:11], v[4:5]
	v_add_f64 v[10:11], v[4:5], v[6:7]
	s_mov_b32 s11, 0x3c91a626
	s_delay_alu instid0(VALU_DEP_1) | instskip(NEXT) | instid1(VALU_DEP_3)
	v_add_f64 v[4:5], v[4:5], -v[10:11]
	v_add_f64 v[10:11], v[10:11], -v[12:13]
	s_delay_alu instid0(VALU_DEP_2) | instskip(SKIP_1) | instid1(VALU_DEP_2)
	v_add_f64 v[4:5], v[4:5], v[6:7]
	v_fma_f64 v[6:7], v[8:9], s[10:11], v[6:7]
	v_add_f64 v[4:5], v[10:11], v[4:5]
	s_delay_alu instid0(VALU_DEP_1) | instskip(NEXT) | instid1(VALU_DEP_1)
	v_add_f64 v[4:5], v[4:5], -v[6:7]
	v_fma_f64 v[6:7], v[8:9], s[8:9], v[4:5]
	s_delay_alu instid0(VALU_DEP_1) | instskip(NEXT) | instid1(VALU_DEP_1)
	v_add_f64 v[4:5], v[12:13], v[6:7]
	v_add_f64 v[10:11], v[4:5], -v[12:13]
	v_cvt_i32_f64_e32 v12, v[8:9]
	s_delay_alu instid0(VALU_DEP_2)
	v_add_f64 v[6:7], v[6:7], -v[10:11]
.LBB106_51:
	s_or_b32 exec_lo, exec_lo, s0
                                        ; implicit-def: $vgpr13
                                        ; implicit-def: $vgpr8_vgpr9
                                        ; implicit-def: $vgpr10_vgpr11
	s_and_saveexec_b32 s0, s2
	s_delay_alu instid0(SALU_CYCLE_1)
	s_xor_b32 s1, exec_lo, s0
	s_cbranch_execz .LBB106_53
; %bb.52:
	v_ldexp_f64 v[8:9], |v[2:3]|, 0xffffff80
	v_cmp_le_f64_e64 vcc_lo, 0x7b000000, |v[2:3]|
	v_trig_preop_f64 v[10:11], |v[2:3]|, 0
	v_and_b32_e32 v13, 0x7fffffff, v3
	v_trig_preop_f64 v[23:24], |v[2:3]|, 2
	v_mov_b32_e32 v31, 0
	s_mov_b32 s8, 0x54442d18
	s_mov_b32 s9, 0x3ff921fb
	;; [unrolled: 1-line block ×4, first 2 shown]
	v_dual_cndmask_b32 v8, v2, v8 :: v_dual_cndmask_b32 v9, v13, v9
	v_trig_preop_f64 v[13:14], |v[2:3]|, 1
	s_delay_alu instid0(VALU_DEP_2) | instskip(NEXT) | instid1(VALU_DEP_2)
	v_mul_f64 v[15:16], v[10:11], v[8:9]
	v_mul_f64 v[17:18], v[13:14], v[8:9]
	s_delay_alu instid0(VALU_DEP_2) | instskip(NEXT) | instid1(VALU_DEP_2)
	v_fma_f64 v[10:11], v[10:11], v[8:9], -v[15:16]
	v_fma_f64 v[13:14], v[13:14], v[8:9], -v[17:18]
	s_delay_alu instid0(VALU_DEP_2) | instskip(NEXT) | instid1(VALU_DEP_1)
	v_add_f64 v[19:20], v[17:18], v[10:11]
	v_add_f64 v[21:22], v[19:20], -v[17:18]
	v_add_f64 v[27:28], v[15:16], v[19:20]
	s_delay_alu instid0(VALU_DEP_2) | instskip(SKIP_1) | instid1(VALU_DEP_3)
	v_add_f64 v[25:26], v[19:20], -v[21:22]
	v_add_f64 v[10:11], v[10:11], -v[21:22]
	v_ldexp_f64 v[21:22], v[27:28], -2
	v_add_f64 v[15:16], v[27:28], -v[15:16]
	s_delay_alu instid0(VALU_DEP_4) | instskip(NEXT) | instid1(VALU_DEP_3)
	v_add_f64 v[17:18], v[17:18], -v[25:26]
	v_cmp_neq_f64_e64 vcc_lo, 0x7ff00000, |v[21:22]|
	s_delay_alu instid0(VALU_DEP_3) | instskip(NEXT) | instid1(VALU_DEP_3)
	v_add_f64 v[15:16], v[19:20], -v[15:16]
	v_add_f64 v[10:11], v[10:11], v[17:18]
	v_fract_f64_e32 v[17:18], v[21:22]
	s_delay_alu instid0(VALU_DEP_1) | instskip(SKIP_1) | instid1(VALU_DEP_3)
	v_cndmask_b32_e32 v18, 0, v18, vcc_lo
	v_mul_f64 v[29:30], v[23:24], v[8:9]
	v_cndmask_b32_e32 v17, 0, v17, vcc_lo
	s_delay_alu instid0(VALU_DEP_1) | instskip(NEXT) | instid1(VALU_DEP_3)
	v_ldexp_f64 v[17:18], v[17:18], 2
	v_add_f64 v[25:26], v[29:30], v[13:14]
	v_fma_f64 v[8:9], v[23:24], v[8:9], -v[29:30]
	s_delay_alu instid0(VALU_DEP_2) | instskip(NEXT) | instid1(VALU_DEP_1)
	v_add_f64 v[19:20], v[25:26], v[10:11]
	v_add_f64 v[21:22], v[15:16], v[19:20]
	s_delay_alu instid0(VALU_DEP_1) | instskip(SKIP_1) | instid1(VALU_DEP_2)
	v_add_f64 v[27:28], v[21:22], v[17:18]
	v_add_f64 v[15:16], v[21:22], -v[15:16]
	v_cmp_gt_f64_e32 vcc_lo, 0, v[27:28]
	v_add_f64 v[27:28], v[25:26], -v[29:30]
	v_cndmask_b32_e64 v32, 0, 0x40100000, vcc_lo
	s_delay_alu instid0(VALU_DEP_2) | instskip(SKIP_1) | instid1(VALU_DEP_3)
	v_add_f64 v[36:37], v[25:26], -v[27:28]
	v_add_f64 v[13:14], v[13:14], -v[27:28]
	v_add_f64 v[17:18], v[17:18], v[31:32]
	v_add_f64 v[32:33], v[19:20], -v[25:26]
	s_delay_alu instid0(VALU_DEP_4) | instskip(NEXT) | instid1(VALU_DEP_3)
	v_add_f64 v[27:28], v[29:30], -v[36:37]
	v_add_f64 v[34:35], v[21:22], v[17:18]
	s_delay_alu instid0(VALU_DEP_3) | instskip(SKIP_1) | instid1(VALU_DEP_4)
	v_add_f64 v[38:39], v[19:20], -v[32:33]
	v_add_f64 v[10:11], v[10:11], -v[32:33]
	v_add_f64 v[13:14], v[13:14], v[27:28]
	s_delay_alu instid0(VALU_DEP_4) | instskip(NEXT) | instid1(VALU_DEP_4)
	v_cvt_i32_f64_e32 v34, v[34:35]
	v_add_f64 v[25:26], v[25:26], -v[38:39]
	s_delay_alu instid0(VALU_DEP_2) | instskip(NEXT) | instid1(VALU_DEP_2)
	v_cvt_f64_i32_e32 v[32:33], v34
	v_add_f64 v[10:11], v[10:11], v[25:26]
	s_delay_alu instid0(VALU_DEP_2) | instskip(NEXT) | instid1(VALU_DEP_2)
	v_add_f64 v[17:18], v[17:18], -v[32:33]
	v_add_f64 v[10:11], v[13:14], v[10:11]
	v_add_f64 v[13:14], v[19:20], -v[15:16]
	s_delay_alu instid0(VALU_DEP_3) | instskip(NEXT) | instid1(VALU_DEP_3)
	v_add_f64 v[23:24], v[21:22], v[17:18]
	v_add_f64 v[8:9], v[8:9], v[10:11]
	s_delay_alu instid0(VALU_DEP_2) | instskip(SKIP_1) | instid1(VALU_DEP_3)
	v_add_f64 v[10:11], v[23:24], -v[17:18]
	v_cmp_le_f64_e32 vcc_lo, 0.5, v[23:24]
	v_add_f64 v[8:9], v[13:14], v[8:9]
	s_delay_alu instid0(VALU_DEP_3) | instskip(SKIP_2) | instid1(VALU_DEP_3)
	v_add_f64 v[10:11], v[21:22], -v[10:11]
	v_cndmask_b32_e64 v32, 0, 0x3ff00000, vcc_lo
	v_add_co_ci_u32_e64 v13, s0, 0, v34, vcc_lo
	v_add_f64 v[8:9], v[8:9], v[10:11]
	s_delay_alu instid0(VALU_DEP_3) | instskip(NEXT) | instid1(VALU_DEP_1)
	v_add_f64 v[10:11], v[23:24], -v[31:32]
	v_add_f64 v[14:15], v[10:11], v[8:9]
	s_delay_alu instid0(VALU_DEP_1) | instskip(SKIP_1) | instid1(VALU_DEP_2)
	v_mul_f64 v[16:17], v[14:15], s[8:9]
	v_add_f64 v[10:11], v[14:15], -v[10:11]
	v_fma_f64 v[18:19], v[14:15], s[8:9], -v[16:17]
	s_delay_alu instid0(VALU_DEP_2) | instskip(NEXT) | instid1(VALU_DEP_2)
	v_add_f64 v[8:9], v[8:9], -v[10:11]
	v_fma_f64 v[10:11], v[14:15], s[10:11], v[18:19]
	s_delay_alu instid0(VALU_DEP_1) | instskip(NEXT) | instid1(VALU_DEP_1)
	v_fma_f64 v[10:11], v[8:9], s[8:9], v[10:11]
	v_add_f64 v[8:9], v[16:17], v[10:11]
	s_delay_alu instid0(VALU_DEP_1) | instskip(NEXT) | instid1(VALU_DEP_1)
	v_add_f64 v[14:15], v[8:9], -v[16:17]
	v_add_f64 v[10:11], v[10:11], -v[14:15]
	s_and_not1_saveexec_b32 s0, s1
	s_cbranch_execnz .LBB106_54
	s_branch .LBB106_55
.LBB106_53:
	s_and_not1_saveexec_b32 s0, s1
	s_cbranch_execz .LBB106_55
.LBB106_54:
	s_mov_b32 s8, 0x6dc9c883
	s_mov_b32 s9, 0x3fe45f30
	;; [unrolled: 1-line block ×3, first 2 shown]
	v_mul_f64 v[8:9], |v[2:3]|, s[8:9]
	s_mov_b32 s8, 0x54442d18
	s_mov_b32 s9, 0xbff921fb
	;; [unrolled: 1-line block ×3, first 2 shown]
	s_delay_alu instid0(VALU_DEP_1) | instskip(NEXT) | instid1(VALU_DEP_1)
	v_rndne_f64_e32 v[13:14], v[8:9]
	v_fma_f64 v[8:9], v[13:14], s[8:9], |v[2:3]|
	v_mul_f64 v[10:11], v[13:14], s[10:11]
	s_mov_b32 s8, 0x252049c0
	s_mov_b32 s9, 0xb97b839a
	s_delay_alu instid0(VALU_DEP_2) | instskip(NEXT) | instid1(VALU_DEP_2)
	v_fma_f64 v[17:18], v[13:14], s[10:11], v[8:9]
	v_add_f64 v[15:16], v[8:9], v[10:11]
	s_mov_b32 s11, 0x3c91a626
	s_delay_alu instid0(VALU_DEP_1) | instskip(NEXT) | instid1(VALU_DEP_3)
	v_add_f64 v[8:9], v[8:9], -v[15:16]
	v_add_f64 v[15:16], v[15:16], -v[17:18]
	s_delay_alu instid0(VALU_DEP_2) | instskip(SKIP_1) | instid1(VALU_DEP_2)
	v_add_f64 v[8:9], v[8:9], v[10:11]
	v_fma_f64 v[10:11], v[13:14], s[10:11], v[10:11]
	v_add_f64 v[8:9], v[15:16], v[8:9]
	s_delay_alu instid0(VALU_DEP_1) | instskip(NEXT) | instid1(VALU_DEP_1)
	v_add_f64 v[8:9], v[8:9], -v[10:11]
	v_fma_f64 v[10:11], v[13:14], s[8:9], v[8:9]
	v_cvt_i32_f64_e32 v13, v[13:14]
	s_delay_alu instid0(VALU_DEP_2) | instskip(NEXT) | instid1(VALU_DEP_1)
	v_add_f64 v[8:9], v[17:18], v[10:11]
	v_add_f64 v[15:16], v[8:9], -v[17:18]
	s_delay_alu instid0(VALU_DEP_1)
	v_add_f64 v[10:11], v[10:11], -v[15:16]
.LBB106_55:
	s_or_b32 exec_lo, exec_lo, s0
	s_mov_b32 s0, 0x19ba0da4
	s_mov_b32 s1, 0xc0937be3
	;; [unrolled: 1-line block ×3, first 2 shown]
	v_add_f64 v[14:15], |v[0:1]|, s[0:1]
	s_mov_b32 s0, 0x652b82fe
	s_mov_b32 s1, 0x3ff71547
	;; [unrolled: 1-line block ×3, first 2 shown]
	s_delay_alu instid0(VALU_DEP_2)
	v_mul_f64 v[22:23], v[4:5], v[4:5]
	s_mov_b32 s10, 0x1852b7b0
	s_mov_b32 s11, 0x3f56c16c
	v_mul_f64 v[26:27], v[8:9], v[8:9]
	s_mov_b32 s12, 0x46cc5e42
	s_mov_b32 s14, 0x796cde01
	;; [unrolled: 1-line block ×9, first 2 shown]
	s_delay_alu instid0(VALU_DEP_4) | instskip(NEXT) | instid1(VALU_DEP_4)
	v_mul_f64 v[48:49], v[6:7], 0.5
	v_mul_f64 v[16:17], v[14:15], s[0:1]
	s_mov_b32 s0, 0xfefa39ef
	s_mov_b32 s1, 0xbfe62e42
	v_cmp_ngt_f64_e64 s2, 0xc090cc00, v[14:15]
	v_mul_f64 v[30:31], v[22:23], 0.5
	v_mul_f64 v[50:51], v[4:5], -v[22:23]
	v_mul_f64 v[66:67], v[22:23], v[22:23]
	v_mul_f64 v[38:39], v[26:27], 0.5
	v_rndne_f64_e32 v[16:17], v[16:17]
	v_add_f64 v[34:35], -v[30:31], 1.0
	s_delay_alu instid0(VALU_DEP_3) | instskip(NEXT) | instid1(VALU_DEP_3)
	v_add_f64 v[54:55], -v[38:39], 1.0
	v_fma_f64 v[18:19], v[16:17], s[0:1], v[14:15]
	s_mov_b32 s0, 0x3b39803f
	s_mov_b32 s1, 0xbc7abc9e
	v_cvt_i32_f64_e32 v0, v[16:17]
	s_delay_alu instid0(VALU_DEP_4) | instskip(NEXT) | instid1(VALU_DEP_4)
	v_add_f64 v[52:53], -v[34:35], 1.0
	v_add_f64 v[64:65], -v[54:55], 1.0
	s_delay_alu instid0(VALU_DEP_4) | instskip(SKIP_2) | instid1(VALU_DEP_3)
	v_fma_f64 v[18:19], v[16:17], s[0:1], v[18:19]
	s_mov_b32 s0, 0xfca7ab0c
	s_mov_b32 s1, 0x3e928af3
	v_add_f64 v[30:31], v[52:53], -v[30:31]
	v_mul_f64 v[52:53], v[8:9], -v[26:27]
	s_delay_alu instid0(VALU_DEP_3) | instskip(SKIP_4) | instid1(VALU_DEP_3)
	v_fma_f64 v[20:21], v[18:19], s[8:9], s[0:1]
	s_mov_b32 s0, 0x623fde64
	s_mov_b32 s1, 0x3ec71dee
	;; [unrolled: 1-line block ×4, first 2 shown]
	v_fma_f64 v[30:31], v[4:5], -v[6:7], v[30:31]
	s_delay_alu instid0(VALU_DEP_2)
	v_fma_f64 v[20:21], v[18:19], v[20:21], s[0:1]
	s_mov_b32 s0, 0x7c89e6b0
	s_mov_b32 s1, 0x3efa0199
	s_delay_alu instid0(VALU_DEP_1) | instid1(SALU_CYCLE_1)
	v_fma_f64 v[20:21], v[18:19], v[20:21], s[0:1]
	s_mov_b32 s0, 0x14761f6e
	s_mov_b32 s1, 0x3f2a01a0
	s_delay_alu instid0(VALU_DEP_1) | instid1(SALU_CYCLE_1)
	v_fma_f64 v[20:21], v[18:19], v[20:21], s[0:1]
	s_mov_b32 s0, 0xb42fdfa7
	s_mov_b32 s1, 0xbe5ae600
	s_delay_alu instid0(SALU_CYCLE_1)
	v_fma_f64 v[24:25], v[22:23], s[8:9], s[0:1]
	v_fma_f64 v[32:33], v[26:27], s[8:9], s[0:1]
	s_mov_b32 s8, 0x19e83e5c
	s_mov_b32 s9, 0xbf2a01a0
	;; [unrolled: 1-line block ×4, first 2 shown]
	s_delay_alu instid0(SALU_CYCLE_1) | instskip(NEXT) | instid1(VALU_DEP_3)
	s_mov_b32 s21, s1
	v_fma_f64 v[20:21], v[18:19], v[20:21], s[10:11]
	s_mov_b32 s10, 0x9037ab78
	s_mov_b32 s11, 0x3e21eeb6
	s_delay_alu instid0(SALU_CYCLE_1) | instskip(NEXT) | instid1(VALU_DEP_4)
	v_fma_f64 v[28:29], v[22:23], s[12:13], s[10:11]
	v_fma_f64 v[24:25], v[22:23], v[24:25], s[14:15]
	;; [unrolled: 1-line block ×4, first 2 shown]
	s_mov_b32 s10, 0x19f4ec90
	s_mov_b32 s11, 0x3efa01a0
	;; [unrolled: 1-line block ×4, first 2 shown]
	v_fma_f64 v[20:21], v[18:19], v[20:21], s[18:19]
	s_mov_b32 s18, 0xa17f65f6
	s_mov_b32 s19, 0xbe927e4f
	s_delay_alu instid0(SALU_CYCLE_1)
	v_fma_f64 v[28:29], v[22:23], v[28:29], s[18:19]
	v_fma_f64 v[24:25], v[22:23], v[24:25], s[8:9]
	v_fma_f64 v[36:37], v[26:27], v[36:37], s[18:19]
	v_fma_f64 v[32:33], v[26:27], v[32:33], s[8:9]
	s_mov_b32 s8, 0x16c16967
	s_mov_b32 s9, 0xbf56c16c
	v_fma_f64 v[20:21], v[18:19], v[20:21], s[20:21]
	v_fma_f64 v[28:29], v[22:23], v[28:29], s[10:11]
	v_fma_f64 v[24:25], v[22:23], v[24:25], s[16:17]
	v_fma_f64 v[36:37], v[26:27], v[36:37], s[10:11]
	v_fma_f64 v[32:33], v[26:27], v[32:33], s[16:17]
	v_fma_f64 v[20:21], v[18:19], v[20:21], s[12:13]
	s_mov_b32 s12, 11
	s_mov_b32 s13, 0x3fe00000
	v_fma_f64 v[28:29], v[22:23], v[28:29], s[8:9]
	v_fma_f64 v[24:25], v[50:51], v[24:25], v[48:49]
	v_mul_f64 v[48:49], v[10:11], 0.5
	s_delay_alu instid0(VALU_DEP_4) | instskip(NEXT) | instid1(VALU_DEP_4)
	v_fma_f64 v[20:21], v[18:19], v[20:21], s[12:13]
	v_fma_f64 v[28:29], v[22:23], v[28:29], s[0:1]
	s_delay_alu instid0(VALU_DEP_4)
	v_fma_f64 v[6:7], v[22:23], v[24:25], -v[6:7]
	v_fma_f64 v[22:23], v[26:27], v[36:37], s[8:9]
	v_add_f64 v[24:25], v[64:65], -v[38:39]
	v_fma_f64 v[32:33], v[52:53], v[32:33], v[48:49]
	s_mov_b32 s9, 0xbfc55555
	s_mov_b32 s8, s0
	v_fma_f64 v[20:21], v[18:19], v[20:21], 1.0
	v_fma_f64 v[28:29], v[66:67], v[28:29], v[30:31]
	v_fma_f64 v[6:7], v[50:51], s[8:9], v[6:7]
	s_delay_alu instid0(VALU_DEP_3)
	v_fma_f64 v[16:17], v[18:19], v[20:21], 1.0
	v_mul_f64 v[18:19], v[26:27], v[26:27]
	v_fma_f64 v[20:21], v[26:27], v[22:23], s[0:1]
	v_fma_f64 v[22:23], v[8:9], -v[10:11], v[24:25]
	v_fma_f64 v[10:11], v[26:27], v[32:33], -v[10:11]
	v_add_f64 v[24:25], v[34:35], v[28:29]
	v_add_f64 v[4:5], v[4:5], -v[6:7]
	v_cmp_nlt_f64_e64 s1, 0x40900000, v[14:15]
	v_cmp_class_f64_e64 s0, v[2:3], 0x1f8
	v_ldexp_f64 v[6:7], v[16:17], v0
	v_and_b32_e32 v0, 1, v12
	v_fma_f64 v[16:17], v[18:19], v[20:21], v[22:23]
	v_fma_f64 v[10:11], v[52:53], s[8:9], v[10:11]
	s_mov_b32 s8, 0xfffff
	s_delay_alu instid0(VALU_DEP_3) | instskip(SKIP_3) | instid1(VALU_DEP_2)
	v_cmp_eq_u32_e32 vcc_lo, 0, v0
	v_cndmask_b32_e32 v0, v4, v24, vcc_lo
	v_lshlrev_b32_e32 v4, 30, v12
	v_xor_b32_e32 v12, 0x80000000, v5
	v_and_b32_e32 v14, 0x80000000, v4
	v_cndmask_b32_e64 v2, 0x7ff00000, v7, s1
	v_add_f64 v[4:5], v[54:55], v[16:17]
	v_add_f64 v[7:8], v[8:9], -v[10:11]
	v_cndmask_b32_e32 v9, v12, v25, vcc_lo
	s_delay_alu instid0(VALU_DEP_4) | instskip(SKIP_2) | instid1(VALU_DEP_3)
	v_cndmask_b32_e64 v2, 0, v2, s2
	s_and_b32 vcc_lo, s2, s1
	v_cndmask_b32_e32 v11, 0, v6, vcc_lo
	v_xor_b32_e32 v10, v9, v14
	v_cndmask_b32_e64 v9, 0, v0, s0
	v_and_or_b32 v12, v2, s8, 0x7fe00000
	v_lshrrev_b32_e32 v0, 20, v2
	v_and_b32_e32 v6, 1, v13
	v_cndmask_b32_e64 v10, 0x7ff80000, v10, s0
	s_delay_alu instid0(VALU_DEP_3) | instskip(NEXT) | instid1(VALU_DEP_3)
	v_add_nc_u32_e32 v0, 0xffffff08, v0
	v_cmp_eq_u32_e32 vcc_lo, 0, v6
	s_delay_alu instid0(VALU_DEP_3) | instskip(SKIP_1) | instid1(VALU_DEP_4)
	v_mul_f64 v[9:10], v[11:12], v[9:10]
	v_lshlrev_b32_e32 v13, 30, v13
	v_lshrrev_b16 v2, 15, v0
	s_delay_alu instid0(VALU_DEP_1) | instskip(NEXT) | instid1(VALU_DEP_1)
	v_add_nc_u16 v2, v0, v2
	v_ashrrev_i16 v2, 1, v2
	v_cndmask_b32_e32 v4, v4, v7, vcc_lo
	v_xor_b32_e32 v3, v13, v3
	v_cndmask_b32_e32 v5, v5, v8, vcc_lo
	s_delay_alu instid0(VALU_DEP_4) | instskip(NEXT) | instid1(VALU_DEP_4)
	v_bfe_i32 v8, v2, 0, 16
	v_cndmask_b32_e64 v4, 0, v4, s0
	s_delay_alu instid0(VALU_DEP_4) | instskip(NEXT) | instid1(VALU_DEP_3)
	v_and_b32_e32 v3, 0x80000000, v3
	v_sub_nc_u32_e32 v0, v0, v8
	s_delay_alu instid0(VALU_DEP_2) | instskip(SKIP_1) | instid1(VALU_DEP_2)
	v_xor_b32_e32 v2, v5, v3
	v_lshl_add_u32 v3, v8, 20, 0x3ff00000
	v_cndmask_b32_e64 v5, 0x7ff80000, v2, s0
	v_mov_b32_e32 v2, 0
	s_brev_b32 s0, -2
	s_delay_alu instid0(VALU_DEP_2) | instskip(NEXT) | instid1(VALU_DEP_2)
	v_mul_f64 v[4:5], v[11:12], v[4:5]
	v_mul_f64 v[6:7], v[9:10], v[2:3]
	v_lshl_add_u32 v9, v0, 20, 0x3ff00000
	v_mov_b32_e32 v8, v2
	s_delay_alu instid0(VALU_DEP_4) | instskip(NEXT) | instid1(VALU_DEP_2)
	v_mul_f64 v[4:5], v[4:5], v[2:3]
	v_mul_f64 v[6:7], v[6:7], v[8:9]
	v_bfi_b32 v3, s0, 0x3ff00000, v1
	s_delay_alu instid0(VALU_DEP_3) | instskip(NEXT) | instid1(VALU_DEP_2)
	v_mul_f64 v[4:5], v[4:5], v[8:9]
	v_mul_f64 v[6:7], v[2:3], v[6:7]
.LBB106_56:
	s_or_b32 exec_lo, exec_lo, s7
                                        ; implicit-def: $vgpr0_vgpr1
                                        ; implicit-def: $vgpr2_vgpr3
.LBB106_57:
	s_and_not1_saveexec_b32 s6, s6
	s_cbranch_execz .LBB106_67
; %bb.58:
	v_cmp_ngt_f64_e64 s1, 0x41d00000, |v[2:3]|
                                        ; implicit-def: $vgpr12
                                        ; implicit-def: $vgpr4_vgpr5
                                        ; implicit-def: $vgpr6_vgpr7
	s_delay_alu instid0(VALU_DEP_1) | instskip(NEXT) | instid1(SALU_CYCLE_1)
	s_and_saveexec_b32 s0, s1
	s_xor_b32 s2, exec_lo, s0
	s_cbranch_execz .LBB106_60
; %bb.59:
	v_ldexp_f64 v[4:5], |v[2:3]|, 0xffffff80
	v_cmp_le_f64_e64 vcc_lo, 0x7b000000, |v[2:3]|
	v_trig_preop_f64 v[6:7], |v[2:3]|, 0
	v_and_b32_e32 v8, 0x7fffffff, v3
	v_trig_preop_f64 v[18:19], |v[2:3]|, 2
	v_mov_b32_e32 v26, 0
	s_mov_b32 s8, 0x54442d18
	s_mov_b32 s9, 0x3ff921fb
	;; [unrolled: 1-line block ×4, first 2 shown]
	v_dual_cndmask_b32 v5, v8, v5 :: v_dual_cndmask_b32 v4, v2, v4
	v_trig_preop_f64 v[8:9], |v[2:3]|, 1
	s_delay_alu instid0(VALU_DEP_2) | instskip(SKIP_1) | instid1(VALU_DEP_3)
	v_mul_f64 v[10:11], v[6:7], v[4:5]
	v_mul_f64 v[24:25], v[18:19], v[4:5]
	;; [unrolled: 1-line block ×3, first 2 shown]
	s_delay_alu instid0(VALU_DEP_3) | instskip(NEXT) | instid1(VALU_DEP_2)
	v_fma_f64 v[6:7], v[6:7], v[4:5], -v[10:11]
	v_fma_f64 v[8:9], v[8:9], v[4:5], -v[12:13]
	s_delay_alu instid0(VALU_DEP_4) | instskip(NEXT) | instid1(VALU_DEP_3)
	v_fma_f64 v[4:5], v[18:19], v[4:5], -v[24:25]
	v_add_f64 v[14:15], v[12:13], v[6:7]
	s_delay_alu instid0(VALU_DEP_1) | instskip(SKIP_1) | instid1(VALU_DEP_2)
	v_add_f64 v[16:17], v[14:15], -v[12:13]
	v_add_f64 v[22:23], v[10:11], v[14:15]
	v_add_f64 v[20:21], v[14:15], -v[16:17]
	v_add_f64 v[6:7], v[6:7], -v[16:17]
	s_delay_alu instid0(VALU_DEP_3) | instskip(SKIP_1) | instid1(VALU_DEP_4)
	v_ldexp_f64 v[16:17], v[22:23], -2
	v_add_f64 v[10:11], v[22:23], -v[10:11]
	v_add_f64 v[12:13], v[12:13], -v[20:21]
	v_add_f64 v[20:21], v[24:25], v[8:9]
	s_delay_alu instid0(VALU_DEP_4) | instskip(NEXT) | instid1(VALU_DEP_4)
	v_cmp_neq_f64_e64 vcc_lo, 0x7ff00000, |v[16:17]|
	v_add_f64 v[10:11], v[14:15], -v[10:11]
	s_delay_alu instid0(VALU_DEP_4) | instskip(SKIP_1) | instid1(VALU_DEP_2)
	v_add_f64 v[6:7], v[6:7], v[12:13]
	v_fract_f64_e32 v[12:13], v[16:17]
	v_add_f64 v[14:15], v[20:21], v[6:7]
	s_delay_alu instid0(VALU_DEP_2) | instskip(NEXT) | instid1(VALU_DEP_1)
	v_dual_cndmask_b32 v13, 0, v13 :: v_dual_cndmask_b32 v12, 0, v12
	v_ldexp_f64 v[12:13], v[12:13], 2
	s_delay_alu instid0(VALU_DEP_3) | instskip(NEXT) | instid1(VALU_DEP_1)
	v_add_f64 v[16:17], v[10:11], v[14:15]
	v_add_f64 v[22:23], v[16:17], v[12:13]
	v_add_f64 v[10:11], v[16:17], -v[10:11]
	s_delay_alu instid0(VALU_DEP_2) | instskip(SKIP_1) | instid1(VALU_DEP_3)
	v_cmp_gt_f64_e32 vcc_lo, 0, v[22:23]
	v_add_f64 v[22:23], v[20:21], -v[24:25]
	v_add_f64 v[10:11], v[14:15], -v[10:11]
	v_cndmask_b32_e64 v27, 0, 0x40100000, vcc_lo
	s_delay_alu instid0(VALU_DEP_3) | instskip(SKIP_1) | instid1(VALU_DEP_3)
	v_add_f64 v[31:32], v[20:21], -v[22:23]
	v_add_f64 v[8:9], v[8:9], -v[22:23]
	v_add_f64 v[12:13], v[12:13], v[26:27]
	v_add_f64 v[27:28], v[14:15], -v[20:21]
	s_delay_alu instid0(VALU_DEP_4) | instskip(NEXT) | instid1(VALU_DEP_3)
	v_add_f64 v[22:23], v[24:25], -v[31:32]
	v_add_f64 v[29:30], v[16:17], v[12:13]
	s_delay_alu instid0(VALU_DEP_3) | instskip(SKIP_1) | instid1(VALU_DEP_4)
	v_add_f64 v[33:34], v[14:15], -v[27:28]
	v_add_f64 v[6:7], v[6:7], -v[27:28]
	v_add_f64 v[8:9], v[8:9], v[22:23]
	s_delay_alu instid0(VALU_DEP_4) | instskip(NEXT) | instid1(VALU_DEP_4)
	v_cvt_i32_f64_e32 v29, v[29:30]
	v_add_f64 v[20:21], v[20:21], -v[33:34]
	s_delay_alu instid0(VALU_DEP_2) | instskip(NEXT) | instid1(VALU_DEP_2)
	v_cvt_f64_i32_e32 v[27:28], v29
	v_add_f64 v[6:7], v[6:7], v[20:21]
	s_delay_alu instid0(VALU_DEP_2) | instskip(NEXT) | instid1(VALU_DEP_2)
	v_add_f64 v[12:13], v[12:13], -v[27:28]
	v_add_f64 v[6:7], v[8:9], v[6:7]
	s_delay_alu instid0(VALU_DEP_2) | instskip(NEXT) | instid1(VALU_DEP_2)
	v_add_f64 v[8:9], v[16:17], v[12:13]
	v_add_f64 v[4:5], v[4:5], v[6:7]
	s_delay_alu instid0(VALU_DEP_2) | instskip(SKIP_1) | instid1(VALU_DEP_3)
	v_add_f64 v[6:7], v[8:9], -v[12:13]
	v_cmp_le_f64_e32 vcc_lo, 0.5, v[8:9]
	v_add_f64 v[4:5], v[10:11], v[4:5]
	s_delay_alu instid0(VALU_DEP_3) | instskip(SKIP_2) | instid1(VALU_DEP_3)
	v_add_f64 v[6:7], v[16:17], -v[6:7]
	v_cndmask_b32_e64 v27, 0, 0x3ff00000, vcc_lo
	v_add_co_ci_u32_e64 v12, s0, 0, v29, vcc_lo
	v_add_f64 v[4:5], v[4:5], v[6:7]
	s_delay_alu instid0(VALU_DEP_3) | instskip(NEXT) | instid1(VALU_DEP_1)
	v_add_f64 v[6:7], v[8:9], -v[26:27]
	v_add_f64 v[8:9], v[6:7], v[4:5]
	s_delay_alu instid0(VALU_DEP_1) | instskip(SKIP_1) | instid1(VALU_DEP_2)
	v_mul_f64 v[10:11], v[8:9], s[8:9]
	v_add_f64 v[6:7], v[8:9], -v[6:7]
	v_fma_f64 v[13:14], v[8:9], s[8:9], -v[10:11]
	s_delay_alu instid0(VALU_DEP_2) | instskip(NEXT) | instid1(VALU_DEP_2)
	v_add_f64 v[4:5], v[4:5], -v[6:7]
	v_fma_f64 v[6:7], v[8:9], s[10:11], v[13:14]
	s_delay_alu instid0(VALU_DEP_1) | instskip(NEXT) | instid1(VALU_DEP_1)
	v_fma_f64 v[6:7], v[4:5], s[8:9], v[6:7]
	v_add_f64 v[4:5], v[10:11], v[6:7]
	s_delay_alu instid0(VALU_DEP_1) | instskip(NEXT) | instid1(VALU_DEP_1)
	v_add_f64 v[8:9], v[4:5], -v[10:11]
	v_add_f64 v[6:7], v[6:7], -v[8:9]
	s_and_not1_saveexec_b32 s0, s2
	s_cbranch_execz .LBB106_62
	s_branch .LBB106_61
.LBB106_60:
	s_and_not1_saveexec_b32 s0, s2
	s_cbranch_execz .LBB106_62
.LBB106_61:
	s_mov_b32 s8, 0x6dc9c883
	s_mov_b32 s9, 0x3fe45f30
	;; [unrolled: 1-line block ×3, first 2 shown]
	v_mul_f64 v[4:5], |v[2:3]|, s[8:9]
	s_mov_b32 s8, 0x54442d18
	s_mov_b32 s9, 0xbff921fb
	s_mov_b32 s10, 0x33145c00
	s_delay_alu instid0(VALU_DEP_1) | instskip(NEXT) | instid1(VALU_DEP_1)
	v_rndne_f64_e32 v[8:9], v[4:5]
	v_fma_f64 v[4:5], v[8:9], s[8:9], |v[2:3]|
	v_mul_f64 v[6:7], v[8:9], s[10:11]
	s_mov_b32 s8, 0x252049c0
	s_mov_b32 s9, 0xb97b839a
	s_delay_alu instid0(VALU_DEP_2) | instskip(NEXT) | instid1(VALU_DEP_2)
	v_fma_f64 v[12:13], v[8:9], s[10:11], v[4:5]
	v_add_f64 v[10:11], v[4:5], v[6:7]
	s_mov_b32 s11, 0x3c91a626
	s_delay_alu instid0(VALU_DEP_1) | instskip(NEXT) | instid1(VALU_DEP_3)
	v_add_f64 v[4:5], v[4:5], -v[10:11]
	v_add_f64 v[10:11], v[10:11], -v[12:13]
	s_delay_alu instid0(VALU_DEP_2) | instskip(SKIP_1) | instid1(VALU_DEP_2)
	v_add_f64 v[4:5], v[4:5], v[6:7]
	v_fma_f64 v[6:7], v[8:9], s[10:11], v[6:7]
	v_add_f64 v[4:5], v[10:11], v[4:5]
	s_delay_alu instid0(VALU_DEP_1) | instskip(NEXT) | instid1(VALU_DEP_1)
	v_add_f64 v[4:5], v[4:5], -v[6:7]
	v_fma_f64 v[6:7], v[8:9], s[8:9], v[4:5]
	s_delay_alu instid0(VALU_DEP_1) | instskip(NEXT) | instid1(VALU_DEP_1)
	v_add_f64 v[4:5], v[12:13], v[6:7]
	v_add_f64 v[10:11], v[4:5], -v[12:13]
	v_cvt_i32_f64_e32 v12, v[8:9]
	s_delay_alu instid0(VALU_DEP_2)
	v_add_f64 v[6:7], v[6:7], -v[10:11]
.LBB106_62:
	s_or_b32 exec_lo, exec_lo, s0
                                        ; implicit-def: $vgpr13
                                        ; implicit-def: $vgpr8_vgpr9
                                        ; implicit-def: $vgpr10_vgpr11
	s_and_saveexec_b32 s0, s1
	s_delay_alu instid0(SALU_CYCLE_1)
	s_xor_b32 s1, exec_lo, s0
	s_cbranch_execz .LBB106_64
; %bb.63:
	v_ldexp_f64 v[8:9], |v[2:3]|, 0xffffff80
	v_cmp_le_f64_e64 vcc_lo, 0x7b000000, |v[2:3]|
	v_trig_preop_f64 v[10:11], |v[2:3]|, 0
	v_and_b32_e32 v13, 0x7fffffff, v3
	v_trig_preop_f64 v[23:24], |v[2:3]|, 2
	v_mov_b32_e32 v31, 0
	s_mov_b32 s8, 0x54442d18
	s_mov_b32 s9, 0x3ff921fb
	;; [unrolled: 1-line block ×4, first 2 shown]
	v_dual_cndmask_b32 v8, v2, v8 :: v_dual_cndmask_b32 v9, v13, v9
	v_trig_preop_f64 v[13:14], |v[2:3]|, 1
	s_delay_alu instid0(VALU_DEP_2) | instskip(NEXT) | instid1(VALU_DEP_2)
	v_mul_f64 v[15:16], v[10:11], v[8:9]
	v_mul_f64 v[17:18], v[13:14], v[8:9]
	s_delay_alu instid0(VALU_DEP_2) | instskip(NEXT) | instid1(VALU_DEP_2)
	v_fma_f64 v[10:11], v[10:11], v[8:9], -v[15:16]
	v_fma_f64 v[13:14], v[13:14], v[8:9], -v[17:18]
	s_delay_alu instid0(VALU_DEP_2) | instskip(NEXT) | instid1(VALU_DEP_1)
	v_add_f64 v[19:20], v[17:18], v[10:11]
	v_add_f64 v[21:22], v[19:20], -v[17:18]
	v_add_f64 v[27:28], v[15:16], v[19:20]
	s_delay_alu instid0(VALU_DEP_2) | instskip(SKIP_1) | instid1(VALU_DEP_3)
	v_add_f64 v[25:26], v[19:20], -v[21:22]
	v_add_f64 v[10:11], v[10:11], -v[21:22]
	v_ldexp_f64 v[21:22], v[27:28], -2
	v_add_f64 v[15:16], v[27:28], -v[15:16]
	s_delay_alu instid0(VALU_DEP_4) | instskip(NEXT) | instid1(VALU_DEP_3)
	v_add_f64 v[17:18], v[17:18], -v[25:26]
	v_cmp_neq_f64_e64 vcc_lo, 0x7ff00000, |v[21:22]|
	s_delay_alu instid0(VALU_DEP_3) | instskip(NEXT) | instid1(VALU_DEP_3)
	v_add_f64 v[15:16], v[19:20], -v[15:16]
	v_add_f64 v[10:11], v[10:11], v[17:18]
	v_fract_f64_e32 v[17:18], v[21:22]
	s_delay_alu instid0(VALU_DEP_1) | instskip(SKIP_1) | instid1(VALU_DEP_3)
	v_cndmask_b32_e32 v18, 0, v18, vcc_lo
	v_mul_f64 v[29:30], v[23:24], v[8:9]
	v_cndmask_b32_e32 v17, 0, v17, vcc_lo
	s_delay_alu instid0(VALU_DEP_1) | instskip(NEXT) | instid1(VALU_DEP_3)
	v_ldexp_f64 v[17:18], v[17:18], 2
	v_add_f64 v[25:26], v[29:30], v[13:14]
	v_fma_f64 v[8:9], v[23:24], v[8:9], -v[29:30]
	s_delay_alu instid0(VALU_DEP_2) | instskip(NEXT) | instid1(VALU_DEP_1)
	v_add_f64 v[19:20], v[25:26], v[10:11]
	v_add_f64 v[21:22], v[15:16], v[19:20]
	s_delay_alu instid0(VALU_DEP_1) | instskip(SKIP_1) | instid1(VALU_DEP_2)
	v_add_f64 v[27:28], v[21:22], v[17:18]
	v_add_f64 v[15:16], v[21:22], -v[15:16]
	v_cmp_gt_f64_e32 vcc_lo, 0, v[27:28]
	v_add_f64 v[27:28], v[25:26], -v[29:30]
	v_cndmask_b32_e64 v32, 0, 0x40100000, vcc_lo
	s_delay_alu instid0(VALU_DEP_2) | instskip(SKIP_1) | instid1(VALU_DEP_3)
	v_add_f64 v[36:37], v[25:26], -v[27:28]
	v_add_f64 v[13:14], v[13:14], -v[27:28]
	v_add_f64 v[17:18], v[17:18], v[31:32]
	v_add_f64 v[32:33], v[19:20], -v[25:26]
	s_delay_alu instid0(VALU_DEP_4) | instskip(NEXT) | instid1(VALU_DEP_3)
	v_add_f64 v[27:28], v[29:30], -v[36:37]
	v_add_f64 v[34:35], v[21:22], v[17:18]
	s_delay_alu instid0(VALU_DEP_3) | instskip(SKIP_1) | instid1(VALU_DEP_4)
	v_add_f64 v[38:39], v[19:20], -v[32:33]
	v_add_f64 v[10:11], v[10:11], -v[32:33]
	v_add_f64 v[13:14], v[13:14], v[27:28]
	s_delay_alu instid0(VALU_DEP_4) | instskip(NEXT) | instid1(VALU_DEP_4)
	v_cvt_i32_f64_e32 v34, v[34:35]
	v_add_f64 v[25:26], v[25:26], -v[38:39]
	s_delay_alu instid0(VALU_DEP_2) | instskip(NEXT) | instid1(VALU_DEP_2)
	v_cvt_f64_i32_e32 v[32:33], v34
	v_add_f64 v[10:11], v[10:11], v[25:26]
	s_delay_alu instid0(VALU_DEP_2) | instskip(NEXT) | instid1(VALU_DEP_2)
	v_add_f64 v[17:18], v[17:18], -v[32:33]
	v_add_f64 v[10:11], v[13:14], v[10:11]
	v_add_f64 v[13:14], v[19:20], -v[15:16]
	s_delay_alu instid0(VALU_DEP_3) | instskip(NEXT) | instid1(VALU_DEP_3)
	v_add_f64 v[23:24], v[21:22], v[17:18]
	v_add_f64 v[8:9], v[8:9], v[10:11]
	s_delay_alu instid0(VALU_DEP_2) | instskip(SKIP_1) | instid1(VALU_DEP_3)
	v_add_f64 v[10:11], v[23:24], -v[17:18]
	v_cmp_le_f64_e32 vcc_lo, 0.5, v[23:24]
	v_add_f64 v[8:9], v[13:14], v[8:9]
	s_delay_alu instid0(VALU_DEP_3) | instskip(SKIP_2) | instid1(VALU_DEP_3)
	v_add_f64 v[10:11], v[21:22], -v[10:11]
	v_cndmask_b32_e64 v32, 0, 0x3ff00000, vcc_lo
	v_add_co_ci_u32_e64 v13, s0, 0, v34, vcc_lo
	v_add_f64 v[8:9], v[8:9], v[10:11]
	s_delay_alu instid0(VALU_DEP_3) | instskip(NEXT) | instid1(VALU_DEP_1)
	v_add_f64 v[10:11], v[23:24], -v[31:32]
	v_add_f64 v[14:15], v[10:11], v[8:9]
	s_delay_alu instid0(VALU_DEP_1) | instskip(SKIP_1) | instid1(VALU_DEP_2)
	v_mul_f64 v[16:17], v[14:15], s[8:9]
	v_add_f64 v[10:11], v[14:15], -v[10:11]
	v_fma_f64 v[18:19], v[14:15], s[8:9], -v[16:17]
	s_delay_alu instid0(VALU_DEP_2) | instskip(NEXT) | instid1(VALU_DEP_2)
	v_add_f64 v[8:9], v[8:9], -v[10:11]
	v_fma_f64 v[10:11], v[14:15], s[10:11], v[18:19]
	s_delay_alu instid0(VALU_DEP_1) | instskip(NEXT) | instid1(VALU_DEP_1)
	v_fma_f64 v[10:11], v[8:9], s[8:9], v[10:11]
	v_add_f64 v[8:9], v[16:17], v[10:11]
	s_delay_alu instid0(VALU_DEP_1) | instskip(NEXT) | instid1(VALU_DEP_1)
	v_add_f64 v[14:15], v[8:9], -v[16:17]
	v_add_f64 v[10:11], v[10:11], -v[14:15]
	s_and_not1_saveexec_b32 s0, s1
	s_cbranch_execnz .LBB106_65
	s_branch .LBB106_66
.LBB106_64:
	s_and_not1_saveexec_b32 s0, s1
	s_cbranch_execz .LBB106_66
.LBB106_65:
	s_mov_b32 s8, 0x6dc9c883
	s_mov_b32 s9, 0x3fe45f30
	s_mov_b32 s11, 0xbc91a626
	v_mul_f64 v[8:9], |v[2:3]|, s[8:9]
	s_mov_b32 s8, 0x54442d18
	s_mov_b32 s9, 0xbff921fb
	s_mov_b32 s10, 0x33145c00
	s_delay_alu instid0(VALU_DEP_1) | instskip(NEXT) | instid1(VALU_DEP_1)
	v_rndne_f64_e32 v[13:14], v[8:9]
	v_fma_f64 v[8:9], v[13:14], s[8:9], |v[2:3]|
	v_mul_f64 v[10:11], v[13:14], s[10:11]
	s_mov_b32 s8, 0x252049c0
	s_mov_b32 s9, 0xb97b839a
	s_delay_alu instid0(VALU_DEP_2) | instskip(NEXT) | instid1(VALU_DEP_2)
	v_fma_f64 v[17:18], v[13:14], s[10:11], v[8:9]
	v_add_f64 v[15:16], v[8:9], v[10:11]
	s_mov_b32 s11, 0x3c91a626
	s_delay_alu instid0(VALU_DEP_1) | instskip(NEXT) | instid1(VALU_DEP_3)
	v_add_f64 v[8:9], v[8:9], -v[15:16]
	v_add_f64 v[15:16], v[15:16], -v[17:18]
	s_delay_alu instid0(VALU_DEP_2) | instskip(SKIP_1) | instid1(VALU_DEP_2)
	v_add_f64 v[8:9], v[8:9], v[10:11]
	v_fma_f64 v[10:11], v[13:14], s[10:11], v[10:11]
	v_add_f64 v[8:9], v[15:16], v[8:9]
	s_delay_alu instid0(VALU_DEP_1) | instskip(NEXT) | instid1(VALU_DEP_1)
	v_add_f64 v[8:9], v[8:9], -v[10:11]
	v_fma_f64 v[10:11], v[13:14], s[8:9], v[8:9]
	v_cvt_i32_f64_e32 v13, v[13:14]
	s_delay_alu instid0(VALU_DEP_2) | instskip(NEXT) | instid1(VALU_DEP_1)
	v_add_f64 v[8:9], v[17:18], v[10:11]
	v_add_f64 v[15:16], v[8:9], -v[17:18]
	s_delay_alu instid0(VALU_DEP_1)
	v_add_f64 v[10:11], v[10:11], -v[15:16]
.LBB106_66:
	s_or_b32 exec_lo, exec_lo, s0
	s_mov_b32 s0, 0x652b82fe
	s_mov_b32 s1, 0x3ff71547
	;; [unrolled: 1-line block ×3, first 2 shown]
	v_mul_f64 v[14:15], |v[0:1]|, s[0:1]
	s_mov_b32 s0, 0xfefa39ef
	s_mov_b32 s1, 0xbfe62e42
	;; [unrolled: 1-line block ×3, first 2 shown]
	s_delay_alu instid0(VALU_DEP_3)
	v_mul_f64 v[20:21], v[4:5], v[4:5]
	v_mul_f64 v[22:23], v[8:9], v[8:9]
	s_mov_b32 s11, 0x3f811111
	s_mov_b32 s10, 0x11122322
	;; [unrolled: 1-line block ×6, first 2 shown]
	s_delay_alu instid0(VALU_DEP_4)
	v_mul_f64 v[48:49], v[6:7], 0.5
	v_mul_f64 v[54:55], v[10:11], 0.5
	v_cmp_nlt_f64_e64 vcc_lo, 0x40900000, |v[0:1]|
	v_rndne_f64_e32 v[14:15], v[14:15]
	v_mul_f64 v[28:29], v[20:21], 0.5
	v_mul_f64 v[32:33], v[22:23], 0.5
	v_mul_f64 v[50:51], v[4:5], -v[20:21]
	v_mul_f64 v[64:65], v[8:9], -v[22:23]
	v_fma_f64 v[16:17], v[14:15], s[0:1], |v[0:1]|
	s_mov_b32 s0, 0x3b39803f
	s_mov_b32 s1, 0xbc7abc9e
	v_add_f64 v[36:37], -v[28:29], 1.0
	v_add_f64 v[38:39], -v[32:33], 1.0
	s_delay_alu instid0(VALU_DEP_3) | instskip(SKIP_2) | instid1(VALU_DEP_3)
	v_fma_f64 v[16:17], v[14:15], s[0:1], v[16:17]
	s_mov_b32 s0, 0xfca7ab0c
	s_mov_b32 s1, 0x3e928af3
	v_add_f64 v[52:53], -v[36:37], 1.0
	s_delay_alu instid0(VALU_DEP_3) | instskip(NEXT) | instid1(VALU_DEP_3)
	v_add_f64 v[66:67], -v[38:39], 1.0
	v_fma_f64 v[18:19], v[16:17], s[8:9], s[0:1]
	s_mov_b32 s0, 0x623fde64
	s_mov_b32 s1, 0x3ec71dee
	;; [unrolled: 1-line block ×4, first 2 shown]
	s_delay_alu instid0(VALU_DEP_3) | instskip(NEXT) | instid1(VALU_DEP_3)
	v_add_f64 v[28:29], v[52:53], -v[28:29]
	v_add_f64 v[32:33], v[66:67], -v[32:33]
	s_delay_alu instid0(VALU_DEP_3) | instskip(SKIP_2) | instid1(VALU_DEP_3)
	v_fma_f64 v[18:19], v[16:17], v[18:19], s[0:1]
	s_mov_b32 s0, 0x7c89e6b0
	s_mov_b32 s1, 0x3efa0199
	v_fma_f64 v[28:29], v[4:5], -v[6:7], v[28:29]
	s_delay_alu instid0(VALU_DEP_2)
	v_fma_f64 v[18:19], v[16:17], v[18:19], s[0:1]
	s_mov_b32 s0, 0x14761f6e
	s_mov_b32 s1, 0x3f2a01a0
	s_delay_alu instid0(VALU_DEP_1) | instid1(SALU_CYCLE_1)
	v_fma_f64 v[18:19], v[16:17], v[18:19], s[0:1]
	s_mov_b32 s0, 0x1852b7b0
	s_mov_b32 s1, 0x3f56c16c
	s_delay_alu instid0(VALU_DEP_1) | instid1(SALU_CYCLE_1)
	v_fma_f64 v[18:19], v[16:17], v[18:19], s[0:1]
	s_mov_b32 s0, 0xf9a43bb8
	s_mov_b32 s1, 0x3de5e0b2
	s_delay_alu instid0(SALU_CYCLE_1)
	v_fma_f64 v[24:25], v[20:21], s[0:1], s[8:9]
	v_fma_f64 v[26:27], v[22:23], s[0:1], s[8:9]
	s_mov_b32 s0, 0x9037ab78
	s_mov_b32 s8, 0x46cc5e42
	;; [unrolled: 1-line block ×4, first 2 shown]
	s_delay_alu instid0(SALU_CYCLE_1)
	v_fma_f64 v[30:31], v[20:21], s[8:9], s[0:1]
	v_fma_f64 v[34:35], v[22:23], s[8:9], s[0:1]
	s_mov_b32 s0, 0xa17f65f6
	s_mov_b32 s8, 0x19e83e5c
	;; [unrolled: 1-line block ×4, first 2 shown]
	v_fma_f64 v[18:19], v[16:17], v[18:19], s[10:11]
	s_mov_b32 s10, 0x11110bb3
	v_fma_f64 v[24:25], v[20:21], v[24:25], s[12:13]
	v_fma_f64 v[26:27], v[22:23], v[26:27], s[12:13]
	s_mov_b32 s12, 0x55555511
	s_mov_b32 s13, 0x3fc55555
	v_fma_f64 v[30:31], v[20:21], v[30:31], s[0:1]
	v_fma_f64 v[34:35], v[22:23], v[34:35], s[0:1]
	s_mov_b32 s0, 0x19f4ec90
	s_mov_b32 s1, 0x3efa01a0
	v_fma_f64 v[18:19], v[16:17], v[18:19], s[14:15]
	s_mov_b32 s14, 0x55555555
	v_fma_f64 v[24:25], v[20:21], v[24:25], s[8:9]
	v_fma_f64 v[26:27], v[22:23], v[26:27], s[8:9]
	s_mov_b32 s8, 0x16c16967
	s_mov_b32 s9, 0xbf56c16c
	v_fma_f64 v[30:31], v[20:21], v[30:31], s[0:1]
	v_fma_f64 v[34:35], v[22:23], v[34:35], s[0:1]
	s_mov_b32 s0, 11
	s_mov_b32 s1, 0x3fe00000
	v_fma_f64 v[18:19], v[16:17], v[18:19], s[12:13]
	v_fma_f64 v[24:25], v[20:21], v[24:25], s[10:11]
	;; [unrolled: 1-line block ×6, first 2 shown]
	v_cmp_class_f64_e64 s1, v[2:3], 0x1f8
	v_lshlrev_b32_e32 v2, 30, v13
	v_fma_f64 v[24:25], v[50:51], v[24:25], v[48:49]
	v_fma_f64 v[26:27], v[64:65], v[26:27], v[54:55]
	v_mul_f64 v[48:49], v[20:21], v[20:21]
	s_delay_alu instid0(VALU_DEP_4)
	v_xor_b32_e32 v2, v2, v3
	v_fma_f64 v[30:31], v[20:21], v[30:31], s[14:15]
	v_fma_f64 v[18:19], v[16:17], v[18:19], 1.0
	v_fma_f64 v[6:7], v[20:21], v[24:25], -v[6:7]
	v_mul_f64 v[20:21], v[22:23], v[22:23]
	v_fma_f64 v[24:25], v[8:9], -v[10:11], v[32:33]
	v_fma_f64 v[32:33], v[22:23], v[34:35], s[14:15]
	v_fma_f64 v[10:11], v[22:23], v[26:27], -v[10:11]
	v_cvt_i32_f64_e32 v22, v[14:15]
	s_mov_b32 s15, 0xbfc55555
	v_fma_f64 v[14:15], v[16:17], v[18:19], 1.0
	v_fma_f64 v[16:17], v[48:49], v[30:31], v[28:29]
	v_fma_f64 v[6:7], v[50:51], s[14:15], v[6:7]
	;; [unrolled: 1-line block ×4, first 2 shown]
	v_ldexp_f64 v[14:15], v[14:15], v22
	v_add_f64 v[16:17], v[36:37], v[16:17]
	v_add_f64 v[4:5], v[4:5], -v[6:7]
	v_add_f64 v[6:7], v[38:39], v[18:19]
	v_add_f64 v[8:9], v[8:9], -v[10:11]
	v_mul_f64 v[10:11], v[14:15], 0.5
	v_and_b32_e32 v18, 1, v12
	v_xor_b32_e32 v5, 0x80000000, v5
	s_delay_alu instid0(VALU_DEP_2) | instskip(NEXT) | instid1(VALU_DEP_1)
	v_cmp_eq_u32_e64 s0, 0, v18
	v_cndmask_b32_e64 v0, v4, v16, s0
	v_lshlrev_b32_e32 v4, 30, v12
	v_and_b32_e32 v12, 1, v13
	s_delay_alu instid0(VALU_DEP_2) | instskip(NEXT) | instid1(VALU_DEP_2)
	v_and_b32_e32 v3, 0x80000000, v4
	v_cmp_eq_u32_e64 s2, 0, v12
	v_cndmask_b32_e64 v4, v5, v17, s0
	v_and_b32_e32 v12, 0x80000000, v2
	v_cndmask_b32_e64 v2, 0, v0, s1
	s_delay_alu instid0(VALU_DEP_4) | instskip(SKIP_2) | instid1(VALU_DEP_3)
	v_cndmask_b32_e64 v7, v7, v9, s2
	v_cndmask_b32_e64 v6, v6, v8, s2
	v_xor_b32_e32 v3, v4, v3
	v_xor_b32_e32 v8, v7, v12
	s_delay_alu instid0(VALU_DEP_3) | instskip(NEXT) | instid1(VALU_DEP_3)
	v_cndmask_b32_e64 v0, 0, v6, s1
	v_cndmask_b32_e64 v3, 0x7ff80000, v3, s1
	v_cndmask_b32_e32 v4, 0, v10, vcc_lo
	s_delay_alu instid0(VALU_DEP_1) | instskip(NEXT) | instid1(VALU_DEP_1)
	v_dual_cndmask_b32 v5, 0x7ff00000, v11 :: v_dual_mov_b32 v6, v4
	v_bfi_b32 v7, 0x7fffffff, v5, v1
	v_cndmask_b32_e64 v1, 0x7ff80000, v8, s1
	s_delay_alu instid0(VALU_DEP_2) | instskip(NEXT) | instid1(VALU_DEP_2)
	v_mul_f64 v[6:7], v[6:7], v[2:3]
	v_mul_f64 v[4:5], v[4:5], v[0:1]
.LBB106_67:
	s_or_b32 exec_lo, exec_lo, s6
                                        ; implicit-def: $vgpr0_vgpr1
                                        ; implicit-def: $vgpr2_vgpr3
.LBB106_68:
	s_and_not1_saveexec_b32 s6, s3
	s_cbranch_execz .LBB106_78
; %bb.69:
	v_cmp_ngt_f64_e64 s1, 0x41d00000, |v[2:3]|
	v_trig_preop_f64 v[16:17], |v[2:3]|, 0
	v_trig_preop_f64 v[14:15], |v[2:3]|, 1
	v_ldexp_f64 v[18:19], |v[2:3]|, 0xffffff80
	v_trig_preop_f64 v[12:13], |v[2:3]|, 2
	v_and_b32_e32 v22, 0x7fffffff, v3
                                        ; implicit-def: $vgpr20
                                        ; implicit-def: $vgpr4_vgpr5
                                        ; implicit-def: $vgpr6_vgpr7
	s_and_saveexec_b32 s0, s1
	s_delay_alu instid0(SALU_CYCLE_1)
	s_xor_b32 s2, exec_lo, s0
	s_cbranch_execz .LBB106_71
; %bb.70:
	v_cmp_le_f64_e64 vcc_lo, 0x7b000000, |v[2:3]|
	v_mov_b32_e32 v33, 0
	s_mov_b32 s8, 0x54442d18
	s_mov_b32 s9, 0x3ff921fb
	;; [unrolled: 1-line block ×4, first 2 shown]
	v_cndmask_b32_e32 v5, v22, v19, vcc_lo
	v_cndmask_b32_e32 v4, v2, v18, vcc_lo
	s_delay_alu instid0(VALU_DEP_1) | instskip(SKIP_1) | instid1(VALU_DEP_2)
	v_mul_f64 v[6:7], v[16:17], v[4:5]
	v_mul_f64 v[8:9], v[14:15], v[4:5]
	v_fma_f64 v[10:11], v[16:17], v[4:5], -v[6:7]
	s_delay_alu instid0(VALU_DEP_2) | instskip(NEXT) | instid1(VALU_DEP_2)
	v_fma_f64 v[31:32], v[14:15], v[4:5], -v[8:9]
	v_add_f64 v[20:21], v[8:9], v[10:11]
	s_delay_alu instid0(VALU_DEP_1) | instskip(SKIP_1) | instid1(VALU_DEP_2)
	v_add_f64 v[23:24], v[20:21], -v[8:9]
	v_add_f64 v[27:28], v[6:7], v[20:21]
	v_add_f64 v[25:26], v[20:21], -v[23:24]
	v_add_f64 v[10:11], v[10:11], -v[23:24]
	s_delay_alu instid0(VALU_DEP_3) | instskip(SKIP_1) | instid1(VALU_DEP_4)
	v_ldexp_f64 v[23:24], v[27:28], -2
	v_add_f64 v[6:7], v[27:28], -v[6:7]
	v_add_f64 v[8:9], v[8:9], -v[25:26]
	s_delay_alu instid0(VALU_DEP_3) | instskip(NEXT) | instid1(VALU_DEP_3)
	v_cmp_neq_f64_e64 vcc_lo, 0x7ff00000, |v[23:24]|
	v_add_f64 v[6:7], v[20:21], -v[6:7]
	s_delay_alu instid0(VALU_DEP_3) | instskip(SKIP_1) | instid1(VALU_DEP_1)
	v_add_f64 v[8:9], v[10:11], v[8:9]
	v_fract_f64_e32 v[10:11], v[23:24]
	v_dual_cndmask_b32 v11, 0, v11 :: v_dual_cndmask_b32 v10, 0, v10
	v_mul_f64 v[29:30], v[12:13], v[4:5]
	s_delay_alu instid0(VALU_DEP_2) | instskip(NEXT) | instid1(VALU_DEP_2)
	v_ldexp_f64 v[10:11], v[10:11], 2
	v_add_f64 v[25:26], v[29:30], v[31:32]
	v_fma_f64 v[4:5], v[12:13], v[4:5], -v[29:30]
	s_delay_alu instid0(VALU_DEP_2) | instskip(NEXT) | instid1(VALU_DEP_1)
	v_add_f64 v[20:21], v[25:26], v[8:9]
	v_add_f64 v[23:24], v[6:7], v[20:21]
	s_delay_alu instid0(VALU_DEP_1) | instskip(SKIP_1) | instid1(VALU_DEP_2)
	v_add_f64 v[27:28], v[23:24], v[10:11]
	v_add_f64 v[6:7], v[23:24], -v[6:7]
	v_cmp_gt_f64_e32 vcc_lo, 0, v[27:28]
	v_add_f64 v[27:28], v[25:26], -v[29:30]
	s_delay_alu instid0(VALU_DEP_3) | instskip(SKIP_1) | instid1(VALU_DEP_3)
	v_add_f64 v[6:7], v[20:21], -v[6:7]
	v_cndmask_b32_e64 v34, 0, 0x40100000, vcc_lo
	v_add_f64 v[38:39], v[25:26], -v[27:28]
	v_add_f64 v[27:28], v[31:32], -v[27:28]
	s_delay_alu instid0(VALU_DEP_3) | instskip(SKIP_1) | instid1(VALU_DEP_4)
	v_add_f64 v[10:11], v[10:11], v[33:34]
	v_add_f64 v[34:35], v[20:21], -v[25:26]
	v_add_f64 v[31:32], v[29:30], -v[38:39]
	s_delay_alu instid0(VALU_DEP_3) | instskip(NEXT) | instid1(VALU_DEP_3)
	v_add_f64 v[36:37], v[23:24], v[10:11]
	v_add_f64 v[48:49], v[20:21], -v[34:35]
	v_add_f64 v[8:9], v[8:9], -v[34:35]
	s_delay_alu instid0(VALU_DEP_4) | instskip(NEXT) | instid1(VALU_DEP_4)
	v_add_f64 v[27:28], v[27:28], v[31:32]
	v_cvt_i32_f64_e32 v36, v[36:37]
	s_delay_alu instid0(VALU_DEP_4) | instskip(NEXT) | instid1(VALU_DEP_2)
	v_add_f64 v[25:26], v[25:26], -v[48:49]
	v_cvt_f64_i32_e32 v[34:35], v36
	s_delay_alu instid0(VALU_DEP_2) | instskip(NEXT) | instid1(VALU_DEP_2)
	v_add_f64 v[8:9], v[8:9], v[25:26]
	v_add_f64 v[10:11], v[10:11], -v[34:35]
	s_delay_alu instid0(VALU_DEP_2) | instskip(NEXT) | instid1(VALU_DEP_2)
	v_add_f64 v[8:9], v[27:28], v[8:9]
	v_add_f64 v[25:26], v[23:24], v[10:11]
	s_delay_alu instid0(VALU_DEP_2) | instskip(NEXT) | instid1(VALU_DEP_2)
	v_add_f64 v[4:5], v[4:5], v[8:9]
	v_add_f64 v[8:9], v[25:26], -v[10:11]
	v_cmp_le_f64_e32 vcc_lo, 0.5, v[25:26]
	s_delay_alu instid0(VALU_DEP_3) | instskip(NEXT) | instid1(VALU_DEP_3)
	v_add_f64 v[4:5], v[6:7], v[4:5]
	v_add_f64 v[6:7], v[23:24], -v[8:9]
	v_cndmask_b32_e64 v34, 0, 0x3ff00000, vcc_lo
	v_add_co_ci_u32_e64 v20, s0, 0, v36, vcc_lo
	s_delay_alu instid0(VALU_DEP_3) | instskip(NEXT) | instid1(VALU_DEP_3)
	v_add_f64 v[4:5], v[4:5], v[6:7]
	v_add_f64 v[6:7], v[25:26], -v[33:34]
	s_delay_alu instid0(VALU_DEP_1) | instskip(NEXT) | instid1(VALU_DEP_1)
	v_add_f64 v[8:9], v[6:7], v[4:5]
	v_mul_f64 v[10:11], v[8:9], s[8:9]
	v_add_f64 v[6:7], v[8:9], -v[6:7]
	s_delay_alu instid0(VALU_DEP_2) | instskip(NEXT) | instid1(VALU_DEP_2)
	v_fma_f64 v[23:24], v[8:9], s[8:9], -v[10:11]
	v_add_f64 v[4:5], v[4:5], -v[6:7]
	s_delay_alu instid0(VALU_DEP_2) | instskip(NEXT) | instid1(VALU_DEP_1)
	v_fma_f64 v[6:7], v[8:9], s[10:11], v[23:24]
	v_fma_f64 v[6:7], v[4:5], s[8:9], v[6:7]
	s_delay_alu instid0(VALU_DEP_1) | instskip(NEXT) | instid1(VALU_DEP_1)
	v_add_f64 v[4:5], v[10:11], v[6:7]
	v_add_f64 v[8:9], v[4:5], -v[10:11]
	s_delay_alu instid0(VALU_DEP_1)
	v_add_f64 v[6:7], v[6:7], -v[8:9]
	s_and_not1_saveexec_b32 s0, s2
	s_cbranch_execz .LBB106_73
	s_branch .LBB106_72
.LBB106_71:
	s_and_not1_saveexec_b32 s0, s2
	s_cbranch_execz .LBB106_73
.LBB106_72:
	s_mov_b32 s2, 0x6dc9c883
	s_mov_b32 s3, 0x3fe45f30
	;; [unrolled: 1-line block ×3, first 2 shown]
	v_mul_f64 v[4:5], |v[2:3]|, s[2:3]
	s_mov_b32 s2, 0x54442d18
	s_mov_b32 s3, 0xbff921fb
	;; [unrolled: 1-line block ×3, first 2 shown]
	s_delay_alu instid0(VALU_DEP_1) | instskip(NEXT) | instid1(VALU_DEP_1)
	v_rndne_f64_e32 v[8:9], v[4:5]
	v_fma_f64 v[4:5], v[8:9], s[2:3], |v[2:3]|
	v_mul_f64 v[6:7], v[8:9], s[8:9]
	s_mov_b32 s2, 0x252049c0
	s_mov_b32 s3, 0xb97b839a
	s_delay_alu instid0(VALU_DEP_2) | instskip(NEXT) | instid1(VALU_DEP_2)
	v_fma_f64 v[20:21], v[8:9], s[8:9], v[4:5]
	v_add_f64 v[10:11], v[4:5], v[6:7]
	s_mov_b32 s9, 0x3c91a626
	s_delay_alu instid0(VALU_DEP_1) | instskip(NEXT) | instid1(VALU_DEP_3)
	v_add_f64 v[4:5], v[4:5], -v[10:11]
	v_add_f64 v[10:11], v[10:11], -v[20:21]
	s_delay_alu instid0(VALU_DEP_2) | instskip(SKIP_1) | instid1(VALU_DEP_2)
	v_add_f64 v[4:5], v[4:5], v[6:7]
	v_fma_f64 v[6:7], v[8:9], s[8:9], v[6:7]
	v_add_f64 v[4:5], v[10:11], v[4:5]
	s_delay_alu instid0(VALU_DEP_1) | instskip(NEXT) | instid1(VALU_DEP_1)
	v_add_f64 v[4:5], v[4:5], -v[6:7]
	v_fma_f64 v[6:7], v[8:9], s[2:3], v[4:5]
	s_delay_alu instid0(VALU_DEP_1) | instskip(NEXT) | instid1(VALU_DEP_1)
	v_add_f64 v[4:5], v[20:21], v[6:7]
	v_add_f64 v[10:11], v[4:5], -v[20:21]
	v_cvt_i32_f64_e32 v20, v[8:9]
	s_delay_alu instid0(VALU_DEP_2)
	v_add_f64 v[6:7], v[6:7], -v[10:11]
.LBB106_73:
	s_or_b32 exec_lo, exec_lo, s0
                                        ; implicit-def: $vgpr21
                                        ; implicit-def: $vgpr8_vgpr9
                                        ; implicit-def: $vgpr10_vgpr11
	s_and_saveexec_b32 s0, s1
	s_delay_alu instid0(SALU_CYCLE_1)
	s_xor_b32 s1, exec_lo, s0
	s_cbranch_execz .LBB106_75
; %bb.74:
	v_cmp_le_f64_e64 vcc_lo, 0x7b000000, |v[2:3]|
	v_mov_b32_e32 v31, 0
	s_mov_b32 s2, 0x54442d18
	s_mov_b32 s3, 0x3ff921fb
	;; [unrolled: 1-line block ×4, first 2 shown]
	v_cndmask_b32_e32 v9, v22, v19, vcc_lo
	v_cndmask_b32_e32 v8, v2, v18, vcc_lo
	s_delay_alu instid0(VALU_DEP_1) | instskip(SKIP_1) | instid1(VALU_DEP_2)
	v_mul_f64 v[10:11], v[16:17], v[8:9]
	v_mul_f64 v[18:19], v[14:15], v[8:9]
	v_fma_f64 v[16:17], v[16:17], v[8:9], -v[10:11]
	s_delay_alu instid0(VALU_DEP_2) | instskip(NEXT) | instid1(VALU_DEP_2)
	v_fma_f64 v[14:15], v[14:15], v[8:9], -v[18:19]
	v_add_f64 v[21:22], v[18:19], v[16:17]
	s_delay_alu instid0(VALU_DEP_1) | instskip(SKIP_1) | instid1(VALU_DEP_2)
	v_add_f64 v[23:24], v[21:22], -v[18:19]
	v_add_f64 v[27:28], v[10:11], v[21:22]
	v_add_f64 v[25:26], v[21:22], -v[23:24]
	v_add_f64 v[16:17], v[16:17], -v[23:24]
	s_delay_alu instid0(VALU_DEP_3) | instskip(SKIP_1) | instid1(VALU_DEP_4)
	v_ldexp_f64 v[23:24], v[27:28], -2
	v_add_f64 v[10:11], v[27:28], -v[10:11]
	v_add_f64 v[18:19], v[18:19], -v[25:26]
	s_delay_alu instid0(VALU_DEP_3) | instskip(NEXT) | instid1(VALU_DEP_3)
	v_cmp_neq_f64_e64 vcc_lo, 0x7ff00000, |v[23:24]|
	v_add_f64 v[10:11], v[21:22], -v[10:11]
	s_delay_alu instid0(VALU_DEP_3) | instskip(SKIP_1) | instid1(VALU_DEP_1)
	v_add_f64 v[16:17], v[16:17], v[18:19]
	v_fract_f64_e32 v[18:19], v[23:24]
	v_dual_cndmask_b32 v19, 0, v19 :: v_dual_cndmask_b32 v18, 0, v18
	v_mul_f64 v[29:30], v[12:13], v[8:9]
	s_delay_alu instid0(VALU_DEP_2) | instskip(NEXT) | instid1(VALU_DEP_2)
	v_ldexp_f64 v[18:19], v[18:19], 2
	v_add_f64 v[25:26], v[29:30], v[14:15]
	v_fma_f64 v[8:9], v[12:13], v[8:9], -v[29:30]
	s_delay_alu instid0(VALU_DEP_2) | instskip(NEXT) | instid1(VALU_DEP_1)
	v_add_f64 v[21:22], v[25:26], v[16:17]
	v_add_f64 v[23:24], v[10:11], v[21:22]
	s_delay_alu instid0(VALU_DEP_1) | instskip(SKIP_1) | instid1(VALU_DEP_2)
	v_add_f64 v[27:28], v[23:24], v[18:19]
	v_add_f64 v[10:11], v[23:24], -v[10:11]
	v_cmp_gt_f64_e32 vcc_lo, 0, v[27:28]
	v_add_f64 v[27:28], v[25:26], -v[29:30]
	s_delay_alu instid0(VALU_DEP_3) | instskip(SKIP_1) | instid1(VALU_DEP_3)
	v_add_f64 v[10:11], v[21:22], -v[10:11]
	v_cndmask_b32_e64 v32, 0, 0x40100000, vcc_lo
	v_add_f64 v[36:37], v[25:26], -v[27:28]
	v_add_f64 v[14:15], v[14:15], -v[27:28]
	s_delay_alu instid0(VALU_DEP_3) | instskip(SKIP_1) | instid1(VALU_DEP_4)
	v_add_f64 v[18:19], v[18:19], v[31:32]
	v_add_f64 v[32:33], v[21:22], -v[25:26]
	v_add_f64 v[27:28], v[29:30], -v[36:37]
	s_delay_alu instid0(VALU_DEP_3) | instskip(NEXT) | instid1(VALU_DEP_3)
	v_add_f64 v[34:35], v[23:24], v[18:19]
	v_add_f64 v[38:39], v[21:22], -v[32:33]
	v_add_f64 v[16:17], v[16:17], -v[32:33]
	s_delay_alu instid0(VALU_DEP_4) | instskip(NEXT) | instid1(VALU_DEP_4)
	v_add_f64 v[14:15], v[14:15], v[27:28]
	v_cvt_i32_f64_e32 v34, v[34:35]
	s_delay_alu instid0(VALU_DEP_4) | instskip(NEXT) | instid1(VALU_DEP_2)
	v_add_f64 v[25:26], v[25:26], -v[38:39]
	v_cvt_f64_i32_e32 v[32:33], v34
	s_delay_alu instid0(VALU_DEP_2) | instskip(NEXT) | instid1(VALU_DEP_2)
	v_add_f64 v[16:17], v[16:17], v[25:26]
	v_add_f64 v[18:19], v[18:19], -v[32:33]
	s_delay_alu instid0(VALU_DEP_2) | instskip(NEXT) | instid1(VALU_DEP_2)
	v_add_f64 v[12:13], v[14:15], v[16:17]
	v_add_f64 v[14:15], v[23:24], v[18:19]
	s_delay_alu instid0(VALU_DEP_2) | instskip(NEXT) | instid1(VALU_DEP_2)
	v_add_f64 v[8:9], v[8:9], v[12:13]
	v_add_f64 v[12:13], v[14:15], -v[18:19]
	v_cmp_le_f64_e32 vcc_lo, 0.5, v[14:15]
	s_delay_alu instid0(VALU_DEP_3) | instskip(NEXT) | instid1(VALU_DEP_3)
	v_add_f64 v[8:9], v[10:11], v[8:9]
	v_add_f64 v[10:11], v[23:24], -v[12:13]
	v_cndmask_b32_e64 v32, 0, 0x3ff00000, vcc_lo
	v_add_co_ci_u32_e64 v21, s0, 0, v34, vcc_lo
	s_delay_alu instid0(VALU_DEP_3) | instskip(NEXT) | instid1(VALU_DEP_3)
	v_add_f64 v[8:9], v[8:9], v[10:11]
	v_add_f64 v[10:11], v[14:15], -v[31:32]
	s_delay_alu instid0(VALU_DEP_1) | instskip(NEXT) | instid1(VALU_DEP_1)
	v_add_f64 v[12:13], v[10:11], v[8:9]
	v_mul_f64 v[14:15], v[12:13], s[2:3]
	v_add_f64 v[10:11], v[12:13], -v[10:11]
	s_delay_alu instid0(VALU_DEP_2) | instskip(NEXT) | instid1(VALU_DEP_2)
	v_fma_f64 v[16:17], v[12:13], s[2:3], -v[14:15]
	v_add_f64 v[8:9], v[8:9], -v[10:11]
	s_delay_alu instid0(VALU_DEP_2) | instskip(NEXT) | instid1(VALU_DEP_1)
	v_fma_f64 v[10:11], v[12:13], s[8:9], v[16:17]
	v_fma_f64 v[10:11], v[8:9], s[2:3], v[10:11]
	s_delay_alu instid0(VALU_DEP_1) | instskip(NEXT) | instid1(VALU_DEP_1)
	v_add_f64 v[8:9], v[14:15], v[10:11]
	v_add_f64 v[12:13], v[8:9], -v[14:15]
	s_delay_alu instid0(VALU_DEP_1)
	v_add_f64 v[10:11], v[10:11], -v[12:13]
	s_and_not1_saveexec_b32 s0, s1
	s_cbranch_execnz .LBB106_76
	s_branch .LBB106_77
.LBB106_75:
	s_and_not1_saveexec_b32 s0, s1
	s_cbranch_execz .LBB106_77
.LBB106_76:
	s_mov_b32 s2, 0x6dc9c883
	s_mov_b32 s3, 0x3fe45f30
	;; [unrolled: 1-line block ×3, first 2 shown]
	v_mul_f64 v[8:9], |v[2:3]|, s[2:3]
	s_mov_b32 s2, 0x54442d18
	s_mov_b32 s3, 0xbff921fb
	;; [unrolled: 1-line block ×3, first 2 shown]
	s_delay_alu instid0(VALU_DEP_1) | instskip(NEXT) | instid1(VALU_DEP_1)
	v_rndne_f64_e32 v[12:13], v[8:9]
	v_fma_f64 v[8:9], v[12:13], s[2:3], |v[2:3]|
	v_mul_f64 v[10:11], v[12:13], s[8:9]
	s_mov_b32 s2, 0x252049c0
	s_mov_b32 s3, 0xb97b839a
	v_cvt_i32_f64_e32 v21, v[12:13]
	s_delay_alu instid0(VALU_DEP_3) | instskip(NEXT) | instid1(VALU_DEP_3)
	v_fma_f64 v[16:17], v[12:13], s[8:9], v[8:9]
	v_add_f64 v[14:15], v[8:9], v[10:11]
	s_mov_b32 s9, 0x3c91a626
	s_delay_alu instid0(VALU_DEP_1) | instskip(NEXT) | instid1(VALU_DEP_3)
	v_add_f64 v[8:9], v[8:9], -v[14:15]
	v_add_f64 v[14:15], v[14:15], -v[16:17]
	s_delay_alu instid0(VALU_DEP_2) | instskip(SKIP_1) | instid1(VALU_DEP_2)
	v_add_f64 v[8:9], v[8:9], v[10:11]
	v_fma_f64 v[10:11], v[12:13], s[8:9], v[10:11]
	v_add_f64 v[8:9], v[14:15], v[8:9]
	s_delay_alu instid0(VALU_DEP_1) | instskip(NEXT) | instid1(VALU_DEP_1)
	v_add_f64 v[8:9], v[8:9], -v[10:11]
	v_fma_f64 v[10:11], v[12:13], s[2:3], v[8:9]
	s_delay_alu instid0(VALU_DEP_1) | instskip(NEXT) | instid1(VALU_DEP_1)
	v_add_f64 v[8:9], v[16:17], v[10:11]
	v_add_f64 v[14:15], v[8:9], -v[16:17]
	s_delay_alu instid0(VALU_DEP_1)
	v_add_f64 v[10:11], v[10:11], -v[14:15]
.LBB106_77:
	s_or_b32 exec_lo, exec_lo, s0
	s_mov_b32 s1, 0xbfe62e42
	s_mov_b32 s0, 0xfefa39ef
	;; [unrolled: 1-line block ×3, first 2 shown]
	v_add_f64 v[12:13], |v[0:1]|, s[0:1]
	s_mov_b32 s2, s0
	s_mov_b32 s0, 0xfefa3000
	;; [unrolled: 1-line block ×10, first 2 shown]
	s_delay_alu instid0(VALU_DEP_2) | instskip(NEXT) | instid1(VALU_DEP_3)
	v_mul_f64 v[54:55], v[6:7], 0.5
	v_mul_f64 v[70:71], v[10:11], 0.5
	s_delay_alu instid0(VALU_DEP_3) | instskip(NEXT) | instid1(VALU_DEP_1)
	v_add_f64 v[14:15], v[12:13], -|v[0:1]|
	v_add_f64 v[16:17], v[14:15], -v[12:13]
	v_add_f64 v[14:15], v[14:15], s[2:3]
	s_mov_b32 s2, 0x3b39803f
	s_mov_b32 s3, 0xbc7abc9e
	s_delay_alu instid0(VALU_DEP_2) | instskip(NEXT) | instid1(VALU_DEP_1)
	v_add_f64 v[16:17], |v[0:1]|, v[16:17]
	v_add_f64 v[14:15], v[16:17], -v[14:15]
	s_delay_alu instid0(VALU_DEP_1) | instskip(SKIP_2) | instid1(VALU_DEP_1)
	v_add_f64 v[14:15], v[14:15], s[2:3]
	s_mov_b32 s2, 0x652b82fe
	s_mov_b32 s3, 0x3ff71547
	v_add_f64 v[16:17], v[12:13], v[14:15]
	s_delay_alu instid0(VALU_DEP_1) | instskip(SKIP_3) | instid1(VALU_DEP_2)
	v_mul_f64 v[18:19], v[16:17], s[2:3]
	v_add_f64 v[12:13], v[12:13], -v[16:17]
	s_mov_b32 s2, 0x6a5dcb37
	s_mov_b32 s3, 0x3e5ade15
	v_rndne_f64_e32 v[18:19], v[18:19]
	s_delay_alu instid0(VALU_DEP_2) | instskip(NEXT) | instid1(VALU_DEP_2)
	v_add_f64 v[12:13], v[14:15], v[12:13]
	v_fma_f64 v[14:15], v[18:19], s[0:1], v[16:17]
	s_mov_b32 s0, 0xf278e000
	s_mov_b32 s1, 0xbd53de6a
	s_delay_alu instid0(SALU_CYCLE_1) | instskip(SKIP_2) | instid1(VALU_DEP_2)
	v_mul_f64 v[16:17], v[18:19], s[0:1]
	s_mov_b32 s0, 0xf97b57a0
	s_mov_b32 s1, 0xbac9cc01
	v_add_f64 v[22:23], v[12:13], v[14:15]
	s_delay_alu instid0(VALU_DEP_1) | instskip(SKIP_1) | instid1(VALU_DEP_2)
	v_add_f64 v[24:25], v[22:23], v[16:17]
	v_add_f64 v[14:15], v[14:15], -v[22:23]
	v_add_f64 v[22:23], v[22:23], -v[24:25]
	s_delay_alu instid0(VALU_DEP_2) | instskip(NEXT) | instid1(VALU_DEP_2)
	v_add_f64 v[12:13], v[12:13], v[14:15]
	v_add_f64 v[14:15], v[22:23], v[16:17]
	s_delay_alu instid0(VALU_DEP_1) | instskip(SKIP_3) | instid1(VALU_DEP_2)
	v_add_f64 v[12:13], v[12:13], v[14:15]
	v_mul_f64 v[14:15], v[18:19], s[0:1]
	s_mov_b32 s0, 0xfca7ab0c
	s_mov_b32 s1, 0x3e928af3
	v_add_f64 v[16:17], v[24:25], v[12:13]
	s_delay_alu instid0(VALU_DEP_1) | instskip(SKIP_1) | instid1(VALU_DEP_2)
	v_add_f64 v[22:23], v[16:17], v[14:15]
	v_add_f64 v[24:25], v[24:25], -v[16:17]
	v_add_f64 v[16:17], v[16:17], -v[22:23]
	s_delay_alu instid0(VALU_DEP_2) | instskip(NEXT) | instid1(VALU_DEP_2)
	v_add_f64 v[12:13], v[12:13], v[24:25]
	v_add_f64 v[14:15], v[16:17], v[14:15]
	s_delay_alu instid0(VALU_DEP_1) | instskip(NEXT) | instid1(VALU_DEP_1)
	v_add_f64 v[12:13], v[12:13], v[14:15]
	v_add_f64 v[14:15], v[22:23], v[12:13]
	s_delay_alu instid0(VALU_DEP_1)
	v_fma_f64 v[16:17], v[14:15], s[2:3], s[0:1]
	s_mov_b32 s0, 0x623fde64
	s_mov_b32 s1, 0x3ec71dee
	v_add_f64 v[22:23], v[22:23], -v[14:15]
	v_mul_f64 v[24:25], v[14:15], v[14:15]
	s_mov_b32 s3, 0x3fa55555
	s_mov_b32 s2, 0x555502a1
	s_delay_alu instid0(VALU_DEP_3) | instskip(SKIP_2) | instid1(VALU_DEP_3)
	v_fma_f64 v[16:17], v[14:15], v[16:17], s[0:1]
	s_mov_b32 s0, 0x7c89e6b0
	s_mov_b32 s1, 0x3efa0199
	v_add_f64 v[12:13], v[12:13], v[22:23]
	s_delay_alu instid0(VALU_DEP_3) | instskip(NEXT) | instid1(VALU_DEP_3)
	v_fma_f64 v[22:23], v[14:15], v[14:15], -v[24:25]
	v_fma_f64 v[16:17], v[14:15], v[16:17], s[0:1]
	s_mov_b32 s0, 0x14761f6e
	s_mov_b32 s1, 0x3f2a01a0
	s_delay_alu instid0(VALU_DEP_3) | instskip(NEXT) | instid1(VALU_DEP_2)
	v_add_f64 v[26:27], v[12:13], v[12:13]
	v_fma_f64 v[16:17], v[14:15], v[16:17], s[0:1]
	s_mov_b32 s0, 0x1852b7b0
	s_mov_b32 s1, 0x3f56c16c
	s_delay_alu instid0(VALU_DEP_2) | instskip(NEXT) | instid1(VALU_DEP_2)
	v_fma_f64 v[22:23], v[14:15], v[26:27], v[22:23]
	v_fma_f64 v[16:17], v[14:15], v[16:17], s[0:1]
	s_mov_b32 s1, 0x3f811111
	s_mov_b32 s0, 0x11122322
	s_delay_alu instid0(VALU_DEP_2) | instskip(NEXT) | instid1(VALU_DEP_2)
	v_add_f64 v[26:27], v[24:25], v[22:23]
	v_fma_f64 v[16:17], v[14:15], v[16:17], s[0:1]
	s_mov_b32 s0, 0x11110bb3
	s_delay_alu instid0(VALU_DEP_2) | instskip(NEXT) | instid1(VALU_DEP_2)
	v_add_f64 v[24:25], v[26:27], -v[24:25]
	v_fma_f64 v[16:17], v[14:15], v[16:17], s[2:3]
	s_mov_b32 s2, 0x55555555
	s_delay_alu instid0(VALU_DEP_2) | instskip(NEXT) | instid1(VALU_DEP_2)
	v_add_f64 v[22:23], v[22:23], -v[24:25]
	v_fma_f64 v[16:17], v[14:15], v[16:17], s[8:9]
	s_mov_b32 s8, 11
	s_mov_b32 s9, 0x3fe00000
	s_delay_alu instid0(VALU_DEP_1) | instid1(SALU_CYCLE_1)
	v_fma_f64 v[16:17], v[14:15], v[16:17], s[8:9]
	s_mov_b32 s8, 0xb42fdfa7
	s_mov_b32 s9, 0xbe5ae600
	s_delay_alu instid0(VALU_DEP_1) | instskip(NEXT) | instid1(VALU_DEP_1)
	v_mul_f64 v[28:29], v[26:27], v[16:17]
	v_fma_f64 v[24:25], v[26:27], v[16:17], -v[28:29]
	s_delay_alu instid0(VALU_DEP_1) | instskip(NEXT) | instid1(VALU_DEP_1)
	v_fma_f64 v[16:17], v[22:23], v[16:17], v[24:25]
	v_add_f64 v[22:23], v[28:29], v[16:17]
	s_delay_alu instid0(VALU_DEP_1) | instskip(SKIP_1) | instid1(VALU_DEP_2)
	v_add_f64 v[24:25], v[14:15], v[22:23]
	v_add_f64 v[26:27], v[22:23], -v[28:29]
	v_add_f64 v[14:15], v[24:25], -v[14:15]
	s_delay_alu instid0(VALU_DEP_2) | instskip(SKIP_1) | instid1(VALU_DEP_3)
	v_add_f64 v[16:17], v[16:17], -v[26:27]
	v_cvt_i32_f64_e32 v26, v[18:19]
	v_add_f64 v[14:15], v[22:23], -v[14:15]
	s_delay_alu instid0(VALU_DEP_3) | instskip(NEXT) | instid1(VALU_DEP_1)
	v_add_f64 v[12:13], v[12:13], v[16:17]
	v_add_f64 v[12:13], v[12:13], v[14:15]
	s_delay_alu instid0(VALU_DEP_1) | instskip(NEXT) | instid1(VALU_DEP_1)
	v_add_f64 v[14:15], v[24:25], v[12:13]
	v_add_f64 v[16:17], v[14:15], 1.0
	v_add_f64 v[22:23], v[14:15], -v[24:25]
	s_delay_alu instid0(VALU_DEP_2) | instskip(NEXT) | instid1(VALU_DEP_2)
	v_add_f64 v[24:25], v[16:17], -1.0
	v_add_f64 v[12:13], v[12:13], -v[22:23]
	s_delay_alu instid0(VALU_DEP_2) | instskip(NEXT) | instid1(VALU_DEP_1)
	v_add_f64 v[14:15], v[14:15], -v[24:25]
	v_add_f64 v[12:13], v[12:13], v[14:15]
	s_delay_alu instid0(VALU_DEP_1) | instskip(NEXT) | instid1(VALU_DEP_1)
	v_add_f64 v[14:15], v[16:17], v[12:13]
	v_ldexp_f64 v[18:19], v[14:15], v26
	v_add_f64 v[14:15], v[14:15], -v[16:17]
	s_delay_alu instid0(VALU_DEP_2) | instskip(NEXT) | instid1(VALU_DEP_1)
	v_rcp_f64_e32 v[22:23], v[18:19]
	v_add_f64 v[12:13], v[12:13], -v[14:15]
	s_delay_alu instid0(VALU_DEP_1) | instskip(SKIP_2) | instid1(VALU_DEP_1)
	v_ldexp_f64 v[12:13], v[12:13], v26
	s_waitcnt_depctr 0xfff
	v_fma_f64 v[24:25], -v[18:19], v[22:23], 1.0
	v_fma_f64 v[22:23], v[24:25], v[22:23], v[22:23]
	s_delay_alu instid0(VALU_DEP_1) | instskip(NEXT) | instid1(VALU_DEP_1)
	v_fma_f64 v[24:25], -v[18:19], v[22:23], 1.0
	v_fma_f64 v[16:17], v[24:25], v[22:23], v[22:23]
	s_delay_alu instid0(VALU_DEP_1) | instskip(NEXT) | instid1(VALU_DEP_1)
	v_mul_f64 v[14:15], v[18:19], v[16:17]
	v_fma_f64 v[22:23], v[16:17], v[18:19], -v[14:15]
	s_delay_alu instid0(VALU_DEP_1) | instskip(NEXT) | instid1(VALU_DEP_1)
	v_fma_f64 v[22:23], v[16:17], v[12:13], v[22:23]
	v_add_f64 v[24:25], v[14:15], v[22:23]
	s_delay_alu instid0(VALU_DEP_1) | instskip(SKIP_1) | instid1(VALU_DEP_2)
	v_add_f64 v[26:27], -v[24:25], 1.0
	v_add_f64 v[14:15], v[24:25], -v[14:15]
	v_add_f64 v[28:29], -v[26:27], 1.0
	s_delay_alu instid0(VALU_DEP_2) | instskip(NEXT) | instid1(VALU_DEP_2)
	v_add_f64 v[14:15], v[14:15], -v[22:23]
	v_add_f64 v[22:23], v[28:29], -v[24:25]
	s_delay_alu instid0(VALU_DEP_1) | instskip(NEXT) | instid1(VALU_DEP_1)
	v_add_f64 v[14:15], v[14:15], v[22:23]
	v_add_f64 v[22:23], v[26:27], v[14:15]
	s_delay_alu instid0(VALU_DEP_1) | instskip(SKIP_1) | instid1(VALU_DEP_2)
	v_mul_f64 v[24:25], v[16:17], v[22:23]
	v_add_f64 v[26:27], v[26:27], -v[22:23]
	v_mul_f64 v[28:29], v[18:19], v[24:25]
	s_delay_alu instid0(VALU_DEP_2) | instskip(NEXT) | instid1(VALU_DEP_2)
	v_add_f64 v[14:15], v[14:15], v[26:27]
	v_fma_f64 v[30:31], v[24:25], v[18:19], -v[28:29]
	s_delay_alu instid0(VALU_DEP_1) | instskip(NEXT) | instid1(VALU_DEP_1)
	v_fma_f64 v[30:31], v[24:25], v[12:13], v[30:31]
	v_add_f64 v[32:33], v[28:29], v[30:31]
	s_delay_alu instid0(VALU_DEP_1) | instskip(SKIP_1) | instid1(VALU_DEP_2)
	v_add_f64 v[34:35], v[22:23], -v[32:33]
	v_add_f64 v[26:27], v[32:33], -v[28:29]
	;; [unrolled: 1-line block ×3, first 2 shown]
	s_delay_alu instid0(VALU_DEP_2) | instskip(NEXT) | instid1(VALU_DEP_2)
	v_add_f64 v[26:27], v[26:27], -v[30:31]
	v_add_f64 v[22:23], v[22:23], -v[32:33]
	s_delay_alu instid0(VALU_DEP_1) | instskip(SKIP_1) | instid1(VALU_DEP_2)
	v_add_f64 v[14:15], v[14:15], v[22:23]
	v_add_f64 v[22:23], v[16:17], v[24:25]
	;; [unrolled: 1-line block ×3, first 2 shown]
	s_delay_alu instid0(VALU_DEP_2) | instskip(NEXT) | instid1(VALU_DEP_2)
	v_add_f64 v[26:27], v[22:23], -v[16:17]
	v_add_f64 v[14:15], v[34:35], v[14:15]
	s_delay_alu instid0(VALU_DEP_2) | instskip(NEXT) | instid1(VALU_DEP_2)
	v_add_f64 v[24:25], v[24:25], -v[26:27]
	v_mul_f64 v[14:15], v[16:17], v[14:15]
	v_mul_f64 v[16:17], v[4:5], v[4:5]
	s_delay_alu instid0(VALU_DEP_2) | instskip(SKIP_1) | instid1(VALU_DEP_3)
	v_add_f64 v[14:15], v[24:25], v[14:15]
	v_mul_f64 v[24:25], v[8:9], v[8:9]
	v_fma_f64 v[26:27], v[16:17], s[10:11], s[8:9]
	v_mul_f64 v[32:33], v[16:17], 0.5
	v_fma_f64 v[34:35], v[16:17], s[14:15], s[12:13]
	v_mul_f64 v[66:67], v[4:5], -v[16:17]
	v_add_f64 v[28:29], v[22:23], v[14:15]
	v_fma_f64 v[30:31], v[24:25], s[10:11], s[8:9]
	s_mov_b32 s8, 0x796cde01
	s_mov_b32 s9, 0x3ec71de3
	v_mul_f64 v[38:39], v[24:25], 0.5
	v_fma_f64 v[26:27], v[16:17], v[26:27], s[8:9]
	v_fma_f64 v[48:49], v[24:25], s[14:15], s[12:13]
	s_mov_b32 s10, 0xa17f65f6
	s_mov_b32 s11, 0xbe927e4f
	v_add_f64 v[50:51], -v[32:33], 1.0
	v_fma_f64 v[34:35], v[16:17], v[34:35], s[10:11]
	s_mov_b32 s12, 0x19f4ec90
	s_mov_b32 s13, 0x3efa01a0
	v_mul_f64 v[80:81], v[8:9], -v[24:25]
	v_ldexp_f64 v[36:37], v[28:29], -2
	v_fma_f64 v[30:31], v[24:25], v[30:31], s[8:9]
	s_mov_b32 s8, 0x19e83e5c
	s_mov_b32 s9, 0xbf2a01a0
	v_add_f64 v[64:65], -v[38:39], 1.0
	v_fma_f64 v[26:27], v[16:17], v[26:27], s[8:9]
	v_fma_f64 v[48:49], v[24:25], v[48:49], s[10:11]
	v_add_f64 v[22:23], v[28:29], -v[22:23]
	v_add_f64 v[68:69], -v[50:51], 1.0
	v_fma_f64 v[34:35], v[16:17], v[34:35], s[12:13]
	v_add_f64 v[52:53], v[18:19], -v[36:37]
	v_fma_f64 v[30:31], v[24:25], v[30:31], s[8:9]
	v_add_f64 v[82:83], -v[64:65], 1.0
	v_fma_f64 v[26:27], v[16:17], v[26:27], s[0:1]
	v_fma_f64 v[48:49], v[24:25], v[48:49], s[12:13]
	v_add_f64 v[14:15], v[14:15], -v[22:23]
	v_add_f64 v[32:33], v[68:69], -v[32:33]
	;; [unrolled: 1-line block ×3, first 2 shown]
	v_fma_f64 v[30:31], v[24:25], v[30:31], s[0:1]
	s_mov_b32 s0, 0x16c16967
	s_mov_b32 s1, 0xbf56c16c
	v_add_f64 v[38:39], v[82:83], -v[38:39]
	v_fma_f64 v[34:35], v[16:17], v[34:35], s[0:1]
	v_fma_f64 v[26:27], v[66:67], v[26:27], v[54:55]
	;; [unrolled: 1-line block ×3, first 2 shown]
	v_mul_f64 v[54:55], v[16:17], v[16:17]
	v_fma_f64 v[32:33], v[4:5], -v[6:7], v[32:33]
	v_ldexp_f64 v[14:15], v[14:15], -2
	s_mov_b32 s0, 0x8fb9f87e
	s_mov_b32 s1, 0x408633ce
	v_add_f64 v[22:23], v[28:29], -v[36:37]
	v_add_f64 v[28:29], v[18:19], v[36:37]
	v_fma_f64 v[30:31], v[80:81], v[30:31], v[70:71]
	v_fma_f64 v[34:35], v[16:17], v[34:35], s[2:3]
	v_fma_f64 v[6:7], v[16:17], v[26:27], -v[6:7]
	v_fma_f64 v[26:27], v[8:9], -v[10:11], v[38:39]
	v_fma_f64 v[38:39], v[24:25], v[48:49], s[2:3]
	s_mov_b32 s3, 0xbfc55555
	v_add_f64 v[16:17], v[12:13], v[22:23]
	v_add_f64 v[18:19], v[28:29], -v[18:19]
	v_mul_f64 v[22:23], v[24:25], v[24:25]
	v_fma_f64 v[10:11], v[24:25], v[30:31], -v[10:11]
	v_add_f64 v[12:13], v[12:13], v[14:15]
	v_fma_f64 v[24:25], v[54:55], v[34:35], v[32:33]
	v_fma_f64 v[6:7], v[66:67], s[2:3], v[6:7]
	v_add_f64 v[16:17], v[16:17], -v[14:15]
	v_add_f64 v[18:19], v[36:37], -v[18:19]
	v_fma_f64 v[14:15], v[22:23], v[38:39], v[26:27]
	v_fma_f64 v[10:11], v[80:81], s[2:3], v[10:11]
	v_cmp_ge_f64_e64 s3, |v[0:1]|, s[0:1]
	v_add_f64 v[22:23], v[50:51], v[24:25]
	v_add_f64 v[4:5], v[4:5], -v[6:7]
	v_cmp_gt_f64_e64 s0, 0x3e400000, |v[0:1]|
	v_cmp_class_f64_e64 s1, v[2:3], 0x1f8
	v_lshlrev_b32_e32 v2, 30, v21
	s_delay_alu instid0(VALU_DEP_1)
	v_xor_b32_e32 v2, v2, v3
	v_add_f64 v[6:7], v[52:53], v[16:17]
	v_add_f64 v[12:13], v[12:13], v[18:19]
	;; [unrolled: 1-line block ×3, first 2 shown]
	v_add_f64 v[8:9], v[8:9], -v[10:11]
	v_and_b32_e32 v16, 1, v20
	v_xor_b32_e32 v3, 0x80000000, v5
	s_delay_alu instid0(VALU_DEP_2)
	v_cmp_eq_u32_e32 vcc_lo, 0, v16
	v_cndmask_b32_e32 v4, v4, v22, vcc_lo
	v_cndmask_b32_e64 v10, v7, 0x7ff00000, s3
	v_cndmask_b32_e64 v11, v6, 0, s3
	v_add_f64 v[6:7], v[28:29], v[12:13]
	v_lshlrev_b32_e32 v13, 30, v20
	v_and_b32_e32 v12, 1, v21
	s_delay_alu instid0(VALU_DEP_4) | instskip(NEXT) | instid1(VALU_DEP_3)
	v_cndmask_b32_e64 v0, v11, v0, s0
	v_and_b32_e32 v5, 0x80000000, v13
	s_delay_alu instid0(VALU_DEP_3) | instskip(SKIP_2) | instid1(VALU_DEP_3)
	v_cmp_eq_u32_e64 s2, 0, v12
	v_and_b32_e32 v12, 0x80000000, v2
	v_cndmask_b32_e32 v2, v3, v23, vcc_lo
	v_cndmask_b32_e64 v3, v15, v9, s2
	v_and_b32_e32 v9, 0x7fffffff, v1
	v_cndmask_b32_e64 v8, v14, v8, s2
	s_delay_alu instid0(VALU_DEP_4)
	v_xor_b32_e32 v5, v2, v5
	v_cndmask_b32_e64 v2, 0, v4, s1
	v_xor_b32_e32 v12, v3, v12
	v_cndmask_b32_e64 v10, v10, v9, s0
	v_cndmask_b32_e64 v4, 0, v8, s1
	;; [unrolled: 1-line block ×3, first 2 shown]
	s_delay_alu instid0(VALU_DEP_4) | instskip(NEXT) | instid1(VALU_DEP_4)
	v_cndmask_b32_e64 v5, 0x7ff80000, v12, s1
	v_bfi_b32 v1, 0x7fffffff, v10, v1
	v_cndmask_b32_e64 v9, v7, 0x7ff00000, s3
	v_cndmask_b32_e64 v8, v6, 0, s3
	s_delay_alu instid0(VALU_DEP_3) | instskip(NEXT) | instid1(VALU_DEP_2)
	v_mul_f64 v[6:7], v[0:1], v[2:3]
	v_mul_f64 v[4:5], v[8:9], v[4:5]
.LBB106_78:
	s_or_b32 exec_lo, exec_lo, s6
                                        ; implicit-def: $vgpr0_vgpr1
                                        ; implicit-def: $vgpr2_vgpr3
.LBB106_79:
	s_and_not1_saveexec_b32 s0, s5
	s_cbranch_execz .LBB106_81
; %bb.80:
	s_mov_b32 s3, 0xbfe62e42
	s_mov_b32 s2, 0xfefa39ef
	;; [unrolled: 1-line block ×3, first 2 shown]
	s_delay_alu instid0(VALU_DEP_4) | instskip(SKIP_2) | instid1(VALU_DEP_1)
	v_add_f64 v[4:5], |v[0:1]|, s[2:3]
	s_mov_b32 s6, s2
	s_mov_b32 s2, 0xfefa3000
	v_add_f64 v[6:7], v[4:5], -|v[0:1]|
	s_delay_alu instid0(VALU_DEP_1) | instskip(SKIP_3) | instid1(VALU_DEP_2)
	v_add_f64 v[8:9], v[6:7], -v[4:5]
	v_add_f64 v[6:7], v[6:7], s[6:7]
	s_mov_b32 s6, 0x3b39803f
	s_mov_b32 s7, 0xbc7abc9e
	v_add_f64 v[8:9], |v[0:1]|, v[8:9]
	s_delay_alu instid0(VALU_DEP_1) | instskip(NEXT) | instid1(VALU_DEP_1)
	v_add_f64 v[6:7], v[8:9], -v[6:7]
	v_add_f64 v[6:7], v[6:7], s[6:7]
	s_mov_b32 s6, 0x652b82fe
	s_mov_b32 s7, 0x3ff71547
	s_delay_alu instid0(VALU_DEP_1) | instskip(NEXT) | instid1(VALU_DEP_1)
	v_add_f64 v[8:9], v[4:5], v[6:7]
	v_mul_f64 v[10:11], v[8:9], s[6:7]
	v_add_f64 v[4:5], v[4:5], -v[8:9]
	s_mov_b32 s6, 0x6a5dcb37
	s_mov_b32 s7, 0x3e5ade15
	s_delay_alu instid0(VALU_DEP_2) | instskip(NEXT) | instid1(VALU_DEP_2)
	v_rndne_f64_e32 v[10:11], v[10:11]
	v_add_f64 v[4:5], v[6:7], v[4:5]
	s_delay_alu instid0(VALU_DEP_2) | instskip(SKIP_2) | instid1(SALU_CYCLE_1)
	v_fma_f64 v[6:7], v[10:11], s[2:3], v[8:9]
	s_mov_b32 s2, 0xf278e000
	s_mov_b32 s3, 0xbd53de6a
	v_mul_f64 v[8:9], v[10:11], s[2:3]
	s_mov_b32 s2, 0xf97b57a0
	s_mov_b32 s3, 0xbac9cc01
	s_delay_alu instid0(VALU_DEP_2) | instskip(NEXT) | instid1(VALU_DEP_1)
	v_add_f64 v[12:13], v[4:5], v[6:7]
	v_add_f64 v[14:15], v[12:13], v[8:9]
	v_add_f64 v[6:7], v[6:7], -v[12:13]
	s_delay_alu instid0(VALU_DEP_2) | instskip(NEXT) | instid1(VALU_DEP_2)
	v_add_f64 v[12:13], v[12:13], -v[14:15]
	v_add_f64 v[4:5], v[4:5], v[6:7]
	s_delay_alu instid0(VALU_DEP_2) | instskip(NEXT) | instid1(VALU_DEP_1)
	v_add_f64 v[6:7], v[12:13], v[8:9]
	v_add_f64 v[4:5], v[4:5], v[6:7]
	v_mul_f64 v[6:7], v[10:11], s[2:3]
	s_mov_b32 s2, 0xfca7ab0c
	s_mov_b32 s3, 0x3e928af3
	s_delay_alu instid0(VALU_DEP_2) | instskip(NEXT) | instid1(VALU_DEP_1)
	v_add_f64 v[8:9], v[14:15], v[4:5]
	v_add_f64 v[12:13], v[8:9], v[6:7]
	v_add_f64 v[14:15], v[14:15], -v[8:9]
	s_delay_alu instid0(VALU_DEP_2) | instskip(NEXT) | instid1(VALU_DEP_2)
	v_add_f64 v[8:9], v[8:9], -v[12:13]
	v_add_f64 v[4:5], v[4:5], v[14:15]
	s_delay_alu instid0(VALU_DEP_2) | instskip(NEXT) | instid1(VALU_DEP_1)
	v_add_f64 v[6:7], v[8:9], v[6:7]
	v_add_f64 v[4:5], v[4:5], v[6:7]
	s_delay_alu instid0(VALU_DEP_1) | instskip(NEXT) | instid1(VALU_DEP_1)
	v_add_f64 v[6:7], v[12:13], v[4:5]
	v_fma_f64 v[8:9], v[6:7], s[6:7], s[2:3]
	s_mov_b32 s2, 0x623fde64
	s_mov_b32 s3, 0x3ec71dee
	v_add_f64 v[12:13], v[12:13], -v[6:7]
	v_mul_f64 v[14:15], v[6:7], v[6:7]
	s_delay_alu instid0(VALU_DEP_3) | instskip(SKIP_2) | instid1(VALU_DEP_3)
	v_fma_f64 v[8:9], v[6:7], v[8:9], s[2:3]
	s_mov_b32 s2, 0x7c89e6b0
	s_mov_b32 s3, 0x3efa0199
	v_add_f64 v[4:5], v[4:5], v[12:13]
	s_delay_alu instid0(VALU_DEP_3) | instskip(NEXT) | instid1(VALU_DEP_3)
	v_fma_f64 v[12:13], v[6:7], v[6:7], -v[14:15]
	v_fma_f64 v[8:9], v[6:7], v[8:9], s[2:3]
	s_mov_b32 s2, 0x14761f6e
	s_mov_b32 s3, 0x3f2a01a0
	s_delay_alu instid0(VALU_DEP_3) | instskip(NEXT) | instid1(VALU_DEP_2)
	v_add_f64 v[16:17], v[4:5], v[4:5]
	v_fma_f64 v[8:9], v[6:7], v[8:9], s[2:3]
	s_mov_b32 s2, 0x1852b7b0
	s_mov_b32 s3, 0x3f56c16c
	s_delay_alu instid0(VALU_DEP_2) | instskip(NEXT) | instid1(VALU_DEP_2)
	v_fma_f64 v[12:13], v[6:7], v[16:17], v[12:13]
	v_fma_f64 v[8:9], v[6:7], v[8:9], s[2:3]
	s_mov_b32 s2, 0x11122322
	s_mov_b32 s3, 0x3f811111
	s_delay_alu instid0(VALU_DEP_2) | instskip(NEXT) | instid1(VALU_DEP_2)
	v_add_f64 v[16:17], v[14:15], v[12:13]
	v_fma_f64 v[8:9], v[6:7], v[8:9], s[2:3]
	s_mov_b32 s2, 0x555502a1
	s_mov_b32 s3, 0x3fa55555
	s_delay_alu instid0(VALU_DEP_2) | instskip(NEXT) | instid1(VALU_DEP_2)
	v_add_f64 v[14:15], v[16:17], -v[14:15]
	v_fma_f64 v[8:9], v[6:7], v[8:9], s[2:3]
	s_mov_b32 s2, 0x55555511
	s_mov_b32 s3, 0x3fc55555
	s_delay_alu instid0(VALU_DEP_2) | instskip(NEXT) | instid1(VALU_DEP_2)
	v_add_f64 v[12:13], v[12:13], -v[14:15]
	v_fma_f64 v[8:9], v[6:7], v[8:9], s[2:3]
	s_mov_b32 s2, 11
	s_mov_b32 s3, 0x3fe00000
	s_delay_alu instid0(VALU_DEP_1) | instid1(SALU_CYCLE_1)
	v_fma_f64 v[8:9], v[6:7], v[8:9], s[2:3]
	s_mov_b32 s2, 0x8fb9f87e
	s_mov_b32 s3, 0x408633ce
	s_delay_alu instid0(SALU_CYCLE_1) | instskip(NEXT) | instid1(VALU_DEP_2)
	v_cmp_nge_f64_e64 vcc_lo, |v[0:1]|, s[2:3]
	v_mul_f64 v[18:19], v[16:17], v[8:9]
	s_delay_alu instid0(VALU_DEP_1) | instskip(NEXT) | instid1(VALU_DEP_1)
	v_fma_f64 v[14:15], v[16:17], v[8:9], -v[18:19]
	v_fma_f64 v[8:9], v[12:13], v[8:9], v[14:15]
	s_delay_alu instid0(VALU_DEP_1) | instskip(NEXT) | instid1(VALU_DEP_1)
	v_add_f64 v[12:13], v[18:19], v[8:9]
	v_add_f64 v[14:15], v[6:7], v[12:13]
	v_add_f64 v[16:17], v[12:13], -v[18:19]
	s_delay_alu instid0(VALU_DEP_2) | instskip(NEXT) | instid1(VALU_DEP_2)
	v_add_f64 v[6:7], v[14:15], -v[6:7]
	v_add_f64 v[8:9], v[8:9], -v[16:17]
	v_cvt_i32_f64_e32 v16, v[10:11]
	s_delay_alu instid0(VALU_DEP_3) | instskip(NEXT) | instid1(VALU_DEP_3)
	v_add_f64 v[6:7], v[12:13], -v[6:7]
	v_add_f64 v[4:5], v[4:5], v[8:9]
	s_delay_alu instid0(VALU_DEP_1) | instskip(NEXT) | instid1(VALU_DEP_1)
	v_add_f64 v[4:5], v[4:5], v[6:7]
	v_add_f64 v[6:7], v[14:15], v[4:5]
	s_delay_alu instid0(VALU_DEP_1) | instskip(SKIP_1) | instid1(VALU_DEP_2)
	v_add_f64 v[8:9], v[6:7], 1.0
	v_add_f64 v[12:13], v[6:7], -v[14:15]
	v_add_f64 v[14:15], v[8:9], -1.0
	s_delay_alu instid0(VALU_DEP_2) | instskip(NEXT) | instid1(VALU_DEP_2)
	v_add_f64 v[4:5], v[4:5], -v[12:13]
	v_add_f64 v[6:7], v[6:7], -v[14:15]
	s_delay_alu instid0(VALU_DEP_1) | instskip(NEXT) | instid1(VALU_DEP_1)
	v_add_f64 v[4:5], v[4:5], v[6:7]
	v_add_f64 v[6:7], v[8:9], v[4:5]
	s_delay_alu instid0(VALU_DEP_1) | instskip(SKIP_1) | instid1(VALU_DEP_2)
	v_ldexp_f64 v[10:11], v[6:7], v16
	v_add_f64 v[6:7], v[6:7], -v[8:9]
	v_rcp_f64_e32 v[12:13], v[10:11]
	s_delay_alu instid0(VALU_DEP_1) | instskip(NEXT) | instid1(VALU_DEP_1)
	v_add_f64 v[4:5], v[4:5], -v[6:7]
	v_ldexp_f64 v[4:5], v[4:5], v16
	s_waitcnt_depctr 0xfff
	v_fma_f64 v[14:15], -v[10:11], v[12:13], 1.0
	s_delay_alu instid0(VALU_DEP_1) | instskip(NEXT) | instid1(VALU_DEP_1)
	v_fma_f64 v[12:13], v[14:15], v[12:13], v[12:13]
	v_fma_f64 v[14:15], -v[10:11], v[12:13], 1.0
	s_delay_alu instid0(VALU_DEP_1) | instskip(NEXT) | instid1(VALU_DEP_1)
	v_fma_f64 v[8:9], v[14:15], v[12:13], v[12:13]
	v_mul_f64 v[6:7], v[10:11], v[8:9]
	s_delay_alu instid0(VALU_DEP_1) | instskip(NEXT) | instid1(VALU_DEP_1)
	v_fma_f64 v[12:13], v[8:9], v[10:11], -v[6:7]
	v_fma_f64 v[12:13], v[8:9], v[4:5], v[12:13]
	s_delay_alu instid0(VALU_DEP_1) | instskip(NEXT) | instid1(VALU_DEP_1)
	v_add_f64 v[14:15], v[6:7], v[12:13]
	v_add_f64 v[16:17], -v[14:15], 1.0
	v_add_f64 v[6:7], v[14:15], -v[6:7]
	s_delay_alu instid0(VALU_DEP_2) | instskip(NEXT) | instid1(VALU_DEP_2)
	v_add_f64 v[18:19], -v[16:17], 1.0
	v_add_f64 v[6:7], v[6:7], -v[12:13]
	s_delay_alu instid0(VALU_DEP_2) | instskip(NEXT) | instid1(VALU_DEP_1)
	v_add_f64 v[12:13], v[18:19], -v[14:15]
	v_add_f64 v[6:7], v[6:7], v[12:13]
	s_delay_alu instid0(VALU_DEP_1) | instskip(NEXT) | instid1(VALU_DEP_1)
	v_add_f64 v[12:13], v[16:17], v[6:7]
	v_mul_f64 v[14:15], v[8:9], v[12:13]
	v_add_f64 v[16:17], v[16:17], -v[12:13]
	s_delay_alu instid0(VALU_DEP_2) | instskip(NEXT) | instid1(VALU_DEP_2)
	v_mul_f64 v[18:19], v[10:11], v[14:15]
	v_add_f64 v[6:7], v[6:7], v[16:17]
	s_delay_alu instid0(VALU_DEP_2) | instskip(NEXT) | instid1(VALU_DEP_1)
	v_fma_f64 v[20:21], v[14:15], v[10:11], -v[18:19]
	v_fma_f64 v[20:21], v[14:15], v[4:5], v[20:21]
	s_delay_alu instid0(VALU_DEP_1) | instskip(NEXT) | instid1(VALU_DEP_1)
	v_add_f64 v[22:23], v[18:19], v[20:21]
	v_add_f64 v[24:25], v[12:13], -v[22:23]
	v_add_f64 v[16:17], v[22:23], -v[18:19]
	s_delay_alu instid0(VALU_DEP_2) | instskip(NEXT) | instid1(VALU_DEP_2)
	v_add_f64 v[12:13], v[12:13], -v[24:25]
	v_add_f64 v[16:17], v[16:17], -v[20:21]
	s_delay_alu instid0(VALU_DEP_2) | instskip(NEXT) | instid1(VALU_DEP_1)
	v_add_f64 v[12:13], v[12:13], -v[22:23]
	v_add_f64 v[6:7], v[6:7], v[12:13]
	v_add_f64 v[12:13], v[8:9], v[14:15]
	s_delay_alu instid0(VALU_DEP_2) | instskip(NEXT) | instid1(VALU_DEP_2)
	v_add_f64 v[6:7], v[16:17], v[6:7]
	v_add_f64 v[16:17], v[12:13], -v[8:9]
	s_delay_alu instid0(VALU_DEP_2) | instskip(NEXT) | instid1(VALU_DEP_2)
	v_add_f64 v[6:7], v[24:25], v[6:7]
	v_add_f64 v[14:15], v[14:15], -v[16:17]
	s_delay_alu instid0(VALU_DEP_2) | instskip(NEXT) | instid1(VALU_DEP_1)
	v_mul_f64 v[6:7], v[8:9], v[6:7]
	v_add_f64 v[6:7], v[14:15], v[6:7]
	s_delay_alu instid0(VALU_DEP_1) | instskip(NEXT) | instid1(VALU_DEP_1)
	v_add_f64 v[8:9], v[12:13], v[6:7]
	v_ldexp_f64 v[14:15], v[8:9], -2
	v_add_f64 v[8:9], v[8:9], -v[12:13]
	s_delay_alu instid0(VALU_DEP_2) | instskip(NEXT) | instid1(VALU_DEP_2)
	v_add_f64 v[16:17], v[10:11], -v[14:15]
	v_add_f64 v[6:7], v[6:7], -v[8:9]
	s_delay_alu instid0(VALU_DEP_2) | instskip(NEXT) | instid1(VALU_DEP_2)
	v_add_f64 v[10:11], v[10:11], -v[16:17]
	v_ldexp_f64 v[6:7], v[6:7], -2
	s_delay_alu instid0(VALU_DEP_2) | instskip(NEXT) | instid1(VALU_DEP_1)
	v_add_f64 v[8:9], v[10:11], -v[14:15]
	v_add_f64 v[4:5], v[4:5], v[8:9]
	s_delay_alu instid0(VALU_DEP_1) | instskip(SKIP_1) | instid1(VALU_DEP_2)
	v_add_f64 v[4:5], v[4:5], -v[6:7]
	v_and_b32_e32 v7, 0x7fffffff, v1
	v_add_f64 v[4:5], v[16:17], v[4:5]
	s_delay_alu instid0(VALU_DEP_1) | instskip(NEXT) | instid1(VALU_DEP_2)
	v_cndmask_b32_e32 v5, 0x7ff00000, v5, vcc_lo
	v_cndmask_b32_e32 v4, 0, v4, vcc_lo
	v_cmp_gt_f64_e64 vcc_lo, 0x3e400000, |v[0:1]|
	s_delay_alu instid0(VALU_DEP_2) | instskip(NEXT) | instid1(VALU_DEP_4)
	v_cndmask_b32_e32 v6, v4, v0, vcc_lo
	v_dual_cndmask_b32 v0, v5, v7 :: v_dual_mov_b32 v5, v3
	v_mov_b32_e32 v4, v2
	s_delay_alu instid0(VALU_DEP_2)
	v_bfi_b32 v7, 0x7fffffff, v0, v1
.LBB106_81:
	s_or_b32 exec_lo, exec_lo, s0
.LBB106_82:
	s_delay_alu instid0(SALU_CYCLE_1) | instskip(NEXT) | instid1(VALU_DEP_1)
	s_or_b32 exec_lo, exec_lo, s4
	v_dual_mov_b32 v0, v6 :: v_dual_mov_b32 v1, v7
	s_delay_alu instid0(VALU_DEP_2)
	v_dual_mov_b32 v2, v4 :: v_dual_mov_b32 v3, v5
	s_setpc_b64 s[30:31]
.Lfunc_end106:
	.size	_ZN6thrust23THRUST_200600_302600_NS6detail7complex5csinhERKNS0_7complexIdEE, .Lfunc_end106-_ZN6thrust23THRUST_200600_302600_NS6detail7complex5csinhERKNS0_7complexIdEE
                                        ; -- End function
	.section	.AMDGPU.csdata,"",@progbits
; Function info:
; codeLenInByte = 18296
; NumSgprs: 34
; NumVgprs: 84
; ScratchSize: 0
; MemoryBound: 0
	.section	.text._ZN2at6native12_GLOBAL__N_125multi_tensor_apply_kernelINS1_18TensorListMetadataILi2EEENS1_14UnaryOpFunctorIN3c107complexIdEELi2ELi1ELi1EEEJNS0_3SinIS8_EEEEEvT_T0_DpT1_,"axG",@progbits,_ZN2at6native12_GLOBAL__N_125multi_tensor_apply_kernelINS1_18TensorListMetadataILi2EEENS1_14UnaryOpFunctorIN3c107complexIdEELi2ELi1ELi1EEEJNS0_3SinIS8_EEEEEvT_T0_DpT1_,comdat
	.globl	_ZN2at6native12_GLOBAL__N_125multi_tensor_apply_kernelINS1_18TensorListMetadataILi2EEENS1_14UnaryOpFunctorIN3c107complexIdEELi2ELi1ELi1EEEJNS0_3SinIS8_EEEEEvT_T0_DpT1_ ; -- Begin function _ZN2at6native12_GLOBAL__N_125multi_tensor_apply_kernelINS1_18TensorListMetadataILi2EEENS1_14UnaryOpFunctorIN3c107complexIdEELi2ELi1ELi1EEEJNS0_3SinIS8_EEEEEvT_T0_DpT1_
	.p2align	8
	.type	_ZN2at6native12_GLOBAL__N_125multi_tensor_apply_kernelINS1_18TensorListMetadataILi2EEENS1_14UnaryOpFunctorIN3c107complexIdEELi2ELi1ELi1EEEJNS0_3SinIS8_EEEEEvT_T0_DpT1_,@function
_ZN2at6native12_GLOBAL__N_125multi_tensor_apply_kernelINS1_18TensorListMetadataILi2EEENS1_14UnaryOpFunctorIN3c107complexIdEELi2ELi1ELi1EEEJNS0_3SinIS8_EEEEEvT_T0_DpT1_: ; @_ZN2at6native12_GLOBAL__N_125multi_tensor_apply_kernelINS1_18TensorListMetadataILi2EEENS1_14UnaryOpFunctorIN3c107complexIdEELi2ELi1ELi1EEEJNS0_3SinIS8_EEEEEvT_T0_DpT1_
; %bb.0:
	v_mov_b32_e32 v60, v0
	v_mov_b32_e32 v0, s15
	s_mov_b64 s[22:23], s[0:1]
	s_mov_b32 s5, 0
	s_mov_b32 s32, 0
	;; [unrolled: 1-line block ×3, first 2 shown]
	global_load_u8 v0, v0, s[0:1] offset:1536
	s_add_u32 s0, s22, s15
	s_mul_hi_u32 s1, s15, 3
	s_mul_i32 s15, s15, 3
	s_addc_u32 s2, s23, 0
	s_add_u32 s0, s0, s15
	s_addc_u32 s1, s2, s1
	s_mov_b32 s9, s5
	s_load_b32 s0, s[0:1], 0x740
	s_waitcnt vmcnt(0)
	v_readfirstlane_b32 s3, v0
	s_delay_alu instid0(VALU_DEP_1)
	s_lshl_b32 s1, s3, 3
	s_clause 0x2
	s_load_b64 s[24:25], s[22:23], s1 offset:0x0
	s_load_b64 s[38:39], s[22:23], s1 offset:0x200
	;; [unrolled: 1-line block ×3, first 2 shown]
	s_waitcnt lgkmcnt(0)
	s_ashr_i32 s1, s0, 31
	s_delay_alu instid0(SALU_CYCLE_1) | instskip(NEXT) | instid1(SALU_CYCLE_1)
	s_lshl_b64 s[26:27], s[0:1], 20
	s_add_u32 s33, s24, s26
	s_addc_u32 s34, s25, s27
	s_add_u32 s35, s38, s26
	s_addc_u32 s36, s39, s27
	s_and_b32 s6, s33, 63
	s_and_b32 s8, s2, 3
	;; [unrolled: 1-line block ×3, first 2 shown]
	s_or_b64 s[6:7], s[6:7], s[8:9]
	s_lshl_b64 s[0:1], s[0:1], 16
	s_or_b64 s[4:5], s[4:5], s[6:7]
	s_sub_u32 s28, s2, s0
	s_subb_u32 s29, s3, s1
	s_cmp_eq_u64 s[4:5], 0
	s_mov_b32 s0, -1
	s_cbranch_scc0 .LBB107_5
; %bb.1:
	v_dual_mov_b32 v62, 0 :: v_dual_lshlrev_b32 v61, 2, v60
	s_mov_b32 s37, exec_lo
	s_delay_alu instid0(VALU_DEP_1)
	v_cmpx_gt_i64_e64 s[28:29], v[61:62]
	s_cbranch_execz .LBB107_4
; %bb.2:
	s_load_b32 s0, s[22:23], 0xc5c
	v_lshlrev_b32_e32 v63, 6, v60
	s_mov_b32 s40, 0
	s_waitcnt lgkmcnt(0)
	s_and_b32 s0, s0, 0xffff
	s_delay_alu instid0(SALU_CYCLE_1)
	v_add_lshl_u32 v61, v60, s0, 2
	s_lshl_b32 s41, s0, 2
	s_lshl_b32 s42, s0, 6
.LBB107_3:                              ; =>This Inner Loop Header: Depth=1
	v_add_co_u32 v0, s0, s33, v63
	s_delay_alu instid0(VALU_DEP_1)
	v_add_co_ci_u32_e64 v1, null, s34, 0, s0
	s_getpc_b64 s[44:45]
	s_add_u32 s44, s44, _ZN6thrust23THRUST_200600_302600_NS6detail7complex5csinhERKNS0_7complexIdEE@rel32@lo+4
	s_addc_u32 s45, s45, _ZN6thrust23THRUST_200600_302600_NS6detail7complex5csinhERKNS0_7complexIdEE@rel32@hi+12
	s_clause 0x3
	global_load_b128 v[2:5], v[0:1], off
	global_load_b128 v[40:43], v[0:1], off offset:16
	global_load_b128 v[44:47], v[0:1], off offset:48
	;; [unrolled: 1-line block ×3, first 2 shown]
	s_waitcnt vmcnt(3)
	v_xor_b32_e32 v1, 0x80000000, v5
	v_mov_b32_e32 v0, v4
	s_swappc_b64 s[30:31], s[44:45]
	v_mov_b32_e32 v72, v2
	v_xor_b32_e32 v2, 0x80000000, v43
	s_delay_alu instid0(VALU_DEP_3) | instskip(SKIP_2) | instid1(VALU_DEP_4)
	v_dual_mov_b32 v74, v0 :: v_dual_mov_b32 v73, v3
	v_xor_b32_e32 v75, 0x80000000, v1
	v_mov_b32_e32 v0, v42
	v_dual_mov_b32 v1, v2 :: v_dual_mov_b32 v2, v40
	v_mov_b32_e32 v3, v41
	s_swappc_b64 s[30:31], s[44:45]
	s_delay_alu instid0(VALU_DEP_2) | instskip(SKIP_1) | instid1(VALU_DEP_3)
	v_mov_b32_e32 v40, v2
	v_xor_b32_e32 v2, 0x80000000, v59
	v_dual_mov_b32 v42, v0 :: v_dual_mov_b32 v41, v3
	v_xor_b32_e32 v43, 0x80000000, v1
	v_mov_b32_e32 v0, v58
	s_delay_alu instid0(VALU_DEP_4) | instskip(SKIP_2) | instid1(VALU_DEP_2)
	v_dual_mov_b32 v1, v2 :: v_dual_mov_b32 v2, v56
	v_mov_b32_e32 v3, v57
	s_swappc_b64 s[30:31], s[44:45]
	v_mov_b32_e32 v56, v2
	v_xor_b32_e32 v2, 0x80000000, v47
	s_delay_alu instid0(VALU_DEP_3) | instskip(SKIP_2) | instid1(VALU_DEP_4)
	v_dual_mov_b32 v58, v0 :: v_dual_mov_b32 v57, v3
	v_xor_b32_e32 v59, 0x80000000, v1
	v_mov_b32_e32 v0, v46
	v_dual_mov_b32 v1, v2 :: v_dual_mov_b32 v2, v44
	v_mov_b32_e32 v3, v45
	s_swappc_b64 s[30:31], s[44:45]
	v_add_co_u32 v6, s0, s35, v63
	s_delay_alu instid0(VALU_DEP_1) | instskip(SKIP_3) | instid1(VALU_DEP_1)
	v_add_co_ci_u32_e64 v7, null, s36, 0, s0
	v_cmp_le_i64_e32 vcc_lo, s[28:29], v[61:62]
	v_cmp_lt_u64_e64 s0, 0xffff, v[61:62]
	v_add_co_u32 v61, s1, v61, s41
	v_add_co_ci_u32_e64 v62, s1, 0, v62, s1
	v_mov_b32_e32 v4, v0
	s_delay_alu instid0(VALU_DEP_4)
	s_or_b32 s0, vcc_lo, s0
	s_add_u32 s33, s33, s42
	s_addc_u32 s34, s34, 0
	s_add_u32 s35, s35, s42
	s_addc_u32 s36, s36, 0
	v_xor_b32_e32 v5, 0x80000000, v1
	s_and_b32 s0, exec_lo, s0
	s_clause 0x1
	global_store_b128 v[6:7], v[72:75], off
	global_store_b128 v[6:7], v[40:43], off offset:16
	s_or_b32 s40, s0, s40
	s_clause 0x1
	global_store_b128 v[6:7], v[56:59], off offset:32
	global_store_b128 v[6:7], v[2:5], off offset:48
	s_and_not1_b32 exec_lo, exec_lo, s40
	s_cbranch_execnz .LBB107_3
.LBB107_4:
	s_or_b32 exec_lo, exec_lo, s37
	s_mov_b32 s0, 0
.LBB107_5:
	s_delay_alu instid0(SALU_CYCLE_1)
	s_and_not1_b32 vcc_lo, exec_lo, s0
	s_cbranch_vccnz .LBB107_25
; %bb.6:
	v_cmp_lt_i64_e64 s0, s[28:29], 1
	s_delay_alu instid0(VALU_DEP_1)
	s_and_b32 vcc_lo, exec_lo, s0
	s_cbranch_vccnz .LBB107_25
; %bb.7:
	s_load_b32 s0, s[22:23], 0xc5c
	v_mov_b32_e32 v61, 0
	v_lshl_or_b32 v0, v60, 4, 8
	v_cmp_gt_u64_e64 s1, 0x10000, s[28:29]
	s_mov_b32 s35, 0
	s_delay_alu instid0(VALU_DEP_3) | instskip(NEXT) | instid1(VALU_DEP_3)
	v_mov_b32_e32 v1, v61
	v_add_co_u32 v62, s2, s24, v0
	s_delay_alu instid0(VALU_DEP_1) | instskip(SKIP_1) | instid1(VALU_DEP_1)
	v_add_co_ci_u32_e64 v63, null, s25, 0, s2
	v_add_co_u32 v72, s2, s38, v0
	v_add_co_ci_u32_e64 v73, null, s39, 0, s2
	s_waitcnt lgkmcnt(0)
	s_and_b32 s33, s0, 0xffff
	s_and_b32 s0, s1, exec_lo
	v_add_lshl_u32 v4, v60, s33, 4
	v_mad_u64_u32 v[2:3], null, s33, 48, v[0:1]
	s_cselect_b32 s37, s29, 0
	s_cselect_b32 s36, s28, 0x10000
	s_delay_alu instid0(VALU_DEP_2) | instskip(NEXT) | instid1(VALU_DEP_1)
	v_add_co_u32 v74, s0, s38, v4
	v_add_co_ci_u32_e64 v75, null, s39, 0, s0
	v_add_co_u32 v78, s0, s24, v4
	s_delay_alu instid0(VALU_DEP_1)
	v_add_co_ci_u32_e64 v79, null, s25, 0, s0
	s_lshl_b32 s0, s33, 5
	v_add_co_u32 v76, vcc_lo, s24, v2
	v_add_co_u32 v0, s0, v0, s0
	v_add_co_ci_u32_e32 v77, vcc_lo, s25, v3, vcc_lo
	v_add_co_ci_u32_e64 v1, null, 0, 0, s0
	v_add_co_u32 v84, vcc_lo, s38, v2
	v_add_co_ci_u32_e32 v85, vcc_lo, s39, v3, vcc_lo
	v_add_co_u32 v86, vcc_lo, s24, v0
	s_delay_alu instid0(VALU_DEP_4)
	v_add_co_ci_u32_e32 v87, vcc_lo, s25, v1, vcc_lo
	v_add_co_u32 v88, vcc_lo, s38, v0
	v_add_co_ci_u32_e32 v89, vcc_lo, s39, v1, vcc_lo
	s_lshl_b32 s34, s33, 2
	s_lshl_b32 s40, s33, 1
	s_mul_i32 s41, s33, 3
	s_lshl_b32 s25, s33, 6
	s_mov_b64 s[38:39], s[34:35]
	s_branch .LBB107_9
.LBB107_8:                              ;   in Loop: Header=BB107_9 Depth=1
	s_or_b32 exec_lo, exec_lo, s23
	v_add_co_u32 v60, vcc_lo, v60, s34
	v_add_co_ci_u32_e32 v61, vcc_lo, 0, v61, vcc_lo
	v_add_co_u32 v62, vcc_lo, v62, s25
	v_add_co_ci_u32_e32 v63, vcc_lo, 0, v63, vcc_lo
	;; [unrolled: 2-line block ×7, first 2 shown]
	v_cmp_ge_i64_e64 s0, s[38:39], s[28:29]
	v_cmp_lt_u64_e64 s1, 0xffff, s[38:39]
	v_add_co_u32 v86, vcc_lo, v86, s25
	v_add_co_ci_u32_e32 v87, vcc_lo, 0, v87, vcc_lo
	v_add_co_u32 v88, vcc_lo, v88, s25
	v_add_co_ci_u32_e32 v89, vcc_lo, 0, v89, vcc_lo
	s_or_b32 s0, s0, s1
	s_add_u32 s38, s38, s34
	s_addc_u32 s39, s39, 0
	s_and_b32 vcc_lo, exec_lo, s0
	s_cbranch_vccnz .LBB107_25
.LBB107_9:                              ; =>This Inner Loop Header: Depth=1
	s_waitcnt vmcnt(0)
	v_mov_b32_e32 v46, 0
	v_mov_b32_e32 v47, 0
	v_cmp_gt_u64_e32 vcc_lo, s[36:37], v[60:61]
	s_delay_alu instid0(VALU_DEP_3) | instskip(NEXT) | instid1(VALU_DEP_3)
	v_mov_b32_e32 v4, v46
	v_dual_mov_b32 v2, v46 :: v_dual_mov_b32 v3, v47
	v_mov_b32_e32 v5, v47
	s_and_saveexec_b32 s1, vcc_lo
	s_cbranch_execz .LBB107_11
; %bb.10:                               ;   in Loop: Header=BB107_9 Depth=1
	v_add_co_u32 v0, s0, v62, s26
	s_delay_alu instid0(VALU_DEP_1)
	v_add_co_ci_u32_e64 v1, s0, s27, v63, s0
	global_load_b128 v[2:5], v[0:1], off offset:-8
.LBB107_11:                             ;   in Loop: Header=BB107_9 Depth=1
	s_or_b32 exec_lo, exec_lo, s1
	v_add_co_u32 v0, s0, s33, v60
	s_delay_alu instid0(VALU_DEP_1) | instskip(SKIP_1) | instid1(VALU_DEP_2)
	v_add_co_ci_u32_e64 v1, s0, 0, v61, s0
	v_dual_mov_b32 v44, v46 :: v_dual_mov_b32 v45, v47
	v_cmp_gt_u64_e64 s24, s[36:37], v[0:1]
	s_delay_alu instid0(VALU_DEP_1)
	s_and_saveexec_b32 s1, s24
	s_cbranch_execz .LBB107_13
; %bb.12:                               ;   in Loop: Header=BB107_9 Depth=1
	v_add_co_u32 v0, s0, v78, s26
	s_delay_alu instid0(VALU_DEP_1)
	v_add_co_ci_u32_e64 v1, s0, s27, v79, s0
	global_load_b128 v[44:47], v[0:1], off
.LBB107_13:                             ;   in Loop: Header=BB107_9 Depth=1
	s_or_b32 exec_lo, exec_lo, s1
	v_add_co_u32 v0, s0, s40, v60
	s_delay_alu instid0(VALU_DEP_1) | instskip(SKIP_2) | instid1(VALU_DEP_3)
	v_add_co_ci_u32_e64 v1, s0, 0, v61, s0
	v_mov_b32_e32 v42, 0
	v_mov_b32_e32 v43, 0
	v_cmp_gt_u64_e64 s23, s[36:37], v[0:1]
	s_delay_alu instid0(VALU_DEP_2) | instskip(SKIP_1) | instid1(VALU_DEP_3)
	v_dual_mov_b32 v59, v43 :: v_dual_mov_b32 v58, v42
	v_dual_mov_b32 v57, v43 :: v_dual_mov_b32 v56, v42
	s_and_saveexec_b32 s1, s23
	s_cbranch_execz .LBB107_15
; %bb.14:                               ;   in Loop: Header=BB107_9 Depth=1
	v_add_co_u32 v0, s0, v86, s26
	s_delay_alu instid0(VALU_DEP_1)
	v_add_co_ci_u32_e64 v1, s0, s27, v87, s0
	global_load_b128 v[56:59], v[0:1], off offset:-8
.LBB107_15:                             ;   in Loop: Header=BB107_9 Depth=1
	s_or_b32 exec_lo, exec_lo, s1
	v_add_co_u32 v0, s0, s41, v60
	s_delay_alu instid0(VALU_DEP_1) | instskip(SKIP_1) | instid1(VALU_DEP_2)
	v_add_co_ci_u32_e64 v1, s0, 0, v61, s0
	v_dual_mov_b32 v40, v42 :: v_dual_mov_b32 v41, v43
	v_cmp_gt_u64_e64 s22, s[36:37], v[0:1]
	s_delay_alu instid0(VALU_DEP_1)
	s_and_saveexec_b32 s1, s22
	s_cbranch_execnz .LBB107_20
; %bb.16:                               ;   in Loop: Header=BB107_9 Depth=1
	s_or_b32 exec_lo, exec_lo, s1
	s_and_saveexec_b32 s35, vcc_lo
	s_cbranch_execnz .LBB107_21
.LBB107_17:                             ;   in Loop: Header=BB107_9 Depth=1
	s_or_b32 exec_lo, exec_lo, s35
	s_and_saveexec_b32 s35, s24
	s_cbranch_execnz .LBB107_22
.LBB107_18:                             ;   in Loop: Header=BB107_9 Depth=1
	s_or_b32 exec_lo, exec_lo, s35
	s_and_saveexec_b32 s24, s23
	s_cbranch_execnz .LBB107_23
.LBB107_19:                             ;   in Loop: Header=BB107_9 Depth=1
	s_or_b32 exec_lo, exec_lo, s24
	s_and_saveexec_b32 s23, s22
	s_cbranch_execz .LBB107_8
	s_branch .LBB107_24
.LBB107_20:                             ;   in Loop: Header=BB107_9 Depth=1
	v_add_co_u32 v0, s0, v76, s26
	s_delay_alu instid0(VALU_DEP_1)
	v_add_co_ci_u32_e64 v1, s0, s27, v77, s0
	global_load_b128 v[40:43], v[0:1], off offset:-8
	s_or_b32 exec_lo, exec_lo, s1
	s_and_saveexec_b32 s35, vcc_lo
	s_cbranch_execz .LBB107_17
.LBB107_21:                             ;   in Loop: Header=BB107_9 Depth=1
	s_waitcnt vmcnt(0)
	v_xor_b32_e32 v1, 0x80000000, v5
	v_mov_b32_e32 v0, v4
	s_getpc_b64 s[0:1]
	s_add_u32 s0, s0, _ZN6thrust23THRUST_200600_302600_NS6detail7complex5csinhERKNS0_7complexIdEE@rel32@lo+4
	s_addc_u32 s1, s1, _ZN6thrust23THRUST_200600_302600_NS6detail7complex5csinhERKNS0_7complexIdEE@rel32@hi+12
	s_delay_alu instid0(SALU_CYCLE_1)
	s_swappc_b64 s[30:31], s[0:1]
	v_mov_b32_e32 v4, v0
	v_add_co_u32 v0, vcc_lo, v72, s26
	v_xor_b32_e32 v5, 0x80000000, v1
	v_add_co_ci_u32_e32 v1, vcc_lo, s27, v73, vcc_lo
	global_store_b128 v[0:1], v[2:5], off offset:-8
	s_or_b32 exec_lo, exec_lo, s35
	s_and_saveexec_b32 s35, s24
	s_cbranch_execz .LBB107_18
.LBB107_22:                             ;   in Loop: Header=BB107_9 Depth=1
	s_waitcnt vmcnt(0)
	v_xor_b32_e32 v1, 0x80000000, v47
	v_dual_mov_b32 v0, v46 :: v_dual_mov_b32 v3, v45
	v_mov_b32_e32 v2, v44
	s_getpc_b64 s[0:1]
	s_add_u32 s0, s0, _ZN6thrust23THRUST_200600_302600_NS6detail7complex5csinhERKNS0_7complexIdEE@rel32@lo+4
	s_addc_u32 s1, s1, _ZN6thrust23THRUST_200600_302600_NS6detail7complex5csinhERKNS0_7complexIdEE@rel32@hi+12
	s_delay_alu instid0(SALU_CYCLE_1)
	s_swappc_b64 s[30:31], s[0:1]
	v_mov_b32_e32 v4, v0
	v_add_co_u32 v0, vcc_lo, v74, s26
	v_xor_b32_e32 v5, 0x80000000, v1
	v_add_co_ci_u32_e32 v1, vcc_lo, s27, v75, vcc_lo
	global_store_b128 v[0:1], v[2:5], off
	s_or_b32 exec_lo, exec_lo, s35
	s_and_saveexec_b32 s24, s23
	s_cbranch_execz .LBB107_19
.LBB107_23:                             ;   in Loop: Header=BB107_9 Depth=1
	s_waitcnt vmcnt(0)
	v_xor_b32_e32 v1, 0x80000000, v59
	v_dual_mov_b32 v0, v58 :: v_dual_mov_b32 v3, v57
	v_mov_b32_e32 v2, v56
	s_getpc_b64 s[0:1]
	s_add_u32 s0, s0, _ZN6thrust23THRUST_200600_302600_NS6detail7complex5csinhERKNS0_7complexIdEE@rel32@lo+4
	s_addc_u32 s1, s1, _ZN6thrust23THRUST_200600_302600_NS6detail7complex5csinhERKNS0_7complexIdEE@rel32@hi+12
	s_delay_alu instid0(SALU_CYCLE_1)
	s_swappc_b64 s[30:31], s[0:1]
	v_mov_b32_e32 v4, v0
	v_add_co_u32 v0, vcc_lo, v88, s26
	v_xor_b32_e32 v5, 0x80000000, v1
	v_add_co_ci_u32_e32 v1, vcc_lo, s27, v89, vcc_lo
	global_store_b128 v[0:1], v[2:5], off offset:-8
	s_or_b32 exec_lo, exec_lo, s24
	s_and_saveexec_b32 s23, s22
	s_cbranch_execz .LBB107_8
.LBB107_24:                             ;   in Loop: Header=BB107_9 Depth=1
	s_waitcnt vmcnt(0)
	v_xor_b32_e32 v1, 0x80000000, v43
	v_dual_mov_b32 v0, v42 :: v_dual_mov_b32 v3, v41
	v_mov_b32_e32 v2, v40
	s_getpc_b64 s[0:1]
	s_add_u32 s0, s0, _ZN6thrust23THRUST_200600_302600_NS6detail7complex5csinhERKNS0_7complexIdEE@rel32@lo+4
	s_addc_u32 s1, s1, _ZN6thrust23THRUST_200600_302600_NS6detail7complex5csinhERKNS0_7complexIdEE@rel32@hi+12
	s_delay_alu instid0(SALU_CYCLE_1)
	s_swappc_b64 s[30:31], s[0:1]
	v_mov_b32_e32 v4, v0
	v_add_co_u32 v0, vcc_lo, v84, s26
	v_xor_b32_e32 v5, 0x80000000, v1
	v_add_co_ci_u32_e32 v1, vcc_lo, s27, v85, vcc_lo
	global_store_b128 v[0:1], v[2:5], off offset:-8
	s_branch .LBB107_8
.LBB107_25:
	s_endpgm
	.section	.rodata,"a",@progbits
	.p2align	6, 0x0
	.amdhsa_kernel _ZN2at6native12_GLOBAL__N_125multi_tensor_apply_kernelINS1_18TensorListMetadataILi2EEENS1_14UnaryOpFunctorIN3c107complexIdEELi2ELi1ELi1EEEJNS0_3SinIS8_EEEEEvT_T0_DpT1_
		.amdhsa_group_segment_fixed_size 0
		.amdhsa_private_segment_fixed_size 0
		.amdhsa_kernarg_size 3408
		.amdhsa_user_sgpr_count 15
		.amdhsa_user_sgpr_dispatch_ptr 0
		.amdhsa_user_sgpr_queue_ptr 0
		.amdhsa_user_sgpr_kernarg_segment_ptr 1
		.amdhsa_user_sgpr_dispatch_id 0
		.amdhsa_user_sgpr_private_segment_size 0
		.amdhsa_wavefront_size32 1
		.amdhsa_uses_dynamic_stack 0
		.amdhsa_enable_private_segment 0
		.amdhsa_system_sgpr_workgroup_id_x 1
		.amdhsa_system_sgpr_workgroup_id_y 0
		.amdhsa_system_sgpr_workgroup_id_z 0
		.amdhsa_system_sgpr_workgroup_info 0
		.amdhsa_system_vgpr_workitem_id 0
		.amdhsa_next_free_vgpr 90
		.amdhsa_next_free_sgpr 46
		.amdhsa_reserve_vcc 1
		.amdhsa_float_round_mode_32 0
		.amdhsa_float_round_mode_16_64 0
		.amdhsa_float_denorm_mode_32 3
		.amdhsa_float_denorm_mode_16_64 3
		.amdhsa_dx10_clamp 1
		.amdhsa_ieee_mode 1
		.amdhsa_fp16_overflow 0
		.amdhsa_workgroup_processor_mode 1
		.amdhsa_memory_ordered 1
		.amdhsa_forward_progress 0
		.amdhsa_shared_vgpr_count 0
		.amdhsa_exception_fp_ieee_invalid_op 0
		.amdhsa_exception_fp_denorm_src 0
		.amdhsa_exception_fp_ieee_div_zero 0
		.amdhsa_exception_fp_ieee_overflow 0
		.amdhsa_exception_fp_ieee_underflow 0
		.amdhsa_exception_fp_ieee_inexact 0
		.amdhsa_exception_int_div_zero 0
	.end_amdhsa_kernel
	.section	.text._ZN2at6native12_GLOBAL__N_125multi_tensor_apply_kernelINS1_18TensorListMetadataILi2EEENS1_14UnaryOpFunctorIN3c107complexIdEELi2ELi1ELi1EEEJNS0_3SinIS8_EEEEEvT_T0_DpT1_,"axG",@progbits,_ZN2at6native12_GLOBAL__N_125multi_tensor_apply_kernelINS1_18TensorListMetadataILi2EEENS1_14UnaryOpFunctorIN3c107complexIdEELi2ELi1ELi1EEEJNS0_3SinIS8_EEEEEvT_T0_DpT1_,comdat
.Lfunc_end107:
	.size	_ZN2at6native12_GLOBAL__N_125multi_tensor_apply_kernelINS1_18TensorListMetadataILi2EEENS1_14UnaryOpFunctorIN3c107complexIdEELi2ELi1ELi1EEEJNS0_3SinIS8_EEEEEvT_T0_DpT1_, .Lfunc_end107-_ZN2at6native12_GLOBAL__N_125multi_tensor_apply_kernelINS1_18TensorListMetadataILi2EEENS1_14UnaryOpFunctorIN3c107complexIdEELi2ELi1ELi1EEEJNS0_3SinIS8_EEEEEvT_T0_DpT1_
                                        ; -- End function
	.section	.AMDGPU.csdata,"",@progbits
; Kernel info:
; codeLenInByte = 1880
; NumSgprs: 48
; NumVgprs: 90
; ScratchSize: 0
; MemoryBound: 1
; FloatMode: 240
; IeeeMode: 1
; LDSByteSize: 0 bytes/workgroup (compile time only)
; SGPRBlocks: 5
; VGPRBlocks: 11
; NumSGPRsForWavesPerEU: 48
; NumVGPRsForWavesPerEU: 90
; Occupancy: 16
; WaveLimiterHint : 0
; COMPUTE_PGM_RSRC2:SCRATCH_EN: 0
; COMPUTE_PGM_RSRC2:USER_SGPR: 15
; COMPUTE_PGM_RSRC2:TRAP_HANDLER: 0
; COMPUTE_PGM_RSRC2:TGID_X_EN: 1
; COMPUTE_PGM_RSRC2:TGID_Y_EN: 0
; COMPUTE_PGM_RSRC2:TGID_Z_EN: 0
; COMPUTE_PGM_RSRC2:TIDIG_COMP_CNT: 0
	.text
	.p2align	2                               ; -- Begin function _ZN6thrust23THRUST_200600_302600_NS6detail7complex6csinhfERKNS0_7complexIfEE
	.type	_ZN6thrust23THRUST_200600_302600_NS6detail7complex6csinhfERKNS0_7complexIfEE,@function
_ZN6thrust23THRUST_200600_302600_NS6detail7complex6csinhfERKNS0_7complexIfEE: ; @_ZN6thrust23THRUST_200600_302600_NS6detail7complex6csinhfERKNS0_7complexIfEE
; %bb.0:
	s_waitcnt vmcnt(0) expcnt(0) lgkmcnt(0)
	v_and_b32_e32 v4, 0x7fffffff, v0
	v_and_b32_e32 v3, 0x7fffffff, v1
	s_delay_alu instid0(VALU_DEP_2) | instskip(NEXT) | instid1(VALU_DEP_2)
	v_cmp_gt_u32_e64 s0, 0x7f800000, v4
	v_max_u32_e32 v2, v4, v3
	s_delay_alu instid0(VALU_DEP_1) | instskip(SKIP_1) | instid1(SALU_CYCLE_1)
	v_cmp_lt_u32_e32 vcc_lo, 0x7f7fffff, v2
                                        ; implicit-def: $vgpr2
	s_and_saveexec_b32 s1, vcc_lo
	s_xor_b32 s5, exec_lo, s1
	s_cbranch_execz .LBB108_10
; %bb.1:
	v_cmp_ne_u32_e64 s2, 0, v4
	v_cmp_gt_u32_e32 vcc_lo, 0x7f800000, v3
	v_cmp_lt_u32_e64 s1, 0x7f7fffff, v3
                                        ; implicit-def: $vgpr2
	s_delay_alu instid0(VALU_DEP_3) | instskip(NEXT) | instid1(SALU_CYCLE_1)
	s_or_b32 s2, s2, vcc_lo
	s_and_saveexec_b32 s3, s2
	s_delay_alu instid0(SALU_CYCLE_1)
	s_xor_b32 s6, exec_lo, s3
	s_cbranch_execz .LBB108_77
; %bb.2:
	v_cmp_ne_u32_e64 s3, 0, v3
	v_cmp_gt_u32_e64 s4, 0x7f800000, v4
	v_cmp_lt_u32_e64 s2, 0x7f7fffff, v4
                                        ; implicit-def: $vgpr2
	s_delay_alu instid0(VALU_DEP_2) | instskip(NEXT) | instid1(SALU_CYCLE_1)
	s_or_b32 s3, s4, s3
	s_and_saveexec_b32 s4, s3
	s_delay_alu instid0(SALU_CYCLE_1)
	s_xor_b32 s3, exec_lo, s4
	s_cbranch_execz .LBB108_74
; %bb.3:
	s_and_b32 s0, s0, s1
                                        ; implicit-def: $vgpr2
	s_delay_alu instid0(SALU_CYCLE_1) | instskip(NEXT) | instid1(SALU_CYCLE_1)
	s_xor_b32 s0, s0, -1
	s_and_saveexec_b32 s1, s0
	s_delay_alu instid0(SALU_CYCLE_1)
	s_xor_b32 s4, exec_lo, s1
	s_cbranch_execz .LBB108_71
; %bb.4:
	v_and_b32_e32 v2, 0x7fffff, v0
	s_xor_b32 s1, s2, -1
	s_delay_alu instid0(VALU_DEP_1) | instskip(NEXT) | instid1(VALU_DEP_1)
	v_cmp_ne_u32_e64 s0, 0, v2
                                        ; implicit-def: $vgpr2
	s_or_b32 s0, s1, s0
	s_delay_alu instid0(SALU_CYCLE_1) | instskip(NEXT) | instid1(SALU_CYCLE_1)
	s_and_saveexec_b32 s1, s0
	s_xor_b32 s0, exec_lo, s1
; %bb.5:
	v_dual_mul_f32 v2, v0, v0 :: v_dual_sub_f32 v1, v1, v1
	v_add_f32_e32 v0, v0, v0
                                        ; implicit-def: $vgpr3
	s_delay_alu instid0(VALU_DEP_2) | instskip(NEXT) | instid1(VALU_DEP_2)
	v_mul_f32_e32 v2, v2, v1
	v_mul_f32_e32 v1, v0, v1
                                        ; implicit-def: $vgpr0
; %bb.6:
	s_and_not1_saveexec_b32 s7, s0
	s_cbranch_execz .LBB108_70
; %bb.7:
                                        ; implicit-def: $vgpr2
	s_and_saveexec_b32 s0, vcc_lo
	s_delay_alu instid0(SALU_CYCLE_1)
	s_xor_b32 s8, exec_lo, s0
	s_cbranch_execz .LBB108_67
; %bb.8:
	v_cmp_ngt_f32_e64 s9, 0x48000000, |v1|
                                        ; implicit-def: $vgpr4
                                        ; implicit-def: $vgpr2
	s_delay_alu instid0(VALU_DEP_1) | instskip(NEXT) | instid1(SALU_CYCLE_1)
	s_and_saveexec_b32 s0, s9
	s_xor_b32 s10, exec_lo, s0
	s_cbranch_execz .LBB108_60
; %bb.9:
	s_mov_b32 s0, 0x7fffff
	v_mov_b32_e32 v6, 0
	v_and_or_b32 v2, v3, s0, 0x800000
	v_lshrrev_b32_e32 v11, 23, v3
	s_delay_alu instid0(VALU_DEP_2) | instskip(NEXT) | instid1(VALU_DEP_2)
	v_mad_u64_u32 v[4:5], null, 0xfe5163ab, v2, 0
	v_add_nc_u32_e32 v12, 0xffffff88, v11
	s_delay_alu instid0(VALU_DEP_1) | instskip(NEXT) | instid1(VALU_DEP_3)
	v_cmp_lt_u32_e32 vcc_lo, 63, v12
	v_mad_u64_u32 v[7:8], null, 0x3c439041, v2, v[5:6]
	v_cndmask_b32_e64 v13, 0, 0xffffffc0, vcc_lo
	s_delay_alu instid0(VALU_DEP_2) | instskip(NEXT) | instid1(VALU_DEP_2)
	v_mov_b32_e32 v5, v8
	v_add_nc_u32_e32 v13, v13, v12
	s_delay_alu instid0(VALU_DEP_2) | instskip(NEXT) | instid1(VALU_DEP_2)
	v_mad_u64_u32 v[8:9], null, 0xdb629599, v2, v[5:6]
	v_cmp_lt_u32_e64 s0, 31, v13
	s_delay_alu instid0(VALU_DEP_1) | instskip(NEXT) | instid1(VALU_DEP_3)
	v_cndmask_b32_e64 v14, 0, 0xffffffe0, s0
	v_dual_mov_b32 v5, v9 :: v_dual_cndmask_b32 v4, v8, v4
	s_delay_alu instid0(VALU_DEP_2) | instskip(NEXT) | instid1(VALU_DEP_2)
	v_add_nc_u32_e32 v14, v14, v13
	v_mad_u64_u32 v[9:10], null, 0xf534ddc0, v2, v[5:6]
	s_delay_alu instid0(VALU_DEP_2) | instskip(NEXT) | instid1(VALU_DEP_2)
	v_cmp_lt_u32_e64 s1, 31, v14
	v_mov_b32_e32 v5, v10
	s_delay_alu instid0(VALU_DEP_3) | instskip(NEXT) | instid1(VALU_DEP_2)
	v_cndmask_b32_e32 v7, v9, v7, vcc_lo
	v_mad_u64_u32 v[10:11], null, 0xfc2757d1, v2, v[5:6]
	s_delay_alu instid0(VALU_DEP_2) | instskip(NEXT) | instid1(VALU_DEP_2)
	v_cndmask_b32_e64 v4, v7, v4, s0
	v_mov_b32_e32 v5, v11
	s_delay_alu instid0(VALU_DEP_1) | instskip(NEXT) | instid1(VALU_DEP_1)
	v_mad_u64_u32 v[11:12], null, 0x4e441529, v2, v[5:6]
	v_mov_b32_e32 v5, v12
	s_delay_alu instid0(VALU_DEP_1) | instskip(SKIP_1) | instid1(VALU_DEP_1)
	v_mad_u64_u32 v[12:13], null, 0xa2f9836e, v2, v[5:6]
	v_cndmask_b32_e64 v2, 0, 0xffffffe0, s1
	v_dual_cndmask_b32 v5, v11, v9 :: v_dual_add_nc_u32 v2, v2, v14
	s_delay_alu instid0(VALU_DEP_3) | instskip(SKIP_1) | instid1(VALU_DEP_3)
	v_dual_cndmask_b32 v6, v12, v10 :: v_dual_cndmask_b32 v11, v13, v11
	v_cndmask_b32_e32 v10, v10, v8, vcc_lo
	v_cmp_eq_u32_e64 s2, 0, v2
	s_delay_alu instid0(VALU_DEP_3) | instskip(NEXT) | instid1(VALU_DEP_4)
	v_cndmask_b32_e64 v9, v6, v5, s0
	v_cndmask_b32_e64 v6, v11, v6, s0
	s_delay_alu instid0(VALU_DEP_4) | instskip(SKIP_2) | instid1(VALU_DEP_4)
	v_cndmask_b32_e64 v5, v5, v10, s0
	v_sub_nc_u32_e32 v11, 32, v2
	v_cndmask_b32_e64 v10, v10, v7, s0
	v_cndmask_b32_e64 v6, v6, v9, s1
	s_delay_alu instid0(VALU_DEP_4) | instskip(NEXT) | instid1(VALU_DEP_3)
	v_cndmask_b32_e64 v9, v9, v5, s1
	v_cndmask_b32_e64 v5, v5, v10, s1
	;; [unrolled: 1-line block ×3, first 2 shown]
	s_delay_alu instid0(VALU_DEP_3) | instskip(NEXT) | instid1(VALU_DEP_3)
	v_alignbit_b32 v12, v6, v9, v11
	v_alignbit_b32 v13, v9, v5, v11
	s_delay_alu instid0(VALU_DEP_3) | instskip(NEXT) | instid1(VALU_DEP_3)
	v_alignbit_b32 v11, v5, v4, v11
	v_cndmask_b32_e64 v2, v12, v6, s2
	s_delay_alu instid0(VALU_DEP_3) | instskip(NEXT) | instid1(VALU_DEP_3)
	v_cndmask_b32_e64 v6, v13, v9, s2
	v_cndmask_b32_e64 v5, v11, v5, s2
	s_delay_alu instid0(VALU_DEP_3) | instskip(NEXT) | instid1(VALU_DEP_3)
	v_bfe_u32 v8, v2, 29, 1
	v_alignbit_b32 v7, v2, v6, 30
	s_delay_alu instid0(VALU_DEP_3) | instskip(SKIP_1) | instid1(VALU_DEP_4)
	v_alignbit_b32 v6, v6, v5, 30
	v_alignbit_b32 v4, v5, v4, 30
	v_sub_nc_u32_e32 v9, 0, v8
	s_delay_alu instid0(VALU_DEP_1) | instskip(SKIP_3) | instid1(VALU_DEP_4)
	v_xor_b32_e32 v10, v7, v9
	v_cmp_ne_u32_e32 vcc_lo, v7, v9
	v_xor_b32_e32 v5, v6, v9
	v_xor_b32_e32 v4, v4, v9
	v_clz_i32_u32_e32 v12, v10
	s_delay_alu instid0(VALU_DEP_1) | instskip(NEXT) | instid1(VALU_DEP_1)
	v_add_nc_u32_e32 v11, 1, v12
	v_cndmask_b32_e32 v7, 33, v11, vcc_lo
	s_delay_alu instid0(VALU_DEP_1) | instskip(NEXT) | instid1(VALU_DEP_1)
	v_sub_nc_u32_e32 v6, 32, v7
	v_alignbit_b32 v9, v10, v5, v6
	v_alignbit_b32 v4, v5, v4, v6
	v_lshrrev_b32_e32 v5, 29, v2
	s_delay_alu instid0(VALU_DEP_2) | instskip(NEXT) | instid1(VALU_DEP_2)
	v_alignbit_b32 v6, v9, v4, 9
	v_lshlrev_b32_e32 v5, 31, v5
	v_alignbit_b32 v9, v7, v9, 9
	s_delay_alu instid0(VALU_DEP_3) | instskip(NEXT) | instid1(VALU_DEP_2)
	v_clz_i32_u32_e32 v10, v6
	v_or_b32_e32 v9, v9, v5
	v_or_b32_e32 v5, 0x33800000, v5
	s_delay_alu instid0(VALU_DEP_3) | instskip(NEXT) | instid1(VALU_DEP_3)
	v_min_u32_e32 v10, 32, v10
	v_xor_b32_e32 v9, 1.0, v9
	s_delay_alu instid0(VALU_DEP_2) | instskip(SKIP_1) | instid1(VALU_DEP_3)
	v_sub_nc_u32_e32 v11, 31, v10
	v_add_lshl_u32 v7, v10, v7, 23
	v_mul_f32_e32 v10, 0x3fc90fda, v9
	s_delay_alu instid0(VALU_DEP_3) | instskip(NEXT) | instid1(VALU_DEP_3)
	v_alignbit_b32 v4, v6, v4, v11
	v_sub_nc_u32_e32 v5, v5, v7
	s_delay_alu instid0(VALU_DEP_3) | instskip(NEXT) | instid1(VALU_DEP_3)
	v_fma_f32 v6, 0x3fc90fda, v9, -v10
	v_lshrrev_b32_e32 v4, 9, v4
	s_delay_alu instid0(VALU_DEP_2) | instskip(NEXT) | instid1(VALU_DEP_2)
	v_fmamk_f32 v6, v9, 0x33a22168, v6
	v_or_b32_e32 v4, v5, v4
	s_delay_alu instid0(VALU_DEP_1) | instskip(SKIP_1) | instid1(VALU_DEP_2)
	v_fmac_f32_e32 v6, 0x3fc90fda, v4
	v_lshrrev_b32_e32 v4, 30, v2
	v_add_f32_e32 v2, v10, v6
	s_delay_alu instid0(VALU_DEP_2)
	v_add_nc_u32_e32 v4, v8, v4
	s_and_not1_saveexec_b32 s0, s10
	s_branch .LBB108_61
.LBB108_10:
	s_and_not1_saveexec_b32 s3, s5
	s_cbranch_execz .LBB108_80
.LBB108_11:
                                        ; implicit-def: $vgpr2
	s_mov_b32 s0, exec_lo
	v_cmpx_ne_u32_e32 0, v3
	s_xor_b32 s4, exec_lo, s0
	s_cbranch_execz .LBB108_57
; %bb.12:
                                        ; implicit-def: $vgpr2
	s_mov_b32 s0, exec_lo
	v_cmpx_lt_u32_e32 0x410fffff, v4
	s_xor_b32 s5, exec_lo, s0
	s_cbranch_execz .LBB108_46
; %bb.13:
                                        ; implicit-def: $vgpr2
	s_mov_b32 s0, exec_lo
	v_cmpx_lt_u32_e32 0x42b17217, v4
	;; [unrolled: 6-line block ×3, first 2 shown]
	s_xor_b32 s7, exec_lo, s0
	s_cbranch_execz .LBB108_24
; %bb.15:
	v_cmp_ngt_f32_e64 s8, 0x48000000, |v1|
                                        ; implicit-def: $vgpr4
                                        ; implicit-def: $vgpr2
	s_delay_alu instid0(VALU_DEP_1) | instskip(NEXT) | instid1(SALU_CYCLE_1)
	s_and_saveexec_b32 s0, s8
	s_xor_b32 s9, exec_lo, s0
	s_cbranch_execz .LBB108_17
; %bb.16:
	s_mov_b32 s0, 0x7fffff
	v_mov_b32_e32 v6, 0
	v_and_or_b32 v2, v3, s0, 0x800000
	v_lshrrev_b32_e32 v11, 23, v3
	s_delay_alu instid0(VALU_DEP_2) | instskip(NEXT) | instid1(VALU_DEP_2)
	v_mad_u64_u32 v[4:5], null, 0xfe5163ab, v2, 0
	v_add_nc_u32_e32 v12, 0xffffff88, v11
	s_delay_alu instid0(VALU_DEP_1) | instskip(NEXT) | instid1(VALU_DEP_3)
	v_cmp_lt_u32_e32 vcc_lo, 63, v12
	v_mad_u64_u32 v[7:8], null, 0x3c439041, v2, v[5:6]
	v_cndmask_b32_e64 v13, 0, 0xffffffc0, vcc_lo
	s_delay_alu instid0(VALU_DEP_2) | instskip(NEXT) | instid1(VALU_DEP_2)
	v_mov_b32_e32 v5, v8
	v_add_nc_u32_e32 v13, v13, v12
	s_delay_alu instid0(VALU_DEP_2) | instskip(NEXT) | instid1(VALU_DEP_2)
	v_mad_u64_u32 v[8:9], null, 0xdb629599, v2, v[5:6]
	v_cmp_lt_u32_e64 s0, 31, v13
	s_delay_alu instid0(VALU_DEP_1) | instskip(NEXT) | instid1(VALU_DEP_3)
	v_cndmask_b32_e64 v14, 0, 0xffffffe0, s0
	v_dual_mov_b32 v5, v9 :: v_dual_cndmask_b32 v4, v8, v4
	s_delay_alu instid0(VALU_DEP_2) | instskip(NEXT) | instid1(VALU_DEP_2)
	v_add_nc_u32_e32 v14, v14, v13
	v_mad_u64_u32 v[9:10], null, 0xf534ddc0, v2, v[5:6]
	s_delay_alu instid0(VALU_DEP_2) | instskip(NEXT) | instid1(VALU_DEP_2)
	v_cmp_lt_u32_e64 s1, 31, v14
	v_mov_b32_e32 v5, v10
	s_delay_alu instid0(VALU_DEP_3) | instskip(NEXT) | instid1(VALU_DEP_2)
	v_cndmask_b32_e32 v7, v9, v7, vcc_lo
	v_mad_u64_u32 v[10:11], null, 0xfc2757d1, v2, v[5:6]
	s_delay_alu instid0(VALU_DEP_2) | instskip(NEXT) | instid1(VALU_DEP_2)
	v_cndmask_b32_e64 v4, v7, v4, s0
	v_mov_b32_e32 v5, v11
	s_delay_alu instid0(VALU_DEP_1) | instskip(NEXT) | instid1(VALU_DEP_1)
	v_mad_u64_u32 v[11:12], null, 0x4e441529, v2, v[5:6]
	v_mov_b32_e32 v5, v12
	s_delay_alu instid0(VALU_DEP_1) | instskip(SKIP_1) | instid1(VALU_DEP_1)
	v_mad_u64_u32 v[12:13], null, 0xa2f9836e, v2, v[5:6]
	v_cndmask_b32_e64 v2, 0, 0xffffffe0, s1
	v_dual_cndmask_b32 v5, v11, v9 :: v_dual_add_nc_u32 v2, v2, v14
	s_delay_alu instid0(VALU_DEP_3) | instskip(SKIP_1) | instid1(VALU_DEP_3)
	v_dual_cndmask_b32 v6, v12, v10 :: v_dual_cndmask_b32 v11, v13, v11
	v_cndmask_b32_e32 v10, v10, v8, vcc_lo
	v_cmp_eq_u32_e64 s2, 0, v2
	s_delay_alu instid0(VALU_DEP_3) | instskip(NEXT) | instid1(VALU_DEP_4)
	v_cndmask_b32_e64 v9, v6, v5, s0
	v_cndmask_b32_e64 v6, v11, v6, s0
	s_delay_alu instid0(VALU_DEP_4) | instskip(SKIP_2) | instid1(VALU_DEP_4)
	v_cndmask_b32_e64 v5, v5, v10, s0
	v_sub_nc_u32_e32 v11, 32, v2
	v_cndmask_b32_e64 v10, v10, v7, s0
	v_cndmask_b32_e64 v6, v6, v9, s1
	s_delay_alu instid0(VALU_DEP_4) | instskip(NEXT) | instid1(VALU_DEP_3)
	v_cndmask_b32_e64 v9, v9, v5, s1
	v_cndmask_b32_e64 v5, v5, v10, s1
	;; [unrolled: 1-line block ×3, first 2 shown]
	s_delay_alu instid0(VALU_DEP_3) | instskip(NEXT) | instid1(VALU_DEP_3)
	v_alignbit_b32 v12, v6, v9, v11
	v_alignbit_b32 v13, v9, v5, v11
	s_delay_alu instid0(VALU_DEP_3) | instskip(NEXT) | instid1(VALU_DEP_3)
	v_alignbit_b32 v11, v5, v4, v11
	v_cndmask_b32_e64 v2, v12, v6, s2
	s_delay_alu instid0(VALU_DEP_3) | instskip(NEXT) | instid1(VALU_DEP_3)
	v_cndmask_b32_e64 v6, v13, v9, s2
	v_cndmask_b32_e64 v5, v11, v5, s2
	s_delay_alu instid0(VALU_DEP_3) | instskip(NEXT) | instid1(VALU_DEP_3)
	v_bfe_u32 v8, v2, 29, 1
	v_alignbit_b32 v7, v2, v6, 30
	s_delay_alu instid0(VALU_DEP_3) | instskip(SKIP_1) | instid1(VALU_DEP_4)
	v_alignbit_b32 v6, v6, v5, 30
	v_alignbit_b32 v4, v5, v4, 30
	v_sub_nc_u32_e32 v9, 0, v8
	s_delay_alu instid0(VALU_DEP_1) | instskip(SKIP_3) | instid1(VALU_DEP_4)
	v_xor_b32_e32 v10, v7, v9
	v_cmp_ne_u32_e32 vcc_lo, v7, v9
	v_xor_b32_e32 v5, v6, v9
	v_xor_b32_e32 v4, v4, v9
	v_clz_i32_u32_e32 v12, v10
	s_delay_alu instid0(VALU_DEP_1) | instskip(NEXT) | instid1(VALU_DEP_1)
	v_add_nc_u32_e32 v11, 1, v12
	v_cndmask_b32_e32 v7, 33, v11, vcc_lo
	s_delay_alu instid0(VALU_DEP_1) | instskip(NEXT) | instid1(VALU_DEP_1)
	v_sub_nc_u32_e32 v6, 32, v7
	v_alignbit_b32 v9, v10, v5, v6
	v_alignbit_b32 v4, v5, v4, v6
	v_lshrrev_b32_e32 v5, 29, v2
	s_delay_alu instid0(VALU_DEP_2) | instskip(NEXT) | instid1(VALU_DEP_2)
	v_alignbit_b32 v6, v9, v4, 9
	v_lshlrev_b32_e32 v5, 31, v5
	v_alignbit_b32 v9, v7, v9, 9
	s_delay_alu instid0(VALU_DEP_3) | instskip(NEXT) | instid1(VALU_DEP_2)
	v_clz_i32_u32_e32 v10, v6
	v_or_b32_e32 v9, v9, v5
	v_or_b32_e32 v5, 0x33800000, v5
	s_delay_alu instid0(VALU_DEP_3) | instskip(NEXT) | instid1(VALU_DEP_3)
	v_min_u32_e32 v10, 32, v10
	v_xor_b32_e32 v9, 1.0, v9
	s_delay_alu instid0(VALU_DEP_2) | instskip(SKIP_1) | instid1(VALU_DEP_3)
	v_sub_nc_u32_e32 v11, 31, v10
	v_add_lshl_u32 v7, v10, v7, 23
	v_mul_f32_e32 v10, 0x3fc90fda, v9
	s_delay_alu instid0(VALU_DEP_3) | instskip(NEXT) | instid1(VALU_DEP_3)
	v_alignbit_b32 v4, v6, v4, v11
	v_sub_nc_u32_e32 v5, v5, v7
	s_delay_alu instid0(VALU_DEP_3) | instskip(NEXT) | instid1(VALU_DEP_3)
	v_fma_f32 v6, 0x3fc90fda, v9, -v10
	v_lshrrev_b32_e32 v4, 9, v4
	s_delay_alu instid0(VALU_DEP_2) | instskip(NEXT) | instid1(VALU_DEP_2)
	v_fmamk_f32 v6, v9, 0x33a22168, v6
	v_or_b32_e32 v4, v5, v4
	s_delay_alu instid0(VALU_DEP_1) | instskip(SKIP_1) | instid1(VALU_DEP_2)
	v_fmac_f32_e32 v6, 0x3fc90fda, v4
	v_lshrrev_b32_e32 v4, 30, v2
	v_add_f32_e32 v2, v10, v6
	s_delay_alu instid0(VALU_DEP_2)
	v_add_nc_u32_e32 v4, v8, v4
	s_and_not1_saveexec_b32 s0, s9
	s_branch .LBB108_18
.LBB108_17:
	s_and_not1_saveexec_b32 s0, s9
.LBB108_18:
	v_mul_f32_e64 v2, 0x3f22f983, |v1|
	s_delay_alu instid0(VALU_DEP_1) | instskip(NEXT) | instid1(VALU_DEP_1)
	v_rndne_f32_e32 v4, v2
	v_fma_f32 v2, 0xbfc90fda, v4, |v1|
	s_delay_alu instid0(VALU_DEP_1) | instskip(NEXT) | instid1(VALU_DEP_1)
	v_fmamk_f32 v2, v4, 0xb3a22168, v2
	v_fmamk_f32 v2, v4, 0xa7c234c4, v2
	v_cvt_i32_f32_e32 v4, v4
; %bb.19:
	s_or_b32 exec_lo, exec_lo, s0
                                        ; implicit-def: $vgpr6
                                        ; implicit-def: $vgpr5
	s_and_saveexec_b32 s0, s8
	s_delay_alu instid0(SALU_CYCLE_1)
	s_xor_b32 s8, exec_lo, s0
	s_cbranch_execz .LBB108_21
; %bb.20:
	s_mov_b32 s0, 0x7fffff
	v_mov_b32_e32 v7, 0
	v_and_or_b32 v15, v3, s0, 0x800000
	v_lshrrev_b32_e32 v12, 23, v3
	s_delay_alu instid0(VALU_DEP_2) | instskip(NEXT) | instid1(VALU_DEP_2)
	v_mad_u64_u32 v[5:6], null, 0xfe5163ab, v15, 0
	v_add_nc_u32_e32 v13, 0xffffff88, v12
	s_delay_alu instid0(VALU_DEP_1) | instskip(NEXT) | instid1(VALU_DEP_3)
	v_cmp_lt_u32_e32 vcc_lo, 63, v13
	v_mad_u64_u32 v[8:9], null, 0x3c439041, v15, v[6:7]
	v_cndmask_b32_e64 v14, 0, 0xffffffc0, vcc_lo
	s_delay_alu instid0(VALU_DEP_2) | instskip(NEXT) | instid1(VALU_DEP_2)
	v_mov_b32_e32 v6, v9
	v_add_nc_u32_e32 v14, v14, v13
	s_delay_alu instid0(VALU_DEP_2) | instskip(NEXT) | instid1(VALU_DEP_2)
	v_mad_u64_u32 v[9:10], null, 0xdb629599, v15, v[6:7]
	v_cmp_lt_u32_e64 s0, 31, v14
	s_delay_alu instid0(VALU_DEP_1) | instskip(NEXT) | instid1(VALU_DEP_3)
	v_cndmask_b32_e64 v16, 0, 0xffffffe0, s0
	v_dual_mov_b32 v6, v10 :: v_dual_cndmask_b32 v5, v9, v5
	s_delay_alu instid0(VALU_DEP_2) | instskip(NEXT) | instid1(VALU_DEP_2)
	v_add_nc_u32_e32 v16, v16, v14
	v_mad_u64_u32 v[10:11], null, 0xf534ddc0, v15, v[6:7]
	s_delay_alu instid0(VALU_DEP_2) | instskip(NEXT) | instid1(VALU_DEP_2)
	v_cmp_lt_u32_e64 s1, 31, v16
	v_mov_b32_e32 v6, v11
	s_delay_alu instid0(VALU_DEP_3) | instskip(NEXT) | instid1(VALU_DEP_2)
	v_cndmask_b32_e32 v8, v10, v8, vcc_lo
	v_mad_u64_u32 v[11:12], null, 0xfc2757d1, v15, v[6:7]
	s_delay_alu instid0(VALU_DEP_2) | instskip(NEXT) | instid1(VALU_DEP_2)
	v_cndmask_b32_e64 v5, v8, v5, s0
	v_mov_b32_e32 v6, v12
	s_delay_alu instid0(VALU_DEP_1) | instskip(NEXT) | instid1(VALU_DEP_1)
	v_mad_u64_u32 v[12:13], null, 0x4e441529, v15, v[6:7]
	v_mov_b32_e32 v6, v13
	s_delay_alu instid0(VALU_DEP_1) | instskip(SKIP_1) | instid1(VALU_DEP_1)
	v_mad_u64_u32 v[13:14], null, 0xa2f9836e, v15, v[6:7]
	v_cndmask_b32_e64 v6, 0, 0xffffffe0, s1
	v_dual_cndmask_b32 v7, v12, v10 :: v_dual_add_nc_u32 v6, v6, v16
	s_delay_alu instid0(VALU_DEP_3) | instskip(NEXT) | instid1(VALU_DEP_4)
	v_cndmask_b32_e32 v13, v13, v11, vcc_lo
	v_dual_cndmask_b32 v11, v11, v9 :: v_dual_cndmask_b32 v12, v14, v12
	s_delay_alu instid0(VALU_DEP_3) | instskip(NEXT) | instid1(VALU_DEP_3)
	v_cmp_eq_u32_e64 s2, 0, v6
	v_cndmask_b32_e64 v10, v13, v7, s0
	s_delay_alu instid0(VALU_DEP_3) | instskip(NEXT) | instid1(VALU_DEP_4)
	v_cndmask_b32_e64 v7, v7, v11, s0
	v_cndmask_b32_e64 v12, v12, v13, s0
	v_sub_nc_u32_e32 v13, 32, v6
	v_cndmask_b32_e64 v11, v11, v8, s0
	s_delay_alu instid0(VALU_DEP_3) | instskip(SKIP_1) | instid1(VALU_DEP_3)
	v_cndmask_b32_e64 v12, v12, v10, s1
	v_cndmask_b32_e64 v10, v10, v7, s1
	;; [unrolled: 1-line block ×4, first 2 shown]
	s_delay_alu instid0(VALU_DEP_3) | instskip(NEXT) | instid1(VALU_DEP_3)
	v_alignbit_b32 v14, v12, v10, v13
	v_alignbit_b32 v15, v10, v7, v13
	s_delay_alu instid0(VALU_DEP_3) | instskip(NEXT) | instid1(VALU_DEP_3)
	v_alignbit_b32 v13, v7, v5, v13
	v_cndmask_b32_e64 v6, v14, v12, s2
	s_delay_alu instid0(VALU_DEP_3) | instskip(NEXT) | instid1(VALU_DEP_3)
	v_cndmask_b32_e64 v9, v15, v10, s2
	v_cndmask_b32_e64 v7, v13, v7, s2
	s_delay_alu instid0(VALU_DEP_3) | instskip(NEXT) | instid1(VALU_DEP_3)
	v_bfe_u32 v10, v6, 29, 1
	v_alignbit_b32 v8, v6, v9, 30
	s_delay_alu instid0(VALU_DEP_3) | instskip(SKIP_1) | instid1(VALU_DEP_4)
	v_alignbit_b32 v9, v9, v7, 30
	v_alignbit_b32 v5, v7, v5, 30
	v_sub_nc_u32_e32 v12, 0, v10
	s_delay_alu instid0(VALU_DEP_1) | instskip(SKIP_3) | instid1(VALU_DEP_4)
	v_xor_b32_e32 v11, v8, v12
	v_cmp_ne_u32_e32 vcc_lo, v8, v12
	v_xor_b32_e32 v7, v9, v12
	v_xor_b32_e32 v5, v5, v12
	v_clz_i32_u32_e32 v14, v11
	s_delay_alu instid0(VALU_DEP_1) | instskip(NEXT) | instid1(VALU_DEP_1)
	v_add_nc_u32_e32 v13, 1, v14
	v_cndmask_b32_e32 v8, 33, v13, vcc_lo
	s_delay_alu instid0(VALU_DEP_1) | instskip(NEXT) | instid1(VALU_DEP_1)
	v_sub_nc_u32_e32 v9, 32, v8
	v_alignbit_b32 v11, v11, v7, v9
	v_alignbit_b32 v5, v7, v5, v9
	v_lshrrev_b32_e32 v7, 29, v6
	v_lshrrev_b32_e32 v6, 30, v6
	s_delay_alu instid0(VALU_DEP_3) | instskip(NEXT) | instid1(VALU_DEP_3)
	v_alignbit_b32 v9, v11, v5, 9
	v_lshlrev_b32_e32 v7, 31, v7
	v_alignbit_b32 v11, v8, v11, 9
	s_delay_alu instid0(VALU_DEP_4) | instskip(NEXT) | instid1(VALU_DEP_4)
	v_add_nc_u32_e32 v6, v10, v6
	v_clz_i32_u32_e32 v12, v9
	s_delay_alu instid0(VALU_DEP_3) | instskip(SKIP_1) | instid1(VALU_DEP_3)
	v_or_b32_e32 v11, v11, v7
	v_or_b32_e32 v7, 0x33800000, v7
	v_min_u32_e32 v12, 32, v12
	s_delay_alu instid0(VALU_DEP_3) | instskip(NEXT) | instid1(VALU_DEP_2)
	v_xor_b32_e32 v11, 1.0, v11
	v_sub_nc_u32_e32 v13, 31, v12
	v_add_lshl_u32 v8, v12, v8, 23
	s_delay_alu instid0(VALU_DEP_3) | instskip(NEXT) | instid1(VALU_DEP_3)
	v_mul_f32_e32 v12, 0x3fc90fda, v11
	v_alignbit_b32 v5, v9, v5, v13
	s_delay_alu instid0(VALU_DEP_3) | instskip(NEXT) | instid1(VALU_DEP_3)
	v_sub_nc_u32_e32 v7, v7, v8
	v_fma_f32 v8, 0x3fc90fda, v11, -v12
	s_delay_alu instid0(VALU_DEP_3) | instskip(NEXT) | instid1(VALU_DEP_2)
	v_lshrrev_b32_e32 v5, 9, v5
	v_fmamk_f32 v8, v11, 0x33a22168, v8
	s_delay_alu instid0(VALU_DEP_2) | instskip(NEXT) | instid1(VALU_DEP_1)
	v_or_b32_e32 v5, v7, v5
	v_fmac_f32_e32 v8, 0x3fc90fda, v5
	s_delay_alu instid0(VALU_DEP_1)
	v_add_f32_e32 v5, v12, v8
	s_and_not1_saveexec_b32 s0, s8
	s_cbranch_execnz .LBB108_22
	s_branch .LBB108_23
.LBB108_21:
	s_and_not1_saveexec_b32 s0, s8
.LBB108_22:
	v_mul_f32_e64 v5, 0x3f22f983, |v1|
	s_delay_alu instid0(VALU_DEP_1) | instskip(NEXT) | instid1(VALU_DEP_1)
	v_rndne_f32_e32 v6, v5
	v_fma_f32 v5, 0xbfc90fda, v6, |v1|
	s_delay_alu instid0(VALU_DEP_1) | instskip(NEXT) | instid1(VALU_DEP_1)
	v_fmamk_f32 v5, v6, 0xb3a22168, v5
	v_fmamk_f32 v5, v6, 0xa7c234c4, v5
	v_cvt_i32_f32_e32 v6, v6
.LBB108_23:
	s_or_b32 exec_lo, exec_lo, s0
	s_delay_alu instid0(VALU_DEP_1) | instskip(SKIP_3) | instid1(VALU_DEP_2)
	v_dual_mul_f32 v7, v2, v2 :: v_dual_mul_f32 v8, v5, v5
	s_mov_b32 s0, 0xb94c1982
	s_mov_b32 s1, 0x37d75334
	v_mul_f32_e32 v0, 0x7f000000, v0
	v_dual_fmaak_f32 v9, s0, v7, 0x3c0881c4 :: v_dual_fmaak_f32 v12, s0, v8, 0x3c0881c4
	v_dual_fmaak_f32 v10, s1, v7, 0xbab64f3b :: v_dual_and_b32 v11, 1, v4
	v_dual_fmaak_f32 v13, s1, v8, 0xbab64f3b :: v_dual_and_b32 v14, 1, v6
	s_delay_alu instid0(VALU_DEP_3) | instskip(NEXT) | instid1(VALU_DEP_2)
	v_dual_fmaak_f32 v9, v7, v9, 0xbe2aaa9d :: v_dual_lshlrev_b32 v4, 30, v4
	v_dual_fmaak_f32 v10, v7, v10, 0x3d2aabf7 :: v_dual_fmaak_f32 v13, v8, v13, 0x3d2aabf7
	s_delay_alu instid0(VALU_DEP_2) | instskip(SKIP_1) | instid1(VALU_DEP_3)
	v_dual_fmaak_f32 v12, v8, v12, 0xbe2aaa9d :: v_dual_mul_f32 v9, v7, v9
	v_cmp_eq_u32_e32 vcc_lo, 0, v11
	v_dual_fmaak_f32 v10, v7, v10, 0xbf000004 :: v_dual_fmaak_f32 v13, v8, v13, 0xbf000004
	s_delay_alu instid0(VALU_DEP_3) | instskip(NEXT) | instid1(VALU_DEP_4)
	v_mul_f32_e32 v12, v8, v12
	v_fmac_f32_e32 v2, v2, v9
	s_delay_alu instid0(VALU_DEP_3) | instskip(NEXT) | instid1(VALU_DEP_4)
	v_fma_f32 v7, v7, v10, 1.0
	v_fma_f32 v8, v8, v13, 1.0
	s_delay_alu instid0(VALU_DEP_4) | instskip(NEXT) | instid1(VALU_DEP_3)
	v_fmac_f32_e32 v5, v5, v12
	v_cndmask_b32_e64 v2, -v2, v7, vcc_lo
	v_cmp_eq_u32_e32 vcc_lo, 0, v14
	s_delay_alu instid0(VALU_DEP_3) | instskip(NEXT) | instid1(VALU_DEP_1)
	v_dual_cndmask_b32 v5, v8, v5 :: v_dual_lshlrev_b32 v6, 30, v6
	v_and_or_b32 v3, 0x80000000, v6, v3
	v_cmp_class_f32_e64 vcc_lo, v1, 0x1f8
	s_delay_alu instid0(VALU_DEP_2) | instskip(SKIP_1) | instid1(VALU_DEP_2)
	v_xor3_b32 v3, v3, v5, v1
	v_mul_f32_e32 v1, v0, v0
	v_cndmask_b32_e32 v3, 0x7fc00000, v3, vcc_lo
	s_delay_alu instid0(VALU_DEP_1) | instskip(NEXT) | instid1(VALU_DEP_1)
	v_dual_mul_f32 v1, v1, v3 :: v_dual_and_b32 v4, 0x80000000, v4
	v_xor_b32_e32 v2, v4, v2
                                        ; implicit-def: $vgpr3
	s_delay_alu instid0(VALU_DEP_1) | instskip(NEXT) | instid1(VALU_DEP_1)
	v_cndmask_b32_e32 v2, 0x7fc00000, v2, vcc_lo
	v_mul_f32_e32 v2, v0, v2
                                        ; implicit-def: $vgpr0
.LBB108_24:
	s_and_not1_saveexec_b32 s7, s7
	s_cbranch_execz .LBB108_34
; %bb.25:
	v_cmp_ngt_f32_e64 s8, 0x48000000, |v1|
                                        ; implicit-def: $vgpr4
                                        ; implicit-def: $vgpr2
	s_delay_alu instid0(VALU_DEP_1) | instskip(NEXT) | instid1(SALU_CYCLE_1)
	s_and_saveexec_b32 s0, s8
	s_xor_b32 s9, exec_lo, s0
	s_cbranch_execz .LBB108_27
; %bb.26:
	s_mov_b32 s0, 0x7fffff
	v_mov_b32_e32 v6, 0
	v_and_or_b32 v2, v3, s0, 0x800000
	v_lshrrev_b32_e32 v11, 23, v3
	s_delay_alu instid0(VALU_DEP_2) | instskip(NEXT) | instid1(VALU_DEP_2)
	v_mad_u64_u32 v[4:5], null, 0xfe5163ab, v2, 0
	v_add_nc_u32_e32 v12, 0xffffff88, v11
	s_delay_alu instid0(VALU_DEP_1) | instskip(NEXT) | instid1(VALU_DEP_3)
	v_cmp_lt_u32_e32 vcc_lo, 63, v12
	v_mad_u64_u32 v[7:8], null, 0x3c439041, v2, v[5:6]
	v_cndmask_b32_e64 v13, 0, 0xffffffc0, vcc_lo
	s_delay_alu instid0(VALU_DEP_2) | instskip(NEXT) | instid1(VALU_DEP_2)
	v_mov_b32_e32 v5, v8
	v_add_nc_u32_e32 v13, v13, v12
	s_delay_alu instid0(VALU_DEP_2) | instskip(NEXT) | instid1(VALU_DEP_2)
	v_mad_u64_u32 v[8:9], null, 0xdb629599, v2, v[5:6]
	v_cmp_lt_u32_e64 s0, 31, v13
	s_delay_alu instid0(VALU_DEP_1) | instskip(NEXT) | instid1(VALU_DEP_3)
	v_cndmask_b32_e64 v14, 0, 0xffffffe0, s0
	v_dual_mov_b32 v5, v9 :: v_dual_cndmask_b32 v4, v8, v4
	s_delay_alu instid0(VALU_DEP_2) | instskip(NEXT) | instid1(VALU_DEP_2)
	v_add_nc_u32_e32 v14, v14, v13
	v_mad_u64_u32 v[9:10], null, 0xf534ddc0, v2, v[5:6]
	s_delay_alu instid0(VALU_DEP_2) | instskip(NEXT) | instid1(VALU_DEP_2)
	v_cmp_lt_u32_e64 s1, 31, v14
	v_mov_b32_e32 v5, v10
	s_delay_alu instid0(VALU_DEP_3) | instskip(NEXT) | instid1(VALU_DEP_2)
	v_cndmask_b32_e32 v7, v9, v7, vcc_lo
	v_mad_u64_u32 v[10:11], null, 0xfc2757d1, v2, v[5:6]
	s_delay_alu instid0(VALU_DEP_2) | instskip(NEXT) | instid1(VALU_DEP_2)
	v_cndmask_b32_e64 v4, v7, v4, s0
	v_mov_b32_e32 v5, v11
	s_delay_alu instid0(VALU_DEP_1) | instskip(NEXT) | instid1(VALU_DEP_1)
	v_mad_u64_u32 v[11:12], null, 0x4e441529, v2, v[5:6]
	v_mov_b32_e32 v5, v12
	s_delay_alu instid0(VALU_DEP_1) | instskip(SKIP_1) | instid1(VALU_DEP_1)
	v_mad_u64_u32 v[12:13], null, 0xa2f9836e, v2, v[5:6]
	v_cndmask_b32_e64 v2, 0, 0xffffffe0, s1
	v_dual_cndmask_b32 v5, v11, v9 :: v_dual_add_nc_u32 v2, v2, v14
	s_delay_alu instid0(VALU_DEP_3) | instskip(SKIP_1) | instid1(VALU_DEP_3)
	v_dual_cndmask_b32 v6, v12, v10 :: v_dual_cndmask_b32 v11, v13, v11
	v_cndmask_b32_e32 v10, v10, v8, vcc_lo
	v_cmp_eq_u32_e64 s2, 0, v2
	s_delay_alu instid0(VALU_DEP_3) | instskip(NEXT) | instid1(VALU_DEP_4)
	v_cndmask_b32_e64 v9, v6, v5, s0
	v_cndmask_b32_e64 v6, v11, v6, s0
	s_delay_alu instid0(VALU_DEP_4) | instskip(SKIP_2) | instid1(VALU_DEP_4)
	v_cndmask_b32_e64 v5, v5, v10, s0
	v_sub_nc_u32_e32 v11, 32, v2
	v_cndmask_b32_e64 v10, v10, v7, s0
	v_cndmask_b32_e64 v6, v6, v9, s1
	s_delay_alu instid0(VALU_DEP_4) | instskip(NEXT) | instid1(VALU_DEP_3)
	v_cndmask_b32_e64 v9, v9, v5, s1
	v_cndmask_b32_e64 v5, v5, v10, s1
	;; [unrolled: 1-line block ×3, first 2 shown]
	s_delay_alu instid0(VALU_DEP_3) | instskip(NEXT) | instid1(VALU_DEP_3)
	v_alignbit_b32 v12, v6, v9, v11
	v_alignbit_b32 v13, v9, v5, v11
	s_delay_alu instid0(VALU_DEP_3) | instskip(NEXT) | instid1(VALU_DEP_3)
	v_alignbit_b32 v11, v5, v4, v11
	v_cndmask_b32_e64 v2, v12, v6, s2
	s_delay_alu instid0(VALU_DEP_3) | instskip(NEXT) | instid1(VALU_DEP_3)
	v_cndmask_b32_e64 v6, v13, v9, s2
	v_cndmask_b32_e64 v5, v11, v5, s2
	s_delay_alu instid0(VALU_DEP_3) | instskip(NEXT) | instid1(VALU_DEP_3)
	v_bfe_u32 v8, v2, 29, 1
	v_alignbit_b32 v7, v2, v6, 30
	s_delay_alu instid0(VALU_DEP_3) | instskip(SKIP_1) | instid1(VALU_DEP_4)
	v_alignbit_b32 v6, v6, v5, 30
	v_alignbit_b32 v4, v5, v4, 30
	v_sub_nc_u32_e32 v9, 0, v8
	s_delay_alu instid0(VALU_DEP_1) | instskip(SKIP_3) | instid1(VALU_DEP_4)
	v_xor_b32_e32 v10, v7, v9
	v_cmp_ne_u32_e32 vcc_lo, v7, v9
	v_xor_b32_e32 v5, v6, v9
	v_xor_b32_e32 v4, v4, v9
	v_clz_i32_u32_e32 v12, v10
	s_delay_alu instid0(VALU_DEP_1) | instskip(NEXT) | instid1(VALU_DEP_1)
	v_add_nc_u32_e32 v11, 1, v12
	v_cndmask_b32_e32 v7, 33, v11, vcc_lo
	s_delay_alu instid0(VALU_DEP_1) | instskip(NEXT) | instid1(VALU_DEP_1)
	v_sub_nc_u32_e32 v6, 32, v7
	v_alignbit_b32 v9, v10, v5, v6
	v_alignbit_b32 v4, v5, v4, v6
	v_lshrrev_b32_e32 v5, 29, v2
	s_delay_alu instid0(VALU_DEP_2) | instskip(NEXT) | instid1(VALU_DEP_2)
	v_alignbit_b32 v6, v9, v4, 9
	v_lshlrev_b32_e32 v5, 31, v5
	v_alignbit_b32 v9, v7, v9, 9
	s_delay_alu instid0(VALU_DEP_3) | instskip(NEXT) | instid1(VALU_DEP_2)
	v_clz_i32_u32_e32 v10, v6
	v_or_b32_e32 v9, v9, v5
	v_or_b32_e32 v5, 0x33800000, v5
	s_delay_alu instid0(VALU_DEP_3) | instskip(NEXT) | instid1(VALU_DEP_3)
	v_min_u32_e32 v10, 32, v10
	v_xor_b32_e32 v9, 1.0, v9
	s_delay_alu instid0(VALU_DEP_2) | instskip(SKIP_1) | instid1(VALU_DEP_3)
	v_sub_nc_u32_e32 v11, 31, v10
	v_add_lshl_u32 v7, v10, v7, 23
	v_mul_f32_e32 v10, 0x3fc90fda, v9
	s_delay_alu instid0(VALU_DEP_3) | instskip(NEXT) | instid1(VALU_DEP_3)
	v_alignbit_b32 v4, v6, v4, v11
	v_sub_nc_u32_e32 v5, v5, v7
	s_delay_alu instid0(VALU_DEP_3) | instskip(NEXT) | instid1(VALU_DEP_3)
	v_fma_f32 v6, 0x3fc90fda, v9, -v10
	v_lshrrev_b32_e32 v4, 9, v4
	s_delay_alu instid0(VALU_DEP_2) | instskip(NEXT) | instid1(VALU_DEP_2)
	v_fmamk_f32 v6, v9, 0x33a22168, v6
	v_or_b32_e32 v4, v5, v4
	s_delay_alu instid0(VALU_DEP_1) | instskip(SKIP_1) | instid1(VALU_DEP_2)
	v_fmac_f32_e32 v6, 0x3fc90fda, v4
	v_lshrrev_b32_e32 v4, 30, v2
	v_add_f32_e32 v2, v10, v6
	s_delay_alu instid0(VALU_DEP_2)
	v_add_nc_u32_e32 v4, v8, v4
	s_and_not1_saveexec_b32 s0, s9
	s_branch .LBB108_28
.LBB108_27:
	s_and_not1_saveexec_b32 s0, s9
.LBB108_28:
	v_mul_f32_e64 v2, 0x3f22f983, |v1|
	s_delay_alu instid0(VALU_DEP_1) | instskip(NEXT) | instid1(VALU_DEP_1)
	v_rndne_f32_e32 v4, v2
	v_fma_f32 v2, 0xbfc90fda, v4, |v1|
	s_delay_alu instid0(VALU_DEP_1) | instskip(NEXT) | instid1(VALU_DEP_1)
	v_fmamk_f32 v2, v4, 0xb3a22168, v2
	v_fmamk_f32 v2, v4, 0xa7c234c4, v2
	v_cvt_i32_f32_e32 v4, v4
; %bb.29:
	s_or_b32 exec_lo, exec_lo, s0
                                        ; implicit-def: $vgpr6
                                        ; implicit-def: $vgpr5
	s_and_saveexec_b32 s0, s8
	s_delay_alu instid0(SALU_CYCLE_1)
	s_xor_b32 s8, exec_lo, s0
	s_cbranch_execz .LBB108_31
; %bb.30:
	s_mov_b32 s0, 0x7fffff
	v_mov_b32_e32 v7, 0
	v_and_or_b32 v15, v3, s0, 0x800000
	v_lshrrev_b32_e32 v12, 23, v3
	s_delay_alu instid0(VALU_DEP_2) | instskip(NEXT) | instid1(VALU_DEP_2)
	v_mad_u64_u32 v[5:6], null, 0xfe5163ab, v15, 0
	v_add_nc_u32_e32 v13, 0xffffff88, v12
	s_delay_alu instid0(VALU_DEP_1) | instskip(NEXT) | instid1(VALU_DEP_3)
	v_cmp_lt_u32_e32 vcc_lo, 63, v13
	v_mad_u64_u32 v[8:9], null, 0x3c439041, v15, v[6:7]
	v_cndmask_b32_e64 v14, 0, 0xffffffc0, vcc_lo
	s_delay_alu instid0(VALU_DEP_2) | instskip(NEXT) | instid1(VALU_DEP_2)
	v_mov_b32_e32 v6, v9
	v_add_nc_u32_e32 v14, v14, v13
	s_delay_alu instid0(VALU_DEP_2) | instskip(NEXT) | instid1(VALU_DEP_2)
	v_mad_u64_u32 v[9:10], null, 0xdb629599, v15, v[6:7]
	v_cmp_lt_u32_e64 s0, 31, v14
	s_delay_alu instid0(VALU_DEP_1) | instskip(NEXT) | instid1(VALU_DEP_3)
	v_cndmask_b32_e64 v16, 0, 0xffffffe0, s0
	v_dual_mov_b32 v6, v10 :: v_dual_cndmask_b32 v5, v9, v5
	s_delay_alu instid0(VALU_DEP_2) | instskip(NEXT) | instid1(VALU_DEP_2)
	v_add_nc_u32_e32 v16, v16, v14
	v_mad_u64_u32 v[10:11], null, 0xf534ddc0, v15, v[6:7]
	s_delay_alu instid0(VALU_DEP_2) | instskip(NEXT) | instid1(VALU_DEP_2)
	v_cmp_lt_u32_e64 s1, 31, v16
	v_mov_b32_e32 v6, v11
	s_delay_alu instid0(VALU_DEP_3) | instskip(NEXT) | instid1(VALU_DEP_2)
	v_cndmask_b32_e32 v8, v10, v8, vcc_lo
	v_mad_u64_u32 v[11:12], null, 0xfc2757d1, v15, v[6:7]
	s_delay_alu instid0(VALU_DEP_2) | instskip(NEXT) | instid1(VALU_DEP_2)
	v_cndmask_b32_e64 v5, v8, v5, s0
	v_mov_b32_e32 v6, v12
	s_delay_alu instid0(VALU_DEP_1) | instskip(NEXT) | instid1(VALU_DEP_1)
	v_mad_u64_u32 v[12:13], null, 0x4e441529, v15, v[6:7]
	v_mov_b32_e32 v6, v13
	s_delay_alu instid0(VALU_DEP_1) | instskip(SKIP_1) | instid1(VALU_DEP_1)
	v_mad_u64_u32 v[13:14], null, 0xa2f9836e, v15, v[6:7]
	v_cndmask_b32_e64 v6, 0, 0xffffffe0, s1
	v_dual_cndmask_b32 v7, v12, v10 :: v_dual_add_nc_u32 v6, v6, v16
	s_delay_alu instid0(VALU_DEP_3) | instskip(NEXT) | instid1(VALU_DEP_4)
	v_cndmask_b32_e32 v13, v13, v11, vcc_lo
	v_dual_cndmask_b32 v11, v11, v9 :: v_dual_cndmask_b32 v12, v14, v12
	s_delay_alu instid0(VALU_DEP_3) | instskip(NEXT) | instid1(VALU_DEP_3)
	v_cmp_eq_u32_e64 s2, 0, v6
	v_cndmask_b32_e64 v10, v13, v7, s0
	s_delay_alu instid0(VALU_DEP_3) | instskip(NEXT) | instid1(VALU_DEP_4)
	v_cndmask_b32_e64 v7, v7, v11, s0
	v_cndmask_b32_e64 v12, v12, v13, s0
	v_sub_nc_u32_e32 v13, 32, v6
	v_cndmask_b32_e64 v11, v11, v8, s0
	s_delay_alu instid0(VALU_DEP_3) | instskip(SKIP_1) | instid1(VALU_DEP_3)
	v_cndmask_b32_e64 v12, v12, v10, s1
	v_cndmask_b32_e64 v10, v10, v7, s1
	;; [unrolled: 1-line block ×4, first 2 shown]
	s_delay_alu instid0(VALU_DEP_3) | instskip(NEXT) | instid1(VALU_DEP_3)
	v_alignbit_b32 v14, v12, v10, v13
	v_alignbit_b32 v15, v10, v7, v13
	s_delay_alu instid0(VALU_DEP_3) | instskip(NEXT) | instid1(VALU_DEP_3)
	v_alignbit_b32 v13, v7, v5, v13
	v_cndmask_b32_e64 v6, v14, v12, s2
	s_delay_alu instid0(VALU_DEP_3) | instskip(NEXT) | instid1(VALU_DEP_3)
	v_cndmask_b32_e64 v9, v15, v10, s2
	v_cndmask_b32_e64 v7, v13, v7, s2
	s_delay_alu instid0(VALU_DEP_3) | instskip(NEXT) | instid1(VALU_DEP_3)
	v_bfe_u32 v10, v6, 29, 1
	v_alignbit_b32 v8, v6, v9, 30
	s_delay_alu instid0(VALU_DEP_3) | instskip(SKIP_1) | instid1(VALU_DEP_4)
	v_alignbit_b32 v9, v9, v7, 30
	v_alignbit_b32 v5, v7, v5, 30
	v_sub_nc_u32_e32 v12, 0, v10
	s_delay_alu instid0(VALU_DEP_1) | instskip(SKIP_3) | instid1(VALU_DEP_4)
	v_xor_b32_e32 v11, v8, v12
	v_cmp_ne_u32_e32 vcc_lo, v8, v12
	v_xor_b32_e32 v7, v9, v12
	v_xor_b32_e32 v5, v5, v12
	v_clz_i32_u32_e32 v14, v11
	s_delay_alu instid0(VALU_DEP_1) | instskip(NEXT) | instid1(VALU_DEP_1)
	v_add_nc_u32_e32 v13, 1, v14
	v_cndmask_b32_e32 v8, 33, v13, vcc_lo
	s_delay_alu instid0(VALU_DEP_1) | instskip(NEXT) | instid1(VALU_DEP_1)
	v_sub_nc_u32_e32 v9, 32, v8
	v_alignbit_b32 v11, v11, v7, v9
	v_alignbit_b32 v5, v7, v5, v9
	v_lshrrev_b32_e32 v7, 29, v6
	v_lshrrev_b32_e32 v6, 30, v6
	s_delay_alu instid0(VALU_DEP_3) | instskip(NEXT) | instid1(VALU_DEP_3)
	v_alignbit_b32 v9, v11, v5, 9
	v_lshlrev_b32_e32 v7, 31, v7
	v_alignbit_b32 v11, v8, v11, 9
	s_delay_alu instid0(VALU_DEP_4) | instskip(NEXT) | instid1(VALU_DEP_4)
	v_add_nc_u32_e32 v6, v10, v6
	v_clz_i32_u32_e32 v12, v9
	s_delay_alu instid0(VALU_DEP_3) | instskip(SKIP_1) | instid1(VALU_DEP_3)
	v_or_b32_e32 v11, v11, v7
	v_or_b32_e32 v7, 0x33800000, v7
	v_min_u32_e32 v12, 32, v12
	s_delay_alu instid0(VALU_DEP_3) | instskip(NEXT) | instid1(VALU_DEP_2)
	v_xor_b32_e32 v11, 1.0, v11
	v_sub_nc_u32_e32 v13, 31, v12
	v_add_lshl_u32 v8, v12, v8, 23
	s_delay_alu instid0(VALU_DEP_3) | instskip(NEXT) | instid1(VALU_DEP_3)
	v_mul_f32_e32 v12, 0x3fc90fda, v11
	v_alignbit_b32 v5, v9, v5, v13
	s_delay_alu instid0(VALU_DEP_3) | instskip(NEXT) | instid1(VALU_DEP_3)
	v_sub_nc_u32_e32 v7, v7, v8
	v_fma_f32 v8, 0x3fc90fda, v11, -v12
	s_delay_alu instid0(VALU_DEP_3) | instskip(NEXT) | instid1(VALU_DEP_2)
	v_lshrrev_b32_e32 v5, 9, v5
	v_fmamk_f32 v8, v11, 0x33a22168, v8
	s_delay_alu instid0(VALU_DEP_2) | instskip(NEXT) | instid1(VALU_DEP_1)
	v_or_b32_e32 v5, v7, v5
	v_fmac_f32_e32 v8, 0x3fc90fda, v5
	s_delay_alu instid0(VALU_DEP_1)
	v_add_f32_e32 v5, v12, v8
	s_and_not1_saveexec_b32 s0, s8
	s_cbranch_execnz .LBB108_32
	s_branch .LBB108_33
.LBB108_31:
	s_and_not1_saveexec_b32 s0, s8
.LBB108_32:
	v_mul_f32_e64 v5, 0x3f22f983, |v1|
	s_delay_alu instid0(VALU_DEP_1) | instskip(NEXT) | instid1(VALU_DEP_1)
	v_rndne_f32_e32 v6, v5
	v_fma_f32 v5, 0xbfc90fda, v6, |v1|
	s_delay_alu instid0(VALU_DEP_1) | instskip(NEXT) | instid1(VALU_DEP_1)
	v_fmamk_f32 v5, v6, 0xb3a22168, v5
	v_fmamk_f32 v5, v6, 0xa7c234c4, v5
	v_cvt_i32_f32_e32 v6, v6
.LBB108_33:
	s_or_b32 exec_lo, exec_lo, s0
	v_add_f32_e64 v7, 0xc322e3bc, |v0|
	s_mov_b32 s1, 0xb94c1982
	s_mov_b32 s0, 0x37d75334
	v_bfi_b32 v0, 0x7fffffff, 1.0, v0
	s_delay_alu instid0(VALU_DEP_2) | instskip(SKIP_1) | instid1(VALU_DEP_2)
	v_dual_mul_f32 v11, v2, v2 :: v_dual_mul_f32 v8, 0x3fb8aa3b, v7
	v_cmp_ngt_f32_e32 vcc_lo, 0xc2ce8ed0, v7
	v_fmaak_f32 v13, s0, v11, 0xbab64f3b
	s_delay_alu instid0(VALU_DEP_3) | instskip(SKIP_2) | instid1(VALU_DEP_2)
	v_fma_f32 v9, 0x3fb8aa3b, v7, -v8
	v_rndne_f32_e32 v10, v8
	v_fmaak_f32 v14, s1, v11, 0x3c0881c4
	v_dual_fmamk_f32 v9, v7, 0x32a5705f, v9 :: v_dual_sub_f32 v8, v8, v10
	v_cvt_i32_f32_e32 v10, v10
	s_delay_alu instid0(VALU_DEP_2) | instskip(SKIP_1) | instid1(VALU_DEP_2)
	v_dual_add_f32 v8, v8, v9 :: v_dual_lshlrev_b32 v9, 30, v4
	v_and_b32_e32 v4, 1, v4
	v_exp_f32_e32 v8, v8
	s_waitcnt_depctr 0xfff
	v_ldexp_f32 v8, v8, v10
	s_delay_alu instid0(VALU_DEP_1) | instskip(SKIP_1) | instid1(VALU_DEP_2)
	v_dual_cndmask_b32 v8, 0, v8 :: v_dual_and_b32 v9, 0x80000000, v9
	v_cmp_nlt_f32_e32 vcc_lo, 0x42b17218, v7
	v_dual_mul_f32 v12, v5, v5 :: v_dual_cndmask_b32 v7, 0x7f800000, v8
	s_delay_alu instid0(VALU_DEP_1) | instskip(SKIP_2) | instid1(VALU_DEP_3)
	v_dual_fmaak_f32 v15, s1, v12, 0x3c0881c4 :: v_dual_and_b32 v10, 1, v6
	v_lshlrev_b32_e32 v6, 30, v6
	v_cmp_eq_u32_e32 vcc_lo, 0, v4
	v_fmaak_f32 v15, v12, v15, 0xbe2aaa9d
	v_fmaak_f32 v8, s0, v12, 0xbab64f3b
	s_delay_alu instid0(VALU_DEP_4) | instskip(SKIP_1) | instid1(VALU_DEP_3)
	v_and_or_b32 v3, 0x80000000, v6, v3
	s_mov_b32 s0, 0x7fffff
	v_mul_f32_e32 v15, v12, v15
	s_delay_alu instid0(VALU_DEP_3) | instskip(SKIP_3) | instid1(VALU_DEP_4)
	v_fmaak_f32 v8, v12, v8, 0x3d2aabf7
	v_fmaak_f32 v6, v11, v13, 0x3d2aabf7
	;; [unrolled: 1-line block ×3, first 2 shown]
	v_lshrrev_b32_e32 v14, 23, v7
	v_dual_fmac_f32 v5, v5, v15 :: v_dual_fmaak_f32 v8, v12, v8, 0xbf000004
	s_delay_alu instid0(VALU_DEP_3) | instskip(NEXT) | instid1(VALU_DEP_3)
	v_mul_f32_e32 v13, v11, v13
	v_subrev_nc_u32_e32 v14, 20, v14
	s_delay_alu instid0(VALU_DEP_3) | instskip(SKIP_1) | instid1(VALU_DEP_4)
	v_fma_f32 v8, v12, v8, 1.0
	v_fmaak_f32 v6, v11, v6, 0xbf000004
	v_fmac_f32_e32 v2, v2, v13
	s_delay_alu instid0(VALU_DEP_2) | instskip(SKIP_1) | instid1(VALU_DEP_2)
	v_fma_f32 v6, v11, v6, 1.0
	v_lshrrev_b16 v11, 15, v14
	v_cndmask_b32_e64 v2, -v2, v6, vcc_lo
	s_delay_alu instid0(VALU_DEP_2) | instskip(SKIP_1) | instid1(VALU_DEP_3)
	v_add_nc_u16 v4, v14, v11
	v_cmp_eq_u32_e32 vcc_lo, 0, v10
	v_xor_b32_e32 v2, v9, v2
	s_delay_alu instid0(VALU_DEP_3) | instskip(SKIP_2) | instid1(VALU_DEP_3)
	v_ashrrev_i16 v4, 1, v4
	v_cndmask_b32_e32 v5, v8, v5, vcc_lo
	v_cmp_class_f32_e64 vcc_lo, v1, 0x1f8
	v_bfe_i32 v4, v4, 0, 16
	s_delay_alu instid0(VALU_DEP_3) | instskip(SKIP_2) | instid1(VALU_DEP_4)
	v_xor3_b32 v3, v3, v5, v1
	v_cndmask_b32_e32 v1, 0x7fc00000, v2, vcc_lo
	v_and_or_b32 v2, v7, s0, 0x7f000000
	v_lshl_add_u32 v5, v4, 23, 1.0
	s_delay_alu instid0(VALU_DEP_4) | instskip(SKIP_1) | instid1(VALU_DEP_4)
	v_cndmask_b32_e32 v3, 0x7fc00000, v3, vcc_lo
	v_sub_nc_u32_e32 v4, v14, v4
	v_mul_f32_e32 v1, v1, v2
	s_delay_alu instid0(VALU_DEP_3) | instskip(NEXT) | instid1(VALU_DEP_3)
	v_mul_f32_e32 v2, v3, v2
	v_lshl_add_u32 v3, v4, 23, 1.0
	s_delay_alu instid0(VALU_DEP_3) | instskip(NEXT) | instid1(VALU_DEP_3)
	v_mul_f32_e32 v1, v1, v5
	v_mul_f32_e32 v2, v2, v5
	s_delay_alu instid0(VALU_DEP_2) | instskip(NEXT) | instid1(VALU_DEP_1)
	v_mul_f32_e32 v4, v1, v3
	v_dual_mul_f32 v1, v2, v3 :: v_dual_mul_f32 v2, v0, v4
.LBB108_34:
	s_or_b32 exec_lo, exec_lo, s7
                                        ; implicit-def: $vgpr0
                                        ; implicit-def: $vgpr3
.LBB108_35:
	s_and_not1_saveexec_b32 s6, s6
	s_cbranch_execz .LBB108_45
; %bb.36:
	s_delay_alu instid0(VALU_DEP_1) | instskip(NEXT) | instid1(VALU_DEP_1)
	v_cmp_ngt_f32_e64 s7, 0x48000000, |v1|
                                        ; implicit-def: $vgpr4
                                        ; implicit-def: $vgpr2
	s_and_saveexec_b32 s0, s7
	s_delay_alu instid0(SALU_CYCLE_1)
	s_xor_b32 s8, exec_lo, s0
	s_cbranch_execz .LBB108_38
; %bb.37:
	s_mov_b32 s0, 0x7fffff
	v_mov_b32_e32 v6, 0
	v_and_or_b32 v2, v3, s0, 0x800000
	v_lshrrev_b32_e32 v11, 23, v3
	s_delay_alu instid0(VALU_DEP_2) | instskip(NEXT) | instid1(VALU_DEP_2)
	v_mad_u64_u32 v[4:5], null, 0xfe5163ab, v2, 0
	v_add_nc_u32_e32 v12, 0xffffff88, v11
	s_delay_alu instid0(VALU_DEP_1) | instskip(NEXT) | instid1(VALU_DEP_3)
	v_cmp_lt_u32_e32 vcc_lo, 63, v12
	v_mad_u64_u32 v[7:8], null, 0x3c439041, v2, v[5:6]
	v_cndmask_b32_e64 v13, 0, 0xffffffc0, vcc_lo
	s_delay_alu instid0(VALU_DEP_2) | instskip(NEXT) | instid1(VALU_DEP_2)
	v_mov_b32_e32 v5, v8
	v_add_nc_u32_e32 v13, v13, v12
	s_delay_alu instid0(VALU_DEP_2) | instskip(NEXT) | instid1(VALU_DEP_2)
	v_mad_u64_u32 v[8:9], null, 0xdb629599, v2, v[5:6]
	v_cmp_lt_u32_e64 s0, 31, v13
	s_delay_alu instid0(VALU_DEP_1) | instskip(NEXT) | instid1(VALU_DEP_3)
	v_cndmask_b32_e64 v14, 0, 0xffffffe0, s0
	v_dual_mov_b32 v5, v9 :: v_dual_cndmask_b32 v4, v8, v4
	s_delay_alu instid0(VALU_DEP_2) | instskip(NEXT) | instid1(VALU_DEP_2)
	v_add_nc_u32_e32 v14, v14, v13
	v_mad_u64_u32 v[9:10], null, 0xf534ddc0, v2, v[5:6]
	s_delay_alu instid0(VALU_DEP_2) | instskip(NEXT) | instid1(VALU_DEP_2)
	v_cmp_lt_u32_e64 s1, 31, v14
	v_mov_b32_e32 v5, v10
	s_delay_alu instid0(VALU_DEP_3) | instskip(NEXT) | instid1(VALU_DEP_2)
	v_cndmask_b32_e32 v7, v9, v7, vcc_lo
	v_mad_u64_u32 v[10:11], null, 0xfc2757d1, v2, v[5:6]
	s_delay_alu instid0(VALU_DEP_2) | instskip(NEXT) | instid1(VALU_DEP_2)
	v_cndmask_b32_e64 v4, v7, v4, s0
	v_mov_b32_e32 v5, v11
	s_delay_alu instid0(VALU_DEP_1) | instskip(NEXT) | instid1(VALU_DEP_1)
	v_mad_u64_u32 v[11:12], null, 0x4e441529, v2, v[5:6]
	v_mov_b32_e32 v5, v12
	s_delay_alu instid0(VALU_DEP_1) | instskip(SKIP_1) | instid1(VALU_DEP_1)
	v_mad_u64_u32 v[12:13], null, 0xa2f9836e, v2, v[5:6]
	v_cndmask_b32_e64 v2, 0, 0xffffffe0, s1
	v_dual_cndmask_b32 v5, v11, v9 :: v_dual_add_nc_u32 v2, v2, v14
	s_delay_alu instid0(VALU_DEP_3) | instskip(SKIP_1) | instid1(VALU_DEP_3)
	v_dual_cndmask_b32 v6, v12, v10 :: v_dual_cndmask_b32 v11, v13, v11
	v_cndmask_b32_e32 v10, v10, v8, vcc_lo
	v_cmp_eq_u32_e64 s2, 0, v2
	s_delay_alu instid0(VALU_DEP_3) | instskip(NEXT) | instid1(VALU_DEP_4)
	v_cndmask_b32_e64 v9, v6, v5, s0
	v_cndmask_b32_e64 v6, v11, v6, s0
	s_delay_alu instid0(VALU_DEP_4) | instskip(SKIP_2) | instid1(VALU_DEP_4)
	v_cndmask_b32_e64 v5, v5, v10, s0
	v_sub_nc_u32_e32 v11, 32, v2
	v_cndmask_b32_e64 v10, v10, v7, s0
	v_cndmask_b32_e64 v6, v6, v9, s1
	s_delay_alu instid0(VALU_DEP_4) | instskip(NEXT) | instid1(VALU_DEP_3)
	v_cndmask_b32_e64 v9, v9, v5, s1
	v_cndmask_b32_e64 v5, v5, v10, s1
	;; [unrolled: 1-line block ×3, first 2 shown]
	s_delay_alu instid0(VALU_DEP_3) | instskip(NEXT) | instid1(VALU_DEP_3)
	v_alignbit_b32 v12, v6, v9, v11
	v_alignbit_b32 v13, v9, v5, v11
	s_delay_alu instid0(VALU_DEP_3) | instskip(NEXT) | instid1(VALU_DEP_3)
	v_alignbit_b32 v11, v5, v4, v11
	v_cndmask_b32_e64 v2, v12, v6, s2
	s_delay_alu instid0(VALU_DEP_3) | instskip(NEXT) | instid1(VALU_DEP_3)
	v_cndmask_b32_e64 v6, v13, v9, s2
	v_cndmask_b32_e64 v5, v11, v5, s2
	s_delay_alu instid0(VALU_DEP_3) | instskip(NEXT) | instid1(VALU_DEP_3)
	v_bfe_u32 v8, v2, 29, 1
	v_alignbit_b32 v7, v2, v6, 30
	s_delay_alu instid0(VALU_DEP_3) | instskip(SKIP_1) | instid1(VALU_DEP_4)
	v_alignbit_b32 v6, v6, v5, 30
	v_alignbit_b32 v4, v5, v4, 30
	v_sub_nc_u32_e32 v9, 0, v8
	s_delay_alu instid0(VALU_DEP_1) | instskip(SKIP_3) | instid1(VALU_DEP_4)
	v_xor_b32_e32 v10, v7, v9
	v_cmp_ne_u32_e32 vcc_lo, v7, v9
	v_xor_b32_e32 v5, v6, v9
	v_xor_b32_e32 v4, v4, v9
	v_clz_i32_u32_e32 v12, v10
	s_delay_alu instid0(VALU_DEP_1) | instskip(NEXT) | instid1(VALU_DEP_1)
	v_add_nc_u32_e32 v11, 1, v12
	v_cndmask_b32_e32 v7, 33, v11, vcc_lo
	s_delay_alu instid0(VALU_DEP_1) | instskip(NEXT) | instid1(VALU_DEP_1)
	v_sub_nc_u32_e32 v6, 32, v7
	v_alignbit_b32 v9, v10, v5, v6
	v_alignbit_b32 v4, v5, v4, v6
	v_lshrrev_b32_e32 v5, 29, v2
	s_delay_alu instid0(VALU_DEP_2) | instskip(NEXT) | instid1(VALU_DEP_2)
	v_alignbit_b32 v6, v9, v4, 9
	v_lshlrev_b32_e32 v5, 31, v5
	v_alignbit_b32 v9, v7, v9, 9
	s_delay_alu instid0(VALU_DEP_3) | instskip(NEXT) | instid1(VALU_DEP_2)
	v_clz_i32_u32_e32 v10, v6
	v_or_b32_e32 v9, v9, v5
	v_or_b32_e32 v5, 0x33800000, v5
	s_delay_alu instid0(VALU_DEP_3) | instskip(NEXT) | instid1(VALU_DEP_3)
	v_min_u32_e32 v10, 32, v10
	v_xor_b32_e32 v9, 1.0, v9
	s_delay_alu instid0(VALU_DEP_2) | instskip(SKIP_1) | instid1(VALU_DEP_3)
	v_sub_nc_u32_e32 v11, 31, v10
	v_add_lshl_u32 v7, v10, v7, 23
	v_mul_f32_e32 v10, 0x3fc90fda, v9
	s_delay_alu instid0(VALU_DEP_3) | instskip(NEXT) | instid1(VALU_DEP_3)
	v_alignbit_b32 v4, v6, v4, v11
	v_sub_nc_u32_e32 v5, v5, v7
	s_delay_alu instid0(VALU_DEP_3) | instskip(NEXT) | instid1(VALU_DEP_3)
	v_fma_f32 v6, 0x3fc90fda, v9, -v10
	v_lshrrev_b32_e32 v4, 9, v4
	s_delay_alu instid0(VALU_DEP_2) | instskip(NEXT) | instid1(VALU_DEP_2)
	v_fmamk_f32 v6, v9, 0x33a22168, v6
	v_or_b32_e32 v4, v5, v4
	s_delay_alu instid0(VALU_DEP_1) | instskip(SKIP_1) | instid1(VALU_DEP_2)
	v_fmac_f32_e32 v6, 0x3fc90fda, v4
	v_lshrrev_b32_e32 v4, 30, v2
	v_add_f32_e32 v2, v10, v6
	s_delay_alu instid0(VALU_DEP_2)
	v_add_nc_u32_e32 v4, v8, v4
	s_and_not1_saveexec_b32 s0, s8
	s_branch .LBB108_39
.LBB108_38:
	s_and_not1_saveexec_b32 s0, s8
.LBB108_39:
	v_mul_f32_e64 v2, 0x3f22f983, |v1|
	s_delay_alu instid0(VALU_DEP_1) | instskip(NEXT) | instid1(VALU_DEP_1)
	v_rndne_f32_e32 v4, v2
	v_fma_f32 v2, 0xbfc90fda, v4, |v1|
	s_delay_alu instid0(VALU_DEP_1) | instskip(NEXT) | instid1(VALU_DEP_1)
	v_fmamk_f32 v2, v4, 0xb3a22168, v2
	v_fmamk_f32 v2, v4, 0xa7c234c4, v2
	v_cvt_i32_f32_e32 v4, v4
; %bb.40:
	s_or_b32 exec_lo, exec_lo, s0
                                        ; implicit-def: $vgpr6
                                        ; implicit-def: $vgpr5
	s_and_saveexec_b32 s0, s7
	s_delay_alu instid0(SALU_CYCLE_1)
	s_xor_b32 s7, exec_lo, s0
	s_cbranch_execz .LBB108_42
; %bb.41:
	s_mov_b32 s0, 0x7fffff
	v_mov_b32_e32 v7, 0
	v_and_or_b32 v15, v3, s0, 0x800000
	v_lshrrev_b32_e32 v12, 23, v3
	s_delay_alu instid0(VALU_DEP_2) | instskip(NEXT) | instid1(VALU_DEP_2)
	v_mad_u64_u32 v[5:6], null, 0xfe5163ab, v15, 0
	v_add_nc_u32_e32 v13, 0xffffff88, v12
	s_delay_alu instid0(VALU_DEP_1) | instskip(NEXT) | instid1(VALU_DEP_3)
	v_cmp_lt_u32_e32 vcc_lo, 63, v13
	v_mad_u64_u32 v[8:9], null, 0x3c439041, v15, v[6:7]
	v_cndmask_b32_e64 v14, 0, 0xffffffc0, vcc_lo
	s_delay_alu instid0(VALU_DEP_2) | instskip(NEXT) | instid1(VALU_DEP_2)
	v_mov_b32_e32 v6, v9
	v_add_nc_u32_e32 v14, v14, v13
	s_delay_alu instid0(VALU_DEP_2) | instskip(NEXT) | instid1(VALU_DEP_2)
	v_mad_u64_u32 v[9:10], null, 0xdb629599, v15, v[6:7]
	v_cmp_lt_u32_e64 s0, 31, v14
	s_delay_alu instid0(VALU_DEP_1) | instskip(NEXT) | instid1(VALU_DEP_3)
	v_cndmask_b32_e64 v16, 0, 0xffffffe0, s0
	v_dual_mov_b32 v6, v10 :: v_dual_cndmask_b32 v5, v9, v5
	s_delay_alu instid0(VALU_DEP_2) | instskip(NEXT) | instid1(VALU_DEP_2)
	v_add_nc_u32_e32 v16, v16, v14
	v_mad_u64_u32 v[10:11], null, 0xf534ddc0, v15, v[6:7]
	s_delay_alu instid0(VALU_DEP_2) | instskip(NEXT) | instid1(VALU_DEP_2)
	v_cmp_lt_u32_e64 s1, 31, v16
	v_mov_b32_e32 v6, v11
	s_delay_alu instid0(VALU_DEP_3) | instskip(NEXT) | instid1(VALU_DEP_2)
	v_cndmask_b32_e32 v8, v10, v8, vcc_lo
	v_mad_u64_u32 v[11:12], null, 0xfc2757d1, v15, v[6:7]
	s_delay_alu instid0(VALU_DEP_2) | instskip(NEXT) | instid1(VALU_DEP_2)
	v_cndmask_b32_e64 v5, v8, v5, s0
	v_mov_b32_e32 v6, v12
	s_delay_alu instid0(VALU_DEP_1) | instskip(NEXT) | instid1(VALU_DEP_1)
	v_mad_u64_u32 v[12:13], null, 0x4e441529, v15, v[6:7]
	v_mov_b32_e32 v6, v13
	s_delay_alu instid0(VALU_DEP_1) | instskip(SKIP_1) | instid1(VALU_DEP_1)
	v_mad_u64_u32 v[13:14], null, 0xa2f9836e, v15, v[6:7]
	v_cndmask_b32_e64 v6, 0, 0xffffffe0, s1
	v_dual_cndmask_b32 v7, v12, v10 :: v_dual_add_nc_u32 v6, v6, v16
	s_delay_alu instid0(VALU_DEP_3) | instskip(NEXT) | instid1(VALU_DEP_4)
	v_cndmask_b32_e32 v13, v13, v11, vcc_lo
	v_dual_cndmask_b32 v11, v11, v9 :: v_dual_cndmask_b32 v12, v14, v12
	s_delay_alu instid0(VALU_DEP_3) | instskip(NEXT) | instid1(VALU_DEP_3)
	v_cmp_eq_u32_e64 s2, 0, v6
	v_cndmask_b32_e64 v10, v13, v7, s0
	s_delay_alu instid0(VALU_DEP_3) | instskip(NEXT) | instid1(VALU_DEP_4)
	v_cndmask_b32_e64 v7, v7, v11, s0
	v_cndmask_b32_e64 v12, v12, v13, s0
	v_sub_nc_u32_e32 v13, 32, v6
	v_cndmask_b32_e64 v11, v11, v8, s0
	s_delay_alu instid0(VALU_DEP_3) | instskip(SKIP_1) | instid1(VALU_DEP_3)
	v_cndmask_b32_e64 v12, v12, v10, s1
	v_cndmask_b32_e64 v10, v10, v7, s1
	v_cndmask_b32_e64 v7, v7, v11, s1
	v_cndmask_b32_e64 v5, v11, v5, s1
	s_delay_alu instid0(VALU_DEP_3) | instskip(NEXT) | instid1(VALU_DEP_3)
	v_alignbit_b32 v14, v12, v10, v13
	v_alignbit_b32 v15, v10, v7, v13
	s_delay_alu instid0(VALU_DEP_3) | instskip(NEXT) | instid1(VALU_DEP_3)
	v_alignbit_b32 v13, v7, v5, v13
	v_cndmask_b32_e64 v6, v14, v12, s2
	s_delay_alu instid0(VALU_DEP_3) | instskip(NEXT) | instid1(VALU_DEP_3)
	v_cndmask_b32_e64 v9, v15, v10, s2
	v_cndmask_b32_e64 v7, v13, v7, s2
	s_delay_alu instid0(VALU_DEP_3) | instskip(NEXT) | instid1(VALU_DEP_3)
	v_bfe_u32 v10, v6, 29, 1
	v_alignbit_b32 v8, v6, v9, 30
	s_delay_alu instid0(VALU_DEP_3) | instskip(SKIP_1) | instid1(VALU_DEP_4)
	v_alignbit_b32 v9, v9, v7, 30
	v_alignbit_b32 v5, v7, v5, 30
	v_sub_nc_u32_e32 v12, 0, v10
	s_delay_alu instid0(VALU_DEP_1) | instskip(SKIP_3) | instid1(VALU_DEP_4)
	v_xor_b32_e32 v11, v8, v12
	v_cmp_ne_u32_e32 vcc_lo, v8, v12
	v_xor_b32_e32 v7, v9, v12
	v_xor_b32_e32 v5, v5, v12
	v_clz_i32_u32_e32 v14, v11
	s_delay_alu instid0(VALU_DEP_1) | instskip(NEXT) | instid1(VALU_DEP_1)
	v_add_nc_u32_e32 v13, 1, v14
	v_cndmask_b32_e32 v8, 33, v13, vcc_lo
	s_delay_alu instid0(VALU_DEP_1) | instskip(NEXT) | instid1(VALU_DEP_1)
	v_sub_nc_u32_e32 v9, 32, v8
	v_alignbit_b32 v11, v11, v7, v9
	v_alignbit_b32 v5, v7, v5, v9
	v_lshrrev_b32_e32 v7, 29, v6
	v_lshrrev_b32_e32 v6, 30, v6
	s_delay_alu instid0(VALU_DEP_3) | instskip(NEXT) | instid1(VALU_DEP_3)
	v_alignbit_b32 v9, v11, v5, 9
	v_lshlrev_b32_e32 v7, 31, v7
	v_alignbit_b32 v11, v8, v11, 9
	s_delay_alu instid0(VALU_DEP_4) | instskip(NEXT) | instid1(VALU_DEP_4)
	v_add_nc_u32_e32 v6, v10, v6
	v_clz_i32_u32_e32 v12, v9
	s_delay_alu instid0(VALU_DEP_3) | instskip(SKIP_1) | instid1(VALU_DEP_3)
	v_or_b32_e32 v11, v11, v7
	v_or_b32_e32 v7, 0x33800000, v7
	v_min_u32_e32 v12, 32, v12
	s_delay_alu instid0(VALU_DEP_3) | instskip(NEXT) | instid1(VALU_DEP_2)
	v_xor_b32_e32 v11, 1.0, v11
	v_sub_nc_u32_e32 v13, 31, v12
	v_add_lshl_u32 v8, v12, v8, 23
	s_delay_alu instid0(VALU_DEP_3) | instskip(NEXT) | instid1(VALU_DEP_3)
	v_mul_f32_e32 v12, 0x3fc90fda, v11
	v_alignbit_b32 v5, v9, v5, v13
	s_delay_alu instid0(VALU_DEP_3) | instskip(NEXT) | instid1(VALU_DEP_3)
	v_sub_nc_u32_e32 v7, v7, v8
	v_fma_f32 v8, 0x3fc90fda, v11, -v12
	s_delay_alu instid0(VALU_DEP_3) | instskip(NEXT) | instid1(VALU_DEP_2)
	v_lshrrev_b32_e32 v5, 9, v5
	v_fmamk_f32 v8, v11, 0x33a22168, v8
	s_delay_alu instid0(VALU_DEP_2) | instskip(NEXT) | instid1(VALU_DEP_1)
	v_or_b32_e32 v5, v7, v5
	v_fmac_f32_e32 v8, 0x3fc90fda, v5
	s_delay_alu instid0(VALU_DEP_1)
	v_add_f32_e32 v5, v12, v8
	s_and_not1_saveexec_b32 s0, s7
	s_cbranch_execnz .LBB108_43
	s_branch .LBB108_44
.LBB108_42:
	s_and_not1_saveexec_b32 s0, s7
.LBB108_43:
	v_mul_f32_e64 v5, 0x3f22f983, |v1|
	s_delay_alu instid0(VALU_DEP_1) | instskip(NEXT) | instid1(VALU_DEP_1)
	v_rndne_f32_e32 v6, v5
	v_fma_f32 v5, 0xbfc90fda, v6, |v1|
	s_delay_alu instid0(VALU_DEP_1) | instskip(NEXT) | instid1(VALU_DEP_1)
	v_fmamk_f32 v5, v6, 0xb3a22168, v5
	v_fmamk_f32 v5, v6, 0xa7c234c4, v5
	v_cvt_i32_f32_e32 v6, v6
.LBB108_44:
	s_or_b32 exec_lo, exec_lo, s0
	v_mul_f32_e64 v7, 0x3fb8aa3b, |v0|
	v_dual_mul_f32 v8, v2, v2 :: v_dual_and_b32 v11, 1, v4
	s_mov_b32 s0, 0xb94c1982
	v_dual_mul_f32 v12, v5, v5 :: v_dual_and_b32 v13, 1, v6
	s_delay_alu instid0(VALU_DEP_3) | instskip(SKIP_2) | instid1(VALU_DEP_4)
	v_rndne_f32_e32 v9, v7
	v_fma_f32 v10, 0x3fb8aa3b, |v0|, -v7
	v_lshlrev_b32_e32 v4, 30, v4
	v_dual_fmaak_f32 v15, s0, v12, 0x3c0881c4 :: v_dual_lshlrev_b32 v6, 30, v6
	s_delay_alu instid0(VALU_DEP_4) | instskip(NEXT) | instid1(VALU_DEP_4)
	v_sub_f32_e32 v7, v7, v9
	v_fma_f32 v10, 0x32a5705f, |v0|, v10
	v_fmaak_f32 v14, s0, v8, 0x3c0881c4
	v_cvt_i32_f32_e32 v9, v9
	v_cmp_ngt_f32_e64 vcc_lo, 0xc2ce8ed0, |v0|
	s_mov_b32 s1, 0x37d75334
	v_dual_add_f32 v7, v7, v10 :: v_dual_and_b32 v4, 0x80000000, v4
	v_and_or_b32 v3, 0x80000000, v6, v3
	s_delay_alu instid0(VALU_DEP_2) | instskip(SKIP_2) | instid1(VALU_DEP_1)
	v_exp_f32_e32 v7, v7
	s_waitcnt_depctr 0xfff
	v_ldexp_f32 v7, v7, v9
	v_dual_fmaak_f32 v14, v8, v14, 0xbe2aaa9d :: v_dual_cndmask_b32 v7, 0, v7
	s_delay_alu instid0(VALU_DEP_1) | instskip(SKIP_2) | instid1(VALU_DEP_3)
	v_mul_f32_e32 v14, v8, v14
	v_fmaak_f32 v15, v12, v15, 0xbe2aaa9d
	v_cmp_eq_u32_e32 vcc_lo, 0, v11
	v_fmac_f32_e32 v2, v2, v14
	s_delay_alu instid0(VALU_DEP_3) | instskip(NEXT) | instid1(VALU_DEP_1)
	v_dual_fmaak_f32 v10, s1, v8, 0xbab64f3b :: v_dual_mul_f32 v15, v12, v15
	v_dual_fmaak_f32 v16, s1, v12, 0xbab64f3b :: v_dual_fmac_f32 v5, v5, v15
	s_delay_alu instid0(VALU_DEP_1) | instskip(NEXT) | instid1(VALU_DEP_1)
	v_fmaak_f32 v16, v12, v16, 0x3d2aabf7
	v_fmaak_f32 v16, v12, v16, 0xbf000004
	s_delay_alu instid0(VALU_DEP_1) | instskip(SKIP_1) | instid1(VALU_DEP_1)
	v_fma_f32 v9, v12, v16, 1.0
	v_fmaak_f32 v10, v8, v10, 0x3d2aabf7
	v_fmaak_f32 v10, v8, v10, 0xbf000004
	s_delay_alu instid0(VALU_DEP_1) | instskip(NEXT) | instid1(VALU_DEP_1)
	v_fma_f32 v8, v8, v10, 1.0
	v_cndmask_b32_e64 v2, -v2, v8, vcc_lo
	v_cmp_eq_u32_e32 vcc_lo, 0, v13
	s_delay_alu instid0(VALU_DEP_2) | instskip(SKIP_2) | instid1(VALU_DEP_2)
	v_xor_b32_e32 v2, v4, v2
	v_cndmask_b32_e32 v5, v9, v5, vcc_lo
	v_cmp_nlt_f32_e64 vcc_lo, 0x42b17218, |v0|
	v_xor3_b32 v3, v3, v5, v1
	v_cndmask_b32_e32 v6, 0x7f800000, v7, vcc_lo
	v_cmp_class_f32_e64 vcc_lo, v1, 0x1f8
	s_delay_alu instid0(VALU_DEP_2) | instskip(SKIP_2) | instid1(VALU_DEP_3)
	v_mul_f32_e32 v4, 0.5, v6
	v_cndmask_b32_e32 v1, 0x7fc00000, v2, vcc_lo
	v_cndmask_b32_e32 v3, 0x7fc00000, v3, vcc_lo
	v_bfi_b32 v0, 0x7fffffff, v4, v0
	s_delay_alu instid0(VALU_DEP_1) | instskip(NEXT) | instid1(VALU_DEP_3)
	v_mul_f32_e32 v2, v0, v1
	v_mul_f32_e32 v1, v4, v3
.LBB108_45:
	s_or_b32 exec_lo, exec_lo, s6
                                        ; implicit-def: $vgpr0
                                        ; implicit-def: $vgpr3
.LBB108_46:
	s_and_not1_saveexec_b32 s5, s5
	s_cbranch_execz .LBB108_56
; %bb.47:
	s_delay_alu instid0(VALU_DEP_1) | instskip(SKIP_1) | instid1(VALU_DEP_2)
	v_cmp_ngt_f32_e64 s6, 0x48000000, |v1|
	v_lshrrev_b32_e32 v7, 23, v3
                                        ; implicit-def: $vgpr4
                                        ; implicit-def: $vgpr2
	s_and_saveexec_b32 s0, s6
	s_delay_alu instid0(SALU_CYCLE_1)
	s_xor_b32 s7, exec_lo, s0
	s_cbranch_execz .LBB108_49
; %bb.48:
	s_mov_b32 s0, 0x7fffff
	v_mov_b32_e32 v6, 0
	v_and_or_b32 v2, v3, s0, 0x800000
	v_add_nc_u32_e32 v13, 0xffffff88, v7
	s_delay_alu instid0(VALU_DEP_2) | instskip(NEXT) | instid1(VALU_DEP_2)
	v_mad_u64_u32 v[4:5], null, 0xfe5163ab, v2, 0
	v_cmp_lt_u32_e32 vcc_lo, 63, v13
	v_cndmask_b32_e64 v14, 0, 0xffffffc0, vcc_lo
	s_delay_alu instid0(VALU_DEP_3) | instskip(NEXT) | instid1(VALU_DEP_1)
	v_mad_u64_u32 v[8:9], null, 0x3c439041, v2, v[5:6]
	v_dual_mov_b32 v5, v9 :: v_dual_add_nc_u32 v14, v14, v13
	s_delay_alu instid0(VALU_DEP_1) | instskip(NEXT) | instid1(VALU_DEP_2)
	v_cmp_lt_u32_e64 s0, 31, v14
	v_mad_u64_u32 v[9:10], null, 0xdb629599, v2, v[5:6]
	s_delay_alu instid0(VALU_DEP_2) | instskip(NEXT) | instid1(VALU_DEP_1)
	v_cndmask_b32_e64 v15, 0, 0xffffffe0, s0
	v_dual_cndmask_b32 v4, v9, v4 :: v_dual_add_nc_u32 v15, v15, v14
	s_delay_alu instid0(VALU_DEP_3) | instskip(NEXT) | instid1(VALU_DEP_2)
	v_mov_b32_e32 v5, v10
	v_cmp_lt_u32_e64 s1, 31, v15
	s_delay_alu instid0(VALU_DEP_2) | instskip(NEXT) | instid1(VALU_DEP_1)
	v_mad_u64_u32 v[10:11], null, 0xf534ddc0, v2, v[5:6]
	v_dual_mov_b32 v5, v11 :: v_dual_cndmask_b32 v8, v10, v8
	s_delay_alu instid0(VALU_DEP_1) | instskip(NEXT) | instid1(VALU_DEP_2)
	v_mad_u64_u32 v[11:12], null, 0xfc2757d1, v2, v[5:6]
	v_cndmask_b32_e64 v4, v8, v4, s0
	s_delay_alu instid0(VALU_DEP_2) | instskip(NEXT) | instid1(VALU_DEP_1)
	v_mov_b32_e32 v5, v12
	v_mad_u64_u32 v[12:13], null, 0x4e441529, v2, v[5:6]
	s_delay_alu instid0(VALU_DEP_1) | instskip(NEXT) | instid1(VALU_DEP_1)
	v_mov_b32_e32 v5, v13
	v_mad_u64_u32 v[13:14], null, 0xa2f9836e, v2, v[5:6]
	v_cndmask_b32_e64 v2, 0, 0xffffffe0, s1
	s_delay_alu instid0(VALU_DEP_1) | instskip(NEXT) | instid1(VALU_DEP_3)
	v_dual_cndmask_b32 v5, v12, v10 :: v_dual_add_nc_u32 v2, v2, v15
	v_cndmask_b32_e32 v6, v13, v11, vcc_lo
	s_delay_alu instid0(VALU_DEP_4) | instskip(NEXT) | instid1(VALU_DEP_3)
	v_dual_cndmask_b32 v12, v14, v12 :: v_dual_cndmask_b32 v11, v11, v9
	v_cmp_eq_u32_e64 s2, 0, v2
	s_delay_alu instid0(VALU_DEP_3) | instskip(NEXT) | instid1(VALU_DEP_3)
	v_cndmask_b32_e64 v10, v6, v5, s0
	v_cndmask_b32_e64 v6, v12, v6, s0
	s_delay_alu instid0(VALU_DEP_4) | instskip(SKIP_2) | instid1(VALU_DEP_4)
	v_cndmask_b32_e64 v5, v5, v11, s0
	v_sub_nc_u32_e32 v12, 32, v2
	v_cndmask_b32_e64 v11, v11, v8, s0
	v_cndmask_b32_e64 v6, v6, v10, s1
	s_delay_alu instid0(VALU_DEP_4) | instskip(NEXT) | instid1(VALU_DEP_3)
	v_cndmask_b32_e64 v10, v10, v5, s1
	v_cndmask_b32_e64 v5, v5, v11, s1
	;; [unrolled: 1-line block ×3, first 2 shown]
	s_delay_alu instid0(VALU_DEP_3) | instskip(NEXT) | instid1(VALU_DEP_3)
	v_alignbit_b32 v13, v6, v10, v12
	v_alignbit_b32 v14, v10, v5, v12
	s_delay_alu instid0(VALU_DEP_3) | instskip(NEXT) | instid1(VALU_DEP_3)
	v_alignbit_b32 v12, v5, v4, v12
	v_cndmask_b32_e64 v2, v13, v6, s2
	s_delay_alu instid0(VALU_DEP_3) | instskip(NEXT) | instid1(VALU_DEP_3)
	v_cndmask_b32_e64 v6, v14, v10, s2
	v_cndmask_b32_e64 v5, v12, v5, s2
	s_delay_alu instid0(VALU_DEP_3) | instskip(NEXT) | instid1(VALU_DEP_3)
	v_bfe_u32 v9, v2, 29, 1
	v_alignbit_b32 v8, v2, v6, 30
	s_delay_alu instid0(VALU_DEP_3) | instskip(SKIP_1) | instid1(VALU_DEP_4)
	v_alignbit_b32 v6, v6, v5, 30
	v_alignbit_b32 v4, v5, v4, 30
	v_sub_nc_u32_e32 v10, 0, v9
	s_delay_alu instid0(VALU_DEP_1) | instskip(SKIP_3) | instid1(VALU_DEP_4)
	v_xor_b32_e32 v11, v8, v10
	v_cmp_ne_u32_e32 vcc_lo, v8, v10
	v_xor_b32_e32 v5, v6, v10
	v_xor_b32_e32 v4, v4, v10
	v_clz_i32_u32_e32 v13, v11
	s_delay_alu instid0(VALU_DEP_1) | instskip(NEXT) | instid1(VALU_DEP_1)
	v_add_nc_u32_e32 v12, 1, v13
	v_cndmask_b32_e32 v8, 33, v12, vcc_lo
	s_delay_alu instid0(VALU_DEP_1) | instskip(NEXT) | instid1(VALU_DEP_1)
	v_sub_nc_u32_e32 v6, 32, v8
	v_alignbit_b32 v10, v11, v5, v6
	v_alignbit_b32 v4, v5, v4, v6
	v_lshrrev_b32_e32 v5, 29, v2
	s_delay_alu instid0(VALU_DEP_2) | instskip(NEXT) | instid1(VALU_DEP_2)
	v_alignbit_b32 v6, v10, v4, 9
	v_lshlrev_b32_e32 v5, 31, v5
	v_alignbit_b32 v10, v8, v10, 9
	s_delay_alu instid0(VALU_DEP_3) | instskip(NEXT) | instid1(VALU_DEP_2)
	v_clz_i32_u32_e32 v11, v6
	v_or_b32_e32 v10, v10, v5
	s_delay_alu instid0(VALU_DEP_2) | instskip(NEXT) | instid1(VALU_DEP_2)
	v_min_u32_e32 v11, 32, v11
	v_xor_b32_e32 v10, 1.0, v10
	s_delay_alu instid0(VALU_DEP_2) | instskip(SKIP_1) | instid1(VALU_DEP_3)
	v_sub_nc_u32_e32 v12, 31, v11
	v_add_lshl_u32 v8, v11, v8, 23
	v_mul_f32_e32 v11, 0x3fc90fda, v10
	s_delay_alu instid0(VALU_DEP_3) | instskip(NEXT) | instid1(VALU_DEP_2)
	v_alignbit_b32 v4, v6, v4, v12
	v_fma_f32 v6, 0x3fc90fda, v10, -v11
	s_delay_alu instid0(VALU_DEP_2) | instskip(NEXT) | instid1(VALU_DEP_2)
	v_lshrrev_b32_e32 v4, 9, v4
	v_fmamk_f32 v6, v10, 0x33a22168, v6
	v_or_b32_e32 v5, 0x33800000, v5
	s_delay_alu instid0(VALU_DEP_1) | instskip(NEXT) | instid1(VALU_DEP_1)
	v_sub_nc_u32_e32 v5, v5, v8
	v_or_b32_e32 v4, v5, v4
	s_delay_alu instid0(VALU_DEP_1) | instskip(SKIP_1) | instid1(VALU_DEP_2)
	v_fmac_f32_e32 v6, 0x3fc90fda, v4
	v_lshrrev_b32_e32 v4, 30, v2
	v_add_f32_e32 v2, v11, v6
	s_delay_alu instid0(VALU_DEP_2)
	v_add_nc_u32_e32 v4, v9, v4
	s_or_saveexec_b32 s0, s7
	v_mul_f32_e64 v8, 0x3f22f983, |v1|
	s_xor_b32 exec_lo, exec_lo, s0
	s_branch .LBB108_50
.LBB108_49:
	s_or_saveexec_b32 s0, s7
	v_mul_f32_e64 v8, 0x3f22f983, |v1|
	s_xor_b32 exec_lo, exec_lo, s0
.LBB108_50:
	s_delay_alu instid0(VALU_DEP_1) | instskip(NEXT) | instid1(VALU_DEP_1)
	v_rndne_f32_e32 v4, v8
	v_fma_f32 v2, 0xbfc90fda, v4, |v1|
	s_delay_alu instid0(VALU_DEP_1) | instskip(NEXT) | instid1(VALU_DEP_1)
	v_fmamk_f32 v2, v4, 0xb3a22168, v2
	v_fmamk_f32 v2, v4, 0xa7c234c4, v2
	v_cvt_i32_f32_e32 v4, v4
; %bb.51:
	s_or_b32 exec_lo, exec_lo, s0
                                        ; implicit-def: $vgpr6
                                        ; implicit-def: $vgpr5
	s_and_saveexec_b32 s0, s6
	s_delay_alu instid0(SALU_CYCLE_1)
	s_xor_b32 s6, exec_lo, s0
	s_cbranch_execz .LBB108_53
; %bb.52:
	s_mov_b32 s0, 0x7fffff
	s_delay_alu instid0(SALU_CYCLE_1) | instskip(NEXT) | instid1(VALU_DEP_1)
	v_and_or_b32 v16, v3, s0, 0x800000
	v_mad_u64_u32 v[5:6], null, 0xfe5163ab, v16, 0
	s_delay_alu instid0(VALU_DEP_1) | instskip(NEXT) | instid1(VALU_DEP_1)
	v_dual_mov_b32 v9, 0 :: v_dual_mov_b32 v8, v6
	v_mad_u64_u32 v[10:11], null, 0x3c439041, v16, v[8:9]
	s_delay_alu instid0(VALU_DEP_1) | instskip(NEXT) | instid1(VALU_DEP_1)
	v_mov_b32_e32 v8, v11
	v_mad_u64_u32 v[11:12], null, 0xdb629599, v16, v[8:9]
	s_delay_alu instid0(VALU_DEP_1) | instskip(NEXT) | instid1(VALU_DEP_1)
	v_mov_b32_e32 v8, v12
	v_mad_u64_u32 v[12:13], null, 0xf534ddc0, v16, v[8:9]
	s_delay_alu instid0(VALU_DEP_1) | instskip(NEXT) | instid1(VALU_DEP_1)
	v_dual_mov_b32 v8, v13 :: v_dual_add_nc_u32 v13, 0xffffff88, v7
	v_mad_u64_u32 v[6:7], null, 0xfc2757d1, v16, v[8:9]
	s_delay_alu instid0(VALU_DEP_2) | instskip(SKIP_1) | instid1(VALU_DEP_3)
	v_cmp_lt_u32_e32 vcc_lo, 63, v13
	v_cndmask_b32_e64 v14, 0, 0xffffffc0, vcc_lo
	v_mov_b32_e32 v8, v7
	v_cndmask_b32_e32 v5, v11, v5, vcc_lo
	s_delay_alu instid0(VALU_DEP_3) | instskip(NEXT) | instid1(VALU_DEP_3)
	v_add_nc_u32_e32 v7, v14, v13
	v_mad_u64_u32 v[13:14], null, 0x4e441529, v16, v[8:9]
	s_delay_alu instid0(VALU_DEP_2) | instskip(NEXT) | instid1(VALU_DEP_2)
	v_cmp_lt_u32_e64 s0, 31, v7
	v_mov_b32_e32 v8, v14
	s_delay_alu instid0(VALU_DEP_2) | instskip(NEXT) | instid1(VALU_DEP_1)
	v_cndmask_b32_e64 v15, 0, 0xffffffe0, s0
	v_add_nc_u32_e32 v7, v15, v7
	s_delay_alu instid0(VALU_DEP_3) | instskip(SKIP_1) | instid1(VALU_DEP_3)
	v_mad_u64_u32 v[14:15], null, 0xa2f9836e, v16, v[8:9]
	v_cndmask_b32_e32 v9, v13, v12, vcc_lo
	v_cmp_lt_u32_e64 s1, 31, v7
	s_delay_alu instid0(VALU_DEP_3) | instskip(NEXT) | instid1(VALU_DEP_2)
	v_cndmask_b32_e32 v13, v15, v13, vcc_lo
	v_cndmask_b32_e64 v8, 0, 0xffffffe0, s1
	v_cndmask_b32_e32 v14, v14, v6, vcc_lo
	v_cndmask_b32_e32 v6, v6, v11, vcc_lo
	s_delay_alu instid0(VALU_DEP_3) | instskip(SKIP_1) | instid1(VALU_DEP_4)
	v_add_nc_u32_e32 v7, v8, v7
	v_cndmask_b32_e32 v8, v12, v10, vcc_lo
	v_cndmask_b32_e64 v10, v14, v9, s0
	v_cndmask_b32_e64 v12, v13, v14, s0
	;; [unrolled: 1-line block ×3, first 2 shown]
	v_sub_nc_u32_e32 v13, 32, v7
	v_cndmask_b32_e64 v6, v6, v8, s0
	v_cmp_eq_u32_e64 s2, 0, v7
	v_cndmask_b32_e64 v12, v12, v10, s1
	v_cndmask_b32_e64 v10, v10, v9, s1
	;; [unrolled: 1-line block ×4, first 2 shown]
	s_delay_alu instid0(VALU_DEP_3) | instskip(NEXT) | instid1(VALU_DEP_3)
	v_alignbit_b32 v14, v12, v10, v13
	v_cndmask_b32_e64 v5, v6, v5, s1
	s_delay_alu instid0(VALU_DEP_3) | instskip(NEXT) | instid1(VALU_DEP_3)
	v_alignbit_b32 v15, v10, v9, v13
	v_cndmask_b32_e64 v7, v14, v12, s2
	;; [unrolled: 3-line block ×3, first 2 shown]
	s_delay_alu instid0(VALU_DEP_3) | instskip(NEXT) | instid1(VALU_DEP_3)
	v_bfe_u32 v11, v7, 29, 1
	v_cndmask_b32_e64 v9, v13, v9, s2
	s_delay_alu instid0(VALU_DEP_3) | instskip(NEXT) | instid1(VALU_DEP_3)
	v_alignbit_b32 v8, v7, v10, 30
	v_sub_nc_u32_e32 v12, 0, v11
	s_delay_alu instid0(VALU_DEP_3) | instskip(SKIP_1) | instid1(VALU_DEP_3)
	v_alignbit_b32 v10, v10, v9, 30
	v_alignbit_b32 v5, v9, v5, 30
	v_xor_b32_e32 v6, v8, v12
	v_cmp_ne_u32_e32 vcc_lo, v8, v12
	s_delay_alu instid0(VALU_DEP_4) | instskip(NEXT) | instid1(VALU_DEP_4)
	v_xor_b32_e32 v9, v10, v12
	v_xor_b32_e32 v5, v5, v12
	s_delay_alu instid0(VALU_DEP_4) | instskip(NEXT) | instid1(VALU_DEP_1)
	v_clz_i32_u32_e32 v14, v6
	v_add_nc_u32_e32 v13, 1, v14
	s_delay_alu instid0(VALU_DEP_1) | instskip(NEXT) | instid1(VALU_DEP_1)
	v_cndmask_b32_e32 v8, 33, v13, vcc_lo
	v_sub_nc_u32_e32 v10, 32, v8
	s_delay_alu instid0(VALU_DEP_1) | instskip(SKIP_3) | instid1(VALU_DEP_3)
	v_alignbit_b32 v6, v6, v9, v10
	v_alignbit_b32 v5, v9, v5, v10
	v_lshrrev_b32_e32 v9, 29, v7
	v_lshrrev_b32_e32 v7, 30, v7
	v_alignbit_b32 v10, v6, v5, 9
	s_delay_alu instid0(VALU_DEP_3) | instskip(SKIP_1) | instid1(VALU_DEP_3)
	v_lshlrev_b32_e32 v9, 31, v9
	v_alignbit_b32 v6, v8, v6, 9
	v_clz_i32_u32_e32 v12, v10
	s_delay_alu instid0(VALU_DEP_2) | instskip(SKIP_1) | instid1(VALU_DEP_3)
	v_or_b32_e32 v6, v6, v9
	v_or_b32_e32 v9, 0x33800000, v9
	v_min_u32_e32 v12, 32, v12
	s_delay_alu instid0(VALU_DEP_3) | instskip(NEXT) | instid1(VALU_DEP_2)
	v_xor_b32_e32 v6, 1.0, v6
	v_sub_nc_u32_e32 v13, 31, v12
	v_add_lshl_u32 v8, v12, v8, 23
	s_delay_alu instid0(VALU_DEP_3) | instskip(NEXT) | instid1(VALU_DEP_3)
	v_mul_f32_e32 v12, 0x3fc90fda, v6
	v_alignbit_b32 v5, v10, v5, v13
	s_delay_alu instid0(VALU_DEP_3) | instskip(NEXT) | instid1(VALU_DEP_3)
	v_sub_nc_u32_e32 v8, v9, v8
	v_fma_f32 v9, 0x3fc90fda, v6, -v12
	s_delay_alu instid0(VALU_DEP_3) | instskip(NEXT) | instid1(VALU_DEP_2)
	v_lshrrev_b32_e32 v5, 9, v5
	v_fmamk_f32 v6, v6, 0x33a22168, v9
	s_delay_alu instid0(VALU_DEP_2) | instskip(NEXT) | instid1(VALU_DEP_1)
	v_or_b32_e32 v5, v8, v5
                                        ; implicit-def: $vgpr8
	v_fmac_f32_e32 v6, 0x3fc90fda, v5
	s_delay_alu instid0(VALU_DEP_1)
	v_dual_add_f32 v5, v12, v6 :: v_dual_add_nc_u32 v6, v11, v7
	s_and_not1_saveexec_b32 s0, s6
	s_cbranch_execnz .LBB108_54
	s_branch .LBB108_55
.LBB108_53:
	s_and_not1_saveexec_b32 s0, s6
.LBB108_54:
	v_rndne_f32_e32 v6, v8
	s_delay_alu instid0(VALU_DEP_1) | instskip(NEXT) | instid1(VALU_DEP_1)
	v_fma_f32 v5, 0xbfc90fda, v6, |v1|
	v_fmamk_f32 v5, v6, 0xb3a22168, v5
	s_delay_alu instid0(VALU_DEP_1)
	v_fmamk_f32 v5, v6, 0xa7c234c4, v5
	v_cvt_i32_f32_e32 v6, v6
.LBB108_55:
	s_or_b32 exec_lo, exec_lo, s0
	v_add_f32_e64 v7, 0xbf317218, |v0|
	s_mov_b32 s0, 0x3ab42872
	s_mov_b32 s1, 0x37d75334
	s_delay_alu instid0(VALU_DEP_1) | instskip(NEXT) | instid1(VALU_DEP_1)
	v_sub_f32_e64 v8, v7, |v0|
	v_dual_sub_f32 v9, v8, v7 :: v_dual_add_f32 v8, 0x3f317218, v8
	s_delay_alu instid0(VALU_DEP_1) | instskip(NEXT) | instid1(VALU_DEP_1)
	v_add_f32_e64 v9, |v0|, v9
	v_sub_f32_e32 v8, v9, v8
	s_delay_alu instid0(VALU_DEP_1) | instskip(NEXT) | instid1(VALU_DEP_1)
	v_add_f32_e32 v8, 0x3102e308, v8
	v_add_f32_e32 v9, v7, v8
	s_delay_alu instid0(VALU_DEP_1) | instskip(NEXT) | instid1(VALU_DEP_1)
	v_sub_f32_e32 v7, v7, v9
	v_dual_mul_f32 v10, 0x3fb8aa3b, v9 :: v_dual_add_f32 v7, v8, v7
	s_delay_alu instid0(VALU_DEP_1) | instskip(NEXT) | instid1(VALU_DEP_1)
	v_rndne_f32_e32 v10, v10
	v_fmamk_f32 v8, v10, 0xbf317200, v9
	v_mul_f32_e32 v9, 0x35bfbc00, v10
	s_delay_alu instid0(VALU_DEP_2) | instskip(NEXT) | instid1(VALU_DEP_1)
	v_add_f32_e32 v11, v7, v8
	v_sub_f32_e32 v12, v11, v9
	s_delay_alu instid0(VALU_DEP_1) | instskip(NEXT) | instid1(VALU_DEP_1)
	v_dual_sub_f32 v8, v8, v11 :: v_dual_sub_f32 v11, v11, v12
	v_add_f32_e32 v7, v7, v8
	s_delay_alu instid0(VALU_DEP_2) | instskip(NEXT) | instid1(VALU_DEP_1)
	v_sub_f32_e32 v8, v11, v9
	v_dual_add_f32 v7, v7, v8 :: v_dual_mul_f32 v8, 0x2ea39ef3, v10
	s_delay_alu instid0(VALU_DEP_1) | instskip(NEXT) | instid1(VALU_DEP_1)
	v_add_f32_e32 v9, v12, v7
	v_dual_sub_f32 v11, v9, v8 :: v_dual_sub_f32 v12, v12, v9
	s_delay_alu instid0(VALU_DEP_1) | instskip(NEXT) | instid1(VALU_DEP_2)
	v_sub_f32_e32 v9, v9, v11
	v_add_f32_e32 v7, v7, v12
	s_delay_alu instid0(VALU_DEP_2) | instskip(NEXT) | instid1(VALU_DEP_1)
	v_sub_f32_e32 v8, v9, v8
	v_add_f32_e32 v7, v7, v8
	s_delay_alu instid0(VALU_DEP_1) | instskip(NEXT) | instid1(VALU_DEP_1)
	v_add_f32_e32 v8, v11, v7
	v_sub_f32_e32 v9, v11, v8
	v_mul_f32_e32 v11, v8, v8
	s_delay_alu instid0(VALU_DEP_2) | instskip(SKIP_1) | instid1(VALU_DEP_3)
	v_add_f32_e32 v7, v7, v9
	v_fmaak_f32 v9, s0, v8, 0x3c091de6
	v_fma_f32 v12, v8, v8, -v11
	s_mov_b32 s0, 0xb94c1982
	s_delay_alu instid0(VALU_DEP_3) | instskip(NEXT) | instid1(VALU_DEP_3)
	v_add_f32_e32 v13, v7, v7
	v_fmaak_f32 v9, v8, v9, 0x3d2aadcc
	s_delay_alu instid0(VALU_DEP_2) | instskip(NEXT) | instid1(VALU_DEP_2)
	v_fmac_f32_e32 v12, v8, v13
	v_fmaak_f32 v9, v8, v9, 0x3e2aaa47
	s_delay_alu instid0(VALU_DEP_2) | instskip(NEXT) | instid1(VALU_DEP_2)
	v_add_f32_e32 v13, v11, v12
	v_fmaak_f32 v9, v8, v9, 0x3efffffc
	s_delay_alu instid0(VALU_DEP_2) | instskip(NEXT) | instid1(VALU_DEP_1)
	v_sub_f32_e32 v11, v13, v11
	v_dual_mul_f32 v14, v9, v13 :: v_dual_sub_f32 v11, v12, v11
	s_delay_alu instid0(VALU_DEP_1) | instskip(NEXT) | instid1(VALU_DEP_1)
	v_fma_f32 v12, v13, v9, -v14
	v_fmac_f32_e32 v12, v11, v9
	s_delay_alu instid0(VALU_DEP_1) | instskip(NEXT) | instid1(VALU_DEP_1)
	v_add_f32_e32 v9, v14, v12
	v_add_f32_e32 v11, v8, v9
	s_delay_alu instid0(VALU_DEP_1) | instskip(NEXT) | instid1(VALU_DEP_1)
	v_dual_sub_f32 v13, v9, v14 :: v_dual_sub_f32 v8, v11, v8
	v_sub_f32_e32 v12, v12, v13
	s_delay_alu instid0(VALU_DEP_2) | instskip(NEXT) | instid1(VALU_DEP_2)
	v_sub_f32_e32 v8, v9, v8
	v_add_f32_e32 v7, v7, v12
	s_delay_alu instid0(VALU_DEP_1) | instskip(NEXT) | instid1(VALU_DEP_1)
	v_add_f32_e32 v7, v7, v8
	v_add_f32_e32 v8, v11, v7
	s_delay_alu instid0(VALU_DEP_1) | instskip(NEXT) | instid1(VALU_DEP_1)
	v_add_f32_e32 v9, 1.0, v8
	v_dual_sub_f32 v11, v8, v11 :: v_dual_add_f32 v12, -1.0, v9
	s_delay_alu instid0(VALU_DEP_1) | instskip(NEXT) | instid1(VALU_DEP_1)
	v_dual_sub_f32 v7, v7, v11 :: v_dual_sub_f32 v8, v8, v12
	v_add_f32_e32 v7, v7, v8
	v_cvt_i32_f32_e32 v8, v10
	s_delay_alu instid0(VALU_DEP_2) | instskip(NEXT) | instid1(VALU_DEP_1)
	v_add_f32_e32 v10, v9, v7
	v_ldexp_f32 v11, v10, v8
	v_sub_f32_e32 v9, v10, v9
	s_delay_alu instid0(VALU_DEP_2) | instskip(NEXT) | instid1(VALU_DEP_1)
	v_rcp_f32_e32 v12, v11
	v_sub_f32_e32 v7, v7, v9
	s_delay_alu instid0(VALU_DEP_1) | instskip(SKIP_2) | instid1(VALU_DEP_1)
	v_ldexp_f32 v7, v7, v8
	s_waitcnt_depctr 0xfff
	v_mul_f32_e32 v9, v11, v12
	v_fma_f32 v8, v12, v11, -v9
	s_delay_alu instid0(VALU_DEP_1) | instskip(NEXT) | instid1(VALU_DEP_1)
	v_fmac_f32_e32 v8, v12, v7
	v_add_f32_e32 v10, v9, v8
	s_delay_alu instid0(VALU_DEP_1) | instskip(SKIP_1) | instid1(VALU_DEP_2)
	v_sub_f32_e32 v13, 1.0, v10
	v_sub_f32_e32 v9, v10, v9
	v_sub_f32_e32 v14, 1.0, v13
	s_delay_alu instid0(VALU_DEP_1) | instskip(NEXT) | instid1(VALU_DEP_1)
	v_dual_sub_f32 v8, v9, v8 :: v_dual_sub_f32 v9, v14, v10
	v_add_f32_e32 v8, v8, v9
	s_delay_alu instid0(VALU_DEP_1) | instskip(NEXT) | instid1(VALU_DEP_1)
	v_add_f32_e32 v9, v13, v8
	v_mul_f32_e32 v10, v12, v9
	s_delay_alu instid0(VALU_DEP_1) | instskip(NEXT) | instid1(VALU_DEP_1)
	v_dual_sub_f32 v13, v13, v9 :: v_dual_mul_f32 v14, v11, v10
	v_add_f32_e32 v8, v8, v13
	s_delay_alu instid0(VALU_DEP_2) | instskip(NEXT) | instid1(VALU_DEP_1)
	v_fma_f32 v15, v10, v11, -v14
	v_fmac_f32_e32 v15, v10, v7
	s_delay_alu instid0(VALU_DEP_1) | instskip(NEXT) | instid1(VALU_DEP_1)
	v_add_f32_e32 v16, v14, v15
	v_sub_f32_e32 v13, v16, v14
	v_dual_sub_f32 v17, v9, v16 :: v_dual_and_b32 v14, 1, v6
	s_delay_alu instid0(VALU_DEP_2) | instskip(NEXT) | instid1(VALU_DEP_2)
	v_dual_sub_f32 v13, v13, v15 :: v_dual_lshlrev_b32 v6, 30, v6
	v_sub_f32_e32 v9, v9, v17
	s_delay_alu instid0(VALU_DEP_2) | instskip(NEXT) | instid1(VALU_DEP_2)
	v_and_or_b32 v3, 0x80000000, v6, v3
	v_sub_f32_e32 v9, v9, v16
	s_delay_alu instid0(VALU_DEP_1) | instskip(NEXT) | instid1(VALU_DEP_1)
	v_add_f32_e32 v8, v8, v9
	v_dual_add_f32 v9, v12, v10 :: v_dual_add_f32 v8, v13, v8
	s_delay_alu instid0(VALU_DEP_1) | instskip(NEXT) | instid1(VALU_DEP_1)
	v_sub_f32_e32 v13, v9, v12
	v_sub_f32_e32 v10, v10, v13
	v_mul_f32_e32 v13, v5, v5
	s_delay_alu instid0(VALU_DEP_1) | instskip(SKIP_1) | instid1(VALU_DEP_1)
	v_fmaak_f32 v20, s1, v13, 0xbab64f3b
	v_add_f32_e32 v8, v17, v8
	v_mul_f32_e32 v8, v12, v8
	v_mul_f32_e32 v12, v2, v2
	s_delay_alu instid0(VALU_DEP_2) | instskip(NEXT) | instid1(VALU_DEP_2)
	v_add_f32_e32 v8, v10, v8
	v_fmaak_f32 v16, s0, v12, 0x3c0881c4
	v_and_b32_e32 v10, 1, v4
	v_lshlrev_b32_e32 v4, 30, v4
	s_delay_alu instid0(VALU_DEP_3) | instskip(NEXT) | instid1(VALU_DEP_3)
	v_fmaak_f32 v6, v12, v16, 0xbe2aaa9d
	v_cmp_eq_u32_e32 vcc_lo, 0, v10
	s_delay_alu instid0(VALU_DEP_3) | instskip(NEXT) | instid1(VALU_DEP_3)
	v_and_b32_e32 v4, 0x80000000, v4
	v_mul_f32_e32 v6, v12, v6
	s_delay_alu instid0(VALU_DEP_1) | instskip(SKIP_2) | instid1(VALU_DEP_1)
	v_fmac_f32_e32 v2, v2, v6
	v_fmaak_f32 v20, v13, v20, 0x3d2aabf7
	v_add_f32_e32 v15, v9, v8
	v_sub_f32_e32 v9, v15, v9
	s_delay_alu instid0(VALU_DEP_1) | instskip(SKIP_3) | instid1(VALU_DEP_4)
	v_sub_f32_e32 v8, v8, v9
	v_ldexp_f32 v18, v15, -2
	v_fmaak_f32 v17, s1, v12, 0xbab64f3b
	v_cmp_gt_f32_e64 s1, 0x39800000, |v0|
	v_ldexp_f32 v8, v8, -2
	s_delay_alu instid0(VALU_DEP_4) | instskip(NEXT) | instid1(VALU_DEP_4)
	v_add_f32_e32 v6, v11, v18
	v_dual_sub_f32 v16, v11, v18 :: v_dual_fmaak_f32 v17, v12, v17, 0x3d2aabf7
	s_delay_alu instid0(VALU_DEP_1) | instskip(NEXT) | instid1(VALU_DEP_3)
	v_sub_f32_e32 v15, v11, v16
	v_sub_f32_e32 v11, v6, v11
	s_delay_alu instid0(VALU_DEP_3) | instskip(NEXT) | instid1(VALU_DEP_2)
	v_fmaak_f32 v17, v12, v17, 0xbf000004
	v_dual_sub_f32 v9, v15, v18 :: v_dual_sub_f32 v10, v18, v11
	v_fmaak_f32 v15, v13, v20, 0xbf000004
	s_delay_alu instid0(VALU_DEP_3) | instskip(NEXT) | instid1(VALU_DEP_3)
	v_fma_f32 v12, v12, v17, 1.0
	v_add_f32_e32 v9, v7, v9
	v_add_f32_e32 v7, v7, v8
	s_delay_alu instid0(VALU_DEP_3) | instskip(SKIP_1) | instid1(VALU_DEP_4)
	v_cndmask_b32_e64 v2, -v2, v12, vcc_lo
	v_cmp_eq_u32_e32 vcc_lo, 0, v14
	v_sub_f32_e32 v9, v9, v8
	s_delay_alu instid0(VALU_DEP_4) | instskip(SKIP_3) | instid1(VALU_DEP_3)
	v_add_f32_e32 v7, v7, v10
	v_fmaak_f32 v19, s0, v13, 0x3c0881c4
	v_cmp_lt_f32_e64 s0, 0x42b2d4fc, |v0|
	v_xor_b32_e32 v2, v4, v2
	v_dual_add_f32 v8, v16, v9 :: v_dual_fmaak_f32 v19, v13, v19, 0xbe2aaa9d
	s_delay_alu instid0(VALU_DEP_1) | instskip(NEXT) | instid1(VALU_DEP_2)
	v_cndmask_b32_e64 v4, v8, 0x7f800000, s0
	v_mul_f32_e32 v19, v13, v19
	v_fma_f32 v13, v13, v15, 1.0
	s_delay_alu instid0(VALU_DEP_2) | instskip(NEXT) | instid1(VALU_DEP_1)
	v_fmac_f32_e32 v5, v5, v19
	v_cndmask_b32_e32 v5, v13, v5, vcc_lo
	v_cmp_class_f32_e64 vcc_lo, v1, 0x1f8
	s_delay_alu instid0(VALU_DEP_2) | instskip(SKIP_3) | instid1(VALU_DEP_4)
	v_xor3_b32 v1, v3, v5, v1
	v_cndmask_b32_e64 v3, v4, |v0|, s1
	v_add_f32_e32 v4, v6, v7
	v_cndmask_b32_e32 v2, 0x7fc00000, v2, vcc_lo
	v_cndmask_b32_e32 v1, 0x7fc00000, v1, vcc_lo
	s_delay_alu instid0(VALU_DEP_4) | instskip(NEXT) | instid1(VALU_DEP_4)
	v_bfi_b32 v0, 0x7fffffff, v3, v0
	v_cndmask_b32_e64 v3, v4, 0x7f800000, s0
	s_delay_alu instid0(VALU_DEP_1)
	v_dual_mul_f32 v2, v0, v2 :: v_dual_mul_f32 v1, v3, v1
.LBB108_56:
	s_or_b32 exec_lo, exec_lo, s5
                                        ; implicit-def: $vgpr0
.LBB108_57:
	s_and_not1_saveexec_b32 s0, s4
	s_cbranch_execz .LBB108_59
; %bb.58:
	v_add_f32_e64 v2, 0xbf317218, |v0|
	s_mov_b32 s1, 0x3ab42872
	v_cmp_nlt_f32_e64 vcc_lo, 0x42b2d4fc, |v0|
	s_delay_alu instid0(VALU_DEP_2) | instskip(NEXT) | instid1(VALU_DEP_1)
	v_sub_f32_e64 v3, v2, |v0|
	v_dual_sub_f32 v4, v3, v2 :: v_dual_add_f32 v3, 0x3f317218, v3
	s_delay_alu instid0(VALU_DEP_1) | instskip(NEXT) | instid1(VALU_DEP_1)
	v_add_f32_e64 v4, |v0|, v4
	v_sub_f32_e32 v3, v4, v3
	s_delay_alu instid0(VALU_DEP_1) | instskip(NEXT) | instid1(VALU_DEP_1)
	v_add_f32_e32 v3, 0x3102e308, v3
	v_add_f32_e32 v4, v2, v3
	s_delay_alu instid0(VALU_DEP_1) | instskip(NEXT) | instid1(VALU_DEP_1)
	v_sub_f32_e32 v2, v2, v4
	v_dual_mul_f32 v5, 0x3fb8aa3b, v4 :: v_dual_add_f32 v2, v3, v2
	s_delay_alu instid0(VALU_DEP_1) | instskip(NEXT) | instid1(VALU_DEP_1)
	v_rndne_f32_e32 v5, v5
	v_fmamk_f32 v3, v5, 0xbf317200, v4
	v_mul_f32_e32 v4, 0x35bfbc00, v5
	s_delay_alu instid0(VALU_DEP_2) | instskip(NEXT) | instid1(VALU_DEP_1)
	v_add_f32_e32 v6, v2, v3
	v_sub_f32_e32 v7, v6, v4
	s_delay_alu instid0(VALU_DEP_1) | instskip(NEXT) | instid1(VALU_DEP_1)
	v_dual_sub_f32 v3, v3, v6 :: v_dual_sub_f32 v6, v6, v7
	v_add_f32_e32 v2, v2, v3
	s_delay_alu instid0(VALU_DEP_2) | instskip(NEXT) | instid1(VALU_DEP_1)
	v_sub_f32_e32 v3, v6, v4
	v_dual_add_f32 v2, v2, v3 :: v_dual_mul_f32 v3, 0x2ea39ef3, v5
	s_delay_alu instid0(VALU_DEP_1) | instskip(NEXT) | instid1(VALU_DEP_1)
	v_add_f32_e32 v4, v7, v2
	v_dual_sub_f32 v6, v4, v3 :: v_dual_sub_f32 v7, v7, v4
	s_delay_alu instid0(VALU_DEP_1) | instskip(NEXT) | instid1(VALU_DEP_2)
	v_sub_f32_e32 v4, v4, v6
	v_add_f32_e32 v2, v2, v7
	s_delay_alu instid0(VALU_DEP_2) | instskip(NEXT) | instid1(VALU_DEP_1)
	v_sub_f32_e32 v3, v4, v3
	v_add_f32_e32 v2, v2, v3
	s_delay_alu instid0(VALU_DEP_1) | instskip(NEXT) | instid1(VALU_DEP_1)
	v_add_f32_e32 v3, v6, v2
	v_sub_f32_e32 v4, v6, v3
	v_mul_f32_e32 v6, v3, v3
	s_delay_alu instid0(VALU_DEP_2) | instskip(SKIP_1) | instid1(VALU_DEP_3)
	v_add_f32_e32 v2, v2, v4
	v_fmaak_f32 v4, s1, v3, 0x3c091de6
	v_fma_f32 v7, v3, v3, -v6
	v_cmp_gt_f32_e64 s1, 0x39800000, |v0|
	s_delay_alu instid0(VALU_DEP_4) | instskip(NEXT) | instid1(VALU_DEP_4)
	v_add_f32_e32 v8, v2, v2
	v_fmaak_f32 v4, v3, v4, 0x3d2aadcc
	s_delay_alu instid0(VALU_DEP_2) | instskip(NEXT) | instid1(VALU_DEP_2)
	v_fmac_f32_e32 v7, v3, v8
	v_fmaak_f32 v4, v3, v4, 0x3e2aaa47
	s_delay_alu instid0(VALU_DEP_2) | instskip(NEXT) | instid1(VALU_DEP_2)
	v_add_f32_e32 v8, v6, v7
	v_fmaak_f32 v4, v3, v4, 0x3efffffc
	s_delay_alu instid0(VALU_DEP_2) | instskip(NEXT) | instid1(VALU_DEP_1)
	v_sub_f32_e32 v6, v8, v6
	v_dual_mul_f32 v9, v4, v8 :: v_dual_sub_f32 v6, v7, v6
	s_delay_alu instid0(VALU_DEP_1) | instskip(NEXT) | instid1(VALU_DEP_1)
	v_fma_f32 v7, v8, v4, -v9
	v_fmac_f32_e32 v7, v6, v4
	s_delay_alu instid0(VALU_DEP_1) | instskip(NEXT) | instid1(VALU_DEP_1)
	v_add_f32_e32 v4, v9, v7
	v_add_f32_e32 v6, v3, v4
	s_delay_alu instid0(VALU_DEP_1) | instskip(NEXT) | instid1(VALU_DEP_1)
	v_dual_sub_f32 v8, v4, v9 :: v_dual_sub_f32 v3, v6, v3
	v_sub_f32_e32 v7, v7, v8
	s_delay_alu instid0(VALU_DEP_2) | instskip(NEXT) | instid1(VALU_DEP_2)
	v_sub_f32_e32 v3, v4, v3
	v_add_f32_e32 v2, v2, v7
	s_delay_alu instid0(VALU_DEP_1) | instskip(NEXT) | instid1(VALU_DEP_1)
	v_add_f32_e32 v2, v2, v3
	v_add_f32_e32 v3, v6, v2
	s_delay_alu instid0(VALU_DEP_1) | instskip(NEXT) | instid1(VALU_DEP_1)
	v_add_f32_e32 v4, 1.0, v3
	v_dual_sub_f32 v6, v3, v6 :: v_dual_add_f32 v7, -1.0, v4
	s_delay_alu instid0(VALU_DEP_1) | instskip(NEXT) | instid1(VALU_DEP_1)
	v_dual_sub_f32 v2, v2, v6 :: v_dual_sub_f32 v3, v3, v7
	v_add_f32_e32 v2, v2, v3
	v_cvt_i32_f32_e32 v3, v5
	s_delay_alu instid0(VALU_DEP_2) | instskip(NEXT) | instid1(VALU_DEP_1)
	v_add_f32_e32 v5, v4, v2
	v_ldexp_f32 v6, v5, v3
	v_sub_f32_e32 v4, v5, v4
	s_delay_alu instid0(VALU_DEP_2) | instskip(NEXT) | instid1(VALU_DEP_1)
	v_rcp_f32_e32 v7, v6
	v_sub_f32_e32 v2, v2, v4
	s_delay_alu instid0(VALU_DEP_1) | instskip(SKIP_2) | instid1(VALU_DEP_1)
	v_ldexp_f32 v2, v2, v3
	s_waitcnt_depctr 0xfff
	v_mul_f32_e32 v4, v6, v7
	v_fma_f32 v3, v7, v6, -v4
	s_delay_alu instid0(VALU_DEP_1) | instskip(NEXT) | instid1(VALU_DEP_1)
	v_fmac_f32_e32 v3, v7, v2
	v_add_f32_e32 v5, v4, v3
	s_delay_alu instid0(VALU_DEP_1) | instskip(SKIP_1) | instid1(VALU_DEP_2)
	v_sub_f32_e32 v8, 1.0, v5
	v_sub_f32_e32 v4, v5, v4
	v_sub_f32_e32 v9, 1.0, v8
	s_delay_alu instid0(VALU_DEP_1) | instskip(NEXT) | instid1(VALU_DEP_1)
	v_dual_sub_f32 v3, v4, v3 :: v_dual_sub_f32 v4, v9, v5
	v_add_f32_e32 v3, v3, v4
	s_delay_alu instid0(VALU_DEP_1) | instskip(NEXT) | instid1(VALU_DEP_1)
	v_add_f32_e32 v4, v8, v3
	v_mul_f32_e32 v5, v7, v4
	s_delay_alu instid0(VALU_DEP_1) | instskip(NEXT) | instid1(VALU_DEP_1)
	v_dual_sub_f32 v8, v8, v4 :: v_dual_mul_f32 v9, v6, v5
	v_add_f32_e32 v3, v3, v8
	s_delay_alu instid0(VALU_DEP_2) | instskip(NEXT) | instid1(VALU_DEP_1)
	v_fma_f32 v10, v5, v6, -v9
	v_fmac_f32_e32 v10, v5, v2
	s_delay_alu instid0(VALU_DEP_1) | instskip(NEXT) | instid1(VALU_DEP_1)
	v_add_f32_e32 v11, v9, v10
	v_sub_f32_e32 v12, v4, v11
	v_sub_f32_e32 v8, v11, v9
	s_delay_alu instid0(VALU_DEP_2) | instskip(NEXT) | instid1(VALU_DEP_2)
	v_sub_f32_e32 v4, v4, v12
	v_sub_f32_e32 v8, v8, v10
	s_delay_alu instid0(VALU_DEP_2) | instskip(NEXT) | instid1(VALU_DEP_1)
	v_sub_f32_e32 v4, v4, v11
	v_add_f32_e32 v3, v3, v4
	s_delay_alu instid0(VALU_DEP_1) | instskip(NEXT) | instid1(VALU_DEP_1)
	v_dual_add_f32 v4, v7, v5 :: v_dual_add_f32 v3, v8, v3
	v_sub_f32_e32 v8, v4, v7
	s_delay_alu instid0(VALU_DEP_2) | instskip(NEXT) | instid1(VALU_DEP_2)
	v_add_f32_e32 v3, v12, v3
	v_sub_f32_e32 v5, v5, v8
	s_delay_alu instid0(VALU_DEP_2) | instskip(NEXT) | instid1(VALU_DEP_1)
	v_mul_f32_e32 v3, v7, v3
	v_add_f32_e32 v3, v5, v3
	s_delay_alu instid0(VALU_DEP_1) | instskip(NEXT) | instid1(VALU_DEP_1)
	v_add_f32_e32 v5, v4, v3
	v_ldexp_f32 v7, v5, -2
	v_sub_f32_e32 v4, v5, v4
	s_delay_alu instid0(VALU_DEP_1) | instskip(NEXT) | instid1(VALU_DEP_1)
	v_dual_sub_f32 v8, v6, v7 :: v_dual_sub_f32 v3, v3, v4
	v_sub_f32_e32 v5, v6, v8
	s_delay_alu instid0(VALU_DEP_2) | instskip(NEXT) | instid1(VALU_DEP_2)
	v_ldexp_f32 v3, v3, -2
	v_sub_f32_e32 v4, v5, v7
	s_delay_alu instid0(VALU_DEP_1) | instskip(NEXT) | instid1(VALU_DEP_1)
	v_add_f32_e32 v2, v2, v4
	v_sub_f32_e32 v2, v2, v3
	s_delay_alu instid0(VALU_DEP_1) | instskip(NEXT) | instid1(VALU_DEP_1)
	v_add_f32_e32 v2, v8, v2
	v_cndmask_b32_e32 v2, 0x7f800000, v2, vcc_lo
	s_delay_alu instid0(VALU_DEP_1) | instskip(NEXT) | instid1(VALU_DEP_1)
	v_cndmask_b32_e64 v2, v2, |v0|, s1
	v_bfi_b32 v2, 0x7fffffff, v2, v0
.LBB108_59:
	s_or_b32 exec_lo, exec_lo, s0
	s_delay_alu instid0(SALU_CYCLE_1) | instskip(NEXT) | instid1(VALU_DEP_1)
	s_or_b32 exec_lo, exec_lo, s3
	v_mov_b32_e32 v0, v2
	s_setpc_b64 s[30:31]
.LBB108_60:
	s_and_not1_saveexec_b32 s0, s10
.LBB108_61:
	v_mul_f32_e64 v2, 0x3f22f983, |v1|
	s_delay_alu instid0(VALU_DEP_1) | instskip(NEXT) | instid1(VALU_DEP_1)
	v_rndne_f32_e32 v4, v2
	v_fma_f32 v2, 0xbfc90fda, v4, |v1|
	s_delay_alu instid0(VALU_DEP_1) | instskip(NEXT) | instid1(VALU_DEP_1)
	v_fmamk_f32 v2, v4, 0xb3a22168, v2
	v_fmamk_f32 v2, v4, 0xa7c234c4, v2
	v_cvt_i32_f32_e32 v4, v4
; %bb.62:
	s_or_b32 exec_lo, exec_lo, s0
                                        ; implicit-def: $vgpr6
                                        ; implicit-def: $vgpr5
	s_and_saveexec_b32 s0, s9
	s_delay_alu instid0(SALU_CYCLE_1)
	s_xor_b32 s9, exec_lo, s0
	s_cbranch_execz .LBB108_64
; %bb.63:
	s_mov_b32 s0, 0x7fffff
	v_mov_b32_e32 v7, 0
	v_and_or_b32 v15, v3, s0, 0x800000
	v_lshrrev_b32_e32 v12, 23, v3
	s_delay_alu instid0(VALU_DEP_2) | instskip(NEXT) | instid1(VALU_DEP_2)
	v_mad_u64_u32 v[5:6], null, 0xfe5163ab, v15, 0
	v_add_nc_u32_e32 v13, 0xffffff88, v12
	s_delay_alu instid0(VALU_DEP_1) | instskip(NEXT) | instid1(VALU_DEP_3)
	v_cmp_lt_u32_e32 vcc_lo, 63, v13
	v_mad_u64_u32 v[8:9], null, 0x3c439041, v15, v[6:7]
	v_cndmask_b32_e64 v14, 0, 0xffffffc0, vcc_lo
	s_delay_alu instid0(VALU_DEP_2) | instskip(NEXT) | instid1(VALU_DEP_2)
	v_mov_b32_e32 v6, v9
	v_add_nc_u32_e32 v14, v14, v13
	s_delay_alu instid0(VALU_DEP_2) | instskip(NEXT) | instid1(VALU_DEP_2)
	v_mad_u64_u32 v[9:10], null, 0xdb629599, v15, v[6:7]
	v_cmp_lt_u32_e64 s0, 31, v14
	s_delay_alu instid0(VALU_DEP_1) | instskip(NEXT) | instid1(VALU_DEP_3)
	v_cndmask_b32_e64 v16, 0, 0xffffffe0, s0
	v_dual_mov_b32 v6, v10 :: v_dual_cndmask_b32 v5, v9, v5
	s_delay_alu instid0(VALU_DEP_2) | instskip(NEXT) | instid1(VALU_DEP_2)
	v_add_nc_u32_e32 v16, v16, v14
	v_mad_u64_u32 v[10:11], null, 0xf534ddc0, v15, v[6:7]
	s_delay_alu instid0(VALU_DEP_2) | instskip(NEXT) | instid1(VALU_DEP_2)
	v_cmp_lt_u32_e64 s1, 31, v16
	v_mov_b32_e32 v6, v11
	s_delay_alu instid0(VALU_DEP_3) | instskip(NEXT) | instid1(VALU_DEP_2)
	v_cndmask_b32_e32 v8, v10, v8, vcc_lo
	v_mad_u64_u32 v[11:12], null, 0xfc2757d1, v15, v[6:7]
	s_delay_alu instid0(VALU_DEP_2) | instskip(NEXT) | instid1(VALU_DEP_2)
	v_cndmask_b32_e64 v5, v8, v5, s0
	v_mov_b32_e32 v6, v12
	s_delay_alu instid0(VALU_DEP_1) | instskip(NEXT) | instid1(VALU_DEP_1)
	v_mad_u64_u32 v[12:13], null, 0x4e441529, v15, v[6:7]
	v_mov_b32_e32 v6, v13
	s_delay_alu instid0(VALU_DEP_1) | instskip(SKIP_1) | instid1(VALU_DEP_1)
	v_mad_u64_u32 v[13:14], null, 0xa2f9836e, v15, v[6:7]
	v_cndmask_b32_e64 v6, 0, 0xffffffe0, s1
	v_dual_cndmask_b32 v7, v12, v10 :: v_dual_add_nc_u32 v6, v6, v16
	s_delay_alu instid0(VALU_DEP_3) | instskip(NEXT) | instid1(VALU_DEP_4)
	v_cndmask_b32_e32 v13, v13, v11, vcc_lo
	v_dual_cndmask_b32 v11, v11, v9 :: v_dual_cndmask_b32 v12, v14, v12
	s_delay_alu instid0(VALU_DEP_3) | instskip(NEXT) | instid1(VALU_DEP_3)
	v_cmp_eq_u32_e64 s2, 0, v6
	v_cndmask_b32_e64 v10, v13, v7, s0
	s_delay_alu instid0(VALU_DEP_3) | instskip(NEXT) | instid1(VALU_DEP_4)
	v_cndmask_b32_e64 v7, v7, v11, s0
	v_cndmask_b32_e64 v12, v12, v13, s0
	v_sub_nc_u32_e32 v13, 32, v6
	v_cndmask_b32_e64 v11, v11, v8, s0
	s_delay_alu instid0(VALU_DEP_3) | instskip(SKIP_1) | instid1(VALU_DEP_3)
	v_cndmask_b32_e64 v12, v12, v10, s1
	v_cndmask_b32_e64 v10, v10, v7, s1
	;; [unrolled: 1-line block ×4, first 2 shown]
	s_delay_alu instid0(VALU_DEP_3) | instskip(NEXT) | instid1(VALU_DEP_3)
	v_alignbit_b32 v14, v12, v10, v13
	v_alignbit_b32 v15, v10, v7, v13
	s_delay_alu instid0(VALU_DEP_3) | instskip(NEXT) | instid1(VALU_DEP_3)
	v_alignbit_b32 v13, v7, v5, v13
	v_cndmask_b32_e64 v6, v14, v12, s2
	s_delay_alu instid0(VALU_DEP_3) | instskip(NEXT) | instid1(VALU_DEP_3)
	v_cndmask_b32_e64 v9, v15, v10, s2
	v_cndmask_b32_e64 v7, v13, v7, s2
	s_delay_alu instid0(VALU_DEP_3) | instskip(NEXT) | instid1(VALU_DEP_3)
	v_bfe_u32 v10, v6, 29, 1
	v_alignbit_b32 v8, v6, v9, 30
	s_delay_alu instid0(VALU_DEP_3) | instskip(SKIP_1) | instid1(VALU_DEP_4)
	v_alignbit_b32 v9, v9, v7, 30
	v_alignbit_b32 v5, v7, v5, 30
	v_sub_nc_u32_e32 v12, 0, v10
	s_delay_alu instid0(VALU_DEP_1) | instskip(SKIP_3) | instid1(VALU_DEP_4)
	v_xor_b32_e32 v11, v8, v12
	v_cmp_ne_u32_e32 vcc_lo, v8, v12
	v_xor_b32_e32 v7, v9, v12
	v_xor_b32_e32 v5, v5, v12
	v_clz_i32_u32_e32 v14, v11
	s_delay_alu instid0(VALU_DEP_1) | instskip(NEXT) | instid1(VALU_DEP_1)
	v_add_nc_u32_e32 v13, 1, v14
	v_cndmask_b32_e32 v8, 33, v13, vcc_lo
	s_delay_alu instid0(VALU_DEP_1) | instskip(NEXT) | instid1(VALU_DEP_1)
	v_sub_nc_u32_e32 v9, 32, v8
	v_alignbit_b32 v11, v11, v7, v9
	v_alignbit_b32 v5, v7, v5, v9
	v_lshrrev_b32_e32 v7, 29, v6
	v_lshrrev_b32_e32 v6, 30, v6
	s_delay_alu instid0(VALU_DEP_3) | instskip(NEXT) | instid1(VALU_DEP_3)
	v_alignbit_b32 v9, v11, v5, 9
	v_lshlrev_b32_e32 v7, 31, v7
	v_alignbit_b32 v11, v8, v11, 9
	s_delay_alu instid0(VALU_DEP_4) | instskip(NEXT) | instid1(VALU_DEP_4)
	v_add_nc_u32_e32 v6, v10, v6
	v_clz_i32_u32_e32 v12, v9
	s_delay_alu instid0(VALU_DEP_3) | instskip(SKIP_1) | instid1(VALU_DEP_3)
	v_or_b32_e32 v11, v11, v7
	v_or_b32_e32 v7, 0x33800000, v7
	v_min_u32_e32 v12, 32, v12
	s_delay_alu instid0(VALU_DEP_3) | instskip(NEXT) | instid1(VALU_DEP_2)
	v_xor_b32_e32 v11, 1.0, v11
	v_sub_nc_u32_e32 v13, 31, v12
	v_add_lshl_u32 v8, v12, v8, 23
	s_delay_alu instid0(VALU_DEP_3) | instskip(NEXT) | instid1(VALU_DEP_3)
	v_mul_f32_e32 v12, 0x3fc90fda, v11
	v_alignbit_b32 v5, v9, v5, v13
	s_delay_alu instid0(VALU_DEP_3) | instskip(NEXT) | instid1(VALU_DEP_3)
	v_sub_nc_u32_e32 v7, v7, v8
	v_fma_f32 v8, 0x3fc90fda, v11, -v12
	s_delay_alu instid0(VALU_DEP_3) | instskip(NEXT) | instid1(VALU_DEP_2)
	v_lshrrev_b32_e32 v5, 9, v5
	v_fmamk_f32 v8, v11, 0x33a22168, v8
	s_delay_alu instid0(VALU_DEP_2) | instskip(NEXT) | instid1(VALU_DEP_1)
	v_or_b32_e32 v5, v7, v5
	v_fmac_f32_e32 v8, 0x3fc90fda, v5
	s_delay_alu instid0(VALU_DEP_1)
	v_add_f32_e32 v5, v12, v8
	s_and_not1_saveexec_b32 s0, s9
	s_cbranch_execnz .LBB108_65
	s_branch .LBB108_66
.LBB108_64:
	s_and_not1_saveexec_b32 s0, s9
.LBB108_65:
	v_mul_f32_e64 v5, 0x3f22f983, |v1|
	s_delay_alu instid0(VALU_DEP_1) | instskip(NEXT) | instid1(VALU_DEP_1)
	v_rndne_f32_e32 v6, v5
	v_fma_f32 v5, 0xbfc90fda, v6, |v1|
	s_delay_alu instid0(VALU_DEP_1) | instskip(NEXT) | instid1(VALU_DEP_1)
	v_fmamk_f32 v5, v6, 0xb3a22168, v5
	v_fmamk_f32 v5, v6, 0xa7c234c4, v5
	v_cvt_i32_f32_e32 v6, v6
.LBB108_66:
	s_or_b32 exec_lo, exec_lo, s0
	s_delay_alu instid0(VALU_DEP_1) | instskip(SKIP_3) | instid1(VALU_DEP_2)
	v_dual_mul_f32 v7, v2, v2 :: v_dual_mul_f32 v8, v5, v5
	s_mov_b32 s0, 0xb94c1982
	s_mov_b32 s1, 0x37d75334
	v_and_b32_e32 v11, 1, v4
	v_dual_fmaak_f32 v9, s0, v7, 0x3c0881c4 :: v_dual_fmaak_f32 v12, s0, v8, 0x3c0881c4
	v_dual_fmaak_f32 v10, s1, v7, 0xbab64f3b :: v_dual_fmaak_f32 v13, s1, v8, 0xbab64f3b
	s_delay_alu instid0(VALU_DEP_2) | instskip(SKIP_1) | instid1(VALU_DEP_3)
	v_dual_fmaak_f32 v9, v7, v9, 0xbe2aaa9d :: v_dual_and_b32 v14, 1, v6
	v_lshlrev_b32_e32 v4, 30, v4
	v_dual_fmaak_f32 v10, v7, v10, 0x3d2aabf7 :: v_dual_fmaak_f32 v13, v8, v13, 0x3d2aabf7
	s_delay_alu instid0(VALU_DEP_3) | instskip(SKIP_1) | instid1(VALU_DEP_3)
	v_dual_fmaak_f32 v12, v8, v12, 0xbe2aaa9d :: v_dual_mul_f32 v9, v7, v9
	v_cmp_eq_u32_e32 vcc_lo, 0, v11
	v_dual_fmaak_f32 v10, v7, v10, 0xbf000004 :: v_dual_fmaak_f32 v13, v8, v13, 0xbf000004
	v_and_b32_e32 v4, 0x80000000, v4
	s_delay_alu instid0(VALU_DEP_4) | instskip(NEXT) | instid1(VALU_DEP_3)
	v_fmac_f32_e32 v2, v2, v9
	v_fma_f32 v7, v7, v10, 1.0
	s_delay_alu instid0(VALU_DEP_1) | instskip(SKIP_1) | instid1(VALU_DEP_2)
	v_cndmask_b32_e64 v2, -v2, v7, vcc_lo
	v_cmp_eq_u32_e32 vcc_lo, 0, v14
	v_xor_b32_e32 v2, v4, v2
	v_mul_f32_e32 v12, v8, v12
	v_fma_f32 v8, v8, v13, 1.0
	s_delay_alu instid0(VALU_DEP_2) | instskip(NEXT) | instid1(VALU_DEP_1)
	v_dual_fmac_f32 v5, v5, v12 :: v_dual_lshlrev_b32 v6, 30, v6
	v_cndmask_b32_e32 v5, v8, v5, vcc_lo
	s_delay_alu instid0(VALU_DEP_2) | instskip(SKIP_1) | instid1(VALU_DEP_2)
	v_and_or_b32 v3, 0x80000000, v6, v3
	v_cmp_class_f32_e64 vcc_lo, v1, 0x1f8
	v_xor3_b32 v3, v3, v5, v1
	v_cndmask_b32_e32 v1, 0x7fc00000, v2, vcc_lo
	s_delay_alu instid0(VALU_DEP_1) | instskip(NEXT) | instid1(VALU_DEP_1)
	v_dual_mul_f32 v3, 0x7f800000, v3 :: v_dual_mul_f32 v2, v1, v0
                                        ; implicit-def: $vgpr0
	v_cndmask_b32_e32 v1, 0x7fc00000, v3, vcc_lo
.LBB108_67:
	s_and_not1_saveexec_b32 s0, s8
; %bb.68:
	s_delay_alu instid0(VALU_DEP_1) | instskip(NEXT) | instid1(VALU_DEP_1)
	v_dual_sub_f32 v1, v1, v1 :: v_dual_mul_f32 v2, v0, v0
	v_mul_f32_e32 v1, v1, v0
; %bb.69:
	s_or_b32 exec_lo, exec_lo, s0
.LBB108_70:
	s_delay_alu instid0(SALU_CYCLE_1)
	s_or_b32 exec_lo, exec_lo, s7
                                        ; implicit-def: $vgpr0
.LBB108_71:
	s_and_not1_saveexec_b32 s0, s4
; %bb.72:
	s_delay_alu instid0(VALU_DEP_1) | instskip(NEXT) | instid1(VALU_DEP_1)
	v_sub_f32_e32 v2, v1, v1
	v_mul_f32_e32 v1, v2, v0
; %bb.73:
	s_or_b32 exec_lo, exec_lo, s0
                                        ; implicit-def: $vgpr0
.LBB108_74:
	s_and_not1_saveexec_b32 s0, s3
; %bb.75:
	s_delay_alu instid0(VALU_DEP_1) | instskip(SKIP_1) | instid1(VALU_DEP_1)
	v_bfi_b32 v3, 0x7fffffff, 0, v1
	v_and_b32_e32 v2, 0x7fffff, v0
	v_cmp_eq_u32_e32 vcc_lo, 0, v2
	s_delay_alu instid0(VALU_DEP_3)
	v_dual_mov_b32 v2, v0 :: v_dual_cndmask_b32 v1, v3, v1
; %bb.76:
	s_or_b32 exec_lo, exec_lo, s0
                                        ; implicit-def: $vgpr0
.LBB108_77:
	s_and_not1_saveexec_b32 s0, s6
; %bb.78:
	s_delay_alu instid0(VALU_DEP_1) | instskip(NEXT) | instid1(VALU_DEP_1)
	v_sub_f32_e32 v1, v1, v1
	v_mul_f32_e32 v0, v1, v0
	s_delay_alu instid0(VALU_DEP_1)
	v_bfi_b32 v2, 0x7fffffff, 0, v0
; %bb.79:
	s_or_b32 exec_lo, exec_lo, s0
                                        ; implicit-def: $vgpr0
                                        ; implicit-def: $vgpr3
                                        ; implicit-def: $vgpr4
	s_and_not1_saveexec_b32 s3, s5
	s_cbranch_execnz .LBB108_11
.LBB108_80:
	s_or_b32 exec_lo, exec_lo, s3
	v_mov_b32_e32 v0, v2
	s_setpc_b64 s[30:31]
.Lfunc_end108:
	.size	_ZN6thrust23THRUST_200600_302600_NS6detail7complex6csinhfERKNS0_7complexIfEE, .Lfunc_end108-_ZN6thrust23THRUST_200600_302600_NS6detail7complex6csinhfERKNS0_7complexIfEE
                                        ; -- End function
	.section	.AMDGPU.csdata,"",@progbits
; Function info:
; codeLenInByte = 11924
; NumSgprs: 34
; NumVgprs: 21
; ScratchSize: 0
; MemoryBound: 0
	.section	.text._ZN2at6native12_GLOBAL__N_125multi_tensor_apply_kernelINS1_18TensorListMetadataILi2EEENS1_14UnaryOpFunctorIN3c107complexIfEELi2ELi1ELi1EEEJNS0_3SinIS8_EEEEEvT_T0_DpT1_,"axG",@progbits,_ZN2at6native12_GLOBAL__N_125multi_tensor_apply_kernelINS1_18TensorListMetadataILi2EEENS1_14UnaryOpFunctorIN3c107complexIfEELi2ELi1ELi1EEEJNS0_3SinIS8_EEEEEvT_T0_DpT1_,comdat
	.globl	_ZN2at6native12_GLOBAL__N_125multi_tensor_apply_kernelINS1_18TensorListMetadataILi2EEENS1_14UnaryOpFunctorIN3c107complexIfEELi2ELi1ELi1EEEJNS0_3SinIS8_EEEEEvT_T0_DpT1_ ; -- Begin function _ZN2at6native12_GLOBAL__N_125multi_tensor_apply_kernelINS1_18TensorListMetadataILi2EEENS1_14UnaryOpFunctorIN3c107complexIfEELi2ELi1ELi1EEEJNS0_3SinIS8_EEEEEvT_T0_DpT1_
	.p2align	8
	.type	_ZN2at6native12_GLOBAL__N_125multi_tensor_apply_kernelINS1_18TensorListMetadataILi2EEENS1_14UnaryOpFunctorIN3c107complexIfEELi2ELi1ELi1EEEJNS0_3SinIS8_EEEEEvT_T0_DpT1_,@function
_ZN2at6native12_GLOBAL__N_125multi_tensor_apply_kernelINS1_18TensorListMetadataILi2EEENS1_14UnaryOpFunctorIN3c107complexIfEELi2ELi1ELi1EEEJNS0_3SinIS8_EEEEEvT_T0_DpT1_: ; @_ZN2at6native12_GLOBAL__N_125multi_tensor_apply_kernelINS1_18TensorListMetadataILi2EEENS1_14UnaryOpFunctorIN3c107complexIfEELi2ELi1ELi1EEEJNS0_3SinIS8_EEEEEvT_T0_DpT1_
; %bb.0:
	v_dual_mov_b32 v21, v0 :: v_dual_mov_b32 v0, s15
	s_mov_b64 s[12:13], s[0:1]
	s_mov_b32 s5, 0
	s_mov_b32 s32, 0
	;; [unrolled: 1-line block ×3, first 2 shown]
	global_load_u8 v0, v0, s[0:1] offset:1536
	s_add_u32 s0, s12, s15
	s_mul_hi_u32 s1, s15, 3
	s_mul_i32 s15, s15, 3
	s_addc_u32 s2, s13, 0
	s_add_u32 s0, s0, s15
	s_addc_u32 s1, s2, s1
	s_mov_b32 s9, s5
	s_load_b32 s0, s[0:1], 0x740
	s_waitcnt vmcnt(0)
	v_readfirstlane_b32 s3, v0
	s_delay_alu instid0(VALU_DEP_1)
	s_lshl_b32 s1, s3, 3
	s_clause 0x2
	s_load_b64 s[22:23], s[12:13], s1 offset:0x0
	s_load_b64 s[24:25], s[12:13], s1 offset:0x200
	;; [unrolled: 1-line block ×3, first 2 shown]
	s_waitcnt lgkmcnt(0)
	s_ashr_i32 s1, s0, 31
	s_delay_alu instid0(SALU_CYCLE_1) | instskip(NEXT) | instid1(SALU_CYCLE_1)
	s_lshl_b64 s[14:15], s[0:1], 19
	s_add_u32 s11, s22, s14
	s_addc_u32 s18, s23, s15
	s_add_u32 s19, s24, s14
	s_addc_u32 s20, s25, s15
	s_and_b32 s6, s11, 31
	s_and_b32 s8, s2, 3
	;; [unrolled: 1-line block ×3, first 2 shown]
	s_or_b64 s[6:7], s[6:7], s[8:9]
	s_lshl_b64 s[0:1], s[0:1], 16
	s_or_b64 s[4:5], s[4:5], s[6:7]
	s_sub_u32 s16, s2, s0
	s_subb_u32 s17, s3, s1
	s_cmp_eq_u64 s[4:5], 0
	s_mov_b32 s0, -1
	s_cbranch_scc0 .LBB109_5
; %bb.1:
	v_dual_mov_b32 v31, 0 :: v_dual_lshlrev_b32 v30, 2, v21
	s_mov_b32 s21, exec_lo
	s_delay_alu instid0(VALU_DEP_1)
	v_cmpx_gt_i64_e64 s[16:17], v[30:31]
	s_cbranch_execz .LBB109_4
; %bb.2:
	s_load_b32 s0, s[12:13], 0xc5c
	v_lshlrev_b32_e32 v32, 5, v21
	s_mov_b32 s26, 0
	s_waitcnt lgkmcnt(0)
	s_and_b32 s0, s0, 0xffff
	s_delay_alu instid0(SALU_CYCLE_1)
	v_add_lshl_u32 v30, v21, s0, 2
	s_lshl_b32 s27, s0, 2
	s_lshl_b32 s28, s0, 5
.LBB109_3:                              ; =>This Inner Loop Header: Depth=1
	v_add_co_u32 v0, s0, s11, v32
	s_delay_alu instid0(VALU_DEP_1)
	v_add_co_ci_u32_e64 v1, null, s18, 0, s0
	s_getpc_b64 s[34:35]
	s_add_u32 s34, s34, _ZN6thrust23THRUST_200600_302600_NS6detail7complex6csinhfERKNS0_7complexIfEE@rel32@lo+4
	s_addc_u32 s35, s35, _ZN6thrust23THRUST_200600_302600_NS6detail7complex6csinhfERKNS0_7complexIfEE@rel32@hi+12
	s_clause 0x1
	global_load_b128 v[22:25], v[0:1], off
	global_load_b128 v[26:29], v[0:1], off offset:16
	s_waitcnt vmcnt(1)
	v_xor_b32_e32 v0, 0x80000000, v23
	v_mov_b32_e32 v1, v22
	s_swappc_b64 s[30:31], s[34:35]
	s_delay_alu instid0(VALU_DEP_1) | instskip(SKIP_2) | instid1(VALU_DEP_2)
	v_mov_b32_e32 v22, v1
	v_xor_b32_e32 v1, 0x80000000, v25
	v_xor_b32_e32 v23, 0x80000000, v0
	v_dual_mov_b32 v0, v1 :: v_dual_mov_b32 v1, v24
	s_swappc_b64 s[30:31], s[34:35]
	s_delay_alu instid0(VALU_DEP_1) | instskip(SKIP_1) | instid1(VALU_DEP_3)
	v_mov_b32_e32 v24, v1
	v_xor_b32_e32 v1, 0x80000000, v27
	v_xor_b32_e32 v25, 0x80000000, v0
	s_delay_alu instid0(VALU_DEP_2) | instskip(SKIP_1) | instid1(VALU_DEP_1)
	v_dual_mov_b32 v0, v1 :: v_dual_mov_b32 v1, v26
	s_swappc_b64 s[30:31], s[34:35]
	v_mov_b32_e32 v26, v1
	v_xor_b32_e32 v1, 0x80000000, v29
	s_delay_alu instid0(VALU_DEP_3) | instskip(NEXT) | instid1(VALU_DEP_2)
	v_xor_b32_e32 v27, 0x80000000, v0
	v_dual_mov_b32 v0, v1 :: v_dual_mov_b32 v1, v28
	s_swappc_b64 s[30:31], s[34:35]
	s_delay_alu instid0(VALU_DEP_1) | instskip(SKIP_1) | instid1(VALU_DEP_1)
	v_mov_b32_e32 v28, v1
	v_add_co_u32 v1, s0, s19, v32
	v_add_co_ci_u32_e64 v2, null, s20, 0, s0
	v_cmp_le_i64_e32 vcc_lo, s[16:17], v[30:31]
	v_cmp_lt_u64_e64 s0, 0xffff, v[30:31]
	v_add_co_u32 v30, s1, v30, s27
	s_delay_alu instid0(VALU_DEP_1) | instskip(SKIP_1) | instid1(VALU_DEP_4)
	v_add_co_ci_u32_e64 v31, s1, 0, v31, s1
	v_xor_b32_e32 v29, 0x80000000, v0
	s_or_b32 s0, vcc_lo, s0
	s_add_u32 s11, s11, s28
	s_addc_u32 s18, s18, 0
	s_add_u32 s19, s19, s28
	s_addc_u32 s20, s20, 0
	s_and_b32 s0, exec_lo, s0
	s_clause 0x1
	global_store_b128 v[1:2], v[22:25], off
	global_store_b128 v[1:2], v[26:29], off offset:16
	s_or_b32 s26, s0, s26
	s_delay_alu instid0(SALU_CYCLE_1)
	s_and_not1_b32 exec_lo, exec_lo, s26
	s_cbranch_execnz .LBB109_3
.LBB109_4:
	s_or_b32 exec_lo, exec_lo, s21
	s_mov_b32 s0, 0
.LBB109_5:
	s_delay_alu instid0(SALU_CYCLE_1)
	s_and_not1_b32 vcc_lo, exec_lo, s0
	s_cbranch_vccnz .LBB109_25
; %bb.6:
	v_cmp_lt_i64_e64 s0, s[16:17], 1
	s_delay_alu instid0(VALU_DEP_1)
	s_and_b32 vcc_lo, exec_lo, s0
	s_cbranch_vccnz .LBB109_25
; %bb.7:
	s_load_b32 s0, s[12:13], 0xc5c
	v_mov_b32_e32 v22, 0
	v_lshlrev_b32_e32 v0, 3, v21
	v_cmp_gt_u64_e64 s1, 0x10000, s[16:17]
	s_mov_b32 s19, 0
	s_delay_alu instid0(VALU_DEP_3) | instskip(NEXT) | instid1(VALU_DEP_3)
	v_mov_b32_e32 v1, v22
	v_add_co_u32 v4, s2, v0, s22
	s_delay_alu instid0(VALU_DEP_1) | instskip(SKIP_1) | instid1(VALU_DEP_3)
	v_add_co_ci_u32_e64 v5, null, 0, s23, s2
	v_add_co_u32 v29, s2, s24, v0
	v_add_co_u32 v31, vcc_lo, v4, 4
	s_delay_alu instid0(VALU_DEP_3)
	v_add_co_ci_u32_e32 v32, vcc_lo, 0, v5, vcc_lo
	v_add_co_ci_u32_e64 v30, null, s25, 0, s2
	s_waitcnt lgkmcnt(0)
	s_and_b32 s26, s0, 0xffff
	s_and_b32 s0, s1, exec_lo
	v_mad_u64_u32 v[2:3], null, s26, 24, v[0:1]
	s_cselect_b32 s21, s17, 0
	s_cselect_b32 s20, s16, 0x10000
	s_lshl_b32 s0, s26, 4
	s_lshl_b32 s18, s26, 2
	v_add_co_u32 v0, s0, s0, v0
	s_delay_alu instid0(VALU_DEP_2) | instskip(NEXT) | instid1(VALU_DEP_3)
	v_add_co_u32 v1, vcc_lo, v2, s22
	v_add_co_ci_u32_e32 v4, vcc_lo, s23, v3, vcc_lo
	s_lshl_b32 s27, s26, 1
	s_delay_alu instid0(VALU_DEP_2) | instskip(NEXT) | instid1(VALU_DEP_2)
	v_add_co_u32 v33, vcc_lo, v1, 4
	v_add_co_ci_u32_e32 v34, vcc_lo, 0, v4, vcc_lo
	v_add_co_u32 v35, vcc_lo, s24, v2
	v_add_co_ci_u32_e64 v1, null, 0, 0, s0
	v_add_co_ci_u32_e32 v36, vcc_lo, s25, v3, vcc_lo
	v_add_lshl_u32 v2, v21, s26, 3
	v_add_co_u32 v3, vcc_lo, v0, s22
	s_delay_alu instid0(VALU_DEP_4) | instskip(NEXT) | instid1(VALU_DEP_3)
	v_add_co_ci_u32_e32 v4, vcc_lo, s23, v1, vcc_lo
	v_add_co_u32 v37, s0, s24, v2
	s_delay_alu instid0(VALU_DEP_3)
	v_add_co_u32 v39, vcc_lo, v3, 4
	v_add_co_ci_u32_e64 v38, null, s25, 0, s0
	v_add_co_u32 v2, s0, v2, s22
	v_add_co_ci_u32_e32 v40, vcc_lo, 0, v4, vcc_lo
	v_add_co_ci_u32_e64 v3, null, 0, s23, s0
	v_add_co_u32 v41, vcc_lo, s24, v0
	v_add_co_ci_u32_e32 v42, vcc_lo, s25, v1, vcc_lo
	v_add_co_u32 v43, vcc_lo, v2, 4
	s_delay_alu instid0(VALU_DEP_4)
	v_add_co_ci_u32_e32 v44, vcc_lo, 0, v3, vcc_lo
	s_mul_i32 s28, s26, 3
	s_lshl_b32 s24, s26, 5
	s_mov_b64 s[22:23], s[18:19]
	s_branch .LBB109_9
.LBB109_8:                              ;   in Loop: Header=BB109_9 Depth=1
	s_or_b32 exec_lo, exec_lo, s12
	v_add_co_u32 v21, vcc_lo, v21, s18
	v_add_co_ci_u32_e32 v22, vcc_lo, 0, v22, vcc_lo
	v_add_co_u32 v31, vcc_lo, v31, s24
	v_add_co_ci_u32_e32 v32, vcc_lo, 0, v32, vcc_lo
	;; [unrolled: 2-line block ×7, first 2 shown]
	v_cmp_ge_i64_e64 s0, s[22:23], s[16:17]
	v_cmp_lt_u64_e64 s1, 0xffff, s[22:23]
	v_add_co_u32 v41, vcc_lo, v41, s24
	v_add_co_ci_u32_e32 v42, vcc_lo, 0, v42, vcc_lo
	v_add_co_u32 v43, vcc_lo, v43, s24
	v_add_co_ci_u32_e32 v44, vcc_lo, 0, v44, vcc_lo
	s_or_b32 s0, s0, s1
	s_add_u32 s22, s22, s18
	s_addc_u32 s23, s23, 0
	s_and_b32 vcc_lo, exec_lo, s0
	s_cbranch_vccnz .LBB109_25
.LBB109_9:                              ; =>This Inner Loop Header: Depth=1
	v_cmp_gt_u64_e32 vcc_lo, s[20:21], v[21:22]
	s_waitcnt vmcnt(0)
	v_dual_mov_b32 v2, 0 :: v_dual_mov_b32 v1, 0
	s_and_saveexec_b32 s1, vcc_lo
	s_cbranch_execz .LBB109_11
; %bb.10:                               ;   in Loop: Header=BB109_9 Depth=1
	v_add_co_u32 v0, s0, v31, s14
	s_delay_alu instid0(VALU_DEP_1)
	v_add_co_ci_u32_e64 v1, s0, s15, v32, s0
	global_load_b64 v[1:2], v[0:1], off offset:-4
.LBB109_11:                             ;   in Loop: Header=BB109_9 Depth=1
	s_or_b32 exec_lo, exec_lo, s1
	v_add_co_u32 v3, s0, s26, v21
	s_delay_alu instid0(VALU_DEP_1) | instskip(SKIP_2) | instid1(VALU_DEP_3)
	v_add_co_ci_u32_e64 v4, s0, 0, v22, s0
	v_dual_mov_b32 v24, 0 :: v_dual_mov_b32 v27, 0
	v_mov_b32_e32 v28, 0
	v_cmp_gt_u64_e64 s13, s[20:21], v[3:4]
	s_delay_alu instid0(VALU_DEP_1)
	s_and_saveexec_b32 s1, s13
	s_cbranch_execz .LBB109_13
; %bb.12:                               ;   in Loop: Header=BB109_9 Depth=1
	v_add_co_u32 v3, s0, v43, s14
	s_delay_alu instid0(VALU_DEP_1)
	v_add_co_ci_u32_e64 v4, s0, s15, v44, s0
	global_load_b64 v[27:28], v[3:4], off offset:-4
.LBB109_13:                             ;   in Loop: Header=BB109_9 Depth=1
	s_or_b32 exec_lo, exec_lo, s1
	v_add_co_u32 v3, s0, s27, v21
	s_delay_alu instid0(VALU_DEP_1) | instskip(SKIP_1) | instid1(VALU_DEP_2)
	v_add_co_ci_u32_e64 v4, s0, 0, v22, s0
	v_mov_b32_e32 v23, 0
	v_cmp_gt_u64_e64 s12, s[20:21], v[3:4]
	s_delay_alu instid0(VALU_DEP_1)
	s_and_saveexec_b32 s1, s12
	s_cbranch_execz .LBB109_15
; %bb.14:                               ;   in Loop: Header=BB109_9 Depth=1
	v_add_co_u32 v3, s0, v39, s14
	s_delay_alu instid0(VALU_DEP_1)
	v_add_co_ci_u32_e64 v4, s0, s15, v40, s0
	global_load_b64 v[23:24], v[3:4], off offset:-4
.LBB109_15:                             ;   in Loop: Header=BB109_9 Depth=1
	s_or_b32 exec_lo, exec_lo, s1
	v_add_co_u32 v3, s0, s28, v21
	s_delay_alu instid0(VALU_DEP_1) | instskip(SKIP_1) | instid1(VALU_DEP_2)
	v_add_co_ci_u32_e64 v4, s0, 0, v22, s0
	v_dual_mov_b32 v26, 0 :: v_dual_mov_b32 v25, 0
	v_cmp_gt_u64_e64 s11, s[20:21], v[3:4]
	s_delay_alu instid0(VALU_DEP_1)
	s_and_saveexec_b32 s1, s11
	s_cbranch_execnz .LBB109_20
; %bb.16:                               ;   in Loop: Header=BB109_9 Depth=1
	s_or_b32 exec_lo, exec_lo, s1
	s_and_saveexec_b32 s19, vcc_lo
	s_cbranch_execnz .LBB109_21
.LBB109_17:                             ;   in Loop: Header=BB109_9 Depth=1
	s_or_b32 exec_lo, exec_lo, s19
	s_and_saveexec_b32 s19, s13
	s_cbranch_execnz .LBB109_22
.LBB109_18:                             ;   in Loop: Header=BB109_9 Depth=1
	s_or_b32 exec_lo, exec_lo, s19
	s_and_saveexec_b32 s13, s12
	s_cbranch_execnz .LBB109_23
.LBB109_19:                             ;   in Loop: Header=BB109_9 Depth=1
	s_or_b32 exec_lo, exec_lo, s13
	s_and_saveexec_b32 s12, s11
	s_cbranch_execz .LBB109_8
	s_branch .LBB109_24
.LBB109_20:                             ;   in Loop: Header=BB109_9 Depth=1
	v_add_co_u32 v3, s0, v33, s14
	s_delay_alu instid0(VALU_DEP_1)
	v_add_co_ci_u32_e64 v4, s0, s15, v34, s0
	global_load_b64 v[25:26], v[3:4], off offset:-4
	s_or_b32 exec_lo, exec_lo, s1
	s_and_saveexec_b32 s19, vcc_lo
	s_cbranch_execz .LBB109_17
.LBB109_21:                             ;   in Loop: Header=BB109_9 Depth=1
	s_waitcnt vmcnt(0)
	v_xor_b32_e32 v0, 0x80000000, v2
	s_getpc_b64 s[0:1]
	s_add_u32 s0, s0, _ZN6thrust23THRUST_200600_302600_NS6detail7complex6csinhfERKNS0_7complexIfEE@rel32@lo+4
	s_addc_u32 s1, s1, _ZN6thrust23THRUST_200600_302600_NS6detail7complex6csinhfERKNS0_7complexIfEE@rel32@hi+12
	s_delay_alu instid0(SALU_CYCLE_1)
	s_swappc_b64 s[30:31], s[0:1]
	v_add_co_u32 v3, vcc_lo, v29, s14
	v_xor_b32_e32 v2, 0x80000000, v0
	v_add_co_ci_u32_e32 v4, vcc_lo, s15, v30, vcc_lo
	global_store_b64 v[3:4], v[1:2], off
	s_or_b32 exec_lo, exec_lo, s19
	s_and_saveexec_b32 s19, s13
	s_cbranch_execz .LBB109_18
.LBB109_22:                             ;   in Loop: Header=BB109_9 Depth=1
	s_waitcnt vmcnt(0)
	v_xor_b32_e32 v0, 0x80000000, v28
	v_mov_b32_e32 v1, v27
	s_getpc_b64 s[0:1]
	s_add_u32 s0, s0, _ZN6thrust23THRUST_200600_302600_NS6detail7complex6csinhfERKNS0_7complexIfEE@rel32@lo+4
	s_addc_u32 s1, s1, _ZN6thrust23THRUST_200600_302600_NS6detail7complex6csinhfERKNS0_7complexIfEE@rel32@hi+12
	s_delay_alu instid0(SALU_CYCLE_1)
	s_swappc_b64 s[30:31], s[0:1]
	v_add_co_u32 v3, vcc_lo, v37, s14
	v_xor_b32_e32 v2, 0x80000000, v0
	v_add_co_ci_u32_e32 v4, vcc_lo, s15, v38, vcc_lo
	global_store_b64 v[3:4], v[1:2], off
	s_or_b32 exec_lo, exec_lo, s19
	s_and_saveexec_b32 s13, s12
	s_cbranch_execz .LBB109_19
.LBB109_23:                             ;   in Loop: Header=BB109_9 Depth=1
	s_waitcnt vmcnt(0)
	v_xor_b32_e32 v0, 0x80000000, v24
	v_mov_b32_e32 v1, v23
	s_getpc_b64 s[0:1]
	s_add_u32 s0, s0, _ZN6thrust23THRUST_200600_302600_NS6detail7complex6csinhfERKNS0_7complexIfEE@rel32@lo+4
	s_addc_u32 s1, s1, _ZN6thrust23THRUST_200600_302600_NS6detail7complex6csinhfERKNS0_7complexIfEE@rel32@hi+12
	s_delay_alu instid0(SALU_CYCLE_1)
	s_swappc_b64 s[30:31], s[0:1]
	v_add_co_u32 v3, vcc_lo, v41, s14
	v_xor_b32_e32 v2, 0x80000000, v0
	v_add_co_ci_u32_e32 v4, vcc_lo, s15, v42, vcc_lo
	global_store_b64 v[3:4], v[1:2], off
	s_or_b32 exec_lo, exec_lo, s13
	s_and_saveexec_b32 s12, s11
	s_cbranch_execz .LBB109_8
.LBB109_24:                             ;   in Loop: Header=BB109_9 Depth=1
	s_waitcnt vmcnt(0)
	v_xor_b32_e32 v0, 0x80000000, v26
	v_mov_b32_e32 v1, v25
	s_getpc_b64 s[0:1]
	s_add_u32 s0, s0, _ZN6thrust23THRUST_200600_302600_NS6detail7complex6csinhfERKNS0_7complexIfEE@rel32@lo+4
	s_addc_u32 s1, s1, _ZN6thrust23THRUST_200600_302600_NS6detail7complex6csinhfERKNS0_7complexIfEE@rel32@hi+12
	s_delay_alu instid0(SALU_CYCLE_1)
	s_swappc_b64 s[30:31], s[0:1]
	v_add_co_u32 v3, vcc_lo, v35, s14
	v_xor_b32_e32 v2, 0x80000000, v0
	v_add_co_ci_u32_e32 v4, vcc_lo, s15, v36, vcc_lo
	global_store_b64 v[3:4], v[1:2], off
	s_branch .LBB109_8
.LBB109_25:
	s_endpgm
	.section	.rodata,"a",@progbits
	.p2align	6, 0x0
	.amdhsa_kernel _ZN2at6native12_GLOBAL__N_125multi_tensor_apply_kernelINS1_18TensorListMetadataILi2EEENS1_14UnaryOpFunctorIN3c107complexIfEELi2ELi1ELi1EEEJNS0_3SinIS8_EEEEEvT_T0_DpT1_
		.amdhsa_group_segment_fixed_size 0
		.amdhsa_private_segment_fixed_size 0
		.amdhsa_kernarg_size 3408
		.amdhsa_user_sgpr_count 15
		.amdhsa_user_sgpr_dispatch_ptr 0
		.amdhsa_user_sgpr_queue_ptr 0
		.amdhsa_user_sgpr_kernarg_segment_ptr 1
		.amdhsa_user_sgpr_dispatch_id 0
		.amdhsa_user_sgpr_private_segment_size 0
		.amdhsa_wavefront_size32 1
		.amdhsa_uses_dynamic_stack 0
		.amdhsa_enable_private_segment 0
		.amdhsa_system_sgpr_workgroup_id_x 1
		.amdhsa_system_sgpr_workgroup_id_y 0
		.amdhsa_system_sgpr_workgroup_id_z 0
		.amdhsa_system_sgpr_workgroup_info 0
		.amdhsa_system_vgpr_workitem_id 0
		.amdhsa_next_free_vgpr 45
		.amdhsa_next_free_sgpr 36
		.amdhsa_reserve_vcc 1
		.amdhsa_float_round_mode_32 0
		.amdhsa_float_round_mode_16_64 0
		.amdhsa_float_denorm_mode_32 3
		.amdhsa_float_denorm_mode_16_64 3
		.amdhsa_dx10_clamp 1
		.amdhsa_ieee_mode 1
		.amdhsa_fp16_overflow 0
		.amdhsa_workgroup_processor_mode 1
		.amdhsa_memory_ordered 1
		.amdhsa_forward_progress 0
		.amdhsa_shared_vgpr_count 0
		.amdhsa_exception_fp_ieee_invalid_op 0
		.amdhsa_exception_fp_denorm_src 0
		.amdhsa_exception_fp_ieee_div_zero 0
		.amdhsa_exception_fp_ieee_overflow 0
		.amdhsa_exception_fp_ieee_underflow 0
		.amdhsa_exception_fp_ieee_inexact 0
		.amdhsa_exception_int_div_zero 0
	.end_amdhsa_kernel
	.section	.text._ZN2at6native12_GLOBAL__N_125multi_tensor_apply_kernelINS1_18TensorListMetadataILi2EEENS1_14UnaryOpFunctorIN3c107complexIfEELi2ELi1ELi1EEEJNS0_3SinIS8_EEEEEvT_T0_DpT1_,"axG",@progbits,_ZN2at6native12_GLOBAL__N_125multi_tensor_apply_kernelINS1_18TensorListMetadataILi2EEENS1_14UnaryOpFunctorIN3c107complexIfEELi2ELi1ELi1EEEJNS0_3SinIS8_EEEEEvT_T0_DpT1_,comdat
.Lfunc_end109:
	.size	_ZN2at6native12_GLOBAL__N_125multi_tensor_apply_kernelINS1_18TensorListMetadataILi2EEENS1_14UnaryOpFunctorIN3c107complexIfEELi2ELi1ELi1EEEJNS0_3SinIS8_EEEEEvT_T0_DpT1_, .Lfunc_end109-_ZN2at6native12_GLOBAL__N_125multi_tensor_apply_kernelINS1_18TensorListMetadataILi2EEENS1_14UnaryOpFunctorIN3c107complexIfEELi2ELi1ELi1EEEJNS0_3SinIS8_EEEEEvT_T0_DpT1_
                                        ; -- End function
	.section	.AMDGPU.csdata,"",@progbits
; Kernel info:
; codeLenInByte = 1776
; NumSgprs: 38
; NumVgprs: 45
; ScratchSize: 0
; MemoryBound: 0
; FloatMode: 240
; IeeeMode: 1
; LDSByteSize: 0 bytes/workgroup (compile time only)
; SGPRBlocks: 4
; VGPRBlocks: 5
; NumSGPRsForWavesPerEU: 38
; NumVGPRsForWavesPerEU: 45
; Occupancy: 16
; WaveLimiterHint : 0
; COMPUTE_PGM_RSRC2:SCRATCH_EN: 0
; COMPUTE_PGM_RSRC2:USER_SGPR: 15
; COMPUTE_PGM_RSRC2:TRAP_HANDLER: 0
; COMPUTE_PGM_RSRC2:TGID_X_EN: 1
; COMPUTE_PGM_RSRC2:TGID_Y_EN: 0
; COMPUTE_PGM_RSRC2:TGID_Z_EN: 0
; COMPUTE_PGM_RSRC2:TIDIG_COMP_CNT: 0
	.section	.text._ZN2at6native12_GLOBAL__N_125multi_tensor_apply_kernelINS1_18TensorListMetadataILi2EEENS1_14UnaryOpFunctorIN3c104HalfELi2ELi1ELi1EEEJNS0_3SinIfEEEEEvT_T0_DpT1_,"axG",@progbits,_ZN2at6native12_GLOBAL__N_125multi_tensor_apply_kernelINS1_18TensorListMetadataILi2EEENS1_14UnaryOpFunctorIN3c104HalfELi2ELi1ELi1EEEJNS0_3SinIfEEEEEvT_T0_DpT1_,comdat
	.globl	_ZN2at6native12_GLOBAL__N_125multi_tensor_apply_kernelINS1_18TensorListMetadataILi2EEENS1_14UnaryOpFunctorIN3c104HalfELi2ELi1ELi1EEEJNS0_3SinIfEEEEEvT_T0_DpT1_ ; -- Begin function _ZN2at6native12_GLOBAL__N_125multi_tensor_apply_kernelINS1_18TensorListMetadataILi2EEENS1_14UnaryOpFunctorIN3c104HalfELi2ELi1ELi1EEEJNS0_3SinIfEEEEEvT_T0_DpT1_
	.p2align	8
	.type	_ZN2at6native12_GLOBAL__N_125multi_tensor_apply_kernelINS1_18TensorListMetadataILi2EEENS1_14UnaryOpFunctorIN3c104HalfELi2ELi1ELi1EEEJNS0_3SinIfEEEEEvT_T0_DpT1_,@function
_ZN2at6native12_GLOBAL__N_125multi_tensor_apply_kernelINS1_18TensorListMetadataILi2EEENS1_14UnaryOpFunctorIN3c104HalfELi2ELi1ELi1EEEJNS0_3SinIfEEEEEvT_T0_DpT1_: ; @_ZN2at6native12_GLOBAL__N_125multi_tensor_apply_kernelINS1_18TensorListMetadataILi2EEENS1_14UnaryOpFunctorIN3c104HalfELi2ELi1ELi1EEEJNS0_3SinIfEEEEEvT_T0_DpT1_
; %bb.0:
	v_mov_b32_e32 v1, s15
	s_add_u32 s2, s0, s15
	s_mul_hi_u32 s3, s15, 3
	s_mul_i32 s15, s15, 3
	s_addc_u32 s4, s1, 0
	global_load_u8 v1, v1, s[0:1] offset:1536
	s_add_u32 s2, s2, s15
	s_addc_u32 s3, s4, s3
	s_mov_b32 s19, 0
	s_load_b32 s2, s[2:3], 0x740
	s_mov_b32 s21, s19
	s_mov_b32 s23, s19
	s_waitcnt vmcnt(0)
	v_readfirstlane_b32 s5, v1
	s_delay_alu instid0(VALU_DEP_1)
	s_lshl_b32 s3, s5, 3
	s_clause 0x2
	s_load_b64 s[6:7], s[0:1], s3 offset:0x0
	s_load_b64 s[14:15], s[0:1], s3 offset:0x200
	;; [unrolled: 1-line block ×3, first 2 shown]
	s_waitcnt lgkmcnt(0)
	s_ashr_i32 s3, s2, 31
	s_delay_alu instid0(SALU_CYCLE_1) | instskip(NEXT) | instid1(SALU_CYCLE_1)
	s_lshl_b64 s[8:9], s[2:3], 17
	s_add_u32 s5, s6, s8
	s_addc_u32 s12, s7, s9
	s_and_b32 s18, s5, 7
	s_add_u32 s13, s14, s8
	s_addc_u32 s16, s15, s9
	s_and_b32 s20, s10, 3
	s_and_b32 s22, s13, 7
	s_or_b64 s[18:19], s[18:19], s[20:21]
	s_lshl_b64 s[2:3], s[2:3], 16
	s_or_b64 s[18:19], s[22:23], s[18:19]
	s_sub_u32 s10, s10, s2
	s_subb_u32 s11, s11, s3
	s_cmp_eq_u64 s[18:19], 0
	s_mov_b32 s2, -1
	s_cbranch_scc0 .LBB110_21
; %bb.1:
	v_dual_mov_b32 v2, 0 :: v_dual_lshlrev_b32 v1, 2, v0
	s_mov_b32 s17, exec_lo
	s_delay_alu instid0(VALU_DEP_1)
	v_cmpx_gt_i64_e64 s[10:11], v[1:2]
	s_cbranch_execz .LBB110_20
; %bb.2:
	s_load_b32 s2, s[0:1], 0xc5c
	s_mov_b32 s18, 0
	s_mov_b32 s21, 0x7fffff
	s_mov_b32 s22, 0xb94c1982
	s_mov_b32 s23, 0x37d75334
	s_waitcnt lgkmcnt(0)
	s_and_b32 s2, s2, 0xffff
	s_delay_alu instid0(SALU_CYCLE_1) | instskip(SKIP_3) | instid1(VALU_DEP_2)
	v_add_lshl_u32 v1, v0, s2, 2
	v_dual_mov_b32 v4, v2 :: v_dual_lshlrev_b32 v7, 3, v0
	s_lshl_b32 s19, s2, 2
	s_lshl_b32 s20, s2, 3
	v_mov_b32_e32 v3, v1
	s_branch .LBB110_4
.LBB110_3:                              ;   in Loop: Header=BB110_4 Depth=1
	s_or_b32 exec_lo, exec_lo, s2
	v_dual_mul_f32 v21, v17, v17 :: v_dual_and_b32 v22, 1, v19
	v_lshlrev_b32_e32 v19, 30, v19
	v_xor_b32_e32 v16, v16, v15
	v_xor_b32_e32 v12, v12, v5
	s_delay_alu instid0(VALU_DEP_4) | instskip(SKIP_3) | instid1(VALU_DEP_4)
	v_fmaak_f32 v24, s23, v21, 0xbab64f3b
	v_dual_fmaak_f32 v23, s22, v21, 0x3c0881c4 :: v_dual_and_b32 v26, 1, v14
	v_dual_mul_f32 v27, v10, v10 :: v_dual_mul_f32 v30, v1, v1
	v_and_b32_e32 v19, 0x80000000, v19
	v_fmaak_f32 v24, v21, v24, 0x3d2aabf7
	v_mul_f32_e32 v25, v13, v13
	v_dual_fmaak_f32 v23, v21, v23, 0xbe2aaa9d :: v_dual_lshlrev_b32 v14, 30, v14
	v_cmp_eq_u32_e32 vcc_lo, 0, v22
	v_xor_b32_e32 v9, v9, v8
	s_delay_alu instid0(VALU_DEP_3) | instskip(SKIP_3) | instid1(VALU_DEP_4)
	v_dual_fmaak_f32 v28, s22, v25, 0x3c0881c4 :: v_dual_mul_f32 v23, v21, v23
	v_xor_b32_e32 v18, v18, v6
	v_cmp_lt_u64_e64 s2, 0xffff, v[3:4]
	v_and_b32_e32 v14, 0x80000000, v14
	v_fmaak_f32 v28, v25, v28, 0xbe2aaa9d
	v_fmac_f32_e32 v17, v17, v23
	s_delay_alu instid0(VALU_DEP_2) | instskip(SKIP_2) | instid1(VALU_DEP_3)
	v_dual_fmaak_f32 v22, s23, v27, 0xbab64f3b :: v_dual_mul_f32 v23, v25, v28
	v_fmaak_f32 v28, s22, v27, 0x3c0881c4
	v_fmaak_f32 v29, s23, v25, 0xbab64f3b
	v_fmac_f32_e32 v13, v13, v23
	s_delay_alu instid0(VALU_DEP_3) | instskip(SKIP_1) | instid1(VALU_DEP_1)
	v_fmaak_f32 v23, v27, v28, 0xbe2aaa9d
	v_fmaak_f32 v24, v21, v24, 0xbf000004
	v_fma_f32 v21, v21, v24, 1.0
	s_delay_alu instid0(VALU_DEP_1) | instskip(SKIP_1) | instid1(VALU_DEP_2)
	v_cndmask_b32_e32 v17, v21, v17, vcc_lo
	v_cmp_eq_u32_e32 vcc_lo, 0, v26
	v_xor3_b32 v16, v16, v19, v17
	v_mul_f32_e32 v19, v27, v23
	v_fmaak_f32 v29, v25, v29, 0x3d2aabf7
	v_fmaak_f32 v17, v27, v22, 0x3d2aabf7
	;; [unrolled: 1-line block ×3, first 2 shown]
	s_delay_alu instid0(VALU_DEP_4) | instskip(NEXT) | instid1(VALU_DEP_4)
	v_fmac_f32_e32 v10, v10, v19
	v_fmaak_f32 v24, v25, v29, 0xbf000004
	s_delay_alu instid0(VALU_DEP_4) | instskip(NEXT) | instid1(VALU_DEP_2)
	v_fmaak_f32 v17, v27, v17, 0xbf000004
	v_fma_f32 v21, v25, v24, 1.0
	s_delay_alu instid0(VALU_DEP_2) | instskip(NEXT) | instid1(VALU_DEP_2)
	v_fma_f32 v17, v27, v17, 1.0
	v_cndmask_b32_e32 v13, v21, v13, vcc_lo
	v_fmaak_f32 v21, s22, v30, 0x3c0881c4
	s_delay_alu instid0(VALU_DEP_2) | instskip(NEXT) | instid1(VALU_DEP_2)
	v_xor3_b32 v12, v12, v14, v13
	v_fmaak_f32 v19, v30, v21, 0xbe2aaa9d
	v_dual_fmaak_f32 v21, v30, v22, 0x3d2aabf7 :: v_dual_and_b32 v22, 1, v11
	s_delay_alu instid0(VALU_DEP_2) | instskip(NEXT) | instid1(VALU_DEP_2)
	v_mul_f32_e32 v19, v30, v19
	v_fmaak_f32 v21, v30, v21, 0xbf000004
	s_delay_alu instid0(VALU_DEP_3) | instskip(NEXT) | instid1(VALU_DEP_3)
	v_cmp_eq_u32_e32 vcc_lo, 0, v22
	v_fmac_f32_e32 v1, v1, v19
	s_delay_alu instid0(VALU_DEP_3) | instskip(SKIP_2) | instid1(VALU_DEP_2)
	v_fma_f32 v19, v30, v21, 1.0
	v_dual_cndmask_b32 v10, v17, v10 :: v_dual_and_b32 v17, 1, v20
	v_lshlrev_b32_e32 v20, 30, v20
	v_cmp_eq_u32_e32 vcc_lo, 0, v17
	s_delay_alu instid0(VALU_DEP_2) | instskip(SKIP_2) | instid1(VALU_DEP_2)
	v_and_b32_e32 v17, 0x80000000, v20
	v_cndmask_b32_e32 v1, v19, v1, vcc_lo
	v_cmp_class_f32_e64 vcc_lo, v15, 0x1f8
	v_xor3_b32 v1, v18, v17, v1
	v_cndmask_b32_e32 v13, 0x7fc00000, v16, vcc_lo
	v_cmp_class_f32_e64 vcc_lo, v5, 0x1f8
	v_cndmask_b32_e32 v5, 0x7fc00000, v12, vcc_lo
	v_cmp_class_f32_e64 vcc_lo, v8, 0x1f8
	v_lshlrev_b32_e32 v11, 30, v11
	s_delay_alu instid0(VALU_DEP_1) | instskip(NEXT) | instid1(VALU_DEP_1)
	v_and_b32_e32 v11, 0x80000000, v11
	v_xor3_b32 v9, v9, v11, v10
	v_cvt_f16_f32_e32 v10, v5
	v_add_co_u32 v5, s3, s13, v7
	s_delay_alu instid0(VALU_DEP_3) | instskip(SKIP_3) | instid1(VALU_DEP_4)
	v_cndmask_b32_e32 v8, 0x7fc00000, v9, vcc_lo
	v_cmp_class_f32_e64 vcc_lo, v6, 0x1f8
	v_cvt_f16_f32_e32 v9, v13
	v_add_co_ci_u32_e64 v6, null, s16, 0, s3
	v_cvt_f16_f32_e32 v8, v8
	v_cndmask_b32_e32 v1, 0x7fc00000, v1, vcc_lo
	v_cmp_le_i64_e32 vcc_lo, s[10:11], v[3:4]
	s_delay_alu instid0(VALU_DEP_3) | instskip(NEXT) | instid1(VALU_DEP_3)
	v_pack_b32_f16 v8, v8, v10
	v_cvt_f16_f32_e32 v1, v1
	s_or_b32 s2, vcc_lo, s2
	s_add_u32 s5, s5, s20
	v_add_co_u32 v3, vcc_lo, v3, s19
	s_addc_u32 s12, s12, 0
	s_add_u32 s13, s13, s20
	v_pack_b32_f16 v9, v9, v1
	v_add_co_ci_u32_e32 v4, vcc_lo, 0, v4, vcc_lo
	s_addc_u32 s16, s16, 0
	s_and_b32 s2, exec_lo, s2
	global_store_b64 v[5:6], v[8:9], off
	s_or_b32 s18, s2, s18
	s_delay_alu instid0(SALU_CYCLE_1)
	s_and_not1_b32 exec_lo, exec_lo, s18
	s_cbranch_execz .LBB110_20
.LBB110_4:                              ; =>This Inner Loop Header: Depth=1
	v_add_co_u32 v5, s2, s5, v7
	s_delay_alu instid0(VALU_DEP_1) | instskip(SKIP_4) | instid1(VALU_DEP_1)
	v_add_co_ci_u32_e64 v6, null, s12, 0, s2
                                        ; implicit-def: $vgpr11
                                        ; implicit-def: $vgpr10
	s_mov_b32 s3, exec_lo
	global_load_b64 v[5:6], v[5:6], off
	s_waitcnt vmcnt(0)
	v_cvt_f32_f16_e32 v8, v5
	v_and_b32_e32 v9, 0x7fffffff, v8
	v_cmpx_ngt_f32_e64 0x48000000, |v8|
	s_xor_b32 s24, exec_lo, s3
	s_cbranch_execz .LBB110_6
; %bb.5:                                ;   in Loop: Header=BB110_4 Depth=1
	s_delay_alu instid0(VALU_DEP_2) | instskip(SKIP_1) | instid1(VALU_DEP_2)
	v_and_or_b32 v18, v9, s21, 0x800000
	v_lshrrev_b32_e32 v15, 23, v9
	v_mad_u64_u32 v[10:11], null, 0xfe5163ab, v18, 0
	s_delay_alu instid0(VALU_DEP_2) | instskip(NEXT) | instid1(VALU_DEP_1)
	v_add_nc_u32_e32 v16, 0xffffff88, v15
	v_cmp_lt_u32_e32 vcc_lo, 63, v16
	s_delay_alu instid0(VALU_DEP_3) | instskip(SKIP_1) | instid1(VALU_DEP_2)
	v_mov_b32_e32 v1, v11
	v_cndmask_b32_e64 v17, 0, 0xffffffc0, vcc_lo
	v_mad_u64_u32 v[11:12], null, 0x3c439041, v18, v[1:2]
	s_delay_alu instid0(VALU_DEP_2) | instskip(NEXT) | instid1(VALU_DEP_2)
	v_add_nc_u32_e32 v17, v17, v16
	v_mov_b32_e32 v1, v12
	s_delay_alu instid0(VALU_DEP_2) | instskip(NEXT) | instid1(VALU_DEP_2)
	v_cmp_lt_u32_e64 s2, 31, v17
	v_mad_u64_u32 v[12:13], null, 0xdb629599, v18, v[1:2]
	s_delay_alu instid0(VALU_DEP_2) | instskip(NEXT) | instid1(VALU_DEP_1)
	v_cndmask_b32_e64 v19, 0, 0xffffffe0, s2
	v_add_nc_u32_e32 v19, v19, v17
	s_delay_alu instid0(VALU_DEP_3) | instskip(NEXT) | instid1(VALU_DEP_2)
	v_dual_mov_b32 v1, v13 :: v_dual_cndmask_b32 v10, v12, v10
	v_cmp_lt_u32_e64 s3, 31, v19
	s_delay_alu instid0(VALU_DEP_2) | instskip(NEXT) | instid1(VALU_DEP_1)
	v_mad_u64_u32 v[13:14], null, 0xf534ddc0, v18, v[1:2]
	v_mov_b32_e32 v1, v14
	s_delay_alu instid0(VALU_DEP_2) | instskip(NEXT) | instid1(VALU_DEP_2)
	v_cndmask_b32_e32 v11, v13, v11, vcc_lo
	v_mad_u64_u32 v[14:15], null, 0xfc2757d1, v18, v[1:2]
	s_delay_alu instid0(VALU_DEP_2) | instskip(NEXT) | instid1(VALU_DEP_2)
	v_cndmask_b32_e64 v10, v11, v10, s2
	v_mov_b32_e32 v1, v15
	s_delay_alu instid0(VALU_DEP_1) | instskip(NEXT) | instid1(VALU_DEP_1)
	v_mad_u64_u32 v[15:16], null, 0x4e441529, v18, v[1:2]
	v_mov_b32_e32 v1, v16
	s_delay_alu instid0(VALU_DEP_1) | instskip(SKIP_1) | instid1(VALU_DEP_1)
	v_mad_u64_u32 v[16:17], null, 0xa2f9836e, v18, v[1:2]
	v_cndmask_b32_e64 v1, 0, 0xffffffe0, s3
	v_dual_cndmask_b32 v18, v15, v13 :: v_dual_add_nc_u32 v1, v1, v19
	s_delay_alu instid0(VALU_DEP_3) | instskip(SKIP_1) | instid1(VALU_DEP_3)
	v_dual_cndmask_b32 v16, v16, v14 :: v_dual_cndmask_b32 v15, v17, v15
	v_cndmask_b32_e32 v14, v14, v12, vcc_lo
	v_sub_nc_u32_e32 v17, 32, v1
	s_delay_alu instid0(VALU_DEP_3) | instskip(NEXT) | instid1(VALU_DEP_4)
	v_cndmask_b32_e64 v13, v16, v18, s2
	v_cndmask_b32_e64 v15, v15, v16, s2
	s_delay_alu instid0(VALU_DEP_4) | instskip(SKIP_2) | instid1(VALU_DEP_4)
	v_cndmask_b32_e64 v16, v18, v14, s2
	v_cndmask_b32_e64 v14, v14, v11, s2
	v_cmp_eq_u32_e64 s4, 0, v1
	v_cndmask_b32_e64 v15, v15, v13, s3
	s_delay_alu instid0(VALU_DEP_4) | instskip(NEXT) | instid1(VALU_DEP_4)
	v_cndmask_b32_e64 v13, v13, v16, s3
	v_cndmask_b32_e64 v16, v16, v14, s3
	;; [unrolled: 1-line block ×3, first 2 shown]
	s_delay_alu instid0(VALU_DEP_3) | instskip(NEXT) | instid1(VALU_DEP_3)
	v_alignbit_b32 v18, v15, v13, v17
	v_alignbit_b32 v19, v13, v16, v17
	s_delay_alu instid0(VALU_DEP_3) | instskip(NEXT) | instid1(VALU_DEP_3)
	v_alignbit_b32 v17, v16, v10, v17
	v_cndmask_b32_e64 v1, v18, v15, s4
	s_delay_alu instid0(VALU_DEP_3) | instskip(NEXT) | instid1(VALU_DEP_3)
	v_cndmask_b32_e64 v12, v19, v13, s4
	v_cndmask_b32_e64 v16, v17, v16, s4
	s_delay_alu instid0(VALU_DEP_3) | instskip(NEXT) | instid1(VALU_DEP_3)
	v_bfe_u32 v13, v1, 29, 1
	v_alignbit_b32 v11, v1, v12, 30
	s_delay_alu instid0(VALU_DEP_3) | instskip(SKIP_1) | instid1(VALU_DEP_4)
	v_alignbit_b32 v12, v12, v16, 30
	v_alignbit_b32 v10, v16, v10, 30
	v_sub_nc_u32_e32 v15, 0, v13
	s_delay_alu instid0(VALU_DEP_1) | instskip(SKIP_3) | instid1(VALU_DEP_4)
	v_xor_b32_e32 v14, v11, v15
	v_cmp_ne_u32_e32 vcc_lo, v11, v15
	v_xor_b32_e32 v12, v12, v15
	v_xor_b32_e32 v10, v10, v15
	v_clz_i32_u32_e32 v18, v14
	s_delay_alu instid0(VALU_DEP_1) | instskip(NEXT) | instid1(VALU_DEP_1)
	v_add_nc_u32_e32 v17, 1, v18
	v_cndmask_b32_e32 v11, 33, v17, vcc_lo
	s_delay_alu instid0(VALU_DEP_1) | instskip(NEXT) | instid1(VALU_DEP_1)
	v_sub_nc_u32_e32 v16, 32, v11
	v_alignbit_b32 v14, v14, v12, v16
	v_alignbit_b32 v10, v12, v10, v16
	v_lshrrev_b32_e32 v12, 29, v1
	v_lshrrev_b32_e32 v1, 30, v1
	s_delay_alu instid0(VALU_DEP_3) | instskip(NEXT) | instid1(VALU_DEP_3)
	v_alignbit_b32 v15, v14, v10, 9
	v_lshlrev_b32_e32 v12, 31, v12
	v_alignbit_b32 v14, v11, v14, 9
	s_delay_alu instid0(VALU_DEP_3) | instskip(NEXT) | instid1(VALU_DEP_2)
	v_clz_i32_u32_e32 v16, v15
	v_or_b32_e32 v14, v14, v12
	v_or_b32_e32 v12, 0x33800000, v12
	s_delay_alu instid0(VALU_DEP_3) | instskip(NEXT) | instid1(VALU_DEP_3)
	v_min_u32_e32 v16, 32, v16
	v_xor_b32_e32 v14, 1.0, v14
	s_delay_alu instid0(VALU_DEP_2) | instskip(SKIP_1) | instid1(VALU_DEP_3)
	v_sub_nc_u32_e32 v17, 31, v16
	v_add_lshl_u32 v11, v16, v11, 23
	v_mul_f32_e32 v16, 0x3fc90fda, v14
	s_delay_alu instid0(VALU_DEP_3) | instskip(NEXT) | instid1(VALU_DEP_3)
	v_alignbit_b32 v10, v15, v10, v17
	v_sub_nc_u32_e32 v11, v12, v11
	s_delay_alu instid0(VALU_DEP_3) | instskip(NEXT) | instid1(VALU_DEP_3)
	v_fma_f32 v12, 0x3fc90fda, v14, -v16
	v_lshrrev_b32_e32 v10, 9, v10
	s_delay_alu instid0(VALU_DEP_2) | instskip(NEXT) | instid1(VALU_DEP_2)
	v_fmac_f32_e32 v12, 0x33a22168, v14
	v_or_b32_e32 v10, v11, v10
	s_delay_alu instid0(VALU_DEP_1) | instskip(NEXT) | instid1(VALU_DEP_1)
	v_dual_fmac_f32 v12, 0x3fc90fda, v10 :: v_dual_add_nc_u32 v11, v13, v1
	v_add_f32_e32 v10, v16, v12
.LBB110_6:                              ;   in Loop: Header=BB110_4 Depth=1
	s_and_not1_saveexec_b32 s2, s24
; %bb.7:                                ;   in Loop: Header=BB110_4 Depth=1
	v_mul_f32_e64 v1, 0x3f22f983, |v8|
	s_delay_alu instid0(VALU_DEP_1) | instskip(NEXT) | instid1(VALU_DEP_1)
	v_rndne_f32_e32 v1, v1
	v_fma_f32 v10, 0xbfc90fda, v1, |v8|
	v_cvt_i32_f32_e32 v11, v1
	s_delay_alu instid0(VALU_DEP_2) | instskip(NEXT) | instid1(VALU_DEP_1)
	v_fmac_f32_e32 v10, 0xb3a22168, v1
	v_fmac_f32_e32 v10, 0xa7c234c4, v1
; %bb.8:                                ;   in Loop: Header=BB110_4 Depth=1
	s_or_b32 exec_lo, exec_lo, s2
	v_lshrrev_b32_e32 v1, 16, v5
                                        ; implicit-def: $vgpr14
                                        ; implicit-def: $vgpr13
	s_mov_b32 s3, exec_lo
	s_delay_alu instid0(VALU_DEP_1) | instskip(NEXT) | instid1(VALU_DEP_1)
	v_cvt_f32_f16_e32 v5, v1
	v_and_b32_e32 v12, 0x7fffffff, v5
	v_cmpx_ngt_f32_e64 0x48000000, |v5|
	s_xor_b32 s24, exec_lo, s3
	s_cbranch_execz .LBB110_10
; %bb.9:                                ;   in Loop: Header=BB110_4 Depth=1
	s_delay_alu instid0(VALU_DEP_2) | instskip(SKIP_1) | instid1(VALU_DEP_2)
	v_lshrrev_b32_e32 v18, 23, v12
	v_and_or_b32 v21, v12, s21, 0x800000
	v_add_nc_u32_e32 v19, 0xffffff88, v18
	s_delay_alu instid0(VALU_DEP_2) | instskip(NEXT) | instid1(VALU_DEP_2)
	v_mad_u64_u32 v[13:14], null, 0xfe5163ab, v21, 0
	v_cmp_lt_u32_e32 vcc_lo, 63, v19
	v_cndmask_b32_e64 v20, 0, 0xffffffc0, vcc_lo
	s_delay_alu instid0(VALU_DEP_1) | instskip(NEXT) | instid1(VALU_DEP_1)
	v_dual_mov_b32 v1, v14 :: v_dual_add_nc_u32 v20, v20, v19
	v_mad_u64_u32 v[14:15], null, 0x3c439041, v21, v[1:2]
	s_delay_alu instid0(VALU_DEP_2) | instskip(NEXT) | instid1(VALU_DEP_1)
	v_cmp_lt_u32_e64 s2, 31, v20
	v_cndmask_b32_e64 v22, 0, 0xffffffe0, s2
	s_delay_alu instid0(VALU_DEP_1) | instskip(NEXT) | instid1(VALU_DEP_1)
	v_dual_mov_b32 v1, v15 :: v_dual_add_nc_u32 v22, v22, v20
	v_mad_u64_u32 v[15:16], null, 0xdb629599, v21, v[1:2]
	s_delay_alu instid0(VALU_DEP_2) | instskip(NEXT) | instid1(VALU_DEP_2)
	v_cmp_lt_u32_e64 s3, 31, v22
	v_mov_b32_e32 v1, v16
	s_delay_alu instid0(VALU_DEP_3) | instskip(NEXT) | instid1(VALU_DEP_2)
	v_cndmask_b32_e32 v13, v15, v13, vcc_lo
	v_mad_u64_u32 v[16:17], null, 0xf534ddc0, v21, v[1:2]
	s_delay_alu instid0(VALU_DEP_1) | instskip(NEXT) | instid1(VALU_DEP_1)
	v_dual_mov_b32 v1, v17 :: v_dual_cndmask_b32 v14, v16, v14
	v_mad_u64_u32 v[17:18], null, 0xfc2757d1, v21, v[1:2]
	s_delay_alu instid0(VALU_DEP_2) | instskip(NEXT) | instid1(VALU_DEP_2)
	v_cndmask_b32_e64 v13, v14, v13, s2
	v_mov_b32_e32 v1, v18
	s_delay_alu instid0(VALU_DEP_1) | instskip(NEXT) | instid1(VALU_DEP_1)
	v_mad_u64_u32 v[18:19], null, 0x4e441529, v21, v[1:2]
	v_mov_b32_e32 v1, v19
	s_delay_alu instid0(VALU_DEP_1) | instskip(SKIP_1) | instid1(VALU_DEP_4)
	v_mad_u64_u32 v[19:20], null, 0xa2f9836e, v21, v[1:2]
	v_cndmask_b32_e64 v1, 0, 0xffffffe0, s3
	v_cndmask_b32_e32 v21, v18, v16, vcc_lo
	s_delay_alu instid0(VALU_DEP_2) | instskip(NEXT) | instid1(VALU_DEP_4)
	v_add_nc_u32_e32 v1, v1, v22
	v_dual_cndmask_b32 v19, v19, v17 :: v_dual_cndmask_b32 v18, v20, v18
	v_cndmask_b32_e32 v17, v17, v15, vcc_lo
	s_delay_alu instid0(VALU_DEP_3) | instskip(NEXT) | instid1(VALU_DEP_3)
	v_sub_nc_u32_e32 v20, 32, v1
	v_cndmask_b32_e64 v16, v19, v21, s2
	s_delay_alu instid0(VALU_DEP_4) | instskip(NEXT) | instid1(VALU_DEP_4)
	v_cndmask_b32_e64 v18, v18, v19, s2
	v_cndmask_b32_e64 v19, v21, v17, s2
	;; [unrolled: 1-line block ×3, first 2 shown]
	v_cmp_eq_u32_e64 s4, 0, v1
	s_delay_alu instid0(VALU_DEP_4) | instskip(NEXT) | instid1(VALU_DEP_4)
	v_cndmask_b32_e64 v18, v18, v16, s3
	v_cndmask_b32_e64 v16, v16, v19, s3
	s_delay_alu instid0(VALU_DEP_4) | instskip(SKIP_1) | instid1(VALU_DEP_3)
	v_cndmask_b32_e64 v19, v19, v17, s3
	v_cndmask_b32_e64 v13, v17, v13, s3
	v_alignbit_b32 v21, v18, v16, v20
	s_delay_alu instid0(VALU_DEP_3) | instskip(NEXT) | instid1(VALU_DEP_3)
	v_alignbit_b32 v22, v16, v19, v20
	v_alignbit_b32 v20, v19, v13, v20
	s_delay_alu instid0(VALU_DEP_3) | instskip(NEXT) | instid1(VALU_DEP_3)
	v_cndmask_b32_e64 v1, v21, v18, s4
	v_cndmask_b32_e64 v15, v22, v16, s4
	s_delay_alu instid0(VALU_DEP_3) | instskip(NEXT) | instid1(VALU_DEP_3)
	v_cndmask_b32_e64 v19, v20, v19, s4
	v_bfe_u32 v16, v1, 29, 1
	s_delay_alu instid0(VALU_DEP_3) | instskip(NEXT) | instid1(VALU_DEP_3)
	v_alignbit_b32 v14, v1, v15, 30
	v_alignbit_b32 v15, v15, v19, 30
	;; [unrolled: 1-line block ×3, first 2 shown]
	s_delay_alu instid0(VALU_DEP_4) | instskip(NEXT) | instid1(VALU_DEP_1)
	v_sub_nc_u32_e32 v18, 0, v16
	v_xor_b32_e32 v17, v14, v18
	v_cmp_ne_u32_e32 vcc_lo, v14, v18
	v_xor_b32_e32 v15, v15, v18
	v_xor_b32_e32 v13, v13, v18
	s_delay_alu instid0(VALU_DEP_4) | instskip(NEXT) | instid1(VALU_DEP_1)
	v_clz_i32_u32_e32 v21, v17
	v_add_nc_u32_e32 v20, 1, v21
	s_delay_alu instid0(VALU_DEP_1) | instskip(NEXT) | instid1(VALU_DEP_1)
	v_cndmask_b32_e32 v14, 33, v20, vcc_lo
	v_sub_nc_u32_e32 v19, 32, v14
	s_delay_alu instid0(VALU_DEP_1) | instskip(SKIP_3) | instid1(VALU_DEP_3)
	v_alignbit_b32 v17, v17, v15, v19
	v_alignbit_b32 v13, v15, v13, v19
	v_lshrrev_b32_e32 v15, 29, v1
	v_lshrrev_b32_e32 v1, 30, v1
	v_alignbit_b32 v18, v17, v13, 9
	s_delay_alu instid0(VALU_DEP_3) | instskip(SKIP_1) | instid1(VALU_DEP_3)
	v_lshlrev_b32_e32 v15, 31, v15
	v_alignbit_b32 v17, v14, v17, 9
	v_clz_i32_u32_e32 v19, v18
	s_delay_alu instid0(VALU_DEP_2) | instskip(SKIP_1) | instid1(VALU_DEP_3)
	v_or_b32_e32 v17, v17, v15
	v_or_b32_e32 v15, 0x33800000, v15
	v_min_u32_e32 v19, 32, v19
	s_delay_alu instid0(VALU_DEP_3) | instskip(NEXT) | instid1(VALU_DEP_2)
	v_xor_b32_e32 v17, 1.0, v17
	v_sub_nc_u32_e32 v20, 31, v19
	v_add_lshl_u32 v14, v19, v14, 23
	s_delay_alu instid0(VALU_DEP_3) | instskip(NEXT) | instid1(VALU_DEP_3)
	v_mul_f32_e32 v19, 0x3fc90fda, v17
	v_alignbit_b32 v13, v18, v13, v20
	s_delay_alu instid0(VALU_DEP_3) | instskip(NEXT) | instid1(VALU_DEP_3)
	v_sub_nc_u32_e32 v14, v15, v14
	v_fma_f32 v15, 0x3fc90fda, v17, -v19
	s_delay_alu instid0(VALU_DEP_3) | instskip(NEXT) | instid1(VALU_DEP_2)
	v_lshrrev_b32_e32 v13, 9, v13
	v_fmac_f32_e32 v15, 0x33a22168, v17
	s_delay_alu instid0(VALU_DEP_2) | instskip(SKIP_1) | instid1(VALU_DEP_2)
	v_or_b32_e32 v13, v14, v13
	v_add_nc_u32_e32 v14, v16, v1
	v_fmac_f32_e32 v15, 0x3fc90fda, v13
	s_delay_alu instid0(VALU_DEP_1)
	v_add_f32_e32 v13, v19, v15
.LBB110_10:                             ;   in Loop: Header=BB110_4 Depth=1
	s_and_not1_saveexec_b32 s2, s24
; %bb.11:                               ;   in Loop: Header=BB110_4 Depth=1
	v_mul_f32_e64 v1, 0x3f22f983, |v5|
	s_delay_alu instid0(VALU_DEP_1) | instskip(NEXT) | instid1(VALU_DEP_1)
	v_rndne_f32_e32 v1, v1
	v_fma_f32 v13, 0xbfc90fda, v1, |v5|
	v_cvt_i32_f32_e32 v14, v1
	s_delay_alu instid0(VALU_DEP_2) | instskip(NEXT) | instid1(VALU_DEP_1)
	v_fmac_f32_e32 v13, 0xb3a22168, v1
	v_fmac_f32_e32 v13, 0xa7c234c4, v1
; %bb.12:                               ;   in Loop: Header=BB110_4 Depth=1
	s_or_b32 exec_lo, exec_lo, s2
	v_cvt_f32_f16_e32 v15, v6
                                        ; implicit-def: $vgpr19
                                        ; implicit-def: $vgpr17
	s_mov_b32 s3, exec_lo
	s_delay_alu instid0(VALU_DEP_1)
	v_and_b32_e32 v16, 0x7fffffff, v15
	v_cmpx_ngt_f32_e64 0x48000000, |v15|
	s_xor_b32 s24, exec_lo, s3
	s_cbranch_execz .LBB110_14
; %bb.13:                               ;   in Loop: Header=BB110_4 Depth=1
	s_delay_alu instid0(VALU_DEP_2) | instskip(SKIP_1) | instid1(VALU_DEP_2)
	v_lshrrev_b32_e32 v22, 23, v16
	v_and_or_b32 v25, v16, s21, 0x800000
	v_add_nc_u32_e32 v23, 0xffffff88, v22
	s_delay_alu instid0(VALU_DEP_2) | instskip(NEXT) | instid1(VALU_DEP_2)
	v_mad_u64_u32 v[17:18], null, 0xfe5163ab, v25, 0
	v_cmp_lt_u32_e32 vcc_lo, 63, v23
	v_cndmask_b32_e64 v24, 0, 0xffffffc0, vcc_lo
	s_delay_alu instid0(VALU_DEP_1) | instskip(NEXT) | instid1(VALU_DEP_1)
	v_dual_mov_b32 v1, v18 :: v_dual_add_nc_u32 v24, v24, v23
	v_mad_u64_u32 v[18:19], null, 0x3c439041, v25, v[1:2]
	s_delay_alu instid0(VALU_DEP_2) | instskip(NEXT) | instid1(VALU_DEP_1)
	v_cmp_lt_u32_e64 s2, 31, v24
	v_cndmask_b32_e64 v26, 0, 0xffffffe0, s2
	s_delay_alu instid0(VALU_DEP_1) | instskip(NEXT) | instid1(VALU_DEP_1)
	v_dual_mov_b32 v1, v19 :: v_dual_add_nc_u32 v26, v26, v24
	v_mad_u64_u32 v[19:20], null, 0xdb629599, v25, v[1:2]
	s_delay_alu instid0(VALU_DEP_2) | instskip(NEXT) | instid1(VALU_DEP_2)
	v_cmp_lt_u32_e64 s3, 31, v26
	v_mov_b32_e32 v1, v20
	s_delay_alu instid0(VALU_DEP_3) | instskip(NEXT) | instid1(VALU_DEP_2)
	v_cndmask_b32_e32 v17, v19, v17, vcc_lo
	v_mad_u64_u32 v[20:21], null, 0xf534ddc0, v25, v[1:2]
	s_delay_alu instid0(VALU_DEP_1) | instskip(NEXT) | instid1(VALU_DEP_1)
	v_dual_mov_b32 v1, v21 :: v_dual_cndmask_b32 v18, v20, v18
	v_mad_u64_u32 v[21:22], null, 0xfc2757d1, v25, v[1:2]
	s_delay_alu instid0(VALU_DEP_2) | instskip(NEXT) | instid1(VALU_DEP_2)
	v_cndmask_b32_e64 v17, v18, v17, s2
	v_mov_b32_e32 v1, v22
	s_delay_alu instid0(VALU_DEP_1) | instskip(NEXT) | instid1(VALU_DEP_1)
	v_mad_u64_u32 v[22:23], null, 0x4e441529, v25, v[1:2]
	v_mov_b32_e32 v1, v23
	s_delay_alu instid0(VALU_DEP_1) | instskip(SKIP_1) | instid1(VALU_DEP_4)
	v_mad_u64_u32 v[23:24], null, 0xa2f9836e, v25, v[1:2]
	v_cndmask_b32_e64 v1, 0, 0xffffffe0, s3
	v_cndmask_b32_e32 v25, v22, v20, vcc_lo
	s_delay_alu instid0(VALU_DEP_2) | instskip(NEXT) | instid1(VALU_DEP_4)
	v_add_nc_u32_e32 v1, v1, v26
	v_dual_cndmask_b32 v23, v23, v21 :: v_dual_cndmask_b32 v22, v24, v22
	v_cndmask_b32_e32 v21, v21, v19, vcc_lo
	s_delay_alu instid0(VALU_DEP_3) | instskip(NEXT) | instid1(VALU_DEP_3)
	v_sub_nc_u32_e32 v24, 32, v1
	v_cndmask_b32_e64 v20, v23, v25, s2
	s_delay_alu instid0(VALU_DEP_4) | instskip(NEXT) | instid1(VALU_DEP_4)
	v_cndmask_b32_e64 v22, v22, v23, s2
	v_cndmask_b32_e64 v23, v25, v21, s2
	;; [unrolled: 1-line block ×3, first 2 shown]
	v_cmp_eq_u32_e64 s4, 0, v1
	s_delay_alu instid0(VALU_DEP_4) | instskip(NEXT) | instid1(VALU_DEP_4)
	v_cndmask_b32_e64 v22, v22, v20, s3
	v_cndmask_b32_e64 v20, v20, v23, s3
	s_delay_alu instid0(VALU_DEP_4) | instskip(SKIP_1) | instid1(VALU_DEP_3)
	v_cndmask_b32_e64 v23, v23, v21, s3
	v_cndmask_b32_e64 v17, v21, v17, s3
	v_alignbit_b32 v25, v22, v20, v24
	s_delay_alu instid0(VALU_DEP_3) | instskip(NEXT) | instid1(VALU_DEP_3)
	v_alignbit_b32 v26, v20, v23, v24
	v_alignbit_b32 v24, v23, v17, v24
	s_delay_alu instid0(VALU_DEP_3) | instskip(NEXT) | instid1(VALU_DEP_3)
	v_cndmask_b32_e64 v1, v25, v22, s4
	v_cndmask_b32_e64 v19, v26, v20, s4
	s_delay_alu instid0(VALU_DEP_3) | instskip(NEXT) | instid1(VALU_DEP_3)
	v_cndmask_b32_e64 v23, v24, v23, s4
	v_bfe_u32 v20, v1, 29, 1
	s_delay_alu instid0(VALU_DEP_3) | instskip(NEXT) | instid1(VALU_DEP_3)
	v_alignbit_b32 v18, v1, v19, 30
	v_alignbit_b32 v19, v19, v23, 30
	;; [unrolled: 1-line block ×3, first 2 shown]
	s_delay_alu instid0(VALU_DEP_4) | instskip(NEXT) | instid1(VALU_DEP_1)
	v_sub_nc_u32_e32 v22, 0, v20
	v_xor_b32_e32 v21, v18, v22
	v_cmp_ne_u32_e32 vcc_lo, v18, v22
	v_xor_b32_e32 v19, v19, v22
	v_xor_b32_e32 v17, v17, v22
	s_delay_alu instid0(VALU_DEP_4) | instskip(NEXT) | instid1(VALU_DEP_1)
	v_clz_i32_u32_e32 v25, v21
	v_add_nc_u32_e32 v24, 1, v25
	s_delay_alu instid0(VALU_DEP_1) | instskip(NEXT) | instid1(VALU_DEP_1)
	v_cndmask_b32_e32 v18, 33, v24, vcc_lo
	v_sub_nc_u32_e32 v23, 32, v18
	s_delay_alu instid0(VALU_DEP_1) | instskip(SKIP_3) | instid1(VALU_DEP_3)
	v_alignbit_b32 v21, v21, v19, v23
	v_alignbit_b32 v17, v19, v17, v23
	v_lshrrev_b32_e32 v19, 29, v1
	v_lshrrev_b32_e32 v1, 30, v1
	v_alignbit_b32 v22, v21, v17, 9
	s_delay_alu instid0(VALU_DEP_3) | instskip(SKIP_1) | instid1(VALU_DEP_3)
	v_lshlrev_b32_e32 v19, 31, v19
	v_alignbit_b32 v21, v18, v21, 9
	v_clz_i32_u32_e32 v23, v22
	s_delay_alu instid0(VALU_DEP_2) | instskip(SKIP_1) | instid1(VALU_DEP_3)
	v_or_b32_e32 v21, v21, v19
	v_or_b32_e32 v19, 0x33800000, v19
	v_min_u32_e32 v23, 32, v23
	s_delay_alu instid0(VALU_DEP_3) | instskip(NEXT) | instid1(VALU_DEP_2)
	v_xor_b32_e32 v21, 1.0, v21
	v_sub_nc_u32_e32 v24, 31, v23
	v_add_lshl_u32 v18, v23, v18, 23
	s_delay_alu instid0(VALU_DEP_3) | instskip(NEXT) | instid1(VALU_DEP_3)
	v_mul_f32_e32 v23, 0x3fc90fda, v21
	v_alignbit_b32 v17, v22, v17, v24
	s_delay_alu instid0(VALU_DEP_3) | instskip(NEXT) | instid1(VALU_DEP_3)
	v_sub_nc_u32_e32 v18, v19, v18
	v_fma_f32 v19, 0x3fc90fda, v21, -v23
	s_delay_alu instid0(VALU_DEP_3) | instskip(NEXT) | instid1(VALU_DEP_2)
	v_lshrrev_b32_e32 v17, 9, v17
	v_fmac_f32_e32 v19, 0x33a22168, v21
	s_delay_alu instid0(VALU_DEP_2) | instskip(NEXT) | instid1(VALU_DEP_1)
	v_or_b32_e32 v17, v18, v17
	v_fmac_f32_e32 v19, 0x3fc90fda, v17
	s_delay_alu instid0(VALU_DEP_1)
	v_add_f32_e32 v17, v23, v19
	v_add_nc_u32_e32 v19, v20, v1
.LBB110_14:                             ;   in Loop: Header=BB110_4 Depth=1
	s_and_not1_saveexec_b32 s2, s24
; %bb.15:                               ;   in Loop: Header=BB110_4 Depth=1
	v_mul_f32_e64 v1, 0x3f22f983, |v15|
	s_delay_alu instid0(VALU_DEP_1) | instskip(NEXT) | instid1(VALU_DEP_1)
	v_rndne_f32_e32 v1, v1
	v_fma_f32 v17, 0xbfc90fda, v1, |v15|
	v_cvt_i32_f32_e32 v19, v1
	s_delay_alu instid0(VALU_DEP_2) | instskip(NEXT) | instid1(VALU_DEP_1)
	v_fmac_f32_e32 v17, 0xb3a22168, v1
	v_fmac_f32_e32 v17, 0xa7c234c4, v1
; %bb.16:                               ;   in Loop: Header=BB110_4 Depth=1
	s_or_b32 exec_lo, exec_lo, s2
	v_lshrrev_b32_e32 v1, 16, v6
                                        ; implicit-def: $vgpr20
	s_mov_b32 s3, exec_lo
	s_delay_alu instid0(VALU_DEP_1) | instskip(NEXT) | instid1(VALU_DEP_1)
	v_cvt_f32_f16_e32 v6, v1
                                        ; implicit-def: $vgpr1
	v_and_b32_e32 v18, 0x7fffffff, v6
	v_cmpx_ngt_f32_e64 0x48000000, |v6|
	s_xor_b32 s24, exec_lo, s3
	s_cbranch_execz .LBB110_18
; %bb.17:                               ;   in Loop: Header=BB110_4 Depth=1
	s_delay_alu instid0(VALU_DEP_2) | instskip(SKIP_1) | instid1(VALU_DEP_2)
	v_and_or_b32 v28, v18, s21, 0x800000
	v_lshrrev_b32_e32 v25, 23, v18
	v_mad_u64_u32 v[20:21], null, 0xfe5163ab, v28, 0
	s_delay_alu instid0(VALU_DEP_2) | instskip(NEXT) | instid1(VALU_DEP_1)
	v_add_nc_u32_e32 v26, 0xffffff88, v25
	v_cmp_lt_u32_e32 vcc_lo, 63, v26
	s_delay_alu instid0(VALU_DEP_3) | instskip(SKIP_1) | instid1(VALU_DEP_2)
	v_mov_b32_e32 v1, v21
	v_cndmask_b32_e64 v27, 0, 0xffffffc0, vcc_lo
	v_mad_u64_u32 v[21:22], null, 0x3c439041, v28, v[1:2]
	s_delay_alu instid0(VALU_DEP_2) | instskip(NEXT) | instid1(VALU_DEP_2)
	v_add_nc_u32_e32 v27, v27, v26
	v_mov_b32_e32 v1, v22
	s_delay_alu instid0(VALU_DEP_2) | instskip(NEXT) | instid1(VALU_DEP_2)
	v_cmp_lt_u32_e64 s2, 31, v27
	v_mad_u64_u32 v[22:23], null, 0xdb629599, v28, v[1:2]
	s_delay_alu instid0(VALU_DEP_2) | instskip(NEXT) | instid1(VALU_DEP_1)
	v_cndmask_b32_e64 v29, 0, 0xffffffe0, s2
	v_add_nc_u32_e32 v29, v29, v27
	s_delay_alu instid0(VALU_DEP_3) | instskip(NEXT) | instid1(VALU_DEP_2)
	v_dual_mov_b32 v1, v23 :: v_dual_cndmask_b32 v20, v22, v20
	v_cmp_lt_u32_e64 s3, 31, v29
	s_delay_alu instid0(VALU_DEP_2) | instskip(NEXT) | instid1(VALU_DEP_1)
	v_mad_u64_u32 v[23:24], null, 0xf534ddc0, v28, v[1:2]
	v_mov_b32_e32 v1, v24
	s_delay_alu instid0(VALU_DEP_2) | instskip(NEXT) | instid1(VALU_DEP_2)
	v_cndmask_b32_e32 v21, v23, v21, vcc_lo
	v_mad_u64_u32 v[24:25], null, 0xfc2757d1, v28, v[1:2]
	s_delay_alu instid0(VALU_DEP_2) | instskip(NEXT) | instid1(VALU_DEP_2)
	v_cndmask_b32_e64 v20, v21, v20, s2
	v_mov_b32_e32 v1, v25
	s_delay_alu instid0(VALU_DEP_1) | instskip(NEXT) | instid1(VALU_DEP_1)
	v_mad_u64_u32 v[25:26], null, 0x4e441529, v28, v[1:2]
	v_mov_b32_e32 v1, v26
	s_delay_alu instid0(VALU_DEP_1) | instskip(SKIP_1) | instid1(VALU_DEP_4)
	v_mad_u64_u32 v[26:27], null, 0xa2f9836e, v28, v[1:2]
	v_cndmask_b32_e64 v1, 0, 0xffffffe0, s3
	v_cndmask_b32_e32 v28, v25, v23, vcc_lo
	s_delay_alu instid0(VALU_DEP_2) | instskip(NEXT) | instid1(VALU_DEP_4)
	v_dual_cndmask_b32 v26, v26, v24 :: v_dual_add_nc_u32 v1, v1, v29
	v_dual_cndmask_b32 v25, v27, v25 :: v_dual_cndmask_b32 v24, v24, v22
	s_delay_alu instid0(VALU_DEP_2) | instskip(NEXT) | instid1(VALU_DEP_3)
	v_sub_nc_u32_e32 v27, 32, v1
	v_cndmask_b32_e64 v23, v26, v28, s2
	s_delay_alu instid0(VALU_DEP_3) | instskip(NEXT) | instid1(VALU_DEP_4)
	v_cndmask_b32_e64 v25, v25, v26, s2
	v_cndmask_b32_e64 v26, v28, v24, s2
	;; [unrolled: 1-line block ×3, first 2 shown]
	v_cmp_eq_u32_e64 s4, 0, v1
	s_delay_alu instid0(VALU_DEP_4) | instskip(NEXT) | instid1(VALU_DEP_4)
	v_cndmask_b32_e64 v25, v25, v23, s3
	v_cndmask_b32_e64 v23, v23, v26, s3
	s_delay_alu instid0(VALU_DEP_4) | instskip(SKIP_1) | instid1(VALU_DEP_3)
	v_cndmask_b32_e64 v26, v26, v24, s3
	v_cndmask_b32_e64 v20, v24, v20, s3
	v_alignbit_b32 v28, v25, v23, v27
	s_delay_alu instid0(VALU_DEP_3) | instskip(NEXT) | instid1(VALU_DEP_3)
	v_alignbit_b32 v29, v23, v26, v27
	v_alignbit_b32 v27, v26, v20, v27
	s_delay_alu instid0(VALU_DEP_3) | instskip(NEXT) | instid1(VALU_DEP_3)
	v_cndmask_b32_e64 v1, v28, v25, s4
	v_cndmask_b32_e64 v22, v29, v23, s4
	s_delay_alu instid0(VALU_DEP_3) | instskip(NEXT) | instid1(VALU_DEP_3)
	v_cndmask_b32_e64 v26, v27, v26, s4
	v_bfe_u32 v23, v1, 29, 1
	s_delay_alu instid0(VALU_DEP_3) | instskip(NEXT) | instid1(VALU_DEP_3)
	v_alignbit_b32 v21, v1, v22, 30
	v_alignbit_b32 v22, v22, v26, 30
	;; [unrolled: 1-line block ×3, first 2 shown]
	s_delay_alu instid0(VALU_DEP_4) | instskip(NEXT) | instid1(VALU_DEP_1)
	v_sub_nc_u32_e32 v25, 0, v23
	v_xor_b32_e32 v24, v21, v25
	v_cmp_ne_u32_e32 vcc_lo, v21, v25
	v_xor_b32_e32 v22, v22, v25
	v_xor_b32_e32 v20, v20, v25
	s_delay_alu instid0(VALU_DEP_4) | instskip(NEXT) | instid1(VALU_DEP_1)
	v_clz_i32_u32_e32 v28, v24
	v_add_nc_u32_e32 v27, 1, v28
	s_delay_alu instid0(VALU_DEP_1) | instskip(NEXT) | instid1(VALU_DEP_1)
	v_cndmask_b32_e32 v21, 33, v27, vcc_lo
	v_sub_nc_u32_e32 v26, 32, v21
	s_delay_alu instid0(VALU_DEP_1) | instskip(SKIP_2) | instid1(VALU_DEP_2)
	v_alignbit_b32 v24, v24, v22, v26
	v_alignbit_b32 v20, v22, v20, v26
	v_lshrrev_b32_e32 v22, 29, v1
	v_alignbit_b32 v25, v24, v20, 9
	s_delay_alu instid0(VALU_DEP_2) | instskip(SKIP_1) | instid1(VALU_DEP_3)
	v_lshlrev_b32_e32 v22, 31, v22
	v_alignbit_b32 v24, v21, v24, 9
	v_clz_i32_u32_e32 v26, v25
	s_delay_alu instid0(VALU_DEP_2) | instskip(SKIP_1) | instid1(VALU_DEP_3)
	v_or_b32_e32 v24, v24, v22
	v_or_b32_e32 v22, 0x33800000, v22
	v_min_u32_e32 v26, 32, v26
	s_delay_alu instid0(VALU_DEP_3) | instskip(NEXT) | instid1(VALU_DEP_2)
	v_xor_b32_e32 v24, 1.0, v24
	v_sub_nc_u32_e32 v27, 31, v26
	v_add_lshl_u32 v21, v26, v21, 23
	s_delay_alu instid0(VALU_DEP_3) | instskip(NEXT) | instid1(VALU_DEP_3)
	v_mul_f32_e32 v26, 0x3fc90fda, v24
	v_alignbit_b32 v20, v25, v20, v27
	s_delay_alu instid0(VALU_DEP_3) | instskip(NEXT) | instid1(VALU_DEP_3)
	v_sub_nc_u32_e32 v21, v22, v21
	v_fma_f32 v22, 0x3fc90fda, v24, -v26
	s_delay_alu instid0(VALU_DEP_3) | instskip(NEXT) | instid1(VALU_DEP_2)
	v_lshrrev_b32_e32 v20, 9, v20
	v_fmac_f32_e32 v22, 0x33a22168, v24
	s_delay_alu instid0(VALU_DEP_2) | instskip(NEXT) | instid1(VALU_DEP_1)
	v_or_b32_e32 v20, v21, v20
	v_fmac_f32_e32 v22, 0x3fc90fda, v20
	v_lshrrev_b32_e32 v20, 30, v1
	s_delay_alu instid0(VALU_DEP_1)
	v_dual_add_f32 v1, v26, v22 :: v_dual_add_nc_u32 v20, v23, v20
.LBB110_18:                             ;   in Loop: Header=BB110_4 Depth=1
	s_and_not1_saveexec_b32 s2, s24
	s_cbranch_execz .LBB110_3
; %bb.19:                               ;   in Loop: Header=BB110_4 Depth=1
	v_mul_f32_e64 v1, 0x3f22f983, |v6|
	s_delay_alu instid0(VALU_DEP_1) | instskip(NEXT) | instid1(VALU_DEP_1)
	v_rndne_f32_e32 v20, v1
	v_fma_f32 v1, 0xbfc90fda, v20, |v6|
	s_delay_alu instid0(VALU_DEP_1) | instskip(NEXT) | instid1(VALU_DEP_1)
	v_fmac_f32_e32 v1, 0xb3a22168, v20
	v_fmac_f32_e32 v1, 0xa7c234c4, v20
	v_cvt_i32_f32_e32 v20, v20
	s_branch .LBB110_3
.LBB110_20:
	s_or_b32 exec_lo, exec_lo, s17
	s_mov_b32 s2, 0
.LBB110_21:
	s_delay_alu instid0(SALU_CYCLE_1)
	s_and_not1_b32 vcc_lo, exec_lo, s2
	s_cbranch_vccnz .LBB110_57
; %bb.22:
	v_cmp_lt_i64_e64 s2, s[10:11], 1
	s_delay_alu instid0(VALU_DEP_1)
	s_and_b32 vcc_lo, exec_lo, s2
	s_cbranch_vccnz .LBB110_57
; %bb.23:
	s_load_b32 s0, s[0:1], 0xc5c
	v_dual_mov_b32 v2, 0 :: v_dual_lshlrev_b32 v1, 1, v0
	v_cmp_gt_u64_e64 s1, 0x10000, s[10:11]
	s_mov_b32 s18, 0xb94c1982
	s_mov_b32 s19, 0x37d75334
	s_delay_alu instid0(VALU_DEP_2) | instskip(NEXT) | instid1(VALU_DEP_1)
	v_add_co_u32 v3, s2, s6, v1
	v_add_co_ci_u32_e64 v4, null, s7, 0, s2
	v_add_co_u32 v5, s2, s14, v1
	s_delay_alu instid0(VALU_DEP_1)
	v_add_co_ci_u32_e64 v6, null, s15, 0, s2
	s_waitcnt lgkmcnt(0)
	s_and_b32 s0, s0, 0xffff
	s_and_b32 s1, s1, exec_lo
	v_mad_u64_u32 v[9:10], null, s0, 6, v[1:2]
	s_cselect_b32 s13, s11, 0
	s_cselect_b32 s12, s10, 0x10000
	s_lshl_b32 s16, s0, 2
	s_lshl_b32 s1, s0, 1
	v_add_co_u32 v1, s3, s16, v1
	s_delay_alu instid0(VALU_DEP_2) | instskip(NEXT) | instid1(VALU_DEP_3)
	v_add_co_u32 v7, vcc_lo, s6, v9
	v_add_co_ci_u32_e32 v8, vcc_lo, s7, v10, vcc_lo
	v_add_co_u32 v9, vcc_lo, s14, v9
	v_add_co_ci_u32_e64 v17, null, 0, 0, s3
	s_mul_i32 s2, s0, 3
	s_lshl_b32 s17, s0, 3
	v_add_co_u32 v15, s0, v0, s0
	v_add_co_ci_u32_e32 v10, vcc_lo, s15, v10, vcc_lo
	v_add_co_u32 v13, vcc_lo, s6, v1
	v_add_co_ci_u32_e32 v14, vcc_lo, s7, v17, vcc_lo
	v_add_co_u32 v16, vcc_lo, s14, v1
	v_lshlrev_b32_e32 v1, 1, v15
	v_add_co_ci_u32_e64 v18, null, 0, 0, s0
	v_add_co_u32 v19, s0, s1, v0
	s_delay_alu instid0(VALU_DEP_1) | instskip(NEXT) | instid1(VALU_DEP_4)
	v_add_co_ci_u32_e64 v20, null, 0, 0, s0
	v_add_co_u32 v21, s0, s6, v1
	v_add_co_u32 v11, s2, s2, v0
	v_add_co_ci_u32_e64 v22, null, s7, 0, s0
	v_add_co_u32 v23, s0, s14, v1
	v_add_co_ci_u32_e64 v12, null, 0, 0, s2
	v_add_co_ci_u32_e32 v17, vcc_lo, s15, v17, vcc_lo
	v_add_co_ci_u32_e64 v24, null, s15, 0, s0
	s_mov_b64 s[14:15], 0
	s_mov_b32 s7, 0x7fffff
	s_branch .LBB110_25
.LBB110_24:                             ;   in Loop: Header=BB110_25 Depth=1
	s_or_b32 exec_lo, exec_lo, s0
	v_add_co_u32 v3, vcc_lo, v3, s17
	v_add_co_ci_u32_e32 v4, vcc_lo, 0, v4, vcc_lo
	v_add_co_u32 v5, vcc_lo, v5, s17
	v_add_co_ci_u32_e32 v6, vcc_lo, 0, v6, vcc_lo
	;; [unrolled: 2-line block ×5, first 2 shown]
	s_add_u32 s14, s14, s16
	v_add_co_u32 v16, vcc_lo, v16, s17
	s_addc_u32 s15, s15, 0
	v_add_co_ci_u32_e32 v17, vcc_lo, 0, v17, vcc_lo
	v_cmp_ge_i64_e64 s0, s[14:15], s[10:11]
	v_cmp_lt_u64_e64 s1, 0xffff, s[14:15]
	v_add_co_u32 v21, vcc_lo, v21, s17
	v_add_co_ci_u32_e32 v22, vcc_lo, 0, v22, vcc_lo
	v_add_co_u32 v23, vcc_lo, v23, s17
	v_add_co_ci_u32_e32 v24, vcc_lo, 0, v24, vcc_lo
	s_or_b32 s0, s0, s1
	s_delay_alu instid0(SALU_CYCLE_1)
	s_and_b32 vcc_lo, exec_lo, s0
	s_cbranch_vccnz .LBB110_57
.LBB110_25:                             ; =>This Inner Loop Header: Depth=1
	v_add_co_u32 v25, s0, v0, s14
	s_delay_alu instid0(VALU_DEP_1) | instskip(SKIP_1) | instid1(VALU_DEP_2)
	v_add_co_ci_u32_e64 v26, null, 0, s15, s0
	v_mov_b32_e32 v1, 0
	v_cmp_gt_u64_e64 s2, s[12:13], v[25:26]
	s_delay_alu instid0(VALU_DEP_1)
	s_and_saveexec_b32 s0, s2
	s_cbranch_execz .LBB110_27
; %bb.26:                               ;   in Loop: Header=BB110_25 Depth=1
	v_add_co_u32 v25, vcc_lo, v3, s8
	v_add_co_ci_u32_e32 v26, vcc_lo, s9, v4, vcc_lo
	global_load_u16 v1, v[25:26], off
.LBB110_27:                             ;   in Loop: Header=BB110_25 Depth=1
	s_or_b32 exec_lo, exec_lo, s0
	v_add_co_u32 v25, vcc_lo, v15, s14
	v_add_co_ci_u32_e32 v26, vcc_lo, s15, v18, vcc_lo
	v_mov_b32_e32 v28, 0
	s_delay_alu instid0(VALU_DEP_2) | instskip(NEXT) | instid1(VALU_DEP_1)
	v_cmp_gt_u64_e64 s1, s[12:13], v[25:26]
	s_and_saveexec_b32 s0, s1
	s_cbranch_execz .LBB110_29
; %bb.28:                               ;   in Loop: Header=BB110_25 Depth=1
	v_add_co_u32 v25, vcc_lo, v21, s8
	v_add_co_ci_u32_e32 v26, vcc_lo, s9, v22, vcc_lo
	global_load_u16 v28, v[25:26], off
.LBB110_29:                             ;   in Loop: Header=BB110_25 Depth=1
	s_or_b32 exec_lo, exec_lo, s0
	v_add_co_u32 v25, vcc_lo, v19, s14
	v_add_co_ci_u32_e32 v26, vcc_lo, s15, v20, vcc_lo
	v_mov_b32_e32 v31, 0
	v_mov_b32_e32 v33, 0
	s_delay_alu instid0(VALU_DEP_3) | instskip(NEXT) | instid1(VALU_DEP_1)
	v_cmp_gt_u64_e64 s0, s[12:13], v[25:26]
	s_and_saveexec_b32 s3, s0
	s_cbranch_execz .LBB110_31
; %bb.30:                               ;   in Loop: Header=BB110_25 Depth=1
	v_add_co_u32 v25, vcc_lo, v13, s8
	v_add_co_ci_u32_e32 v26, vcc_lo, s9, v14, vcc_lo
	global_load_u16 v33, v[25:26], off
.LBB110_31:                             ;   in Loop: Header=BB110_25 Depth=1
	s_or_b32 exec_lo, exec_lo, s3
	v_add_co_u32 v25, vcc_lo, v11, s14
	v_add_co_ci_u32_e32 v26, vcc_lo, s15, v12, vcc_lo
	s_delay_alu instid0(VALU_DEP_1)
	v_cmp_gt_u64_e32 vcc_lo, s[12:13], v[25:26]
	s_and_saveexec_b32 s4, vcc_lo
	s_cbranch_execz .LBB110_33
; %bb.32:                               ;   in Loop: Header=BB110_25 Depth=1
	v_add_co_u32 v25, s3, v7, s8
	s_delay_alu instid0(VALU_DEP_1)
	v_add_co_ci_u32_e64 v26, s3, s9, v8, s3
	global_load_u16 v31, v[25:26], off
.LBB110_33:                             ;   in Loop: Header=BB110_25 Depth=1
	s_or_b32 exec_lo, exec_lo, s4
	s_waitcnt vmcnt(0)
	v_cvt_f32_f16_e32 v25, v1
                                        ; implicit-def: $vgpr30
                                        ; implicit-def: $vgpr27
	s_mov_b32 s4, exec_lo
	s_delay_alu instid0(VALU_DEP_1)
	v_and_b32_e32 v26, 0x7fffffff, v25
	v_cmpx_ngt_f32_e64 0x48000000, |v25|
	s_xor_b32 s20, exec_lo, s4
	s_cbranch_execz .LBB110_35
; %bb.34:                               ;   in Loop: Header=BB110_25 Depth=1
	s_delay_alu instid0(VALU_DEP_2) | instskip(NEXT) | instid1(VALU_DEP_1)
	v_and_or_b32 v27, v26, s7, 0x800000
	v_mad_u64_u32 v[29:30], null, 0xfe5163ab, v27, 0
	s_delay_alu instid0(VALU_DEP_1) | instskip(SKIP_1) | instid1(VALU_DEP_1)
	v_mov_b32_e32 v1, v30
	v_lshrrev_b32_e32 v30, 23, v26
	v_add_nc_u32_e32 v30, 0xffffff88, v30
	s_delay_alu instid0(VALU_DEP_3) | instskip(NEXT) | instid1(VALU_DEP_2)
	v_mad_u64_u32 v[34:35], null, 0x3c439041, v27, v[1:2]
	v_cmp_lt_u32_e64 s3, 63, v30
	s_delay_alu instid0(VALU_DEP_1) | instskip(NEXT) | instid1(VALU_DEP_1)
	v_cndmask_b32_e64 v32, 0, 0xffffffc0, s3
	v_dual_mov_b32 v1, v35 :: v_dual_add_nc_u32 v30, v32, v30
	s_delay_alu instid0(VALU_DEP_1) | instskip(NEXT) | instid1(VALU_DEP_2)
	v_mad_u64_u32 v[35:36], null, 0xdb629599, v27, v[1:2]
	v_cmp_lt_u32_e64 s4, 31, v30
	s_delay_alu instid0(VALU_DEP_2) | instskip(NEXT) | instid1(VALU_DEP_2)
	v_mov_b32_e32 v1, v36
	v_cndmask_b32_e64 v32, 0, 0xffffffe0, s4
	s_delay_alu instid0(VALU_DEP_4) | instskip(NEXT) | instid1(VALU_DEP_3)
	v_cndmask_b32_e64 v29, v35, v29, s3
	v_mad_u64_u32 v[36:37], null, 0xf534ddc0, v27, v[1:2]
	s_delay_alu instid0(VALU_DEP_3) | instskip(NEXT) | instid1(VALU_DEP_1)
	v_add_nc_u32_e32 v30, v32, v30
	v_cmp_lt_u32_e64 s5, 31, v30
	s_delay_alu instid0(VALU_DEP_3) | instskip(NEXT) | instid1(VALU_DEP_1)
	v_mov_b32_e32 v1, v37
	v_mad_u64_u32 v[37:38], null, 0xfc2757d1, v27, v[1:2]
	s_delay_alu instid0(VALU_DEP_1) | instskip(NEXT) | instid1(VALU_DEP_1)
	v_mov_b32_e32 v1, v38
	v_mad_u64_u32 v[38:39], null, 0x4e441529, v27, v[1:2]
	s_delay_alu instid0(VALU_DEP_1) | instskip(NEXT) | instid1(VALU_DEP_1)
	v_mov_b32_e32 v1, v39
	v_mad_u64_u32 v[39:40], null, 0xa2f9836e, v27, v[1:2]
	v_cndmask_b32_e64 v1, 0, 0xffffffe0, s5
	s_delay_alu instid0(VALU_DEP_4) | instskip(NEXT) | instid1(VALU_DEP_2)
	v_cndmask_b32_e64 v27, v38, v36, s3
	v_add_nc_u32_e32 v1, v1, v30
	s_delay_alu instid0(VALU_DEP_4)
	v_cndmask_b32_e64 v32, v39, v37, s3
	v_cndmask_b32_e64 v38, v40, v38, s3
	;; [unrolled: 1-line block ×4, first 2 shown]
	v_sub_nc_u32_e32 v36, 32, v1
	v_cndmask_b32_e64 v34, v32, v27, s4
	v_cndmask_b32_e64 v32, v38, v32, s4
	;; [unrolled: 1-line block ×4, first 2 shown]
	v_cmp_eq_u32_e64 s6, 0, v1
	v_cndmask_b32_e64 v29, v30, v29, s4
	v_cndmask_b32_e64 v32, v32, v34, s5
	;; [unrolled: 1-line block ×4, first 2 shown]
	s_delay_alu instid0(VALU_DEP_4) | instskip(NEXT) | instid1(VALU_DEP_3)
	v_cndmask_b32_e64 v29, v37, v29, s5
	v_alignbit_b32 v38, v32, v34, v36
	s_delay_alu instid0(VALU_DEP_3) | instskip(NEXT) | instid1(VALU_DEP_3)
	v_alignbit_b32 v39, v34, v27, v36
	v_alignbit_b32 v36, v27, v29, v36
	s_delay_alu instid0(VALU_DEP_3) | instskip(NEXT) | instid1(VALU_DEP_3)
	v_cndmask_b32_e64 v1, v38, v32, s6
	v_cndmask_b32_e64 v32, v39, v34, s6
	s_delay_alu instid0(VALU_DEP_3) | instskip(NEXT) | instid1(VALU_DEP_3)
	v_cndmask_b32_e64 v27, v36, v27, s6
	v_bfe_u32 v34, v1, 29, 1
	s_delay_alu instid0(VALU_DEP_3) | instskip(NEXT) | instid1(VALU_DEP_3)
	v_alignbit_b32 v30, v1, v32, 30
	v_alignbit_b32 v32, v32, v27, 30
	;; [unrolled: 1-line block ×3, first 2 shown]
	s_delay_alu instid0(VALU_DEP_4) | instskip(NEXT) | instid1(VALU_DEP_1)
	v_sub_nc_u32_e32 v35, 0, v34
	v_xor_b32_e32 v37, v30, v35
	v_cmp_ne_u32_e64 s3, v30, v35
	v_xor_b32_e32 v29, v32, v35
	v_xor_b32_e32 v27, v27, v35
	s_delay_alu instid0(VALU_DEP_4) | instskip(NEXT) | instid1(VALU_DEP_1)
	v_clz_i32_u32_e32 v38, v37
	v_add_nc_u32_e32 v36, 1, v38
	s_delay_alu instid0(VALU_DEP_1) | instskip(NEXT) | instid1(VALU_DEP_1)
	v_cndmask_b32_e64 v30, 33, v36, s3
	v_sub_nc_u32_e32 v32, 32, v30
	s_delay_alu instid0(VALU_DEP_1) | instskip(SKIP_3) | instid1(VALU_DEP_3)
	v_alignbit_b32 v35, v37, v29, v32
	v_alignbit_b32 v27, v29, v27, v32
	v_lshrrev_b32_e32 v29, 29, v1
	v_lshrrev_b32_e32 v1, 30, v1
	v_alignbit_b32 v32, v35, v27, 9
	s_delay_alu instid0(VALU_DEP_3) | instskip(SKIP_1) | instid1(VALU_DEP_3)
	v_lshlrev_b32_e32 v29, 31, v29
	v_alignbit_b32 v35, v30, v35, 9
	v_clz_i32_u32_e32 v36, v32
	s_delay_alu instid0(VALU_DEP_2) | instskip(SKIP_1) | instid1(VALU_DEP_3)
	v_or_b32_e32 v35, v35, v29
	v_or_b32_e32 v29, 0x33800000, v29
	v_min_u32_e32 v36, 32, v36
	s_delay_alu instid0(VALU_DEP_3) | instskip(NEXT) | instid1(VALU_DEP_2)
	v_xor_b32_e32 v35, 1.0, v35
	v_sub_nc_u32_e32 v37, 31, v36
	v_add_lshl_u32 v30, v36, v30, 23
	s_delay_alu instid0(VALU_DEP_3) | instskip(NEXT) | instid1(VALU_DEP_3)
	v_mul_f32_e32 v36, 0x3fc90fda, v35
	v_alignbit_b32 v27, v32, v27, v37
	s_delay_alu instid0(VALU_DEP_3) | instskip(NEXT) | instid1(VALU_DEP_3)
	v_sub_nc_u32_e32 v29, v29, v30
	v_fma_f32 v30, 0x3fc90fda, v35, -v36
	s_delay_alu instid0(VALU_DEP_3) | instskip(NEXT) | instid1(VALU_DEP_2)
	v_lshrrev_b32_e32 v27, 9, v27
	v_fmac_f32_e32 v30, 0x33a22168, v35
	s_delay_alu instid0(VALU_DEP_2) | instskip(NEXT) | instid1(VALU_DEP_1)
	v_or_b32_e32 v27, v29, v27
	v_fmac_f32_e32 v30, 0x3fc90fda, v27
	s_delay_alu instid0(VALU_DEP_1)
	v_dual_add_f32 v27, v36, v30 :: v_dual_add_nc_u32 v30, v34, v1
.LBB110_35:                             ;   in Loop: Header=BB110_25 Depth=1
	s_and_not1_saveexec_b32 s3, s20
; %bb.36:                               ;   in Loop: Header=BB110_25 Depth=1
	v_mul_f32_e64 v1, 0x3f22f983, |v25|
	s_delay_alu instid0(VALU_DEP_1) | instskip(NEXT) | instid1(VALU_DEP_1)
	v_rndne_f32_e32 v1, v1
	v_fma_f32 v27, 0xbfc90fda, v1, |v25|
	v_cvt_i32_f32_e32 v30, v1
	s_delay_alu instid0(VALU_DEP_2) | instskip(NEXT) | instid1(VALU_DEP_1)
	v_fmac_f32_e32 v27, 0xb3a22168, v1
	v_fmac_f32_e32 v27, 0xa7c234c4, v1
; %bb.37:                               ;   in Loop: Header=BB110_25 Depth=1
	s_or_b32 exec_lo, exec_lo, s3
	v_cvt_f32_f16_e32 v28, v28
                                        ; implicit-def: $vgpr35
                                        ; implicit-def: $vgpr32
	s_mov_b32 s4, exec_lo
	s_delay_alu instid0(VALU_DEP_1)
	v_and_b32_e32 v29, 0x7fffffff, v28
	v_cmpx_ngt_f32_e64 0x48000000, |v28|
	s_xor_b32 s20, exec_lo, s4
	s_cbranch_execz .LBB110_39
; %bb.38:                               ;   in Loop: Header=BB110_25 Depth=1
	s_delay_alu instid0(VALU_DEP_2) | instskip(SKIP_1) | instid1(VALU_DEP_2)
	v_and_or_b32 v32, v29, s7, 0x800000
	v_lshrrev_b32_e32 v39, 23, v29
	v_mad_u64_u32 v[34:35], null, 0xfe5163ab, v32, 0
	s_delay_alu instid0(VALU_DEP_2) | instskip(NEXT) | instid1(VALU_DEP_1)
	v_add_nc_u32_e32 v40, 0xffffff88, v39
	v_cmp_lt_u32_e64 s3, 63, v40
	s_delay_alu instid0(VALU_DEP_3) | instskip(NEXT) | instid1(VALU_DEP_2)
	v_mov_b32_e32 v1, v35
	v_cndmask_b32_e64 v41, 0, 0xffffffc0, s3
	s_delay_alu instid0(VALU_DEP_2) | instskip(NEXT) | instid1(VALU_DEP_2)
	v_mad_u64_u32 v[35:36], null, 0x3c439041, v32, v[1:2]
	v_add_nc_u32_e32 v41, v41, v40
	s_delay_alu instid0(VALU_DEP_1) | instskip(NEXT) | instid1(VALU_DEP_1)
	v_cmp_lt_u32_e64 s4, 31, v41
	v_cndmask_b32_e64 v42, 0, 0xffffffe0, s4
	s_delay_alu instid0(VALU_DEP_1) | instskip(NEXT) | instid1(VALU_DEP_1)
	v_dual_mov_b32 v1, v36 :: v_dual_add_nc_u32 v42, v42, v41
	v_mad_u64_u32 v[36:37], null, 0xdb629599, v32, v[1:2]
	s_delay_alu instid0(VALU_DEP_2) | instskip(NEXT) | instid1(VALU_DEP_2)
	v_cmp_lt_u32_e64 s5, 31, v42
	v_mov_b32_e32 v1, v37
	s_delay_alu instid0(VALU_DEP_3) | instskip(NEXT) | instid1(VALU_DEP_2)
	v_cndmask_b32_e64 v34, v36, v34, s3
	v_mad_u64_u32 v[37:38], null, 0xf534ddc0, v32, v[1:2]
	s_delay_alu instid0(VALU_DEP_1) | instskip(NEXT) | instid1(VALU_DEP_2)
	v_mov_b32_e32 v1, v38
	v_cndmask_b32_e64 v35, v37, v35, s3
	s_delay_alu instid0(VALU_DEP_2) | instskip(NEXT) | instid1(VALU_DEP_2)
	v_mad_u64_u32 v[38:39], null, 0xfc2757d1, v32, v[1:2]
	v_cndmask_b32_e64 v34, v35, v34, s4
	s_delay_alu instid0(VALU_DEP_2) | instskip(NEXT) | instid1(VALU_DEP_1)
	v_mov_b32_e32 v1, v39
	v_mad_u64_u32 v[39:40], null, 0x4e441529, v32, v[1:2]
	s_delay_alu instid0(VALU_DEP_1) | instskip(NEXT) | instid1(VALU_DEP_1)
	v_mov_b32_e32 v1, v40
	v_mad_u64_u32 v[40:41], null, 0xa2f9836e, v32, v[1:2]
	v_cndmask_b32_e64 v1, 0, 0xffffffe0, s5
	s_delay_alu instid0(VALU_DEP_4) | instskip(NEXT) | instid1(VALU_DEP_2)
	v_cndmask_b32_e64 v32, v39, v37, s3
	v_add_nc_u32_e32 v1, v1, v42
	s_delay_alu instid0(VALU_DEP_4) | instskip(SKIP_2) | instid1(VALU_DEP_4)
	v_cndmask_b32_e64 v40, v40, v38, s3
	v_cndmask_b32_e64 v39, v41, v39, s3
	;; [unrolled: 1-line block ×3, first 2 shown]
	v_cmp_eq_u32_e64 s6, 0, v1
	s_delay_alu instid0(VALU_DEP_4) | instskip(NEXT) | instid1(VALU_DEP_4)
	v_cndmask_b32_e64 v37, v40, v32, s4
	v_cndmask_b32_e64 v39, v39, v40, s4
	s_delay_alu instid0(VALU_DEP_4) | instskip(SKIP_2) | instid1(VALU_DEP_4)
	v_cndmask_b32_e64 v32, v32, v38, s4
	v_sub_nc_u32_e32 v40, 32, v1
	v_cndmask_b32_e64 v38, v38, v35, s4
	v_cndmask_b32_e64 v39, v39, v37, s5
	s_delay_alu instid0(VALU_DEP_4) | instskip(NEXT) | instid1(VALU_DEP_3)
	v_cndmask_b32_e64 v37, v37, v32, s5
	v_cndmask_b32_e64 v32, v32, v38, s5
	;; [unrolled: 1-line block ×3, first 2 shown]
	s_delay_alu instid0(VALU_DEP_3) | instskip(NEXT) | instid1(VALU_DEP_3)
	v_alignbit_b32 v41, v39, v37, v40
	v_alignbit_b32 v42, v37, v32, v40
	s_delay_alu instid0(VALU_DEP_3) | instskip(NEXT) | instid1(VALU_DEP_3)
	v_alignbit_b32 v40, v32, v34, v40
	v_cndmask_b32_e64 v1, v41, v39, s6
	s_delay_alu instid0(VALU_DEP_3) | instskip(NEXT) | instid1(VALU_DEP_3)
	v_cndmask_b32_e64 v36, v42, v37, s6
	v_cndmask_b32_e64 v32, v40, v32, s6
	s_delay_alu instid0(VALU_DEP_3) | instskip(NEXT) | instid1(VALU_DEP_3)
	v_bfe_u32 v37, v1, 29, 1
	v_alignbit_b32 v35, v1, v36, 30
	s_delay_alu instid0(VALU_DEP_3) | instskip(SKIP_1) | instid1(VALU_DEP_4)
	v_alignbit_b32 v36, v36, v32, 30
	v_alignbit_b32 v32, v32, v34, 30
	v_sub_nc_u32_e32 v39, 0, v37
	s_delay_alu instid0(VALU_DEP_1) | instskip(SKIP_3) | instid1(VALU_DEP_4)
	v_xor_b32_e32 v38, v35, v39
	v_cmp_ne_u32_e64 s3, v35, v39
	v_xor_b32_e32 v34, v36, v39
	v_xor_b32_e32 v32, v32, v39
	v_clz_i32_u32_e32 v41, v38
	s_delay_alu instid0(VALU_DEP_1) | instskip(NEXT) | instid1(VALU_DEP_1)
	v_add_nc_u32_e32 v40, 1, v41
	v_cndmask_b32_e64 v35, 33, v40, s3
	s_delay_alu instid0(VALU_DEP_1) | instskip(NEXT) | instid1(VALU_DEP_1)
	v_sub_nc_u32_e32 v36, 32, v35
	v_alignbit_b32 v38, v38, v34, v36
	v_alignbit_b32 v32, v34, v32, v36
	v_lshrrev_b32_e32 v34, 29, v1
	v_lshrrev_b32_e32 v1, 30, v1
	s_delay_alu instid0(VALU_DEP_3) | instskip(NEXT) | instid1(VALU_DEP_3)
	v_alignbit_b32 v36, v38, v32, 9
	v_lshlrev_b32_e32 v34, 31, v34
	v_alignbit_b32 v38, v35, v38, 9
	s_delay_alu instid0(VALU_DEP_3) | instskip(NEXT) | instid1(VALU_DEP_2)
	v_clz_i32_u32_e32 v39, v36
	v_or_b32_e32 v38, v38, v34
	v_or_b32_e32 v34, 0x33800000, v34
	s_delay_alu instid0(VALU_DEP_3) | instskip(NEXT) | instid1(VALU_DEP_3)
	v_min_u32_e32 v39, 32, v39
	v_xor_b32_e32 v38, 1.0, v38
	s_delay_alu instid0(VALU_DEP_2) | instskip(SKIP_1) | instid1(VALU_DEP_3)
	v_sub_nc_u32_e32 v40, 31, v39
	v_add_lshl_u32 v35, v39, v35, 23
	v_mul_f32_e32 v39, 0x3fc90fda, v38
	s_delay_alu instid0(VALU_DEP_3) | instskip(NEXT) | instid1(VALU_DEP_3)
	v_alignbit_b32 v32, v36, v32, v40
	v_sub_nc_u32_e32 v34, v34, v35
	s_delay_alu instid0(VALU_DEP_3) | instskip(NEXT) | instid1(VALU_DEP_3)
	v_fma_f32 v35, 0x3fc90fda, v38, -v39
	v_lshrrev_b32_e32 v32, 9, v32
	s_delay_alu instid0(VALU_DEP_2) | instskip(NEXT) | instid1(VALU_DEP_2)
	v_fmac_f32_e32 v35, 0x33a22168, v38
	v_or_b32_e32 v32, v34, v32
	s_delay_alu instid0(VALU_DEP_1) | instskip(NEXT) | instid1(VALU_DEP_1)
	v_fmac_f32_e32 v35, 0x3fc90fda, v32
	v_dual_add_f32 v32, v39, v35 :: v_dual_add_nc_u32 v35, v37, v1
.LBB110_39:                             ;   in Loop: Header=BB110_25 Depth=1
	s_and_not1_saveexec_b32 s3, s20
; %bb.40:                               ;   in Loop: Header=BB110_25 Depth=1
	v_mul_f32_e64 v1, 0x3f22f983, |v28|
	s_delay_alu instid0(VALU_DEP_1) | instskip(NEXT) | instid1(VALU_DEP_1)
	v_rndne_f32_e32 v1, v1
	v_fma_f32 v32, 0xbfc90fda, v1, |v28|
	v_cvt_i32_f32_e32 v35, v1
	s_delay_alu instid0(VALU_DEP_2) | instskip(NEXT) | instid1(VALU_DEP_1)
	v_fmac_f32_e32 v32, 0xb3a22168, v1
	v_fmac_f32_e32 v32, 0xa7c234c4, v1
; %bb.41:                               ;   in Loop: Header=BB110_25 Depth=1
	s_or_b32 exec_lo, exec_lo, s3
	v_cvt_f32_f16_e32 v33, v33
                                        ; implicit-def: $vgpr38
                                        ; implicit-def: $vgpr36
	s_mov_b32 s4, exec_lo
	s_delay_alu instid0(VALU_DEP_1)
	v_and_b32_e32 v34, 0x7fffffff, v33
	v_cmpx_ngt_f32_e64 0x48000000, |v33|
	s_xor_b32 s20, exec_lo, s4
	s_cbranch_execz .LBB110_43
; %bb.42:                               ;   in Loop: Header=BB110_25 Depth=1
	s_delay_alu instid0(VALU_DEP_2) | instskip(SKIP_1) | instid1(VALU_DEP_2)
	v_and_or_b32 v44, v34, s7, 0x800000
	v_lshrrev_b32_e32 v41, 23, v34
	v_mad_u64_u32 v[36:37], null, 0xfe5163ab, v44, 0
	s_delay_alu instid0(VALU_DEP_2) | instskip(NEXT) | instid1(VALU_DEP_1)
	v_add_nc_u32_e32 v42, 0xffffff88, v41
	v_cmp_lt_u32_e64 s3, 63, v42
	s_delay_alu instid0(VALU_DEP_3) | instskip(NEXT) | instid1(VALU_DEP_2)
	v_mov_b32_e32 v1, v37
	v_cndmask_b32_e64 v43, 0, 0xffffffc0, s3
	s_delay_alu instid0(VALU_DEP_2) | instskip(NEXT) | instid1(VALU_DEP_2)
	v_mad_u64_u32 v[37:38], null, 0x3c439041, v44, v[1:2]
	v_add_nc_u32_e32 v43, v43, v42
	s_delay_alu instid0(VALU_DEP_2) | instskip(NEXT) | instid1(VALU_DEP_2)
	v_mov_b32_e32 v1, v38
	v_cmp_lt_u32_e64 s4, 31, v43
	s_delay_alu instid0(VALU_DEP_2) | instskip(NEXT) | instid1(VALU_DEP_2)
	v_mad_u64_u32 v[38:39], null, 0xdb629599, v44, v[1:2]
	v_cndmask_b32_e64 v45, 0, 0xffffffe0, s4
	s_delay_alu instid0(VALU_DEP_1) | instskip(NEXT) | instid1(VALU_DEP_3)
	v_add_nc_u32_e32 v45, v45, v43
	v_mov_b32_e32 v1, v39
	s_delay_alu instid0(VALU_DEP_4) | instskip(NEXT) | instid1(VALU_DEP_3)
	v_cndmask_b32_e64 v36, v38, v36, s3
	v_cmp_lt_u32_e64 s5, 31, v45
	s_delay_alu instid0(VALU_DEP_3) | instskip(NEXT) | instid1(VALU_DEP_1)
	v_mad_u64_u32 v[39:40], null, 0xf534ddc0, v44, v[1:2]
	v_mov_b32_e32 v1, v40
	s_delay_alu instid0(VALU_DEP_2) | instskip(NEXT) | instid1(VALU_DEP_2)
	v_cndmask_b32_e64 v37, v39, v37, s3
	v_mad_u64_u32 v[40:41], null, 0xfc2757d1, v44, v[1:2]
	s_delay_alu instid0(VALU_DEP_2) | instskip(NEXT) | instid1(VALU_DEP_2)
	v_cndmask_b32_e64 v36, v37, v36, s4
	v_mov_b32_e32 v1, v41
	s_delay_alu instid0(VALU_DEP_1) | instskip(NEXT) | instid1(VALU_DEP_1)
	v_mad_u64_u32 v[41:42], null, 0x4e441529, v44, v[1:2]
	v_mov_b32_e32 v1, v42
	s_delay_alu instid0(VALU_DEP_1) | instskip(SKIP_1) | instid1(VALU_DEP_4)
	v_mad_u64_u32 v[42:43], null, 0xa2f9836e, v44, v[1:2]
	v_cndmask_b32_e64 v1, 0, 0xffffffe0, s5
	v_cndmask_b32_e64 v44, v41, v39, s3
	s_delay_alu instid0(VALU_DEP_2) | instskip(NEXT) | instid1(VALU_DEP_4)
	v_add_nc_u32_e32 v1, v1, v45
	v_cndmask_b32_e64 v42, v42, v40, s3
	v_cndmask_b32_e64 v41, v43, v41, s3
	;; [unrolled: 1-line block ×3, first 2 shown]
	s_delay_alu instid0(VALU_DEP_4) | instskip(NEXT) | instid1(VALU_DEP_4)
	v_sub_nc_u32_e32 v43, 32, v1
	v_cndmask_b32_e64 v39, v42, v44, s4
	s_delay_alu instid0(VALU_DEP_4) | instskip(NEXT) | instid1(VALU_DEP_4)
	v_cndmask_b32_e64 v41, v41, v42, s4
	v_cndmask_b32_e64 v42, v44, v40, s4
	;; [unrolled: 1-line block ×3, first 2 shown]
	v_cmp_eq_u32_e64 s6, 0, v1
	s_delay_alu instid0(VALU_DEP_4) | instskip(NEXT) | instid1(VALU_DEP_4)
	v_cndmask_b32_e64 v41, v41, v39, s5
	v_cndmask_b32_e64 v39, v39, v42, s5
	s_delay_alu instid0(VALU_DEP_4) | instskip(SKIP_1) | instid1(VALU_DEP_3)
	v_cndmask_b32_e64 v42, v42, v40, s5
	v_cndmask_b32_e64 v36, v40, v36, s5
	v_alignbit_b32 v44, v41, v39, v43
	s_delay_alu instid0(VALU_DEP_3) | instskip(NEXT) | instid1(VALU_DEP_3)
	v_alignbit_b32 v45, v39, v42, v43
	v_alignbit_b32 v43, v42, v36, v43
	s_delay_alu instid0(VALU_DEP_3) | instskip(NEXT) | instid1(VALU_DEP_3)
	v_cndmask_b32_e64 v1, v44, v41, s6
	v_cndmask_b32_e64 v38, v45, v39, s6
	s_delay_alu instid0(VALU_DEP_3) | instskip(NEXT) | instid1(VALU_DEP_3)
	v_cndmask_b32_e64 v42, v43, v42, s6
	v_bfe_u32 v39, v1, 29, 1
	s_delay_alu instid0(VALU_DEP_3) | instskip(NEXT) | instid1(VALU_DEP_3)
	v_alignbit_b32 v37, v1, v38, 30
	v_alignbit_b32 v38, v38, v42, 30
	;; [unrolled: 1-line block ×3, first 2 shown]
	s_delay_alu instid0(VALU_DEP_4) | instskip(NEXT) | instid1(VALU_DEP_1)
	v_sub_nc_u32_e32 v41, 0, v39
	v_xor_b32_e32 v40, v37, v41
	v_cmp_ne_u32_e64 s3, v37, v41
	v_xor_b32_e32 v38, v38, v41
	v_xor_b32_e32 v36, v36, v41
	s_delay_alu instid0(VALU_DEP_4) | instskip(NEXT) | instid1(VALU_DEP_1)
	v_clz_i32_u32_e32 v44, v40
	v_add_nc_u32_e32 v43, 1, v44
	s_delay_alu instid0(VALU_DEP_1) | instskip(NEXT) | instid1(VALU_DEP_1)
	v_cndmask_b32_e64 v37, 33, v43, s3
	v_sub_nc_u32_e32 v42, 32, v37
	s_delay_alu instid0(VALU_DEP_1) | instskip(SKIP_3) | instid1(VALU_DEP_3)
	v_alignbit_b32 v40, v40, v38, v42
	v_alignbit_b32 v36, v38, v36, v42
	v_lshrrev_b32_e32 v38, 29, v1
	v_lshrrev_b32_e32 v1, 30, v1
	v_alignbit_b32 v41, v40, v36, 9
	s_delay_alu instid0(VALU_DEP_3) | instskip(SKIP_1) | instid1(VALU_DEP_3)
	v_lshlrev_b32_e32 v38, 31, v38
	v_alignbit_b32 v40, v37, v40, 9
	v_clz_i32_u32_e32 v42, v41
	s_delay_alu instid0(VALU_DEP_2) | instskip(SKIP_1) | instid1(VALU_DEP_3)
	v_or_b32_e32 v40, v40, v38
	v_or_b32_e32 v38, 0x33800000, v38
	v_min_u32_e32 v42, 32, v42
	s_delay_alu instid0(VALU_DEP_3) | instskip(NEXT) | instid1(VALU_DEP_2)
	v_xor_b32_e32 v40, 1.0, v40
	v_sub_nc_u32_e32 v43, 31, v42
	v_add_lshl_u32 v37, v42, v37, 23
	s_delay_alu instid0(VALU_DEP_3) | instskip(NEXT) | instid1(VALU_DEP_3)
	v_mul_f32_e32 v42, 0x3fc90fda, v40
	v_alignbit_b32 v36, v41, v36, v43
	s_delay_alu instid0(VALU_DEP_3) | instskip(NEXT) | instid1(VALU_DEP_3)
	v_sub_nc_u32_e32 v37, v38, v37
	v_fma_f32 v38, 0x3fc90fda, v40, -v42
	s_delay_alu instid0(VALU_DEP_3) | instskip(NEXT) | instid1(VALU_DEP_2)
	v_lshrrev_b32_e32 v36, 9, v36
	v_fmac_f32_e32 v38, 0x33a22168, v40
	s_delay_alu instid0(VALU_DEP_2) | instskip(NEXT) | instid1(VALU_DEP_1)
	v_or_b32_e32 v36, v37, v36
	v_fmac_f32_e32 v38, 0x3fc90fda, v36
	s_delay_alu instid0(VALU_DEP_1)
	v_add_f32_e32 v36, v42, v38
	v_add_nc_u32_e32 v38, v39, v1
.LBB110_43:                             ;   in Loop: Header=BB110_25 Depth=1
	s_and_not1_saveexec_b32 s3, s20
; %bb.44:                               ;   in Loop: Header=BB110_25 Depth=1
	v_mul_f32_e64 v1, 0x3f22f983, |v33|
	s_delay_alu instid0(VALU_DEP_1) | instskip(NEXT) | instid1(VALU_DEP_1)
	v_rndne_f32_e32 v1, v1
	v_fma_f32 v36, 0xbfc90fda, v1, |v33|
	v_cvt_i32_f32_e32 v38, v1
	s_delay_alu instid0(VALU_DEP_2) | instskip(NEXT) | instid1(VALU_DEP_1)
	v_fmac_f32_e32 v36, 0xb3a22168, v1
	v_fmac_f32_e32 v36, 0xa7c234c4, v1
; %bb.45:                               ;   in Loop: Header=BB110_25 Depth=1
	s_or_b32 exec_lo, exec_lo, s3
	v_cvt_f32_f16_e32 v31, v31
                                        ; implicit-def: $vgpr39
                                        ; implicit-def: $vgpr1
	s_mov_b32 s4, exec_lo
	s_delay_alu instid0(VALU_DEP_1)
	v_and_b32_e32 v37, 0x7fffffff, v31
	v_cmpx_ngt_f32_e64 0x48000000, |v31|
	s_xor_b32 s20, exec_lo, s4
	s_cbranch_execnz .LBB110_51
; %bb.46:                               ;   in Loop: Header=BB110_25 Depth=1
	s_and_not1_saveexec_b32 s3, s20
	s_cbranch_execnz .LBB110_52
.LBB110_47:                             ;   in Loop: Header=BB110_25 Depth=1
	s_or_b32 exec_lo, exec_lo, s3
	s_and_saveexec_b32 s3, s2
	s_delay_alu instid0(SALU_CYCLE_1)
	s_xor_b32 s3, exec_lo, s3
	s_cbranch_execnz .LBB110_53
.LBB110_48:                             ;   in Loop: Header=BB110_25 Depth=1
	s_or_b32 exec_lo, exec_lo, s3
	s_and_saveexec_b32 s2, s1
	s_cbranch_execnz .LBB110_54
.LBB110_49:                             ;   in Loop: Header=BB110_25 Depth=1
	s_or_b32 exec_lo, exec_lo, s2
	s_and_saveexec_b32 s1, s0
	s_cbranch_execnz .LBB110_55
.LBB110_50:                             ;   in Loop: Header=BB110_25 Depth=1
	s_or_b32 exec_lo, exec_lo, s1
	s_and_saveexec_b32 s0, vcc_lo
	s_cbranch_execz .LBB110_24
	s_branch .LBB110_56
.LBB110_51:                             ;   in Loop: Header=BB110_25 Depth=1
	s_delay_alu instid0(VALU_DEP_2) | instskip(SKIP_1) | instid1(VALU_DEP_2)
	v_lshrrev_b32_e32 v44, 23, v37
	v_and_or_b32 v47, v37, s7, 0x800000
	v_add_nc_u32_e32 v45, 0xffffff88, v44
	s_delay_alu instid0(VALU_DEP_2) | instskip(NEXT) | instid1(VALU_DEP_2)
	v_mad_u64_u32 v[39:40], null, 0xfe5163ab, v47, 0
	v_cmp_lt_u32_e64 s3, 63, v45
	s_delay_alu instid0(VALU_DEP_1) | instskip(NEXT) | instid1(VALU_DEP_1)
	v_cndmask_b32_e64 v46, 0, 0xffffffc0, s3
	v_dual_mov_b32 v1, v40 :: v_dual_add_nc_u32 v46, v46, v45
	s_delay_alu instid0(VALU_DEP_1) | instskip(NEXT) | instid1(VALU_DEP_2)
	v_mad_u64_u32 v[40:41], null, 0x3c439041, v47, v[1:2]
	v_cmp_lt_u32_e64 s4, 31, v46
	s_delay_alu instid0(VALU_DEP_1) | instskip(NEXT) | instid1(VALU_DEP_1)
	v_cndmask_b32_e64 v48, 0, 0xffffffe0, s4
	v_dual_mov_b32 v1, v41 :: v_dual_add_nc_u32 v48, v48, v46
	s_delay_alu instid0(VALU_DEP_1) | instskip(NEXT) | instid1(VALU_DEP_2)
	v_mad_u64_u32 v[41:42], null, 0xdb629599, v47, v[1:2]
	v_cmp_lt_u32_e64 s5, 31, v48
	s_delay_alu instid0(VALU_DEP_2) | instskip(NEXT) | instid1(VALU_DEP_3)
	v_mov_b32_e32 v1, v42
	v_cndmask_b32_e64 v39, v41, v39, s3
	s_delay_alu instid0(VALU_DEP_2) | instskip(NEXT) | instid1(VALU_DEP_1)
	v_mad_u64_u32 v[42:43], null, 0xf534ddc0, v47, v[1:2]
	v_mov_b32_e32 v1, v43
	s_delay_alu instid0(VALU_DEP_2) | instskip(NEXT) | instid1(VALU_DEP_2)
	v_cndmask_b32_e64 v40, v42, v40, s3
	v_mad_u64_u32 v[43:44], null, 0xfc2757d1, v47, v[1:2]
	s_delay_alu instid0(VALU_DEP_2) | instskip(NEXT) | instid1(VALU_DEP_2)
	v_cndmask_b32_e64 v39, v40, v39, s4
	v_mov_b32_e32 v1, v44
	s_delay_alu instid0(VALU_DEP_1) | instskip(NEXT) | instid1(VALU_DEP_1)
	v_mad_u64_u32 v[44:45], null, 0x4e441529, v47, v[1:2]
	v_mov_b32_e32 v1, v45
	s_delay_alu instid0(VALU_DEP_1) | instskip(SKIP_1) | instid1(VALU_DEP_4)
	v_mad_u64_u32 v[45:46], null, 0xa2f9836e, v47, v[1:2]
	v_cndmask_b32_e64 v1, 0, 0xffffffe0, s5
	v_cndmask_b32_e64 v47, v44, v42, s3
	s_delay_alu instid0(VALU_DEP_2) | instskip(NEXT) | instid1(VALU_DEP_4)
	v_add_nc_u32_e32 v1, v1, v48
	v_cndmask_b32_e64 v45, v45, v43, s3
	v_cndmask_b32_e64 v44, v46, v44, s3
	;; [unrolled: 1-line block ×3, first 2 shown]
	s_delay_alu instid0(VALU_DEP_4) | instskip(NEXT) | instid1(VALU_DEP_4)
	v_sub_nc_u32_e32 v46, 32, v1
	v_cndmask_b32_e64 v42, v45, v47, s4
	s_delay_alu instid0(VALU_DEP_4) | instskip(NEXT) | instid1(VALU_DEP_4)
	v_cndmask_b32_e64 v44, v44, v45, s4
	v_cndmask_b32_e64 v45, v47, v43, s4
	;; [unrolled: 1-line block ×3, first 2 shown]
	v_cmp_eq_u32_e64 s6, 0, v1
	s_delay_alu instid0(VALU_DEP_4) | instskip(NEXT) | instid1(VALU_DEP_4)
	v_cndmask_b32_e64 v44, v44, v42, s5
	v_cndmask_b32_e64 v42, v42, v45, s5
	s_delay_alu instid0(VALU_DEP_4) | instskip(SKIP_1) | instid1(VALU_DEP_3)
	v_cndmask_b32_e64 v45, v45, v43, s5
	v_cndmask_b32_e64 v39, v43, v39, s5
	v_alignbit_b32 v47, v44, v42, v46
	s_delay_alu instid0(VALU_DEP_3) | instskip(NEXT) | instid1(VALU_DEP_3)
	v_alignbit_b32 v48, v42, v45, v46
	v_alignbit_b32 v46, v45, v39, v46
	s_delay_alu instid0(VALU_DEP_3) | instskip(NEXT) | instid1(VALU_DEP_3)
	v_cndmask_b32_e64 v1, v47, v44, s6
	v_cndmask_b32_e64 v41, v48, v42, s6
	s_delay_alu instid0(VALU_DEP_3) | instskip(NEXT) | instid1(VALU_DEP_3)
	v_cndmask_b32_e64 v45, v46, v45, s6
	v_bfe_u32 v42, v1, 29, 1
	s_delay_alu instid0(VALU_DEP_3) | instskip(NEXT) | instid1(VALU_DEP_3)
	v_alignbit_b32 v40, v1, v41, 30
	v_alignbit_b32 v41, v41, v45, 30
	;; [unrolled: 1-line block ×3, first 2 shown]
	s_delay_alu instid0(VALU_DEP_4) | instskip(NEXT) | instid1(VALU_DEP_1)
	v_sub_nc_u32_e32 v44, 0, v42
	v_xor_b32_e32 v43, v40, v44
	v_cmp_ne_u32_e64 s3, v40, v44
	v_xor_b32_e32 v41, v41, v44
	v_xor_b32_e32 v39, v39, v44
	s_delay_alu instid0(VALU_DEP_4) | instskip(NEXT) | instid1(VALU_DEP_1)
	v_clz_i32_u32_e32 v47, v43
	v_add_nc_u32_e32 v46, 1, v47
	s_delay_alu instid0(VALU_DEP_1) | instskip(NEXT) | instid1(VALU_DEP_1)
	v_cndmask_b32_e64 v40, 33, v46, s3
	v_sub_nc_u32_e32 v45, 32, v40
	s_delay_alu instid0(VALU_DEP_1) | instskip(SKIP_2) | instid1(VALU_DEP_2)
	v_alignbit_b32 v43, v43, v41, v45
	v_alignbit_b32 v39, v41, v39, v45
	v_lshrrev_b32_e32 v41, 29, v1
	v_alignbit_b32 v44, v43, v39, 9
	s_delay_alu instid0(VALU_DEP_2) | instskip(SKIP_1) | instid1(VALU_DEP_3)
	v_lshlrev_b32_e32 v41, 31, v41
	v_alignbit_b32 v43, v40, v43, 9
	v_clz_i32_u32_e32 v45, v44
	s_delay_alu instid0(VALU_DEP_2) | instskip(SKIP_1) | instid1(VALU_DEP_3)
	v_or_b32_e32 v43, v43, v41
	v_or_b32_e32 v41, 0x33800000, v41
	v_min_u32_e32 v45, 32, v45
	s_delay_alu instid0(VALU_DEP_3) | instskip(NEXT) | instid1(VALU_DEP_2)
	v_xor_b32_e32 v43, 1.0, v43
	v_sub_nc_u32_e32 v46, 31, v45
	v_add_lshl_u32 v40, v45, v40, 23
	s_delay_alu instid0(VALU_DEP_3) | instskip(NEXT) | instid1(VALU_DEP_3)
	v_mul_f32_e32 v45, 0x3fc90fda, v43
	v_alignbit_b32 v39, v44, v39, v46
	s_delay_alu instid0(VALU_DEP_3) | instskip(NEXT) | instid1(VALU_DEP_3)
	v_sub_nc_u32_e32 v40, v41, v40
	v_fma_f32 v41, 0x3fc90fda, v43, -v45
	s_delay_alu instid0(VALU_DEP_3) | instskip(NEXT) | instid1(VALU_DEP_2)
	v_lshrrev_b32_e32 v39, 9, v39
	v_fmac_f32_e32 v41, 0x33a22168, v43
	s_delay_alu instid0(VALU_DEP_2) | instskip(NEXT) | instid1(VALU_DEP_1)
	v_or_b32_e32 v39, v40, v39
	v_fmac_f32_e32 v41, 0x3fc90fda, v39
	v_lshrrev_b32_e32 v39, 30, v1
	s_delay_alu instid0(VALU_DEP_2) | instskip(NEXT) | instid1(VALU_DEP_2)
	v_add_f32_e32 v1, v45, v41
	v_add_nc_u32_e32 v39, v42, v39
	s_and_not1_saveexec_b32 s3, s20
	s_cbranch_execz .LBB110_47
.LBB110_52:                             ;   in Loop: Header=BB110_25 Depth=1
	v_mul_f32_e64 v1, 0x3f22f983, |v31|
	s_delay_alu instid0(VALU_DEP_1) | instskip(NEXT) | instid1(VALU_DEP_1)
	v_rndne_f32_e32 v39, v1
	v_fma_f32 v1, 0xbfc90fda, v39, |v31|
	s_delay_alu instid0(VALU_DEP_1) | instskip(NEXT) | instid1(VALU_DEP_1)
	v_fmac_f32_e32 v1, 0xb3a22168, v39
	v_fmac_f32_e32 v1, 0xa7c234c4, v39
	v_cvt_i32_f32_e32 v39, v39
	s_or_b32 exec_lo, exec_lo, s3
	s_and_saveexec_b32 s3, s2
	s_delay_alu instid0(SALU_CYCLE_1)
	s_xor_b32 s3, exec_lo, s3
	s_cbranch_execz .LBB110_48
.LBB110_53:                             ;   in Loop: Header=BB110_25 Depth=1
	v_dual_mul_f32 v40, v27, v27 :: v_dual_and_b32 v43, 1, v30
	v_xor_b32_e32 v26, v26, v25
	s_delay_alu instid0(VALU_DEP_2) | instskip(NEXT) | instid1(VALU_DEP_3)
	v_dual_fmaak_f32 v41, s18, v40, 0x3c0881c4 :: v_dual_lshlrev_b32 v30, 30, v30
	v_cmp_eq_u32_e64 s2, 0, v43
	s_delay_alu instid0(VALU_DEP_2) | instskip(NEXT) | instid1(VALU_DEP_3)
	v_and_b32_e32 v30, 0x80000000, v30
	v_fmaak_f32 v41, v40, v41, 0xbe2aaa9d
	s_delay_alu instid0(VALU_DEP_1) | instskip(NEXT) | instid1(VALU_DEP_1)
	v_dual_fmaak_f32 v42, s19, v40, 0xbab64f3b :: v_dual_mul_f32 v41, v40, v41
	v_dual_fmaak_f32 v42, v40, v42, 0x3d2aabf7 :: v_dual_fmac_f32 v27, v27, v41
	s_delay_alu instid0(VALU_DEP_1) | instskip(NEXT) | instid1(VALU_DEP_1)
	v_fmaak_f32 v42, v40, v42, 0xbf000004
	v_fma_f32 v40, v40, v42, 1.0
	s_delay_alu instid0(VALU_DEP_1) | instskip(SKIP_1) | instid1(VALU_DEP_2)
	v_cndmask_b32_e64 v27, v40, v27, s2
	v_cmp_class_f32_e64 s2, v25, 0x1f8
	v_xor3_b32 v26, v26, v30, v27
	s_delay_alu instid0(VALU_DEP_1) | instskip(NEXT) | instid1(VALU_DEP_1)
	v_cndmask_b32_e64 v25, 0x7fc00000, v26, s2
	v_cvt_f16_f32_e32 v27, v25
	v_add_co_u32 v25, s2, v5, s8
	s_delay_alu instid0(VALU_DEP_1)
	v_add_co_ci_u32_e64 v26, s2, s9, v6, s2
	global_store_b16 v[25:26], v27, off
	s_or_b32 exec_lo, exec_lo, s3
	s_and_saveexec_b32 s2, s1
	s_cbranch_execz .LBB110_49
.LBB110_54:                             ;   in Loop: Header=BB110_25 Depth=1
	v_dual_mul_f32 v25, v32, v32 :: v_dual_and_b32 v30, 1, v35
	s_delay_alu instid0(VALU_DEP_1) | instskip(NEXT) | instid1(VALU_DEP_2)
	v_dual_fmaak_f32 v26, s18, v25, 0x3c0881c4 :: v_dual_lshlrev_b32 v35, 30, v35
	v_cmp_eq_u32_e64 s1, 0, v30
	s_delay_alu instid0(VALU_DEP_2) | instskip(NEXT) | instid1(VALU_DEP_1)
	v_fmaak_f32 v26, v25, v26, 0xbe2aaa9d
	v_dual_fmaak_f32 v27, s19, v25, 0xbab64f3b :: v_dual_mul_f32 v26, v25, v26
	s_delay_alu instid0(VALU_DEP_1) | instskip(NEXT) | instid1(VALU_DEP_1)
	v_dual_fmaak_f32 v27, v25, v27, 0x3d2aabf7 :: v_dual_fmac_f32 v32, v32, v26
	v_fmaak_f32 v27, v25, v27, 0xbf000004
	v_xor_b32_e32 v26, v29, v28
	s_delay_alu instid0(VALU_DEP_2) | instskip(SKIP_1) | instid1(VALU_DEP_2)
	v_fma_f32 v25, v25, v27, 1.0
	v_and_b32_e32 v27, 0x80000000, v35
	v_cndmask_b32_e64 v25, v25, v32, s1
	v_cmp_class_f32_e64 s1, v28, 0x1f8
	s_delay_alu instid0(VALU_DEP_2) | instskip(NEXT) | instid1(VALU_DEP_1)
	v_xor3_b32 v25, v26, v27, v25
	v_cndmask_b32_e64 v25, 0x7fc00000, v25, s1
	s_delay_alu instid0(VALU_DEP_1) | instskip(SKIP_1) | instid1(VALU_DEP_1)
	v_cvt_f16_f32_e32 v27, v25
	v_add_co_u32 v25, s1, v23, s8
	v_add_co_ci_u32_e64 v26, s1, s9, v24, s1
	global_store_b16 v[25:26], v27, off
	s_or_b32 exec_lo, exec_lo, s2
	s_and_saveexec_b32 s1, s0
	s_cbranch_execz .LBB110_50
.LBB110_55:                             ;   in Loop: Header=BB110_25 Depth=1
	v_dual_mul_f32 v25, v36, v36 :: v_dual_and_b32 v28, 1, v38
	s_delay_alu instid0(VALU_DEP_1) | instskip(NEXT) | instid1(VALU_DEP_2)
	v_dual_fmaak_f32 v26, s18, v25, 0x3c0881c4 :: v_dual_lshlrev_b32 v29, 30, v38
	v_cmp_eq_u32_e64 s0, 0, v28
	s_delay_alu instid0(VALU_DEP_2) | instskip(NEXT) | instid1(VALU_DEP_1)
	v_fmaak_f32 v26, v25, v26, 0xbe2aaa9d
	v_dual_fmaak_f32 v27, s19, v25, 0xbab64f3b :: v_dual_mul_f32 v26, v25, v26
	s_delay_alu instid0(VALU_DEP_1) | instskip(NEXT) | instid1(VALU_DEP_1)
	v_dual_fmaak_f32 v27, v25, v27, 0x3d2aabf7 :: v_dual_fmac_f32 v36, v36, v26
	v_fmaak_f32 v27, v25, v27, 0xbf000004
	v_xor_b32_e32 v26, v34, v33
	s_delay_alu instid0(VALU_DEP_2) | instskip(SKIP_1) | instid1(VALU_DEP_2)
	v_fma_f32 v25, v25, v27, 1.0
	v_and_b32_e32 v27, 0x80000000, v29
	v_cndmask_b32_e64 v25, v25, v36, s0
	v_cmp_class_f32_e64 s0, v33, 0x1f8
	s_delay_alu instid0(VALU_DEP_2) | instskip(NEXT) | instid1(VALU_DEP_1)
	v_xor3_b32 v25, v26, v27, v25
	v_cndmask_b32_e64 v25, 0x7fc00000, v25, s0
	s_delay_alu instid0(VALU_DEP_1) | instskip(SKIP_1) | instid1(VALU_DEP_1)
	v_cvt_f16_f32_e32 v27, v25
	v_add_co_u32 v25, s0, v16, s8
	v_add_co_ci_u32_e64 v26, s0, s9, v17, s0
	global_store_b16 v[25:26], v27, off
	s_or_b32 exec_lo, exec_lo, s1
	s_and_saveexec_b32 s0, vcc_lo
	s_cbranch_execz .LBB110_24
.LBB110_56:                             ;   in Loop: Header=BB110_25 Depth=1
	v_dual_mul_f32 v25, v1, v1 :: v_dual_and_b32 v28, 1, v39
	s_delay_alu instid0(VALU_DEP_1) | instskip(NEXT) | instid1(VALU_DEP_2)
	v_dual_fmaak_f32 v26, s18, v25, 0x3c0881c4 :: v_dual_lshlrev_b32 v29, 30, v39
	v_cmp_eq_u32_e32 vcc_lo, 0, v28
	s_delay_alu instid0(VALU_DEP_2) | instskip(NEXT) | instid1(VALU_DEP_1)
	v_fmaak_f32 v26, v25, v26, 0xbe2aaa9d
	v_dual_fmaak_f32 v27, s19, v25, 0xbab64f3b :: v_dual_mul_f32 v26, v25, v26
	s_delay_alu instid0(VALU_DEP_1) | instskip(NEXT) | instid1(VALU_DEP_2)
	v_fmaak_f32 v27, v25, v27, 0x3d2aabf7
	v_fmac_f32_e32 v1, v1, v26
	s_delay_alu instid0(VALU_DEP_2) | instskip(SKIP_1) | instid1(VALU_DEP_2)
	v_fmaak_f32 v27, v25, v27, 0xbf000004
	v_xor_b32_e32 v26, v37, v31
	v_fma_f32 v25, v25, v27, 1.0
	v_and_b32_e32 v27, 0x80000000, v29
	s_delay_alu instid0(VALU_DEP_2) | instskip(SKIP_1) | instid1(VALU_DEP_2)
	v_cndmask_b32_e32 v1, v25, v1, vcc_lo
	v_cmp_class_f32_e64 vcc_lo, v31, 0x1f8
	v_xor3_b32 v1, v26, v27, v1
	s_delay_alu instid0(VALU_DEP_1) | instskip(SKIP_2) | instid1(VALU_DEP_3)
	v_cndmask_b32_e32 v1, 0x7fc00000, v1, vcc_lo
	v_add_co_u32 v25, vcc_lo, v9, s8
	v_add_co_ci_u32_e32 v26, vcc_lo, s9, v10, vcc_lo
	v_cvt_f16_f32_e32 v1, v1
	global_store_b16 v[25:26], v1, off
	s_branch .LBB110_24
.LBB110_57:
	s_nop 0
	s_sendmsg sendmsg(MSG_DEALLOC_VGPRS)
	s_endpgm
	.section	.rodata,"a",@progbits
	.p2align	6, 0x0
	.amdhsa_kernel _ZN2at6native12_GLOBAL__N_125multi_tensor_apply_kernelINS1_18TensorListMetadataILi2EEENS1_14UnaryOpFunctorIN3c104HalfELi2ELi1ELi1EEEJNS0_3SinIfEEEEEvT_T0_DpT1_
		.amdhsa_group_segment_fixed_size 0
		.amdhsa_private_segment_fixed_size 0
		.amdhsa_kernarg_size 3408
		.amdhsa_user_sgpr_count 15
		.amdhsa_user_sgpr_dispatch_ptr 0
		.amdhsa_user_sgpr_queue_ptr 0
		.amdhsa_user_sgpr_kernarg_segment_ptr 1
		.amdhsa_user_sgpr_dispatch_id 0
		.amdhsa_user_sgpr_private_segment_size 0
		.amdhsa_wavefront_size32 1
		.amdhsa_uses_dynamic_stack 0
		.amdhsa_enable_private_segment 0
		.amdhsa_system_sgpr_workgroup_id_x 1
		.amdhsa_system_sgpr_workgroup_id_y 0
		.amdhsa_system_sgpr_workgroup_id_z 0
		.amdhsa_system_sgpr_workgroup_info 0
		.amdhsa_system_vgpr_workitem_id 0
		.amdhsa_next_free_vgpr 49
		.amdhsa_next_free_sgpr 25
		.amdhsa_reserve_vcc 1
		.amdhsa_float_round_mode_32 0
		.amdhsa_float_round_mode_16_64 0
		.amdhsa_float_denorm_mode_32 3
		.amdhsa_float_denorm_mode_16_64 3
		.amdhsa_dx10_clamp 1
		.amdhsa_ieee_mode 1
		.amdhsa_fp16_overflow 0
		.amdhsa_workgroup_processor_mode 1
		.amdhsa_memory_ordered 1
		.amdhsa_forward_progress 0
		.amdhsa_shared_vgpr_count 0
		.amdhsa_exception_fp_ieee_invalid_op 0
		.amdhsa_exception_fp_denorm_src 0
		.amdhsa_exception_fp_ieee_div_zero 0
		.amdhsa_exception_fp_ieee_overflow 0
		.amdhsa_exception_fp_ieee_underflow 0
		.amdhsa_exception_fp_ieee_inexact 0
		.amdhsa_exception_int_div_zero 0
	.end_amdhsa_kernel
	.section	.text._ZN2at6native12_GLOBAL__N_125multi_tensor_apply_kernelINS1_18TensorListMetadataILi2EEENS1_14UnaryOpFunctorIN3c104HalfELi2ELi1ELi1EEEJNS0_3SinIfEEEEEvT_T0_DpT1_,"axG",@progbits,_ZN2at6native12_GLOBAL__N_125multi_tensor_apply_kernelINS1_18TensorListMetadataILi2EEENS1_14UnaryOpFunctorIN3c104HalfELi2ELi1ELi1EEEJNS0_3SinIfEEEEEvT_T0_DpT1_,comdat
.Lfunc_end110:
	.size	_ZN2at6native12_GLOBAL__N_125multi_tensor_apply_kernelINS1_18TensorListMetadataILi2EEENS1_14UnaryOpFunctorIN3c104HalfELi2ELi1ELi1EEEJNS0_3SinIfEEEEEvT_T0_DpT1_, .Lfunc_end110-_ZN2at6native12_GLOBAL__N_125multi_tensor_apply_kernelINS1_18TensorListMetadataILi2EEENS1_14UnaryOpFunctorIN3c104HalfELi2ELi1ELi1EEEJNS0_3SinIfEEEEEvT_T0_DpT1_
                                        ; -- End function
	.section	.AMDGPU.csdata,"",@progbits
; Kernel info:
; codeLenInByte = 9136
; NumSgprs: 27
; NumVgprs: 49
; ScratchSize: 0
; MemoryBound: 0
; FloatMode: 240
; IeeeMode: 1
; LDSByteSize: 0 bytes/workgroup (compile time only)
; SGPRBlocks: 3
; VGPRBlocks: 6
; NumSGPRsForWavesPerEU: 27
; NumVGPRsForWavesPerEU: 49
; Occupancy: 16
; WaveLimiterHint : 0
; COMPUTE_PGM_RSRC2:SCRATCH_EN: 0
; COMPUTE_PGM_RSRC2:USER_SGPR: 15
; COMPUTE_PGM_RSRC2:TRAP_HANDLER: 0
; COMPUTE_PGM_RSRC2:TGID_X_EN: 1
; COMPUTE_PGM_RSRC2:TGID_Y_EN: 0
; COMPUTE_PGM_RSRC2:TGID_Z_EN: 0
; COMPUTE_PGM_RSRC2:TIDIG_COMP_CNT: 0
	.section	.text._ZN2at6native12_GLOBAL__N_125multi_tensor_apply_kernelINS1_18TensorListMetadataILi2EEENS1_14UnaryOpFunctorIN3c108BFloat16ELi2ELi1ELi1EEEJNS0_3SinIfEEEEEvT_T0_DpT1_,"axG",@progbits,_ZN2at6native12_GLOBAL__N_125multi_tensor_apply_kernelINS1_18TensorListMetadataILi2EEENS1_14UnaryOpFunctorIN3c108BFloat16ELi2ELi1ELi1EEEJNS0_3SinIfEEEEEvT_T0_DpT1_,comdat
	.globl	_ZN2at6native12_GLOBAL__N_125multi_tensor_apply_kernelINS1_18TensorListMetadataILi2EEENS1_14UnaryOpFunctorIN3c108BFloat16ELi2ELi1ELi1EEEJNS0_3SinIfEEEEEvT_T0_DpT1_ ; -- Begin function _ZN2at6native12_GLOBAL__N_125multi_tensor_apply_kernelINS1_18TensorListMetadataILi2EEENS1_14UnaryOpFunctorIN3c108BFloat16ELi2ELi1ELi1EEEJNS0_3SinIfEEEEEvT_T0_DpT1_
	.p2align	8
	.type	_ZN2at6native12_GLOBAL__N_125multi_tensor_apply_kernelINS1_18TensorListMetadataILi2EEENS1_14UnaryOpFunctorIN3c108BFloat16ELi2ELi1ELi1EEEJNS0_3SinIfEEEEEvT_T0_DpT1_,@function
_ZN2at6native12_GLOBAL__N_125multi_tensor_apply_kernelINS1_18TensorListMetadataILi2EEENS1_14UnaryOpFunctorIN3c108BFloat16ELi2ELi1ELi1EEEJNS0_3SinIfEEEEEvT_T0_DpT1_: ; @_ZN2at6native12_GLOBAL__N_125multi_tensor_apply_kernelINS1_18TensorListMetadataILi2EEENS1_14UnaryOpFunctorIN3c108BFloat16ELi2ELi1ELi1EEEJNS0_3SinIfEEEEEvT_T0_DpT1_
; %bb.0:
	v_mov_b32_e32 v1, s15
	s_add_u32 s2, s0, s15
	s_mul_hi_u32 s3, s15, 3
	s_mul_i32 s15, s15, 3
	s_addc_u32 s4, s1, 0
	global_load_u8 v1, v1, s[0:1] offset:1536
	s_add_u32 s2, s2, s15
	s_addc_u32 s3, s4, s3
	s_mov_b32 s11, 0
	s_load_b32 s2, s[2:3], 0x740
	s_mov_b32 s17, s11
	s_mov_b32 s13, s11
	s_waitcnt vmcnt(0)
	v_readfirstlane_b32 s5, v1
	s_delay_alu instid0(VALU_DEP_1)
	s_lshl_b32 s3, s5, 3
	s_clause 0x2
	s_load_b64 s[6:7], s[0:1], s3 offset:0x0
	s_load_b64 s[14:15], s[0:1], s3 offset:0x200
	;; [unrolled: 1-line block ×3, first 2 shown]
	s_waitcnt lgkmcnt(0)
	s_ashr_i32 s3, s2, 31
	s_delay_alu instid0(SALU_CYCLE_1) | instskip(SKIP_4) | instid1(SALU_CYCLE_1)
	s_lshl_b64 s[8:9], s[2:3], 17
	s_lshl_b64 s[2:3], s[2:3], 16
	s_and_b32 s10, s6, 7
	s_and_b32 s12, s14, 7
	s_and_b32 s16, s4, 3
	s_or_b64 s[10:11], s[10:11], s[16:17]
	s_delay_alu instid0(SALU_CYCLE_1)
	s_or_b64 s[12:13], s[12:13], s[10:11]
	s_sub_u32 s10, s4, s2
	s_subb_u32 s11, s5, s3
	s_cmp_eq_u64 s[12:13], 0
	s_mov_b32 s2, -1
	s_cbranch_scc0 .LBB111_21
; %bb.1:
	v_dual_mov_b32 v2, 0 :: v_dual_lshlrev_b32 v1, 2, v0
	s_mov_b32 s5, exec_lo
	s_delay_alu instid0(VALU_DEP_1)
	v_cmpx_gt_i64_e64 s[10:11], v[1:2]
	s_cbranch_execz .LBB111_20
; %bb.2:
	s_load_b32 s2, s[0:1], 0xc5c
	v_lshlrev_b32_e32 v3, 3, v0
	s_mov_b32 s12, 0
	s_mov_b32 s17, 0x7fffff
	s_mov_b32 s18, 0xb94c1982
	s_mov_b32 s19, 0x37d75334
	v_add_co_u32 v7, s3, s8, v3
	s_delay_alu instid0(VALU_DEP_1) | instskip(SKIP_2) | instid1(SALU_CYCLE_1)
	v_add_co_ci_u32_e64 v8, null, s9, 0, s3
	s_waitcnt lgkmcnt(0)
	s_and_b32 s2, s2, 0xffff
	v_add_lshl_u32 v1, v0, s2, 2
	v_mov_b32_e32 v4, v2
	s_lshl_b32 s13, s2, 3
	s_lshl_b32 s16, s2, 2
	s_delay_alu instid0(VALU_DEP_2)
	v_mov_b32_e32 v3, v1
	s_branch .LBB111_4
.LBB111_3:                              ;   in Loop: Header=BB111_4 Depth=1
	s_or_b32 exec_lo, exec_lo, s2
	v_dual_mul_f32 v22, v18, v18 :: v_dual_and_b32 v23, 1, v20
	v_lshlrev_b32_e32 v20, 30, v20
	v_dual_mul_f32 v24, v15, v15 :: v_dual_and_b32 v27, 1, v17
	s_delay_alu instid0(VALU_DEP_3) | instskip(SKIP_3) | instid1(VALU_DEP_4)
	v_fmaak_f32 v25, s18, v22, 0x3c0881c4
	v_dual_fmaak_f32 v26, s19, v22, 0xbab64f3b :: v_dual_lshlrev_b32 v17, 30, v17
	v_mul_f32_e32 v28, v11, v11
	v_cmp_eq_u32_e32 vcc_lo, 0, v23
	v_fmaak_f32 v25, v22, v25, 0xbe2aaa9d
	s_delay_alu instid0(VALU_DEP_4) | instskip(SKIP_1) | instid1(VALU_DEP_3)
	v_dual_fmaak_f32 v26, v22, v26, 0x3d2aabf7 :: v_dual_mul_f32 v31, v1, v1
	v_fmaak_f32 v30, s19, v24, 0xbab64f3b
	v_dual_mul_f32 v25, v22, v25 :: v_dual_and_b32 v20, 0x80000000, v20
	v_fmaak_f32 v29, s18, v24, 0x3c0881c4
	v_and_b32_e32 v17, 0x80000000, v17
	v_cmp_lt_u64_e64 s2, 0xffff, v[3:4]
	s_delay_alu instid0(VALU_DEP_4) | instskip(SKIP_4) | instid1(VALU_DEP_3)
	v_xor_b32_e32 v16, v16, v20
	v_fmac_f32_e32 v18, v18, v25
	v_fmaak_f32 v29, v24, v29, 0xbe2aaa9d
	v_fmaak_f32 v26, v22, v26, 0xbf000004
	v_xor_b32_e32 v14, v14, v17
	v_mul_f32_e32 v25, v24, v29
	s_delay_alu instid0(VALU_DEP_3) | instskip(NEXT) | instid1(VALU_DEP_2)
	v_fma_f32 v22, v22, v26, 1.0
	v_dual_fmaak_f32 v30, v24, v30, 0x3d2aabf7 :: v_dual_fmac_f32 v15, v15, v25
	s_delay_alu instid0(VALU_DEP_2) | instskip(SKIP_2) | instid1(VALU_DEP_3)
	v_cndmask_b32_e32 v18, v22, v18, vcc_lo
	v_fmaak_f32 v22, s18, v28, 0x3c0881c4
	v_cmp_eq_u32_e32 vcc_lo, 0, v27
	v_xor3_b32 v16, v16, v18, v5
	s_delay_alu instid0(VALU_DEP_3) | instskip(SKIP_1) | instid1(VALU_DEP_1)
	v_fmaak_f32 v18, v28, v22, 0xbe2aaa9d
	v_fmaak_f32 v22, s18, v31, 0x3c0881c4
	;; [unrolled: 1-line block ×3, first 2 shown]
	s_delay_alu instid0(VALU_DEP_1) | instskip(NEXT) | instid1(VALU_DEP_1)
	v_dual_fmaak_f32 v26, v24, v30, 0xbf000004 :: v_dual_mul_f32 v17, v31, v17
	v_fma_f32 v20, v24, v26, 1.0
	s_delay_alu instid0(VALU_DEP_2) | instskip(SKIP_1) | instid1(VALU_DEP_3)
	v_fmac_f32_e32 v1, v1, v17
	v_dual_fmaak_f32 v23, s19, v28, 0xbab64f3b :: v_dual_mul_f32 v18, v28, v18
	v_cndmask_b32_e32 v15, v20, v15, vcc_lo
	s_delay_alu instid0(VALU_DEP_2) | instskip(SKIP_1) | instid1(VALU_DEP_4)
	v_fmaak_f32 v20, v28, v23, 0x3d2aabf7
	v_fmaak_f32 v23, s19, v31, 0xbab64f3b
	v_fmac_f32_e32 v11, v11, v18
	s_delay_alu instid0(VALU_DEP_2) | instskip(NEXT) | instid1(VALU_DEP_4)
	v_dual_fmaak_f32 v22, v31, v23, 0x3d2aabf7 :: v_dual_lshlrev_b32 v23, 30, v21
	v_dual_fmaak_f32 v20, v28, v20, 0xbf000004 :: v_dual_and_b32 v21, 1, v21
	s_delay_alu instid0(VALU_DEP_2) | instskip(NEXT) | instid1(VALU_DEP_2)
	v_fmaak_f32 v22, v31, v22, 0xbf000004
	v_fma_f32 v18, v28, v20, 1.0
	v_lshlrev_b32_e32 v20, 30, v12
	v_and_b32_e32 v12, 1, v12
	s_delay_alu instid0(VALU_DEP_4) | instskip(SKIP_4) | instid1(VALU_DEP_4)
	v_fma_f32 v17, v31, v22, 1.0
	v_and_b32_e32 v22, 0x80000000, v23
	v_xor3_b32 v14, v14, v15, v13
	v_and_b32_e32 v20, 0x80000000, v20
	v_cmp_eq_u32_e32 vcc_lo, 0, v12
	v_xor_b32_e32 v12, v19, v22
	s_delay_alu instid0(VALU_DEP_3) | instskip(SKIP_2) | instid1(VALU_DEP_2)
	v_xor_b32_e32 v10, v10, v20
	v_cndmask_b32_e32 v11, v18, v11, vcc_lo
	v_cmp_eq_u32_e32 vcc_lo, 0, v21
	v_xor3_b32 v10, v10, v11, v9
	v_cndmask_b32_e32 v1, v17, v1, vcc_lo
	v_cmp_class_f32_e64 vcc_lo, v5, 0x1f8
	s_delay_alu instid0(VALU_DEP_2)
	v_xor3_b32 v1, v12, v1, v6
	v_cndmask_b32_e32 v5, 0x7fc00000, v16, vcc_lo
	v_cmp_class_f32_e64 vcc_lo, v13, 0x1f8
	v_cndmask_b32_e32 v11, 0x7fc00000, v14, vcc_lo
	v_cmp_class_f32_e64 vcc_lo, v9, 0x1f8
	;; [unrolled: 2-line block ×3, first 2 shown]
	s_delay_alu instid0(VALU_DEP_4) | instskip(SKIP_1) | instid1(VALU_DEP_4)
	v_bfe_u32 v6, v11, 16, 1
	v_bfe_u32 v10, v5, 16, 1
	;; [unrolled: 1-line block ×3, first 2 shown]
	v_cndmask_b32_e32 v1, 0x7fc00000, v1, vcc_lo
	s_delay_alu instid0(VALU_DEP_4)
	v_add3_u32 v6, v11, v6, 0x7fff
	v_cmp_o_f32_e32 vcc_lo, v11, v11
	v_add3_u32 v10, v5, v10, 0x7fff
	v_add3_u32 v12, v9, v12, 0x7fff
	v_bfe_u32 v13, v1, 16, 1
	v_and_b32_e32 v6, 0xffff0000, v6
	s_delay_alu instid0(VALU_DEP_4) | instskip(NEXT) | instid1(VALU_DEP_4)
	v_lshrrev_b32_e32 v10, 16, v10
	v_lshrrev_b32_e32 v12, 16, v12
	s_delay_alu instid0(VALU_DEP_4) | instskip(NEXT) | instid1(VALU_DEP_4)
	v_add3_u32 v13, v1, v13, 0x7fff
	v_cndmask_b32_e32 v6, 0x7fc00000, v6, vcc_lo
	v_cmp_o_f32_e32 vcc_lo, v9, v9
	s_delay_alu instid0(VALU_DEP_3) | instskip(SKIP_2) | instid1(VALU_DEP_2)
	v_and_b32_e32 v13, 0xffff0000, v13
	v_cndmask_b32_e32 v9, 0x7fc0, v12, vcc_lo
	v_cmp_o_f32_e32 vcc_lo, v1, v1
	v_or_b32_e32 v9, v6, v9
	s_delay_alu instid0(VALU_DEP_4) | instskip(SKIP_2) | instid1(VALU_DEP_1)
	v_cndmask_b32_e32 v1, 0x7fc00000, v13, vcc_lo
	v_cmp_o_f32_e32 vcc_lo, v5, v5
	v_add_co_u32 v5, s3, s14, v7
	v_add_co_ci_u32_e64 v6, s3, s15, v8, s3
	v_cndmask_b32_e32 v10, 0x7fc0, v10, vcc_lo
	v_cmp_le_i64_e32 vcc_lo, s[10:11], v[3:4]
	v_or3_b32 v9, v9, 0, 0
	s_delay_alu instid0(VALU_DEP_3)
	v_or3_b32 v10, 0, v10, v1
	s_or_b32 s2, vcc_lo, s2
	v_add_co_u32 v7, vcc_lo, v7, s13
	v_add_co_ci_u32_e32 v8, vcc_lo, 0, v8, vcc_lo
	v_add_co_u32 v3, vcc_lo, v3, s16
	v_add_co_ci_u32_e32 v4, vcc_lo, 0, v4, vcc_lo
	s_and_b32 s2, exec_lo, s2
	global_store_b64 v[5:6], v[9:10], off
	s_or_b32 s12, s2, s12
	s_delay_alu instid0(SALU_CYCLE_1)
	s_and_not1_b32 exec_lo, exec_lo, s12
	s_cbranch_execz .LBB111_20
.LBB111_4:                              ; =>This Inner Loop Header: Depth=1
	v_add_co_u32 v5, vcc_lo, s6, v7
	v_add_co_ci_u32_e32 v6, vcc_lo, s7, v8, vcc_lo
                                        ; implicit-def: $vgpr12
                                        ; implicit-def: $vgpr11
	s_mov_b32 s3, exec_lo
	global_load_b64 v[5:6], v[5:6], off
	s_waitcnt vmcnt(0)
	v_lshlrev_b32_e32 v9, 16, v5
	s_delay_alu instid0(VALU_DEP_1)
	v_and_b32_e32 v10, 0x7fffffff, v9
	v_cmpx_ngt_f32_e64 0x48000000, |v9|
	s_xor_b32 s20, exec_lo, s3
	s_cbranch_execz .LBB111_6
; %bb.5:                                ;   in Loop: Header=BB111_4 Depth=1
	s_delay_alu instid0(VALU_DEP_2) | instskip(SKIP_1) | instid1(VALU_DEP_2)
	v_lshrrev_b32_e32 v16, 23, v10
	v_and_or_b32 v19, v10, s17, 0x800000
	v_add_nc_u32_e32 v17, 0xffffff88, v16
	s_delay_alu instid0(VALU_DEP_2) | instskip(NEXT) | instid1(VALU_DEP_2)
	v_mad_u64_u32 v[11:12], null, 0xfe5163ab, v19, 0
	v_cmp_lt_u32_e32 vcc_lo, 63, v17
	v_cndmask_b32_e64 v18, 0, 0xffffffc0, vcc_lo
	s_delay_alu instid0(VALU_DEP_1) | instskip(NEXT) | instid1(VALU_DEP_1)
	v_dual_mov_b32 v1, v12 :: v_dual_add_nc_u32 v18, v18, v17
	v_mad_u64_u32 v[12:13], null, 0x3c439041, v19, v[1:2]
	s_delay_alu instid0(VALU_DEP_2) | instskip(NEXT) | instid1(VALU_DEP_1)
	v_cmp_lt_u32_e64 s2, 31, v18
	v_cndmask_b32_e64 v20, 0, 0xffffffe0, s2
	s_delay_alu instid0(VALU_DEP_1) | instskip(NEXT) | instid1(VALU_DEP_1)
	v_dual_mov_b32 v1, v13 :: v_dual_add_nc_u32 v20, v20, v18
	v_mad_u64_u32 v[13:14], null, 0xdb629599, v19, v[1:2]
	s_delay_alu instid0(VALU_DEP_2) | instskip(NEXT) | instid1(VALU_DEP_2)
	v_cmp_lt_u32_e64 s3, 31, v20
	v_mov_b32_e32 v1, v14
	s_delay_alu instid0(VALU_DEP_3) | instskip(NEXT) | instid1(VALU_DEP_2)
	v_cndmask_b32_e32 v11, v13, v11, vcc_lo
	v_mad_u64_u32 v[14:15], null, 0xf534ddc0, v19, v[1:2]
	s_delay_alu instid0(VALU_DEP_1) | instskip(NEXT) | instid1(VALU_DEP_1)
	v_dual_mov_b32 v1, v15 :: v_dual_cndmask_b32 v12, v14, v12
	v_mad_u64_u32 v[15:16], null, 0xfc2757d1, v19, v[1:2]
	s_delay_alu instid0(VALU_DEP_2) | instskip(NEXT) | instid1(VALU_DEP_2)
	v_cndmask_b32_e64 v11, v12, v11, s2
	v_mov_b32_e32 v1, v16
	s_delay_alu instid0(VALU_DEP_1) | instskip(NEXT) | instid1(VALU_DEP_1)
	v_mad_u64_u32 v[16:17], null, 0x4e441529, v19, v[1:2]
	v_mov_b32_e32 v1, v17
	s_delay_alu instid0(VALU_DEP_1) | instskip(SKIP_1) | instid1(VALU_DEP_4)
	v_mad_u64_u32 v[17:18], null, 0xa2f9836e, v19, v[1:2]
	v_cndmask_b32_e64 v1, 0, 0xffffffe0, s3
	v_cndmask_b32_e32 v19, v16, v14, vcc_lo
	s_delay_alu instid0(VALU_DEP_2) | instskip(NEXT) | instid1(VALU_DEP_4)
	v_add_nc_u32_e32 v1, v1, v20
	v_dual_cndmask_b32 v17, v17, v15 :: v_dual_cndmask_b32 v16, v18, v16
	v_cndmask_b32_e32 v15, v15, v13, vcc_lo
	s_delay_alu instid0(VALU_DEP_3) | instskip(NEXT) | instid1(VALU_DEP_3)
	v_sub_nc_u32_e32 v18, 32, v1
	v_cndmask_b32_e64 v14, v17, v19, s2
	s_delay_alu instid0(VALU_DEP_4) | instskip(NEXT) | instid1(VALU_DEP_4)
	v_cndmask_b32_e64 v16, v16, v17, s2
	v_cndmask_b32_e64 v17, v19, v15, s2
	;; [unrolled: 1-line block ×3, first 2 shown]
	v_cmp_eq_u32_e64 s4, 0, v1
	s_delay_alu instid0(VALU_DEP_4) | instskip(NEXT) | instid1(VALU_DEP_4)
	v_cndmask_b32_e64 v16, v16, v14, s3
	v_cndmask_b32_e64 v14, v14, v17, s3
	s_delay_alu instid0(VALU_DEP_4) | instskip(SKIP_1) | instid1(VALU_DEP_3)
	v_cndmask_b32_e64 v17, v17, v15, s3
	v_cndmask_b32_e64 v11, v15, v11, s3
	v_alignbit_b32 v19, v16, v14, v18
	s_delay_alu instid0(VALU_DEP_3) | instskip(NEXT) | instid1(VALU_DEP_3)
	v_alignbit_b32 v20, v14, v17, v18
	v_alignbit_b32 v18, v17, v11, v18
	s_delay_alu instid0(VALU_DEP_3) | instskip(NEXT) | instid1(VALU_DEP_3)
	v_cndmask_b32_e64 v1, v19, v16, s4
	v_cndmask_b32_e64 v13, v20, v14, s4
	s_delay_alu instid0(VALU_DEP_3) | instskip(NEXT) | instid1(VALU_DEP_3)
	v_cndmask_b32_e64 v17, v18, v17, s4
	v_bfe_u32 v14, v1, 29, 1
	s_delay_alu instid0(VALU_DEP_3) | instskip(NEXT) | instid1(VALU_DEP_3)
	v_alignbit_b32 v12, v1, v13, 30
	v_alignbit_b32 v13, v13, v17, 30
	;; [unrolled: 1-line block ×3, first 2 shown]
	s_delay_alu instid0(VALU_DEP_4) | instskip(NEXT) | instid1(VALU_DEP_1)
	v_sub_nc_u32_e32 v16, 0, v14
	v_xor_b32_e32 v15, v12, v16
	v_cmp_ne_u32_e32 vcc_lo, v12, v16
	v_xor_b32_e32 v13, v13, v16
	v_xor_b32_e32 v11, v11, v16
	s_delay_alu instid0(VALU_DEP_4) | instskip(NEXT) | instid1(VALU_DEP_1)
	v_clz_i32_u32_e32 v19, v15
	v_add_nc_u32_e32 v18, 1, v19
	s_delay_alu instid0(VALU_DEP_1) | instskip(NEXT) | instid1(VALU_DEP_1)
	v_cndmask_b32_e32 v12, 33, v18, vcc_lo
	v_sub_nc_u32_e32 v17, 32, v12
	s_delay_alu instid0(VALU_DEP_1) | instskip(SKIP_3) | instid1(VALU_DEP_3)
	v_alignbit_b32 v15, v15, v13, v17
	v_alignbit_b32 v11, v13, v11, v17
	v_lshrrev_b32_e32 v13, 29, v1
	v_lshrrev_b32_e32 v1, 30, v1
	v_alignbit_b32 v16, v15, v11, 9
	s_delay_alu instid0(VALU_DEP_3) | instskip(SKIP_1) | instid1(VALU_DEP_3)
	v_lshlrev_b32_e32 v13, 31, v13
	v_alignbit_b32 v15, v12, v15, 9
	v_clz_i32_u32_e32 v17, v16
	s_delay_alu instid0(VALU_DEP_2) | instskip(SKIP_1) | instid1(VALU_DEP_3)
	v_or_b32_e32 v15, v15, v13
	v_or_b32_e32 v13, 0x33800000, v13
	v_min_u32_e32 v17, 32, v17
	s_delay_alu instid0(VALU_DEP_3) | instskip(NEXT) | instid1(VALU_DEP_2)
	v_xor_b32_e32 v15, 1.0, v15
	v_sub_nc_u32_e32 v18, 31, v17
	v_add_lshl_u32 v12, v17, v12, 23
	s_delay_alu instid0(VALU_DEP_3) | instskip(NEXT) | instid1(VALU_DEP_3)
	v_mul_f32_e32 v17, 0x3fc90fda, v15
	v_alignbit_b32 v11, v16, v11, v18
	s_delay_alu instid0(VALU_DEP_3) | instskip(NEXT) | instid1(VALU_DEP_3)
	v_sub_nc_u32_e32 v12, v13, v12
	v_fma_f32 v13, 0x3fc90fda, v15, -v17
	s_delay_alu instid0(VALU_DEP_3) | instskip(NEXT) | instid1(VALU_DEP_2)
	v_lshrrev_b32_e32 v11, 9, v11
	v_fmac_f32_e32 v13, 0x33a22168, v15
	s_delay_alu instid0(VALU_DEP_2) | instskip(NEXT) | instid1(VALU_DEP_1)
	v_or_b32_e32 v11, v12, v11
	v_dual_fmac_f32 v13, 0x3fc90fda, v11 :: v_dual_add_nc_u32 v12, v14, v1
	s_delay_alu instid0(VALU_DEP_1)
	v_add_f32_e32 v11, v17, v13
.LBB111_6:                              ;   in Loop: Header=BB111_4 Depth=1
	s_and_not1_saveexec_b32 s2, s20
; %bb.7:                                ;   in Loop: Header=BB111_4 Depth=1
	v_mul_f32_e64 v1, 0x3f22f983, |v9|
	s_delay_alu instid0(VALU_DEP_1) | instskip(NEXT) | instid1(VALU_DEP_1)
	v_rndne_f32_e32 v1, v1
	v_fma_f32 v11, 0xbfc90fda, v1, |v9|
	v_cvt_i32_f32_e32 v12, v1
	s_delay_alu instid0(VALU_DEP_2) | instskip(NEXT) | instid1(VALU_DEP_1)
	v_fmac_f32_e32 v11, 0xb3a22168, v1
	v_fmac_f32_e32 v11, 0xa7c234c4, v1
; %bb.8:                                ;   in Loop: Header=BB111_4 Depth=1
	s_or_b32 exec_lo, exec_lo, s2
	v_and_b32_e32 v13, 0xffff0000, v5
                                        ; implicit-def: $vgpr17
                                        ; implicit-def: $vgpr15
	s_mov_b32 s3, exec_lo
	s_delay_alu instid0(VALU_DEP_1)
	v_and_b32_e32 v14, 0x7fffffff, v13
	v_cmpx_ngt_f32_e64 0x48000000, |v13|
	s_xor_b32 s20, exec_lo, s3
	s_cbranch_execz .LBB111_10
; %bb.9:                                ;   in Loop: Header=BB111_4 Depth=1
	s_delay_alu instid0(VALU_DEP_2) | instskip(SKIP_1) | instid1(VALU_DEP_2)
	v_lshrrev_b32_e32 v20, 23, v14
	v_and_or_b32 v23, v14, s17, 0x800000
	v_add_nc_u32_e32 v21, 0xffffff88, v20
	s_delay_alu instid0(VALU_DEP_2) | instskip(NEXT) | instid1(VALU_DEP_2)
	v_mad_u64_u32 v[15:16], null, 0xfe5163ab, v23, 0
	v_cmp_lt_u32_e32 vcc_lo, 63, v21
	v_cndmask_b32_e64 v22, 0, 0xffffffc0, vcc_lo
	s_delay_alu instid0(VALU_DEP_1) | instskip(NEXT) | instid1(VALU_DEP_1)
	v_dual_mov_b32 v1, v16 :: v_dual_add_nc_u32 v22, v22, v21
	v_mad_u64_u32 v[16:17], null, 0x3c439041, v23, v[1:2]
	s_delay_alu instid0(VALU_DEP_2) | instskip(NEXT) | instid1(VALU_DEP_1)
	v_cmp_lt_u32_e64 s2, 31, v22
	v_cndmask_b32_e64 v24, 0, 0xffffffe0, s2
	s_delay_alu instid0(VALU_DEP_1) | instskip(NEXT) | instid1(VALU_DEP_1)
	v_dual_mov_b32 v1, v17 :: v_dual_add_nc_u32 v24, v24, v22
	v_mad_u64_u32 v[17:18], null, 0xdb629599, v23, v[1:2]
	s_delay_alu instid0(VALU_DEP_2) | instskip(NEXT) | instid1(VALU_DEP_2)
	v_cmp_lt_u32_e64 s3, 31, v24
	v_mov_b32_e32 v1, v18
	s_delay_alu instid0(VALU_DEP_3) | instskip(NEXT) | instid1(VALU_DEP_2)
	v_cndmask_b32_e32 v15, v17, v15, vcc_lo
	v_mad_u64_u32 v[18:19], null, 0xf534ddc0, v23, v[1:2]
	s_delay_alu instid0(VALU_DEP_1) | instskip(NEXT) | instid1(VALU_DEP_1)
	v_dual_mov_b32 v1, v19 :: v_dual_cndmask_b32 v16, v18, v16
	v_mad_u64_u32 v[19:20], null, 0xfc2757d1, v23, v[1:2]
	s_delay_alu instid0(VALU_DEP_2) | instskip(NEXT) | instid1(VALU_DEP_2)
	v_cndmask_b32_e64 v15, v16, v15, s2
	v_mov_b32_e32 v1, v20
	s_delay_alu instid0(VALU_DEP_1) | instskip(NEXT) | instid1(VALU_DEP_1)
	v_mad_u64_u32 v[20:21], null, 0x4e441529, v23, v[1:2]
	v_mov_b32_e32 v1, v21
	s_delay_alu instid0(VALU_DEP_1) | instskip(SKIP_1) | instid1(VALU_DEP_4)
	v_mad_u64_u32 v[21:22], null, 0xa2f9836e, v23, v[1:2]
	v_cndmask_b32_e64 v1, 0, 0xffffffe0, s3
	v_cndmask_b32_e32 v23, v20, v18, vcc_lo
	s_delay_alu instid0(VALU_DEP_2) | instskip(NEXT) | instid1(VALU_DEP_4)
	v_add_nc_u32_e32 v1, v1, v24
	v_dual_cndmask_b32 v21, v21, v19 :: v_dual_cndmask_b32 v20, v22, v20
	v_cndmask_b32_e32 v19, v19, v17, vcc_lo
	s_delay_alu instid0(VALU_DEP_3) | instskip(NEXT) | instid1(VALU_DEP_3)
	v_sub_nc_u32_e32 v22, 32, v1
	v_cndmask_b32_e64 v18, v21, v23, s2
	s_delay_alu instid0(VALU_DEP_4) | instskip(NEXT) | instid1(VALU_DEP_4)
	v_cndmask_b32_e64 v20, v20, v21, s2
	v_cndmask_b32_e64 v21, v23, v19, s2
	;; [unrolled: 1-line block ×3, first 2 shown]
	v_cmp_eq_u32_e64 s4, 0, v1
	s_delay_alu instid0(VALU_DEP_4) | instskip(NEXT) | instid1(VALU_DEP_4)
	v_cndmask_b32_e64 v20, v20, v18, s3
	v_cndmask_b32_e64 v18, v18, v21, s3
	s_delay_alu instid0(VALU_DEP_4) | instskip(SKIP_1) | instid1(VALU_DEP_3)
	v_cndmask_b32_e64 v21, v21, v19, s3
	v_cndmask_b32_e64 v15, v19, v15, s3
	v_alignbit_b32 v23, v20, v18, v22
	s_delay_alu instid0(VALU_DEP_3) | instskip(NEXT) | instid1(VALU_DEP_3)
	v_alignbit_b32 v24, v18, v21, v22
	v_alignbit_b32 v22, v21, v15, v22
	s_delay_alu instid0(VALU_DEP_3) | instskip(NEXT) | instid1(VALU_DEP_3)
	v_cndmask_b32_e64 v1, v23, v20, s4
	v_cndmask_b32_e64 v17, v24, v18, s4
	s_delay_alu instid0(VALU_DEP_3) | instskip(NEXT) | instid1(VALU_DEP_3)
	v_cndmask_b32_e64 v21, v22, v21, s4
	v_bfe_u32 v18, v1, 29, 1
	s_delay_alu instid0(VALU_DEP_3) | instskip(NEXT) | instid1(VALU_DEP_3)
	v_alignbit_b32 v16, v1, v17, 30
	v_alignbit_b32 v17, v17, v21, 30
	;; [unrolled: 1-line block ×3, first 2 shown]
	s_delay_alu instid0(VALU_DEP_4) | instskip(NEXT) | instid1(VALU_DEP_1)
	v_sub_nc_u32_e32 v20, 0, v18
	v_xor_b32_e32 v19, v16, v20
	v_cmp_ne_u32_e32 vcc_lo, v16, v20
	v_xor_b32_e32 v17, v17, v20
	v_xor_b32_e32 v15, v15, v20
	s_delay_alu instid0(VALU_DEP_4) | instskip(NEXT) | instid1(VALU_DEP_1)
	v_clz_i32_u32_e32 v23, v19
	v_add_nc_u32_e32 v22, 1, v23
	s_delay_alu instid0(VALU_DEP_1) | instskip(NEXT) | instid1(VALU_DEP_1)
	v_cndmask_b32_e32 v16, 33, v22, vcc_lo
	v_sub_nc_u32_e32 v21, 32, v16
	s_delay_alu instid0(VALU_DEP_1) | instskip(SKIP_3) | instid1(VALU_DEP_3)
	v_alignbit_b32 v19, v19, v17, v21
	v_alignbit_b32 v15, v17, v15, v21
	v_lshrrev_b32_e32 v17, 29, v1
	v_lshrrev_b32_e32 v1, 30, v1
	v_alignbit_b32 v20, v19, v15, 9
	s_delay_alu instid0(VALU_DEP_3) | instskip(SKIP_1) | instid1(VALU_DEP_3)
	v_lshlrev_b32_e32 v17, 31, v17
	v_alignbit_b32 v19, v16, v19, 9
	v_clz_i32_u32_e32 v21, v20
	s_delay_alu instid0(VALU_DEP_2) | instskip(SKIP_1) | instid1(VALU_DEP_3)
	v_or_b32_e32 v19, v19, v17
	v_or_b32_e32 v17, 0x33800000, v17
	v_min_u32_e32 v21, 32, v21
	s_delay_alu instid0(VALU_DEP_3) | instskip(NEXT) | instid1(VALU_DEP_2)
	v_xor_b32_e32 v19, 1.0, v19
	v_sub_nc_u32_e32 v22, 31, v21
	v_add_lshl_u32 v16, v21, v16, 23
	s_delay_alu instid0(VALU_DEP_3) | instskip(NEXT) | instid1(VALU_DEP_3)
	v_mul_f32_e32 v21, 0x3fc90fda, v19
	v_alignbit_b32 v15, v20, v15, v22
	s_delay_alu instid0(VALU_DEP_3) | instskip(NEXT) | instid1(VALU_DEP_3)
	v_sub_nc_u32_e32 v16, v17, v16
	v_fma_f32 v17, 0x3fc90fda, v19, -v21
	s_delay_alu instid0(VALU_DEP_3) | instskip(NEXT) | instid1(VALU_DEP_2)
	v_lshrrev_b32_e32 v15, 9, v15
	v_fmac_f32_e32 v17, 0x33a22168, v19
	s_delay_alu instid0(VALU_DEP_2) | instskip(NEXT) | instid1(VALU_DEP_1)
	v_or_b32_e32 v15, v16, v15
	v_fmac_f32_e32 v17, 0x3fc90fda, v15
	s_delay_alu instid0(VALU_DEP_1)
	v_add_f32_e32 v15, v21, v17
	v_add_nc_u32_e32 v17, v18, v1
.LBB111_10:                             ;   in Loop: Header=BB111_4 Depth=1
	s_and_not1_saveexec_b32 s2, s20
; %bb.11:                               ;   in Loop: Header=BB111_4 Depth=1
	v_mul_f32_e64 v1, 0x3f22f983, |v13|
	s_delay_alu instid0(VALU_DEP_1) | instskip(NEXT) | instid1(VALU_DEP_1)
	v_rndne_f32_e32 v1, v1
	v_fma_f32 v15, 0xbfc90fda, v1, |v13|
	v_cvt_i32_f32_e32 v17, v1
	s_delay_alu instid0(VALU_DEP_2) | instskip(NEXT) | instid1(VALU_DEP_1)
	v_fmac_f32_e32 v15, 0xb3a22168, v1
	v_fmac_f32_e32 v15, 0xa7c234c4, v1
; %bb.12:                               ;   in Loop: Header=BB111_4 Depth=1
	s_or_b32 exec_lo, exec_lo, s2
	v_alignbit_b32 v1, v6, v5, 16
                                        ; implicit-def: $vgpr20
                                        ; implicit-def: $vgpr18
	s_mov_b32 s3, exec_lo
	s_delay_alu instid0(VALU_DEP_1) | instskip(NEXT) | instid1(VALU_DEP_1)
	v_and_b32_e32 v5, 0xffff0000, v1
	v_and_b32_e32 v16, 0x7fffffff, v5
	v_cmpx_ngt_f32_e64 0x48000000, |v5|
	s_xor_b32 s20, exec_lo, s3
	s_cbranch_execz .LBB111_14
; %bb.13:                               ;   in Loop: Header=BB111_4 Depth=1
	s_delay_alu instid0(VALU_DEP_2) | instskip(SKIP_1) | instid1(VALU_DEP_2)
	v_and_or_b32 v26, v16, s17, 0x800000
	v_lshrrev_b32_e32 v23, 23, v16
	v_mad_u64_u32 v[18:19], null, 0xfe5163ab, v26, 0
	s_delay_alu instid0(VALU_DEP_2) | instskip(NEXT) | instid1(VALU_DEP_1)
	v_add_nc_u32_e32 v24, 0xffffff88, v23
	v_cmp_lt_u32_e32 vcc_lo, 63, v24
	s_delay_alu instid0(VALU_DEP_3) | instskip(SKIP_1) | instid1(VALU_DEP_2)
	v_mov_b32_e32 v1, v19
	v_cndmask_b32_e64 v25, 0, 0xffffffc0, vcc_lo
	v_mad_u64_u32 v[19:20], null, 0x3c439041, v26, v[1:2]
	s_delay_alu instid0(VALU_DEP_2) | instskip(NEXT) | instid1(VALU_DEP_2)
	v_add_nc_u32_e32 v25, v25, v24
	v_mov_b32_e32 v1, v20
	s_delay_alu instid0(VALU_DEP_2) | instskip(NEXT) | instid1(VALU_DEP_2)
	v_cmp_lt_u32_e64 s2, 31, v25
	v_mad_u64_u32 v[20:21], null, 0xdb629599, v26, v[1:2]
	s_delay_alu instid0(VALU_DEP_2) | instskip(NEXT) | instid1(VALU_DEP_1)
	v_cndmask_b32_e64 v27, 0, 0xffffffe0, s2
	v_add_nc_u32_e32 v27, v27, v25
	s_delay_alu instid0(VALU_DEP_3) | instskip(NEXT) | instid1(VALU_DEP_2)
	v_dual_mov_b32 v1, v21 :: v_dual_cndmask_b32 v18, v20, v18
	v_cmp_lt_u32_e64 s3, 31, v27
	s_delay_alu instid0(VALU_DEP_2) | instskip(NEXT) | instid1(VALU_DEP_1)
	v_mad_u64_u32 v[21:22], null, 0xf534ddc0, v26, v[1:2]
	v_mov_b32_e32 v1, v22
	s_delay_alu instid0(VALU_DEP_2) | instskip(NEXT) | instid1(VALU_DEP_2)
	v_cndmask_b32_e32 v19, v21, v19, vcc_lo
	v_mad_u64_u32 v[22:23], null, 0xfc2757d1, v26, v[1:2]
	s_delay_alu instid0(VALU_DEP_2) | instskip(NEXT) | instid1(VALU_DEP_2)
	v_cndmask_b32_e64 v18, v19, v18, s2
	v_mov_b32_e32 v1, v23
	s_delay_alu instid0(VALU_DEP_1) | instskip(NEXT) | instid1(VALU_DEP_1)
	v_mad_u64_u32 v[23:24], null, 0x4e441529, v26, v[1:2]
	v_mov_b32_e32 v1, v24
	s_delay_alu instid0(VALU_DEP_1) | instskip(SKIP_1) | instid1(VALU_DEP_1)
	v_mad_u64_u32 v[24:25], null, 0xa2f9836e, v26, v[1:2]
	v_cndmask_b32_e64 v1, 0, 0xffffffe0, s3
	v_dual_cndmask_b32 v26, v23, v21 :: v_dual_add_nc_u32 v1, v1, v27
	s_delay_alu instid0(VALU_DEP_3) | instskip(SKIP_1) | instid1(VALU_DEP_3)
	v_dual_cndmask_b32 v24, v24, v22 :: v_dual_cndmask_b32 v23, v25, v23
	v_cndmask_b32_e32 v22, v22, v20, vcc_lo
	v_sub_nc_u32_e32 v25, 32, v1
	s_delay_alu instid0(VALU_DEP_3) | instskip(NEXT) | instid1(VALU_DEP_4)
	v_cndmask_b32_e64 v21, v24, v26, s2
	v_cndmask_b32_e64 v23, v23, v24, s2
	s_delay_alu instid0(VALU_DEP_4) | instskip(SKIP_2) | instid1(VALU_DEP_4)
	v_cndmask_b32_e64 v24, v26, v22, s2
	v_cndmask_b32_e64 v22, v22, v19, s2
	v_cmp_eq_u32_e64 s4, 0, v1
	v_cndmask_b32_e64 v23, v23, v21, s3
	s_delay_alu instid0(VALU_DEP_4) | instskip(NEXT) | instid1(VALU_DEP_4)
	v_cndmask_b32_e64 v21, v21, v24, s3
	v_cndmask_b32_e64 v24, v24, v22, s3
	v_cndmask_b32_e64 v18, v22, v18, s3
	s_delay_alu instid0(VALU_DEP_3) | instskip(NEXT) | instid1(VALU_DEP_3)
	v_alignbit_b32 v26, v23, v21, v25
	v_alignbit_b32 v27, v21, v24, v25
	s_delay_alu instid0(VALU_DEP_3) | instskip(NEXT) | instid1(VALU_DEP_3)
	v_alignbit_b32 v25, v24, v18, v25
	v_cndmask_b32_e64 v1, v26, v23, s4
	s_delay_alu instid0(VALU_DEP_3) | instskip(NEXT) | instid1(VALU_DEP_3)
	v_cndmask_b32_e64 v20, v27, v21, s4
	v_cndmask_b32_e64 v24, v25, v24, s4
	s_delay_alu instid0(VALU_DEP_3) | instskip(NEXT) | instid1(VALU_DEP_3)
	v_bfe_u32 v21, v1, 29, 1
	v_alignbit_b32 v19, v1, v20, 30
	s_delay_alu instid0(VALU_DEP_3) | instskip(SKIP_1) | instid1(VALU_DEP_4)
	v_alignbit_b32 v20, v20, v24, 30
	v_alignbit_b32 v18, v24, v18, 30
	v_sub_nc_u32_e32 v23, 0, v21
	s_delay_alu instid0(VALU_DEP_1) | instskip(SKIP_3) | instid1(VALU_DEP_4)
	v_xor_b32_e32 v22, v19, v23
	v_cmp_ne_u32_e32 vcc_lo, v19, v23
	v_xor_b32_e32 v20, v20, v23
	v_xor_b32_e32 v18, v18, v23
	v_clz_i32_u32_e32 v26, v22
	s_delay_alu instid0(VALU_DEP_1) | instskip(NEXT) | instid1(VALU_DEP_1)
	v_add_nc_u32_e32 v25, 1, v26
	v_cndmask_b32_e32 v19, 33, v25, vcc_lo
	s_delay_alu instid0(VALU_DEP_1) | instskip(NEXT) | instid1(VALU_DEP_1)
	v_sub_nc_u32_e32 v24, 32, v19
	v_alignbit_b32 v22, v22, v20, v24
	v_alignbit_b32 v18, v20, v18, v24
	v_lshrrev_b32_e32 v20, 29, v1
	v_lshrrev_b32_e32 v1, 30, v1
	s_delay_alu instid0(VALU_DEP_3) | instskip(NEXT) | instid1(VALU_DEP_3)
	v_alignbit_b32 v23, v22, v18, 9
	v_lshlrev_b32_e32 v20, 31, v20
	v_alignbit_b32 v22, v19, v22, 9
	s_delay_alu instid0(VALU_DEP_3) | instskip(NEXT) | instid1(VALU_DEP_2)
	v_clz_i32_u32_e32 v24, v23
	v_or_b32_e32 v22, v22, v20
	v_or_b32_e32 v20, 0x33800000, v20
	s_delay_alu instid0(VALU_DEP_3) | instskip(NEXT) | instid1(VALU_DEP_3)
	v_min_u32_e32 v24, 32, v24
	v_xor_b32_e32 v22, 1.0, v22
	s_delay_alu instid0(VALU_DEP_2) | instskip(SKIP_1) | instid1(VALU_DEP_3)
	v_sub_nc_u32_e32 v25, 31, v24
	v_add_lshl_u32 v19, v24, v19, 23
	v_mul_f32_e32 v24, 0x3fc90fda, v22
	s_delay_alu instid0(VALU_DEP_3) | instskip(NEXT) | instid1(VALU_DEP_3)
	v_alignbit_b32 v18, v23, v18, v25
	v_sub_nc_u32_e32 v19, v20, v19
	s_delay_alu instid0(VALU_DEP_3) | instskip(NEXT) | instid1(VALU_DEP_3)
	v_fma_f32 v20, 0x3fc90fda, v22, -v24
	v_lshrrev_b32_e32 v18, 9, v18
	s_delay_alu instid0(VALU_DEP_2) | instskip(NEXT) | instid1(VALU_DEP_2)
	v_fmac_f32_e32 v20, 0x33a22168, v22
	v_or_b32_e32 v18, v19, v18
	s_delay_alu instid0(VALU_DEP_1) | instskip(NEXT) | instid1(VALU_DEP_1)
	v_fmac_f32_e32 v20, 0x3fc90fda, v18
	v_add_f32_e32 v18, v24, v20
	v_add_nc_u32_e32 v20, v21, v1
.LBB111_14:                             ;   in Loop: Header=BB111_4 Depth=1
	s_and_not1_saveexec_b32 s2, s20
; %bb.15:                               ;   in Loop: Header=BB111_4 Depth=1
	v_mul_f32_e64 v1, 0x3f22f983, |v5|
	s_delay_alu instid0(VALU_DEP_1) | instskip(NEXT) | instid1(VALU_DEP_1)
	v_rndne_f32_e32 v1, v1
	v_fma_f32 v18, 0xbfc90fda, v1, |v5|
	v_cvt_i32_f32_e32 v20, v1
	s_delay_alu instid0(VALU_DEP_2) | instskip(NEXT) | instid1(VALU_DEP_1)
	v_fmac_f32_e32 v18, 0xb3a22168, v1
	v_fmac_f32_e32 v18, 0xa7c234c4, v1
; %bb.16:                               ;   in Loop: Header=BB111_4 Depth=1
	s_or_b32 exec_lo, exec_lo, s2
	v_and_b32_e32 v6, 0xffff0000, v6
                                        ; implicit-def: $vgpr21
                                        ; implicit-def: $vgpr1
	s_mov_b32 s3, exec_lo
	s_delay_alu instid0(VALU_DEP_1)
	v_and_b32_e32 v19, 0x7fffffff, v6
	v_cmpx_ngt_f32_e64 0x48000000, |v6|
	s_xor_b32 s20, exec_lo, s3
	s_cbranch_execz .LBB111_18
; %bb.17:                               ;   in Loop: Header=BB111_4 Depth=1
	s_delay_alu instid0(VALU_DEP_2) | instskip(SKIP_1) | instid1(VALU_DEP_2)
	v_lshrrev_b32_e32 v26, 23, v19
	v_and_or_b32 v29, v19, s17, 0x800000
	v_add_nc_u32_e32 v27, 0xffffff88, v26
	s_delay_alu instid0(VALU_DEP_2) | instskip(NEXT) | instid1(VALU_DEP_2)
	v_mad_u64_u32 v[21:22], null, 0xfe5163ab, v29, 0
	v_cmp_lt_u32_e32 vcc_lo, 63, v27
	v_cndmask_b32_e64 v28, 0, 0xffffffc0, vcc_lo
	s_delay_alu instid0(VALU_DEP_1) | instskip(NEXT) | instid1(VALU_DEP_1)
	v_dual_mov_b32 v1, v22 :: v_dual_add_nc_u32 v28, v28, v27
	v_mad_u64_u32 v[22:23], null, 0x3c439041, v29, v[1:2]
	s_delay_alu instid0(VALU_DEP_2) | instskip(NEXT) | instid1(VALU_DEP_1)
	v_cmp_lt_u32_e64 s2, 31, v28
	v_cndmask_b32_e64 v30, 0, 0xffffffe0, s2
	s_delay_alu instid0(VALU_DEP_1) | instskip(NEXT) | instid1(VALU_DEP_1)
	v_dual_mov_b32 v1, v23 :: v_dual_add_nc_u32 v30, v30, v28
	v_mad_u64_u32 v[23:24], null, 0xdb629599, v29, v[1:2]
	s_delay_alu instid0(VALU_DEP_2) | instskip(NEXT) | instid1(VALU_DEP_2)
	v_cmp_lt_u32_e64 s3, 31, v30
	v_mov_b32_e32 v1, v24
	s_delay_alu instid0(VALU_DEP_3) | instskip(NEXT) | instid1(VALU_DEP_2)
	v_cndmask_b32_e32 v21, v23, v21, vcc_lo
	v_mad_u64_u32 v[24:25], null, 0xf534ddc0, v29, v[1:2]
	s_delay_alu instid0(VALU_DEP_1) | instskip(NEXT) | instid1(VALU_DEP_1)
	v_dual_mov_b32 v1, v25 :: v_dual_cndmask_b32 v22, v24, v22
	v_mad_u64_u32 v[25:26], null, 0xfc2757d1, v29, v[1:2]
	s_delay_alu instid0(VALU_DEP_2) | instskip(NEXT) | instid1(VALU_DEP_2)
	v_cndmask_b32_e64 v21, v22, v21, s2
	v_mov_b32_e32 v1, v26
	s_delay_alu instid0(VALU_DEP_1) | instskip(NEXT) | instid1(VALU_DEP_1)
	v_mad_u64_u32 v[26:27], null, 0x4e441529, v29, v[1:2]
	v_mov_b32_e32 v1, v27
	s_delay_alu instid0(VALU_DEP_1) | instskip(SKIP_1) | instid1(VALU_DEP_4)
	v_mad_u64_u32 v[27:28], null, 0xa2f9836e, v29, v[1:2]
	v_cndmask_b32_e64 v1, 0, 0xffffffe0, s3
	v_cndmask_b32_e32 v29, v26, v24, vcc_lo
	s_delay_alu instid0(VALU_DEP_2) | instskip(NEXT) | instid1(VALU_DEP_4)
	v_add_nc_u32_e32 v1, v1, v30
	v_dual_cndmask_b32 v27, v27, v25 :: v_dual_cndmask_b32 v26, v28, v26
	v_cndmask_b32_e32 v25, v25, v23, vcc_lo
	s_delay_alu instid0(VALU_DEP_3) | instskip(NEXT) | instid1(VALU_DEP_3)
	v_sub_nc_u32_e32 v28, 32, v1
	v_cndmask_b32_e64 v24, v27, v29, s2
	s_delay_alu instid0(VALU_DEP_4) | instskip(NEXT) | instid1(VALU_DEP_4)
	v_cndmask_b32_e64 v26, v26, v27, s2
	v_cndmask_b32_e64 v27, v29, v25, s2
	;; [unrolled: 1-line block ×3, first 2 shown]
	v_cmp_eq_u32_e64 s4, 0, v1
	s_delay_alu instid0(VALU_DEP_4) | instskip(NEXT) | instid1(VALU_DEP_4)
	v_cndmask_b32_e64 v26, v26, v24, s3
	v_cndmask_b32_e64 v24, v24, v27, s3
	s_delay_alu instid0(VALU_DEP_4) | instskip(SKIP_1) | instid1(VALU_DEP_3)
	v_cndmask_b32_e64 v27, v27, v25, s3
	v_cndmask_b32_e64 v21, v25, v21, s3
	v_alignbit_b32 v29, v26, v24, v28
	s_delay_alu instid0(VALU_DEP_3) | instskip(NEXT) | instid1(VALU_DEP_3)
	v_alignbit_b32 v30, v24, v27, v28
	v_alignbit_b32 v28, v27, v21, v28
	s_delay_alu instid0(VALU_DEP_3) | instskip(NEXT) | instid1(VALU_DEP_3)
	v_cndmask_b32_e64 v1, v29, v26, s4
	v_cndmask_b32_e64 v23, v30, v24, s4
	s_delay_alu instid0(VALU_DEP_3) | instskip(NEXT) | instid1(VALU_DEP_3)
	v_cndmask_b32_e64 v27, v28, v27, s4
	v_bfe_u32 v24, v1, 29, 1
	s_delay_alu instid0(VALU_DEP_3) | instskip(NEXT) | instid1(VALU_DEP_3)
	v_alignbit_b32 v22, v1, v23, 30
	v_alignbit_b32 v23, v23, v27, 30
	;; [unrolled: 1-line block ×3, first 2 shown]
	s_delay_alu instid0(VALU_DEP_4) | instskip(NEXT) | instid1(VALU_DEP_1)
	v_sub_nc_u32_e32 v26, 0, v24
	v_xor_b32_e32 v25, v22, v26
	v_cmp_ne_u32_e32 vcc_lo, v22, v26
	v_xor_b32_e32 v23, v23, v26
	v_xor_b32_e32 v21, v21, v26
	s_delay_alu instid0(VALU_DEP_4) | instskip(NEXT) | instid1(VALU_DEP_1)
	v_clz_i32_u32_e32 v29, v25
	v_add_nc_u32_e32 v28, 1, v29
	s_delay_alu instid0(VALU_DEP_1) | instskip(NEXT) | instid1(VALU_DEP_1)
	v_cndmask_b32_e32 v22, 33, v28, vcc_lo
	v_sub_nc_u32_e32 v27, 32, v22
	s_delay_alu instid0(VALU_DEP_1) | instskip(SKIP_2) | instid1(VALU_DEP_2)
	v_alignbit_b32 v25, v25, v23, v27
	v_alignbit_b32 v21, v23, v21, v27
	v_lshrrev_b32_e32 v23, 29, v1
	v_alignbit_b32 v26, v25, v21, 9
	s_delay_alu instid0(VALU_DEP_2) | instskip(SKIP_1) | instid1(VALU_DEP_3)
	v_lshlrev_b32_e32 v23, 31, v23
	v_alignbit_b32 v25, v22, v25, 9
	v_clz_i32_u32_e32 v27, v26
	s_delay_alu instid0(VALU_DEP_2) | instskip(SKIP_1) | instid1(VALU_DEP_3)
	v_or_b32_e32 v25, v25, v23
	v_or_b32_e32 v23, 0x33800000, v23
	v_min_u32_e32 v27, 32, v27
	s_delay_alu instid0(VALU_DEP_3) | instskip(NEXT) | instid1(VALU_DEP_2)
	v_xor_b32_e32 v25, 1.0, v25
	v_sub_nc_u32_e32 v28, 31, v27
	v_add_lshl_u32 v22, v27, v22, 23
	s_delay_alu instid0(VALU_DEP_3) | instskip(NEXT) | instid1(VALU_DEP_3)
	v_mul_f32_e32 v27, 0x3fc90fda, v25
	v_alignbit_b32 v21, v26, v21, v28
	s_delay_alu instid0(VALU_DEP_3) | instskip(NEXT) | instid1(VALU_DEP_3)
	v_sub_nc_u32_e32 v22, v23, v22
	v_fma_f32 v23, 0x3fc90fda, v25, -v27
	s_delay_alu instid0(VALU_DEP_3) | instskip(NEXT) | instid1(VALU_DEP_2)
	v_lshrrev_b32_e32 v21, 9, v21
	v_fmac_f32_e32 v23, 0x33a22168, v25
	s_delay_alu instid0(VALU_DEP_2) | instskip(NEXT) | instid1(VALU_DEP_1)
	v_or_b32_e32 v21, v22, v21
	v_fmac_f32_e32 v23, 0x3fc90fda, v21
	v_lshrrev_b32_e32 v21, 30, v1
	s_delay_alu instid0(VALU_DEP_2) | instskip(NEXT) | instid1(VALU_DEP_2)
	v_add_f32_e32 v1, v27, v23
	v_add_nc_u32_e32 v21, v24, v21
.LBB111_18:                             ;   in Loop: Header=BB111_4 Depth=1
	s_and_not1_saveexec_b32 s2, s20
	s_cbranch_execz .LBB111_3
; %bb.19:                               ;   in Loop: Header=BB111_4 Depth=1
	v_mul_f32_e64 v1, 0x3f22f983, |v6|
	s_delay_alu instid0(VALU_DEP_1) | instskip(NEXT) | instid1(VALU_DEP_1)
	v_rndne_f32_e32 v21, v1
	v_fma_f32 v1, 0xbfc90fda, v21, |v6|
	s_delay_alu instid0(VALU_DEP_1) | instskip(NEXT) | instid1(VALU_DEP_1)
	v_fmac_f32_e32 v1, 0xb3a22168, v21
	v_fmac_f32_e32 v1, 0xa7c234c4, v21
	v_cvt_i32_f32_e32 v21, v21
	s_branch .LBB111_3
.LBB111_20:
	s_or_b32 exec_lo, exec_lo, s5
	s_mov_b32 s2, 0
.LBB111_21:
	s_delay_alu instid0(SALU_CYCLE_1)
	s_and_not1_b32 vcc_lo, exec_lo, s2
	s_cbranch_vccnz .LBB111_57
; %bb.22:
	v_cmp_lt_i64_e64 s2, s[10:11], 1
	s_delay_alu instid0(VALU_DEP_1)
	s_and_b32 vcc_lo, exec_lo, s2
	s_cbranch_vccnz .LBB111_57
; %bb.23:
	s_load_b32 s0, s[0:1], 0xc5c
	v_dual_mov_b32 v2, 0 :: v_dual_lshlrev_b32 v1, 1, v0
	v_cmp_gt_u64_e64 s1, 0x10000, s[10:11]
	s_mov_b32 s18, 0xb94c1982
	s_mov_b32 s19, 0x37d75334
	s_delay_alu instid0(VALU_DEP_2) | instskip(NEXT) | instid1(VALU_DEP_1)
	v_add_co_u32 v3, s2, s6, v1
	v_add_co_ci_u32_e64 v4, null, s7, 0, s2
	v_add_co_u32 v5, s2, s14, v1
	s_delay_alu instid0(VALU_DEP_1)
	v_add_co_ci_u32_e64 v6, null, s15, 0, s2
	s_waitcnt lgkmcnt(0)
	s_and_b32 s0, s0, 0xffff
	s_and_b32 s1, s1, exec_lo
	v_mad_u64_u32 v[9:10], null, s0, 6, v[1:2]
	s_cselect_b32 s13, s11, 0
	s_cselect_b32 s12, s10, 0x10000
	s_lshl_b32 s16, s0, 2
	s_lshl_b32 s1, s0, 1
	v_add_co_u32 v1, s3, s16, v1
	s_delay_alu instid0(VALU_DEP_2) | instskip(NEXT) | instid1(VALU_DEP_3)
	v_add_co_u32 v7, vcc_lo, s6, v9
	v_add_co_ci_u32_e32 v8, vcc_lo, s7, v10, vcc_lo
	v_add_co_u32 v9, vcc_lo, s14, v9
	v_add_co_ci_u32_e64 v17, null, 0, 0, s3
	s_mul_i32 s2, s0, 3
	s_lshl_b32 s17, s0, 3
	v_add_co_u32 v15, s0, v0, s0
	v_add_co_ci_u32_e32 v10, vcc_lo, s15, v10, vcc_lo
	v_add_co_u32 v13, vcc_lo, s6, v1
	v_add_co_ci_u32_e32 v14, vcc_lo, s7, v17, vcc_lo
	v_add_co_u32 v16, vcc_lo, s14, v1
	v_lshlrev_b32_e32 v1, 1, v15
	v_add_co_ci_u32_e64 v18, null, 0, 0, s0
	v_add_co_u32 v19, s0, s1, v0
	s_delay_alu instid0(VALU_DEP_1) | instskip(NEXT) | instid1(VALU_DEP_4)
	v_add_co_ci_u32_e64 v20, null, 0, 0, s0
	v_add_co_u32 v21, s0, s6, v1
	v_add_co_u32 v11, s2, s2, v0
	v_add_co_ci_u32_e64 v22, null, s7, 0, s0
	v_add_co_u32 v23, s0, s14, v1
	v_add_co_ci_u32_e64 v12, null, 0, 0, s2
	v_add_co_ci_u32_e32 v17, vcc_lo, s15, v17, vcc_lo
	v_add_co_ci_u32_e64 v24, null, s15, 0, s0
	s_mov_b64 s[14:15], 0
	s_mov_b32 s7, 0x7fffff
	s_branch .LBB111_25
.LBB111_24:                             ;   in Loop: Header=BB111_25 Depth=1
	s_or_b32 exec_lo, exec_lo, s0
	v_add_co_u32 v3, vcc_lo, v3, s17
	v_add_co_ci_u32_e32 v4, vcc_lo, 0, v4, vcc_lo
	v_add_co_u32 v5, vcc_lo, v5, s17
	v_add_co_ci_u32_e32 v6, vcc_lo, 0, v6, vcc_lo
	;; [unrolled: 2-line block ×5, first 2 shown]
	s_add_u32 s14, s14, s16
	v_add_co_u32 v16, vcc_lo, v16, s17
	s_addc_u32 s15, s15, 0
	v_add_co_ci_u32_e32 v17, vcc_lo, 0, v17, vcc_lo
	v_cmp_ge_i64_e64 s0, s[14:15], s[10:11]
	v_cmp_lt_u64_e64 s1, 0xffff, s[14:15]
	v_add_co_u32 v21, vcc_lo, v21, s17
	v_add_co_ci_u32_e32 v22, vcc_lo, 0, v22, vcc_lo
	v_add_co_u32 v23, vcc_lo, v23, s17
	v_add_co_ci_u32_e32 v24, vcc_lo, 0, v24, vcc_lo
	s_or_b32 s0, s0, s1
	s_delay_alu instid0(SALU_CYCLE_1)
	s_and_b32 vcc_lo, exec_lo, s0
	s_cbranch_vccnz .LBB111_57
.LBB111_25:                             ; =>This Inner Loop Header: Depth=1
	v_add_co_u32 v25, s0, v0, s14
	s_delay_alu instid0(VALU_DEP_1) | instskip(SKIP_1) | instid1(VALU_DEP_2)
	v_add_co_ci_u32_e64 v26, null, 0, s15, s0
	v_mov_b32_e32 v1, 0
	v_cmp_gt_u64_e64 s2, s[12:13], v[25:26]
	s_delay_alu instid0(VALU_DEP_1)
	s_and_saveexec_b32 s0, s2
	s_cbranch_execz .LBB111_27
; %bb.26:                               ;   in Loop: Header=BB111_25 Depth=1
	v_add_co_u32 v25, vcc_lo, v3, s8
	v_add_co_ci_u32_e32 v26, vcc_lo, s9, v4, vcc_lo
	global_load_u16 v1, v[25:26], off
.LBB111_27:                             ;   in Loop: Header=BB111_25 Depth=1
	s_or_b32 exec_lo, exec_lo, s0
	v_add_co_u32 v25, vcc_lo, v15, s14
	v_add_co_ci_u32_e32 v26, vcc_lo, s15, v18, vcc_lo
	v_mov_b32_e32 v27, 0
	s_delay_alu instid0(VALU_DEP_2) | instskip(NEXT) | instid1(VALU_DEP_1)
	v_cmp_gt_u64_e64 s1, s[12:13], v[25:26]
	s_and_saveexec_b32 s0, s1
	s_cbranch_execz .LBB111_29
; %bb.28:                               ;   in Loop: Header=BB111_25 Depth=1
	v_add_co_u32 v25, vcc_lo, v21, s8
	v_add_co_ci_u32_e32 v26, vcc_lo, s9, v22, vcc_lo
	global_load_u16 v27, v[25:26], off
.LBB111_29:                             ;   in Loop: Header=BB111_25 Depth=1
	s_or_b32 exec_lo, exec_lo, s0
	v_add_co_u32 v25, vcc_lo, v19, s14
	v_add_co_ci_u32_e32 v26, vcc_lo, s15, v20, vcc_lo
	v_dual_mov_b32 v31, 0 :: v_dual_mov_b32 v32, 0
	s_delay_alu instid0(VALU_DEP_2) | instskip(NEXT) | instid1(VALU_DEP_1)
	v_cmp_gt_u64_e64 s0, s[12:13], v[25:26]
	s_and_saveexec_b32 s3, s0
	s_cbranch_execz .LBB111_31
; %bb.30:                               ;   in Loop: Header=BB111_25 Depth=1
	v_add_co_u32 v25, vcc_lo, v13, s8
	v_add_co_ci_u32_e32 v26, vcc_lo, s9, v14, vcc_lo
	global_load_u16 v32, v[25:26], off
.LBB111_31:                             ;   in Loop: Header=BB111_25 Depth=1
	s_or_b32 exec_lo, exec_lo, s3
	v_add_co_u32 v25, vcc_lo, v11, s14
	v_add_co_ci_u32_e32 v26, vcc_lo, s15, v12, vcc_lo
	s_delay_alu instid0(VALU_DEP_1)
	v_cmp_gt_u64_e32 vcc_lo, s[12:13], v[25:26]
	s_and_saveexec_b32 s4, vcc_lo
	s_cbranch_execz .LBB111_33
; %bb.32:                               ;   in Loop: Header=BB111_25 Depth=1
	v_add_co_u32 v25, s3, v7, s8
	s_delay_alu instid0(VALU_DEP_1)
	v_add_co_ci_u32_e64 v26, s3, s9, v8, s3
	global_load_u16 v31, v[25:26], off
.LBB111_33:                             ;   in Loop: Header=BB111_25 Depth=1
	s_or_b32 exec_lo, exec_lo, s4
	s_waitcnt vmcnt(0)
	v_lshlrev_b32_e32 v25, 16, v1
                                        ; implicit-def: $vgpr30
                                        ; implicit-def: $vgpr28
	s_mov_b32 s4, exec_lo
	s_delay_alu instid0(VALU_DEP_1)
	v_and_b32_e32 v26, 0x7fffffff, v25
	v_cmpx_ngt_f32_e64 0x48000000, |v25|
	s_xor_b32 s20, exec_lo, s4
	s_cbranch_execz .LBB111_35
; %bb.34:                               ;   in Loop: Header=BB111_25 Depth=1
	s_delay_alu instid0(VALU_DEP_2) | instskip(NEXT) | instid1(VALU_DEP_1)
	v_and_or_b32 v39, v26, s7, 0x800000
	v_mad_u64_u32 v[28:29], null, 0xfe5163ab, v39, 0
	s_delay_alu instid0(VALU_DEP_1) | instskip(NEXT) | instid1(VALU_DEP_1)
	v_mov_b32_e32 v1, v29
	v_mad_u64_u32 v[29:30], null, 0x3c439041, v39, v[1:2]
	s_delay_alu instid0(VALU_DEP_1) | instskip(SKIP_1) | instid1(VALU_DEP_1)
	v_mov_b32_e32 v1, v30
	v_lshrrev_b32_e32 v30, 23, v26
	v_add_nc_u32_e32 v30, 0xffffff88, v30
	s_delay_alu instid0(VALU_DEP_1) | instskip(NEXT) | instid1(VALU_DEP_1)
	v_cmp_lt_u32_e64 s3, 63, v30
	v_cndmask_b32_e64 v37, 0, 0xffffffc0, s3
	s_delay_alu instid0(VALU_DEP_1) | instskip(SKIP_1) | instid1(VALU_DEP_2)
	v_add_nc_u32_e32 v30, v37, v30
	v_mad_u64_u32 v[33:34], null, 0xdb629599, v39, v[1:2]
	v_cmp_lt_u32_e64 s4, 31, v30
	s_delay_alu instid0(VALU_DEP_2) | instskip(NEXT) | instid1(VALU_DEP_2)
	v_mov_b32_e32 v1, v34
	v_cndmask_b32_e64 v38, 0, 0xffffffe0, s4
	s_delay_alu instid0(VALU_DEP_4) | instskip(NEXT) | instid1(VALU_DEP_3)
	v_cndmask_b32_e64 v28, v33, v28, s3
	v_mad_u64_u32 v[34:35], null, 0xf534ddc0, v39, v[1:2]
	s_delay_alu instid0(VALU_DEP_3) | instskip(NEXT) | instid1(VALU_DEP_1)
	v_add_nc_u32_e32 v30, v38, v30
	v_cmp_lt_u32_e64 s5, 31, v30
	s_delay_alu instid0(VALU_DEP_3) | instskip(NEXT) | instid1(VALU_DEP_4)
	v_mov_b32_e32 v1, v35
	v_cndmask_b32_e64 v29, v34, v29, s3
	s_delay_alu instid0(VALU_DEP_2) | instskip(NEXT) | instid1(VALU_DEP_2)
	v_mad_u64_u32 v[35:36], null, 0xfc2757d1, v39, v[1:2]
	v_cndmask_b32_e64 v28, v29, v28, s4
	s_delay_alu instid0(VALU_DEP_2) | instskip(NEXT) | instid1(VALU_DEP_1)
	v_mov_b32_e32 v1, v36
	v_mad_u64_u32 v[36:37], null, 0x4e441529, v39, v[1:2]
	s_delay_alu instid0(VALU_DEP_1) | instskip(NEXT) | instid1(VALU_DEP_1)
	v_mov_b32_e32 v1, v37
	v_mad_u64_u32 v[37:38], null, 0xa2f9836e, v39, v[1:2]
	v_cndmask_b32_e64 v1, 0, 0xffffffe0, s5
	s_delay_alu instid0(VALU_DEP_4) | instskip(NEXT) | instid1(VALU_DEP_2)
	v_cndmask_b32_e64 v39, v36, v34, s3
	v_add_nc_u32_e32 v1, v1, v30
	s_delay_alu instid0(VALU_DEP_4) | instskip(SKIP_2) | instid1(VALU_DEP_4)
	v_cndmask_b32_e64 v37, v37, v35, s3
	v_cndmask_b32_e64 v36, v38, v36, s3
	;; [unrolled: 1-line block ×3, first 2 shown]
	v_cmp_eq_u32_e64 s6, 0, v1
	s_delay_alu instid0(VALU_DEP_4) | instskip(NEXT) | instid1(VALU_DEP_4)
	v_cndmask_b32_e64 v30, v37, v39, s4
	v_cndmask_b32_e64 v34, v36, v37, s4
	s_delay_alu instid0(VALU_DEP_4) | instskip(SKIP_2) | instid1(VALU_DEP_4)
	v_cndmask_b32_e64 v36, v39, v35, s4
	v_sub_nc_u32_e32 v37, 32, v1
	v_cndmask_b32_e64 v35, v35, v29, s4
	v_cndmask_b32_e64 v34, v34, v30, s5
	s_delay_alu instid0(VALU_DEP_4) | instskip(NEXT) | instid1(VALU_DEP_3)
	v_cndmask_b32_e64 v30, v30, v36, s5
	v_cndmask_b32_e64 v36, v36, v35, s5
	;; [unrolled: 1-line block ×3, first 2 shown]
	s_delay_alu instid0(VALU_DEP_3) | instskip(NEXT) | instid1(VALU_DEP_3)
	v_alignbit_b32 v38, v34, v30, v37
	v_alignbit_b32 v39, v30, v36, v37
	s_delay_alu instid0(VALU_DEP_3) | instskip(NEXT) | instid1(VALU_DEP_3)
	v_alignbit_b32 v37, v36, v28, v37
	v_cndmask_b32_e64 v1, v38, v34, s6
	s_delay_alu instid0(VALU_DEP_3) | instskip(NEXT) | instid1(VALU_DEP_3)
	v_cndmask_b32_e64 v30, v39, v30, s6
	v_cndmask_b32_e64 v36, v37, v36, s6
	s_delay_alu instid0(VALU_DEP_3) | instskip(NEXT) | instid1(VALU_DEP_3)
	v_bfe_u32 v33, v1, 29, 1
	v_alignbit_b32 v29, v1, v30, 30
	s_delay_alu instid0(VALU_DEP_3) | instskip(SKIP_1) | instid1(VALU_DEP_4)
	v_alignbit_b32 v30, v30, v36, 30
	v_alignbit_b32 v28, v36, v28, 30
	v_sub_nc_u32_e32 v34, 0, v33
	s_delay_alu instid0(VALU_DEP_1) | instskip(SKIP_3) | instid1(VALU_DEP_4)
	v_xor_b32_e32 v35, v29, v34
	v_cmp_ne_u32_e64 s3, v29, v34
	v_xor_b32_e32 v30, v30, v34
	v_xor_b32_e32 v28, v28, v34
	v_clz_i32_u32_e32 v38, v35
	s_delay_alu instid0(VALU_DEP_1) | instskip(NEXT) | instid1(VALU_DEP_1)
	v_add_nc_u32_e32 v37, 1, v38
	v_cndmask_b32_e64 v29, 33, v37, s3
	s_delay_alu instid0(VALU_DEP_1) | instskip(NEXT) | instid1(VALU_DEP_1)
	v_sub_nc_u32_e32 v36, 32, v29
	v_alignbit_b32 v34, v35, v30, v36
	v_alignbit_b32 v28, v30, v28, v36
	v_lshrrev_b32_e32 v30, 29, v1
	v_lshrrev_b32_e32 v1, 30, v1
	s_delay_alu instid0(VALU_DEP_3) | instskip(NEXT) | instid1(VALU_DEP_3)
	v_alignbit_b32 v35, v34, v28, 9
	v_lshlrev_b32_e32 v30, 31, v30
	v_alignbit_b32 v34, v29, v34, 9
	s_delay_alu instid0(VALU_DEP_3) | instskip(NEXT) | instid1(VALU_DEP_2)
	v_clz_i32_u32_e32 v36, v35
	v_or_b32_e32 v34, v34, v30
	v_or_b32_e32 v30, 0x33800000, v30
	s_delay_alu instid0(VALU_DEP_3) | instskip(NEXT) | instid1(VALU_DEP_3)
	v_min_u32_e32 v36, 32, v36
	v_xor_b32_e32 v34, 1.0, v34
	s_delay_alu instid0(VALU_DEP_2) | instskip(SKIP_1) | instid1(VALU_DEP_3)
	v_sub_nc_u32_e32 v37, 31, v36
	v_add_lshl_u32 v29, v36, v29, 23
	v_mul_f32_e32 v36, 0x3fc90fda, v34
	s_delay_alu instid0(VALU_DEP_3) | instskip(NEXT) | instid1(VALU_DEP_3)
	v_alignbit_b32 v28, v35, v28, v37
	v_sub_nc_u32_e32 v29, v30, v29
	s_delay_alu instid0(VALU_DEP_3) | instskip(NEXT) | instid1(VALU_DEP_3)
	v_fma_f32 v30, 0x3fc90fda, v34, -v36
	v_lshrrev_b32_e32 v28, 9, v28
	s_delay_alu instid0(VALU_DEP_2) | instskip(NEXT) | instid1(VALU_DEP_2)
	v_fmac_f32_e32 v30, 0x33a22168, v34
	v_or_b32_e32 v28, v29, v28
	s_delay_alu instid0(VALU_DEP_1) | instskip(NEXT) | instid1(VALU_DEP_1)
	v_fmac_f32_e32 v30, 0x3fc90fda, v28
	v_add_f32_e32 v28, v36, v30
	v_add_nc_u32_e32 v30, v33, v1
.LBB111_35:                             ;   in Loop: Header=BB111_25 Depth=1
	s_and_not1_saveexec_b32 s3, s20
; %bb.36:                               ;   in Loop: Header=BB111_25 Depth=1
	v_mul_f32_e64 v1, 0x3f22f983, |v25|
	s_delay_alu instid0(VALU_DEP_1) | instskip(NEXT) | instid1(VALU_DEP_1)
	v_rndne_f32_e32 v1, v1
	v_fma_f32 v28, 0xbfc90fda, v1, |v25|
	v_cvt_i32_f32_e32 v30, v1
	s_delay_alu instid0(VALU_DEP_2) | instskip(NEXT) | instid1(VALU_DEP_1)
	v_fmac_f32_e32 v28, 0xb3a22168, v1
	v_fmac_f32_e32 v28, 0xa7c234c4, v1
; %bb.37:                               ;   in Loop: Header=BB111_25 Depth=1
	s_or_b32 exec_lo, exec_lo, s3
	v_lshlrev_b32_e32 v27, 16, v27
                                        ; implicit-def: $vgpr35
                                        ; implicit-def: $vgpr33
	s_mov_b32 s4, exec_lo
	s_delay_alu instid0(VALU_DEP_1)
	v_and_b32_e32 v29, 0x7fffffff, v27
	v_cmpx_ngt_f32_e64 0x48000000, |v27|
	s_xor_b32 s20, exec_lo, s4
	s_cbranch_execz .LBB111_39
; %bb.38:                               ;   in Loop: Header=BB111_25 Depth=1
	s_delay_alu instid0(VALU_DEP_2) | instskip(SKIP_1) | instid1(VALU_DEP_2)
	v_lshrrev_b32_e32 v38, 23, v29
	v_and_or_b32 v41, v29, s7, 0x800000
	v_add_nc_u32_e32 v39, 0xffffff88, v38
	s_delay_alu instid0(VALU_DEP_2) | instskip(NEXT) | instid1(VALU_DEP_2)
	v_mad_u64_u32 v[33:34], null, 0xfe5163ab, v41, 0
	v_cmp_lt_u32_e64 s3, 63, v39
	s_delay_alu instid0(VALU_DEP_1) | instskip(NEXT) | instid1(VALU_DEP_1)
	v_cndmask_b32_e64 v40, 0, 0xffffffc0, s3
	v_dual_mov_b32 v1, v34 :: v_dual_add_nc_u32 v40, v40, v39
	s_delay_alu instid0(VALU_DEP_1) | instskip(NEXT) | instid1(VALU_DEP_2)
	v_mad_u64_u32 v[34:35], null, 0x3c439041, v41, v[1:2]
	v_cmp_lt_u32_e64 s4, 31, v40
	s_delay_alu instid0(VALU_DEP_1) | instskip(NEXT) | instid1(VALU_DEP_1)
	v_cndmask_b32_e64 v42, 0, 0xffffffe0, s4
	v_dual_mov_b32 v1, v35 :: v_dual_add_nc_u32 v42, v42, v40
	s_delay_alu instid0(VALU_DEP_1) | instskip(NEXT) | instid1(VALU_DEP_2)
	v_mad_u64_u32 v[35:36], null, 0xdb629599, v41, v[1:2]
	v_cmp_lt_u32_e64 s5, 31, v42
	s_delay_alu instid0(VALU_DEP_2) | instskip(NEXT) | instid1(VALU_DEP_3)
	v_mov_b32_e32 v1, v36
	v_cndmask_b32_e64 v33, v35, v33, s3
	s_delay_alu instid0(VALU_DEP_2) | instskip(NEXT) | instid1(VALU_DEP_1)
	v_mad_u64_u32 v[36:37], null, 0xf534ddc0, v41, v[1:2]
	v_mov_b32_e32 v1, v37
	s_delay_alu instid0(VALU_DEP_2) | instskip(NEXT) | instid1(VALU_DEP_2)
	v_cndmask_b32_e64 v34, v36, v34, s3
	v_mad_u64_u32 v[37:38], null, 0xfc2757d1, v41, v[1:2]
	s_delay_alu instid0(VALU_DEP_2) | instskip(NEXT) | instid1(VALU_DEP_2)
	v_cndmask_b32_e64 v33, v34, v33, s4
	v_mov_b32_e32 v1, v38
	s_delay_alu instid0(VALU_DEP_1) | instskip(NEXT) | instid1(VALU_DEP_1)
	v_mad_u64_u32 v[38:39], null, 0x4e441529, v41, v[1:2]
	v_mov_b32_e32 v1, v39
	s_delay_alu instid0(VALU_DEP_1) | instskip(SKIP_1) | instid1(VALU_DEP_4)
	v_mad_u64_u32 v[39:40], null, 0xa2f9836e, v41, v[1:2]
	v_cndmask_b32_e64 v1, 0, 0xffffffe0, s5
	v_cndmask_b32_e64 v41, v38, v36, s3
	s_delay_alu instid0(VALU_DEP_2) | instskip(NEXT) | instid1(VALU_DEP_4)
	v_add_nc_u32_e32 v1, v1, v42
	v_cndmask_b32_e64 v39, v39, v37, s3
	v_cndmask_b32_e64 v38, v40, v38, s3
	v_cndmask_b32_e64 v37, v37, v35, s3
	s_delay_alu instid0(VALU_DEP_4) | instskip(NEXT) | instid1(VALU_DEP_4)
	v_sub_nc_u32_e32 v40, 32, v1
	v_cndmask_b32_e64 v36, v39, v41, s4
	s_delay_alu instid0(VALU_DEP_4) | instskip(NEXT) | instid1(VALU_DEP_4)
	v_cndmask_b32_e64 v38, v38, v39, s4
	v_cndmask_b32_e64 v39, v41, v37, s4
	;; [unrolled: 1-line block ×3, first 2 shown]
	v_cmp_eq_u32_e64 s6, 0, v1
	s_delay_alu instid0(VALU_DEP_4) | instskip(NEXT) | instid1(VALU_DEP_4)
	v_cndmask_b32_e64 v38, v38, v36, s5
	v_cndmask_b32_e64 v36, v36, v39, s5
	s_delay_alu instid0(VALU_DEP_4) | instskip(SKIP_1) | instid1(VALU_DEP_3)
	v_cndmask_b32_e64 v39, v39, v37, s5
	v_cndmask_b32_e64 v33, v37, v33, s5
	v_alignbit_b32 v41, v38, v36, v40
	s_delay_alu instid0(VALU_DEP_3) | instskip(NEXT) | instid1(VALU_DEP_3)
	v_alignbit_b32 v42, v36, v39, v40
	v_alignbit_b32 v40, v39, v33, v40
	s_delay_alu instid0(VALU_DEP_3) | instskip(NEXT) | instid1(VALU_DEP_3)
	v_cndmask_b32_e64 v1, v41, v38, s6
	v_cndmask_b32_e64 v35, v42, v36, s6
	s_delay_alu instid0(VALU_DEP_3) | instskip(NEXT) | instid1(VALU_DEP_3)
	v_cndmask_b32_e64 v39, v40, v39, s6
	v_bfe_u32 v36, v1, 29, 1
	s_delay_alu instid0(VALU_DEP_3) | instskip(NEXT) | instid1(VALU_DEP_3)
	v_alignbit_b32 v34, v1, v35, 30
	v_alignbit_b32 v35, v35, v39, 30
	;; [unrolled: 1-line block ×3, first 2 shown]
	s_delay_alu instid0(VALU_DEP_4) | instskip(NEXT) | instid1(VALU_DEP_1)
	v_sub_nc_u32_e32 v38, 0, v36
	v_xor_b32_e32 v37, v34, v38
	v_cmp_ne_u32_e64 s3, v34, v38
	v_xor_b32_e32 v35, v35, v38
	v_xor_b32_e32 v33, v33, v38
	s_delay_alu instid0(VALU_DEP_4) | instskip(NEXT) | instid1(VALU_DEP_1)
	v_clz_i32_u32_e32 v41, v37
	v_add_nc_u32_e32 v40, 1, v41
	s_delay_alu instid0(VALU_DEP_1) | instskip(NEXT) | instid1(VALU_DEP_1)
	v_cndmask_b32_e64 v34, 33, v40, s3
	v_sub_nc_u32_e32 v39, 32, v34
	s_delay_alu instid0(VALU_DEP_1) | instskip(SKIP_3) | instid1(VALU_DEP_3)
	v_alignbit_b32 v37, v37, v35, v39
	v_alignbit_b32 v33, v35, v33, v39
	v_lshrrev_b32_e32 v35, 29, v1
	v_lshrrev_b32_e32 v1, 30, v1
	v_alignbit_b32 v38, v37, v33, 9
	s_delay_alu instid0(VALU_DEP_3) | instskip(SKIP_1) | instid1(VALU_DEP_3)
	v_lshlrev_b32_e32 v35, 31, v35
	v_alignbit_b32 v37, v34, v37, 9
	v_clz_i32_u32_e32 v39, v38
	s_delay_alu instid0(VALU_DEP_2) | instskip(SKIP_1) | instid1(VALU_DEP_3)
	v_or_b32_e32 v37, v37, v35
	v_or_b32_e32 v35, 0x33800000, v35
	v_min_u32_e32 v39, 32, v39
	s_delay_alu instid0(VALU_DEP_3) | instskip(NEXT) | instid1(VALU_DEP_2)
	v_xor_b32_e32 v37, 1.0, v37
	v_sub_nc_u32_e32 v40, 31, v39
	v_add_lshl_u32 v34, v39, v34, 23
	s_delay_alu instid0(VALU_DEP_3) | instskip(NEXT) | instid1(VALU_DEP_3)
	v_mul_f32_e32 v39, 0x3fc90fda, v37
	v_alignbit_b32 v33, v38, v33, v40
	s_delay_alu instid0(VALU_DEP_3) | instskip(NEXT) | instid1(VALU_DEP_3)
	v_sub_nc_u32_e32 v34, v35, v34
	v_fma_f32 v35, 0x3fc90fda, v37, -v39
	s_delay_alu instid0(VALU_DEP_3) | instskip(NEXT) | instid1(VALU_DEP_2)
	v_lshrrev_b32_e32 v33, 9, v33
	v_fmac_f32_e32 v35, 0x33a22168, v37
	s_delay_alu instid0(VALU_DEP_2) | instskip(NEXT) | instid1(VALU_DEP_1)
	v_or_b32_e32 v33, v34, v33
	v_fmac_f32_e32 v35, 0x3fc90fda, v33
	s_delay_alu instid0(VALU_DEP_1)
	v_add_f32_e32 v33, v39, v35
	v_add_nc_u32_e32 v35, v36, v1
.LBB111_39:                             ;   in Loop: Header=BB111_25 Depth=1
	s_and_not1_saveexec_b32 s3, s20
; %bb.40:                               ;   in Loop: Header=BB111_25 Depth=1
	v_mul_f32_e64 v1, 0x3f22f983, |v27|
	s_delay_alu instid0(VALU_DEP_1) | instskip(NEXT) | instid1(VALU_DEP_1)
	v_rndne_f32_e32 v1, v1
	v_fma_f32 v33, 0xbfc90fda, v1, |v27|
	v_cvt_i32_f32_e32 v35, v1
	s_delay_alu instid0(VALU_DEP_2) | instskip(NEXT) | instid1(VALU_DEP_1)
	v_fmac_f32_e32 v33, 0xb3a22168, v1
	v_fmac_f32_e32 v33, 0xa7c234c4, v1
; %bb.41:                               ;   in Loop: Header=BB111_25 Depth=1
	s_or_b32 exec_lo, exec_lo, s3
	v_lshlrev_b32_e32 v32, 16, v32
                                        ; implicit-def: $vgpr38
                                        ; implicit-def: $vgpr36
	s_mov_b32 s4, exec_lo
	s_delay_alu instid0(VALU_DEP_1)
	v_and_b32_e32 v34, 0x7fffffff, v32
	v_cmpx_ngt_f32_e64 0x48000000, |v32|
	s_xor_b32 s20, exec_lo, s4
	s_cbranch_execz .LBB111_43
; %bb.42:                               ;   in Loop: Header=BB111_25 Depth=1
	s_delay_alu instid0(VALU_DEP_2) | instskip(SKIP_1) | instid1(VALU_DEP_2)
	v_and_or_b32 v44, v34, s7, 0x800000
	v_lshrrev_b32_e32 v41, 23, v34
	v_mad_u64_u32 v[36:37], null, 0xfe5163ab, v44, 0
	s_delay_alu instid0(VALU_DEP_2) | instskip(NEXT) | instid1(VALU_DEP_1)
	v_add_nc_u32_e32 v42, 0xffffff88, v41
	v_cmp_lt_u32_e64 s3, 63, v42
	s_delay_alu instid0(VALU_DEP_3) | instskip(NEXT) | instid1(VALU_DEP_2)
	v_mov_b32_e32 v1, v37
	v_cndmask_b32_e64 v43, 0, 0xffffffc0, s3
	s_delay_alu instid0(VALU_DEP_2) | instskip(NEXT) | instid1(VALU_DEP_2)
	v_mad_u64_u32 v[37:38], null, 0x3c439041, v44, v[1:2]
	v_add_nc_u32_e32 v43, v43, v42
	s_delay_alu instid0(VALU_DEP_2) | instskip(NEXT) | instid1(VALU_DEP_2)
	v_mov_b32_e32 v1, v38
	v_cmp_lt_u32_e64 s4, 31, v43
	s_delay_alu instid0(VALU_DEP_2) | instskip(NEXT) | instid1(VALU_DEP_2)
	v_mad_u64_u32 v[38:39], null, 0xdb629599, v44, v[1:2]
	v_cndmask_b32_e64 v45, 0, 0xffffffe0, s4
	s_delay_alu instid0(VALU_DEP_1) | instskip(NEXT) | instid1(VALU_DEP_3)
	v_add_nc_u32_e32 v45, v45, v43
	v_mov_b32_e32 v1, v39
	s_delay_alu instid0(VALU_DEP_4) | instskip(NEXT) | instid1(VALU_DEP_3)
	v_cndmask_b32_e64 v36, v38, v36, s3
	v_cmp_lt_u32_e64 s5, 31, v45
	s_delay_alu instid0(VALU_DEP_3) | instskip(NEXT) | instid1(VALU_DEP_1)
	v_mad_u64_u32 v[39:40], null, 0xf534ddc0, v44, v[1:2]
	v_mov_b32_e32 v1, v40
	s_delay_alu instid0(VALU_DEP_2) | instskip(NEXT) | instid1(VALU_DEP_2)
	v_cndmask_b32_e64 v37, v39, v37, s3
	v_mad_u64_u32 v[40:41], null, 0xfc2757d1, v44, v[1:2]
	s_delay_alu instid0(VALU_DEP_2) | instskip(NEXT) | instid1(VALU_DEP_2)
	v_cndmask_b32_e64 v36, v37, v36, s4
	v_mov_b32_e32 v1, v41
	s_delay_alu instid0(VALU_DEP_1) | instskip(NEXT) | instid1(VALU_DEP_1)
	v_mad_u64_u32 v[41:42], null, 0x4e441529, v44, v[1:2]
	v_mov_b32_e32 v1, v42
	s_delay_alu instid0(VALU_DEP_1) | instskip(SKIP_1) | instid1(VALU_DEP_4)
	v_mad_u64_u32 v[42:43], null, 0xa2f9836e, v44, v[1:2]
	v_cndmask_b32_e64 v1, 0, 0xffffffe0, s5
	v_cndmask_b32_e64 v44, v41, v39, s3
	s_delay_alu instid0(VALU_DEP_2) | instskip(NEXT) | instid1(VALU_DEP_4)
	v_add_nc_u32_e32 v1, v1, v45
	v_cndmask_b32_e64 v42, v42, v40, s3
	v_cndmask_b32_e64 v41, v43, v41, s3
	;; [unrolled: 1-line block ×3, first 2 shown]
	s_delay_alu instid0(VALU_DEP_4) | instskip(NEXT) | instid1(VALU_DEP_4)
	v_sub_nc_u32_e32 v43, 32, v1
	v_cndmask_b32_e64 v39, v42, v44, s4
	s_delay_alu instid0(VALU_DEP_4) | instskip(NEXT) | instid1(VALU_DEP_4)
	v_cndmask_b32_e64 v41, v41, v42, s4
	v_cndmask_b32_e64 v42, v44, v40, s4
	;; [unrolled: 1-line block ×3, first 2 shown]
	v_cmp_eq_u32_e64 s6, 0, v1
	s_delay_alu instid0(VALU_DEP_4) | instskip(NEXT) | instid1(VALU_DEP_4)
	v_cndmask_b32_e64 v41, v41, v39, s5
	v_cndmask_b32_e64 v39, v39, v42, s5
	s_delay_alu instid0(VALU_DEP_4) | instskip(SKIP_1) | instid1(VALU_DEP_3)
	v_cndmask_b32_e64 v42, v42, v40, s5
	v_cndmask_b32_e64 v36, v40, v36, s5
	v_alignbit_b32 v44, v41, v39, v43
	s_delay_alu instid0(VALU_DEP_3) | instskip(NEXT) | instid1(VALU_DEP_3)
	v_alignbit_b32 v45, v39, v42, v43
	v_alignbit_b32 v43, v42, v36, v43
	s_delay_alu instid0(VALU_DEP_3) | instskip(NEXT) | instid1(VALU_DEP_3)
	v_cndmask_b32_e64 v1, v44, v41, s6
	v_cndmask_b32_e64 v38, v45, v39, s6
	s_delay_alu instid0(VALU_DEP_3) | instskip(NEXT) | instid1(VALU_DEP_3)
	v_cndmask_b32_e64 v42, v43, v42, s6
	v_bfe_u32 v39, v1, 29, 1
	s_delay_alu instid0(VALU_DEP_3) | instskip(NEXT) | instid1(VALU_DEP_3)
	v_alignbit_b32 v37, v1, v38, 30
	v_alignbit_b32 v38, v38, v42, 30
	;; [unrolled: 1-line block ×3, first 2 shown]
	s_delay_alu instid0(VALU_DEP_4) | instskip(NEXT) | instid1(VALU_DEP_1)
	v_sub_nc_u32_e32 v41, 0, v39
	v_xor_b32_e32 v40, v37, v41
	v_cmp_ne_u32_e64 s3, v37, v41
	v_xor_b32_e32 v38, v38, v41
	v_xor_b32_e32 v36, v36, v41
	s_delay_alu instid0(VALU_DEP_4) | instskip(NEXT) | instid1(VALU_DEP_1)
	v_clz_i32_u32_e32 v44, v40
	v_add_nc_u32_e32 v43, 1, v44
	s_delay_alu instid0(VALU_DEP_1) | instskip(NEXT) | instid1(VALU_DEP_1)
	v_cndmask_b32_e64 v37, 33, v43, s3
	v_sub_nc_u32_e32 v42, 32, v37
	s_delay_alu instid0(VALU_DEP_1) | instskip(SKIP_3) | instid1(VALU_DEP_3)
	v_alignbit_b32 v40, v40, v38, v42
	v_alignbit_b32 v36, v38, v36, v42
	v_lshrrev_b32_e32 v38, 29, v1
	v_lshrrev_b32_e32 v1, 30, v1
	v_alignbit_b32 v41, v40, v36, 9
	s_delay_alu instid0(VALU_DEP_3) | instskip(SKIP_1) | instid1(VALU_DEP_3)
	v_lshlrev_b32_e32 v38, 31, v38
	v_alignbit_b32 v40, v37, v40, 9
	v_clz_i32_u32_e32 v42, v41
	s_delay_alu instid0(VALU_DEP_2) | instskip(SKIP_1) | instid1(VALU_DEP_3)
	v_or_b32_e32 v40, v40, v38
	v_or_b32_e32 v38, 0x33800000, v38
	v_min_u32_e32 v42, 32, v42
	s_delay_alu instid0(VALU_DEP_3) | instskip(NEXT) | instid1(VALU_DEP_2)
	v_xor_b32_e32 v40, 1.0, v40
	v_sub_nc_u32_e32 v43, 31, v42
	v_add_lshl_u32 v37, v42, v37, 23
	s_delay_alu instid0(VALU_DEP_3) | instskip(NEXT) | instid1(VALU_DEP_3)
	v_mul_f32_e32 v42, 0x3fc90fda, v40
	v_alignbit_b32 v36, v41, v36, v43
	s_delay_alu instid0(VALU_DEP_3) | instskip(NEXT) | instid1(VALU_DEP_3)
	v_sub_nc_u32_e32 v37, v38, v37
	v_fma_f32 v38, 0x3fc90fda, v40, -v42
	s_delay_alu instid0(VALU_DEP_3) | instskip(NEXT) | instid1(VALU_DEP_2)
	v_lshrrev_b32_e32 v36, 9, v36
	v_fmac_f32_e32 v38, 0x33a22168, v40
	s_delay_alu instid0(VALU_DEP_2) | instskip(NEXT) | instid1(VALU_DEP_1)
	v_or_b32_e32 v36, v37, v36
	v_fmac_f32_e32 v38, 0x3fc90fda, v36
	s_delay_alu instid0(VALU_DEP_1)
	v_add_f32_e32 v36, v42, v38
	v_add_nc_u32_e32 v38, v39, v1
.LBB111_43:                             ;   in Loop: Header=BB111_25 Depth=1
	s_and_not1_saveexec_b32 s3, s20
; %bb.44:                               ;   in Loop: Header=BB111_25 Depth=1
	v_mul_f32_e64 v1, 0x3f22f983, |v32|
	s_delay_alu instid0(VALU_DEP_1) | instskip(NEXT) | instid1(VALU_DEP_1)
	v_rndne_f32_e32 v1, v1
	v_fma_f32 v36, 0xbfc90fda, v1, |v32|
	v_cvt_i32_f32_e32 v38, v1
	s_delay_alu instid0(VALU_DEP_2) | instskip(NEXT) | instid1(VALU_DEP_1)
	v_fmac_f32_e32 v36, 0xb3a22168, v1
	v_fmac_f32_e32 v36, 0xa7c234c4, v1
; %bb.45:                               ;   in Loop: Header=BB111_25 Depth=1
	s_or_b32 exec_lo, exec_lo, s3
	v_lshlrev_b32_e32 v31, 16, v31
                                        ; implicit-def: $vgpr39
                                        ; implicit-def: $vgpr1
	s_mov_b32 s4, exec_lo
	s_delay_alu instid0(VALU_DEP_1)
	v_and_b32_e32 v37, 0x7fffffff, v31
	v_cmpx_ngt_f32_e64 0x48000000, |v31|
	s_xor_b32 s20, exec_lo, s4
	s_cbranch_execnz .LBB111_51
; %bb.46:                               ;   in Loop: Header=BB111_25 Depth=1
	s_and_not1_saveexec_b32 s3, s20
	s_cbranch_execnz .LBB111_52
.LBB111_47:                             ;   in Loop: Header=BB111_25 Depth=1
	s_or_b32 exec_lo, exec_lo, s3
	s_and_saveexec_b32 s3, s2
	s_delay_alu instid0(SALU_CYCLE_1)
	s_xor_b32 s3, exec_lo, s3
	s_cbranch_execnz .LBB111_53
.LBB111_48:                             ;   in Loop: Header=BB111_25 Depth=1
	s_or_b32 exec_lo, exec_lo, s3
	s_and_saveexec_b32 s2, s1
	s_cbranch_execnz .LBB111_54
.LBB111_49:                             ;   in Loop: Header=BB111_25 Depth=1
	s_or_b32 exec_lo, exec_lo, s2
	s_and_saveexec_b32 s1, s0
	s_cbranch_execnz .LBB111_55
.LBB111_50:                             ;   in Loop: Header=BB111_25 Depth=1
	s_or_b32 exec_lo, exec_lo, s1
	s_and_saveexec_b32 s0, vcc_lo
	s_cbranch_execz .LBB111_24
	s_branch .LBB111_56
.LBB111_51:                             ;   in Loop: Header=BB111_25 Depth=1
	s_delay_alu instid0(VALU_DEP_2) | instskip(SKIP_1) | instid1(VALU_DEP_2)
	v_lshrrev_b32_e32 v44, 23, v37
	v_and_or_b32 v47, v37, s7, 0x800000
	v_add_nc_u32_e32 v45, 0xffffff88, v44
	s_delay_alu instid0(VALU_DEP_2) | instskip(NEXT) | instid1(VALU_DEP_2)
	v_mad_u64_u32 v[39:40], null, 0xfe5163ab, v47, 0
	v_cmp_lt_u32_e64 s3, 63, v45
	s_delay_alu instid0(VALU_DEP_1) | instskip(NEXT) | instid1(VALU_DEP_1)
	v_cndmask_b32_e64 v46, 0, 0xffffffc0, s3
	v_dual_mov_b32 v1, v40 :: v_dual_add_nc_u32 v46, v46, v45
	s_delay_alu instid0(VALU_DEP_1) | instskip(NEXT) | instid1(VALU_DEP_2)
	v_mad_u64_u32 v[40:41], null, 0x3c439041, v47, v[1:2]
	v_cmp_lt_u32_e64 s4, 31, v46
	s_delay_alu instid0(VALU_DEP_1) | instskip(NEXT) | instid1(VALU_DEP_1)
	v_cndmask_b32_e64 v48, 0, 0xffffffe0, s4
	v_dual_mov_b32 v1, v41 :: v_dual_add_nc_u32 v48, v48, v46
	s_delay_alu instid0(VALU_DEP_1) | instskip(NEXT) | instid1(VALU_DEP_2)
	v_mad_u64_u32 v[41:42], null, 0xdb629599, v47, v[1:2]
	v_cmp_lt_u32_e64 s5, 31, v48
	s_delay_alu instid0(VALU_DEP_2) | instskip(NEXT) | instid1(VALU_DEP_3)
	v_mov_b32_e32 v1, v42
	v_cndmask_b32_e64 v39, v41, v39, s3
	s_delay_alu instid0(VALU_DEP_2) | instskip(NEXT) | instid1(VALU_DEP_1)
	v_mad_u64_u32 v[42:43], null, 0xf534ddc0, v47, v[1:2]
	v_mov_b32_e32 v1, v43
	s_delay_alu instid0(VALU_DEP_2) | instskip(NEXT) | instid1(VALU_DEP_2)
	v_cndmask_b32_e64 v40, v42, v40, s3
	v_mad_u64_u32 v[43:44], null, 0xfc2757d1, v47, v[1:2]
	s_delay_alu instid0(VALU_DEP_2) | instskip(NEXT) | instid1(VALU_DEP_2)
	v_cndmask_b32_e64 v39, v40, v39, s4
	v_mov_b32_e32 v1, v44
	s_delay_alu instid0(VALU_DEP_1) | instskip(NEXT) | instid1(VALU_DEP_1)
	v_mad_u64_u32 v[44:45], null, 0x4e441529, v47, v[1:2]
	v_mov_b32_e32 v1, v45
	s_delay_alu instid0(VALU_DEP_1) | instskip(SKIP_1) | instid1(VALU_DEP_4)
	v_mad_u64_u32 v[45:46], null, 0xa2f9836e, v47, v[1:2]
	v_cndmask_b32_e64 v1, 0, 0xffffffe0, s5
	v_cndmask_b32_e64 v47, v44, v42, s3
	s_delay_alu instid0(VALU_DEP_2) | instskip(NEXT) | instid1(VALU_DEP_4)
	v_add_nc_u32_e32 v1, v1, v48
	v_cndmask_b32_e64 v45, v45, v43, s3
	v_cndmask_b32_e64 v44, v46, v44, s3
	;; [unrolled: 1-line block ×3, first 2 shown]
	s_delay_alu instid0(VALU_DEP_4) | instskip(NEXT) | instid1(VALU_DEP_4)
	v_sub_nc_u32_e32 v46, 32, v1
	v_cndmask_b32_e64 v42, v45, v47, s4
	s_delay_alu instid0(VALU_DEP_4) | instskip(NEXT) | instid1(VALU_DEP_4)
	v_cndmask_b32_e64 v44, v44, v45, s4
	v_cndmask_b32_e64 v45, v47, v43, s4
	;; [unrolled: 1-line block ×3, first 2 shown]
	v_cmp_eq_u32_e64 s6, 0, v1
	s_delay_alu instid0(VALU_DEP_4) | instskip(NEXT) | instid1(VALU_DEP_4)
	v_cndmask_b32_e64 v44, v44, v42, s5
	v_cndmask_b32_e64 v42, v42, v45, s5
	s_delay_alu instid0(VALU_DEP_4) | instskip(SKIP_1) | instid1(VALU_DEP_3)
	v_cndmask_b32_e64 v45, v45, v43, s5
	v_cndmask_b32_e64 v39, v43, v39, s5
	v_alignbit_b32 v47, v44, v42, v46
	s_delay_alu instid0(VALU_DEP_3) | instskip(NEXT) | instid1(VALU_DEP_3)
	v_alignbit_b32 v48, v42, v45, v46
	v_alignbit_b32 v46, v45, v39, v46
	s_delay_alu instid0(VALU_DEP_3) | instskip(NEXT) | instid1(VALU_DEP_3)
	v_cndmask_b32_e64 v1, v47, v44, s6
	v_cndmask_b32_e64 v41, v48, v42, s6
	s_delay_alu instid0(VALU_DEP_3) | instskip(NEXT) | instid1(VALU_DEP_3)
	v_cndmask_b32_e64 v45, v46, v45, s6
	v_bfe_u32 v42, v1, 29, 1
	s_delay_alu instid0(VALU_DEP_3) | instskip(NEXT) | instid1(VALU_DEP_3)
	v_alignbit_b32 v40, v1, v41, 30
	v_alignbit_b32 v41, v41, v45, 30
	;; [unrolled: 1-line block ×3, first 2 shown]
	s_delay_alu instid0(VALU_DEP_4) | instskip(NEXT) | instid1(VALU_DEP_1)
	v_sub_nc_u32_e32 v44, 0, v42
	v_xor_b32_e32 v43, v40, v44
	v_cmp_ne_u32_e64 s3, v40, v44
	v_xor_b32_e32 v41, v41, v44
	v_xor_b32_e32 v39, v39, v44
	s_delay_alu instid0(VALU_DEP_4) | instskip(NEXT) | instid1(VALU_DEP_1)
	v_clz_i32_u32_e32 v47, v43
	v_add_nc_u32_e32 v46, 1, v47
	s_delay_alu instid0(VALU_DEP_1) | instskip(NEXT) | instid1(VALU_DEP_1)
	v_cndmask_b32_e64 v40, 33, v46, s3
	v_sub_nc_u32_e32 v45, 32, v40
	s_delay_alu instid0(VALU_DEP_1) | instskip(SKIP_2) | instid1(VALU_DEP_2)
	v_alignbit_b32 v43, v43, v41, v45
	v_alignbit_b32 v39, v41, v39, v45
	v_lshrrev_b32_e32 v41, 29, v1
	v_alignbit_b32 v44, v43, v39, 9
	s_delay_alu instid0(VALU_DEP_2) | instskip(SKIP_1) | instid1(VALU_DEP_3)
	v_lshlrev_b32_e32 v41, 31, v41
	v_alignbit_b32 v43, v40, v43, 9
	v_clz_i32_u32_e32 v45, v44
	s_delay_alu instid0(VALU_DEP_2) | instskip(SKIP_1) | instid1(VALU_DEP_3)
	v_or_b32_e32 v43, v43, v41
	v_or_b32_e32 v41, 0x33800000, v41
	v_min_u32_e32 v45, 32, v45
	s_delay_alu instid0(VALU_DEP_3) | instskip(NEXT) | instid1(VALU_DEP_2)
	v_xor_b32_e32 v43, 1.0, v43
	v_sub_nc_u32_e32 v46, 31, v45
	v_add_lshl_u32 v40, v45, v40, 23
	s_delay_alu instid0(VALU_DEP_3) | instskip(NEXT) | instid1(VALU_DEP_3)
	v_mul_f32_e32 v45, 0x3fc90fda, v43
	v_alignbit_b32 v39, v44, v39, v46
	s_delay_alu instid0(VALU_DEP_3) | instskip(NEXT) | instid1(VALU_DEP_3)
	v_sub_nc_u32_e32 v40, v41, v40
	v_fma_f32 v41, 0x3fc90fda, v43, -v45
	s_delay_alu instid0(VALU_DEP_3) | instskip(NEXT) | instid1(VALU_DEP_2)
	v_lshrrev_b32_e32 v39, 9, v39
	v_fmac_f32_e32 v41, 0x33a22168, v43
	s_delay_alu instid0(VALU_DEP_2) | instskip(NEXT) | instid1(VALU_DEP_1)
	v_or_b32_e32 v39, v40, v39
	v_fmac_f32_e32 v41, 0x3fc90fda, v39
	v_lshrrev_b32_e32 v39, 30, v1
	s_delay_alu instid0(VALU_DEP_2) | instskip(NEXT) | instid1(VALU_DEP_2)
	v_add_f32_e32 v1, v45, v41
	v_add_nc_u32_e32 v39, v42, v39
	s_and_not1_saveexec_b32 s3, s20
	s_cbranch_execz .LBB111_47
.LBB111_52:                             ;   in Loop: Header=BB111_25 Depth=1
	v_mul_f32_e64 v1, 0x3f22f983, |v31|
	s_delay_alu instid0(VALU_DEP_1) | instskip(NEXT) | instid1(VALU_DEP_1)
	v_rndne_f32_e32 v39, v1
	v_fma_f32 v1, 0xbfc90fda, v39, |v31|
	s_delay_alu instid0(VALU_DEP_1) | instskip(NEXT) | instid1(VALU_DEP_1)
	v_fmac_f32_e32 v1, 0xb3a22168, v39
	v_fmac_f32_e32 v1, 0xa7c234c4, v39
	v_cvt_i32_f32_e32 v39, v39
	s_or_b32 exec_lo, exec_lo, s3
	s_and_saveexec_b32 s3, s2
	s_delay_alu instid0(SALU_CYCLE_1)
	s_xor_b32 s3, exec_lo, s3
	s_cbranch_execz .LBB111_48
.LBB111_53:                             ;   in Loop: Header=BB111_25 Depth=1
	v_dual_mul_f32 v40, v28, v28 :: v_dual_lshlrev_b32 v43, 30, v30
	s_delay_alu instid0(VALU_DEP_1) | instskip(NEXT) | instid1(VALU_DEP_1)
	v_dual_fmaak_f32 v41, s18, v40, 0x3c0881c4 :: v_dual_and_b32 v30, 1, v30
	v_cmp_eq_u32_e64 s2, 0, v30
	s_delay_alu instid0(VALU_DEP_2) | instskip(NEXT) | instid1(VALU_DEP_1)
	v_fmaak_f32 v41, v40, v41, 0xbe2aaa9d
	v_dual_fmaak_f32 v42, s19, v40, 0xbab64f3b :: v_dual_mul_f32 v41, v40, v41
	s_delay_alu instid0(VALU_DEP_1) | instskip(NEXT) | instid1(VALU_DEP_2)
	v_fmaak_f32 v42, v40, v42, 0x3d2aabf7
	v_dual_fmac_f32 v28, v28, v41 :: v_dual_and_b32 v43, 0x80000000, v43
	s_delay_alu instid0(VALU_DEP_2) | instskip(NEXT) | instid1(VALU_DEP_2)
	v_fmaak_f32 v42, v40, v42, 0xbf000004
	v_xor_b32_e32 v26, v26, v43
	s_delay_alu instid0(VALU_DEP_2) | instskip(NEXT) | instid1(VALU_DEP_1)
	v_fma_f32 v40, v40, v42, 1.0
	v_cndmask_b32_e64 v28, v40, v28, s2
	v_cmp_class_f32_e64 s2, v25, 0x1f8
	s_delay_alu instid0(VALU_DEP_2) | instskip(NEXT) | instid1(VALU_DEP_1)
	v_xor3_b32 v26, v26, v28, v25
	v_cndmask_b32_e64 v25, 0x7fc00000, v26, s2
	s_delay_alu instid0(VALU_DEP_1) | instskip(SKIP_1) | instid1(VALU_DEP_2)
	v_bfe_u32 v26, v25, 16, 1
	v_cmp_o_f32_e64 s2, v25, v25
	v_add3_u32 v26, v25, v26, 0x7fff
	s_delay_alu instid0(VALU_DEP_1) | instskip(NEXT) | instid1(VALU_DEP_1)
	v_lshrrev_b32_e32 v26, 16, v26
	v_cndmask_b32_e64 v28, 0x7fc0, v26, s2
	v_add_co_u32 v25, s2, v5, s8
	s_delay_alu instid0(VALU_DEP_1)
	v_add_co_ci_u32_e64 v26, s2, s9, v6, s2
	global_store_b16 v[25:26], v28, off
	s_or_b32 exec_lo, exec_lo, s3
	s_and_saveexec_b32 s2, s1
	s_cbranch_execz .LBB111_49
.LBB111_54:                             ;   in Loop: Header=BB111_25 Depth=1
	v_dual_mul_f32 v25, v33, v33 :: v_dual_lshlrev_b32 v30, 30, v35
	s_delay_alu instid0(VALU_DEP_1) | instskip(NEXT) | instid1(VALU_DEP_2)
	v_dual_fmaak_f32 v26, s18, v25, 0x3c0881c4 :: v_dual_and_b32 v35, 1, v35
	v_and_b32_e32 v30, 0x80000000, v30
	s_delay_alu instid0(VALU_DEP_2) | instskip(NEXT) | instid1(VALU_DEP_3)
	v_cmp_eq_u32_e64 s1, 0, v35
	v_fmaak_f32 v26, v25, v26, 0xbe2aaa9d
	s_delay_alu instid0(VALU_DEP_1) | instskip(NEXT) | instid1(VALU_DEP_1)
	v_mul_f32_e32 v26, v25, v26
	v_dual_fmaak_f32 v28, s19, v25, 0xbab64f3b :: v_dual_fmac_f32 v33, v33, v26
	s_delay_alu instid0(VALU_DEP_1) | instskip(SKIP_1) | instid1(VALU_DEP_2)
	v_fmaak_f32 v28, v25, v28, 0x3d2aabf7
	v_xor_b32_e32 v26, v29, v30
	v_fmaak_f32 v28, v25, v28, 0xbf000004
	s_delay_alu instid0(VALU_DEP_1) | instskip(NEXT) | instid1(VALU_DEP_1)
	v_fma_f32 v25, v25, v28, 1.0
	v_cndmask_b32_e64 v25, v25, v33, s1
	v_cmp_class_f32_e64 s1, v27, 0x1f8
	s_delay_alu instid0(VALU_DEP_2) | instskip(NEXT) | instid1(VALU_DEP_1)
	v_xor3_b32 v25, v26, v25, v27
	v_cndmask_b32_e64 v25, 0x7fc00000, v25, s1
	s_delay_alu instid0(VALU_DEP_1) | instskip(SKIP_1) | instid1(VALU_DEP_2)
	v_bfe_u32 v26, v25, 16, 1
	v_cmp_o_f32_e64 s1, v25, v25
	v_add3_u32 v26, v25, v26, 0x7fff
	s_delay_alu instid0(VALU_DEP_1) | instskip(NEXT) | instid1(VALU_DEP_1)
	v_lshrrev_b32_e32 v26, 16, v26
	v_cndmask_b32_e64 v27, 0x7fc0, v26, s1
	v_add_co_u32 v25, s1, v23, s8
	s_delay_alu instid0(VALU_DEP_1)
	v_add_co_ci_u32_e64 v26, s1, s9, v24, s1
	global_store_b16 v[25:26], v27, off
	s_or_b32 exec_lo, exec_lo, s2
	s_and_saveexec_b32 s1, s0
	s_cbranch_execz .LBB111_50
.LBB111_55:                             ;   in Loop: Header=BB111_25 Depth=1
	v_dual_mul_f32 v25, v36, v36 :: v_dual_lshlrev_b32 v28, 30, v38
	s_delay_alu instid0(VALU_DEP_1) | instskip(NEXT) | instid1(VALU_DEP_2)
	v_dual_fmaak_f32 v26, s18, v25, 0x3c0881c4 :: v_dual_and_b32 v29, 1, v38
	v_and_b32_e32 v28, 0x80000000, v28
	s_delay_alu instid0(VALU_DEP_2) | instskip(NEXT) | instid1(VALU_DEP_3)
	v_cmp_eq_u32_e64 s0, 0, v29
	v_fmaak_f32 v26, v25, v26, 0xbe2aaa9d
	s_delay_alu instid0(VALU_DEP_1) | instskip(NEXT) | instid1(VALU_DEP_1)
	v_dual_fmaak_f32 v27, s19, v25, 0xbab64f3b :: v_dual_mul_f32 v26, v25, v26
	v_dual_fmaak_f32 v27, v25, v27, 0x3d2aabf7 :: v_dual_fmac_f32 v36, v36, v26
	s_delay_alu instid0(VALU_DEP_1) | instskip(SKIP_1) | instid1(VALU_DEP_2)
	v_fmaak_f32 v27, v25, v27, 0xbf000004
	v_xor_b32_e32 v26, v34, v28
	v_fma_f32 v25, v25, v27, 1.0
	s_delay_alu instid0(VALU_DEP_1) | instskip(SKIP_1) | instid1(VALU_DEP_2)
	v_cndmask_b32_e64 v25, v25, v36, s0
	v_cmp_class_f32_e64 s0, v32, 0x1f8
	v_xor3_b32 v25, v26, v25, v32
	s_delay_alu instid0(VALU_DEP_1) | instskip(NEXT) | instid1(VALU_DEP_1)
	v_cndmask_b32_e64 v25, 0x7fc00000, v25, s0
	v_bfe_u32 v26, v25, 16, 1
	v_cmp_o_f32_e64 s0, v25, v25
	s_delay_alu instid0(VALU_DEP_2) | instskip(NEXT) | instid1(VALU_DEP_1)
	v_add3_u32 v26, v25, v26, 0x7fff
	v_lshrrev_b32_e32 v26, 16, v26
	s_delay_alu instid0(VALU_DEP_1) | instskip(SKIP_1) | instid1(VALU_DEP_1)
	v_cndmask_b32_e64 v27, 0x7fc0, v26, s0
	v_add_co_u32 v25, s0, v16, s8
	v_add_co_ci_u32_e64 v26, s0, s9, v17, s0
	global_store_b16 v[25:26], v27, off
	s_or_b32 exec_lo, exec_lo, s1
	s_and_saveexec_b32 s0, vcc_lo
	s_cbranch_execz .LBB111_24
.LBB111_56:                             ;   in Loop: Header=BB111_25 Depth=1
	v_dual_mul_f32 v25, v1, v1 :: v_dual_lshlrev_b32 v28, 30, v39
	s_delay_alu instid0(VALU_DEP_1) | instskip(NEXT) | instid1(VALU_DEP_1)
	v_dual_fmaak_f32 v26, s18, v25, 0x3c0881c4 :: v_dual_and_b32 v29, 1, v39
	v_cmp_eq_u32_e32 vcc_lo, 0, v29
	s_delay_alu instid0(VALU_DEP_2) | instskip(NEXT) | instid1(VALU_DEP_1)
	v_fmaak_f32 v26, v25, v26, 0xbe2aaa9d
	v_dual_fmaak_f32 v27, s19, v25, 0xbab64f3b :: v_dual_mul_f32 v26, v25, v26
	s_delay_alu instid0(VALU_DEP_1) | instskip(NEXT) | instid1(VALU_DEP_2)
	v_fmaak_f32 v27, v25, v27, 0x3d2aabf7
	v_dual_fmac_f32 v1, v1, v26 :: v_dual_and_b32 v28, 0x80000000, v28
	s_delay_alu instid0(VALU_DEP_2) | instskip(NEXT) | instid1(VALU_DEP_2)
	v_fmaak_f32 v27, v25, v27, 0xbf000004
	v_xor_b32_e32 v26, v37, v28
	s_delay_alu instid0(VALU_DEP_2) | instskip(NEXT) | instid1(VALU_DEP_1)
	v_fma_f32 v25, v25, v27, 1.0
	v_cndmask_b32_e32 v1, v25, v1, vcc_lo
	v_cmp_class_f32_e64 vcc_lo, v31, 0x1f8
	s_delay_alu instid0(VALU_DEP_2) | instskip(NEXT) | instid1(VALU_DEP_1)
	v_xor3_b32 v1, v26, v1, v31
	v_cndmask_b32_e32 v1, 0x7fc00000, v1, vcc_lo
	s_delay_alu instid0(VALU_DEP_1) | instskip(SKIP_1) | instid1(VALU_DEP_2)
	v_bfe_u32 v25, v1, 16, 1
	v_cmp_o_f32_e32 vcc_lo, v1, v1
	v_add3_u32 v25, v1, v25, 0x7fff
	s_delay_alu instid0(VALU_DEP_1) | instskip(NEXT) | instid1(VALU_DEP_1)
	v_lshrrev_b32_e32 v25, 16, v25
	v_cndmask_b32_e32 v1, 0x7fc0, v25, vcc_lo
	v_add_co_u32 v25, vcc_lo, v9, s8
	v_add_co_ci_u32_e32 v26, vcc_lo, s9, v10, vcc_lo
	global_store_b16 v[25:26], v1, off
	s_branch .LBB111_24
.LBB111_57:
	s_nop 0
	s_sendmsg sendmsg(MSG_DEALLOC_VGPRS)
	s_endpgm
	.section	.rodata,"a",@progbits
	.p2align	6, 0x0
	.amdhsa_kernel _ZN2at6native12_GLOBAL__N_125multi_tensor_apply_kernelINS1_18TensorListMetadataILi2EEENS1_14UnaryOpFunctorIN3c108BFloat16ELi2ELi1ELi1EEEJNS0_3SinIfEEEEEvT_T0_DpT1_
		.amdhsa_group_segment_fixed_size 0
		.amdhsa_private_segment_fixed_size 0
		.amdhsa_kernarg_size 3408
		.amdhsa_user_sgpr_count 15
		.amdhsa_user_sgpr_dispatch_ptr 0
		.amdhsa_user_sgpr_queue_ptr 0
		.amdhsa_user_sgpr_kernarg_segment_ptr 1
		.amdhsa_user_sgpr_dispatch_id 0
		.amdhsa_user_sgpr_private_segment_size 0
		.amdhsa_wavefront_size32 1
		.amdhsa_uses_dynamic_stack 0
		.amdhsa_enable_private_segment 0
		.amdhsa_system_sgpr_workgroup_id_x 1
		.amdhsa_system_sgpr_workgroup_id_y 0
		.amdhsa_system_sgpr_workgroup_id_z 0
		.amdhsa_system_sgpr_workgroup_info 0
		.amdhsa_system_vgpr_workitem_id 0
		.amdhsa_next_free_vgpr 49
		.amdhsa_next_free_sgpr 21
		.amdhsa_reserve_vcc 1
		.amdhsa_float_round_mode_32 0
		.amdhsa_float_round_mode_16_64 0
		.amdhsa_float_denorm_mode_32 3
		.amdhsa_float_denorm_mode_16_64 3
		.amdhsa_dx10_clamp 1
		.amdhsa_ieee_mode 1
		.amdhsa_fp16_overflow 0
		.amdhsa_workgroup_processor_mode 1
		.amdhsa_memory_ordered 1
		.amdhsa_forward_progress 0
		.amdhsa_shared_vgpr_count 0
		.amdhsa_exception_fp_ieee_invalid_op 0
		.amdhsa_exception_fp_denorm_src 0
		.amdhsa_exception_fp_ieee_div_zero 0
		.amdhsa_exception_fp_ieee_overflow 0
		.amdhsa_exception_fp_ieee_underflow 0
		.amdhsa_exception_fp_ieee_inexact 0
		.amdhsa_exception_int_div_zero 0
	.end_amdhsa_kernel
	.section	.text._ZN2at6native12_GLOBAL__N_125multi_tensor_apply_kernelINS1_18TensorListMetadataILi2EEENS1_14UnaryOpFunctorIN3c108BFloat16ELi2ELi1ELi1EEEJNS0_3SinIfEEEEEvT_T0_DpT1_,"axG",@progbits,_ZN2at6native12_GLOBAL__N_125multi_tensor_apply_kernelINS1_18TensorListMetadataILi2EEENS1_14UnaryOpFunctorIN3c108BFloat16ELi2ELi1ELi1EEEJNS0_3SinIfEEEEEvT_T0_DpT1_,comdat
.Lfunc_end111:
	.size	_ZN2at6native12_GLOBAL__N_125multi_tensor_apply_kernelINS1_18TensorListMetadataILi2EEENS1_14UnaryOpFunctorIN3c108BFloat16ELi2ELi1ELi1EEEJNS0_3SinIfEEEEEvT_T0_DpT1_, .Lfunc_end111-_ZN2at6native12_GLOBAL__N_125multi_tensor_apply_kernelINS1_18TensorListMetadataILi2EEENS1_14UnaryOpFunctorIN3c108BFloat16ELi2ELi1ELi1EEEJNS0_3SinIfEEEEEvT_T0_DpT1_
                                        ; -- End function
	.section	.AMDGPU.csdata,"",@progbits
; Kernel info:
; codeLenInByte = 9504
; NumSgprs: 23
; NumVgprs: 49
; ScratchSize: 0
; MemoryBound: 0
; FloatMode: 240
; IeeeMode: 1
; LDSByteSize: 0 bytes/workgroup (compile time only)
; SGPRBlocks: 2
; VGPRBlocks: 6
; NumSGPRsForWavesPerEU: 23
; NumVGPRsForWavesPerEU: 49
; Occupancy: 16
; WaveLimiterHint : 0
; COMPUTE_PGM_RSRC2:SCRATCH_EN: 0
; COMPUTE_PGM_RSRC2:USER_SGPR: 15
; COMPUTE_PGM_RSRC2:TRAP_HANDLER: 0
; COMPUTE_PGM_RSRC2:TGID_X_EN: 1
; COMPUTE_PGM_RSRC2:TGID_Y_EN: 0
; COMPUTE_PGM_RSRC2:TGID_Z_EN: 0
; COMPUTE_PGM_RSRC2:TIDIG_COMP_CNT: 0
	.section	.text._ZN2at6native12_GLOBAL__N_125multi_tensor_apply_kernelINS1_18TensorListMetadataILi1EEENS1_14UnaryOpFunctorIdLi1ELi1ELi0EEEJNS0_3SinIdEEEEEvT_T0_DpT1_,"axG",@progbits,_ZN2at6native12_GLOBAL__N_125multi_tensor_apply_kernelINS1_18TensorListMetadataILi1EEENS1_14UnaryOpFunctorIdLi1ELi1ELi0EEEJNS0_3SinIdEEEEEvT_T0_DpT1_,comdat
	.globl	_ZN2at6native12_GLOBAL__N_125multi_tensor_apply_kernelINS1_18TensorListMetadataILi1EEENS1_14UnaryOpFunctorIdLi1ELi1ELi0EEEJNS0_3SinIdEEEEEvT_T0_DpT1_ ; -- Begin function _ZN2at6native12_GLOBAL__N_125multi_tensor_apply_kernelINS1_18TensorListMetadataILi1EEENS1_14UnaryOpFunctorIdLi1ELi1ELi0EEEJNS0_3SinIdEEEEEvT_T0_DpT1_
	.p2align	8
	.type	_ZN2at6native12_GLOBAL__N_125multi_tensor_apply_kernelINS1_18TensorListMetadataILi1EEENS1_14UnaryOpFunctorIdLi1ELi1ELi0EEEJNS0_3SinIdEEEEEvT_T0_DpT1_,@function
_ZN2at6native12_GLOBAL__N_125multi_tensor_apply_kernelINS1_18TensorListMetadataILi1EEENS1_14UnaryOpFunctorIdLi1ELi1ELi0EEEJNS0_3SinIdEEEEEvT_T0_DpT1_: ; @_ZN2at6native12_GLOBAL__N_125multi_tensor_apply_kernelINS1_18TensorListMetadataILi1EEENS1_14UnaryOpFunctorIdLi1ELi1ELi0EEEJNS0_3SinIdEEEEEvT_T0_DpT1_
; %bb.0:
	v_mov_b32_e32 v1, s15
	s_add_u32 s2, s0, s15
	s_mul_hi_u32 s3, s15, 3
	s_mul_i32 s15, s15, 3
	s_addc_u32 s4, s1, 0
	global_load_u8 v1, v1, s[0:1] offset:1760
	s_add_u32 s2, s2, s15
	s_addc_u32 s3, s4, s3
	s_mov_b32 s7, 0
	s_load_b32 s2, s[2:3], 0x820
	s_waitcnt vmcnt(0)
	v_readfirstlane_b32 s5, v1
	s_delay_alu instid0(VALU_DEP_1)
	s_lshl_b32 s3, s5, 3
	s_clause 0x1
	s_load_b64 s[8:9], s[0:1], s3 offset:0x0
	s_load_b64 s[4:5], s[0:1], s3 offset:0x370
	s_waitcnt lgkmcnt(0)
	s_ashr_i32 s3, s2, 31
	s_delay_alu instid0(SALU_CYCLE_1)
	s_lshl_b64 s[12:13], s[2:3], 19
	s_lshl_b64 s[2:3], s[2:3], 16
	s_and_b32 s6, s8, 31
	s_sub_u32 s10, s4, s2
	s_subb_u32 s11, s5, s3
	s_and_b32 s2, s4, 3
	s_mov_b32 s3, s7
	s_delay_alu instid0(SALU_CYCLE_1) | instskip(NEXT) | instid1(SALU_CYCLE_1)
	s_or_b64 s[2:3], s[6:7], s[2:3]
	s_cmp_eq_u64 s[2:3], 0
	s_cbranch_scc1 .LBB112_37
; %bb.1:
	v_cmp_lt_i64_e64 s2, s[10:11], 1
	s_delay_alu instid0(VALU_DEP_1)
	s_and_b32 vcc_lo, exec_lo, s2
	s_cbranch_vccnz .LBB112_36
; %bb.2:
	s_load_b32 s2, s[0:1], 0xd3c
	v_cmp_gt_u64_e64 s3, 0x10000, s[10:11]
	v_dual_mov_b32 v1, 0 :: v_dual_lshlrev_b32 v2, 3, v0
	s_mov_b32 s18, 0x54442d18
	s_mov_b32 s20, 0x6dc9c883
	;; [unrolled: 1-line block ×15, first 2 shown]
	s_mov_b64 s[16:17], 0
	s_waitcnt lgkmcnt(0)
	s_and_b32 s2, s2, 0xffff
	s_and_b32 s3, s3, exec_lo
	v_add_co_u32 v31, s5, v0, s2
	s_cselect_b32 s15, s11, 0
	s_cselect_b32 s14, s10, 0x10000
	s_lshl_b32 s3, s2, 1
	s_lshl_b32 s33, s2, 2
	s_add_u32 s6, s8, s12
	s_mul_i32 s4, s2, 3
	s_mul_i32 s56, s2, 24
	s_addc_u32 s7, s9, s13
	s_lshl_b32 s57, s2, 5
	s_lshl_b32 s58, s2, 4
	v_add_co_u32 v3, s2, s6, v2
	v_lshlrev_b32_e32 v2, 3, v31
	v_add_co_ci_u32_e64 v4, null, s7, 0, s2
	v_add_co_u32 v35, s2, s3, v0
	v_add_co_u32 v32, s4, s4, v0
	v_add_co_ci_u32_e64 v36, null, 0, 0, s2
	v_add_co_u32 v5, s2, s6, v2
	v_add_co_ci_u32_e64 v33, null, 0, 0, s4
	v_add_co_ci_u32_e64 v34, null, 0, 0, s5
	;; [unrolled: 1-line block ×3, first 2 shown]
	s_mov_b32 s19, 0xbff921fb
	s_mov_b32 s21, 0x3fe45f30
	;; [unrolled: 1-line block ×19, first 2 shown]
	s_branch .LBB112_4
.LBB112_3:                              ;   in Loop: Header=BB112_4 Depth=1
	s_or_b32 exec_lo, exec_lo, s3
	s_add_u32 s16, s16, s33
	s_addc_u32 s17, s17, 0
	v_add_co_u32 v3, vcc_lo, v3, s57
	v_cmp_ge_i64_e64 s2, s[16:17], s[10:11]
	v_cmp_lt_u64_e64 s3, 0xffff, s[16:17]
	v_add_co_ci_u32_e32 v4, vcc_lo, 0, v4, vcc_lo
	v_add_co_u32 v5, vcc_lo, v5, s57
	v_add_co_ci_u32_e32 v6, vcc_lo, 0, v6, vcc_lo
	s_delay_alu instid0(VALU_DEP_4) | instskip(NEXT) | instid1(SALU_CYCLE_1)
	s_or_b32 s2, s2, s3
	s_and_b32 vcc_lo, exec_lo, s2
	s_cbranch_vccnz .LBB112_36
.LBB112_4:                              ; =>This Inner Loop Header: Depth=1
	v_add_co_u32 v7, s2, v0, s16
	s_delay_alu instid0(VALU_DEP_1) | instskip(SKIP_1) | instid1(VALU_DEP_2)
	v_add_co_ci_u32_e64 v8, null, 0, s17, s2
	v_dual_mov_b32 v13, 0 :: v_dual_mov_b32 v14, 0
	v_cmp_gt_u64_e64 s4, s[14:15], v[7:8]
	s_delay_alu instid0(VALU_DEP_1)
	s_and_saveexec_b32 s2, s4
	s_cbranch_execz .LBB112_6
; %bb.5:                                ;   in Loop: Header=BB112_4 Depth=1
	global_load_b64 v[13:14], v[3:4], off
.LBB112_6:                              ;   in Loop: Header=BB112_4 Depth=1
	s_or_b32 exec_lo, exec_lo, s2
	v_add_co_u32 v7, vcc_lo, v31, s16
	v_add_co_ci_u32_e32 v8, vcc_lo, s17, v34, vcc_lo
	v_dual_mov_b32 v9, 0 :: v_dual_mov_b32 v12, 0
	v_mov_b32_e32 v11, 0
	s_delay_alu instid0(VALU_DEP_3) | instskip(NEXT) | instid1(VALU_DEP_1)
	v_cmp_gt_u64_e64 s3, s[14:15], v[7:8]
	s_and_saveexec_b32 s2, s3
	s_cbranch_execz .LBB112_8
; %bb.7:                                ;   in Loop: Header=BB112_4 Depth=1
	global_load_b64 v[11:12], v[5:6], off
.LBB112_8:                              ;   in Loop: Header=BB112_4 Depth=1
	s_or_b32 exec_lo, exec_lo, s2
	v_add_co_u32 v7, vcc_lo, v35, s16
	v_add_co_ci_u32_e32 v8, vcc_lo, s17, v36, vcc_lo
	v_mov_b32_e32 v10, 0
	s_delay_alu instid0(VALU_DEP_2) | instskip(NEXT) | instid1(VALU_DEP_1)
	v_cmp_gt_u64_e64 s2, s[14:15], v[7:8]
	s_and_saveexec_b32 s5, s2
	s_cbranch_execz .LBB112_10
; %bb.9:                                ;   in Loop: Header=BB112_4 Depth=1
	v_add_co_u32 v7, vcc_lo, v3, s58
	v_add_co_ci_u32_e32 v8, vcc_lo, 0, v4, vcc_lo
	global_load_b64 v[9:10], v[7:8], off
.LBB112_10:                             ;   in Loop: Header=BB112_4 Depth=1
	s_or_b32 exec_lo, exec_lo, s5
	v_add_co_u32 v7, vcc_lo, v32, s16
	v_add_co_ci_u32_e32 v8, vcc_lo, s17, v33, vcc_lo
	s_delay_alu instid0(VALU_DEP_1)
	v_cmp_gt_u64_e32 vcc_lo, s[14:15], v[7:8]
	v_mov_b32_e32 v7, 0
	v_mov_b32_e32 v8, 0
	s_and_saveexec_b32 s6, vcc_lo
	s_cbranch_execz .LBB112_12
; %bb.11:                               ;   in Loop: Header=BB112_4 Depth=1
	v_add_co_u32 v7, s5, v3, s56
	s_delay_alu instid0(VALU_DEP_1)
	v_add_co_ci_u32_e64 v8, s5, 0, v4, s5
	global_load_b64 v[7:8], v[7:8], off
.LBB112_12:                             ;   in Loop: Header=BB112_4 Depth=1
	s_or_b32 exec_lo, exec_lo, s6
                                        ; implicit-def: $vgpr37
                                        ; implicit-def: $vgpr15_vgpr16
                                        ; implicit-def: $vgpr17_vgpr18
	s_delay_alu instid0(SALU_CYCLE_1)
	s_mov_b32 s6, exec_lo
	s_waitcnt vmcnt(0)
	v_cmpx_ngt_f64_e64 0x41d00000, |v[13:14]|
	s_xor_b32 s50, exec_lo, s6
	s_cbranch_execz .LBB112_14
; %bb.13:                               ;   in Loop: Header=BB112_4 Depth=1
	v_ldexp_f64 v[15:16], |v[13:14]|, 0xffffff80
	v_cmp_le_f64_e64 s5, 0x7b000000, |v[13:14]|
	v_trig_preop_f64 v[17:18], |v[13:14]|, 0
	v_and_b32_e32 v2, 0x7fffffff, v14
	v_trig_preop_f64 v[19:20], |v[13:14]|, 1
	v_trig_preop_f64 v[29:30], |v[13:14]|, 2
	s_mov_b32 s53, s51
	s_delay_alu instid0(VALU_DEP_3) | instskip(SKIP_1) | instid1(VALU_DEP_1)
	v_cndmask_b32_e64 v16, v2, v16, s5
	v_cndmask_b32_e64 v15, v13, v15, s5
	v_mul_f64 v[21:22], v[17:18], v[15:16]
	v_mul_f64 v[23:24], v[19:20], v[15:16]
	;; [unrolled: 1-line block ×3, first 2 shown]
	s_delay_alu instid0(VALU_DEP_3) | instskip(NEXT) | instid1(VALU_DEP_3)
	v_fma_f64 v[17:18], v[17:18], v[15:16], -v[21:22]
	v_fma_f64 v[19:20], v[19:20], v[15:16], -v[23:24]
	s_delay_alu instid0(VALU_DEP_3) | instskip(NEXT) | instid1(VALU_DEP_3)
	v_fma_f64 v[15:16], v[29:30], v[15:16], -v[41:42]
	v_add_f64 v[25:26], v[23:24], v[17:18]
	s_delay_alu instid0(VALU_DEP_1) | instskip(SKIP_1) | instid1(VALU_DEP_2)
	v_add_f64 v[27:28], v[25:26], -v[23:24]
	v_add_f64 v[39:40], v[21:22], v[25:26]
	v_add_f64 v[37:38], v[25:26], -v[27:28]
	v_add_f64 v[17:18], v[17:18], -v[27:28]
	s_delay_alu instid0(VALU_DEP_3) | instskip(SKIP_1) | instid1(VALU_DEP_4)
	v_ldexp_f64 v[27:28], v[39:40], -2
	v_add_f64 v[21:22], v[39:40], -v[21:22]
	v_add_f64 v[23:24], v[23:24], -v[37:38]
	v_add_f64 v[37:38], v[41:42], v[19:20]
	s_delay_alu instid0(VALU_DEP_4) | instskip(NEXT) | instid1(VALU_DEP_4)
	v_cmp_neq_f64_e64 s5, 0x7ff00000, |v[27:28]|
	v_add_f64 v[21:22], v[25:26], -v[21:22]
	s_delay_alu instid0(VALU_DEP_4) | instskip(SKIP_1) | instid1(VALU_DEP_2)
	v_add_f64 v[17:18], v[17:18], v[23:24]
	v_fract_f64_e32 v[23:24], v[27:28]
	v_add_f64 v[25:26], v[37:38], v[17:18]
	s_delay_alu instid0(VALU_DEP_2) | instskip(NEXT) | instid1(VALU_DEP_3)
	v_cndmask_b32_e64 v24, 0, v24, s5
	v_cndmask_b32_e64 v23, 0, v23, s5
	s_delay_alu instid0(VALU_DEP_1) | instskip(NEXT) | instid1(VALU_DEP_4)
	v_ldexp_f64 v[23:24], v[23:24], 2
	v_add_f64 v[27:28], v[21:22], v[25:26]
	v_add_f64 v[43:44], v[25:26], -v[37:38]
	s_delay_alu instid0(VALU_DEP_2) | instskip(NEXT) | instid1(VALU_DEP_2)
	v_add_f64 v[39:40], v[27:28], v[23:24]
	v_add_f64 v[49:50], v[25:26], -v[43:44]
	v_add_f64 v[17:18], v[17:18], -v[43:44]
	v_add_f64 v[21:22], v[27:28], -v[21:22]
	s_delay_alu instid0(VALU_DEP_4) | instskip(SKIP_1) | instid1(VALU_DEP_3)
	v_cmp_gt_f64_e64 s5, 0, v[39:40]
	v_add_f64 v[39:40], v[37:38], -v[41:42]
	v_add_f64 v[21:22], v[25:26], -v[21:22]
	s_delay_alu instid0(VALU_DEP_3) | instskip(NEXT) | instid1(VALU_DEP_3)
	v_cndmask_b32_e64 v2, 0, 0x40100000, s5
	v_add_f64 v[47:48], v[37:38], -v[39:40]
	v_add_f64 v[19:20], v[19:20], -v[39:40]
	;; [unrolled: 1-line block ×3, first 2 shown]
	s_delay_alu instid0(VALU_DEP_4) | instskip(NEXT) | instid1(VALU_DEP_4)
	v_add_f64 v[23:24], v[23:24], v[1:2]
	v_add_f64 v[39:40], v[41:42], -v[47:48]
	s_delay_alu instid0(VALU_DEP_3) | instskip(NEXT) | instid1(VALU_DEP_3)
	v_add_f64 v[17:18], v[17:18], v[37:38]
	v_add_f64 v[45:46], v[27:28], v[23:24]
	s_delay_alu instid0(VALU_DEP_3) | instskip(NEXT) | instid1(VALU_DEP_2)
	v_add_f64 v[19:20], v[19:20], v[39:40]
	v_cvt_i32_f64_e32 v2, v[45:46]
	s_delay_alu instid0(VALU_DEP_2) | instskip(NEXT) | instid1(VALU_DEP_2)
	v_add_f64 v[17:18], v[19:20], v[17:18]
	v_cvt_f64_i32_e32 v[43:44], v2
	s_delay_alu instid0(VALU_DEP_2) | instskip(NEXT) | instid1(VALU_DEP_2)
	v_add_f64 v[15:16], v[15:16], v[17:18]
	v_add_f64 v[23:24], v[23:24], -v[43:44]
	s_delay_alu instid0(VALU_DEP_2) | instskip(NEXT) | instid1(VALU_DEP_2)
	v_add_f64 v[15:16], v[21:22], v[15:16]
	v_add_f64 v[19:20], v[27:28], v[23:24]
	s_delay_alu instid0(VALU_DEP_1) | instskip(SKIP_1) | instid1(VALU_DEP_2)
	v_add_f64 v[17:18], v[19:20], -v[23:24]
	v_cmp_le_f64_e64 s5, 0.5, v[19:20]
	v_add_f64 v[17:18], v[27:28], -v[17:18]
	s_delay_alu instid0(VALU_DEP_2) | instskip(SKIP_2) | instid1(VALU_DEP_3)
	v_add_co_ci_u32_e64 v37, s6, 0, v2, s5
	v_cndmask_b32_e64 v2, 0, 0x3ff00000, s5
	s_mov_b32 s6, s18
	v_add_f64 v[15:16], v[15:16], v[17:18]
	s_delay_alu instid0(VALU_DEP_2) | instskip(NEXT) | instid1(VALU_DEP_1)
	v_add_f64 v[17:18], v[19:20], -v[1:2]
	v_add_f64 v[19:20], v[17:18], v[15:16]
	s_delay_alu instid0(VALU_DEP_1) | instskip(SKIP_1) | instid1(VALU_DEP_2)
	v_mul_f64 v[21:22], v[19:20], s[6:7]
	v_add_f64 v[17:18], v[19:20], -v[17:18]
	v_fma_f64 v[23:24], v[19:20], s[6:7], -v[21:22]
	s_delay_alu instid0(VALU_DEP_2) | instskip(NEXT) | instid1(VALU_DEP_2)
	v_add_f64 v[15:16], v[15:16], -v[17:18]
	v_fma_f64 v[17:18], v[19:20], s[52:53], v[23:24]
	s_delay_alu instid0(VALU_DEP_1) | instskip(NEXT) | instid1(VALU_DEP_1)
	v_fma_f64 v[17:18], v[15:16], s[6:7], v[17:18]
	v_add_f64 v[15:16], v[21:22], v[17:18]
	s_delay_alu instid0(VALU_DEP_1) | instskip(NEXT) | instid1(VALU_DEP_1)
	v_add_f64 v[19:20], v[15:16], -v[21:22]
	v_add_f64 v[17:18], v[17:18], -v[19:20]
.LBB112_14:                             ;   in Loop: Header=BB112_4 Depth=1
	s_and_not1_saveexec_b32 s5, s50
	s_cbranch_execz .LBB112_16
; %bb.15:                               ;   in Loop: Header=BB112_4 Depth=1
	v_mul_f64 v[15:16], |v[13:14]|, s[20:21]
	s_mov_b32 s50, s22
	s_delay_alu instid0(VALU_DEP_1) | instskip(NEXT) | instid1(VALU_DEP_1)
	v_rndne_f64_e32 v[19:20], v[15:16]
	v_fma_f64 v[15:16], v[19:20], s[18:19], |v[13:14]|
	v_mul_f64 v[17:18], v[19:20], s[22:23]
	v_cvt_i32_f64_e32 v37, v[19:20]
	s_delay_alu instid0(VALU_DEP_3) | instskip(NEXT) | instid1(VALU_DEP_3)
	v_fma_f64 v[23:24], v[19:20], s[22:23], v[15:16]
	v_add_f64 v[21:22], v[15:16], v[17:18]
	s_delay_alu instid0(VALU_DEP_1) | instskip(NEXT) | instid1(VALU_DEP_3)
	v_add_f64 v[15:16], v[15:16], -v[21:22]
	v_add_f64 v[21:22], v[21:22], -v[23:24]
	s_delay_alu instid0(VALU_DEP_2) | instskip(SKIP_1) | instid1(VALU_DEP_2)
	v_add_f64 v[15:16], v[15:16], v[17:18]
	v_fma_f64 v[17:18], v[19:20], s[50:51], v[17:18]
	v_add_f64 v[15:16], v[21:22], v[15:16]
	s_delay_alu instid0(VALU_DEP_1) | instskip(NEXT) | instid1(VALU_DEP_1)
	v_add_f64 v[15:16], v[15:16], -v[17:18]
	v_fma_f64 v[17:18], v[19:20], s[24:25], v[15:16]
	s_delay_alu instid0(VALU_DEP_1) | instskip(NEXT) | instid1(VALU_DEP_1)
	v_add_f64 v[15:16], v[23:24], v[17:18]
	v_add_f64 v[21:22], v[15:16], -v[23:24]
	s_delay_alu instid0(VALU_DEP_1)
	v_add_f64 v[17:18], v[17:18], -v[21:22]
.LBB112_16:                             ;   in Loop: Header=BB112_4 Depth=1
	s_or_b32 exec_lo, exec_lo, s5
                                        ; implicit-def: $vgpr38
                                        ; implicit-def: $vgpr19_vgpr20
                                        ; implicit-def: $vgpr21_vgpr22
	s_delay_alu instid0(SALU_CYCLE_1)
	s_mov_b32 s6, exec_lo
	v_cmpx_ngt_f64_e64 0x41d00000, |v[11:12]|
	s_xor_b32 s50, exec_lo, s6
	s_cbranch_execz .LBB112_18
; %bb.17:                               ;   in Loop: Header=BB112_4 Depth=1
	v_ldexp_f64 v[19:20], |v[11:12]|, 0xffffff80
	v_cmp_le_f64_e64 s5, 0x7b000000, |v[11:12]|
	v_trig_preop_f64 v[21:22], |v[11:12]|, 0
	v_and_b32_e32 v2, 0x7fffffff, v12
	v_trig_preop_f64 v[23:24], |v[11:12]|, 1
	v_trig_preop_f64 v[40:41], |v[11:12]|, 2
	s_mov_b32 s53, s51
	s_delay_alu instid0(VALU_DEP_3) | instskip(SKIP_1) | instid1(VALU_DEP_1)
	v_cndmask_b32_e64 v20, v2, v20, s5
	v_cndmask_b32_e64 v19, v11, v19, s5
	v_mul_f64 v[25:26], v[21:22], v[19:20]
	v_mul_f64 v[27:28], v[23:24], v[19:20]
	;; [unrolled: 1-line block ×3, first 2 shown]
	s_delay_alu instid0(VALU_DEP_3) | instskip(NEXT) | instid1(VALU_DEP_3)
	v_fma_f64 v[21:22], v[21:22], v[19:20], -v[25:26]
	v_fma_f64 v[23:24], v[23:24], v[19:20], -v[27:28]
	s_delay_alu instid0(VALU_DEP_3) | instskip(NEXT) | instid1(VALU_DEP_3)
	v_fma_f64 v[19:20], v[40:41], v[19:20], -v[46:47]
	v_add_f64 v[29:30], v[27:28], v[21:22]
	s_delay_alu instid0(VALU_DEP_1) | instskip(SKIP_1) | instid1(VALU_DEP_2)
	v_add_f64 v[38:39], v[29:30], -v[27:28]
	v_add_f64 v[44:45], v[25:26], v[29:30]
	v_add_f64 v[42:43], v[29:30], -v[38:39]
	v_add_f64 v[21:22], v[21:22], -v[38:39]
	s_delay_alu instid0(VALU_DEP_3) | instskip(SKIP_1) | instid1(VALU_DEP_4)
	v_ldexp_f64 v[38:39], v[44:45], -2
	v_add_f64 v[25:26], v[44:45], -v[25:26]
	v_add_f64 v[27:28], v[27:28], -v[42:43]
	v_add_f64 v[42:43], v[46:47], v[23:24]
	s_delay_alu instid0(VALU_DEP_4) | instskip(NEXT) | instid1(VALU_DEP_4)
	v_cmp_neq_f64_e64 s5, 0x7ff00000, |v[38:39]|
	v_add_f64 v[25:26], v[29:30], -v[25:26]
	s_delay_alu instid0(VALU_DEP_4) | instskip(SKIP_1) | instid1(VALU_DEP_2)
	v_add_f64 v[21:22], v[21:22], v[27:28]
	v_fract_f64_e32 v[27:28], v[38:39]
	v_add_f64 v[29:30], v[42:43], v[21:22]
	s_delay_alu instid0(VALU_DEP_2) | instskip(NEXT) | instid1(VALU_DEP_3)
	v_cndmask_b32_e64 v28, 0, v28, s5
	v_cndmask_b32_e64 v27, 0, v27, s5
	s_delay_alu instid0(VALU_DEP_1) | instskip(NEXT) | instid1(VALU_DEP_4)
	v_ldexp_f64 v[27:28], v[27:28], 2
	v_add_f64 v[38:39], v[25:26], v[29:30]
	v_add_f64 v[48:49], v[29:30], -v[42:43]
	s_delay_alu instid0(VALU_DEP_2) | instskip(NEXT) | instid1(VALU_DEP_2)
	v_add_f64 v[44:45], v[38:39], v[27:28]
	v_add_f64 v[54:55], v[29:30], -v[48:49]
	v_add_f64 v[21:22], v[21:22], -v[48:49]
	;; [unrolled: 1-line block ×3, first 2 shown]
	s_delay_alu instid0(VALU_DEP_4) | instskip(SKIP_1) | instid1(VALU_DEP_3)
	v_cmp_gt_f64_e64 s5, 0, v[44:45]
	v_add_f64 v[44:45], v[42:43], -v[46:47]
	v_add_f64 v[25:26], v[29:30], -v[25:26]
	s_delay_alu instid0(VALU_DEP_3) | instskip(NEXT) | instid1(VALU_DEP_3)
	v_cndmask_b32_e64 v2, 0, 0x40100000, s5
	v_add_f64 v[52:53], v[42:43], -v[44:45]
	v_add_f64 v[23:24], v[23:24], -v[44:45]
	;; [unrolled: 1-line block ×3, first 2 shown]
	s_delay_alu instid0(VALU_DEP_4) | instskip(NEXT) | instid1(VALU_DEP_4)
	v_add_f64 v[27:28], v[27:28], v[1:2]
	v_add_f64 v[44:45], v[46:47], -v[52:53]
	s_delay_alu instid0(VALU_DEP_3) | instskip(NEXT) | instid1(VALU_DEP_3)
	v_add_f64 v[21:22], v[21:22], v[42:43]
	v_add_f64 v[50:51], v[38:39], v[27:28]
	s_delay_alu instid0(VALU_DEP_3) | instskip(NEXT) | instid1(VALU_DEP_2)
	v_add_f64 v[23:24], v[23:24], v[44:45]
	v_cvt_i32_f64_e32 v2, v[50:51]
	s_delay_alu instid0(VALU_DEP_2) | instskip(NEXT) | instid1(VALU_DEP_2)
	v_add_f64 v[21:22], v[23:24], v[21:22]
	v_cvt_f64_i32_e32 v[48:49], v2
	s_delay_alu instid0(VALU_DEP_2) | instskip(NEXT) | instid1(VALU_DEP_2)
	v_add_f64 v[19:20], v[19:20], v[21:22]
	v_add_f64 v[27:28], v[27:28], -v[48:49]
	s_delay_alu instid0(VALU_DEP_2) | instskip(NEXT) | instid1(VALU_DEP_2)
	v_add_f64 v[19:20], v[25:26], v[19:20]
	v_add_f64 v[23:24], v[38:39], v[27:28]
	s_delay_alu instid0(VALU_DEP_1) | instskip(SKIP_1) | instid1(VALU_DEP_2)
	v_add_f64 v[21:22], v[23:24], -v[27:28]
	v_cmp_le_f64_e64 s5, 0.5, v[23:24]
	v_add_f64 v[21:22], v[38:39], -v[21:22]
	s_delay_alu instid0(VALU_DEP_2) | instskip(SKIP_2) | instid1(VALU_DEP_3)
	v_add_co_ci_u32_e64 v38, s6, 0, v2, s5
	v_cndmask_b32_e64 v2, 0, 0x3ff00000, s5
	s_mov_b32 s6, s18
	v_add_f64 v[19:20], v[19:20], v[21:22]
	s_delay_alu instid0(VALU_DEP_2) | instskip(NEXT) | instid1(VALU_DEP_1)
	v_add_f64 v[21:22], v[23:24], -v[1:2]
	v_add_f64 v[23:24], v[21:22], v[19:20]
	s_delay_alu instid0(VALU_DEP_1) | instskip(SKIP_1) | instid1(VALU_DEP_2)
	v_mul_f64 v[25:26], v[23:24], s[6:7]
	v_add_f64 v[21:22], v[23:24], -v[21:22]
	v_fma_f64 v[27:28], v[23:24], s[6:7], -v[25:26]
	s_delay_alu instid0(VALU_DEP_2) | instskip(NEXT) | instid1(VALU_DEP_2)
	v_add_f64 v[19:20], v[19:20], -v[21:22]
	v_fma_f64 v[21:22], v[23:24], s[52:53], v[27:28]
	s_delay_alu instid0(VALU_DEP_1) | instskip(NEXT) | instid1(VALU_DEP_1)
	v_fma_f64 v[21:22], v[19:20], s[6:7], v[21:22]
	v_add_f64 v[19:20], v[25:26], v[21:22]
	s_delay_alu instid0(VALU_DEP_1) | instskip(NEXT) | instid1(VALU_DEP_1)
	v_add_f64 v[23:24], v[19:20], -v[25:26]
	v_add_f64 v[21:22], v[21:22], -v[23:24]
.LBB112_18:                             ;   in Loop: Header=BB112_4 Depth=1
	s_and_not1_saveexec_b32 s5, s50
	s_cbranch_execz .LBB112_20
; %bb.19:                               ;   in Loop: Header=BB112_4 Depth=1
	v_mul_f64 v[19:20], |v[11:12]|, s[20:21]
	s_mov_b32 s50, s22
	s_delay_alu instid0(VALU_DEP_1) | instskip(NEXT) | instid1(VALU_DEP_1)
	v_rndne_f64_e32 v[23:24], v[19:20]
	v_fma_f64 v[19:20], v[23:24], s[18:19], |v[11:12]|
	v_mul_f64 v[21:22], v[23:24], s[22:23]
	v_cvt_i32_f64_e32 v38, v[23:24]
	s_delay_alu instid0(VALU_DEP_3) | instskip(NEXT) | instid1(VALU_DEP_3)
	v_fma_f64 v[27:28], v[23:24], s[22:23], v[19:20]
	v_add_f64 v[25:26], v[19:20], v[21:22]
	s_delay_alu instid0(VALU_DEP_1) | instskip(NEXT) | instid1(VALU_DEP_3)
	v_add_f64 v[19:20], v[19:20], -v[25:26]
	v_add_f64 v[25:26], v[25:26], -v[27:28]
	s_delay_alu instid0(VALU_DEP_2) | instskip(SKIP_1) | instid1(VALU_DEP_2)
	v_add_f64 v[19:20], v[19:20], v[21:22]
	v_fma_f64 v[21:22], v[23:24], s[50:51], v[21:22]
	v_add_f64 v[19:20], v[25:26], v[19:20]
	s_delay_alu instid0(VALU_DEP_1) | instskip(NEXT) | instid1(VALU_DEP_1)
	v_add_f64 v[19:20], v[19:20], -v[21:22]
	v_fma_f64 v[21:22], v[23:24], s[24:25], v[19:20]
	s_delay_alu instid0(VALU_DEP_1) | instskip(NEXT) | instid1(VALU_DEP_1)
	v_add_f64 v[19:20], v[27:28], v[21:22]
	v_add_f64 v[25:26], v[19:20], -v[27:28]
	s_delay_alu instid0(VALU_DEP_1)
	v_add_f64 v[21:22], v[21:22], -v[25:26]
.LBB112_20:                             ;   in Loop: Header=BB112_4 Depth=1
	s_or_b32 exec_lo, exec_lo, s5
                                        ; implicit-def: $vgpr39
                                        ; implicit-def: $vgpr23_vgpr24
                                        ; implicit-def: $vgpr25_vgpr26
	s_delay_alu instid0(SALU_CYCLE_1)
	s_mov_b32 s6, exec_lo
	v_cmpx_ngt_f64_e64 0x41d00000, |v[9:10]|
	s_xor_b32 s50, exec_lo, s6
	s_cbranch_execz .LBB112_22
; %bb.21:                               ;   in Loop: Header=BB112_4 Depth=1
	v_ldexp_f64 v[23:24], |v[9:10]|, 0xffffff80
	v_cmp_le_f64_e64 s5, 0x7b000000, |v[9:10]|
	v_trig_preop_f64 v[25:26], |v[9:10]|, 0
	v_and_b32_e32 v2, 0x7fffffff, v10
	v_trig_preop_f64 v[27:28], |v[9:10]|, 1
	v_trig_preop_f64 v[45:46], |v[9:10]|, 2
	s_mov_b32 s53, s51
	s_delay_alu instid0(VALU_DEP_3) | instskip(SKIP_1) | instid1(VALU_DEP_1)
	v_cndmask_b32_e64 v24, v2, v24, s5
	v_cndmask_b32_e64 v23, v9, v23, s5
	v_mul_f64 v[29:30], v[25:26], v[23:24]
	v_mul_f64 v[39:40], v[27:28], v[23:24]
	;; [unrolled: 1-line block ×3, first 2 shown]
	s_delay_alu instid0(VALU_DEP_3) | instskip(NEXT) | instid1(VALU_DEP_3)
	v_fma_f64 v[25:26], v[25:26], v[23:24], -v[29:30]
	v_fma_f64 v[27:28], v[27:28], v[23:24], -v[39:40]
	s_delay_alu instid0(VALU_DEP_3) | instskip(NEXT) | instid1(VALU_DEP_3)
	v_fma_f64 v[23:24], v[45:46], v[23:24], -v[51:52]
	v_add_f64 v[41:42], v[39:40], v[25:26]
	s_delay_alu instid0(VALU_DEP_1) | instskip(SKIP_1) | instid1(VALU_DEP_2)
	v_add_f64 v[43:44], v[41:42], -v[39:40]
	v_add_f64 v[49:50], v[29:30], v[41:42]
	v_add_f64 v[47:48], v[41:42], -v[43:44]
	v_add_f64 v[25:26], v[25:26], -v[43:44]
	s_delay_alu instid0(VALU_DEP_3) | instskip(SKIP_1) | instid1(VALU_DEP_4)
	v_ldexp_f64 v[43:44], v[49:50], -2
	v_add_f64 v[29:30], v[49:50], -v[29:30]
	v_add_f64 v[39:40], v[39:40], -v[47:48]
	v_add_f64 v[47:48], v[51:52], v[27:28]
	s_delay_alu instid0(VALU_DEP_4) | instskip(NEXT) | instid1(VALU_DEP_4)
	v_cmp_neq_f64_e64 s5, 0x7ff00000, |v[43:44]|
	v_add_f64 v[29:30], v[41:42], -v[29:30]
	s_delay_alu instid0(VALU_DEP_4) | instskip(SKIP_1) | instid1(VALU_DEP_2)
	v_add_f64 v[25:26], v[25:26], v[39:40]
	v_fract_f64_e32 v[39:40], v[43:44]
	v_add_f64 v[41:42], v[47:48], v[25:26]
	s_delay_alu instid0(VALU_DEP_2) | instskip(NEXT) | instid1(VALU_DEP_3)
	v_cndmask_b32_e64 v40, 0, v40, s5
	v_cndmask_b32_e64 v39, 0, v39, s5
	s_delay_alu instid0(VALU_DEP_1) | instskip(NEXT) | instid1(VALU_DEP_4)
	v_ldexp_f64 v[39:40], v[39:40], 2
	v_add_f64 v[43:44], v[29:30], v[41:42]
	v_add_f64 v[53:54], v[41:42], -v[47:48]
	s_delay_alu instid0(VALU_DEP_2) | instskip(NEXT) | instid1(VALU_DEP_2)
	v_add_f64 v[49:50], v[43:44], v[39:40]
	v_add_f64 v[59:60], v[41:42], -v[53:54]
	v_add_f64 v[25:26], v[25:26], -v[53:54]
	;; [unrolled: 1-line block ×3, first 2 shown]
	s_delay_alu instid0(VALU_DEP_4) | instskip(SKIP_1) | instid1(VALU_DEP_3)
	v_cmp_gt_f64_e64 s5, 0, v[49:50]
	v_add_f64 v[49:50], v[47:48], -v[51:52]
	v_add_f64 v[29:30], v[41:42], -v[29:30]
	s_delay_alu instid0(VALU_DEP_3) | instskip(NEXT) | instid1(VALU_DEP_3)
	v_cndmask_b32_e64 v2, 0, 0x40100000, s5
	v_add_f64 v[57:58], v[47:48], -v[49:50]
	v_add_f64 v[27:28], v[27:28], -v[49:50]
	v_add_f64 v[47:48], v[47:48], -v[59:60]
	s_delay_alu instid0(VALU_DEP_4) | instskip(NEXT) | instid1(VALU_DEP_4)
	v_add_f64 v[39:40], v[39:40], v[1:2]
	v_add_f64 v[49:50], v[51:52], -v[57:58]
	s_delay_alu instid0(VALU_DEP_3) | instskip(NEXT) | instid1(VALU_DEP_3)
	v_add_f64 v[25:26], v[25:26], v[47:48]
	v_add_f64 v[55:56], v[43:44], v[39:40]
	s_delay_alu instid0(VALU_DEP_3) | instskip(NEXT) | instid1(VALU_DEP_2)
	v_add_f64 v[27:28], v[27:28], v[49:50]
	v_cvt_i32_f64_e32 v2, v[55:56]
	s_delay_alu instid0(VALU_DEP_2) | instskip(NEXT) | instid1(VALU_DEP_2)
	v_add_f64 v[25:26], v[27:28], v[25:26]
	v_cvt_f64_i32_e32 v[53:54], v2
	s_delay_alu instid0(VALU_DEP_2) | instskip(NEXT) | instid1(VALU_DEP_2)
	v_add_f64 v[23:24], v[23:24], v[25:26]
	v_add_f64 v[39:40], v[39:40], -v[53:54]
	s_delay_alu instid0(VALU_DEP_2) | instskip(NEXT) | instid1(VALU_DEP_2)
	v_add_f64 v[23:24], v[29:30], v[23:24]
	v_add_f64 v[27:28], v[43:44], v[39:40]
	s_delay_alu instid0(VALU_DEP_1) | instskip(SKIP_1) | instid1(VALU_DEP_2)
	v_add_f64 v[25:26], v[27:28], -v[39:40]
	v_cmp_le_f64_e64 s5, 0.5, v[27:28]
	v_add_f64 v[25:26], v[43:44], -v[25:26]
	s_delay_alu instid0(VALU_DEP_2) | instskip(SKIP_2) | instid1(VALU_DEP_3)
	v_add_co_ci_u32_e64 v39, s6, 0, v2, s5
	v_cndmask_b32_e64 v2, 0, 0x3ff00000, s5
	s_mov_b32 s6, s18
	v_add_f64 v[23:24], v[23:24], v[25:26]
	s_delay_alu instid0(VALU_DEP_2) | instskip(NEXT) | instid1(VALU_DEP_1)
	v_add_f64 v[25:26], v[27:28], -v[1:2]
	v_add_f64 v[27:28], v[25:26], v[23:24]
	s_delay_alu instid0(VALU_DEP_1) | instskip(SKIP_1) | instid1(VALU_DEP_2)
	v_mul_f64 v[29:30], v[27:28], s[6:7]
	v_add_f64 v[25:26], v[27:28], -v[25:26]
	v_fma_f64 v[40:41], v[27:28], s[6:7], -v[29:30]
	s_delay_alu instid0(VALU_DEP_2) | instskip(NEXT) | instid1(VALU_DEP_2)
	v_add_f64 v[23:24], v[23:24], -v[25:26]
	v_fma_f64 v[25:26], v[27:28], s[52:53], v[40:41]
	s_delay_alu instid0(VALU_DEP_1) | instskip(NEXT) | instid1(VALU_DEP_1)
	v_fma_f64 v[25:26], v[23:24], s[6:7], v[25:26]
	v_add_f64 v[23:24], v[29:30], v[25:26]
	s_delay_alu instid0(VALU_DEP_1) | instskip(NEXT) | instid1(VALU_DEP_1)
	v_add_f64 v[27:28], v[23:24], -v[29:30]
	v_add_f64 v[25:26], v[25:26], -v[27:28]
.LBB112_22:                             ;   in Loop: Header=BB112_4 Depth=1
	s_and_not1_saveexec_b32 s5, s50
	s_cbranch_execz .LBB112_24
; %bb.23:                               ;   in Loop: Header=BB112_4 Depth=1
	v_mul_f64 v[23:24], |v[9:10]|, s[20:21]
	s_mov_b32 s50, s22
	s_delay_alu instid0(VALU_DEP_1) | instskip(NEXT) | instid1(VALU_DEP_1)
	v_rndne_f64_e32 v[27:28], v[23:24]
	v_fma_f64 v[23:24], v[27:28], s[18:19], |v[9:10]|
	v_mul_f64 v[25:26], v[27:28], s[22:23]
	s_delay_alu instid0(VALU_DEP_2) | instskip(NEXT) | instid1(VALU_DEP_2)
	v_fma_f64 v[39:40], v[27:28], s[22:23], v[23:24]
	v_add_f64 v[29:30], v[23:24], v[25:26]
	s_delay_alu instid0(VALU_DEP_1) | instskip(NEXT) | instid1(VALU_DEP_3)
	v_add_f64 v[23:24], v[23:24], -v[29:30]
	v_add_f64 v[29:30], v[29:30], -v[39:40]
	s_delay_alu instid0(VALU_DEP_2) | instskip(SKIP_1) | instid1(VALU_DEP_2)
	v_add_f64 v[23:24], v[23:24], v[25:26]
	v_fma_f64 v[25:26], v[27:28], s[50:51], v[25:26]
	v_add_f64 v[23:24], v[29:30], v[23:24]
	s_delay_alu instid0(VALU_DEP_1) | instskip(NEXT) | instid1(VALU_DEP_1)
	v_add_f64 v[23:24], v[23:24], -v[25:26]
	v_fma_f64 v[25:26], v[27:28], s[24:25], v[23:24]
	s_delay_alu instid0(VALU_DEP_1) | instskip(NEXT) | instid1(VALU_DEP_1)
	v_add_f64 v[23:24], v[39:40], v[25:26]
	v_add_f64 v[29:30], v[23:24], -v[39:40]
	v_cvt_i32_f64_e32 v39, v[27:28]
	s_delay_alu instid0(VALU_DEP_2)
	v_add_f64 v[25:26], v[25:26], -v[29:30]
.LBB112_24:                             ;   in Loop: Header=BB112_4 Depth=1
	s_or_b32 exec_lo, exec_lo, s5
                                        ; implicit-def: $vgpr40
                                        ; implicit-def: $vgpr27_vgpr28
                                        ; implicit-def: $vgpr29_vgpr30
	s_delay_alu instid0(SALU_CYCLE_1)
	s_mov_b32 s6, exec_lo
	v_cmpx_ngt_f64_e64 0x41d00000, |v[7:8]|
	s_xor_b32 s50, exec_lo, s6
	s_cbranch_execnz .LBB112_30
; %bb.25:                               ;   in Loop: Header=BB112_4 Depth=1
	s_and_not1_saveexec_b32 s5, s50
	s_cbranch_execnz .LBB112_31
.LBB112_26:                             ;   in Loop: Header=BB112_4 Depth=1
	s_or_b32 exec_lo, exec_lo, s5
	s_and_saveexec_b32 s5, s4
	s_delay_alu instid0(SALU_CYCLE_1)
	s_xor_b32 s6, exec_lo, s5
	s_cbranch_execnz .LBB112_32
.LBB112_27:                             ;   in Loop: Header=BB112_4 Depth=1
	s_or_b32 exec_lo, exec_lo, s6
	s_and_saveexec_b32 s5, s3
	s_cbranch_execnz .LBB112_33
.LBB112_28:                             ;   in Loop: Header=BB112_4 Depth=1
	s_or_b32 exec_lo, exec_lo, s5
	s_and_saveexec_b32 s4, s2
	s_cbranch_execnz .LBB112_34
.LBB112_29:                             ;   in Loop: Header=BB112_4 Depth=1
	s_or_b32 exec_lo, exec_lo, s4
	s_and_saveexec_b32 s3, vcc_lo
	s_cbranch_execz .LBB112_3
	s_branch .LBB112_35
.LBB112_30:                             ;   in Loop: Header=BB112_4 Depth=1
	v_ldexp_f64 v[27:28], |v[7:8]|, 0xffffff80
	v_cmp_le_f64_e64 s5, 0x7b000000, |v[7:8]|
	v_trig_preop_f64 v[29:30], |v[7:8]|, 0
	v_and_b32_e32 v2, 0x7fffffff, v8
	v_trig_preop_f64 v[40:41], |v[7:8]|, 1
	v_trig_preop_f64 v[50:51], |v[7:8]|, 2
	s_mov_b32 s53, s51
	s_delay_alu instid0(VALU_DEP_3) | instskip(SKIP_1) | instid1(VALU_DEP_1)
	v_cndmask_b32_e64 v28, v2, v28, s5
	v_cndmask_b32_e64 v27, v7, v27, s5
	v_mul_f64 v[42:43], v[29:30], v[27:28]
	v_mul_f64 v[44:45], v[40:41], v[27:28]
	;; [unrolled: 1-line block ×3, first 2 shown]
	s_delay_alu instid0(VALU_DEP_3) | instskip(NEXT) | instid1(VALU_DEP_3)
	v_fma_f64 v[29:30], v[29:30], v[27:28], -v[42:43]
	v_fma_f64 v[40:41], v[40:41], v[27:28], -v[44:45]
	s_delay_alu instid0(VALU_DEP_3) | instskip(NEXT) | instid1(VALU_DEP_3)
	v_fma_f64 v[27:28], v[50:51], v[27:28], -v[56:57]
	v_add_f64 v[46:47], v[44:45], v[29:30]
	s_delay_alu instid0(VALU_DEP_1) | instskip(SKIP_1) | instid1(VALU_DEP_2)
	v_add_f64 v[48:49], v[46:47], -v[44:45]
	v_add_f64 v[54:55], v[42:43], v[46:47]
	v_add_f64 v[52:53], v[46:47], -v[48:49]
	v_add_f64 v[29:30], v[29:30], -v[48:49]
	s_delay_alu instid0(VALU_DEP_3) | instskip(SKIP_1) | instid1(VALU_DEP_4)
	v_ldexp_f64 v[48:49], v[54:55], -2
	v_add_f64 v[42:43], v[54:55], -v[42:43]
	v_add_f64 v[44:45], v[44:45], -v[52:53]
	v_add_f64 v[52:53], v[56:57], v[40:41]
	s_delay_alu instid0(VALU_DEP_4) | instskip(NEXT) | instid1(VALU_DEP_4)
	v_cmp_neq_f64_e64 s5, 0x7ff00000, |v[48:49]|
	v_add_f64 v[42:43], v[46:47], -v[42:43]
	s_delay_alu instid0(VALU_DEP_4) | instskip(SKIP_1) | instid1(VALU_DEP_2)
	v_add_f64 v[29:30], v[29:30], v[44:45]
	v_fract_f64_e32 v[44:45], v[48:49]
	v_add_f64 v[46:47], v[52:53], v[29:30]
	s_delay_alu instid0(VALU_DEP_2) | instskip(NEXT) | instid1(VALU_DEP_3)
	v_cndmask_b32_e64 v45, 0, v45, s5
	v_cndmask_b32_e64 v44, 0, v44, s5
	s_delay_alu instid0(VALU_DEP_1) | instskip(NEXT) | instid1(VALU_DEP_4)
	v_ldexp_f64 v[44:45], v[44:45], 2
	v_add_f64 v[48:49], v[42:43], v[46:47]
	v_add_f64 v[58:59], v[46:47], -v[52:53]
	s_delay_alu instid0(VALU_DEP_2) | instskip(NEXT) | instid1(VALU_DEP_2)
	v_add_f64 v[54:55], v[48:49], v[44:45]
	v_add_f64 v[64:65], v[46:47], -v[58:59]
	v_add_f64 v[29:30], v[29:30], -v[58:59]
	;; [unrolled: 1-line block ×3, first 2 shown]
	s_delay_alu instid0(VALU_DEP_4) | instskip(SKIP_1) | instid1(VALU_DEP_2)
	v_cmp_gt_f64_e64 s5, 0, v[54:55]
	v_add_f64 v[54:55], v[52:53], -v[56:57]
	v_cndmask_b32_e64 v2, 0, 0x40100000, s5
	s_delay_alu instid0(VALU_DEP_2) | instskip(SKIP_2) | instid1(VALU_DEP_4)
	v_add_f64 v[62:63], v[52:53], -v[54:55]
	v_add_f64 v[40:41], v[40:41], -v[54:55]
	;; [unrolled: 1-line block ×3, first 2 shown]
	v_add_f64 v[44:45], v[44:45], v[1:2]
	s_delay_alu instid0(VALU_DEP_4) | instskip(NEXT) | instid1(VALU_DEP_3)
	v_add_f64 v[54:55], v[56:57], -v[62:63]
	v_add_f64 v[29:30], v[29:30], v[52:53]
	s_delay_alu instid0(VALU_DEP_3) | instskip(NEXT) | instid1(VALU_DEP_3)
	v_add_f64 v[60:61], v[48:49], v[44:45]
	v_add_f64 v[40:41], v[40:41], v[54:55]
	s_delay_alu instid0(VALU_DEP_2) | instskip(NEXT) | instid1(VALU_DEP_2)
	v_cvt_i32_f64_e32 v2, v[60:61]
	v_add_f64 v[29:30], v[40:41], v[29:30]
	v_add_f64 v[40:41], v[46:47], -v[42:43]
	s_delay_alu instid0(VALU_DEP_3) | instskip(NEXT) | instid1(VALU_DEP_3)
	v_cvt_f64_i32_e32 v[58:59], v2
	v_add_f64 v[27:28], v[27:28], v[29:30]
	s_delay_alu instid0(VALU_DEP_2) | instskip(NEXT) | instid1(VALU_DEP_2)
	v_add_f64 v[44:45], v[44:45], -v[58:59]
	v_add_f64 v[27:28], v[40:41], v[27:28]
	s_delay_alu instid0(VALU_DEP_2) | instskip(NEXT) | instid1(VALU_DEP_1)
	v_add_f64 v[50:51], v[48:49], v[44:45]
	v_add_f64 v[29:30], v[50:51], -v[44:45]
	v_cmp_le_f64_e64 s5, 0.5, v[50:51]
	s_delay_alu instid0(VALU_DEP_2) | instskip(NEXT) | instid1(VALU_DEP_2)
	v_add_f64 v[29:30], v[48:49], -v[29:30]
	v_add_co_ci_u32_e64 v40, s6, 0, v2, s5
	v_cndmask_b32_e64 v2, 0, 0x3ff00000, s5
	s_mov_b32 s6, s18
	s_delay_alu instid0(VALU_DEP_3) | instskip(NEXT) | instid1(VALU_DEP_2)
	v_add_f64 v[27:28], v[27:28], v[29:30]
	v_add_f64 v[29:30], v[50:51], -v[1:2]
	s_delay_alu instid0(VALU_DEP_1) | instskip(NEXT) | instid1(VALU_DEP_1)
	v_add_f64 v[41:42], v[29:30], v[27:28]
	v_mul_f64 v[43:44], v[41:42], s[6:7]
	v_add_f64 v[29:30], v[41:42], -v[29:30]
	s_delay_alu instid0(VALU_DEP_2) | instskip(NEXT) | instid1(VALU_DEP_2)
	v_fma_f64 v[45:46], v[41:42], s[6:7], -v[43:44]
	v_add_f64 v[27:28], v[27:28], -v[29:30]
	s_delay_alu instid0(VALU_DEP_2) | instskip(NEXT) | instid1(VALU_DEP_1)
	v_fma_f64 v[29:30], v[41:42], s[52:53], v[45:46]
	v_fma_f64 v[29:30], v[27:28], s[6:7], v[29:30]
	s_delay_alu instid0(VALU_DEP_1) | instskip(NEXT) | instid1(VALU_DEP_1)
	v_add_f64 v[27:28], v[43:44], v[29:30]
	v_add_f64 v[41:42], v[27:28], -v[43:44]
	s_delay_alu instid0(VALU_DEP_1)
	v_add_f64 v[29:30], v[29:30], -v[41:42]
	s_and_not1_saveexec_b32 s5, s50
	s_cbranch_execz .LBB112_26
.LBB112_31:                             ;   in Loop: Header=BB112_4 Depth=1
	v_mul_f64 v[27:28], |v[7:8]|, s[20:21]
	s_mov_b32 s50, s22
	s_delay_alu instid0(VALU_DEP_1) | instskip(NEXT) | instid1(VALU_DEP_1)
	v_rndne_f64_e32 v[40:41], v[27:28]
	v_fma_f64 v[27:28], v[40:41], s[18:19], |v[7:8]|
	v_mul_f64 v[29:30], v[40:41], s[22:23]
	s_delay_alu instid0(VALU_DEP_2) | instskip(NEXT) | instid1(VALU_DEP_2)
	v_fma_f64 v[44:45], v[40:41], s[22:23], v[27:28]
	v_add_f64 v[42:43], v[27:28], v[29:30]
	s_delay_alu instid0(VALU_DEP_1) | instskip(NEXT) | instid1(VALU_DEP_3)
	v_add_f64 v[27:28], v[27:28], -v[42:43]
	v_add_f64 v[42:43], v[42:43], -v[44:45]
	s_delay_alu instid0(VALU_DEP_2) | instskip(SKIP_1) | instid1(VALU_DEP_2)
	v_add_f64 v[27:28], v[27:28], v[29:30]
	v_fma_f64 v[29:30], v[40:41], s[50:51], v[29:30]
	v_add_f64 v[27:28], v[42:43], v[27:28]
	s_delay_alu instid0(VALU_DEP_1) | instskip(NEXT) | instid1(VALU_DEP_1)
	v_add_f64 v[27:28], v[27:28], -v[29:30]
	v_fma_f64 v[29:30], v[40:41], s[24:25], v[27:28]
	v_cvt_i32_f64_e32 v40, v[40:41]
	s_delay_alu instid0(VALU_DEP_2) | instskip(NEXT) | instid1(VALU_DEP_1)
	v_add_f64 v[27:28], v[44:45], v[29:30]
	v_add_f64 v[42:43], v[27:28], -v[44:45]
	s_delay_alu instid0(VALU_DEP_1) | instskip(SKIP_2) | instid1(SALU_CYCLE_1)
	v_add_f64 v[29:30], v[29:30], -v[42:43]
	s_or_b32 exec_lo, exec_lo, s5
	s_and_saveexec_b32 s5, s4
	s_xor_b32 s6, exec_lo, s5
	s_cbranch_execz .LBB112_27
.LBB112_32:                             ;   in Loop: Header=BB112_4 Depth=1
	v_mul_f64 v[41:42], v[15:16], v[15:16]
	v_mul_f64 v[51:52], v[17:18], 0.5
	s_mov_b32 s54, s38
	v_cmp_class_f64_e64 s5, v[13:14], 0x1f8
	v_and_b32_e32 v2, 1, v37
	v_lshlrev_b32_e32 v13, 30, v37
	s_delay_alu instid0(VALU_DEP_2) | instskip(NEXT) | instid1(VALU_DEP_2)
	v_cmp_eq_u32_e64 s4, 0, v2
	v_xor_b32_e32 v13, v13, v14
	s_delay_alu instid0(VALU_DEP_1) | instskip(SKIP_4) | instid1(VALU_DEP_4)
	v_and_b32_e32 v13, 0x80000000, v13
	v_fma_f64 v[43:44], v[41:42], s[42:43], s[40:41]
	v_fma_f64 v[45:46], v[41:42], s[28:29], s[26:27]
	v_mul_f64 v[47:48], v[41:42], 0.5
	v_mul_f64 v[53:54], v[15:16], -v[41:42]
	v_fma_f64 v[43:44], v[41:42], v[43:44], s[44:45]
	s_delay_alu instid0(VALU_DEP_4) | instskip(NEXT) | instid1(VALU_DEP_4)
	v_fma_f64 v[45:46], v[41:42], v[45:46], s[30:31]
	v_add_f64 v[49:50], -v[47:48], 1.0
	s_delay_alu instid0(VALU_DEP_3) | instskip(NEXT) | instid1(VALU_DEP_3)
	v_fma_f64 v[43:44], v[41:42], v[43:44], s[46:47]
	v_fma_f64 v[45:46], v[41:42], v[45:46], s[34:35]
	s_delay_alu instid0(VALU_DEP_3) | instskip(NEXT) | instid1(VALU_DEP_3)
	v_add_f64 v[55:56], -v[49:50], 1.0
	v_fma_f64 v[43:44], v[41:42], v[43:44], s[48:49]
	s_delay_alu instid0(VALU_DEP_3) | instskip(NEXT) | instid1(VALU_DEP_3)
	v_fma_f64 v[45:46], v[41:42], v[45:46], s[36:37]
	v_add_f64 v[47:48], v[55:56], -v[47:48]
	s_delay_alu instid0(VALU_DEP_3) | instskip(SKIP_1) | instid1(VALU_DEP_4)
	v_fma_f64 v[43:44], v[53:54], v[43:44], v[51:52]
	v_mul_f64 v[51:52], v[41:42], v[41:42]
	v_fma_f64 v[45:46], v[41:42], v[45:46], s[38:39]
	s_delay_alu instid0(VALU_DEP_4) | instskip(NEXT) | instid1(VALU_DEP_4)
	v_fma_f64 v[47:48], v[15:16], -v[17:18], v[47:48]
	v_fma_f64 v[17:18], v[41:42], v[43:44], -v[17:18]
	s_delay_alu instid0(VALU_DEP_2) | instskip(NEXT) | instid1(VALU_DEP_2)
	v_fma_f64 v[41:42], v[51:52], v[45:46], v[47:48]
	v_fma_f64 v[17:18], v[53:54], s[54:55], v[17:18]
	s_delay_alu instid0(VALU_DEP_2) | instskip(NEXT) | instid1(VALU_DEP_2)
	v_add_f64 v[41:42], v[49:50], v[41:42]
	v_add_f64 v[15:16], v[15:16], -v[17:18]
	s_delay_alu instid0(VALU_DEP_1) | instskip(NEXT) | instid1(VALU_DEP_2)
	v_cndmask_b32_e64 v14, v42, v16, s4
	v_cndmask_b32_e64 v2, v41, v15, s4
	s_delay_alu instid0(VALU_DEP_2) | instskip(NEXT) | instid1(VALU_DEP_2)
	v_xor_b32_e32 v14, v14, v13
	v_cndmask_b32_e64 v13, 0, v2, s5
	s_delay_alu instid0(VALU_DEP_2)
	v_cndmask_b32_e64 v14, 0x7ff80000, v14, s5
	global_store_b64 v[3:4], v[13:14], off
	s_or_b32 exec_lo, exec_lo, s6
	s_and_saveexec_b32 s5, s3
	s_cbranch_execz .LBB112_28
.LBB112_33:                             ;   in Loop: Header=BB112_4 Depth=1
	v_mul_f64 v[13:14], v[19:20], v[19:20]
	s_delay_alu instid0(VALU_DEP_4) | instskip(SKIP_4) | instid1(VALU_DEP_2)
	v_mul_f64 v[45:46], v[21:22], 0.5
	s_mov_b32 s54, s38
	v_cmp_class_f64_e64 s4, v[11:12], 0x1f8
	v_and_b32_e32 v2, 1, v38
	v_lshlrev_b32_e32 v11, 30, v38
	v_cmp_eq_u32_e64 s3, 0, v2
	s_delay_alu instid0(VALU_DEP_2) | instskip(NEXT) | instid1(VALU_DEP_1)
	v_xor_b32_e32 v11, v11, v12
	v_and_b32_e32 v11, 0x80000000, v11
	v_fma_f64 v[15:16], v[13:14], s[42:43], s[40:41]
	v_fma_f64 v[17:18], v[13:14], s[28:29], s[26:27]
	v_mul_f64 v[41:42], v[13:14], 0.5
	v_mul_f64 v[47:48], v[19:20], -v[13:14]
	s_delay_alu instid0(VALU_DEP_4) | instskip(NEXT) | instid1(VALU_DEP_4)
	v_fma_f64 v[15:16], v[13:14], v[15:16], s[44:45]
	v_fma_f64 v[17:18], v[13:14], v[17:18], s[30:31]
	s_delay_alu instid0(VALU_DEP_4) | instskip(NEXT) | instid1(VALU_DEP_3)
	v_add_f64 v[43:44], -v[41:42], 1.0
	v_fma_f64 v[15:16], v[13:14], v[15:16], s[46:47]
	s_delay_alu instid0(VALU_DEP_3) | instskip(NEXT) | instid1(VALU_DEP_3)
	v_fma_f64 v[17:18], v[13:14], v[17:18], s[34:35]
	v_add_f64 v[49:50], -v[43:44], 1.0
	s_delay_alu instid0(VALU_DEP_3) | instskip(NEXT) | instid1(VALU_DEP_3)
	v_fma_f64 v[15:16], v[13:14], v[15:16], s[48:49]
	v_fma_f64 v[17:18], v[13:14], v[17:18], s[36:37]
	s_delay_alu instid0(VALU_DEP_3) | instskip(NEXT) | instid1(VALU_DEP_3)
	v_add_f64 v[41:42], v[49:50], -v[41:42]
	v_fma_f64 v[15:16], v[47:48], v[15:16], v[45:46]
	v_mul_f64 v[45:46], v[13:14], v[13:14]
	s_delay_alu instid0(VALU_DEP_4) | instskip(NEXT) | instid1(VALU_DEP_4)
	v_fma_f64 v[17:18], v[13:14], v[17:18], s[38:39]
	v_fma_f64 v[41:42], v[19:20], -v[21:22], v[41:42]
	s_delay_alu instid0(VALU_DEP_4) | instskip(NEXT) | instid1(VALU_DEP_2)
	v_fma_f64 v[13:14], v[13:14], v[15:16], -v[21:22]
	v_fma_f64 v[15:16], v[45:46], v[17:18], v[41:42]
	s_delay_alu instid0(VALU_DEP_2) | instskip(NEXT) | instid1(VALU_DEP_2)
	v_fma_f64 v[13:14], v[47:48], s[54:55], v[13:14]
	v_add_f64 v[15:16], v[43:44], v[15:16]
	s_delay_alu instid0(VALU_DEP_2) | instskip(NEXT) | instid1(VALU_DEP_1)
	v_add_f64 v[13:14], v[19:20], -v[13:14]
	v_cndmask_b32_e64 v12, v16, v14, s3
	s_delay_alu instid0(VALU_DEP_2) | instskip(NEXT) | instid1(VALU_DEP_2)
	v_cndmask_b32_e64 v2, v15, v13, s3
	v_xor_b32_e32 v12, v12, v11
	s_delay_alu instid0(VALU_DEP_2) | instskip(NEXT) | instid1(VALU_DEP_2)
	v_cndmask_b32_e64 v11, 0, v2, s4
	v_cndmask_b32_e64 v12, 0x7ff80000, v12, s4
	global_store_b64 v[5:6], v[11:12], off
	s_or_b32 exec_lo, exec_lo, s5
	s_and_saveexec_b32 s4, s2
	s_cbranch_execz .LBB112_29
.LBB112_34:                             ;   in Loop: Header=BB112_4 Depth=1
	v_mul_f64 v[11:12], v[23:24], v[23:24]
	s_delay_alu instid0(VALU_DEP_3) | instskip(SKIP_4) | instid1(VALU_DEP_2)
	v_mul_f64 v[21:22], v[25:26], 0.5
	s_mov_b32 s54, s38
	v_cmp_class_f64_e64 s3, v[9:10], 0x1f8
	v_and_b32_e32 v2, 1, v39
	v_lshlrev_b32_e32 v9, 30, v39
	v_cmp_eq_u32_e64 s2, 0, v2
	s_delay_alu instid0(VALU_DEP_2) | instskip(NEXT) | instid1(VALU_DEP_1)
	v_xor_b32_e32 v9, v9, v10
	v_and_b32_e32 v9, 0x80000000, v9
	v_fma_f64 v[13:14], v[11:12], s[42:43], s[40:41]
	v_fma_f64 v[15:16], v[11:12], s[28:29], s[26:27]
	v_mul_f64 v[17:18], v[11:12], 0.5
	v_mul_f64 v[37:38], v[23:24], -v[11:12]
	s_delay_alu instid0(VALU_DEP_4) | instskip(NEXT) | instid1(VALU_DEP_4)
	v_fma_f64 v[13:14], v[11:12], v[13:14], s[44:45]
	v_fma_f64 v[15:16], v[11:12], v[15:16], s[30:31]
	s_delay_alu instid0(VALU_DEP_4) | instskip(NEXT) | instid1(VALU_DEP_3)
	v_add_f64 v[19:20], -v[17:18], 1.0
	v_fma_f64 v[13:14], v[11:12], v[13:14], s[46:47]
	s_delay_alu instid0(VALU_DEP_3) | instskip(NEXT) | instid1(VALU_DEP_3)
	v_fma_f64 v[15:16], v[11:12], v[15:16], s[34:35]
	v_add_f64 v[41:42], -v[19:20], 1.0
	s_delay_alu instid0(VALU_DEP_3) | instskip(NEXT) | instid1(VALU_DEP_3)
	v_fma_f64 v[13:14], v[11:12], v[13:14], s[48:49]
	v_fma_f64 v[15:16], v[11:12], v[15:16], s[36:37]
	s_delay_alu instid0(VALU_DEP_3) | instskip(NEXT) | instid1(VALU_DEP_3)
	v_add_f64 v[17:18], v[41:42], -v[17:18]
	v_fma_f64 v[13:14], v[37:38], v[13:14], v[21:22]
	v_mul_f64 v[21:22], v[11:12], v[11:12]
	s_delay_alu instid0(VALU_DEP_4) | instskip(NEXT) | instid1(VALU_DEP_4)
	v_fma_f64 v[15:16], v[11:12], v[15:16], s[38:39]
	v_fma_f64 v[17:18], v[23:24], -v[25:26], v[17:18]
	s_delay_alu instid0(VALU_DEP_4) | instskip(NEXT) | instid1(VALU_DEP_2)
	v_fma_f64 v[11:12], v[11:12], v[13:14], -v[25:26]
	v_fma_f64 v[13:14], v[21:22], v[15:16], v[17:18]
	s_delay_alu instid0(VALU_DEP_2) | instskip(NEXT) | instid1(VALU_DEP_2)
	v_fma_f64 v[11:12], v[37:38], s[54:55], v[11:12]
	v_add_f64 v[13:14], v[19:20], v[13:14]
	s_delay_alu instid0(VALU_DEP_2) | instskip(NEXT) | instid1(VALU_DEP_1)
	v_add_f64 v[11:12], v[23:24], -v[11:12]
	v_cndmask_b32_e64 v10, v14, v12, s2
	s_delay_alu instid0(VALU_DEP_2) | instskip(SKIP_1) | instid1(VALU_DEP_1)
	v_cndmask_b32_e64 v2, v13, v11, s2
	v_add_co_u32 v11, s2, v3, s58
	v_add_co_ci_u32_e64 v12, s2, 0, v4, s2
	s_delay_alu instid0(VALU_DEP_4) | instskip(NEXT) | instid1(VALU_DEP_4)
	v_xor_b32_e32 v10, v10, v9
	v_cndmask_b32_e64 v9, 0, v2, s3
	s_delay_alu instid0(VALU_DEP_2)
	v_cndmask_b32_e64 v10, 0x7ff80000, v10, s3
	global_store_b64 v[11:12], v[9:10], off
	s_or_b32 exec_lo, exec_lo, s4
	s_and_saveexec_b32 s3, vcc_lo
	s_cbranch_execz .LBB112_3
.LBB112_35:                             ;   in Loop: Header=BB112_4 Depth=1
	v_mul_f64 v[9:10], v[27:28], v[27:28]
	s_delay_alu instid0(VALU_DEP_2) | instskip(SKIP_4) | instid1(VALU_DEP_2)
	v_mul_f64 v[19:20], v[29:30], 0.5
	s_mov_b32 s54, s38
	v_cmp_class_f64_e64 s2, v[7:8], 0x1f8
	v_and_b32_e32 v2, 1, v40
	v_lshlrev_b32_e32 v7, 30, v40
	v_cmp_eq_u32_e32 vcc_lo, 0, v2
	s_delay_alu instid0(VALU_DEP_2) | instskip(SKIP_4) | instid1(VALU_DEP_4)
	v_xor_b32_e32 v7, v7, v8
	v_fma_f64 v[11:12], v[9:10], s[42:43], s[40:41]
	v_fma_f64 v[13:14], v[9:10], s[28:29], s[26:27]
	v_mul_f64 v[15:16], v[9:10], 0.5
	v_mul_f64 v[21:22], v[27:28], -v[9:10]
	v_fma_f64 v[11:12], v[9:10], v[11:12], s[44:45]
	s_delay_alu instid0(VALU_DEP_4) | instskip(NEXT) | instid1(VALU_DEP_4)
	v_fma_f64 v[13:14], v[9:10], v[13:14], s[30:31]
	v_add_f64 v[17:18], -v[15:16], 1.0
	s_delay_alu instid0(VALU_DEP_3) | instskip(NEXT) | instid1(VALU_DEP_3)
	v_fma_f64 v[11:12], v[9:10], v[11:12], s[46:47]
	v_fma_f64 v[13:14], v[9:10], v[13:14], s[34:35]
	s_delay_alu instid0(VALU_DEP_3) | instskip(NEXT) | instid1(VALU_DEP_3)
	v_add_f64 v[23:24], -v[17:18], 1.0
	v_fma_f64 v[11:12], v[9:10], v[11:12], s[48:49]
	s_delay_alu instid0(VALU_DEP_3) | instskip(NEXT) | instid1(VALU_DEP_3)
	v_fma_f64 v[13:14], v[9:10], v[13:14], s[36:37]
	v_add_f64 v[15:16], v[23:24], -v[15:16]
	s_delay_alu instid0(VALU_DEP_3) | instskip(SKIP_1) | instid1(VALU_DEP_4)
	v_fma_f64 v[11:12], v[21:22], v[11:12], v[19:20]
	v_mul_f64 v[19:20], v[9:10], v[9:10]
	v_fma_f64 v[13:14], v[9:10], v[13:14], s[38:39]
	s_delay_alu instid0(VALU_DEP_4) | instskip(NEXT) | instid1(VALU_DEP_4)
	v_fma_f64 v[15:16], v[27:28], -v[29:30], v[15:16]
	v_fma_f64 v[9:10], v[9:10], v[11:12], -v[29:30]
	s_delay_alu instid0(VALU_DEP_2) | instskip(NEXT) | instid1(VALU_DEP_2)
	v_fma_f64 v[11:12], v[19:20], v[13:14], v[15:16]
	v_fma_f64 v[9:10], v[21:22], s[54:55], v[9:10]
	s_delay_alu instid0(VALU_DEP_2) | instskip(NEXT) | instid1(VALU_DEP_2)
	v_add_f64 v[11:12], v[17:18], v[11:12]
	v_add_f64 v[9:10], v[27:28], -v[9:10]
	s_delay_alu instid0(VALU_DEP_1) | instskip(NEXT) | instid1(VALU_DEP_2)
	v_dual_cndmask_b32 v8, v12, v10 :: v_dual_and_b32 v7, 0x80000000, v7
	v_cndmask_b32_e32 v2, v11, v9, vcc_lo
	v_add_co_u32 v9, vcc_lo, v3, s56
	v_add_co_ci_u32_e32 v10, vcc_lo, 0, v4, vcc_lo
	s_delay_alu instid0(VALU_DEP_4) | instskip(NEXT) | instid1(VALU_DEP_4)
	v_xor_b32_e32 v8, v8, v7
	v_cndmask_b32_e64 v7, 0, v2, s2
	s_delay_alu instid0(VALU_DEP_2)
	v_cndmask_b32_e64 v8, 0x7ff80000, v8, s2
	global_store_b64 v[9:10], v[7:8], off
	s_branch .LBB112_3
.LBB112_36:
	s_cbranch_execz .LBB112_38
	s_branch .LBB112_57
.LBB112_37:
.LBB112_38:
	v_dual_mov_b32 v8, 0 :: v_dual_lshlrev_b32 v1, 2, v0
	s_mov_b32 s33, 0
	s_mov_b32 s2, exec_lo
	s_delay_alu instid0(VALU_DEP_1) | instskip(NEXT) | instid1(VALU_DEP_1)
	v_mov_b32_e32 v2, v8
	v_cmpx_gt_i64_e64 s[10:11], v[1:2]
	s_cbranch_execz .LBB112_57
; %bb.39:
	s_load_b32 s0, s[0:1], 0xd3c
	v_lshlrev_b32_e32 v1, 5, v0
	v_mov_b32_e32 v11, v8
	s_mov_b32 s16, 0x54442d18
	s_mov_b32 s22, 0x6dc9c883
	;; [unrolled: 1-line block ×17, first 2 shown]
	s_waitcnt lgkmcnt(0)
	s_and_b32 s0, s0, 0xffff
	s_mov_b32 s20, 0x33145c07
	s_lshl_b32 s52, s0, 2
	s_add_u32 s1, s8, s12
	v_add_lshl_u32 v10, v0, s0, 2
	s_addc_u32 s2, s9, s13
	v_add_co_u32 v0, s1, s1, v1
	s_delay_alu instid0(VALU_DEP_1) | instskip(SKIP_1) | instid1(VALU_DEP_2)
	v_add_co_ci_u32_e64 v1, null, s2, 0, s1
	s_mov_b32 s12, 0xa17f65f6
	v_add_co_u32 v12, vcc_lo, v0, 16
	s_delay_alu instid0(VALU_DEP_2)
	v_add_co_ci_u32_e32 v13, vcc_lo, 0, v1, vcc_lo
	s_mov_b32 s23, 0x3fe45f30
	s_mov_b32 s25, 0xbc91a626
	;; [unrolled: 1-line block ×5, first 2 shown]
	s_lshl_b32 s9, s0, 5
	s_mov_b32 s13, 0xbe927e4f
	s_mov_b32 s35, 0x3efa01a0
	;; [unrolled: 1-line block ×11, first 2 shown]
	s_branch .LBB112_41
.LBB112_40:                             ;   in Loop: Header=BB112_41 Depth=1
	s_or_b32 exec_lo, exec_lo, s0
	v_mul_f64 v[34:35], v[22:23], v[22:23]
	v_mul_f64 v[36:37], v[18:19], v[18:19]
	;; [unrolled: 1-line block ×4, first 2 shown]
	v_mul_f64 v[68:69], v[24:25], 0.5
	v_mul_f64 v[80:81], v[20:21], 0.5
	;; [unrolled: 1-line block ×4, first 2 shown]
	v_cmp_class_f64_e64 s0, v[0:1], 0x1f8
	v_cmp_class_f64_e64 s2, v[6:7], 0x1f8
	;; [unrolled: 1-line block ×4, first 2 shown]
	v_lshlrev_b32_e32 v0, 30, v32
	v_lshlrev_b32_e32 v2, 30, v31
	;; [unrolled: 1-line block ×4, first 2 shown]
	v_cmp_le_i64_e64 s7, s[10:11], v[10:11]
	v_xor_b32_e32 v0, v0, v1
	v_xor_b32_e32 v1, v2, v7
	;; [unrolled: 1-line block ×4, first 2 shown]
	v_cmp_lt_u64_e64 s8, 0xffff, v[10:11]
	v_and_b32_e32 v0, 0x80000000, v0
	v_and_b32_e32 v1, 0x80000000, v1
	;; [unrolled: 1-line block ×4, first 2 shown]
	v_fma_f64 v[40:41], v[34:35], s[40:41], s[38:39]
	v_mul_f64 v[44:45], v[34:35], 0.5
	v_fma_f64 v[46:47], v[36:37], s[40:41], s[38:39]
	v_fma_f64 v[48:49], v[38:39], s[40:41], s[38:39]
	;; [unrolled: 1-line block ×4, first 2 shown]
	v_mul_f64 v[54:55], v[36:37], 0.5
	v_fma_f64 v[56:57], v[36:37], s[30:31], s[28:29]
	v_mul_f64 v[60:61], v[38:39], 0.5
	v_fma_f64 v[62:63], v[38:39], s[30:31], s[28:29]
	v_fma_f64 v[64:65], v[42:43], s[30:31], s[28:29]
	v_mul_f64 v[66:67], v[42:43], 0.5
	v_mul_f64 v[70:71], v[22:23], -v[34:35]
	v_mul_f64 v[86:87], v[18:19], -v[36:37]
	;; [unrolled: 1-line block ×4, first 2 shown]
	v_fma_f64 v[40:41], v[34:35], v[40:41], s[42:43]
	v_add_f64 v[58:59], -v[44:45], 1.0
	v_fma_f64 v[46:47], v[36:37], v[46:47], s[42:43]
	v_fma_f64 v[48:49], v[38:39], v[48:49], s[42:43]
	;; [unrolled: 1-line block ×4, first 2 shown]
	v_add_f64 v[72:73], -v[54:55], 1.0
	v_fma_f64 v[56:57], v[36:37], v[56:57], s[12:13]
	v_add_f64 v[76:77], -v[60:61], 1.0
	v_fma_f64 v[62:63], v[38:39], v[62:63], s[12:13]
	v_fma_f64 v[64:65], v[42:43], v[64:65], s[12:13]
	v_add_f64 v[78:79], -v[66:67], 1.0
	v_fma_f64 v[40:41], v[34:35], v[40:41], s[44:45]
	v_add_f64 v[74:75], -v[58:59], 1.0
	v_fma_f64 v[46:47], v[36:37], v[46:47], s[44:45]
	v_fma_f64 v[48:49], v[38:39], v[48:49], s[44:45]
	;; [unrolled: 1-line block ×4, first 2 shown]
	v_add_f64 v[92:93], -v[72:73], 1.0
	v_fma_f64 v[56:57], v[36:37], v[56:57], s[34:35]
	v_fma_f64 v[62:63], v[38:39], v[62:63], s[34:35]
	;; [unrolled: 1-line block ×4, first 2 shown]
	v_add_f64 v[44:45], v[74:75], -v[44:45]
	v_add_f64 v[74:75], -v[76:77], 1.0
	v_fma_f64 v[46:47], v[36:37], v[46:47], s[46:47]
	v_fma_f64 v[48:49], v[38:39], v[48:49], s[46:47]
	v_fma_f64 v[50:51], v[42:43], v[50:51], s[46:47]
	v_fma_f64 v[52:53], v[34:35], v[52:53], s[36:37]
	v_fma_f64 v[56:57], v[36:37], v[56:57], s[36:37]
	v_add_f64 v[54:55], v[92:93], -v[54:55]
	v_fma_f64 v[62:63], v[38:39], v[62:63], s[36:37]
	v_fma_f64 v[64:65], v[42:43], v[64:65], s[36:37]
	;; [unrolled: 1-line block ×3, first 2 shown]
	v_add_f64 v[68:69], -v[78:79], 1.0
	v_add_f64 v[60:61], v[74:75], -v[60:61]
	v_fma_f64 v[46:47], v[86:87], v[46:47], v[80:81]
	v_fma_f64 v[48:49], v[88:89], v[48:49], v[82:83]
	;; [unrolled: 1-line block ×4, first 2 shown]
	v_fma_f64 v[44:45], v[22:23], -v[24:25], v[44:45]
	v_mul_f64 v[74:75], v[36:37], v[36:37]
	v_mul_f64 v[80:81], v[38:39], v[38:39]
	;; [unrolled: 1-line block ×3, first 2 shown]
	v_fma_f64 v[24:25], v[34:35], v[40:41], -v[24:25]
	v_add_f64 v[66:67], v[68:69], -v[66:67]
	v_mul_f64 v[68:69], v[34:35], v[34:35]
	v_fma_f64 v[34:35], v[36:37], v[56:57], s[48:49]
	v_fma_f64 v[40:41], v[18:19], -v[20:21], v[54:55]
	v_fma_f64 v[20:21], v[36:37], v[46:47], -v[20:21]
	v_fma_f64 v[36:37], v[38:39], v[62:63], s[48:49]
	v_fma_f64 v[46:47], v[14:15], -v[16:17], v[60:61]
	v_fma_f64 v[16:17], v[38:39], v[48:49], -v[16:17]
	v_fma_f64 v[38:39], v[42:43], v[64:65], s[48:49]
	v_fma_f64 v[24:25], v[70:71], s[50:51], v[24:25]
	v_fma_f64 v[48:49], v[26:27], -v[28:29], v[66:67]
	v_fma_f64 v[28:29], v[42:43], v[50:51], -v[28:29]
	v_fma_f64 v[42:43], v[68:69], v[52:53], v[44:45]
	v_fma_f64 v[34:35], v[74:75], v[34:35], v[40:41]
	v_fma_f64 v[20:21], v[86:87], s[50:51], v[20:21]
	v_fma_f64 v[36:37], v[80:81], v[36:37], v[46:47]
	v_fma_f64 v[16:17], v[88:89], s[50:51], v[16:17]
	v_add_f64 v[22:23], v[22:23], -v[24:25]
	v_fma_f64 v[38:39], v[82:83], v[38:39], v[48:49]
	v_fma_f64 v[28:29], v[90:91], s[50:51], v[28:29]
	v_add_f64 v[40:41], v[58:59], v[42:43]
	v_add_f64 v[24:25], v[72:73], v[34:35]
	v_add_f64 v[18:19], v[18:19], -v[20:21]
	v_and_b32_e32 v9, 1, v32
	v_add_f64 v[20:21], v[76:77], v[36:37]
	v_add_f64 v[14:15], v[14:15], -v[16:17]
	v_and_b32_e32 v34, 1, v33
	s_delay_alu instid0(VALU_DEP_4) | instskip(NEXT) | instid1(VALU_DEP_2)
	v_cmp_eq_u32_e32 vcc_lo, 0, v9
	v_cmp_eq_u32_e64 s5, 0, v34
	v_add_f64 v[16:17], v[78:79], v[38:39]
	v_add_f64 v[26:27], v[26:27], -v[28:29]
	v_cndmask_b32_e32 v4, v41, v23, vcc_lo
	v_dual_cndmask_b32 v9, v40, v22 :: v_dual_and_b32 v28, 1, v31
	v_and_b32_e32 v29, 1, v30
	v_add_co_u32 v10, vcc_lo, v10, s52
	s_delay_alu instid0(VALU_DEP_3) | instskip(SKIP_1) | instid1(VALU_DEP_4)
	v_cmp_eq_u32_e64 s1, 0, v28
	v_add_co_ci_u32_e32 v11, vcc_lo, 0, v11, vcc_lo
	v_cmp_eq_u32_e64 s3, 0, v29
	s_delay_alu instid0(VALU_DEP_3) | instskip(SKIP_1) | instid1(VALU_DEP_3)
	v_cndmask_b32_e64 v5, v25, v19, s1
	v_cndmask_b32_e64 v18, v24, v18, s1
	;; [unrolled: 1-line block ×4, first 2 shown]
	s_delay_alu instid0(VALU_DEP_4) | instskip(NEXT) | instid1(VALU_DEP_4)
	v_xor_b32_e32 v5, v5, v1
	v_cndmask_b32_e64 v6, 0, v18, s2
	v_cndmask_b32_e64 v15, v17, v27, s5
	v_xor_b32_e32 v17, v4, v0
	v_cndmask_b32_e64 v0, 0, v9, s0
	v_xor_b32_e32 v9, v7, v2
	;; [unrolled: 2-line block ×3, first 2 shown]
	v_cndmask_b32_e64 v4, 0, v14, s4
	v_cndmask_b32_e64 v7, 0x7ff80000, v5, s2
	v_cndmask_b32_e64 v5, 0x7ff80000, v9, s4
	v_cndmask_b32_e64 v2, 0, v16, s6
	v_cndmask_b32_e64 v1, 0x7ff80000, v17, s0
	v_cndmask_b32_e64 v3, 0x7ff80000, v3, s6
	s_clause 0x1
	global_store_b128 v[12:13], v[4:7], off offset:-16
	global_store_b128 v[12:13], v[0:3], off
	v_add_co_u32 v12, vcc_lo, v12, s9
	s_or_b32 s0, s7, s8
	v_add_co_ci_u32_e32 v13, vcc_lo, 0, v13, vcc_lo
	s_and_b32 s0, exec_lo, s0
	s_delay_alu instid0(SALU_CYCLE_1) | instskip(NEXT) | instid1(SALU_CYCLE_1)
	s_or_b32 s33, s0, s33
	s_and_not1_b32 exec_lo, exec_lo, s33
	s_cbranch_execz .LBB112_57
.LBB112_41:                             ; =>This Inner Loop Header: Depth=1
	s_clause 0x1
	global_load_b128 v[4:7], v[12:13], off offset:-16
	global_load_b128 v[0:3], v[12:13], off
	s_mov_b32 s1, exec_lo
                                        ; implicit-def: $vgpr30
                                        ; implicit-def: $vgpr14_vgpr15
                                        ; implicit-def: $vgpr16_vgpr17
	s_waitcnt vmcnt(1)
	v_cmpx_ngt_f64_e64 0x41d00000, |v[4:5]|
	s_xor_b32 s1, exec_lo, s1
	s_cbranch_execz .LBB112_43
; %bb.42:                               ;   in Loop: Header=BB112_41 Depth=1
	v_ldexp_f64 v[14:15], |v[4:5]|, 0xffffff80
	v_cmp_le_f64_e64 vcc_lo, 0x7b000000, |v[4:5]|
	v_trig_preop_f64 v[16:17], |v[4:5]|, 0
	v_and_b32_e32 v9, 0x7fffffff, v5
	v_trig_preop_f64 v[18:19], |v[4:5]|, 1
	v_trig_preop_f64 v[28:29], |v[4:5]|, 2
	s_mov_b32 s14, s16
	s_mov_b32 s21, s19
	v_dual_cndmask_b32 v14, v4, v14 :: v_dual_cndmask_b32 v15, v9, v15
	s_delay_alu instid0(VALU_DEP_1) | instskip(NEXT) | instid1(VALU_DEP_4)
	v_mul_f64 v[20:21], v[16:17], v[14:15]
	v_mul_f64 v[22:23], v[18:19], v[14:15]
	s_delay_alu instid0(VALU_DEP_2) | instskip(NEXT) | instid1(VALU_DEP_2)
	v_fma_f64 v[16:17], v[16:17], v[14:15], -v[20:21]
	v_fma_f64 v[18:19], v[18:19], v[14:15], -v[22:23]
	s_delay_alu instid0(VALU_DEP_2) | instskip(NEXT) | instid1(VALU_DEP_1)
	v_add_f64 v[24:25], v[22:23], v[16:17]
	v_add_f64 v[26:27], v[24:25], -v[22:23]
	v_add_f64 v[32:33], v[20:21], v[24:25]
	s_delay_alu instid0(VALU_DEP_2) | instskip(SKIP_1) | instid1(VALU_DEP_3)
	v_add_f64 v[30:31], v[24:25], -v[26:27]
	v_add_f64 v[16:17], v[16:17], -v[26:27]
	v_ldexp_f64 v[26:27], v[32:33], -2
	v_add_f64 v[20:21], v[32:33], -v[20:21]
	s_delay_alu instid0(VALU_DEP_4) | instskip(NEXT) | instid1(VALU_DEP_3)
	v_add_f64 v[22:23], v[22:23], -v[30:31]
	v_cmp_neq_f64_e64 vcc_lo, 0x7ff00000, |v[26:27]|
	s_delay_alu instid0(VALU_DEP_3) | instskip(NEXT) | instid1(VALU_DEP_3)
	v_add_f64 v[20:21], v[24:25], -v[20:21]
	v_add_f64 v[16:17], v[16:17], v[22:23]
	v_fract_f64_e32 v[22:23], v[26:27]
	s_delay_alu instid0(VALU_DEP_1) | instskip(SKIP_1) | instid1(VALU_DEP_3)
	v_cndmask_b32_e32 v22, 0, v22, vcc_lo
	v_mul_f64 v[34:35], v[28:29], v[14:15]
	v_cndmask_b32_e32 v23, 0, v23, vcc_lo
	s_delay_alu instid0(VALU_DEP_1) | instskip(NEXT) | instid1(VALU_DEP_3)
	v_ldexp_f64 v[22:23], v[22:23], 2
	v_add_f64 v[30:31], v[34:35], v[18:19]
	v_fma_f64 v[14:15], v[28:29], v[14:15], -v[34:35]
	s_delay_alu instid0(VALU_DEP_2) | instskip(NEXT) | instid1(VALU_DEP_1)
	v_add_f64 v[24:25], v[30:31], v[16:17]
	v_add_f64 v[26:27], v[20:21], v[24:25]
	v_add_f64 v[36:37], v[24:25], -v[30:31]
	s_delay_alu instid0(VALU_DEP_2) | instskip(NEXT) | instid1(VALU_DEP_2)
	v_add_f64 v[32:33], v[26:27], v[22:23]
	v_add_f64 v[42:43], v[24:25], -v[36:37]
	v_add_f64 v[16:17], v[16:17], -v[36:37]
	;; [unrolled: 1-line block ×3, first 2 shown]
	s_delay_alu instid0(VALU_DEP_4) | instskip(SKIP_1) | instid1(VALU_DEP_3)
	v_cmp_gt_f64_e32 vcc_lo, 0, v[32:33]
	v_add_f64 v[32:33], v[30:31], -v[34:35]
	v_add_f64 v[20:21], v[24:25], -v[20:21]
	v_cndmask_b32_e64 v9, 0, 0x40100000, vcc_lo
	s_delay_alu instid0(VALU_DEP_3) | instskip(SKIP_2) | instid1(VALU_DEP_4)
	v_add_f64 v[40:41], v[30:31], -v[32:33]
	v_add_f64 v[18:19], v[18:19], -v[32:33]
	;; [unrolled: 1-line block ×3, first 2 shown]
	v_add_f64 v[22:23], v[22:23], v[8:9]
	s_delay_alu instid0(VALU_DEP_4) | instskip(NEXT) | instid1(VALU_DEP_3)
	v_add_f64 v[32:33], v[34:35], -v[40:41]
	v_add_f64 v[16:17], v[16:17], v[30:31]
	s_delay_alu instid0(VALU_DEP_3) | instskip(NEXT) | instid1(VALU_DEP_3)
	v_add_f64 v[38:39], v[26:27], v[22:23]
	v_add_f64 v[18:19], v[18:19], v[32:33]
	s_delay_alu instid0(VALU_DEP_2) | instskip(NEXT) | instid1(VALU_DEP_2)
	v_cvt_i32_f64_e32 v9, v[38:39]
	v_add_f64 v[16:17], v[18:19], v[16:17]
	s_delay_alu instid0(VALU_DEP_2) | instskip(NEXT) | instid1(VALU_DEP_2)
	v_cvt_f64_i32_e32 v[36:37], v9
	v_add_f64 v[14:15], v[14:15], v[16:17]
	s_delay_alu instid0(VALU_DEP_2) | instskip(NEXT) | instid1(VALU_DEP_2)
	v_add_f64 v[22:23], v[22:23], -v[36:37]
	v_add_f64 v[14:15], v[20:21], v[14:15]
	s_delay_alu instid0(VALU_DEP_2) | instskip(NEXT) | instid1(VALU_DEP_1)
	v_add_f64 v[18:19], v[26:27], v[22:23]
	v_add_f64 v[16:17], v[18:19], -v[22:23]
	v_cmp_le_f64_e32 vcc_lo, 0.5, v[18:19]
	s_delay_alu instid0(VALU_DEP_2) | instskip(SKIP_2) | instid1(VALU_DEP_3)
	v_add_f64 v[16:17], v[26:27], -v[16:17]
	v_add_co_ci_u32_e64 v30, s0, 0, v9, vcc_lo
	v_cndmask_b32_e64 v9, 0, 0x3ff00000, vcc_lo
	v_add_f64 v[14:15], v[14:15], v[16:17]
	s_delay_alu instid0(VALU_DEP_2) | instskip(NEXT) | instid1(VALU_DEP_1)
	v_add_f64 v[16:17], v[18:19], -v[8:9]
	v_add_f64 v[18:19], v[16:17], v[14:15]
	s_delay_alu instid0(VALU_DEP_1) | instskip(SKIP_1) | instid1(VALU_DEP_2)
	v_mul_f64 v[20:21], v[18:19], s[14:15]
	v_add_f64 v[16:17], v[18:19], -v[16:17]
	v_fma_f64 v[22:23], v[18:19], s[14:15], -v[20:21]
	s_delay_alu instid0(VALU_DEP_2) | instskip(NEXT) | instid1(VALU_DEP_2)
	v_add_f64 v[14:15], v[14:15], -v[16:17]
	v_fma_f64 v[16:17], v[18:19], s[20:21], v[22:23]
	s_delay_alu instid0(VALU_DEP_1) | instskip(NEXT) | instid1(VALU_DEP_1)
	v_fma_f64 v[16:17], v[14:15], s[14:15], v[16:17]
	v_add_f64 v[14:15], v[20:21], v[16:17]
	s_delay_alu instid0(VALU_DEP_1) | instskip(NEXT) | instid1(VALU_DEP_1)
	v_add_f64 v[18:19], v[14:15], -v[20:21]
	v_add_f64 v[16:17], v[16:17], -v[18:19]
.LBB112_43:                             ;   in Loop: Header=BB112_41 Depth=1
	s_and_not1_saveexec_b32 s0, s1
	s_cbranch_execz .LBB112_45
; %bb.44:                               ;   in Loop: Header=BB112_41 Depth=1
	v_mul_f64 v[14:15], |v[4:5]|, s[22:23]
	s_mov_b32 s18, s24
	s_delay_alu instid0(VALU_DEP_1) | instskip(NEXT) | instid1(VALU_DEP_1)
	v_rndne_f64_e32 v[18:19], v[14:15]
	v_fma_f64 v[14:15], v[18:19], s[16:17], |v[4:5]|
	v_mul_f64 v[16:17], v[18:19], s[24:25]
	v_cvt_i32_f64_e32 v30, v[18:19]
	s_delay_alu instid0(VALU_DEP_3) | instskip(NEXT) | instid1(VALU_DEP_3)
	v_fma_f64 v[22:23], v[18:19], s[24:25], v[14:15]
	v_add_f64 v[20:21], v[14:15], v[16:17]
	s_delay_alu instid0(VALU_DEP_1) | instskip(NEXT) | instid1(VALU_DEP_3)
	v_add_f64 v[14:15], v[14:15], -v[20:21]
	v_add_f64 v[20:21], v[20:21], -v[22:23]
	s_delay_alu instid0(VALU_DEP_2) | instskip(SKIP_1) | instid1(VALU_DEP_2)
	v_add_f64 v[14:15], v[14:15], v[16:17]
	v_fma_f64 v[16:17], v[18:19], s[18:19], v[16:17]
	v_add_f64 v[14:15], v[20:21], v[14:15]
	s_delay_alu instid0(VALU_DEP_1) | instskip(NEXT) | instid1(VALU_DEP_1)
	v_add_f64 v[14:15], v[14:15], -v[16:17]
	v_fma_f64 v[16:17], v[18:19], s[26:27], v[14:15]
	s_delay_alu instid0(VALU_DEP_1) | instskip(NEXT) | instid1(VALU_DEP_1)
	v_add_f64 v[14:15], v[22:23], v[16:17]
	v_add_f64 v[20:21], v[14:15], -v[22:23]
	s_delay_alu instid0(VALU_DEP_1)
	v_add_f64 v[16:17], v[16:17], -v[20:21]
.LBB112_45:                             ;   in Loop: Header=BB112_41 Depth=1
	s_or_b32 exec_lo, exec_lo, s0
	s_delay_alu instid0(SALU_CYCLE_1)
	s_mov_b32 s1, exec_lo
                                        ; implicit-def: $vgpr31
                                        ; implicit-def: $vgpr18_vgpr19
                                        ; implicit-def: $vgpr20_vgpr21
	v_cmpx_ngt_f64_e64 0x41d00000, |v[6:7]|
	s_xor_b32 s1, exec_lo, s1
	s_cbranch_execz .LBB112_47
; %bb.46:                               ;   in Loop: Header=BB112_41 Depth=1
	v_ldexp_f64 v[18:19], |v[6:7]|, 0xffffff80
	v_cmp_le_f64_e64 vcc_lo, 0x7b000000, |v[6:7]|
	v_trig_preop_f64 v[20:21], |v[6:7]|, 0
	v_and_b32_e32 v9, 0x7fffffff, v7
	v_trig_preop_f64 v[22:23], |v[6:7]|, 1
	v_trig_preop_f64 v[33:34], |v[6:7]|, 2
	s_mov_b32 s14, s16
	s_mov_b32 s21, s19
	v_dual_cndmask_b32 v18, v6, v18 :: v_dual_cndmask_b32 v19, v9, v19
	s_delay_alu instid0(VALU_DEP_1) | instskip(NEXT) | instid1(VALU_DEP_4)
	v_mul_f64 v[24:25], v[20:21], v[18:19]
	v_mul_f64 v[26:27], v[22:23], v[18:19]
	s_delay_alu instid0(VALU_DEP_2) | instskip(NEXT) | instid1(VALU_DEP_2)
	v_fma_f64 v[20:21], v[20:21], v[18:19], -v[24:25]
	v_fma_f64 v[22:23], v[22:23], v[18:19], -v[26:27]
	s_delay_alu instid0(VALU_DEP_2) | instskip(NEXT) | instid1(VALU_DEP_1)
	v_add_f64 v[28:29], v[26:27], v[20:21]
	v_add_f64 v[31:32], v[28:29], -v[26:27]
	v_add_f64 v[37:38], v[24:25], v[28:29]
	s_delay_alu instid0(VALU_DEP_2) | instskip(SKIP_1) | instid1(VALU_DEP_3)
	v_add_f64 v[35:36], v[28:29], -v[31:32]
	v_add_f64 v[20:21], v[20:21], -v[31:32]
	v_ldexp_f64 v[31:32], v[37:38], -2
	v_add_f64 v[24:25], v[37:38], -v[24:25]
	s_delay_alu instid0(VALU_DEP_4) | instskip(NEXT) | instid1(VALU_DEP_3)
	v_add_f64 v[26:27], v[26:27], -v[35:36]
	v_cmp_neq_f64_e64 vcc_lo, 0x7ff00000, |v[31:32]|
	s_delay_alu instid0(VALU_DEP_3) | instskip(NEXT) | instid1(VALU_DEP_3)
	v_add_f64 v[24:25], v[28:29], -v[24:25]
	v_add_f64 v[20:21], v[20:21], v[26:27]
	v_fract_f64_e32 v[26:27], v[31:32]
	s_delay_alu instid0(VALU_DEP_1) | instskip(SKIP_1) | instid1(VALU_DEP_3)
	v_cndmask_b32_e32 v26, 0, v26, vcc_lo
	v_mul_f64 v[39:40], v[33:34], v[18:19]
	v_cndmask_b32_e32 v27, 0, v27, vcc_lo
	s_delay_alu instid0(VALU_DEP_1) | instskip(NEXT) | instid1(VALU_DEP_3)
	v_ldexp_f64 v[26:27], v[26:27], 2
	v_add_f64 v[35:36], v[39:40], v[22:23]
	v_fma_f64 v[18:19], v[33:34], v[18:19], -v[39:40]
	s_delay_alu instid0(VALU_DEP_2) | instskip(NEXT) | instid1(VALU_DEP_1)
	v_add_f64 v[28:29], v[35:36], v[20:21]
	v_add_f64 v[31:32], v[24:25], v[28:29]
	v_add_f64 v[41:42], v[28:29], -v[35:36]
	s_delay_alu instid0(VALU_DEP_2) | instskip(NEXT) | instid1(VALU_DEP_2)
	v_add_f64 v[37:38], v[31:32], v[26:27]
	v_add_f64 v[47:48], v[28:29], -v[41:42]
	v_add_f64 v[20:21], v[20:21], -v[41:42]
	;; [unrolled: 1-line block ×3, first 2 shown]
	s_delay_alu instid0(VALU_DEP_4) | instskip(SKIP_1) | instid1(VALU_DEP_3)
	v_cmp_gt_f64_e32 vcc_lo, 0, v[37:38]
	v_add_f64 v[37:38], v[35:36], -v[39:40]
	v_add_f64 v[24:25], v[28:29], -v[24:25]
	v_cndmask_b32_e64 v9, 0, 0x40100000, vcc_lo
	s_delay_alu instid0(VALU_DEP_3) | instskip(SKIP_2) | instid1(VALU_DEP_4)
	v_add_f64 v[45:46], v[35:36], -v[37:38]
	v_add_f64 v[22:23], v[22:23], -v[37:38]
	;; [unrolled: 1-line block ×3, first 2 shown]
	v_add_f64 v[26:27], v[26:27], v[8:9]
	s_delay_alu instid0(VALU_DEP_4) | instskip(NEXT) | instid1(VALU_DEP_3)
	v_add_f64 v[37:38], v[39:40], -v[45:46]
	v_add_f64 v[20:21], v[20:21], v[35:36]
	s_delay_alu instid0(VALU_DEP_3) | instskip(NEXT) | instid1(VALU_DEP_3)
	v_add_f64 v[43:44], v[31:32], v[26:27]
	v_add_f64 v[22:23], v[22:23], v[37:38]
	s_delay_alu instid0(VALU_DEP_2) | instskip(NEXT) | instid1(VALU_DEP_2)
	v_cvt_i32_f64_e32 v9, v[43:44]
	v_add_f64 v[20:21], v[22:23], v[20:21]
	s_delay_alu instid0(VALU_DEP_2) | instskip(NEXT) | instid1(VALU_DEP_2)
	v_cvt_f64_i32_e32 v[41:42], v9
	v_add_f64 v[18:19], v[18:19], v[20:21]
	s_delay_alu instid0(VALU_DEP_2) | instskip(NEXT) | instid1(VALU_DEP_2)
	v_add_f64 v[26:27], v[26:27], -v[41:42]
	v_add_f64 v[18:19], v[24:25], v[18:19]
	s_delay_alu instid0(VALU_DEP_2) | instskip(NEXT) | instid1(VALU_DEP_1)
	v_add_f64 v[22:23], v[31:32], v[26:27]
	v_add_f64 v[20:21], v[22:23], -v[26:27]
	v_cmp_le_f64_e32 vcc_lo, 0.5, v[22:23]
	s_delay_alu instid0(VALU_DEP_2) | instskip(SKIP_2) | instid1(VALU_DEP_3)
	v_add_f64 v[20:21], v[31:32], -v[20:21]
	v_add_co_ci_u32_e64 v31, s0, 0, v9, vcc_lo
	v_cndmask_b32_e64 v9, 0, 0x3ff00000, vcc_lo
	v_add_f64 v[18:19], v[18:19], v[20:21]
	s_delay_alu instid0(VALU_DEP_2) | instskip(NEXT) | instid1(VALU_DEP_1)
	v_add_f64 v[20:21], v[22:23], -v[8:9]
	v_add_f64 v[22:23], v[20:21], v[18:19]
	s_delay_alu instid0(VALU_DEP_1) | instskip(SKIP_1) | instid1(VALU_DEP_2)
	v_mul_f64 v[24:25], v[22:23], s[14:15]
	v_add_f64 v[20:21], v[22:23], -v[20:21]
	v_fma_f64 v[26:27], v[22:23], s[14:15], -v[24:25]
	s_delay_alu instid0(VALU_DEP_2) | instskip(NEXT) | instid1(VALU_DEP_2)
	v_add_f64 v[18:19], v[18:19], -v[20:21]
	v_fma_f64 v[20:21], v[22:23], s[20:21], v[26:27]
	s_delay_alu instid0(VALU_DEP_1) | instskip(NEXT) | instid1(VALU_DEP_1)
	v_fma_f64 v[20:21], v[18:19], s[14:15], v[20:21]
	v_add_f64 v[18:19], v[24:25], v[20:21]
	s_delay_alu instid0(VALU_DEP_1) | instskip(NEXT) | instid1(VALU_DEP_1)
	v_add_f64 v[22:23], v[18:19], -v[24:25]
	v_add_f64 v[20:21], v[20:21], -v[22:23]
.LBB112_47:                             ;   in Loop: Header=BB112_41 Depth=1
	s_and_not1_saveexec_b32 s0, s1
	s_cbranch_execz .LBB112_49
; %bb.48:                               ;   in Loop: Header=BB112_41 Depth=1
	v_mul_f64 v[18:19], |v[6:7]|, s[22:23]
	s_mov_b32 s18, s24
	s_delay_alu instid0(VALU_DEP_1) | instskip(NEXT) | instid1(VALU_DEP_1)
	v_rndne_f64_e32 v[22:23], v[18:19]
	v_fma_f64 v[18:19], v[22:23], s[16:17], |v[6:7]|
	v_mul_f64 v[20:21], v[22:23], s[24:25]
	v_cvt_i32_f64_e32 v31, v[22:23]
	s_delay_alu instid0(VALU_DEP_3) | instskip(NEXT) | instid1(VALU_DEP_3)
	v_fma_f64 v[26:27], v[22:23], s[24:25], v[18:19]
	v_add_f64 v[24:25], v[18:19], v[20:21]
	s_delay_alu instid0(VALU_DEP_1) | instskip(NEXT) | instid1(VALU_DEP_3)
	v_add_f64 v[18:19], v[18:19], -v[24:25]
	v_add_f64 v[24:25], v[24:25], -v[26:27]
	s_delay_alu instid0(VALU_DEP_2) | instskip(SKIP_1) | instid1(VALU_DEP_2)
	v_add_f64 v[18:19], v[18:19], v[20:21]
	v_fma_f64 v[20:21], v[22:23], s[18:19], v[20:21]
	v_add_f64 v[18:19], v[24:25], v[18:19]
	s_delay_alu instid0(VALU_DEP_1) | instskip(NEXT) | instid1(VALU_DEP_1)
	v_add_f64 v[18:19], v[18:19], -v[20:21]
	v_fma_f64 v[20:21], v[22:23], s[26:27], v[18:19]
	s_delay_alu instid0(VALU_DEP_1) | instskip(NEXT) | instid1(VALU_DEP_1)
	v_add_f64 v[18:19], v[26:27], v[20:21]
	v_add_f64 v[24:25], v[18:19], -v[26:27]
	s_delay_alu instid0(VALU_DEP_1)
	v_add_f64 v[20:21], v[20:21], -v[24:25]
.LBB112_49:                             ;   in Loop: Header=BB112_41 Depth=1
	s_or_b32 exec_lo, exec_lo, s0
	s_delay_alu instid0(SALU_CYCLE_1)
	s_mov_b32 s1, exec_lo
                                        ; implicit-def: $vgpr32
                                        ; implicit-def: $vgpr22_vgpr23
                                        ; implicit-def: $vgpr24_vgpr25
	s_waitcnt vmcnt(0)
	v_cmpx_ngt_f64_e64 0x41d00000, |v[0:1]|
	s_xor_b32 s1, exec_lo, s1
	s_cbranch_execz .LBB112_51
; %bb.50:                               ;   in Loop: Header=BB112_41 Depth=1
	v_ldexp_f64 v[22:23], |v[0:1]|, 0xffffff80
	v_cmp_le_f64_e64 vcc_lo, 0x7b000000, |v[0:1]|
	v_trig_preop_f64 v[24:25], |v[0:1]|, 0
	v_and_b32_e32 v9, 0x7fffffff, v1
	v_trig_preop_f64 v[26:27], |v[0:1]|, 1
	v_trig_preop_f64 v[38:39], |v[0:1]|, 2
	s_mov_b32 s14, s16
	s_mov_b32 s21, s19
	v_dual_cndmask_b32 v22, v0, v22 :: v_dual_cndmask_b32 v23, v9, v23
	s_delay_alu instid0(VALU_DEP_1) | instskip(NEXT) | instid1(VALU_DEP_4)
	v_mul_f64 v[28:29], v[24:25], v[22:23]
	v_mul_f64 v[32:33], v[26:27], v[22:23]
	s_delay_alu instid0(VALU_DEP_2) | instskip(NEXT) | instid1(VALU_DEP_2)
	v_fma_f64 v[24:25], v[24:25], v[22:23], -v[28:29]
	v_fma_f64 v[26:27], v[26:27], v[22:23], -v[32:33]
	s_delay_alu instid0(VALU_DEP_2) | instskip(NEXT) | instid1(VALU_DEP_1)
	v_add_f64 v[34:35], v[32:33], v[24:25]
	v_add_f64 v[36:37], v[34:35], -v[32:33]
	v_add_f64 v[42:43], v[28:29], v[34:35]
	s_delay_alu instid0(VALU_DEP_2) | instskip(SKIP_1) | instid1(VALU_DEP_3)
	v_add_f64 v[40:41], v[34:35], -v[36:37]
	v_add_f64 v[24:25], v[24:25], -v[36:37]
	v_ldexp_f64 v[36:37], v[42:43], -2
	v_add_f64 v[28:29], v[42:43], -v[28:29]
	s_delay_alu instid0(VALU_DEP_4) | instskip(NEXT) | instid1(VALU_DEP_3)
	v_add_f64 v[32:33], v[32:33], -v[40:41]
	v_cmp_neq_f64_e64 vcc_lo, 0x7ff00000, |v[36:37]|
	s_delay_alu instid0(VALU_DEP_3) | instskip(NEXT) | instid1(VALU_DEP_3)
	v_add_f64 v[28:29], v[34:35], -v[28:29]
	v_add_f64 v[24:25], v[24:25], v[32:33]
	v_fract_f64_e32 v[32:33], v[36:37]
	s_delay_alu instid0(VALU_DEP_1) | instskip(SKIP_1) | instid1(VALU_DEP_3)
	v_cndmask_b32_e32 v32, 0, v32, vcc_lo
	v_mul_f64 v[44:45], v[38:39], v[22:23]
	v_cndmask_b32_e32 v33, 0, v33, vcc_lo
	s_delay_alu instid0(VALU_DEP_1) | instskip(NEXT) | instid1(VALU_DEP_3)
	v_ldexp_f64 v[32:33], v[32:33], 2
	v_add_f64 v[40:41], v[44:45], v[26:27]
	v_fma_f64 v[22:23], v[38:39], v[22:23], -v[44:45]
	s_delay_alu instid0(VALU_DEP_2) | instskip(NEXT) | instid1(VALU_DEP_1)
	v_add_f64 v[34:35], v[40:41], v[24:25]
	v_add_f64 v[36:37], v[28:29], v[34:35]
	v_add_f64 v[46:47], v[34:35], -v[40:41]
	s_delay_alu instid0(VALU_DEP_2) | instskip(NEXT) | instid1(VALU_DEP_2)
	v_add_f64 v[42:43], v[36:37], v[32:33]
	v_add_f64 v[52:53], v[34:35], -v[46:47]
	v_add_f64 v[24:25], v[24:25], -v[46:47]
	;; [unrolled: 1-line block ×3, first 2 shown]
	s_delay_alu instid0(VALU_DEP_4) | instskip(SKIP_1) | instid1(VALU_DEP_3)
	v_cmp_gt_f64_e32 vcc_lo, 0, v[42:43]
	v_add_f64 v[42:43], v[40:41], -v[44:45]
	v_add_f64 v[28:29], v[34:35], -v[28:29]
	v_cndmask_b32_e64 v9, 0, 0x40100000, vcc_lo
	s_delay_alu instid0(VALU_DEP_3) | instskip(SKIP_2) | instid1(VALU_DEP_4)
	v_add_f64 v[50:51], v[40:41], -v[42:43]
	v_add_f64 v[26:27], v[26:27], -v[42:43]
	;; [unrolled: 1-line block ×3, first 2 shown]
	v_add_f64 v[32:33], v[32:33], v[8:9]
	s_delay_alu instid0(VALU_DEP_4) | instskip(NEXT) | instid1(VALU_DEP_3)
	v_add_f64 v[42:43], v[44:45], -v[50:51]
	v_add_f64 v[24:25], v[24:25], v[40:41]
	s_delay_alu instid0(VALU_DEP_3) | instskip(NEXT) | instid1(VALU_DEP_3)
	v_add_f64 v[48:49], v[36:37], v[32:33]
	v_add_f64 v[26:27], v[26:27], v[42:43]
	s_delay_alu instid0(VALU_DEP_2) | instskip(NEXT) | instid1(VALU_DEP_2)
	v_cvt_i32_f64_e32 v9, v[48:49]
	v_add_f64 v[24:25], v[26:27], v[24:25]
	s_delay_alu instid0(VALU_DEP_2) | instskip(NEXT) | instid1(VALU_DEP_2)
	v_cvt_f64_i32_e32 v[46:47], v9
	v_add_f64 v[22:23], v[22:23], v[24:25]
	s_delay_alu instid0(VALU_DEP_2) | instskip(NEXT) | instid1(VALU_DEP_2)
	v_add_f64 v[32:33], v[32:33], -v[46:47]
	v_add_f64 v[22:23], v[28:29], v[22:23]
	s_delay_alu instid0(VALU_DEP_2) | instskip(NEXT) | instid1(VALU_DEP_1)
	v_add_f64 v[26:27], v[36:37], v[32:33]
	v_add_f64 v[24:25], v[26:27], -v[32:33]
	v_cmp_le_f64_e32 vcc_lo, 0.5, v[26:27]
	s_delay_alu instid0(VALU_DEP_2) | instskip(SKIP_2) | instid1(VALU_DEP_3)
	v_add_f64 v[24:25], v[36:37], -v[24:25]
	v_add_co_ci_u32_e64 v32, s0, 0, v9, vcc_lo
	v_cndmask_b32_e64 v9, 0, 0x3ff00000, vcc_lo
	v_add_f64 v[22:23], v[22:23], v[24:25]
	s_delay_alu instid0(VALU_DEP_2) | instskip(NEXT) | instid1(VALU_DEP_1)
	v_add_f64 v[24:25], v[26:27], -v[8:9]
	v_add_f64 v[26:27], v[24:25], v[22:23]
	s_delay_alu instid0(VALU_DEP_1) | instskip(SKIP_1) | instid1(VALU_DEP_2)
	v_mul_f64 v[28:29], v[26:27], s[14:15]
	v_add_f64 v[24:25], v[26:27], -v[24:25]
	v_fma_f64 v[33:34], v[26:27], s[14:15], -v[28:29]
	s_delay_alu instid0(VALU_DEP_2) | instskip(NEXT) | instid1(VALU_DEP_2)
	v_add_f64 v[22:23], v[22:23], -v[24:25]
	v_fma_f64 v[24:25], v[26:27], s[20:21], v[33:34]
	s_delay_alu instid0(VALU_DEP_1) | instskip(NEXT) | instid1(VALU_DEP_1)
	v_fma_f64 v[24:25], v[22:23], s[14:15], v[24:25]
	v_add_f64 v[22:23], v[28:29], v[24:25]
	s_delay_alu instid0(VALU_DEP_1) | instskip(NEXT) | instid1(VALU_DEP_1)
	v_add_f64 v[26:27], v[22:23], -v[28:29]
	v_add_f64 v[24:25], v[24:25], -v[26:27]
.LBB112_51:                             ;   in Loop: Header=BB112_41 Depth=1
	s_and_not1_saveexec_b32 s0, s1
	s_cbranch_execz .LBB112_53
; %bb.52:                               ;   in Loop: Header=BB112_41 Depth=1
	v_mul_f64 v[22:23], |v[0:1]|, s[22:23]
	s_mov_b32 s18, s24
	s_delay_alu instid0(VALU_DEP_1) | instskip(NEXT) | instid1(VALU_DEP_1)
	v_rndne_f64_e32 v[26:27], v[22:23]
	v_fma_f64 v[22:23], v[26:27], s[16:17], |v[0:1]|
	v_mul_f64 v[24:25], v[26:27], s[24:25]
	s_delay_alu instid0(VALU_DEP_2) | instskip(NEXT) | instid1(VALU_DEP_2)
	v_fma_f64 v[32:33], v[26:27], s[24:25], v[22:23]
	v_add_f64 v[28:29], v[22:23], v[24:25]
	s_delay_alu instid0(VALU_DEP_1) | instskip(NEXT) | instid1(VALU_DEP_3)
	v_add_f64 v[22:23], v[22:23], -v[28:29]
	v_add_f64 v[28:29], v[28:29], -v[32:33]
	s_delay_alu instid0(VALU_DEP_2) | instskip(SKIP_1) | instid1(VALU_DEP_2)
	v_add_f64 v[22:23], v[22:23], v[24:25]
	v_fma_f64 v[24:25], v[26:27], s[18:19], v[24:25]
	v_add_f64 v[22:23], v[28:29], v[22:23]
	s_delay_alu instid0(VALU_DEP_1) | instskip(NEXT) | instid1(VALU_DEP_1)
	v_add_f64 v[22:23], v[22:23], -v[24:25]
	v_fma_f64 v[24:25], v[26:27], s[26:27], v[22:23]
	s_delay_alu instid0(VALU_DEP_1) | instskip(NEXT) | instid1(VALU_DEP_1)
	v_add_f64 v[22:23], v[32:33], v[24:25]
	v_add_f64 v[28:29], v[22:23], -v[32:33]
	v_cvt_i32_f64_e32 v32, v[26:27]
	s_delay_alu instid0(VALU_DEP_2)
	v_add_f64 v[24:25], v[24:25], -v[28:29]
.LBB112_53:                             ;   in Loop: Header=BB112_41 Depth=1
	s_or_b32 exec_lo, exec_lo, s0
	s_delay_alu instid0(SALU_CYCLE_1)
	s_mov_b32 s1, exec_lo
                                        ; implicit-def: $vgpr33
                                        ; implicit-def: $vgpr26_vgpr27
                                        ; implicit-def: $vgpr28_vgpr29
	v_cmpx_ngt_f64_e64 0x41d00000, |v[2:3]|
	s_xor_b32 s1, exec_lo, s1
	s_cbranch_execz .LBB112_55
; %bb.54:                               ;   in Loop: Header=BB112_41 Depth=1
	v_ldexp_f64 v[26:27], |v[2:3]|, 0xffffff80
	v_cmp_le_f64_e64 vcc_lo, 0x7b000000, |v[2:3]|
	v_trig_preop_f64 v[28:29], |v[2:3]|, 0
	v_and_b32_e32 v9, 0x7fffffff, v3
	v_trig_preop_f64 v[33:34], |v[2:3]|, 1
	v_trig_preop_f64 v[43:44], |v[2:3]|, 2
	s_mov_b32 s14, s16
	s_mov_b32 s21, s19
	v_dual_cndmask_b32 v26, v2, v26 :: v_dual_cndmask_b32 v27, v9, v27
	s_delay_alu instid0(VALU_DEP_1) | instskip(NEXT) | instid1(VALU_DEP_4)
	v_mul_f64 v[35:36], v[28:29], v[26:27]
	v_mul_f64 v[37:38], v[33:34], v[26:27]
	s_delay_alu instid0(VALU_DEP_2) | instskip(NEXT) | instid1(VALU_DEP_2)
	v_fma_f64 v[28:29], v[28:29], v[26:27], -v[35:36]
	v_fma_f64 v[33:34], v[33:34], v[26:27], -v[37:38]
	s_delay_alu instid0(VALU_DEP_2) | instskip(NEXT) | instid1(VALU_DEP_1)
	v_add_f64 v[39:40], v[37:38], v[28:29]
	v_add_f64 v[41:42], v[39:40], -v[37:38]
	v_add_f64 v[47:48], v[35:36], v[39:40]
	s_delay_alu instid0(VALU_DEP_2) | instskip(SKIP_1) | instid1(VALU_DEP_3)
	v_add_f64 v[45:46], v[39:40], -v[41:42]
	v_add_f64 v[28:29], v[28:29], -v[41:42]
	v_ldexp_f64 v[41:42], v[47:48], -2
	v_add_f64 v[35:36], v[47:48], -v[35:36]
	s_delay_alu instid0(VALU_DEP_4) | instskip(NEXT) | instid1(VALU_DEP_3)
	v_add_f64 v[37:38], v[37:38], -v[45:46]
	v_cmp_neq_f64_e64 vcc_lo, 0x7ff00000, |v[41:42]|
	s_delay_alu instid0(VALU_DEP_3) | instskip(NEXT) | instid1(VALU_DEP_3)
	v_add_f64 v[35:36], v[39:40], -v[35:36]
	v_add_f64 v[28:29], v[28:29], v[37:38]
	v_fract_f64_e32 v[37:38], v[41:42]
	s_delay_alu instid0(VALU_DEP_1) | instskip(SKIP_1) | instid1(VALU_DEP_3)
	v_cndmask_b32_e32 v38, 0, v38, vcc_lo
	v_mul_f64 v[49:50], v[43:44], v[26:27]
	v_cndmask_b32_e32 v37, 0, v37, vcc_lo
	s_delay_alu instid0(VALU_DEP_1) | instskip(NEXT) | instid1(VALU_DEP_3)
	v_ldexp_f64 v[37:38], v[37:38], 2
	v_add_f64 v[45:46], v[49:50], v[33:34]
	v_fma_f64 v[26:27], v[43:44], v[26:27], -v[49:50]
	s_delay_alu instid0(VALU_DEP_2) | instskip(NEXT) | instid1(VALU_DEP_1)
	v_add_f64 v[39:40], v[45:46], v[28:29]
	v_add_f64 v[41:42], v[35:36], v[39:40]
	v_add_f64 v[51:52], v[39:40], -v[45:46]
	s_delay_alu instid0(VALU_DEP_2) | instskip(NEXT) | instid1(VALU_DEP_2)
	v_add_f64 v[47:48], v[41:42], v[37:38]
	v_add_f64 v[57:58], v[39:40], -v[51:52]
	v_add_f64 v[28:29], v[28:29], -v[51:52]
	;; [unrolled: 1-line block ×3, first 2 shown]
	s_delay_alu instid0(VALU_DEP_4) | instskip(SKIP_2) | instid1(VALU_DEP_2)
	v_cmp_gt_f64_e32 vcc_lo, 0, v[47:48]
	v_add_f64 v[47:48], v[45:46], -v[49:50]
	v_cndmask_b32_e64 v9, 0, 0x40100000, vcc_lo
	v_add_f64 v[55:56], v[45:46], -v[47:48]
	v_add_f64 v[33:34], v[33:34], -v[47:48]
	v_add_f64 v[45:46], v[45:46], -v[57:58]
	s_delay_alu instid0(VALU_DEP_4) | instskip(NEXT) | instid1(VALU_DEP_4)
	v_add_f64 v[37:38], v[37:38], v[8:9]
	v_add_f64 v[47:48], v[49:50], -v[55:56]
	s_delay_alu instid0(VALU_DEP_3) | instskip(NEXT) | instid1(VALU_DEP_3)
	v_add_f64 v[28:29], v[28:29], v[45:46]
	v_add_f64 v[53:54], v[41:42], v[37:38]
	s_delay_alu instid0(VALU_DEP_3) | instskip(NEXT) | instid1(VALU_DEP_2)
	v_add_f64 v[33:34], v[33:34], v[47:48]
	v_cvt_i32_f64_e32 v9, v[53:54]
	s_delay_alu instid0(VALU_DEP_2) | instskip(SKIP_1) | instid1(VALU_DEP_3)
	v_add_f64 v[28:29], v[33:34], v[28:29]
	v_add_f64 v[33:34], v[39:40], -v[35:36]
	v_cvt_f64_i32_e32 v[51:52], v9
	s_delay_alu instid0(VALU_DEP_3) | instskip(NEXT) | instid1(VALU_DEP_2)
	v_add_f64 v[26:27], v[26:27], v[28:29]
	v_add_f64 v[37:38], v[37:38], -v[51:52]
	s_delay_alu instid0(VALU_DEP_2) | instskip(NEXT) | instid1(VALU_DEP_2)
	v_add_f64 v[26:27], v[33:34], v[26:27]
	v_add_f64 v[43:44], v[41:42], v[37:38]
	s_delay_alu instid0(VALU_DEP_1) | instskip(SKIP_1) | instid1(VALU_DEP_2)
	v_add_f64 v[28:29], v[43:44], -v[37:38]
	v_cmp_le_f64_e32 vcc_lo, 0.5, v[43:44]
	v_add_f64 v[28:29], v[41:42], -v[28:29]
	v_add_co_ci_u32_e64 v33, s0, 0, v9, vcc_lo
	v_cndmask_b32_e64 v9, 0, 0x3ff00000, vcc_lo
	s_delay_alu instid0(VALU_DEP_3) | instskip(NEXT) | instid1(VALU_DEP_2)
	v_add_f64 v[26:27], v[26:27], v[28:29]
	v_add_f64 v[28:29], v[43:44], -v[8:9]
	s_delay_alu instid0(VALU_DEP_1) | instskip(NEXT) | instid1(VALU_DEP_1)
	v_add_f64 v[34:35], v[28:29], v[26:27]
	v_mul_f64 v[36:37], v[34:35], s[14:15]
	v_add_f64 v[28:29], v[34:35], -v[28:29]
	s_delay_alu instid0(VALU_DEP_2) | instskip(NEXT) | instid1(VALU_DEP_2)
	v_fma_f64 v[38:39], v[34:35], s[14:15], -v[36:37]
	v_add_f64 v[26:27], v[26:27], -v[28:29]
	s_delay_alu instid0(VALU_DEP_2) | instskip(NEXT) | instid1(VALU_DEP_1)
	v_fma_f64 v[28:29], v[34:35], s[20:21], v[38:39]
	v_fma_f64 v[28:29], v[26:27], s[14:15], v[28:29]
	s_delay_alu instid0(VALU_DEP_1) | instskip(NEXT) | instid1(VALU_DEP_1)
	v_add_f64 v[26:27], v[36:37], v[28:29]
	v_add_f64 v[34:35], v[26:27], -v[36:37]
	s_delay_alu instid0(VALU_DEP_1)
	v_add_f64 v[28:29], v[28:29], -v[34:35]
.LBB112_55:                             ;   in Loop: Header=BB112_41 Depth=1
	s_and_not1_saveexec_b32 s0, s1
	s_cbranch_execz .LBB112_40
; %bb.56:                               ;   in Loop: Header=BB112_41 Depth=1
	v_mul_f64 v[26:27], |v[2:3]|, s[22:23]
	s_mov_b32 s18, s24
	s_delay_alu instid0(VALU_DEP_1) | instskip(NEXT) | instid1(VALU_DEP_1)
	v_rndne_f64_e32 v[33:34], v[26:27]
	v_fma_f64 v[26:27], v[33:34], s[16:17], |v[2:3]|
	v_mul_f64 v[28:29], v[33:34], s[24:25]
	s_delay_alu instid0(VALU_DEP_2) | instskip(NEXT) | instid1(VALU_DEP_2)
	v_fma_f64 v[37:38], v[33:34], s[24:25], v[26:27]
	v_add_f64 v[35:36], v[26:27], v[28:29]
	s_delay_alu instid0(VALU_DEP_1) | instskip(NEXT) | instid1(VALU_DEP_3)
	v_add_f64 v[26:27], v[26:27], -v[35:36]
	v_add_f64 v[35:36], v[35:36], -v[37:38]
	s_delay_alu instid0(VALU_DEP_2) | instskip(SKIP_1) | instid1(VALU_DEP_2)
	v_add_f64 v[26:27], v[26:27], v[28:29]
	v_fma_f64 v[28:29], v[33:34], s[18:19], v[28:29]
	v_add_f64 v[26:27], v[35:36], v[26:27]
	s_delay_alu instid0(VALU_DEP_1) | instskip(NEXT) | instid1(VALU_DEP_1)
	v_add_f64 v[26:27], v[26:27], -v[28:29]
	v_fma_f64 v[28:29], v[33:34], s[26:27], v[26:27]
	v_cvt_i32_f64_e32 v33, v[33:34]
	s_delay_alu instid0(VALU_DEP_2) | instskip(NEXT) | instid1(VALU_DEP_1)
	v_add_f64 v[26:27], v[37:38], v[28:29]
	v_add_f64 v[35:36], v[26:27], -v[37:38]
	s_delay_alu instid0(VALU_DEP_1)
	v_add_f64 v[28:29], v[28:29], -v[35:36]
	s_branch .LBB112_40
.LBB112_57:
	s_nop 0
	s_sendmsg sendmsg(MSG_DEALLOC_VGPRS)
	s_endpgm
	.section	.rodata,"a",@progbits
	.p2align	6, 0x0
	.amdhsa_kernel _ZN2at6native12_GLOBAL__N_125multi_tensor_apply_kernelINS1_18TensorListMetadataILi1EEENS1_14UnaryOpFunctorIdLi1ELi1ELi0EEEJNS0_3SinIdEEEEEvT_T0_DpT1_
		.amdhsa_group_segment_fixed_size 0
		.amdhsa_private_segment_fixed_size 0
		.amdhsa_kernarg_size 3632
		.amdhsa_user_sgpr_count 15
		.amdhsa_user_sgpr_dispatch_ptr 0
		.amdhsa_user_sgpr_queue_ptr 0
		.amdhsa_user_sgpr_kernarg_segment_ptr 1
		.amdhsa_user_sgpr_dispatch_id 0
		.amdhsa_user_sgpr_private_segment_size 0
		.amdhsa_wavefront_size32 1
		.amdhsa_uses_dynamic_stack 0
		.amdhsa_enable_private_segment 0
		.amdhsa_system_sgpr_workgroup_id_x 1
		.amdhsa_system_sgpr_workgroup_id_y 0
		.amdhsa_system_sgpr_workgroup_id_z 0
		.amdhsa_system_sgpr_workgroup_info 0
		.amdhsa_system_vgpr_workitem_id 0
		.amdhsa_next_free_vgpr 94
		.amdhsa_next_free_sgpr 59
		.amdhsa_reserve_vcc 1
		.amdhsa_float_round_mode_32 0
		.amdhsa_float_round_mode_16_64 0
		.amdhsa_float_denorm_mode_32 3
		.amdhsa_float_denorm_mode_16_64 3
		.amdhsa_dx10_clamp 1
		.amdhsa_ieee_mode 1
		.amdhsa_fp16_overflow 0
		.amdhsa_workgroup_processor_mode 1
		.amdhsa_memory_ordered 1
		.amdhsa_forward_progress 0
		.amdhsa_shared_vgpr_count 0
		.amdhsa_exception_fp_ieee_invalid_op 0
		.amdhsa_exception_fp_denorm_src 0
		.amdhsa_exception_fp_ieee_div_zero 0
		.amdhsa_exception_fp_ieee_overflow 0
		.amdhsa_exception_fp_ieee_underflow 0
		.amdhsa_exception_fp_ieee_inexact 0
		.amdhsa_exception_int_div_zero 0
	.end_amdhsa_kernel
	.section	.text._ZN2at6native12_GLOBAL__N_125multi_tensor_apply_kernelINS1_18TensorListMetadataILi1EEENS1_14UnaryOpFunctorIdLi1ELi1ELi0EEEJNS0_3SinIdEEEEEvT_T0_DpT1_,"axG",@progbits,_ZN2at6native12_GLOBAL__N_125multi_tensor_apply_kernelINS1_18TensorListMetadataILi1EEENS1_14UnaryOpFunctorIdLi1ELi1ELi0EEEJNS0_3SinIdEEEEEvT_T0_DpT1_,comdat
.Lfunc_end112:
	.size	_ZN2at6native12_GLOBAL__N_125multi_tensor_apply_kernelINS1_18TensorListMetadataILi1EEENS1_14UnaryOpFunctorIdLi1ELi1ELi0EEEJNS0_3SinIdEEEEEvT_T0_DpT1_, .Lfunc_end112-_ZN2at6native12_GLOBAL__N_125multi_tensor_apply_kernelINS1_18TensorListMetadataILi1EEENS1_14UnaryOpFunctorIdLi1ELi1ELi0EEEJNS0_3SinIdEEEEEvT_T0_DpT1_
                                        ; -- End function
	.section	.AMDGPU.csdata,"",@progbits
; Kernel info:
; codeLenInByte = 11136
; NumSgprs: 61
; NumVgprs: 94
; ScratchSize: 0
; MemoryBound: 0
; FloatMode: 240
; IeeeMode: 1
; LDSByteSize: 0 bytes/workgroup (compile time only)
; SGPRBlocks: 7
; VGPRBlocks: 11
; NumSGPRsForWavesPerEU: 61
; NumVGPRsForWavesPerEU: 94
; Occupancy: 16
; WaveLimiterHint : 0
; COMPUTE_PGM_RSRC2:SCRATCH_EN: 0
; COMPUTE_PGM_RSRC2:USER_SGPR: 15
; COMPUTE_PGM_RSRC2:TRAP_HANDLER: 0
; COMPUTE_PGM_RSRC2:TGID_X_EN: 1
; COMPUTE_PGM_RSRC2:TGID_Y_EN: 0
; COMPUTE_PGM_RSRC2:TGID_Z_EN: 0
; COMPUTE_PGM_RSRC2:TIDIG_COMP_CNT: 0
	.section	.text._ZN2at6native12_GLOBAL__N_125multi_tensor_apply_kernelINS1_18TensorListMetadataILi1EEENS1_14UnaryOpFunctorIfLi1ELi1ELi0EEEJNS0_3SinIfEEEEEvT_T0_DpT1_,"axG",@progbits,_ZN2at6native12_GLOBAL__N_125multi_tensor_apply_kernelINS1_18TensorListMetadataILi1EEENS1_14UnaryOpFunctorIfLi1ELi1ELi0EEEJNS0_3SinIfEEEEEvT_T0_DpT1_,comdat
	.globl	_ZN2at6native12_GLOBAL__N_125multi_tensor_apply_kernelINS1_18TensorListMetadataILi1EEENS1_14UnaryOpFunctorIfLi1ELi1ELi0EEEJNS0_3SinIfEEEEEvT_T0_DpT1_ ; -- Begin function _ZN2at6native12_GLOBAL__N_125multi_tensor_apply_kernelINS1_18TensorListMetadataILi1EEENS1_14UnaryOpFunctorIfLi1ELi1ELi0EEEJNS0_3SinIfEEEEEvT_T0_DpT1_
	.p2align	8
	.type	_ZN2at6native12_GLOBAL__N_125multi_tensor_apply_kernelINS1_18TensorListMetadataILi1EEENS1_14UnaryOpFunctorIfLi1ELi1ELi0EEEJNS0_3SinIfEEEEEvT_T0_DpT1_,@function
_ZN2at6native12_GLOBAL__N_125multi_tensor_apply_kernelINS1_18TensorListMetadataILi1EEENS1_14UnaryOpFunctorIfLi1ELi1ELi0EEEJNS0_3SinIfEEEEEvT_T0_DpT1_: ; @_ZN2at6native12_GLOBAL__N_125multi_tensor_apply_kernelINS1_18TensorListMetadataILi1EEENS1_14UnaryOpFunctorIfLi1ELi1ELi0EEEJNS0_3SinIfEEEEEvT_T0_DpT1_
; %bb.0:
	v_mov_b32_e32 v1, s15
	s_add_u32 s2, s0, s15
	s_mul_hi_u32 s3, s15, 3
	s_mul_i32 s15, s15, 3
	s_addc_u32 s4, s1, 0
	global_load_u8 v1, v1, s[0:1] offset:1760
	s_add_u32 s2, s2, s15
	s_addc_u32 s3, s4, s3
	s_mov_b32 s7, 0
	s_load_b32 s2, s[2:3], 0x820
	s_waitcnt vmcnt(0)
	v_readfirstlane_b32 s5, v1
	s_delay_alu instid0(VALU_DEP_1)
	s_lshl_b32 s3, s5, 3
	s_clause 0x1
	s_load_b64 s[12:13], s[0:1], s3 offset:0x0
	s_load_b64 s[4:5], s[0:1], s3 offset:0x370
	s_waitcnt lgkmcnt(0)
	s_ashr_i32 s3, s2, 31
	s_delay_alu instid0(SALU_CYCLE_1)
	s_lshl_b64 s[14:15], s[2:3], 18
	s_lshl_b64 s[2:3], s[2:3], 16
	s_and_b32 s6, s12, 15
	s_sub_u32 s10, s4, s2
	s_subb_u32 s11, s5, s3
	s_and_b32 s2, s4, 3
	s_mov_b32 s3, s7
	s_delay_alu instid0(SALU_CYCLE_1) | instskip(NEXT) | instid1(SALU_CYCLE_1)
	s_or_b64 s[2:3], s[6:7], s[2:3]
	s_cmp_eq_u64 s[2:3], 0
	s_cbranch_scc1 .LBB113_37
; %bb.1:
	v_cmp_lt_i64_e64 s2, s[10:11], 1
	s_delay_alu instid0(VALU_DEP_1)
	s_and_b32 vcc_lo, exec_lo, s2
	s_cbranch_vccnz .LBB113_36
; %bb.2:
	s_load_b32 s2, s[0:1], 0xd3c
	v_cmp_gt_u64_e64 s3, 0x10000, s[10:11]
	v_dual_mov_b32 v2, 0 :: v_dual_lshlrev_b32 v1, 2, v0
	s_mov_b64 s[18:19], 0
	s_mov_b32 s23, 0x7fffff
	s_mov_b32 s24, 0xb94c1982
	;; [unrolled: 1-line block ×3, first 2 shown]
	s_waitcnt lgkmcnt(0)
	s_and_b32 s2, s2, 0xffff
	s_and_b32 s3, s3, exec_lo
	v_add_co_u32 v7, s5, v0, s2
	s_cselect_b32 s17, s11, 0
	s_cselect_b32 s16, s10, 0x10000
	s_lshl_b32 s3, s2, 1
	s_lshl_b32 s9, s2, 2
	s_add_u32 s6, s12, s14
	s_mul_i32 s4, s2, 3
	s_mul_i32 s20, s2, 12
	s_addc_u32 s7, s13, s15
	s_lshl_b32 s21, s2, 4
	s_lshl_b32 s22, s2, 3
	v_add_co_u32 v3, s2, s6, v1
	v_lshlrev_b32_e32 v1, 2, v7
	v_add_co_ci_u32_e64 v4, null, s7, 0, s2
	v_add_co_u32 v11, s2, s3, v0
	v_add_co_u32 v8, s4, s4, v0
	v_add_co_ci_u32_e64 v12, null, 0, 0, s2
	v_add_co_u32 v5, s2, s6, v1
	v_add_co_ci_u32_e64 v9, null, 0, 0, s4
	v_add_co_ci_u32_e64 v10, null, 0, 0, s5
	;; [unrolled: 1-line block ×3, first 2 shown]
	s_branch .LBB113_4
.LBB113_3:                              ;   in Loop: Header=BB113_4 Depth=1
	s_or_b32 exec_lo, exec_lo, s2
	s_add_u32 s18, s18, s9
	s_addc_u32 s19, s19, 0
	v_add_co_u32 v3, vcc_lo, v3, s21
	v_cmp_ge_i64_e64 s2, s[18:19], s[10:11]
	v_cmp_lt_u64_e64 s3, 0xffff, s[18:19]
	v_add_co_ci_u32_e32 v4, vcc_lo, 0, v4, vcc_lo
	v_add_co_u32 v5, vcc_lo, v5, s21
	v_add_co_ci_u32_e32 v6, vcc_lo, 0, v6, vcc_lo
	s_delay_alu instid0(VALU_DEP_4) | instskip(NEXT) | instid1(SALU_CYCLE_1)
	s_or_b32 s2, s2, s3
	s_and_b32 vcc_lo, exec_lo, s2
	s_cbranch_vccnz .LBB113_36
.LBB113_4:                              ; =>This Inner Loop Header: Depth=1
	v_add_co_u32 v13, s2, v0, s18
	s_delay_alu instid0(VALU_DEP_1) | instskip(SKIP_1) | instid1(VALU_DEP_2)
	v_add_co_ci_u32_e64 v14, null, 0, s19, s2
	v_mov_b32_e32 v16, 0
	v_cmp_gt_u64_e64 s4, s[16:17], v[13:14]
	s_delay_alu instid0(VALU_DEP_1)
	s_and_saveexec_b32 s2, s4
	s_cbranch_execz .LBB113_6
; %bb.5:                                ;   in Loop: Header=BB113_4 Depth=1
	global_load_b32 v16, v[3:4], off
.LBB113_6:                              ;   in Loop: Header=BB113_4 Depth=1
	s_or_b32 exec_lo, exec_lo, s2
	v_add_co_u32 v13, vcc_lo, v7, s18
	v_add_co_ci_u32_e32 v14, vcc_lo, s19, v10, vcc_lo
	v_mov_b32_e32 v15, 0
	s_delay_alu instid0(VALU_DEP_2) | instskip(NEXT) | instid1(VALU_DEP_1)
	v_cmp_gt_u64_e64 s3, s[16:17], v[13:14]
	s_and_saveexec_b32 s2, s3
	s_cbranch_execz .LBB113_8
; %bb.7:                                ;   in Loop: Header=BB113_4 Depth=1
	global_load_b32 v15, v[5:6], off
.LBB113_8:                              ;   in Loop: Header=BB113_4 Depth=1
	s_or_b32 exec_lo, exec_lo, s2
	v_add_co_u32 v13, vcc_lo, v11, s18
	v_add_co_ci_u32_e32 v14, vcc_lo, s19, v12, vcc_lo
	s_delay_alu instid0(VALU_DEP_1) | instskip(SKIP_1) | instid1(VALU_DEP_2)
	v_cmp_gt_u64_e64 s2, s[16:17], v[13:14]
	v_dual_mov_b32 v13, 0 :: v_dual_mov_b32 v14, 0
	s_and_saveexec_b32 s5, s2
	s_cbranch_execz .LBB113_10
; %bb.9:                                ;   in Loop: Header=BB113_4 Depth=1
	v_add_co_u32 v17, vcc_lo, v3, s22
	v_add_co_ci_u32_e32 v18, vcc_lo, 0, v4, vcc_lo
	global_load_b32 v14, v[17:18], off
.LBB113_10:                             ;   in Loop: Header=BB113_4 Depth=1
	s_or_b32 exec_lo, exec_lo, s5
	v_add_co_u32 v17, vcc_lo, v8, s18
	v_add_co_ci_u32_e32 v18, vcc_lo, s19, v9, vcc_lo
	s_delay_alu instid0(VALU_DEP_1)
	v_cmp_gt_u64_e32 vcc_lo, s[16:17], v[17:18]
	s_and_saveexec_b32 s6, vcc_lo
	s_cbranch_execz .LBB113_12
; %bb.11:                               ;   in Loop: Header=BB113_4 Depth=1
	v_add_co_u32 v17, s5, v3, s20
	s_delay_alu instid0(VALU_DEP_1)
	v_add_co_ci_u32_e64 v18, s5, 0, v4, s5
	global_load_b32 v13, v[17:18], off
.LBB113_12:                             ;   in Loop: Header=BB113_4 Depth=1
	s_or_b32 exec_lo, exec_lo, s6
	s_waitcnt vmcnt(0)
	v_and_b32_e32 v17, 0x7fffffff, v16
                                        ; implicit-def: $vgpr20
                                        ; implicit-def: $vgpr18
	s_mov_b32 s6, exec_lo
	v_cmpx_ngt_f32_e64 0x48000000, |v16|
	s_xor_b32 s26, exec_lo, s6
	s_cbranch_execz .LBB113_14
; %bb.13:                               ;   in Loop: Header=BB113_4 Depth=1
	v_and_or_b32 v26, v17, s23, 0x800000
	v_lshrrev_b32_e32 v23, 23, v17
	s_delay_alu instid0(VALU_DEP_2) | instskip(NEXT) | instid1(VALU_DEP_2)
	v_mad_u64_u32 v[18:19], null, 0xfe5163ab, v26, 0
	v_add_nc_u32_e32 v24, 0xffffff88, v23
	s_delay_alu instid0(VALU_DEP_1) | instskip(NEXT) | instid1(VALU_DEP_3)
	v_cmp_lt_u32_e64 s5, 63, v24
	v_mov_b32_e32 v1, v19
	s_delay_alu instid0(VALU_DEP_2) | instskip(NEXT) | instid1(VALU_DEP_2)
	v_cndmask_b32_e64 v25, 0, 0xffffffc0, s5
	v_mad_u64_u32 v[19:20], null, 0x3c439041, v26, v[1:2]
	s_delay_alu instid0(VALU_DEP_2) | instskip(NEXT) | instid1(VALU_DEP_2)
	v_add_nc_u32_e32 v25, v25, v24
	v_mov_b32_e32 v1, v20
	s_delay_alu instid0(VALU_DEP_2) | instskip(NEXT) | instid1(VALU_DEP_2)
	v_cmp_lt_u32_e64 s6, 31, v25
	v_mad_u64_u32 v[20:21], null, 0xdb629599, v26, v[1:2]
	s_delay_alu instid0(VALU_DEP_2) | instskip(NEXT) | instid1(VALU_DEP_1)
	v_cndmask_b32_e64 v27, 0, 0xffffffe0, s6
	v_add_nc_u32_e32 v27, v27, v25
	s_delay_alu instid0(VALU_DEP_3) | instskip(NEXT) | instid1(VALU_DEP_4)
	v_mov_b32_e32 v1, v21
	v_cndmask_b32_e64 v18, v20, v18, s5
	s_delay_alu instid0(VALU_DEP_3) | instskip(NEXT) | instid1(VALU_DEP_3)
	v_cmp_lt_u32_e64 s7, 31, v27
	v_mad_u64_u32 v[21:22], null, 0xf534ddc0, v26, v[1:2]
	s_delay_alu instid0(VALU_DEP_1) | instskip(NEXT) | instid1(VALU_DEP_2)
	v_mov_b32_e32 v1, v22
	v_cndmask_b32_e64 v19, v21, v19, s5
	s_delay_alu instid0(VALU_DEP_2) | instskip(NEXT) | instid1(VALU_DEP_2)
	v_mad_u64_u32 v[22:23], null, 0xfc2757d1, v26, v[1:2]
	v_cndmask_b32_e64 v18, v19, v18, s6
	s_delay_alu instid0(VALU_DEP_2) | instskip(NEXT) | instid1(VALU_DEP_1)
	v_mov_b32_e32 v1, v23
	v_mad_u64_u32 v[23:24], null, 0x4e441529, v26, v[1:2]
	s_delay_alu instid0(VALU_DEP_1) | instskip(NEXT) | instid1(VALU_DEP_1)
	v_mov_b32_e32 v1, v24
	v_mad_u64_u32 v[24:25], null, 0xa2f9836e, v26, v[1:2]
	v_cndmask_b32_e64 v1, 0, 0xffffffe0, s7
	s_delay_alu instid0(VALU_DEP_4) | instskip(NEXT) | instid1(VALU_DEP_2)
	v_cndmask_b32_e64 v26, v23, v21, s5
	v_add_nc_u32_e32 v1, v1, v27
	s_delay_alu instid0(VALU_DEP_4) | instskip(SKIP_2) | instid1(VALU_DEP_4)
	v_cndmask_b32_e64 v24, v24, v22, s5
	v_cndmask_b32_e64 v23, v25, v23, s5
	;; [unrolled: 1-line block ×3, first 2 shown]
	v_sub_nc_u32_e32 v25, 32, v1
	s_delay_alu instid0(VALU_DEP_4) | instskip(NEXT) | instid1(VALU_DEP_4)
	v_cndmask_b32_e64 v21, v24, v26, s6
	v_cndmask_b32_e64 v23, v23, v24, s6
	s_delay_alu instid0(VALU_DEP_4) | instskip(SKIP_2) | instid1(VALU_DEP_4)
	v_cndmask_b32_e64 v24, v26, v22, s6
	v_cndmask_b32_e64 v22, v22, v19, s6
	v_cmp_eq_u32_e64 s8, 0, v1
	v_cndmask_b32_e64 v23, v23, v21, s7
	s_delay_alu instid0(VALU_DEP_4) | instskip(NEXT) | instid1(VALU_DEP_4)
	v_cndmask_b32_e64 v21, v21, v24, s7
	v_cndmask_b32_e64 v24, v24, v22, s7
	;; [unrolled: 1-line block ×3, first 2 shown]
	s_delay_alu instid0(VALU_DEP_3) | instskip(NEXT) | instid1(VALU_DEP_3)
	v_alignbit_b32 v26, v23, v21, v25
	v_alignbit_b32 v27, v21, v24, v25
	s_delay_alu instid0(VALU_DEP_3) | instskip(NEXT) | instid1(VALU_DEP_3)
	v_alignbit_b32 v25, v24, v18, v25
	v_cndmask_b32_e64 v1, v26, v23, s8
	s_delay_alu instid0(VALU_DEP_3) | instskip(NEXT) | instid1(VALU_DEP_3)
	v_cndmask_b32_e64 v20, v27, v21, s8
	v_cndmask_b32_e64 v24, v25, v24, s8
	s_delay_alu instid0(VALU_DEP_3) | instskip(NEXT) | instid1(VALU_DEP_3)
	v_bfe_u32 v21, v1, 29, 1
	v_alignbit_b32 v19, v1, v20, 30
	s_delay_alu instid0(VALU_DEP_3) | instskip(SKIP_1) | instid1(VALU_DEP_4)
	v_alignbit_b32 v20, v20, v24, 30
	v_alignbit_b32 v18, v24, v18, 30
	v_sub_nc_u32_e32 v23, 0, v21
	s_delay_alu instid0(VALU_DEP_1) | instskip(SKIP_3) | instid1(VALU_DEP_4)
	v_xor_b32_e32 v22, v19, v23
	v_cmp_ne_u32_e64 s5, v19, v23
	v_xor_b32_e32 v20, v20, v23
	v_xor_b32_e32 v18, v18, v23
	v_clz_i32_u32_e32 v26, v22
	s_delay_alu instid0(VALU_DEP_1) | instskip(NEXT) | instid1(VALU_DEP_1)
	v_add_nc_u32_e32 v25, 1, v26
	v_cndmask_b32_e64 v19, 33, v25, s5
	s_delay_alu instid0(VALU_DEP_1) | instskip(NEXT) | instid1(VALU_DEP_1)
	v_sub_nc_u32_e32 v24, 32, v19
	v_alignbit_b32 v22, v22, v20, v24
	v_alignbit_b32 v18, v20, v18, v24
	v_lshrrev_b32_e32 v20, 29, v1
	v_lshrrev_b32_e32 v1, 30, v1
	s_delay_alu instid0(VALU_DEP_3) | instskip(NEXT) | instid1(VALU_DEP_3)
	v_alignbit_b32 v23, v22, v18, 9
	v_lshlrev_b32_e32 v20, 31, v20
	v_alignbit_b32 v22, v19, v22, 9
	s_delay_alu instid0(VALU_DEP_3) | instskip(NEXT) | instid1(VALU_DEP_2)
	v_clz_i32_u32_e32 v24, v23
	v_or_b32_e32 v22, v22, v20
	v_or_b32_e32 v20, 0x33800000, v20
	s_delay_alu instid0(VALU_DEP_3) | instskip(NEXT) | instid1(VALU_DEP_3)
	v_min_u32_e32 v24, 32, v24
	v_xor_b32_e32 v22, 1.0, v22
	s_delay_alu instid0(VALU_DEP_2) | instskip(SKIP_1) | instid1(VALU_DEP_3)
	v_sub_nc_u32_e32 v25, 31, v24
	v_add_lshl_u32 v19, v24, v19, 23
	v_mul_f32_e32 v24, 0x3fc90fda, v22
	s_delay_alu instid0(VALU_DEP_3) | instskip(NEXT) | instid1(VALU_DEP_3)
	v_alignbit_b32 v18, v23, v18, v25
	v_sub_nc_u32_e32 v19, v20, v19
	s_delay_alu instid0(VALU_DEP_3) | instskip(NEXT) | instid1(VALU_DEP_3)
	v_fma_f32 v20, 0x3fc90fda, v22, -v24
	v_lshrrev_b32_e32 v18, 9, v18
	s_delay_alu instid0(VALU_DEP_2) | instskip(NEXT) | instid1(VALU_DEP_2)
	v_fmac_f32_e32 v20, 0x33a22168, v22
	v_or_b32_e32 v18, v19, v18
	s_delay_alu instid0(VALU_DEP_1) | instskip(NEXT) | instid1(VALU_DEP_1)
	v_fmac_f32_e32 v20, 0x3fc90fda, v18
	v_add_f32_e32 v18, v24, v20
	v_add_nc_u32_e32 v20, v21, v1
.LBB113_14:                             ;   in Loop: Header=BB113_4 Depth=1
	s_and_not1_saveexec_b32 s5, s26
; %bb.15:                               ;   in Loop: Header=BB113_4 Depth=1
	v_mul_f32_e64 v1, 0x3f22f983, |v16|
	s_delay_alu instid0(VALU_DEP_1) | instskip(NEXT) | instid1(VALU_DEP_1)
	v_rndne_f32_e32 v1, v1
	v_fma_f32 v18, 0xbfc90fda, v1, |v16|
	v_cvt_i32_f32_e32 v20, v1
	s_delay_alu instid0(VALU_DEP_2) | instskip(NEXT) | instid1(VALU_DEP_1)
	v_fmac_f32_e32 v18, 0xb3a22168, v1
	v_fmac_f32_e32 v18, 0xa7c234c4, v1
; %bb.16:                               ;   in Loop: Header=BB113_4 Depth=1
	s_or_b32 exec_lo, exec_lo, s5
	v_and_b32_e32 v19, 0x7fffffff, v15
                                        ; implicit-def: $vgpr23
                                        ; implicit-def: $vgpr21
	s_mov_b32 s6, exec_lo
	v_cmpx_ngt_f32_e64 0x48000000, |v15|
	s_xor_b32 s26, exec_lo, s6
	s_cbranch_execz .LBB113_18
; %bb.17:                               ;   in Loop: Header=BB113_4 Depth=1
	v_lshrrev_b32_e32 v26, 23, v19
	v_and_or_b32 v29, v19, s23, 0x800000
	s_delay_alu instid0(VALU_DEP_2) | instskip(NEXT) | instid1(VALU_DEP_2)
	v_add_nc_u32_e32 v27, 0xffffff88, v26
	v_mad_u64_u32 v[21:22], null, 0xfe5163ab, v29, 0
	s_delay_alu instid0(VALU_DEP_2) | instskip(NEXT) | instid1(VALU_DEP_1)
	v_cmp_lt_u32_e64 s5, 63, v27
	v_cndmask_b32_e64 v28, 0, 0xffffffc0, s5
	s_delay_alu instid0(VALU_DEP_1) | instskip(NEXT) | instid1(VALU_DEP_1)
	v_dual_mov_b32 v1, v22 :: v_dual_add_nc_u32 v28, v28, v27
	v_mad_u64_u32 v[22:23], null, 0x3c439041, v29, v[1:2]
	s_delay_alu instid0(VALU_DEP_2) | instskip(NEXT) | instid1(VALU_DEP_1)
	v_cmp_lt_u32_e64 s6, 31, v28
	v_cndmask_b32_e64 v30, 0, 0xffffffe0, s6
	s_delay_alu instid0(VALU_DEP_1) | instskip(NEXT) | instid1(VALU_DEP_1)
	v_dual_mov_b32 v1, v23 :: v_dual_add_nc_u32 v30, v30, v28
	v_mad_u64_u32 v[23:24], null, 0xdb629599, v29, v[1:2]
	s_delay_alu instid0(VALU_DEP_2) | instskip(NEXT) | instid1(VALU_DEP_2)
	v_cmp_lt_u32_e64 s7, 31, v30
	v_mov_b32_e32 v1, v24
	s_delay_alu instid0(VALU_DEP_3) | instskip(NEXT) | instid1(VALU_DEP_2)
	v_cndmask_b32_e64 v21, v23, v21, s5
	v_mad_u64_u32 v[24:25], null, 0xf534ddc0, v29, v[1:2]
	s_delay_alu instid0(VALU_DEP_1) | instskip(NEXT) | instid1(VALU_DEP_2)
	v_mov_b32_e32 v1, v25
	v_cndmask_b32_e64 v22, v24, v22, s5
	s_delay_alu instid0(VALU_DEP_2) | instskip(NEXT) | instid1(VALU_DEP_2)
	v_mad_u64_u32 v[25:26], null, 0xfc2757d1, v29, v[1:2]
	v_cndmask_b32_e64 v21, v22, v21, s6
	s_delay_alu instid0(VALU_DEP_2) | instskip(NEXT) | instid1(VALU_DEP_1)
	v_mov_b32_e32 v1, v26
	v_mad_u64_u32 v[26:27], null, 0x4e441529, v29, v[1:2]
	s_delay_alu instid0(VALU_DEP_1) | instskip(NEXT) | instid1(VALU_DEP_1)
	v_mov_b32_e32 v1, v27
	v_mad_u64_u32 v[27:28], null, 0xa2f9836e, v29, v[1:2]
	v_cndmask_b32_e64 v1, 0, 0xffffffe0, s7
	s_delay_alu instid0(VALU_DEP_4) | instskip(NEXT) | instid1(VALU_DEP_2)
	v_cndmask_b32_e64 v29, v26, v24, s5
	v_add_nc_u32_e32 v1, v1, v30
	s_delay_alu instid0(VALU_DEP_4) | instskip(SKIP_2) | instid1(VALU_DEP_4)
	v_cndmask_b32_e64 v27, v27, v25, s5
	v_cndmask_b32_e64 v26, v28, v26, s5
	;; [unrolled: 1-line block ×3, first 2 shown]
	v_sub_nc_u32_e32 v28, 32, v1
	s_delay_alu instid0(VALU_DEP_4) | instskip(NEXT) | instid1(VALU_DEP_4)
	v_cndmask_b32_e64 v24, v27, v29, s6
	v_cndmask_b32_e64 v26, v26, v27, s6
	s_delay_alu instid0(VALU_DEP_4) | instskip(SKIP_2) | instid1(VALU_DEP_4)
	v_cndmask_b32_e64 v27, v29, v25, s6
	v_cndmask_b32_e64 v25, v25, v22, s6
	v_cmp_eq_u32_e64 s8, 0, v1
	v_cndmask_b32_e64 v26, v26, v24, s7
	s_delay_alu instid0(VALU_DEP_4) | instskip(NEXT) | instid1(VALU_DEP_4)
	v_cndmask_b32_e64 v24, v24, v27, s7
	v_cndmask_b32_e64 v27, v27, v25, s7
	v_cndmask_b32_e64 v21, v25, v21, s7
	s_delay_alu instid0(VALU_DEP_3) | instskip(NEXT) | instid1(VALU_DEP_3)
	v_alignbit_b32 v29, v26, v24, v28
	v_alignbit_b32 v30, v24, v27, v28
	s_delay_alu instid0(VALU_DEP_3) | instskip(NEXT) | instid1(VALU_DEP_3)
	v_alignbit_b32 v28, v27, v21, v28
	v_cndmask_b32_e64 v1, v29, v26, s8
	s_delay_alu instid0(VALU_DEP_3) | instskip(NEXT) | instid1(VALU_DEP_3)
	v_cndmask_b32_e64 v23, v30, v24, s8
	v_cndmask_b32_e64 v27, v28, v27, s8
	s_delay_alu instid0(VALU_DEP_3) | instskip(NEXT) | instid1(VALU_DEP_3)
	v_bfe_u32 v24, v1, 29, 1
	v_alignbit_b32 v22, v1, v23, 30
	s_delay_alu instid0(VALU_DEP_3) | instskip(SKIP_1) | instid1(VALU_DEP_4)
	v_alignbit_b32 v23, v23, v27, 30
	v_alignbit_b32 v21, v27, v21, 30
	v_sub_nc_u32_e32 v26, 0, v24
	s_delay_alu instid0(VALU_DEP_1) | instskip(SKIP_3) | instid1(VALU_DEP_4)
	v_xor_b32_e32 v25, v22, v26
	v_cmp_ne_u32_e64 s5, v22, v26
	v_xor_b32_e32 v23, v23, v26
	v_xor_b32_e32 v21, v21, v26
	v_clz_i32_u32_e32 v29, v25
	s_delay_alu instid0(VALU_DEP_1) | instskip(NEXT) | instid1(VALU_DEP_1)
	v_add_nc_u32_e32 v28, 1, v29
	v_cndmask_b32_e64 v22, 33, v28, s5
	s_delay_alu instid0(VALU_DEP_1) | instskip(NEXT) | instid1(VALU_DEP_1)
	v_sub_nc_u32_e32 v27, 32, v22
	v_alignbit_b32 v25, v25, v23, v27
	v_alignbit_b32 v21, v23, v21, v27
	v_lshrrev_b32_e32 v23, 29, v1
	v_lshrrev_b32_e32 v1, 30, v1
	s_delay_alu instid0(VALU_DEP_3) | instskip(NEXT) | instid1(VALU_DEP_3)
	v_alignbit_b32 v26, v25, v21, 9
	v_lshlrev_b32_e32 v23, 31, v23
	v_alignbit_b32 v25, v22, v25, 9
	s_delay_alu instid0(VALU_DEP_3) | instskip(NEXT) | instid1(VALU_DEP_2)
	v_clz_i32_u32_e32 v27, v26
	v_or_b32_e32 v25, v25, v23
	v_or_b32_e32 v23, 0x33800000, v23
	s_delay_alu instid0(VALU_DEP_3) | instskip(NEXT) | instid1(VALU_DEP_3)
	v_min_u32_e32 v27, 32, v27
	v_xor_b32_e32 v25, 1.0, v25
	s_delay_alu instid0(VALU_DEP_2) | instskip(SKIP_1) | instid1(VALU_DEP_3)
	v_sub_nc_u32_e32 v28, 31, v27
	v_add_lshl_u32 v22, v27, v22, 23
	v_mul_f32_e32 v27, 0x3fc90fda, v25
	s_delay_alu instid0(VALU_DEP_3) | instskip(NEXT) | instid1(VALU_DEP_3)
	v_alignbit_b32 v21, v26, v21, v28
	v_sub_nc_u32_e32 v22, v23, v22
	s_delay_alu instid0(VALU_DEP_3) | instskip(NEXT) | instid1(VALU_DEP_3)
	v_fma_f32 v23, 0x3fc90fda, v25, -v27
	v_lshrrev_b32_e32 v21, 9, v21
	s_delay_alu instid0(VALU_DEP_2) | instskip(NEXT) | instid1(VALU_DEP_2)
	v_fmac_f32_e32 v23, 0x33a22168, v25
	v_or_b32_e32 v21, v22, v21
	s_delay_alu instid0(VALU_DEP_1) | instskip(NEXT) | instid1(VALU_DEP_1)
	v_fmac_f32_e32 v23, 0x3fc90fda, v21
	v_add_f32_e32 v21, v27, v23
	v_add_nc_u32_e32 v23, v24, v1
.LBB113_18:                             ;   in Loop: Header=BB113_4 Depth=1
	s_and_not1_saveexec_b32 s5, s26
; %bb.19:                               ;   in Loop: Header=BB113_4 Depth=1
	v_mul_f32_e64 v1, 0x3f22f983, |v15|
	s_delay_alu instid0(VALU_DEP_1) | instskip(NEXT) | instid1(VALU_DEP_1)
	v_rndne_f32_e32 v1, v1
	v_fma_f32 v21, 0xbfc90fda, v1, |v15|
	v_cvt_i32_f32_e32 v23, v1
	s_delay_alu instid0(VALU_DEP_2) | instskip(NEXT) | instid1(VALU_DEP_1)
	v_fmac_f32_e32 v21, 0xb3a22168, v1
	v_fmac_f32_e32 v21, 0xa7c234c4, v1
; %bb.20:                               ;   in Loop: Header=BB113_4 Depth=1
	s_or_b32 exec_lo, exec_lo, s5
	v_and_b32_e32 v22, 0x7fffffff, v14
                                        ; implicit-def: $vgpr26
                                        ; implicit-def: $vgpr24
	s_mov_b32 s6, exec_lo
	v_cmpx_ngt_f32_e64 0x48000000, |v14|
	s_xor_b32 s26, exec_lo, s6
	s_cbranch_execz .LBB113_22
; %bb.21:                               ;   in Loop: Header=BB113_4 Depth=1
	v_and_or_b32 v32, v22, s23, 0x800000
	v_lshrrev_b32_e32 v29, 23, v22
	s_delay_alu instid0(VALU_DEP_2) | instskip(NEXT) | instid1(VALU_DEP_2)
	v_mad_u64_u32 v[24:25], null, 0xfe5163ab, v32, 0
	v_add_nc_u32_e32 v30, 0xffffff88, v29
	s_delay_alu instid0(VALU_DEP_1) | instskip(NEXT) | instid1(VALU_DEP_3)
	v_cmp_lt_u32_e64 s5, 63, v30
	v_mov_b32_e32 v1, v25
	s_delay_alu instid0(VALU_DEP_2) | instskip(NEXT) | instid1(VALU_DEP_2)
	v_cndmask_b32_e64 v31, 0, 0xffffffc0, s5
	v_mad_u64_u32 v[25:26], null, 0x3c439041, v32, v[1:2]
	s_delay_alu instid0(VALU_DEP_2) | instskip(NEXT) | instid1(VALU_DEP_2)
	v_add_nc_u32_e32 v31, v31, v30
	v_mov_b32_e32 v1, v26
	s_delay_alu instid0(VALU_DEP_2) | instskip(NEXT) | instid1(VALU_DEP_2)
	v_cmp_lt_u32_e64 s6, 31, v31
	v_mad_u64_u32 v[26:27], null, 0xdb629599, v32, v[1:2]
	s_delay_alu instid0(VALU_DEP_2) | instskip(NEXT) | instid1(VALU_DEP_1)
	v_cndmask_b32_e64 v33, 0, 0xffffffe0, s6
	v_add_nc_u32_e32 v33, v33, v31
	s_delay_alu instid0(VALU_DEP_3) | instskip(NEXT) | instid1(VALU_DEP_4)
	v_mov_b32_e32 v1, v27
	v_cndmask_b32_e64 v24, v26, v24, s5
	s_delay_alu instid0(VALU_DEP_3) | instskip(NEXT) | instid1(VALU_DEP_3)
	v_cmp_lt_u32_e64 s7, 31, v33
	v_mad_u64_u32 v[27:28], null, 0xf534ddc0, v32, v[1:2]
	s_delay_alu instid0(VALU_DEP_1) | instskip(NEXT) | instid1(VALU_DEP_2)
	v_mov_b32_e32 v1, v28
	v_cndmask_b32_e64 v25, v27, v25, s5
	s_delay_alu instid0(VALU_DEP_2) | instskip(NEXT) | instid1(VALU_DEP_2)
	v_mad_u64_u32 v[28:29], null, 0xfc2757d1, v32, v[1:2]
	v_cndmask_b32_e64 v24, v25, v24, s6
	s_delay_alu instid0(VALU_DEP_2) | instskip(NEXT) | instid1(VALU_DEP_1)
	v_mov_b32_e32 v1, v29
	v_mad_u64_u32 v[29:30], null, 0x4e441529, v32, v[1:2]
	s_delay_alu instid0(VALU_DEP_1) | instskip(NEXT) | instid1(VALU_DEP_1)
	v_mov_b32_e32 v1, v30
	v_mad_u64_u32 v[30:31], null, 0xa2f9836e, v32, v[1:2]
	v_cndmask_b32_e64 v1, 0, 0xffffffe0, s7
	s_delay_alu instid0(VALU_DEP_4) | instskip(NEXT) | instid1(VALU_DEP_2)
	v_cndmask_b32_e64 v32, v29, v27, s5
	v_add_nc_u32_e32 v1, v1, v33
	s_delay_alu instid0(VALU_DEP_4) | instskip(SKIP_2) | instid1(VALU_DEP_4)
	v_cndmask_b32_e64 v30, v30, v28, s5
	v_cndmask_b32_e64 v29, v31, v29, s5
	;; [unrolled: 1-line block ×3, first 2 shown]
	v_sub_nc_u32_e32 v31, 32, v1
	s_delay_alu instid0(VALU_DEP_4) | instskip(NEXT) | instid1(VALU_DEP_4)
	v_cndmask_b32_e64 v27, v30, v32, s6
	v_cndmask_b32_e64 v29, v29, v30, s6
	s_delay_alu instid0(VALU_DEP_4) | instskip(SKIP_2) | instid1(VALU_DEP_4)
	v_cndmask_b32_e64 v30, v32, v28, s6
	v_cndmask_b32_e64 v28, v28, v25, s6
	v_cmp_eq_u32_e64 s8, 0, v1
	v_cndmask_b32_e64 v29, v29, v27, s7
	s_delay_alu instid0(VALU_DEP_4) | instskip(NEXT) | instid1(VALU_DEP_4)
	v_cndmask_b32_e64 v27, v27, v30, s7
	v_cndmask_b32_e64 v30, v30, v28, s7
	;; [unrolled: 1-line block ×3, first 2 shown]
	s_delay_alu instid0(VALU_DEP_3) | instskip(NEXT) | instid1(VALU_DEP_3)
	v_alignbit_b32 v32, v29, v27, v31
	v_alignbit_b32 v33, v27, v30, v31
	s_delay_alu instid0(VALU_DEP_3) | instskip(NEXT) | instid1(VALU_DEP_3)
	v_alignbit_b32 v31, v30, v24, v31
	v_cndmask_b32_e64 v1, v32, v29, s8
	s_delay_alu instid0(VALU_DEP_3) | instskip(NEXT) | instid1(VALU_DEP_3)
	v_cndmask_b32_e64 v26, v33, v27, s8
	v_cndmask_b32_e64 v30, v31, v30, s8
	s_delay_alu instid0(VALU_DEP_3) | instskip(NEXT) | instid1(VALU_DEP_3)
	v_bfe_u32 v27, v1, 29, 1
	v_alignbit_b32 v25, v1, v26, 30
	s_delay_alu instid0(VALU_DEP_3) | instskip(SKIP_1) | instid1(VALU_DEP_4)
	v_alignbit_b32 v26, v26, v30, 30
	v_alignbit_b32 v24, v30, v24, 30
	v_sub_nc_u32_e32 v29, 0, v27
	s_delay_alu instid0(VALU_DEP_1) | instskip(SKIP_3) | instid1(VALU_DEP_4)
	v_xor_b32_e32 v28, v25, v29
	v_cmp_ne_u32_e64 s5, v25, v29
	v_xor_b32_e32 v26, v26, v29
	v_xor_b32_e32 v24, v24, v29
	v_clz_i32_u32_e32 v32, v28
	s_delay_alu instid0(VALU_DEP_1) | instskip(NEXT) | instid1(VALU_DEP_1)
	v_add_nc_u32_e32 v31, 1, v32
	v_cndmask_b32_e64 v25, 33, v31, s5
	s_delay_alu instid0(VALU_DEP_1) | instskip(NEXT) | instid1(VALU_DEP_1)
	v_sub_nc_u32_e32 v30, 32, v25
	v_alignbit_b32 v28, v28, v26, v30
	v_alignbit_b32 v24, v26, v24, v30
	v_lshrrev_b32_e32 v26, 29, v1
	v_lshrrev_b32_e32 v1, 30, v1
	s_delay_alu instid0(VALU_DEP_3) | instskip(NEXT) | instid1(VALU_DEP_3)
	v_alignbit_b32 v29, v28, v24, 9
	v_lshlrev_b32_e32 v26, 31, v26
	v_alignbit_b32 v28, v25, v28, 9
	s_delay_alu instid0(VALU_DEP_3) | instskip(NEXT) | instid1(VALU_DEP_2)
	v_clz_i32_u32_e32 v30, v29
	v_or_b32_e32 v28, v28, v26
	v_or_b32_e32 v26, 0x33800000, v26
	s_delay_alu instid0(VALU_DEP_3) | instskip(NEXT) | instid1(VALU_DEP_3)
	v_min_u32_e32 v30, 32, v30
	v_xor_b32_e32 v28, 1.0, v28
	s_delay_alu instid0(VALU_DEP_2) | instskip(SKIP_1) | instid1(VALU_DEP_3)
	v_sub_nc_u32_e32 v31, 31, v30
	v_add_lshl_u32 v25, v30, v25, 23
	v_mul_f32_e32 v30, 0x3fc90fda, v28
	s_delay_alu instid0(VALU_DEP_3) | instskip(NEXT) | instid1(VALU_DEP_3)
	v_alignbit_b32 v24, v29, v24, v31
	v_sub_nc_u32_e32 v25, v26, v25
	s_delay_alu instid0(VALU_DEP_3) | instskip(NEXT) | instid1(VALU_DEP_3)
	v_fma_f32 v26, 0x3fc90fda, v28, -v30
	v_lshrrev_b32_e32 v24, 9, v24
	s_delay_alu instid0(VALU_DEP_2) | instskip(NEXT) | instid1(VALU_DEP_2)
	v_fmac_f32_e32 v26, 0x33a22168, v28
	v_or_b32_e32 v24, v25, v24
	s_delay_alu instid0(VALU_DEP_1) | instskip(NEXT) | instid1(VALU_DEP_1)
	v_fmac_f32_e32 v26, 0x3fc90fda, v24
	v_add_f32_e32 v24, v30, v26
	v_add_nc_u32_e32 v26, v27, v1
.LBB113_22:                             ;   in Loop: Header=BB113_4 Depth=1
	s_and_not1_saveexec_b32 s5, s26
; %bb.23:                               ;   in Loop: Header=BB113_4 Depth=1
	v_mul_f32_e64 v1, 0x3f22f983, |v14|
	s_delay_alu instid0(VALU_DEP_1) | instskip(NEXT) | instid1(VALU_DEP_1)
	v_rndne_f32_e32 v1, v1
	v_fma_f32 v24, 0xbfc90fda, v1, |v14|
	v_cvt_i32_f32_e32 v26, v1
	s_delay_alu instid0(VALU_DEP_2) | instskip(NEXT) | instid1(VALU_DEP_1)
	v_fmac_f32_e32 v24, 0xb3a22168, v1
	v_fmac_f32_e32 v24, 0xa7c234c4, v1
; %bb.24:                               ;   in Loop: Header=BB113_4 Depth=1
	s_or_b32 exec_lo, exec_lo, s5
	v_and_b32_e32 v25, 0x7fffffff, v13
                                        ; implicit-def: $vgpr27
                                        ; implicit-def: $vgpr1
	s_mov_b32 s6, exec_lo
	v_cmpx_ngt_f32_e64 0x48000000, |v13|
	s_xor_b32 s26, exec_lo, s6
	s_cbranch_execnz .LBB113_30
; %bb.25:                               ;   in Loop: Header=BB113_4 Depth=1
	s_and_not1_saveexec_b32 s5, s26
	s_cbranch_execnz .LBB113_31
.LBB113_26:                             ;   in Loop: Header=BB113_4 Depth=1
	s_or_b32 exec_lo, exec_lo, s5
	s_and_saveexec_b32 s5, s4
	s_delay_alu instid0(SALU_CYCLE_1)
	s_xor_b32 s5, exec_lo, s5
	s_cbranch_execnz .LBB113_32
.LBB113_27:                             ;   in Loop: Header=BB113_4 Depth=1
	s_or_b32 exec_lo, exec_lo, s5
	s_and_saveexec_b32 s4, s3
	s_cbranch_execnz .LBB113_33
.LBB113_28:                             ;   in Loop: Header=BB113_4 Depth=1
	s_or_b32 exec_lo, exec_lo, s4
	s_and_saveexec_b32 s3, s2
	s_cbranch_execnz .LBB113_34
.LBB113_29:                             ;   in Loop: Header=BB113_4 Depth=1
	s_or_b32 exec_lo, exec_lo, s3
	s_and_saveexec_b32 s2, vcc_lo
	s_cbranch_execz .LBB113_3
	s_branch .LBB113_35
.LBB113_30:                             ;   in Loop: Header=BB113_4 Depth=1
	v_lshrrev_b32_e32 v32, 23, v25
	v_and_or_b32 v35, v25, s23, 0x800000
	s_delay_alu instid0(VALU_DEP_2) | instskip(NEXT) | instid1(VALU_DEP_2)
	v_add_nc_u32_e32 v33, 0xffffff88, v32
	v_mad_u64_u32 v[27:28], null, 0xfe5163ab, v35, 0
	s_delay_alu instid0(VALU_DEP_2) | instskip(NEXT) | instid1(VALU_DEP_1)
	v_cmp_lt_u32_e64 s5, 63, v33
	v_cndmask_b32_e64 v34, 0, 0xffffffc0, s5
	s_delay_alu instid0(VALU_DEP_1) | instskip(NEXT) | instid1(VALU_DEP_1)
	v_dual_mov_b32 v1, v28 :: v_dual_add_nc_u32 v34, v34, v33
	v_mad_u64_u32 v[28:29], null, 0x3c439041, v35, v[1:2]
	s_delay_alu instid0(VALU_DEP_2) | instskip(NEXT) | instid1(VALU_DEP_1)
	v_cmp_lt_u32_e64 s6, 31, v34
	v_cndmask_b32_e64 v36, 0, 0xffffffe0, s6
	s_delay_alu instid0(VALU_DEP_1) | instskip(NEXT) | instid1(VALU_DEP_1)
	v_dual_mov_b32 v1, v29 :: v_dual_add_nc_u32 v36, v36, v34
	v_mad_u64_u32 v[29:30], null, 0xdb629599, v35, v[1:2]
	s_delay_alu instid0(VALU_DEP_2) | instskip(NEXT) | instid1(VALU_DEP_2)
	v_cmp_lt_u32_e64 s7, 31, v36
	v_mov_b32_e32 v1, v30
	s_delay_alu instid0(VALU_DEP_3) | instskip(NEXT) | instid1(VALU_DEP_2)
	v_cndmask_b32_e64 v27, v29, v27, s5
	v_mad_u64_u32 v[30:31], null, 0xf534ddc0, v35, v[1:2]
	s_delay_alu instid0(VALU_DEP_1) | instskip(NEXT) | instid1(VALU_DEP_2)
	v_mov_b32_e32 v1, v31
	v_cndmask_b32_e64 v28, v30, v28, s5
	s_delay_alu instid0(VALU_DEP_2) | instskip(NEXT) | instid1(VALU_DEP_2)
	v_mad_u64_u32 v[31:32], null, 0xfc2757d1, v35, v[1:2]
	v_cndmask_b32_e64 v27, v28, v27, s6
	s_delay_alu instid0(VALU_DEP_2) | instskip(NEXT) | instid1(VALU_DEP_1)
	v_mov_b32_e32 v1, v32
	v_mad_u64_u32 v[32:33], null, 0x4e441529, v35, v[1:2]
	s_delay_alu instid0(VALU_DEP_1) | instskip(NEXT) | instid1(VALU_DEP_1)
	v_mov_b32_e32 v1, v33
	v_mad_u64_u32 v[33:34], null, 0xa2f9836e, v35, v[1:2]
	v_cndmask_b32_e64 v1, 0, 0xffffffe0, s7
	s_delay_alu instid0(VALU_DEP_4) | instskip(NEXT) | instid1(VALU_DEP_2)
	v_cndmask_b32_e64 v35, v32, v30, s5
	v_add_nc_u32_e32 v1, v1, v36
	s_delay_alu instid0(VALU_DEP_4) | instskip(SKIP_2) | instid1(VALU_DEP_4)
	v_cndmask_b32_e64 v33, v33, v31, s5
	v_cndmask_b32_e64 v32, v34, v32, s5
	;; [unrolled: 1-line block ×3, first 2 shown]
	v_sub_nc_u32_e32 v34, 32, v1
	s_delay_alu instid0(VALU_DEP_4) | instskip(NEXT) | instid1(VALU_DEP_4)
	v_cndmask_b32_e64 v30, v33, v35, s6
	v_cndmask_b32_e64 v32, v32, v33, s6
	s_delay_alu instid0(VALU_DEP_4) | instskip(SKIP_2) | instid1(VALU_DEP_4)
	v_cndmask_b32_e64 v33, v35, v31, s6
	v_cndmask_b32_e64 v31, v31, v28, s6
	v_cmp_eq_u32_e64 s8, 0, v1
	v_cndmask_b32_e64 v32, v32, v30, s7
	s_delay_alu instid0(VALU_DEP_4) | instskip(NEXT) | instid1(VALU_DEP_4)
	v_cndmask_b32_e64 v30, v30, v33, s7
	v_cndmask_b32_e64 v33, v33, v31, s7
	v_cndmask_b32_e64 v27, v31, v27, s7
	s_delay_alu instid0(VALU_DEP_3) | instskip(NEXT) | instid1(VALU_DEP_3)
	v_alignbit_b32 v35, v32, v30, v34
	v_alignbit_b32 v36, v30, v33, v34
	s_delay_alu instid0(VALU_DEP_3) | instskip(NEXT) | instid1(VALU_DEP_3)
	v_alignbit_b32 v34, v33, v27, v34
	v_cndmask_b32_e64 v1, v35, v32, s8
	s_delay_alu instid0(VALU_DEP_3) | instskip(NEXT) | instid1(VALU_DEP_3)
	v_cndmask_b32_e64 v29, v36, v30, s8
	v_cndmask_b32_e64 v33, v34, v33, s8
	s_delay_alu instid0(VALU_DEP_3) | instskip(NEXT) | instid1(VALU_DEP_3)
	v_bfe_u32 v30, v1, 29, 1
	v_alignbit_b32 v28, v1, v29, 30
	s_delay_alu instid0(VALU_DEP_3) | instskip(SKIP_1) | instid1(VALU_DEP_4)
	v_alignbit_b32 v29, v29, v33, 30
	v_alignbit_b32 v27, v33, v27, 30
	v_sub_nc_u32_e32 v32, 0, v30
	s_delay_alu instid0(VALU_DEP_1) | instskip(SKIP_3) | instid1(VALU_DEP_4)
	v_xor_b32_e32 v31, v28, v32
	v_cmp_ne_u32_e64 s5, v28, v32
	v_xor_b32_e32 v29, v29, v32
	v_xor_b32_e32 v27, v27, v32
	v_clz_i32_u32_e32 v35, v31
	s_delay_alu instid0(VALU_DEP_1) | instskip(NEXT) | instid1(VALU_DEP_1)
	v_add_nc_u32_e32 v34, 1, v35
	v_cndmask_b32_e64 v28, 33, v34, s5
	s_delay_alu instid0(VALU_DEP_1) | instskip(NEXT) | instid1(VALU_DEP_1)
	v_sub_nc_u32_e32 v33, 32, v28
	v_alignbit_b32 v31, v31, v29, v33
	v_alignbit_b32 v27, v29, v27, v33
	v_lshrrev_b32_e32 v29, 29, v1
	s_delay_alu instid0(VALU_DEP_2) | instskip(NEXT) | instid1(VALU_DEP_2)
	v_alignbit_b32 v32, v31, v27, 9
	v_lshlrev_b32_e32 v29, 31, v29
	v_alignbit_b32 v31, v28, v31, 9
	s_delay_alu instid0(VALU_DEP_3) | instskip(NEXT) | instid1(VALU_DEP_2)
	v_clz_i32_u32_e32 v33, v32
	v_or_b32_e32 v31, v31, v29
	v_or_b32_e32 v29, 0x33800000, v29
	s_delay_alu instid0(VALU_DEP_3) | instskip(NEXT) | instid1(VALU_DEP_3)
	v_min_u32_e32 v33, 32, v33
	v_xor_b32_e32 v31, 1.0, v31
	s_delay_alu instid0(VALU_DEP_2) | instskip(SKIP_1) | instid1(VALU_DEP_3)
	v_sub_nc_u32_e32 v34, 31, v33
	v_add_lshl_u32 v28, v33, v28, 23
	v_mul_f32_e32 v33, 0x3fc90fda, v31
	s_delay_alu instid0(VALU_DEP_3) | instskip(NEXT) | instid1(VALU_DEP_3)
	v_alignbit_b32 v27, v32, v27, v34
	v_sub_nc_u32_e32 v28, v29, v28
	s_delay_alu instid0(VALU_DEP_3) | instskip(NEXT) | instid1(VALU_DEP_3)
	v_fma_f32 v29, 0x3fc90fda, v31, -v33
	v_lshrrev_b32_e32 v27, 9, v27
	s_delay_alu instid0(VALU_DEP_2) | instskip(NEXT) | instid1(VALU_DEP_2)
	v_fmac_f32_e32 v29, 0x33a22168, v31
	v_or_b32_e32 v27, v28, v27
	s_delay_alu instid0(VALU_DEP_1) | instskip(SKIP_1) | instid1(VALU_DEP_2)
	v_fmac_f32_e32 v29, 0x3fc90fda, v27
	v_lshrrev_b32_e32 v27, 30, v1
	v_add_f32_e32 v1, v33, v29
	s_delay_alu instid0(VALU_DEP_2)
	v_add_nc_u32_e32 v27, v30, v27
	s_and_not1_saveexec_b32 s5, s26
	s_cbranch_execz .LBB113_26
.LBB113_31:                             ;   in Loop: Header=BB113_4 Depth=1
	v_mul_f32_e64 v1, 0x3f22f983, |v13|
	s_delay_alu instid0(VALU_DEP_1) | instskip(NEXT) | instid1(VALU_DEP_1)
	v_rndne_f32_e32 v27, v1
	v_fma_f32 v1, 0xbfc90fda, v27, |v13|
	s_delay_alu instid0(VALU_DEP_1) | instskip(NEXT) | instid1(VALU_DEP_1)
	v_fmac_f32_e32 v1, 0xb3a22168, v27
	v_fmac_f32_e32 v1, 0xa7c234c4, v27
	v_cvt_i32_f32_e32 v27, v27
	s_or_b32 exec_lo, exec_lo, s5
	s_and_saveexec_b32 s5, s4
	s_delay_alu instid0(SALU_CYCLE_1)
	s_xor_b32 s5, exec_lo, s5
	s_cbranch_execz .LBB113_27
.LBB113_32:                             ;   in Loop: Header=BB113_4 Depth=1
	v_dual_mul_f32 v28, v18, v18 :: v_dual_and_b32 v31, 1, v20
	v_xor_b32_e32 v17, v17, v16
	v_lshlrev_b32_e32 v20, 30, v20
	s_delay_alu instid0(VALU_DEP_3) | instskip(NEXT) | instid1(VALU_DEP_4)
	v_fmaak_f32 v29, s24, v28, 0x3c0881c4
	v_cmp_eq_u32_e64 s4, 0, v31
	s_delay_alu instid0(VALU_DEP_3) | instskip(NEXT) | instid1(VALU_DEP_3)
	v_and_b32_e32 v20, 0x80000000, v20
	v_fmaak_f32 v29, v28, v29, 0xbe2aaa9d
	s_delay_alu instid0(VALU_DEP_1) | instskip(NEXT) | instid1(VALU_DEP_1)
	v_dual_fmaak_f32 v30, s25, v28, 0xbab64f3b :: v_dual_mul_f32 v29, v28, v29
	v_fmaak_f32 v30, v28, v30, 0x3d2aabf7
	s_delay_alu instid0(VALU_DEP_2) | instskip(NEXT) | instid1(VALU_DEP_2)
	v_fmac_f32_e32 v18, v18, v29
	v_fmaak_f32 v30, v28, v30, 0xbf000004
	s_delay_alu instid0(VALU_DEP_1) | instskip(NEXT) | instid1(VALU_DEP_1)
	v_fma_f32 v28, v28, v30, 1.0
	v_cndmask_b32_e64 v18, v28, v18, s4
	v_cmp_class_f32_e64 s4, v16, 0x1f8
	s_delay_alu instid0(VALU_DEP_2) | instskip(NEXT) | instid1(VALU_DEP_1)
	v_xor3_b32 v17, v17, v20, v18
	v_cndmask_b32_e64 v16, 0x7fc00000, v17, s4
	global_store_b32 v[3:4], v16, off
	s_or_b32 exec_lo, exec_lo, s5
	s_and_saveexec_b32 s4, s3
	s_cbranch_execz .LBB113_28
.LBB113_33:                             ;   in Loop: Header=BB113_4 Depth=1
	v_mul_f32_e32 v16, v21, v21
	v_and_b32_e32 v20, 1, v23
	v_lshlrev_b32_e32 v23, 30, v23
	s_delay_alu instid0(VALU_DEP_3) | instskip(NEXT) | instid1(VALU_DEP_3)
	v_fmaak_f32 v17, s24, v16, 0x3c0881c4
	v_cmp_eq_u32_e64 s3, 0, v20
	s_delay_alu instid0(VALU_DEP_2) | instskip(NEXT) | instid1(VALU_DEP_1)
	v_fmaak_f32 v17, v16, v17, 0xbe2aaa9d
	v_dual_fmaak_f32 v18, s25, v16, 0xbab64f3b :: v_dual_mul_f32 v17, v16, v17
	s_delay_alu instid0(VALU_DEP_1) | instskip(NEXT) | instid1(VALU_DEP_1)
	v_dual_fmaak_f32 v18, v16, v18, 0x3d2aabf7 :: v_dual_fmac_f32 v21, v21, v17
	v_fmaak_f32 v18, v16, v18, 0xbf000004
	v_and_b32_e32 v17, 0x80000000, v23
	s_delay_alu instid0(VALU_DEP_2) | instskip(SKIP_1) | instid1(VALU_DEP_2)
	v_fma_f32 v16, v16, v18, 1.0
	v_xor_b32_e32 v18, v19, v15
	v_cndmask_b32_e64 v16, v16, v21, s3
	v_cmp_class_f32_e64 s3, v15, 0x1f8
	s_delay_alu instid0(VALU_DEP_2) | instskip(NEXT) | instid1(VALU_DEP_1)
	v_xor3_b32 v16, v18, v17, v16
	v_cndmask_b32_e64 v15, 0x7fc00000, v16, s3
	global_store_b32 v[5:6], v15, off
	s_or_b32 exec_lo, exec_lo, s4
	s_and_saveexec_b32 s3, s2
	s_cbranch_execz .LBB113_29
.LBB113_34:                             ;   in Loop: Header=BB113_4 Depth=1
	v_dual_mul_f32 v15, v24, v24 :: v_dual_and_b32 v18, 1, v26
	s_delay_alu instid0(VALU_DEP_1) | instskip(NEXT) | instid1(VALU_DEP_2)
	v_dual_fmaak_f32 v16, s24, v15, 0x3c0881c4 :: v_dual_lshlrev_b32 v19, 30, v26
	v_cmp_eq_u32_e64 s2, 0, v18
	s_delay_alu instid0(VALU_DEP_2) | instskip(NEXT) | instid1(VALU_DEP_1)
	v_fmaak_f32 v16, v15, v16, 0xbe2aaa9d
	v_dual_fmaak_f32 v17, s25, v15, 0xbab64f3b :: v_dual_mul_f32 v16, v15, v16
	s_delay_alu instid0(VALU_DEP_1) | instskip(NEXT) | instid1(VALU_DEP_1)
	v_dual_fmaak_f32 v17, v15, v17, 0x3d2aabf7 :: v_dual_fmac_f32 v24, v24, v16
	v_fmaak_f32 v17, v15, v17, 0xbf000004
	v_xor_b32_e32 v16, v22, v14
	s_delay_alu instid0(VALU_DEP_2) | instskip(SKIP_1) | instid1(VALU_DEP_2)
	v_fma_f32 v15, v15, v17, 1.0
	v_and_b32_e32 v17, 0x80000000, v19
	v_cndmask_b32_e64 v15, v15, v24, s2
	v_cmp_class_f32_e64 s2, v14, 0x1f8
	s_delay_alu instid0(VALU_DEP_2) | instskip(NEXT) | instid1(VALU_DEP_1)
	v_xor3_b32 v15, v16, v17, v15
	v_cndmask_b32_e64 v16, 0x7fc00000, v15, s2
	v_add_co_u32 v14, s2, v3, s22
	s_delay_alu instid0(VALU_DEP_1)
	v_add_co_ci_u32_e64 v15, s2, 0, v4, s2
	global_store_b32 v[14:15], v16, off
	s_or_b32 exec_lo, exec_lo, s3
	s_and_saveexec_b32 s2, vcc_lo
	s_cbranch_execz .LBB113_3
.LBB113_35:                             ;   in Loop: Header=BB113_4 Depth=1
	v_dual_mul_f32 v14, v1, v1 :: v_dual_and_b32 v17, 1, v27
	s_delay_alu instid0(VALU_DEP_1) | instskip(NEXT) | instid1(VALU_DEP_2)
	v_dual_fmaak_f32 v15, s24, v14, 0x3c0881c4 :: v_dual_lshlrev_b32 v18, 30, v27
	v_cmp_eq_u32_e32 vcc_lo, 0, v17
	s_delay_alu instid0(VALU_DEP_2) | instskip(NEXT) | instid1(VALU_DEP_1)
	v_fmaak_f32 v15, v14, v15, 0xbe2aaa9d
	v_dual_fmaak_f32 v16, s25, v14, 0xbab64f3b :: v_dual_mul_f32 v15, v14, v15
	s_delay_alu instid0(VALU_DEP_1) | instskip(NEXT) | instid1(VALU_DEP_1)
	v_dual_fmaak_f32 v16, v14, v16, 0x3d2aabf7 :: v_dual_fmac_f32 v1, v1, v15
	v_fmaak_f32 v16, v14, v16, 0xbf000004
	v_xor_b32_e32 v15, v25, v13
	s_delay_alu instid0(VALU_DEP_2) | instskip(NEXT) | instid1(VALU_DEP_1)
	v_fma_f32 v14, v14, v16, 1.0
	v_dual_cndmask_b32 v1, v14, v1 :: v_dual_and_b32 v16, 0x80000000, v18
	v_cmp_class_f32_e64 vcc_lo, v13, 0x1f8
	s_delay_alu instid0(VALU_DEP_2) | instskip(NEXT) | instid1(VALU_DEP_1)
	v_xor3_b32 v1, v15, v16, v1
	v_cndmask_b32_e32 v1, 0x7fc00000, v1, vcc_lo
	v_add_co_u32 v13, vcc_lo, v3, s20
	v_add_co_ci_u32_e32 v14, vcc_lo, 0, v4, vcc_lo
	global_store_b32 v[13:14], v1, off
	s_branch .LBB113_3
.LBB113_36:
	s_cbranch_execz .LBB113_38
	s_branch .LBB113_57
.LBB113_37:
.LBB113_38:
	v_dual_mov_b32 v5, 0 :: v_dual_lshlrev_b32 v4, 2, v0
	s_mov_b32 s3, 0
	s_mov_b32 s2, exec_lo
	s_delay_alu instid0(VALU_DEP_1)
	v_cmpx_gt_i64_e64 s[10:11], v[4:5]
	s_cbranch_execz .LBB113_57
; %bb.39:
	s_load_b32 s0, s[0:1], 0xd3c
	s_mov_b32 s6, 0x7fffff
	s_mov_b32 s7, 0xb94c1982
	;; [unrolled: 1-line block ×3, first 2 shown]
	s_waitcnt lgkmcnt(0)
	s_and_b32 s0, s0, 0xffff
	s_delay_alu instid0(SALU_CYCLE_1) | instskip(SKIP_3) | instid1(VALU_DEP_2)
	v_add_lshl_u32 v4, v0, s0, 2
	v_lshlrev_b32_e32 v1, 4, v0
	s_lshl_b32 s4, s0, 2
	s_add_u32 s1, s12, s14
	v_dual_mov_b32 v9, v5 :: v_dual_mov_b32 v8, v4
	s_addc_u32 s2, s13, s15
	v_add_co_u32 v0, s1, s1, v1
	s_delay_alu instid0(VALU_DEP_1) | instskip(SKIP_1) | instid1(VALU_DEP_2)
	v_add_co_ci_u32_e64 v1, null, s2, 0, s1
	s_lshl_b32 s5, s0, 4
	v_add_co_u32 v6, vcc_lo, v0, 8
	s_delay_alu instid0(VALU_DEP_2)
	v_add_co_ci_u32_e32 v7, vcc_lo, 0, v1, vcc_lo
	s_branch .LBB113_41
.LBB113_40:                             ;   in Loop: Header=BB113_41 Depth=1
	s_or_b32 exec_lo, exec_lo, s0
	v_dual_mul_f32 v21, v17, v17 :: v_dual_and_b32 v22, 1, v19
	v_lshlrev_b32_e32 v19, 30, v19
	v_xor_b32_e32 v16, v16, v2
	v_xor_b32_e32 v13, v13, v1
	s_delay_alu instid0(VALU_DEP_4) | instskip(SKIP_3) | instid1(VALU_DEP_4)
	v_fmaak_f32 v24, s8, v21, 0xbab64f3b
	v_dual_fmaak_f32 v23, s7, v21, 0x3c0881c4 :: v_dual_and_b32 v26, 1, v15
	v_mul_f32_e32 v25, v14, v14
	v_cmp_eq_u32_e32 vcc_lo, 0, v22
	v_dual_fmaak_f32 v24, v21, v24, 0x3d2aabf7 :: v_dual_mul_f32 v27, v11, v11
	s_delay_alu instid0(VALU_DEP_4) | instskip(NEXT) | instid1(VALU_DEP_4)
	v_dual_fmaak_f32 v23, v21, v23, 0xbe2aaa9d :: v_dual_mul_f32 v30, v4, v4
	v_fmaak_f32 v28, s7, v25, 0x3c0881c4
	s_delay_alu instid0(VALU_DEP_3) | instskip(NEXT) | instid1(VALU_DEP_3)
	v_dual_fmaak_f32 v24, v21, v24, 0xbf000004 :: v_dual_lshlrev_b32 v15, 30, v15
	v_mul_f32_e32 v23, v21, v23
	v_fmaak_f32 v22, s8, v27, 0xbab64f3b
	s_delay_alu instid0(VALU_DEP_4) | instskip(NEXT) | instid1(VALU_DEP_4)
	v_fmaak_f32 v28, v25, v28, 0xbe2aaa9d
	v_fma_f32 v21, v21, v24, 1.0
	v_xor_b32_e32 v10, v10, v0
	v_fmac_f32_e32 v17, v17, v23
	v_xor_b32_e32 v18, v18, v3
	v_dual_mul_f32 v23, v25, v28 :: v_dual_fmaak_f32 v28, s7, v27, 0x3c0881c4
	v_fmaak_f32 v29, s8, v25, 0xbab64f3b
	s_delay_alu instid0(VALU_DEP_4) | instskip(SKIP_1) | instid1(VALU_DEP_4)
	v_cndmask_b32_e32 v17, v21, v17, vcc_lo
	v_cmp_eq_u32_e32 vcc_lo, 0, v26
	v_dual_fmac_f32 v14, v14, v23 :: v_dual_fmaak_f32 v23, v27, v28, 0xbe2aaa9d
	s_delay_alu instid0(VALU_DEP_4) | instskip(SKIP_1) | instid1(VALU_DEP_2)
	v_fmaak_f32 v29, v25, v29, 0x3d2aabf7
	v_cmp_lt_u64_e64 s0, 0xffff, v[8:9]
	v_fmaak_f32 v24, v25, v29, 0xbf000004
	s_delay_alu instid0(VALU_DEP_1) | instskip(NEXT) | instid1(VALU_DEP_1)
	v_fma_f32 v21, v25, v24, 1.0
	v_dual_cndmask_b32 v14, v21, v14 :: v_dual_and_b32 v19, 0x80000000, v19
	s_delay_alu instid0(VALU_DEP_1) | instskip(SKIP_4) | instid1(VALU_DEP_4)
	v_xor3_b32 v16, v16, v19, v17
	v_fmaak_f32 v17, v27, v22, 0x3d2aabf7
	v_mul_f32_e32 v19, v27, v23
	v_fmaak_f32 v21, s7, v30, 0x3c0881c4
	v_fmaak_f32 v22, s8, v30, 0xbab64f3b
	;; [unrolled: 1-line block ×3, first 2 shown]
	s_delay_alu instid0(VALU_DEP_4) | instskip(NEXT) | instid1(VALU_DEP_4)
	v_fmac_f32_e32 v11, v11, v19
	v_fmaak_f32 v19, v30, v21, 0xbe2aaa9d
	s_delay_alu instid0(VALU_DEP_4) | instskip(NEXT) | instid1(VALU_DEP_4)
	v_dual_fmaak_f32 v21, v30, v22, 0x3d2aabf7 :: v_dual_and_b32 v22, 1, v12
	v_fma_f32 v17, v27, v17, 1.0
	s_delay_alu instid0(VALU_DEP_3) | instskip(NEXT) | instid1(VALU_DEP_3)
	v_dual_mul_f32 v19, v30, v19 :: v_dual_lshlrev_b32 v12, 30, v12
	v_fmaak_f32 v21, v30, v21, 0xbf000004
	s_delay_alu instid0(VALU_DEP_4) | instskip(NEXT) | instid1(VALU_DEP_3)
	v_cmp_eq_u32_e32 vcc_lo, 0, v22
	v_and_b32_e32 v12, 0x80000000, v12
	s_delay_alu instid0(VALU_DEP_4) | instskip(NEXT) | instid1(VALU_DEP_4)
	v_fmac_f32_e32 v4, v4, v19
	v_fma_f32 v19, v30, v21, 1.0
	v_cndmask_b32_e32 v11, v17, v11, vcc_lo
	v_and_b32_e32 v17, 1, v20
	v_lshlrev_b32_e32 v20, 30, v20
	s_delay_alu instid0(VALU_DEP_3) | instskip(NEXT) | instid1(VALU_DEP_3)
	v_xor3_b32 v10, v10, v12, v11
	v_cmp_eq_u32_e32 vcc_lo, 0, v17
	v_and_b32_e32 v15, 0x80000000, v15
	s_delay_alu instid0(VALU_DEP_4) | instskip(SKIP_2) | instid1(VALU_DEP_4)
	v_and_b32_e32 v17, 0x80000000, v20
	v_cndmask_b32_e32 v4, v19, v4, vcc_lo
	v_cmp_class_f32_e64 vcc_lo, v2, 0x1f8
	v_xor3_b32 v13, v13, v15, v14
	s_delay_alu instid0(VALU_DEP_3) | instskip(SKIP_2) | instid1(VALU_DEP_4)
	v_xor3_b32 v4, v18, v17, v4
	v_cndmask_b32_e32 v2, 0x7fc00000, v16, vcc_lo
	v_cmp_class_f32_e64 vcc_lo, v1, 0x1f8
	v_cndmask_b32_e32 v1, 0x7fc00000, v13, vcc_lo
	v_cmp_class_f32_e64 vcc_lo, v0, 0x1f8
	;; [unrolled: 2-line block ×3, first 2 shown]
	v_cndmask_b32_e32 v3, 0x7fc00000, v4, vcc_lo
	v_cmp_le_i64_e32 vcc_lo, s[10:11], v[8:9]
	global_store_b128 v[6:7], v[0:3], off offset:-8
	s_or_b32 s0, vcc_lo, s0
	v_add_co_u32 v8, vcc_lo, v8, s4
	v_add_co_ci_u32_e32 v9, vcc_lo, 0, v9, vcc_lo
	v_add_co_u32 v6, vcc_lo, v6, s5
	v_add_co_ci_u32_e32 v7, vcc_lo, 0, v7, vcc_lo
	s_and_b32 s0, exec_lo, s0
	s_delay_alu instid0(SALU_CYCLE_1) | instskip(NEXT) | instid1(SALU_CYCLE_1)
	s_or_b32 s3, s0, s3
	s_and_not1_b32 exec_lo, exec_lo, s3
	s_cbranch_execz .LBB113_57
.LBB113_41:                             ; =>This Inner Loop Header: Depth=1
	global_load_b128 v[0:3], v[6:7], off offset:-8
                                        ; implicit-def: $vgpr12
                                        ; implicit-def: $vgpr11
	s_mov_b32 s1, exec_lo
	s_waitcnt vmcnt(0)
	v_and_b32_e32 v10, 0x7fffffff, v0
	v_cmpx_ngt_f32_e64 0x48000000, |v0|
	s_xor_b32 s9, exec_lo, s1
	s_cbranch_execz .LBB113_43
; %bb.42:                               ;   in Loop: Header=BB113_41 Depth=1
	s_delay_alu instid0(VALU_DEP_2) | instskip(SKIP_1) | instid1(VALU_DEP_2)
	v_and_or_b32 v19, v10, s6, 0x800000
	v_lshrrev_b32_e32 v16, 23, v10
	v_mad_u64_u32 v[11:12], null, 0xfe5163ab, v19, 0
	s_delay_alu instid0(VALU_DEP_2) | instskip(NEXT) | instid1(VALU_DEP_1)
	v_add_nc_u32_e32 v17, 0xffffff88, v16
	v_cmp_lt_u32_e32 vcc_lo, 63, v17
	s_delay_alu instid0(VALU_DEP_3) | instskip(SKIP_1) | instid1(VALU_DEP_2)
	v_mov_b32_e32 v4, v12
	v_cndmask_b32_e64 v18, 0, 0xffffffc0, vcc_lo
	v_mad_u64_u32 v[12:13], null, 0x3c439041, v19, v[4:5]
	s_delay_alu instid0(VALU_DEP_2) | instskip(NEXT) | instid1(VALU_DEP_2)
	v_add_nc_u32_e32 v18, v18, v17
	v_mov_b32_e32 v4, v13
	s_delay_alu instid0(VALU_DEP_2) | instskip(NEXT) | instid1(VALU_DEP_2)
	v_cmp_lt_u32_e64 s0, 31, v18
	v_mad_u64_u32 v[13:14], null, 0xdb629599, v19, v[4:5]
	s_delay_alu instid0(VALU_DEP_2) | instskip(NEXT) | instid1(VALU_DEP_1)
	v_cndmask_b32_e64 v20, 0, 0xffffffe0, s0
	v_add_nc_u32_e32 v20, v20, v18
	s_delay_alu instid0(VALU_DEP_3) | instskip(NEXT) | instid1(VALU_DEP_2)
	v_dual_mov_b32 v4, v14 :: v_dual_cndmask_b32 v11, v13, v11
	v_cmp_lt_u32_e64 s1, 31, v20
	s_delay_alu instid0(VALU_DEP_2) | instskip(NEXT) | instid1(VALU_DEP_1)
	v_mad_u64_u32 v[14:15], null, 0xf534ddc0, v19, v[4:5]
	v_mov_b32_e32 v4, v15
	s_delay_alu instid0(VALU_DEP_2) | instskip(NEXT) | instid1(VALU_DEP_2)
	v_cndmask_b32_e32 v12, v14, v12, vcc_lo
	v_mad_u64_u32 v[15:16], null, 0xfc2757d1, v19, v[4:5]
	s_delay_alu instid0(VALU_DEP_2) | instskip(NEXT) | instid1(VALU_DEP_2)
	v_cndmask_b32_e64 v11, v12, v11, s0
	v_mov_b32_e32 v4, v16
	s_delay_alu instid0(VALU_DEP_1) | instskip(NEXT) | instid1(VALU_DEP_1)
	v_mad_u64_u32 v[16:17], null, 0x4e441529, v19, v[4:5]
	v_mov_b32_e32 v4, v17
	s_delay_alu instid0(VALU_DEP_1) | instskip(SKIP_1) | instid1(VALU_DEP_4)
	v_mad_u64_u32 v[17:18], null, 0xa2f9836e, v19, v[4:5]
	v_cndmask_b32_e64 v4, 0, 0xffffffe0, s1
	v_cndmask_b32_e32 v19, v16, v14, vcc_lo
	s_delay_alu instid0(VALU_DEP_2) | instskip(NEXT) | instid1(VALU_DEP_4)
	v_dual_cndmask_b32 v17, v17, v15 :: v_dual_add_nc_u32 v4, v4, v20
	v_dual_cndmask_b32 v16, v18, v16 :: v_dual_cndmask_b32 v15, v15, v13
	s_delay_alu instid0(VALU_DEP_2) | instskip(NEXT) | instid1(VALU_DEP_3)
	v_sub_nc_u32_e32 v18, 32, v4
	v_cndmask_b32_e64 v14, v17, v19, s0
	s_delay_alu instid0(VALU_DEP_3) | instskip(NEXT) | instid1(VALU_DEP_4)
	v_cndmask_b32_e64 v16, v16, v17, s0
	v_cndmask_b32_e64 v17, v19, v15, s0
	;; [unrolled: 1-line block ×3, first 2 shown]
	v_cmp_eq_u32_e64 s2, 0, v4
	s_delay_alu instid0(VALU_DEP_4) | instskip(NEXT) | instid1(VALU_DEP_4)
	v_cndmask_b32_e64 v16, v16, v14, s1
	v_cndmask_b32_e64 v14, v14, v17, s1
	s_delay_alu instid0(VALU_DEP_4) | instskip(SKIP_1) | instid1(VALU_DEP_3)
	v_cndmask_b32_e64 v17, v17, v15, s1
	v_cndmask_b32_e64 v11, v15, v11, s1
	v_alignbit_b32 v19, v16, v14, v18
	s_delay_alu instid0(VALU_DEP_3) | instskip(NEXT) | instid1(VALU_DEP_3)
	v_alignbit_b32 v20, v14, v17, v18
	v_alignbit_b32 v18, v17, v11, v18
	s_delay_alu instid0(VALU_DEP_3) | instskip(NEXT) | instid1(VALU_DEP_3)
	v_cndmask_b32_e64 v4, v19, v16, s2
	v_cndmask_b32_e64 v13, v20, v14, s2
	s_delay_alu instid0(VALU_DEP_3) | instskip(NEXT) | instid1(VALU_DEP_3)
	v_cndmask_b32_e64 v17, v18, v17, s2
	v_bfe_u32 v14, v4, 29, 1
	s_delay_alu instid0(VALU_DEP_3) | instskip(NEXT) | instid1(VALU_DEP_3)
	v_alignbit_b32 v12, v4, v13, 30
	v_alignbit_b32 v13, v13, v17, 30
	;; [unrolled: 1-line block ×3, first 2 shown]
	s_delay_alu instid0(VALU_DEP_4) | instskip(NEXT) | instid1(VALU_DEP_1)
	v_sub_nc_u32_e32 v16, 0, v14
	v_xor_b32_e32 v15, v12, v16
	v_cmp_ne_u32_e32 vcc_lo, v12, v16
	v_xor_b32_e32 v13, v13, v16
	v_xor_b32_e32 v11, v11, v16
	s_delay_alu instid0(VALU_DEP_4) | instskip(NEXT) | instid1(VALU_DEP_1)
	v_clz_i32_u32_e32 v19, v15
	v_add_nc_u32_e32 v18, 1, v19
	s_delay_alu instid0(VALU_DEP_1) | instskip(NEXT) | instid1(VALU_DEP_1)
	v_cndmask_b32_e32 v12, 33, v18, vcc_lo
	v_sub_nc_u32_e32 v17, 32, v12
	s_delay_alu instid0(VALU_DEP_1) | instskip(SKIP_3) | instid1(VALU_DEP_3)
	v_alignbit_b32 v15, v15, v13, v17
	v_alignbit_b32 v11, v13, v11, v17
	v_lshrrev_b32_e32 v13, 29, v4
	v_lshrrev_b32_e32 v4, 30, v4
	v_alignbit_b32 v16, v15, v11, 9
	s_delay_alu instid0(VALU_DEP_3) | instskip(SKIP_1) | instid1(VALU_DEP_3)
	v_lshlrev_b32_e32 v13, 31, v13
	v_alignbit_b32 v15, v12, v15, 9
	v_clz_i32_u32_e32 v17, v16
	s_delay_alu instid0(VALU_DEP_2) | instskip(SKIP_1) | instid1(VALU_DEP_3)
	v_or_b32_e32 v15, v15, v13
	v_or_b32_e32 v13, 0x33800000, v13
	v_min_u32_e32 v17, 32, v17
	s_delay_alu instid0(VALU_DEP_3) | instskip(NEXT) | instid1(VALU_DEP_2)
	v_xor_b32_e32 v15, 1.0, v15
	v_sub_nc_u32_e32 v18, 31, v17
	v_add_lshl_u32 v12, v17, v12, 23
	s_delay_alu instid0(VALU_DEP_3) | instskip(NEXT) | instid1(VALU_DEP_3)
	v_mul_f32_e32 v17, 0x3fc90fda, v15
	v_alignbit_b32 v11, v16, v11, v18
	s_delay_alu instid0(VALU_DEP_3) | instskip(NEXT) | instid1(VALU_DEP_3)
	v_sub_nc_u32_e32 v12, v13, v12
	v_fma_f32 v13, 0x3fc90fda, v15, -v17
	s_delay_alu instid0(VALU_DEP_3) | instskip(NEXT) | instid1(VALU_DEP_2)
	v_lshrrev_b32_e32 v11, 9, v11
	v_fmac_f32_e32 v13, 0x33a22168, v15
	s_delay_alu instid0(VALU_DEP_2) | instskip(NEXT) | instid1(VALU_DEP_1)
	v_or_b32_e32 v11, v12, v11
	v_dual_fmac_f32 v13, 0x3fc90fda, v11 :: v_dual_add_nc_u32 v12, v14, v4
	s_delay_alu instid0(VALU_DEP_1)
	v_add_f32_e32 v11, v17, v13
.LBB113_43:                             ;   in Loop: Header=BB113_41 Depth=1
	s_and_not1_saveexec_b32 s0, s9
; %bb.44:                               ;   in Loop: Header=BB113_41 Depth=1
	v_mul_f32_e64 v4, 0x3f22f983, |v0|
	s_delay_alu instid0(VALU_DEP_1) | instskip(NEXT) | instid1(VALU_DEP_1)
	v_rndne_f32_e32 v4, v4
	v_fma_f32 v11, 0xbfc90fda, v4, |v0|
	v_cvt_i32_f32_e32 v12, v4
	s_delay_alu instid0(VALU_DEP_2) | instskip(NEXT) | instid1(VALU_DEP_1)
	v_fmac_f32_e32 v11, 0xb3a22168, v4
	v_fmac_f32_e32 v11, 0xa7c234c4, v4
; %bb.45:                               ;   in Loop: Header=BB113_41 Depth=1
	s_or_b32 exec_lo, exec_lo, s0
	v_and_b32_e32 v13, 0x7fffffff, v1
                                        ; implicit-def: $vgpr15
                                        ; implicit-def: $vgpr14
	s_mov_b32 s1, exec_lo
	v_cmpx_ngt_f32_e64 0x48000000, |v1|
	s_xor_b32 s9, exec_lo, s1
	s_cbranch_execz .LBB113_47
; %bb.46:                               ;   in Loop: Header=BB113_41 Depth=1
	v_lshrrev_b32_e32 v19, 23, v13
	v_and_or_b32 v22, v13, s6, 0x800000
	s_delay_alu instid0(VALU_DEP_2) | instskip(NEXT) | instid1(VALU_DEP_2)
	v_add_nc_u32_e32 v20, 0xffffff88, v19
	v_mad_u64_u32 v[14:15], null, 0xfe5163ab, v22, 0
	s_delay_alu instid0(VALU_DEP_2) | instskip(SKIP_1) | instid1(VALU_DEP_1)
	v_cmp_lt_u32_e32 vcc_lo, 63, v20
	v_cndmask_b32_e64 v21, 0, 0xffffffc0, vcc_lo
	v_dual_mov_b32 v4, v15 :: v_dual_add_nc_u32 v21, v21, v20
	s_delay_alu instid0(VALU_DEP_1) | instskip(NEXT) | instid1(VALU_DEP_2)
	v_mad_u64_u32 v[15:16], null, 0x3c439041, v22, v[4:5]
	v_cmp_lt_u32_e64 s0, 31, v21
	s_delay_alu instid0(VALU_DEP_1) | instskip(NEXT) | instid1(VALU_DEP_1)
	v_cndmask_b32_e64 v23, 0, 0xffffffe0, s0
	v_dual_mov_b32 v4, v16 :: v_dual_add_nc_u32 v23, v23, v21
	s_delay_alu instid0(VALU_DEP_1) | instskip(NEXT) | instid1(VALU_DEP_2)
	v_mad_u64_u32 v[16:17], null, 0xdb629599, v22, v[4:5]
	v_cmp_lt_u32_e64 s1, 31, v23
	s_delay_alu instid0(VALU_DEP_2) | instskip(NEXT) | instid1(VALU_DEP_3)
	v_mov_b32_e32 v4, v17
	v_cndmask_b32_e32 v14, v16, v14, vcc_lo
	s_delay_alu instid0(VALU_DEP_2) | instskip(NEXT) | instid1(VALU_DEP_1)
	v_mad_u64_u32 v[17:18], null, 0xf534ddc0, v22, v[4:5]
	v_dual_mov_b32 v4, v18 :: v_dual_cndmask_b32 v15, v17, v15
	s_delay_alu instid0(VALU_DEP_1) | instskip(NEXT) | instid1(VALU_DEP_2)
	v_mad_u64_u32 v[18:19], null, 0xfc2757d1, v22, v[4:5]
	v_cndmask_b32_e64 v14, v15, v14, s0
	s_delay_alu instid0(VALU_DEP_2) | instskip(NEXT) | instid1(VALU_DEP_1)
	v_mov_b32_e32 v4, v19
	v_mad_u64_u32 v[19:20], null, 0x4e441529, v22, v[4:5]
	s_delay_alu instid0(VALU_DEP_1) | instskip(NEXT) | instid1(VALU_DEP_1)
	v_mov_b32_e32 v4, v20
	v_mad_u64_u32 v[20:21], null, 0xa2f9836e, v22, v[4:5]
	v_cndmask_b32_e64 v4, 0, 0xffffffe0, s1
	s_delay_alu instid0(VALU_DEP_4) | instskip(NEXT) | instid1(VALU_DEP_2)
	v_cndmask_b32_e32 v22, v19, v17, vcc_lo
	v_add_nc_u32_e32 v4, v4, v23
	s_delay_alu instid0(VALU_DEP_4) | instskip(SKIP_1) | instid1(VALU_DEP_3)
	v_dual_cndmask_b32 v20, v20, v18 :: v_dual_cndmask_b32 v19, v21, v19
	v_cndmask_b32_e32 v18, v18, v16, vcc_lo
	v_sub_nc_u32_e32 v21, 32, v4
	s_delay_alu instid0(VALU_DEP_3) | instskip(NEXT) | instid1(VALU_DEP_4)
	v_cndmask_b32_e64 v17, v20, v22, s0
	v_cndmask_b32_e64 v19, v19, v20, s0
	s_delay_alu instid0(VALU_DEP_4) | instskip(SKIP_2) | instid1(VALU_DEP_4)
	v_cndmask_b32_e64 v20, v22, v18, s0
	v_cndmask_b32_e64 v18, v18, v15, s0
	v_cmp_eq_u32_e64 s2, 0, v4
	v_cndmask_b32_e64 v19, v19, v17, s1
	s_delay_alu instid0(VALU_DEP_4) | instskip(NEXT) | instid1(VALU_DEP_4)
	v_cndmask_b32_e64 v17, v17, v20, s1
	v_cndmask_b32_e64 v20, v20, v18, s1
	;; [unrolled: 1-line block ×3, first 2 shown]
	s_delay_alu instid0(VALU_DEP_3) | instskip(NEXT) | instid1(VALU_DEP_3)
	v_alignbit_b32 v22, v19, v17, v21
	v_alignbit_b32 v23, v17, v20, v21
	s_delay_alu instid0(VALU_DEP_3) | instskip(NEXT) | instid1(VALU_DEP_3)
	v_alignbit_b32 v21, v20, v14, v21
	v_cndmask_b32_e64 v4, v22, v19, s2
	s_delay_alu instid0(VALU_DEP_3) | instskip(NEXT) | instid1(VALU_DEP_3)
	v_cndmask_b32_e64 v16, v23, v17, s2
	v_cndmask_b32_e64 v20, v21, v20, s2
	s_delay_alu instid0(VALU_DEP_3) | instskip(NEXT) | instid1(VALU_DEP_3)
	v_bfe_u32 v17, v4, 29, 1
	v_alignbit_b32 v15, v4, v16, 30
	s_delay_alu instid0(VALU_DEP_3) | instskip(SKIP_1) | instid1(VALU_DEP_4)
	v_alignbit_b32 v16, v16, v20, 30
	v_alignbit_b32 v14, v20, v14, 30
	v_sub_nc_u32_e32 v19, 0, v17
	s_delay_alu instid0(VALU_DEP_1) | instskip(SKIP_3) | instid1(VALU_DEP_4)
	v_xor_b32_e32 v18, v15, v19
	v_cmp_ne_u32_e32 vcc_lo, v15, v19
	v_xor_b32_e32 v16, v16, v19
	v_xor_b32_e32 v14, v14, v19
	v_clz_i32_u32_e32 v22, v18
	s_delay_alu instid0(VALU_DEP_1) | instskip(NEXT) | instid1(VALU_DEP_1)
	v_add_nc_u32_e32 v21, 1, v22
	v_cndmask_b32_e32 v15, 33, v21, vcc_lo
	s_delay_alu instid0(VALU_DEP_1) | instskip(NEXT) | instid1(VALU_DEP_1)
	v_sub_nc_u32_e32 v20, 32, v15
	v_alignbit_b32 v18, v18, v16, v20
	v_alignbit_b32 v14, v16, v14, v20
	v_lshrrev_b32_e32 v16, 29, v4
	v_lshrrev_b32_e32 v4, 30, v4
	s_delay_alu instid0(VALU_DEP_3) | instskip(NEXT) | instid1(VALU_DEP_3)
	v_alignbit_b32 v19, v18, v14, 9
	v_lshlrev_b32_e32 v16, 31, v16
	v_alignbit_b32 v18, v15, v18, 9
	s_delay_alu instid0(VALU_DEP_3) | instskip(NEXT) | instid1(VALU_DEP_2)
	v_clz_i32_u32_e32 v20, v19
	v_or_b32_e32 v18, v18, v16
	v_or_b32_e32 v16, 0x33800000, v16
	s_delay_alu instid0(VALU_DEP_3) | instskip(NEXT) | instid1(VALU_DEP_3)
	v_min_u32_e32 v20, 32, v20
	v_xor_b32_e32 v18, 1.0, v18
	s_delay_alu instid0(VALU_DEP_2) | instskip(SKIP_1) | instid1(VALU_DEP_3)
	v_sub_nc_u32_e32 v21, 31, v20
	v_add_lshl_u32 v15, v20, v15, 23
	v_mul_f32_e32 v20, 0x3fc90fda, v18
	s_delay_alu instid0(VALU_DEP_3) | instskip(NEXT) | instid1(VALU_DEP_3)
	v_alignbit_b32 v14, v19, v14, v21
	v_sub_nc_u32_e32 v15, v16, v15
	s_delay_alu instid0(VALU_DEP_3) | instskip(NEXT) | instid1(VALU_DEP_3)
	v_fma_f32 v16, 0x3fc90fda, v18, -v20
	v_lshrrev_b32_e32 v14, 9, v14
	s_delay_alu instid0(VALU_DEP_2) | instskip(NEXT) | instid1(VALU_DEP_2)
	v_fmac_f32_e32 v16, 0x33a22168, v18
	v_or_b32_e32 v14, v15, v14
	s_delay_alu instid0(VALU_DEP_1) | instskip(NEXT) | instid1(VALU_DEP_1)
	v_dual_fmac_f32 v16, 0x3fc90fda, v14 :: v_dual_add_nc_u32 v15, v17, v4
	v_add_f32_e32 v14, v20, v16
.LBB113_47:                             ;   in Loop: Header=BB113_41 Depth=1
	s_and_not1_saveexec_b32 s0, s9
; %bb.48:                               ;   in Loop: Header=BB113_41 Depth=1
	v_mul_f32_e64 v4, 0x3f22f983, |v1|
	s_delay_alu instid0(VALU_DEP_1) | instskip(NEXT) | instid1(VALU_DEP_1)
	v_rndne_f32_e32 v4, v4
	v_fma_f32 v14, 0xbfc90fda, v4, |v1|
	v_cvt_i32_f32_e32 v15, v4
	s_delay_alu instid0(VALU_DEP_2) | instskip(NEXT) | instid1(VALU_DEP_1)
	v_fmac_f32_e32 v14, 0xb3a22168, v4
	v_fmac_f32_e32 v14, 0xa7c234c4, v4
; %bb.49:                               ;   in Loop: Header=BB113_41 Depth=1
	s_or_b32 exec_lo, exec_lo, s0
	v_and_b32_e32 v16, 0x7fffffff, v2
                                        ; implicit-def: $vgpr19
                                        ; implicit-def: $vgpr17
	s_mov_b32 s1, exec_lo
	v_cmpx_ngt_f32_e64 0x48000000, |v2|
	s_xor_b32 s9, exec_lo, s1
	s_cbranch_execz .LBB113_51
; %bb.50:                               ;   in Loop: Header=BB113_41 Depth=1
	v_and_or_b32 v25, v16, s6, 0x800000
	v_lshrrev_b32_e32 v22, 23, v16
	s_delay_alu instid0(VALU_DEP_2) | instskip(NEXT) | instid1(VALU_DEP_2)
	v_mad_u64_u32 v[17:18], null, 0xfe5163ab, v25, 0
	v_add_nc_u32_e32 v23, 0xffffff88, v22
	s_delay_alu instid0(VALU_DEP_1) | instskip(NEXT) | instid1(VALU_DEP_3)
	v_cmp_lt_u32_e32 vcc_lo, 63, v23
	v_mov_b32_e32 v4, v18
	v_cndmask_b32_e64 v24, 0, 0xffffffc0, vcc_lo
	s_delay_alu instid0(VALU_DEP_2) | instskip(NEXT) | instid1(VALU_DEP_2)
	v_mad_u64_u32 v[18:19], null, 0x3c439041, v25, v[4:5]
	v_add_nc_u32_e32 v24, v24, v23
	s_delay_alu instid0(VALU_DEP_2) | instskip(NEXT) | instid1(VALU_DEP_2)
	v_mov_b32_e32 v4, v19
	v_cmp_lt_u32_e64 s0, 31, v24
	s_delay_alu instid0(VALU_DEP_2) | instskip(NEXT) | instid1(VALU_DEP_2)
	v_mad_u64_u32 v[19:20], null, 0xdb629599, v25, v[4:5]
	v_cndmask_b32_e64 v26, 0, 0xffffffe0, s0
	s_delay_alu instid0(VALU_DEP_1) | instskip(NEXT) | instid1(VALU_DEP_3)
	v_add_nc_u32_e32 v26, v26, v24
	v_dual_mov_b32 v4, v20 :: v_dual_cndmask_b32 v17, v19, v17
	s_delay_alu instid0(VALU_DEP_2) | instskip(NEXT) | instid1(VALU_DEP_2)
	v_cmp_lt_u32_e64 s1, 31, v26
	v_mad_u64_u32 v[20:21], null, 0xf534ddc0, v25, v[4:5]
	s_delay_alu instid0(VALU_DEP_1) | instskip(NEXT) | instid1(VALU_DEP_2)
	v_mov_b32_e32 v4, v21
	v_cndmask_b32_e32 v18, v20, v18, vcc_lo
	s_delay_alu instid0(VALU_DEP_2) | instskip(NEXT) | instid1(VALU_DEP_2)
	v_mad_u64_u32 v[21:22], null, 0xfc2757d1, v25, v[4:5]
	v_cndmask_b32_e64 v17, v18, v17, s0
	s_delay_alu instid0(VALU_DEP_2) | instskip(NEXT) | instid1(VALU_DEP_1)
	v_mov_b32_e32 v4, v22
	v_mad_u64_u32 v[22:23], null, 0x4e441529, v25, v[4:5]
	s_delay_alu instid0(VALU_DEP_1) | instskip(NEXT) | instid1(VALU_DEP_1)
	v_mov_b32_e32 v4, v23
	v_mad_u64_u32 v[23:24], null, 0xa2f9836e, v25, v[4:5]
	v_cndmask_b32_e64 v4, 0, 0xffffffe0, s1
	s_delay_alu instid0(VALU_DEP_1) | instskip(NEXT) | instid1(VALU_DEP_3)
	v_dual_cndmask_b32 v25, v22, v20 :: v_dual_add_nc_u32 v4, v4, v26
	v_dual_cndmask_b32 v23, v23, v21 :: v_dual_cndmask_b32 v22, v24, v22
	v_cndmask_b32_e32 v21, v21, v19, vcc_lo
	s_delay_alu instid0(VALU_DEP_3) | instskip(NEXT) | instid1(VALU_DEP_3)
	v_sub_nc_u32_e32 v24, 32, v4
	v_cndmask_b32_e64 v20, v23, v25, s0
	s_delay_alu instid0(VALU_DEP_4) | instskip(NEXT) | instid1(VALU_DEP_4)
	v_cndmask_b32_e64 v22, v22, v23, s0
	v_cndmask_b32_e64 v23, v25, v21, s0
	;; [unrolled: 1-line block ×3, first 2 shown]
	v_cmp_eq_u32_e64 s2, 0, v4
	s_delay_alu instid0(VALU_DEP_4) | instskip(NEXT) | instid1(VALU_DEP_4)
	v_cndmask_b32_e64 v22, v22, v20, s1
	v_cndmask_b32_e64 v20, v20, v23, s1
	s_delay_alu instid0(VALU_DEP_4) | instskip(SKIP_1) | instid1(VALU_DEP_3)
	v_cndmask_b32_e64 v23, v23, v21, s1
	v_cndmask_b32_e64 v17, v21, v17, s1
	v_alignbit_b32 v25, v22, v20, v24
	s_delay_alu instid0(VALU_DEP_3) | instskip(NEXT) | instid1(VALU_DEP_3)
	v_alignbit_b32 v26, v20, v23, v24
	v_alignbit_b32 v24, v23, v17, v24
	s_delay_alu instid0(VALU_DEP_3) | instskip(NEXT) | instid1(VALU_DEP_3)
	v_cndmask_b32_e64 v4, v25, v22, s2
	v_cndmask_b32_e64 v19, v26, v20, s2
	s_delay_alu instid0(VALU_DEP_3) | instskip(NEXT) | instid1(VALU_DEP_3)
	v_cndmask_b32_e64 v23, v24, v23, s2
	v_bfe_u32 v20, v4, 29, 1
	s_delay_alu instid0(VALU_DEP_3) | instskip(NEXT) | instid1(VALU_DEP_3)
	v_alignbit_b32 v18, v4, v19, 30
	v_alignbit_b32 v19, v19, v23, 30
	;; [unrolled: 1-line block ×3, first 2 shown]
	s_delay_alu instid0(VALU_DEP_4) | instskip(NEXT) | instid1(VALU_DEP_1)
	v_sub_nc_u32_e32 v22, 0, v20
	v_xor_b32_e32 v21, v18, v22
	v_cmp_ne_u32_e32 vcc_lo, v18, v22
	v_xor_b32_e32 v19, v19, v22
	v_xor_b32_e32 v17, v17, v22
	s_delay_alu instid0(VALU_DEP_4) | instskip(NEXT) | instid1(VALU_DEP_1)
	v_clz_i32_u32_e32 v25, v21
	v_add_nc_u32_e32 v24, 1, v25
	s_delay_alu instid0(VALU_DEP_1) | instskip(NEXT) | instid1(VALU_DEP_1)
	v_cndmask_b32_e32 v18, 33, v24, vcc_lo
	v_sub_nc_u32_e32 v23, 32, v18
	s_delay_alu instid0(VALU_DEP_1) | instskip(SKIP_3) | instid1(VALU_DEP_3)
	v_alignbit_b32 v21, v21, v19, v23
	v_alignbit_b32 v17, v19, v17, v23
	v_lshrrev_b32_e32 v19, 29, v4
	v_lshrrev_b32_e32 v4, 30, v4
	v_alignbit_b32 v22, v21, v17, 9
	s_delay_alu instid0(VALU_DEP_3) | instskip(SKIP_1) | instid1(VALU_DEP_3)
	v_lshlrev_b32_e32 v19, 31, v19
	v_alignbit_b32 v21, v18, v21, 9
	v_clz_i32_u32_e32 v23, v22
	s_delay_alu instid0(VALU_DEP_2) | instskip(SKIP_1) | instid1(VALU_DEP_3)
	v_or_b32_e32 v21, v21, v19
	v_or_b32_e32 v19, 0x33800000, v19
	v_min_u32_e32 v23, 32, v23
	s_delay_alu instid0(VALU_DEP_3) | instskip(NEXT) | instid1(VALU_DEP_2)
	v_xor_b32_e32 v21, 1.0, v21
	v_sub_nc_u32_e32 v24, 31, v23
	v_add_lshl_u32 v18, v23, v18, 23
	s_delay_alu instid0(VALU_DEP_3) | instskip(NEXT) | instid1(VALU_DEP_3)
	v_mul_f32_e32 v23, 0x3fc90fda, v21
	v_alignbit_b32 v17, v22, v17, v24
	s_delay_alu instid0(VALU_DEP_3) | instskip(NEXT) | instid1(VALU_DEP_3)
	v_sub_nc_u32_e32 v18, v19, v18
	v_fma_f32 v19, 0x3fc90fda, v21, -v23
	s_delay_alu instid0(VALU_DEP_3) | instskip(NEXT) | instid1(VALU_DEP_2)
	v_lshrrev_b32_e32 v17, 9, v17
	v_fmac_f32_e32 v19, 0x33a22168, v21
	s_delay_alu instid0(VALU_DEP_2) | instskip(NEXT) | instid1(VALU_DEP_1)
	v_or_b32_e32 v17, v18, v17
	v_fmac_f32_e32 v19, 0x3fc90fda, v17
	s_delay_alu instid0(VALU_DEP_1)
	v_add_f32_e32 v17, v23, v19
	v_add_nc_u32_e32 v19, v20, v4
.LBB113_51:                             ;   in Loop: Header=BB113_41 Depth=1
	s_and_not1_saveexec_b32 s0, s9
; %bb.52:                               ;   in Loop: Header=BB113_41 Depth=1
	v_mul_f32_e64 v4, 0x3f22f983, |v2|
	s_delay_alu instid0(VALU_DEP_1) | instskip(NEXT) | instid1(VALU_DEP_1)
	v_rndne_f32_e32 v4, v4
	v_fma_f32 v17, 0xbfc90fda, v4, |v2|
	v_cvt_i32_f32_e32 v19, v4
	s_delay_alu instid0(VALU_DEP_2) | instskip(NEXT) | instid1(VALU_DEP_1)
	v_fmac_f32_e32 v17, 0xb3a22168, v4
	v_fmac_f32_e32 v17, 0xa7c234c4, v4
; %bb.53:                               ;   in Loop: Header=BB113_41 Depth=1
	s_or_b32 exec_lo, exec_lo, s0
	v_and_b32_e32 v18, 0x7fffffff, v3
                                        ; implicit-def: $vgpr20
                                        ; implicit-def: $vgpr4
	s_mov_b32 s1, exec_lo
	v_cmpx_ngt_f32_e64 0x48000000, |v3|
	s_xor_b32 s9, exec_lo, s1
	s_cbranch_execz .LBB113_55
; %bb.54:                               ;   in Loop: Header=BB113_41 Depth=1
	v_lshrrev_b32_e32 v25, 23, v18
	v_and_or_b32 v28, v18, s6, 0x800000
	s_delay_alu instid0(VALU_DEP_2) | instskip(NEXT) | instid1(VALU_DEP_2)
	v_add_nc_u32_e32 v26, 0xffffff88, v25
	v_mad_u64_u32 v[20:21], null, 0xfe5163ab, v28, 0
	s_delay_alu instid0(VALU_DEP_2) | instskip(SKIP_1) | instid1(VALU_DEP_1)
	v_cmp_lt_u32_e32 vcc_lo, 63, v26
	v_cndmask_b32_e64 v27, 0, 0xffffffc0, vcc_lo
	v_dual_mov_b32 v4, v21 :: v_dual_add_nc_u32 v27, v27, v26
	s_delay_alu instid0(VALU_DEP_1) | instskip(NEXT) | instid1(VALU_DEP_2)
	v_mad_u64_u32 v[21:22], null, 0x3c439041, v28, v[4:5]
	v_cmp_lt_u32_e64 s0, 31, v27
	s_delay_alu instid0(VALU_DEP_1) | instskip(NEXT) | instid1(VALU_DEP_1)
	v_cndmask_b32_e64 v29, 0, 0xffffffe0, s0
	v_dual_mov_b32 v4, v22 :: v_dual_add_nc_u32 v29, v29, v27
	s_delay_alu instid0(VALU_DEP_1) | instskip(NEXT) | instid1(VALU_DEP_2)
	v_mad_u64_u32 v[22:23], null, 0xdb629599, v28, v[4:5]
	v_cmp_lt_u32_e64 s1, 31, v29
	s_delay_alu instid0(VALU_DEP_2) | instskip(NEXT) | instid1(VALU_DEP_3)
	v_mov_b32_e32 v4, v23
	v_cndmask_b32_e32 v20, v22, v20, vcc_lo
	s_delay_alu instid0(VALU_DEP_2) | instskip(NEXT) | instid1(VALU_DEP_1)
	v_mad_u64_u32 v[23:24], null, 0xf534ddc0, v28, v[4:5]
	v_dual_mov_b32 v4, v24 :: v_dual_cndmask_b32 v21, v23, v21
	s_delay_alu instid0(VALU_DEP_1) | instskip(NEXT) | instid1(VALU_DEP_2)
	v_mad_u64_u32 v[24:25], null, 0xfc2757d1, v28, v[4:5]
	v_cndmask_b32_e64 v20, v21, v20, s0
	s_delay_alu instid0(VALU_DEP_2) | instskip(NEXT) | instid1(VALU_DEP_1)
	v_mov_b32_e32 v4, v25
	v_mad_u64_u32 v[25:26], null, 0x4e441529, v28, v[4:5]
	s_delay_alu instid0(VALU_DEP_1) | instskip(NEXT) | instid1(VALU_DEP_1)
	v_mov_b32_e32 v4, v26
	v_mad_u64_u32 v[26:27], null, 0xa2f9836e, v28, v[4:5]
	v_cndmask_b32_e64 v4, 0, 0xffffffe0, s1
	s_delay_alu instid0(VALU_DEP_4) | instskip(NEXT) | instid1(VALU_DEP_2)
	v_cndmask_b32_e32 v28, v25, v23, vcc_lo
	v_add_nc_u32_e32 v4, v4, v29
	s_delay_alu instid0(VALU_DEP_4) | instskip(SKIP_1) | instid1(VALU_DEP_3)
	v_dual_cndmask_b32 v26, v26, v24 :: v_dual_cndmask_b32 v25, v27, v25
	v_cndmask_b32_e32 v24, v24, v22, vcc_lo
	v_sub_nc_u32_e32 v27, 32, v4
	s_delay_alu instid0(VALU_DEP_3) | instskip(NEXT) | instid1(VALU_DEP_4)
	v_cndmask_b32_e64 v23, v26, v28, s0
	v_cndmask_b32_e64 v25, v25, v26, s0
	s_delay_alu instid0(VALU_DEP_4) | instskip(SKIP_2) | instid1(VALU_DEP_4)
	v_cndmask_b32_e64 v26, v28, v24, s0
	v_cndmask_b32_e64 v24, v24, v21, s0
	v_cmp_eq_u32_e64 s2, 0, v4
	v_cndmask_b32_e64 v25, v25, v23, s1
	s_delay_alu instid0(VALU_DEP_4) | instskip(NEXT) | instid1(VALU_DEP_4)
	v_cndmask_b32_e64 v23, v23, v26, s1
	v_cndmask_b32_e64 v26, v26, v24, s1
	;; [unrolled: 1-line block ×3, first 2 shown]
	s_delay_alu instid0(VALU_DEP_3) | instskip(NEXT) | instid1(VALU_DEP_3)
	v_alignbit_b32 v28, v25, v23, v27
	v_alignbit_b32 v29, v23, v26, v27
	s_delay_alu instid0(VALU_DEP_3) | instskip(NEXT) | instid1(VALU_DEP_3)
	v_alignbit_b32 v27, v26, v20, v27
	v_cndmask_b32_e64 v4, v28, v25, s2
	s_delay_alu instid0(VALU_DEP_3) | instskip(NEXT) | instid1(VALU_DEP_3)
	v_cndmask_b32_e64 v22, v29, v23, s2
	v_cndmask_b32_e64 v26, v27, v26, s2
	s_delay_alu instid0(VALU_DEP_3) | instskip(NEXT) | instid1(VALU_DEP_3)
	v_bfe_u32 v23, v4, 29, 1
	v_alignbit_b32 v21, v4, v22, 30
	s_delay_alu instid0(VALU_DEP_3) | instskip(SKIP_1) | instid1(VALU_DEP_4)
	v_alignbit_b32 v22, v22, v26, 30
	v_alignbit_b32 v20, v26, v20, 30
	v_sub_nc_u32_e32 v25, 0, v23
	s_delay_alu instid0(VALU_DEP_1) | instskip(SKIP_3) | instid1(VALU_DEP_4)
	v_xor_b32_e32 v24, v21, v25
	v_cmp_ne_u32_e32 vcc_lo, v21, v25
	v_xor_b32_e32 v22, v22, v25
	v_xor_b32_e32 v20, v20, v25
	v_clz_i32_u32_e32 v28, v24
	s_delay_alu instid0(VALU_DEP_1) | instskip(NEXT) | instid1(VALU_DEP_1)
	v_add_nc_u32_e32 v27, 1, v28
	v_cndmask_b32_e32 v21, 33, v27, vcc_lo
	s_delay_alu instid0(VALU_DEP_1) | instskip(NEXT) | instid1(VALU_DEP_1)
	v_sub_nc_u32_e32 v26, 32, v21
	v_alignbit_b32 v24, v24, v22, v26
	v_alignbit_b32 v20, v22, v20, v26
	v_lshrrev_b32_e32 v22, 29, v4
	s_delay_alu instid0(VALU_DEP_2) | instskip(NEXT) | instid1(VALU_DEP_2)
	v_alignbit_b32 v25, v24, v20, 9
	v_lshlrev_b32_e32 v22, 31, v22
	v_alignbit_b32 v24, v21, v24, 9
	s_delay_alu instid0(VALU_DEP_3) | instskip(NEXT) | instid1(VALU_DEP_2)
	v_clz_i32_u32_e32 v26, v25
	v_or_b32_e32 v24, v24, v22
	v_or_b32_e32 v22, 0x33800000, v22
	s_delay_alu instid0(VALU_DEP_3) | instskip(NEXT) | instid1(VALU_DEP_3)
	v_min_u32_e32 v26, 32, v26
	v_xor_b32_e32 v24, 1.0, v24
	s_delay_alu instid0(VALU_DEP_2) | instskip(SKIP_1) | instid1(VALU_DEP_3)
	v_sub_nc_u32_e32 v27, 31, v26
	v_add_lshl_u32 v21, v26, v21, 23
	v_mul_f32_e32 v26, 0x3fc90fda, v24
	s_delay_alu instid0(VALU_DEP_3) | instskip(NEXT) | instid1(VALU_DEP_3)
	v_alignbit_b32 v20, v25, v20, v27
	v_sub_nc_u32_e32 v21, v22, v21
	s_delay_alu instid0(VALU_DEP_3) | instskip(NEXT) | instid1(VALU_DEP_3)
	v_fma_f32 v22, 0x3fc90fda, v24, -v26
	v_lshrrev_b32_e32 v20, 9, v20
	s_delay_alu instid0(VALU_DEP_2) | instskip(NEXT) | instid1(VALU_DEP_2)
	v_fmac_f32_e32 v22, 0x33a22168, v24
	v_or_b32_e32 v20, v21, v20
	s_delay_alu instid0(VALU_DEP_1) | instskip(SKIP_1) | instid1(VALU_DEP_2)
	v_fmac_f32_e32 v22, 0x3fc90fda, v20
	v_lshrrev_b32_e32 v20, 30, v4
	v_add_f32_e32 v4, v26, v22
	s_delay_alu instid0(VALU_DEP_2)
	v_add_nc_u32_e32 v20, v23, v20
.LBB113_55:                             ;   in Loop: Header=BB113_41 Depth=1
	s_and_not1_saveexec_b32 s0, s9
	s_cbranch_execz .LBB113_40
; %bb.56:                               ;   in Loop: Header=BB113_41 Depth=1
	v_mul_f32_e64 v4, 0x3f22f983, |v3|
	s_delay_alu instid0(VALU_DEP_1) | instskip(NEXT) | instid1(VALU_DEP_1)
	v_rndne_f32_e32 v20, v4
	v_fma_f32 v4, 0xbfc90fda, v20, |v3|
	s_delay_alu instid0(VALU_DEP_1) | instskip(NEXT) | instid1(VALU_DEP_1)
	v_fmac_f32_e32 v4, 0xb3a22168, v20
	v_fmac_f32_e32 v4, 0xa7c234c4, v20
	v_cvt_i32_f32_e32 v20, v20
	s_branch .LBB113_40
.LBB113_57:
	s_nop 0
	s_sendmsg sendmsg(MSG_DEALLOC_VGPRS)
	s_endpgm
	.section	.rodata,"a",@progbits
	.p2align	6, 0x0
	.amdhsa_kernel _ZN2at6native12_GLOBAL__N_125multi_tensor_apply_kernelINS1_18TensorListMetadataILi1EEENS1_14UnaryOpFunctorIfLi1ELi1ELi0EEEJNS0_3SinIfEEEEEvT_T0_DpT1_
		.amdhsa_group_segment_fixed_size 0
		.amdhsa_private_segment_fixed_size 0
		.amdhsa_kernarg_size 3632
		.amdhsa_user_sgpr_count 15
		.amdhsa_user_sgpr_dispatch_ptr 0
		.amdhsa_user_sgpr_queue_ptr 0
		.amdhsa_user_sgpr_kernarg_segment_ptr 1
		.amdhsa_user_sgpr_dispatch_id 0
		.amdhsa_user_sgpr_private_segment_size 0
		.amdhsa_wavefront_size32 1
		.amdhsa_uses_dynamic_stack 0
		.amdhsa_enable_private_segment 0
		.amdhsa_system_sgpr_workgroup_id_x 1
		.amdhsa_system_sgpr_workgroup_id_y 0
		.amdhsa_system_sgpr_workgroup_id_z 0
		.amdhsa_system_sgpr_workgroup_info 0
		.amdhsa_system_vgpr_workitem_id 0
		.amdhsa_next_free_vgpr 37
		.amdhsa_next_free_sgpr 27
		.amdhsa_reserve_vcc 1
		.amdhsa_float_round_mode_32 0
		.amdhsa_float_round_mode_16_64 0
		.amdhsa_float_denorm_mode_32 3
		.amdhsa_float_denorm_mode_16_64 3
		.amdhsa_dx10_clamp 1
		.amdhsa_ieee_mode 1
		.amdhsa_fp16_overflow 0
		.amdhsa_workgroup_processor_mode 1
		.amdhsa_memory_ordered 1
		.amdhsa_forward_progress 0
		.amdhsa_shared_vgpr_count 0
		.amdhsa_exception_fp_ieee_invalid_op 0
		.amdhsa_exception_fp_denorm_src 0
		.amdhsa_exception_fp_ieee_div_zero 0
		.amdhsa_exception_fp_ieee_overflow 0
		.amdhsa_exception_fp_ieee_underflow 0
		.amdhsa_exception_fp_ieee_inexact 0
		.amdhsa_exception_int_div_zero 0
	.end_amdhsa_kernel
	.section	.text._ZN2at6native12_GLOBAL__N_125multi_tensor_apply_kernelINS1_18TensorListMetadataILi1EEENS1_14UnaryOpFunctorIfLi1ELi1ELi0EEEJNS0_3SinIfEEEEEvT_T0_DpT1_,"axG",@progbits,_ZN2at6native12_GLOBAL__N_125multi_tensor_apply_kernelINS1_18TensorListMetadataILi1EEENS1_14UnaryOpFunctorIfLi1ELi1ELi0EEEJNS0_3SinIfEEEEEvT_T0_DpT1_,comdat
.Lfunc_end113:
	.size	_ZN2at6native12_GLOBAL__N_125multi_tensor_apply_kernelINS1_18TensorListMetadataILi1EEENS1_14UnaryOpFunctorIfLi1ELi1ELi0EEEJNS0_3SinIfEEEEEvT_T0_DpT1_, .Lfunc_end113-_ZN2at6native12_GLOBAL__N_125multi_tensor_apply_kernelINS1_18TensorListMetadataILi1EEENS1_14UnaryOpFunctorIfLi1ELi1ELi0EEEJNS0_3SinIfEEEEEvT_T0_DpT1_
                                        ; -- End function
	.section	.AMDGPU.csdata,"",@progbits
; Kernel info:
; codeLenInByte = 8732
; NumSgprs: 29
; NumVgprs: 37
; ScratchSize: 0
; MemoryBound: 0
; FloatMode: 240
; IeeeMode: 1
; LDSByteSize: 0 bytes/workgroup (compile time only)
; SGPRBlocks: 3
; VGPRBlocks: 4
; NumSGPRsForWavesPerEU: 29
; NumVGPRsForWavesPerEU: 37
; Occupancy: 16
; WaveLimiterHint : 0
; COMPUTE_PGM_RSRC2:SCRATCH_EN: 0
; COMPUTE_PGM_RSRC2:USER_SGPR: 15
; COMPUTE_PGM_RSRC2:TRAP_HANDLER: 0
; COMPUTE_PGM_RSRC2:TGID_X_EN: 1
; COMPUTE_PGM_RSRC2:TGID_Y_EN: 0
; COMPUTE_PGM_RSRC2:TGID_Z_EN: 0
; COMPUTE_PGM_RSRC2:TIDIG_COMP_CNT: 0
	.section	.text._ZN2at6native12_GLOBAL__N_125multi_tensor_apply_kernelINS1_18TensorListMetadataILi1EEENS1_14UnaryOpFunctorIN3c107complexIdEELi1ELi1ELi0EEEJNS0_3SinIS8_EEEEEvT_T0_DpT1_,"axG",@progbits,_ZN2at6native12_GLOBAL__N_125multi_tensor_apply_kernelINS1_18TensorListMetadataILi1EEENS1_14UnaryOpFunctorIN3c107complexIdEELi1ELi1ELi0EEEJNS0_3SinIS8_EEEEEvT_T0_DpT1_,comdat
	.globl	_ZN2at6native12_GLOBAL__N_125multi_tensor_apply_kernelINS1_18TensorListMetadataILi1EEENS1_14UnaryOpFunctorIN3c107complexIdEELi1ELi1ELi0EEEJNS0_3SinIS8_EEEEEvT_T0_DpT1_ ; -- Begin function _ZN2at6native12_GLOBAL__N_125multi_tensor_apply_kernelINS1_18TensorListMetadataILi1EEENS1_14UnaryOpFunctorIN3c107complexIdEELi1ELi1ELi0EEEJNS0_3SinIS8_EEEEEvT_T0_DpT1_
	.p2align	8
	.type	_ZN2at6native12_GLOBAL__N_125multi_tensor_apply_kernelINS1_18TensorListMetadataILi1EEENS1_14UnaryOpFunctorIN3c107complexIdEELi1ELi1ELi0EEEJNS0_3SinIS8_EEEEEvT_T0_DpT1_,@function
_ZN2at6native12_GLOBAL__N_125multi_tensor_apply_kernelINS1_18TensorListMetadataILi1EEENS1_14UnaryOpFunctorIN3c107complexIdEELi1ELi1ELi0EEEJNS0_3SinIS8_EEEEEvT_T0_DpT1_: ; @_ZN2at6native12_GLOBAL__N_125multi_tensor_apply_kernelINS1_18TensorListMetadataILi1EEENS1_14UnaryOpFunctorIN3c107complexIdEELi1ELi1ELi0EEEJNS0_3SinIS8_EEEEEvT_T0_DpT1_
; %bb.0:
	v_mov_b32_e32 v60, v0
	v_mov_b32_e32 v0, s15
	s_mov_b64 s[22:23], s[0:1]
	s_mov_b32 s5, 0
	s_mov_b32 s32, 0
	global_load_u8 v0, v0, s[0:1] offset:1760
	s_add_u32 s0, s22, s15
	s_mul_hi_u32 s1, s15, 3
	s_mul_i32 s15, s15, 3
	s_addc_u32 s2, s23, 0
	s_add_u32 s0, s0, s15
	s_addc_u32 s1, s2, s1
	s_load_b32 s0, s[0:1], 0x820
	s_waitcnt vmcnt(0)
	v_readfirstlane_b32 s3, v0
	s_delay_alu instid0(VALU_DEP_1)
	s_lshl_b32 s1, s3, 3
	s_clause 0x1
	s_load_b64 s[34:35], s[22:23], s1 offset:0x0
	s_load_b64 s[2:3], s[22:23], s1 offset:0x370
	s_waitcnt lgkmcnt(0)
	s_ashr_i32 s1, s0, 31
	s_delay_alu instid0(SALU_CYCLE_1) | instskip(NEXT) | instid1(SALU_CYCLE_1)
	s_lshl_b64 s[36:37], s[0:1], 20
	s_add_u32 s27, s34, s36
	s_addc_u32 s33, s35, s37
	s_lshl_b64 s[0:1], s[0:1], 16
	s_and_b32 s4, s27, 63
	s_sub_u32 s28, s2, s0
	s_subb_u32 s29, s3, s1
	s_and_b32 s0, s2, 3
	s_mov_b32 s1, s5
	s_delay_alu instid0(SALU_CYCLE_1) | instskip(NEXT) | instid1(SALU_CYCLE_1)
	s_or_b64 s[0:1], s[4:5], s[0:1]
	s_cmp_eq_u64 s[0:1], 0
	s_cbranch_scc1 .LBB114_21
; %bb.1:
	v_cmp_lt_i64_e64 s0, s[28:29], 1
	s_delay_alu instid0(VALU_DEP_1)
	s_and_b32 vcc_lo, exec_lo, s0
	s_cbranch_vccnz .LBB114_20
; %bb.2:
	s_load_b32 s0, s[22:23], 0xd3c
	v_cmp_gt_u64_e64 s1, 0x10000, s[28:29]
	v_dual_mov_b32 v62, 0 :: v_dual_lshlrev_b32 v61, 4, v60
	s_mov_b64 s[40:41], 0
	s_waitcnt lgkmcnt(0)
	s_and_b32 s0, s0, 0xffff
	s_delay_alu instid0(VALU_DEP_2)
	s_and_b32 s1, s1, exec_lo
	v_add_co_u32 v63, s3, v60, s0
	v_mad_u64_u32 v[72:73], null, s0, 48, v[61:62]
	s_cselect_b32 s39, s29, 0
	s_cselect_b32 s38, s28, 0x10000
	v_add_co_ci_u32_e64 v74, null, 0, 0, s3
	s_lshl_b32 s3, s0, 5
	s_lshl_b32 s1, s0, 1
	v_add_co_u32 v0, s3, s3, v61
	s_mul_i32 s2, s0, 3
	v_add_co_u32 v79, s1, s1, v60
	v_add_co_u32 v62, s2, s2, v60
	s_delay_alu instid0(VALU_DEP_1)
	v_add_co_ci_u32_e64 v75, null, 0, 0, s2
	v_add_co_ci_u32_e64 v76, null, 0, 0, s3
	v_lshlrev_b32_e32 v77, 4, v63
	v_or_b32_e32 v78, 8, v0
	v_or_b32_e32 v72, 8, v72
	v_add_co_ci_u32_e64 v84, null, 0, 0, s1
	s_lshl_b32 s42, s0, 2
	s_lshl_b32 s43, s0, 6
	s_branch .LBB114_4
.LBB114_3:                              ;   in Loop: Header=BB114_4 Depth=1
	s_or_b32 exec_lo, exec_lo, s25
	s_add_u32 s40, s40, s42
	s_addc_u32 s41, s41, 0
	s_delay_alu instid0(SALU_CYCLE_1) | instskip(SKIP_1) | instid1(VALU_DEP_1)
	v_cmp_lt_i64_e64 s0, s[40:41], s[28:29]
	v_cmp_gt_u64_e64 s1, 0x10000, s[40:41]
	s_and_b32 s0, s0, s1
	s_add_u32 s27, s27, s43
	s_addc_u32 s33, s33, 0
	s_and_b32 vcc_lo, exec_lo, s0
	s_cbranch_vccz .LBB114_20
.LBB114_4:                              ; =>This Inner Loop Header: Depth=1
	v_add_co_u32 v0, s0, v60, s40
	s_delay_alu instid0(VALU_DEP_1) | instskip(SKIP_3) | instid1(VALU_DEP_2)
	v_add_co_ci_u32_e64 v1, null, 0, s41, s0
	s_waitcnt vmcnt(0)
	v_mov_b32_e32 v46, 0
	v_mov_b32_e32 v47, 0
	;; [unrolled: 1-line block ×3, first 2 shown]
	v_cmp_gt_u64_e32 vcc_lo, s[38:39], v[0:1]
	s_delay_alu instid0(VALU_DEP_3)
	v_dual_mov_b32 v2, v46 :: v_dual_mov_b32 v3, v47
	v_mov_b32_e32 v5, v47
	s_and_saveexec_b32 s0, vcc_lo
	s_cbranch_execz .LBB114_6
; %bb.5:                                ;   in Loop: Header=BB114_4 Depth=1
	v_add_co_u32 v0, s1, s27, v61
	s_delay_alu instid0(VALU_DEP_1)
	v_add_co_ci_u32_e64 v1, null, s33, 0, s1
	global_load_b128 v[2:5], v[0:1], off
.LBB114_6:                              ;   in Loop: Header=BB114_4 Depth=1
	s_or_b32 exec_lo, exec_lo, s0
	v_add_co_u32 v0, s0, v63, s40
	s_delay_alu instid0(VALU_DEP_1) | instskip(SKIP_1) | instid1(VALU_DEP_2)
	v_add_co_ci_u32_e64 v1, s0, s41, v74, s0
	v_dual_mov_b32 v44, v46 :: v_dual_mov_b32 v45, v47
	v_cmp_gt_u64_e64 s26, s[38:39], v[0:1]
	s_delay_alu instid0(VALU_DEP_1)
	s_and_saveexec_b32 s0, s26
	s_cbranch_execz .LBB114_8
; %bb.7:                                ;   in Loop: Header=BB114_4 Depth=1
	v_add_co_u32 v0, s1, s27, v77
	s_delay_alu instid0(VALU_DEP_1)
	v_add_co_ci_u32_e64 v1, null, s33, 0, s1
	global_load_b128 v[44:47], v[0:1], off
.LBB114_8:                              ;   in Loop: Header=BB114_4 Depth=1
	s_or_b32 exec_lo, exec_lo, s0
	v_add_co_u32 v0, s0, v79, s40
	s_delay_alu instid0(VALU_DEP_1) | instskip(SKIP_2) | instid1(VALU_DEP_3)
	v_add_co_ci_u32_e64 v1, s0, s41, v84, s0
	v_mov_b32_e32 v42, 0
	v_mov_b32_e32 v43, 0
	v_cmp_gt_u64_e64 s25, s[38:39], v[0:1]
	s_delay_alu instid0(VALU_DEP_2) | instskip(SKIP_1) | instid1(VALU_DEP_3)
	v_dual_mov_b32 v59, v43 :: v_dual_mov_b32 v58, v42
	v_dual_mov_b32 v57, v43 :: v_dual_mov_b32 v56, v42
	s_and_saveexec_b32 s1, s25
	s_cbranch_execz .LBB114_10
; %bb.9:                                ;   in Loop: Header=BB114_4 Depth=1
	v_add_co_u32 v0, s0, s27, v78
	s_delay_alu instid0(VALU_DEP_1)
	v_add_co_ci_u32_e64 v1, s0, s33, v76, s0
	global_load_b128 v[56:59], v[0:1], off offset:-8
.LBB114_10:                             ;   in Loop: Header=BB114_4 Depth=1
	s_or_b32 exec_lo, exec_lo, s1
	v_add_co_u32 v0, s0, v62, s40
	s_delay_alu instid0(VALU_DEP_1) | instskip(SKIP_1) | instid1(VALU_DEP_2)
	v_add_co_ci_u32_e64 v1, s0, s41, v75, s0
	v_dual_mov_b32 v40, v42 :: v_dual_mov_b32 v41, v43
	v_cmp_gt_u64_e64 s24, s[38:39], v[0:1]
	s_delay_alu instid0(VALU_DEP_1)
	s_and_saveexec_b32 s1, s24
	s_cbranch_execnz .LBB114_15
; %bb.11:                               ;   in Loop: Header=BB114_4 Depth=1
	s_or_b32 exec_lo, exec_lo, s1
	s_and_saveexec_b32 s44, vcc_lo
	s_cbranch_execnz .LBB114_16
.LBB114_12:                             ;   in Loop: Header=BB114_4 Depth=1
	s_or_b32 exec_lo, exec_lo, s44
	s_and_saveexec_b32 s44, s26
	s_cbranch_execnz .LBB114_17
.LBB114_13:                             ;   in Loop: Header=BB114_4 Depth=1
	s_or_b32 exec_lo, exec_lo, s44
	s_and_saveexec_b32 s26, s25
	s_cbranch_execnz .LBB114_18
.LBB114_14:                             ;   in Loop: Header=BB114_4 Depth=1
	s_or_b32 exec_lo, exec_lo, s26
	s_and_saveexec_b32 s25, s24
	s_cbranch_execz .LBB114_3
	s_branch .LBB114_19
.LBB114_15:                             ;   in Loop: Header=BB114_4 Depth=1
	v_add_co_u32 v0, s0, s27, v72
	s_delay_alu instid0(VALU_DEP_1)
	v_add_co_ci_u32_e64 v1, s0, s33, v73, s0
	global_load_b128 v[40:43], v[0:1], off offset:-8
	s_or_b32 exec_lo, exec_lo, s1
	s_and_saveexec_b32 s44, vcc_lo
	s_cbranch_execz .LBB114_12
.LBB114_16:                             ;   in Loop: Header=BB114_4 Depth=1
	s_waitcnt vmcnt(0)
	v_xor_b32_e32 v1, 0x80000000, v5
	v_mov_b32_e32 v0, v4
	s_getpc_b64 s[0:1]
	s_add_u32 s0, s0, _ZN6thrust23THRUST_200600_302600_NS6detail7complex5csinhERKNS0_7complexIdEE@rel32@lo+4
	s_addc_u32 s1, s1, _ZN6thrust23THRUST_200600_302600_NS6detail7complex5csinhERKNS0_7complexIdEE@rel32@hi+12
	s_delay_alu instid0(SALU_CYCLE_1)
	s_swappc_b64 s[30:31], s[0:1]
	v_mov_b32_e32 v4, v0
	v_add_co_u32 v0, s0, s27, v61
	v_xor_b32_e32 v5, 0x80000000, v1
	v_add_co_ci_u32_e64 v1, null, s33, 0, s0
	global_store_b128 v[0:1], v[2:5], off
	s_or_b32 exec_lo, exec_lo, s44
	s_and_saveexec_b32 s44, s26
	s_cbranch_execz .LBB114_13
.LBB114_17:                             ;   in Loop: Header=BB114_4 Depth=1
	s_waitcnt vmcnt(0)
	v_xor_b32_e32 v1, 0x80000000, v47
	v_dual_mov_b32 v0, v46 :: v_dual_mov_b32 v3, v45
	v_mov_b32_e32 v2, v44
	s_getpc_b64 s[0:1]
	s_add_u32 s0, s0, _ZN6thrust23THRUST_200600_302600_NS6detail7complex5csinhERKNS0_7complexIdEE@rel32@lo+4
	s_addc_u32 s1, s1, _ZN6thrust23THRUST_200600_302600_NS6detail7complex5csinhERKNS0_7complexIdEE@rel32@hi+12
	s_delay_alu instid0(SALU_CYCLE_1)
	s_swappc_b64 s[30:31], s[0:1]
	v_mov_b32_e32 v4, v0
	v_add_co_u32 v0, s0, s27, v77
	v_xor_b32_e32 v5, 0x80000000, v1
	v_add_co_ci_u32_e64 v1, null, s33, 0, s0
	global_store_b128 v[0:1], v[2:5], off
	s_or_b32 exec_lo, exec_lo, s44
	s_and_saveexec_b32 s26, s25
	s_cbranch_execz .LBB114_14
.LBB114_18:                             ;   in Loop: Header=BB114_4 Depth=1
	s_waitcnt vmcnt(0)
	v_xor_b32_e32 v1, 0x80000000, v59
	v_dual_mov_b32 v0, v58 :: v_dual_mov_b32 v3, v57
	v_mov_b32_e32 v2, v56
	s_getpc_b64 s[0:1]
	s_add_u32 s0, s0, _ZN6thrust23THRUST_200600_302600_NS6detail7complex5csinhERKNS0_7complexIdEE@rel32@lo+4
	s_addc_u32 s1, s1, _ZN6thrust23THRUST_200600_302600_NS6detail7complex5csinhERKNS0_7complexIdEE@rel32@hi+12
	s_delay_alu instid0(SALU_CYCLE_1)
	s_swappc_b64 s[30:31], s[0:1]
	v_mov_b32_e32 v4, v0
	v_add_co_u32 v0, vcc_lo, s27, v78
	v_xor_b32_e32 v5, 0x80000000, v1
	v_add_co_ci_u32_e32 v1, vcc_lo, s33, v76, vcc_lo
	global_store_b128 v[0:1], v[2:5], off offset:-8
	s_or_b32 exec_lo, exec_lo, s26
	s_and_saveexec_b32 s25, s24
	s_cbranch_execz .LBB114_3
.LBB114_19:                             ;   in Loop: Header=BB114_4 Depth=1
	s_waitcnt vmcnt(0)
	v_xor_b32_e32 v1, 0x80000000, v43
	v_dual_mov_b32 v0, v42 :: v_dual_mov_b32 v3, v41
	v_mov_b32_e32 v2, v40
	s_getpc_b64 s[0:1]
	s_add_u32 s0, s0, _ZN6thrust23THRUST_200600_302600_NS6detail7complex5csinhERKNS0_7complexIdEE@rel32@lo+4
	s_addc_u32 s1, s1, _ZN6thrust23THRUST_200600_302600_NS6detail7complex5csinhERKNS0_7complexIdEE@rel32@hi+12
	s_delay_alu instid0(SALU_CYCLE_1)
	s_swappc_b64 s[30:31], s[0:1]
	v_mov_b32_e32 v4, v0
	v_add_co_u32 v0, vcc_lo, s27, v72
	v_xor_b32_e32 v5, 0x80000000, v1
	v_add_co_ci_u32_e32 v1, vcc_lo, s33, v73, vcc_lo
	global_store_b128 v[0:1], v[2:5], off offset:-8
	s_branch .LBB114_3
.LBB114_20:
	s_cbranch_execz .LBB114_22
	s_branch .LBB114_25
.LBB114_21:
.LBB114_22:
	v_dual_mov_b32 v73, 0 :: v_dual_lshlrev_b32 v72, 2, v60
	s_mov_b32 s24, 0
	s_mov_b32 s0, exec_lo
	s_delay_alu instid0(VALU_DEP_1)
	v_cmpx_gt_i64_e64 s[28:29], v[72:73]
	s_cbranch_execz .LBB114_25
; %bb.23:
	s_load_b32 s0, s[22:23], 0xd3c
	v_lshlrev_b32_e32 v0, 6, v60
	s_waitcnt lgkmcnt(0)
	s_and_b32 s0, s0, 0xffff
	s_delay_alu instid0(SALU_CYCLE_1)
	s_lshl_b32 s22, s0, 2
	s_add_u32 s1, s34, s36
	s_addc_u32 s2, s35, s37
	v_add_co_u32 v74, s1, s1, v0
	v_add_lshl_u32 v72, v60, s0, 2
	v_add_co_ci_u32_e64 v75, null, s2, 0, s1
	s_lshl_b32 s23, s0, 6
.LBB114_24:                             ; =>This Inner Loop Header: Depth=1
	s_clause 0x3
	global_load_b128 v[2:5], v[74:75], off
	global_load_b128 v[40:43], v[74:75], off offset:16
	global_load_b128 v[44:47], v[74:75], off offset:48
	;; [unrolled: 1-line block ×3, first 2 shown]
	s_getpc_b64 s[26:27]
	s_add_u32 s26, s26, _ZN6thrust23THRUST_200600_302600_NS6detail7complex5csinhERKNS0_7complexIdEE@rel32@lo+4
	s_addc_u32 s27, s27, _ZN6thrust23THRUST_200600_302600_NS6detail7complex5csinhERKNS0_7complexIdEE@rel32@hi+12
	s_waitcnt vmcnt(3)
	v_xor_b32_e32 v1, 0x80000000, v5
	v_mov_b32_e32 v0, v4
	s_swappc_b64 s[30:31], s[26:27]
	v_mov_b32_e32 v60, v2
	v_xor_b32_e32 v2, 0x80000000, v43
	s_delay_alu instid0(VALU_DEP_3) | instskip(SKIP_2) | instid1(VALU_DEP_4)
	v_dual_mov_b32 v62, v0 :: v_dual_mov_b32 v61, v3
	v_xor_b32_e32 v63, 0x80000000, v1
	v_mov_b32_e32 v0, v42
	v_dual_mov_b32 v1, v2 :: v_dual_mov_b32 v2, v40
	v_mov_b32_e32 v3, v41
	s_swappc_b64 s[30:31], s[26:27]
	s_delay_alu instid0(VALU_DEP_2) | instskip(SKIP_1) | instid1(VALU_DEP_3)
	v_mov_b32_e32 v40, v2
	v_xor_b32_e32 v2, 0x80000000, v59
	v_dual_mov_b32 v42, v0 :: v_dual_mov_b32 v41, v3
	v_xor_b32_e32 v43, 0x80000000, v1
	v_mov_b32_e32 v0, v58
	s_delay_alu instid0(VALU_DEP_4) | instskip(SKIP_2) | instid1(VALU_DEP_2)
	v_dual_mov_b32 v1, v2 :: v_dual_mov_b32 v2, v56
	v_mov_b32_e32 v3, v57
	s_swappc_b64 s[30:31], s[26:27]
	v_mov_b32_e32 v56, v2
	v_xor_b32_e32 v2, 0x80000000, v47
	s_delay_alu instid0(VALU_DEP_3) | instskip(SKIP_2) | instid1(VALU_DEP_4)
	v_dual_mov_b32 v58, v0 :: v_dual_mov_b32 v57, v3
	v_xor_b32_e32 v59, 0x80000000, v1
	v_mov_b32_e32 v0, v46
	v_dual_mov_b32 v1, v2 :: v_dual_mov_b32 v2, v44
	v_mov_b32_e32 v3, v45
	s_swappc_b64 s[30:31], s[26:27]
	v_cmp_le_i64_e32 vcc_lo, s[28:29], v[72:73]
	v_cmp_lt_u64_e64 s0, 0xffff, v[72:73]
	v_mov_b32_e32 v4, v0
	v_xor_b32_e32 v5, 0x80000000, v1
	s_clause 0x1
	global_store_b128 v[74:75], v[60:63], off
	global_store_b128 v[74:75], v[40:43], off offset:16
	v_add_co_u32 v72, s1, v72, s22
	s_clause 0x1
	global_store_b128 v[74:75], v[56:59], off offset:32
	global_store_b128 v[74:75], v[2:5], off offset:48
	s_or_b32 s0, vcc_lo, s0
	v_add_co_u32 v74, vcc_lo, v74, s23
	v_add_co_ci_u32_e64 v73, s1, 0, v73, s1
	v_add_co_ci_u32_e32 v75, vcc_lo, 0, v75, vcc_lo
	s_and_b32 s0, exec_lo, s0
	s_delay_alu instid0(SALU_CYCLE_1) | instskip(NEXT) | instid1(SALU_CYCLE_1)
	s_or_b32 s24, s0, s24
	s_and_not1_b32 exec_lo, exec_lo, s24
	s_cbranch_execnz .LBB114_24
.LBB114_25:
	s_endpgm
	.section	.rodata,"a",@progbits
	.p2align	6, 0x0
	.amdhsa_kernel _ZN2at6native12_GLOBAL__N_125multi_tensor_apply_kernelINS1_18TensorListMetadataILi1EEENS1_14UnaryOpFunctorIN3c107complexIdEELi1ELi1ELi0EEEJNS0_3SinIS8_EEEEEvT_T0_DpT1_
		.amdhsa_group_segment_fixed_size 0
		.amdhsa_private_segment_fixed_size 0
		.amdhsa_kernarg_size 3632
		.amdhsa_user_sgpr_count 15
		.amdhsa_user_sgpr_dispatch_ptr 0
		.amdhsa_user_sgpr_queue_ptr 0
		.amdhsa_user_sgpr_kernarg_segment_ptr 1
		.amdhsa_user_sgpr_dispatch_id 0
		.amdhsa_user_sgpr_private_segment_size 0
		.amdhsa_wavefront_size32 1
		.amdhsa_uses_dynamic_stack 0
		.amdhsa_enable_private_segment 0
		.amdhsa_system_sgpr_workgroup_id_x 1
		.amdhsa_system_sgpr_workgroup_id_y 0
		.amdhsa_system_sgpr_workgroup_id_z 0
		.amdhsa_system_sgpr_workgroup_info 0
		.amdhsa_system_vgpr_workitem_id 0
		.amdhsa_next_free_vgpr 85
		.amdhsa_next_free_sgpr 45
		.amdhsa_reserve_vcc 1
		.amdhsa_float_round_mode_32 0
		.amdhsa_float_round_mode_16_64 0
		.amdhsa_float_denorm_mode_32 3
		.amdhsa_float_denorm_mode_16_64 3
		.amdhsa_dx10_clamp 1
		.amdhsa_ieee_mode 1
		.amdhsa_fp16_overflow 0
		.amdhsa_workgroup_processor_mode 1
		.amdhsa_memory_ordered 1
		.amdhsa_forward_progress 0
		.amdhsa_shared_vgpr_count 0
		.amdhsa_exception_fp_ieee_invalid_op 0
		.amdhsa_exception_fp_denorm_src 0
		.amdhsa_exception_fp_ieee_div_zero 0
		.amdhsa_exception_fp_ieee_overflow 0
		.amdhsa_exception_fp_ieee_underflow 0
		.amdhsa_exception_fp_ieee_inexact 0
		.amdhsa_exception_int_div_zero 0
	.end_amdhsa_kernel
	.section	.text._ZN2at6native12_GLOBAL__N_125multi_tensor_apply_kernelINS1_18TensorListMetadataILi1EEENS1_14UnaryOpFunctorIN3c107complexIdEELi1ELi1ELi0EEEJNS0_3SinIS8_EEEEEvT_T0_DpT1_,"axG",@progbits,_ZN2at6native12_GLOBAL__N_125multi_tensor_apply_kernelINS1_18TensorListMetadataILi1EEENS1_14UnaryOpFunctorIN3c107complexIdEELi1ELi1ELi0EEEJNS0_3SinIS8_EEEEEvT_T0_DpT1_,comdat
.Lfunc_end114:
	.size	_ZN2at6native12_GLOBAL__N_125multi_tensor_apply_kernelINS1_18TensorListMetadataILi1EEENS1_14UnaryOpFunctorIN3c107complexIdEELi1ELi1ELi0EEEJNS0_3SinIS8_EEEEEvT_T0_DpT1_, .Lfunc_end114-_ZN2at6native12_GLOBAL__N_125multi_tensor_apply_kernelINS1_18TensorListMetadataILi1EEENS1_14UnaryOpFunctorIN3c107complexIdEELi1ELi1ELi0EEEJNS0_3SinIS8_EEEEEvT_T0_DpT1_
                                        ; -- End function
	.section	.AMDGPU.csdata,"",@progbits
; Kernel info:
; codeLenInByte = 1668
; NumSgprs: 47
; NumVgprs: 85
; ScratchSize: 0
; MemoryBound: 1
; FloatMode: 240
; IeeeMode: 1
; LDSByteSize: 0 bytes/workgroup (compile time only)
; SGPRBlocks: 5
; VGPRBlocks: 10
; NumSGPRsForWavesPerEU: 47
; NumVGPRsForWavesPerEU: 85
; Occupancy: 16
; WaveLimiterHint : 0
; COMPUTE_PGM_RSRC2:SCRATCH_EN: 0
; COMPUTE_PGM_RSRC2:USER_SGPR: 15
; COMPUTE_PGM_RSRC2:TRAP_HANDLER: 0
; COMPUTE_PGM_RSRC2:TGID_X_EN: 1
; COMPUTE_PGM_RSRC2:TGID_Y_EN: 0
; COMPUTE_PGM_RSRC2:TGID_Z_EN: 0
; COMPUTE_PGM_RSRC2:TIDIG_COMP_CNT: 0
	.section	.text._ZN2at6native12_GLOBAL__N_125multi_tensor_apply_kernelINS1_18TensorListMetadataILi1EEENS1_14UnaryOpFunctorIN3c107complexIfEELi1ELi1ELi0EEEJNS0_3SinIS8_EEEEEvT_T0_DpT1_,"axG",@progbits,_ZN2at6native12_GLOBAL__N_125multi_tensor_apply_kernelINS1_18TensorListMetadataILi1EEENS1_14UnaryOpFunctorIN3c107complexIfEELi1ELi1ELi0EEEJNS0_3SinIS8_EEEEEvT_T0_DpT1_,comdat
	.globl	_ZN2at6native12_GLOBAL__N_125multi_tensor_apply_kernelINS1_18TensorListMetadataILi1EEENS1_14UnaryOpFunctorIN3c107complexIfEELi1ELi1ELi0EEEJNS0_3SinIS8_EEEEEvT_T0_DpT1_ ; -- Begin function _ZN2at6native12_GLOBAL__N_125multi_tensor_apply_kernelINS1_18TensorListMetadataILi1EEENS1_14UnaryOpFunctorIN3c107complexIfEELi1ELi1ELi0EEEJNS0_3SinIS8_EEEEEvT_T0_DpT1_
	.p2align	8
	.type	_ZN2at6native12_GLOBAL__N_125multi_tensor_apply_kernelINS1_18TensorListMetadataILi1EEENS1_14UnaryOpFunctorIN3c107complexIfEELi1ELi1ELi0EEEJNS0_3SinIS8_EEEEEvT_T0_DpT1_,@function
_ZN2at6native12_GLOBAL__N_125multi_tensor_apply_kernelINS1_18TensorListMetadataILi1EEENS1_14UnaryOpFunctorIN3c107complexIfEELi1ELi1ELi0EEEJNS0_3SinIS8_EEEEEvT_T0_DpT1_: ; @_ZN2at6native12_GLOBAL__N_125multi_tensor_apply_kernelINS1_18TensorListMetadataILi1EEENS1_14UnaryOpFunctorIN3c107complexIfEELi1ELi1ELi0EEEJNS0_3SinIS8_EEEEEvT_T0_DpT1_
; %bb.0:
	v_dual_mov_b32 v27, v0 :: v_dual_mov_b32 v0, s15
	s_mov_b64 s[12:13], s[0:1]
	s_mov_b32 s5, 0
	s_mov_b32 s32, 0
	global_load_u8 v0, v0, s[0:1] offset:1760
	s_add_u32 s0, s12, s15
	s_mul_hi_u32 s1, s15, 3
	s_mul_i32 s15, s15, 3
	s_addc_u32 s2, s13, 0
	s_add_u32 s0, s0, s15
	s_addc_u32 s1, s2, s1
	s_load_b32 s0, s[0:1], 0x820
	s_waitcnt vmcnt(0)
	v_readfirstlane_b32 s3, v0
	s_delay_alu instid0(VALU_DEP_1)
	s_lshl_b32 s1, s3, 3
	s_clause 0x1
	s_load_b64 s[18:19], s[12:13], s1 offset:0x0
	s_load_b64 s[2:3], s[12:13], s1 offset:0x370
	s_waitcnt lgkmcnt(0)
	s_ashr_i32 s1, s0, 31
	s_delay_alu instid0(SALU_CYCLE_1) | instskip(NEXT) | instid1(SALU_CYCLE_1)
	s_lshl_b64 s[20:21], s[0:1], 19
	s_add_u32 s26, s18, s20
	s_addc_u32 s27, s19, s21
	s_lshl_b64 s[0:1], s[0:1], 16
	s_and_b32 s4, s26, 31
	s_sub_u32 s16, s2, s0
	s_subb_u32 s17, s3, s1
	s_and_b32 s0, s2, 3
	s_mov_b32 s1, s5
	s_delay_alu instid0(SALU_CYCLE_1) | instskip(NEXT) | instid1(SALU_CYCLE_1)
	s_or_b64 s[0:1], s[4:5], s[0:1]
	s_cmp_eq_u64 s[0:1], 0
	s_cbranch_scc1 .LBB115_21
; %bb.1:
	v_cmp_lt_i64_e64 s0, s[16:17], 1
	s_delay_alu instid0(VALU_DEP_1)
	s_and_b32 vcc_lo, exec_lo, s0
	s_cbranch_vccnz .LBB115_20
; %bb.2:
	s_load_b32 s0, s[12:13], 0xd3c
	v_cmp_gt_u64_e64 s1, 0x10000, s[16:17]
	v_dual_mov_b32 v29, 0 :: v_dual_lshlrev_b32 v28, 3, v27
	s_mov_b64 s[24:25], 0
	s_waitcnt lgkmcnt(0)
	s_and_b32 s0, s0, 0xffff
	s_delay_alu instid0(VALU_DEP_2)
	s_and_b32 s1, s1, exec_lo
	s_mul_i32 s2, s0, 3
	v_mad_u64_u32 v[30:31], null, s0, 24, v[28:29]
	v_add_co_u32 v29, s4, v27, s0
	s_cselect_b32 s23, s17, 0
	s_cselect_b32 s22, s16, 0x10000
	s_lshl_b32 s1, s0, 1
	s_lshl_b32 s3, s0, 4
	v_add_co_u32 v32, s2, s2, v27
	s_delay_alu instid0(VALU_DEP_1)
	v_add_co_ci_u32_e64 v33, null, 0, 0, s2
	v_add_co_u32 v34, s2, s3, v28
	v_add_co_u32 v36, s1, s1, v27
	v_add_co_ci_u32_e64 v35, null, 0, 0, s2
	v_add_co_ci_u32_e64 v37, null, 0, 0, s1
	;; [unrolled: 1-line block ×3, first 2 shown]
	v_lshlrev_b32_e32 v39, 3, v29
	s_lshl_b32 s28, s0, 2
	s_lshl_b32 s29, s0, 5
	s_branch .LBB115_4
.LBB115_3:                              ;   in Loop: Header=BB115_4 Depth=1
	s_or_b32 exec_lo, exec_lo, s14
	s_add_u32 s24, s24, s28
	s_addc_u32 s25, s25, 0
	s_delay_alu instid0(SALU_CYCLE_1) | instskip(SKIP_1) | instid1(VALU_DEP_1)
	v_cmp_lt_i64_e64 s0, s[24:25], s[16:17]
	v_cmp_gt_u64_e64 s1, 0x10000, s[24:25]
	s_and_b32 s0, s0, s1
	s_add_u32 s26, s26, s29
	s_addc_u32 s27, s27, 0
	s_and_b32 vcc_lo, exec_lo, s0
	s_cbranch_vccz .LBB115_20
.LBB115_4:                              ; =>This Inner Loop Header: Depth=1
	v_add_co_u32 v0, s0, v27, s24
	s_waitcnt vmcnt(0)
	v_add_co_ci_u32_e64 v1, null, 0, s25, s0
	v_mov_b32_e32 v2, 0
	s_delay_alu instid0(VALU_DEP_2)
	v_cmp_gt_u64_e32 vcc_lo, s[22:23], v[0:1]
	v_mov_b32_e32 v1, 0
	s_and_saveexec_b32 s0, vcc_lo
	s_cbranch_execz .LBB115_6
; %bb.5:                                ;   in Loop: Header=BB115_4 Depth=1
	v_add_co_u32 v0, s1, s26, v28
	s_delay_alu instid0(VALU_DEP_1)
	v_add_co_ci_u32_e64 v1, null, s27, 0, s1
	global_load_b64 v[1:2], v[0:1], off
.LBB115_6:                              ;   in Loop: Header=BB115_4 Depth=1
	s_or_b32 exec_lo, exec_lo, s0
	v_add_co_u32 v3, s0, v29, s24
	s_delay_alu instid0(VALU_DEP_1) | instskip(SKIP_2) | instid1(VALU_DEP_3)
	v_add_co_ci_u32_e64 v4, s0, s25, v38, s0
	v_dual_mov_b32 v22, 0 :: v_dual_mov_b32 v25, 0
	v_mov_b32_e32 v26, 0
	v_cmp_gt_u64_e64 s15, s[22:23], v[3:4]
	s_delay_alu instid0(VALU_DEP_1)
	s_and_saveexec_b32 s0, s15
	s_cbranch_execz .LBB115_8
; %bb.7:                                ;   in Loop: Header=BB115_4 Depth=1
	v_add_co_u32 v3, s1, s26, v39
	s_delay_alu instid0(VALU_DEP_1)
	v_add_co_ci_u32_e64 v4, null, s27, 0, s1
	global_load_b64 v[25:26], v[3:4], off
.LBB115_8:                              ;   in Loop: Header=BB115_4 Depth=1
	s_or_b32 exec_lo, exec_lo, s0
	v_add_co_u32 v3, s0, v36, s24
	s_delay_alu instid0(VALU_DEP_1) | instskip(SKIP_1) | instid1(VALU_DEP_2)
	v_add_co_ci_u32_e64 v4, s0, s25, v37, s0
	v_mov_b32_e32 v21, 0
	v_cmp_gt_u64_e64 s14, s[22:23], v[3:4]
	s_delay_alu instid0(VALU_DEP_1)
	s_and_saveexec_b32 s1, s14
	s_cbranch_execz .LBB115_10
; %bb.9:                                ;   in Loop: Header=BB115_4 Depth=1
	v_add_co_u32 v3, s0, s26, v34
	s_delay_alu instid0(VALU_DEP_1)
	v_add_co_ci_u32_e64 v4, s0, s27, v35, s0
	global_load_b64 v[21:22], v[3:4], off
.LBB115_10:                             ;   in Loop: Header=BB115_4 Depth=1
	s_or_b32 exec_lo, exec_lo, s1
	v_add_co_u32 v3, s0, v32, s24
	s_delay_alu instid0(VALU_DEP_1) | instskip(SKIP_1) | instid1(VALU_DEP_2)
	v_add_co_ci_u32_e64 v4, s0, s25, v33, s0
	v_dual_mov_b32 v24, 0 :: v_dual_mov_b32 v23, 0
	v_cmp_gt_u64_e64 s11, s[22:23], v[3:4]
	s_delay_alu instid0(VALU_DEP_1)
	s_and_saveexec_b32 s1, s11
	s_cbranch_execnz .LBB115_15
; %bb.11:                               ;   in Loop: Header=BB115_4 Depth=1
	s_or_b32 exec_lo, exec_lo, s1
	s_and_saveexec_b32 s33, vcc_lo
	s_cbranch_execnz .LBB115_16
.LBB115_12:                             ;   in Loop: Header=BB115_4 Depth=1
	s_or_b32 exec_lo, exec_lo, s33
	s_and_saveexec_b32 s33, s15
	s_cbranch_execnz .LBB115_17
.LBB115_13:                             ;   in Loop: Header=BB115_4 Depth=1
	s_or_b32 exec_lo, exec_lo, s33
	s_and_saveexec_b32 s15, s14
	s_cbranch_execnz .LBB115_18
.LBB115_14:                             ;   in Loop: Header=BB115_4 Depth=1
	s_or_b32 exec_lo, exec_lo, s15
	s_and_saveexec_b32 s14, s11
	s_cbranch_execz .LBB115_3
	s_branch .LBB115_19
.LBB115_15:                             ;   in Loop: Header=BB115_4 Depth=1
	v_add_co_u32 v3, s0, s26, v30
	s_delay_alu instid0(VALU_DEP_1)
	v_add_co_ci_u32_e64 v4, s0, s27, v31, s0
	global_load_b64 v[23:24], v[3:4], off
	s_or_b32 exec_lo, exec_lo, s1
	s_and_saveexec_b32 s33, vcc_lo
	s_cbranch_execz .LBB115_12
.LBB115_16:                             ;   in Loop: Header=BB115_4 Depth=1
	s_waitcnt vmcnt(0)
	v_xor_b32_e32 v0, 0x80000000, v2
	s_getpc_b64 s[0:1]
	s_add_u32 s0, s0, _ZN6thrust23THRUST_200600_302600_NS6detail7complex6csinhfERKNS0_7complexIfEE@rel32@lo+4
	s_addc_u32 s1, s1, _ZN6thrust23THRUST_200600_302600_NS6detail7complex6csinhfERKNS0_7complexIfEE@rel32@hi+12
	s_delay_alu instid0(SALU_CYCLE_1)
	s_swappc_b64 s[30:31], s[0:1]
	v_add_co_u32 v3, s0, s26, v28
	v_xor_b32_e32 v2, 0x80000000, v0
	v_add_co_ci_u32_e64 v4, null, s27, 0, s0
	global_store_b64 v[3:4], v[1:2], off
	s_or_b32 exec_lo, exec_lo, s33
	s_and_saveexec_b32 s33, s15
	s_cbranch_execz .LBB115_13
.LBB115_17:                             ;   in Loop: Header=BB115_4 Depth=1
	s_waitcnt vmcnt(0)
	v_xor_b32_e32 v0, 0x80000000, v26
	v_mov_b32_e32 v1, v25
	s_getpc_b64 s[0:1]
	s_add_u32 s0, s0, _ZN6thrust23THRUST_200600_302600_NS6detail7complex6csinhfERKNS0_7complexIfEE@rel32@lo+4
	s_addc_u32 s1, s1, _ZN6thrust23THRUST_200600_302600_NS6detail7complex6csinhfERKNS0_7complexIfEE@rel32@hi+12
	s_delay_alu instid0(SALU_CYCLE_1)
	s_swappc_b64 s[30:31], s[0:1]
	v_add_co_u32 v3, s0, s26, v39
	v_xor_b32_e32 v2, 0x80000000, v0
	v_add_co_ci_u32_e64 v4, null, s27, 0, s0
	global_store_b64 v[3:4], v[1:2], off
	s_or_b32 exec_lo, exec_lo, s33
	s_and_saveexec_b32 s15, s14
	s_cbranch_execz .LBB115_14
.LBB115_18:                             ;   in Loop: Header=BB115_4 Depth=1
	s_waitcnt vmcnt(0)
	v_xor_b32_e32 v0, 0x80000000, v22
	v_mov_b32_e32 v1, v21
	s_getpc_b64 s[0:1]
	s_add_u32 s0, s0, _ZN6thrust23THRUST_200600_302600_NS6detail7complex6csinhfERKNS0_7complexIfEE@rel32@lo+4
	s_addc_u32 s1, s1, _ZN6thrust23THRUST_200600_302600_NS6detail7complex6csinhfERKNS0_7complexIfEE@rel32@hi+12
	s_delay_alu instid0(SALU_CYCLE_1)
	s_swappc_b64 s[30:31], s[0:1]
	v_add_co_u32 v3, vcc_lo, s26, v34
	v_xor_b32_e32 v2, 0x80000000, v0
	v_add_co_ci_u32_e32 v4, vcc_lo, s27, v35, vcc_lo
	global_store_b64 v[3:4], v[1:2], off
	s_or_b32 exec_lo, exec_lo, s15
	s_and_saveexec_b32 s14, s11
	s_cbranch_execz .LBB115_3
.LBB115_19:                             ;   in Loop: Header=BB115_4 Depth=1
	s_waitcnt vmcnt(0)
	v_xor_b32_e32 v0, 0x80000000, v24
	v_mov_b32_e32 v1, v23
	s_getpc_b64 s[0:1]
	s_add_u32 s0, s0, _ZN6thrust23THRUST_200600_302600_NS6detail7complex6csinhfERKNS0_7complexIfEE@rel32@lo+4
	s_addc_u32 s1, s1, _ZN6thrust23THRUST_200600_302600_NS6detail7complex6csinhfERKNS0_7complexIfEE@rel32@hi+12
	s_delay_alu instid0(SALU_CYCLE_1)
	s_swappc_b64 s[30:31], s[0:1]
	v_add_co_u32 v3, vcc_lo, s26, v30
	v_xor_b32_e32 v2, 0x80000000, v0
	v_add_co_ci_u32_e32 v4, vcc_lo, s27, v31, vcc_lo
	global_store_b64 v[3:4], v[1:2], off
	s_branch .LBB115_3
.LBB115_20:
	s_cbranch_execz .LBB115_22
	s_branch .LBB115_25
.LBB115_21:
.LBB115_22:
	v_dual_mov_b32 v30, 0 :: v_dual_lshlrev_b32 v29, 2, v27
	s_mov_b32 s11, 0
	s_mov_b32 s0, exec_lo
	s_delay_alu instid0(VALU_DEP_1)
	v_cmpx_gt_i64_e64 s[16:17], v[29:30]
	s_cbranch_execz .LBB115_25
; %bb.23:
	s_load_b32 s0, s[12:13], 0xd3c
	v_lshlrev_b32_e32 v0, 5, v27
	s_waitcnt lgkmcnt(0)
	s_and_b32 s0, s0, 0xffff
	s_delay_alu instid0(SALU_CYCLE_1)
	s_lshl_b32 s12, s0, 2
	s_add_u32 s1, s18, s20
	s_addc_u32 s2, s19, s21
	v_add_co_u32 v31, s1, s1, v0
	v_add_lshl_u32 v29, v27, s0, 2
	v_add_co_ci_u32_e64 v32, null, s2, 0, s1
	s_lshl_b32 s13, s0, 5
.LBB115_24:                             ; =>This Inner Loop Header: Depth=1
	s_clause 0x1
	global_load_b128 v[21:24], v[31:32], off
	global_load_b128 v[25:28], v[31:32], off offset:16
	s_getpc_b64 s[14:15]
	s_add_u32 s14, s14, _ZN6thrust23THRUST_200600_302600_NS6detail7complex6csinhfERKNS0_7complexIfEE@rel32@lo+4
	s_addc_u32 s15, s15, _ZN6thrust23THRUST_200600_302600_NS6detail7complex6csinhfERKNS0_7complexIfEE@rel32@hi+12
	s_waitcnt vmcnt(1)
	v_xor_b32_e32 v0, 0x80000000, v22
	v_mov_b32_e32 v1, v21
	s_swappc_b64 s[30:31], s[14:15]
	s_delay_alu instid0(VALU_DEP_1) | instskip(SKIP_2) | instid1(VALU_DEP_2)
	v_mov_b32_e32 v21, v1
	v_xor_b32_e32 v1, 0x80000000, v24
	v_xor_b32_e32 v22, 0x80000000, v0
	v_dual_mov_b32 v0, v1 :: v_dual_mov_b32 v1, v23
	s_swappc_b64 s[30:31], s[14:15]
	s_delay_alu instid0(VALU_DEP_1) | instskip(SKIP_1) | instid1(VALU_DEP_3)
	v_mov_b32_e32 v23, v1
	v_xor_b32_e32 v1, 0x80000000, v26
	v_xor_b32_e32 v24, 0x80000000, v0
	s_delay_alu instid0(VALU_DEP_2) | instskip(SKIP_2) | instid1(VALU_DEP_1)
	v_mov_b32_e32 v0, v1
	v_mov_b32_e32 v1, v25
	s_swappc_b64 s[30:31], s[14:15]
	v_mov_b32_e32 v25, v1
	v_xor_b32_e32 v1, 0x80000000, v28
	v_xor_b32_e32 v26, 0x80000000, v0
	s_delay_alu instid0(VALU_DEP_2) | instskip(SKIP_3) | instid1(VALU_DEP_3)
	v_dual_mov_b32 v0, v1 :: v_dual_mov_b32 v1, v27
	s_swappc_b64 s[30:31], s[14:15]
	v_cmp_le_i64_e32 vcc_lo, s[16:17], v[29:30]
	v_cmp_lt_u64_e64 s0, 0xffff, v[29:30]
	v_mov_b32_e32 v27, v1
	v_xor_b32_e32 v28, 0x80000000, v0
	v_add_co_u32 v29, s1, v29, s12
	global_store_b128 v[31:32], v[21:24], off
	s_or_b32 s0, vcc_lo, s0
	global_store_b128 v[31:32], v[25:28], off offset:16
	v_add_co_u32 v31, vcc_lo, v31, s13
	v_add_co_ci_u32_e64 v30, s1, 0, v30, s1
	v_add_co_ci_u32_e32 v32, vcc_lo, 0, v32, vcc_lo
	s_and_b32 s0, exec_lo, s0
	s_delay_alu instid0(SALU_CYCLE_1) | instskip(NEXT) | instid1(SALU_CYCLE_1)
	s_or_b32 s11, s0, s11
	s_and_not1_b32 exec_lo, exec_lo, s11
	s_cbranch_execnz .LBB115_24
.LBB115_25:
	s_endpgm
	.section	.rodata,"a",@progbits
	.p2align	6, 0x0
	.amdhsa_kernel _ZN2at6native12_GLOBAL__N_125multi_tensor_apply_kernelINS1_18TensorListMetadataILi1EEENS1_14UnaryOpFunctorIN3c107complexIfEELi1ELi1ELi0EEEJNS0_3SinIS8_EEEEEvT_T0_DpT1_
		.amdhsa_group_segment_fixed_size 0
		.amdhsa_private_segment_fixed_size 0
		.amdhsa_kernarg_size 3632
		.amdhsa_user_sgpr_count 15
		.amdhsa_user_sgpr_dispatch_ptr 0
		.amdhsa_user_sgpr_queue_ptr 0
		.amdhsa_user_sgpr_kernarg_segment_ptr 1
		.amdhsa_user_sgpr_dispatch_id 0
		.amdhsa_user_sgpr_private_segment_size 0
		.amdhsa_wavefront_size32 1
		.amdhsa_uses_dynamic_stack 0
		.amdhsa_enable_private_segment 0
		.amdhsa_system_sgpr_workgroup_id_x 1
		.amdhsa_system_sgpr_workgroup_id_y 0
		.amdhsa_system_sgpr_workgroup_id_z 0
		.amdhsa_system_sgpr_workgroup_info 0
		.amdhsa_system_vgpr_workitem_id 0
		.amdhsa_next_free_vgpr 40
		.amdhsa_next_free_sgpr 34
		.amdhsa_reserve_vcc 1
		.amdhsa_float_round_mode_32 0
		.amdhsa_float_round_mode_16_64 0
		.amdhsa_float_denorm_mode_32 3
		.amdhsa_float_denorm_mode_16_64 3
		.amdhsa_dx10_clamp 1
		.amdhsa_ieee_mode 1
		.amdhsa_fp16_overflow 0
		.amdhsa_workgroup_processor_mode 1
		.amdhsa_memory_ordered 1
		.amdhsa_forward_progress 0
		.amdhsa_shared_vgpr_count 0
		.amdhsa_exception_fp_ieee_invalid_op 0
		.amdhsa_exception_fp_denorm_src 0
		.amdhsa_exception_fp_ieee_div_zero 0
		.amdhsa_exception_fp_ieee_overflow 0
		.amdhsa_exception_fp_ieee_underflow 0
		.amdhsa_exception_fp_ieee_inexact 0
		.amdhsa_exception_int_div_zero 0
	.end_amdhsa_kernel
	.section	.text._ZN2at6native12_GLOBAL__N_125multi_tensor_apply_kernelINS1_18TensorListMetadataILi1EEENS1_14UnaryOpFunctorIN3c107complexIfEELi1ELi1ELi0EEEJNS0_3SinIS8_EEEEEvT_T0_DpT1_,"axG",@progbits,_ZN2at6native12_GLOBAL__N_125multi_tensor_apply_kernelINS1_18TensorListMetadataILi1EEENS1_14UnaryOpFunctorIN3c107complexIfEELi1ELi1ELi0EEEJNS0_3SinIS8_EEEEEvT_T0_DpT1_,comdat
.Lfunc_end115:
	.size	_ZN2at6native12_GLOBAL__N_125multi_tensor_apply_kernelINS1_18TensorListMetadataILi1EEENS1_14UnaryOpFunctorIN3c107complexIfEELi1ELi1ELi0EEEJNS0_3SinIS8_EEEEEvT_T0_DpT1_, .Lfunc_end115-_ZN2at6native12_GLOBAL__N_125multi_tensor_apply_kernelINS1_18TensorListMetadataILi1EEENS1_14UnaryOpFunctorIN3c107complexIfEELi1ELi1ELi0EEEJNS0_3SinIS8_EEEEEvT_T0_DpT1_
                                        ; -- End function
	.section	.AMDGPU.csdata,"",@progbits
; Kernel info:
; codeLenInByte = 1492
; NumSgprs: 36
; NumVgprs: 40
; ScratchSize: 0
; MemoryBound: 0
; FloatMode: 240
; IeeeMode: 1
; LDSByteSize: 0 bytes/workgroup (compile time only)
; SGPRBlocks: 4
; VGPRBlocks: 4
; NumSGPRsForWavesPerEU: 36
; NumVGPRsForWavesPerEU: 40
; Occupancy: 16
; WaveLimiterHint : 0
; COMPUTE_PGM_RSRC2:SCRATCH_EN: 0
; COMPUTE_PGM_RSRC2:USER_SGPR: 15
; COMPUTE_PGM_RSRC2:TRAP_HANDLER: 0
; COMPUTE_PGM_RSRC2:TGID_X_EN: 1
; COMPUTE_PGM_RSRC2:TGID_Y_EN: 0
; COMPUTE_PGM_RSRC2:TGID_Z_EN: 0
; COMPUTE_PGM_RSRC2:TIDIG_COMP_CNT: 0
	.section	.text._ZN2at6native12_GLOBAL__N_125multi_tensor_apply_kernelINS1_18TensorListMetadataILi1EEENS1_14UnaryOpFunctorIN3c104HalfELi1ELi1ELi0EEEJNS0_3SinIfEEEEEvT_T0_DpT1_,"axG",@progbits,_ZN2at6native12_GLOBAL__N_125multi_tensor_apply_kernelINS1_18TensorListMetadataILi1EEENS1_14UnaryOpFunctorIN3c104HalfELi1ELi1ELi0EEEJNS0_3SinIfEEEEEvT_T0_DpT1_,comdat
	.globl	_ZN2at6native12_GLOBAL__N_125multi_tensor_apply_kernelINS1_18TensorListMetadataILi1EEENS1_14UnaryOpFunctorIN3c104HalfELi1ELi1ELi0EEEJNS0_3SinIfEEEEEvT_T0_DpT1_ ; -- Begin function _ZN2at6native12_GLOBAL__N_125multi_tensor_apply_kernelINS1_18TensorListMetadataILi1EEENS1_14UnaryOpFunctorIN3c104HalfELi1ELi1ELi0EEEJNS0_3SinIfEEEEEvT_T0_DpT1_
	.p2align	8
	.type	_ZN2at6native12_GLOBAL__N_125multi_tensor_apply_kernelINS1_18TensorListMetadataILi1EEENS1_14UnaryOpFunctorIN3c104HalfELi1ELi1ELi0EEEJNS0_3SinIfEEEEEvT_T0_DpT1_,@function
_ZN2at6native12_GLOBAL__N_125multi_tensor_apply_kernelINS1_18TensorListMetadataILi1EEENS1_14UnaryOpFunctorIN3c104HalfELi1ELi1ELi0EEEJNS0_3SinIfEEEEEvT_T0_DpT1_: ; @_ZN2at6native12_GLOBAL__N_125multi_tensor_apply_kernelINS1_18TensorListMetadataILi1EEENS1_14UnaryOpFunctorIN3c104HalfELi1ELi1ELi0EEEJNS0_3SinIfEEEEEvT_T0_DpT1_
; %bb.0:
	v_mov_b32_e32 v1, s15
	s_add_u32 s2, s0, s15
	s_mul_hi_u32 s3, s15, 3
	s_mul_i32 s15, s15, 3
	s_addc_u32 s4, s1, 0
	global_load_u8 v1, v1, s[0:1] offset:1760
	s_add_u32 s2, s2, s15
	s_addc_u32 s3, s4, s3
	s_mov_b32 s7, 0
	s_load_b32 s2, s[2:3], 0x820
	s_waitcnt vmcnt(0)
	v_readfirstlane_b32 s5, v1
	s_delay_alu instid0(VALU_DEP_1)
	s_lshl_b32 s3, s5, 3
	s_clause 0x1
	s_load_b64 s[12:13], s[0:1], s3 offset:0x0
	s_load_b64 s[4:5], s[0:1], s3 offset:0x370
	s_waitcnt lgkmcnt(0)
	s_ashr_i32 s3, s2, 31
	s_delay_alu instid0(SALU_CYCLE_1)
	s_lshl_b64 s[14:15], s[2:3], 17
	s_lshl_b64 s[2:3], s[2:3], 16
	s_and_b32 s6, s12, 7
	s_sub_u32 s10, s4, s2
	s_subb_u32 s11, s5, s3
	s_and_b32 s2, s4, 3
	s_mov_b32 s3, s7
	s_delay_alu instid0(SALU_CYCLE_1) | instskip(NEXT) | instid1(SALU_CYCLE_1)
	s_or_b64 s[2:3], s[6:7], s[2:3]
	s_cmp_eq_u64 s[2:3], 0
	s_cbranch_scc1 .LBB116_37
; %bb.1:
	v_cmp_lt_i64_e64 s2, s[10:11], 1
	s_delay_alu instid0(VALU_DEP_1)
	s_and_b32 vcc_lo, exec_lo, s2
	s_cbranch_vccnz .LBB116_36
; %bb.2:
	s_load_b32 s2, s[0:1], 0xd3c
	v_cmp_gt_u64_e64 s3, 0x10000, s[10:11]
	v_dual_mov_b32 v2, 0 :: v_dual_lshlrev_b32 v1, 1, v0
	s_mov_b64 s[18:19], 0
	s_mov_b32 s22, 0x7fffff
	s_mov_b32 s23, 0xb94c1982
	;; [unrolled: 1-line block ×3, first 2 shown]
	s_waitcnt lgkmcnt(0)
	s_and_b32 s2, s2, 0xffff
	s_and_b32 s3, s3, exec_lo
	v_add_co_u32 v7, s5, v0, s2
	s_cselect_b32 s17, s11, 0
	s_cselect_b32 s16, s10, 0x10000
	s_lshl_b32 s3, s2, 1
	s_mul_i32 s4, s2, 3
	s_lshl_b32 s9, s2, 2
	v_add_co_ci_u32_e64 v8, null, 0, 0, s5
	s_add_u32 s5, s12, s14
	s_mul_i32 s20, s2, 6
	s_addc_u32 s6, s13, s15
	s_lshl_b32 s21, s2, 3
	v_add_co_u32 v9, s2, s4, v0
	s_delay_alu instid0(VALU_DEP_1) | instskip(SKIP_4) | instid1(VALU_DEP_1)
	v_add_co_ci_u32_e64 v10, null, 0, 0, s2
	v_add_co_u32 v3, s2, s5, v1
	v_lshlrev_b32_e32 v1, 1, v7
	v_add_co_ci_u32_e64 v4, null, s6, 0, s2
	v_add_co_u32 v11, s2, s3, v0
	v_add_co_ci_u32_e64 v12, null, 0, 0, s2
	s_delay_alu instid0(VALU_DEP_4) | instskip(NEXT) | instid1(VALU_DEP_1)
	v_add_co_u32 v5, s2, s5, v1
	v_add_co_ci_u32_e64 v6, null, s6, 0, s2
	s_branch .LBB116_4
.LBB116_3:                              ;   in Loop: Header=BB116_4 Depth=1
	s_or_b32 exec_lo, exec_lo, s2
	s_add_u32 s18, s18, s9
	s_addc_u32 s19, s19, 0
	v_add_co_u32 v3, vcc_lo, v3, s21
	v_cmp_ge_i64_e64 s2, s[18:19], s[10:11]
	v_cmp_lt_u64_e64 s3, 0xffff, s[18:19]
	v_add_co_ci_u32_e32 v4, vcc_lo, 0, v4, vcc_lo
	v_add_co_u32 v5, vcc_lo, v5, s21
	v_add_co_ci_u32_e32 v6, vcc_lo, 0, v6, vcc_lo
	s_delay_alu instid0(VALU_DEP_4) | instskip(NEXT) | instid1(SALU_CYCLE_1)
	s_or_b32 s2, s2, s3
	s_and_b32 vcc_lo, exec_lo, s2
	s_cbranch_vccnz .LBB116_36
.LBB116_4:                              ; =>This Inner Loop Header: Depth=1
	v_add_co_u32 v13, s2, v0, s18
	s_delay_alu instid0(VALU_DEP_1) | instskip(SKIP_1) | instid1(VALU_DEP_2)
	v_add_co_ci_u32_e64 v14, null, 0, s19, s2
	v_mov_b32_e32 v1, 0
	v_cmp_gt_u64_e64 s4, s[16:17], v[13:14]
	s_delay_alu instid0(VALU_DEP_1)
	s_and_saveexec_b32 s2, s4
	s_cbranch_execz .LBB116_6
; %bb.5:                                ;   in Loop: Header=BB116_4 Depth=1
	global_load_u16 v1, v[3:4], off
.LBB116_6:                              ;   in Loop: Header=BB116_4 Depth=1
	s_or_b32 exec_lo, exec_lo, s2
	v_add_co_u32 v13, vcc_lo, v7, s18
	v_add_co_ci_u32_e32 v14, vcc_lo, s19, v8, vcc_lo
	v_mov_b32_e32 v16, 0
	s_delay_alu instid0(VALU_DEP_2) | instskip(NEXT) | instid1(VALU_DEP_1)
	v_cmp_gt_u64_e64 s3, s[16:17], v[13:14]
	s_and_saveexec_b32 s2, s3
	s_cbranch_execz .LBB116_8
; %bb.7:                                ;   in Loop: Header=BB116_4 Depth=1
	global_load_u16 v16, v[5:6], off
.LBB116_8:                              ;   in Loop: Header=BB116_4 Depth=1
	s_or_b32 exec_lo, exec_lo, s2
	v_add_co_u32 v13, vcc_lo, v11, s18
	v_add_co_ci_u32_e32 v14, vcc_lo, s19, v12, vcc_lo
	v_mov_b32_e32 v19, 0
	v_mov_b32_e32 v21, 0
	s_delay_alu instid0(VALU_DEP_3) | instskip(NEXT) | instid1(VALU_DEP_1)
	v_cmp_gt_u64_e64 s2, s[16:17], v[13:14]
	s_and_saveexec_b32 s5, s2
	s_cbranch_execz .LBB116_10
; %bb.9:                                ;   in Loop: Header=BB116_4 Depth=1
	v_add_co_u32 v13, vcc_lo, v3, s9
	v_add_co_ci_u32_e32 v14, vcc_lo, 0, v4, vcc_lo
	global_load_u16 v21, v[13:14], off
.LBB116_10:                             ;   in Loop: Header=BB116_4 Depth=1
	s_or_b32 exec_lo, exec_lo, s5
	v_add_co_u32 v13, vcc_lo, v9, s18
	v_add_co_ci_u32_e32 v14, vcc_lo, s19, v10, vcc_lo
	s_delay_alu instid0(VALU_DEP_1)
	v_cmp_gt_u64_e32 vcc_lo, s[16:17], v[13:14]
	s_and_saveexec_b32 s6, vcc_lo
	s_cbranch_execz .LBB116_12
; %bb.11:                               ;   in Loop: Header=BB116_4 Depth=1
	v_add_co_u32 v13, s5, v3, s20
	s_delay_alu instid0(VALU_DEP_1)
	v_add_co_ci_u32_e64 v14, s5, 0, v4, s5
	global_load_u16 v19, v[13:14], off
.LBB116_12:                             ;   in Loop: Header=BB116_4 Depth=1
	s_or_b32 exec_lo, exec_lo, s6
	s_waitcnt vmcnt(0)
	v_cvt_f32_f16_e32 v13, v1
                                        ; implicit-def: $vgpr18
                                        ; implicit-def: $vgpr15
	s_mov_b32 s6, exec_lo
	s_delay_alu instid0(VALU_DEP_1)
	v_and_b32_e32 v14, 0x7fffffff, v13
	v_cmpx_ngt_f32_e64 0x48000000, |v13|
	s_xor_b32 s25, exec_lo, s6
	s_cbranch_execz .LBB116_14
; %bb.13:                               ;   in Loop: Header=BB116_4 Depth=1
	s_delay_alu instid0(VALU_DEP_2) | instskip(NEXT) | instid1(VALU_DEP_1)
	v_and_or_b32 v15, v14, s22, 0x800000
	v_mad_u64_u32 v[17:18], null, 0xfe5163ab, v15, 0
	s_delay_alu instid0(VALU_DEP_1) | instskip(SKIP_1) | instid1(VALU_DEP_1)
	v_mov_b32_e32 v1, v18
	v_lshrrev_b32_e32 v18, 23, v14
	v_add_nc_u32_e32 v18, 0xffffff88, v18
	s_delay_alu instid0(VALU_DEP_3) | instskip(NEXT) | instid1(VALU_DEP_2)
	v_mad_u64_u32 v[22:23], null, 0x3c439041, v15, v[1:2]
	v_cmp_lt_u32_e64 s5, 63, v18
	s_delay_alu instid0(VALU_DEP_1) | instskip(NEXT) | instid1(VALU_DEP_1)
	v_cndmask_b32_e64 v20, 0, 0xffffffc0, s5
	v_dual_mov_b32 v1, v23 :: v_dual_add_nc_u32 v18, v20, v18
	s_delay_alu instid0(VALU_DEP_1) | instskip(NEXT) | instid1(VALU_DEP_2)
	v_mad_u64_u32 v[23:24], null, 0xdb629599, v15, v[1:2]
	v_cmp_lt_u32_e64 s6, 31, v18
	s_delay_alu instid0(VALU_DEP_2) | instskip(NEXT) | instid1(VALU_DEP_2)
	v_mov_b32_e32 v1, v24
	v_cndmask_b32_e64 v20, 0, 0xffffffe0, s6
	s_delay_alu instid0(VALU_DEP_4) | instskip(NEXT) | instid1(VALU_DEP_3)
	v_cndmask_b32_e64 v17, v23, v17, s5
	v_mad_u64_u32 v[24:25], null, 0xf534ddc0, v15, v[1:2]
	s_delay_alu instid0(VALU_DEP_3) | instskip(NEXT) | instid1(VALU_DEP_1)
	v_add_nc_u32_e32 v18, v20, v18
	v_cmp_lt_u32_e64 s7, 31, v18
	s_delay_alu instid0(VALU_DEP_3) | instskip(NEXT) | instid1(VALU_DEP_1)
	v_mov_b32_e32 v1, v25
	v_mad_u64_u32 v[25:26], null, 0xfc2757d1, v15, v[1:2]
	s_delay_alu instid0(VALU_DEP_1) | instskip(NEXT) | instid1(VALU_DEP_1)
	v_mov_b32_e32 v1, v26
	v_mad_u64_u32 v[26:27], null, 0x4e441529, v15, v[1:2]
	s_delay_alu instid0(VALU_DEP_1) | instskip(NEXT) | instid1(VALU_DEP_1)
	v_mov_b32_e32 v1, v27
	v_mad_u64_u32 v[27:28], null, 0xa2f9836e, v15, v[1:2]
	v_cndmask_b32_e64 v1, 0, 0xffffffe0, s7
	s_delay_alu instid0(VALU_DEP_4) | instskip(NEXT) | instid1(VALU_DEP_2)
	v_cndmask_b32_e64 v15, v26, v24, s5
	v_add_nc_u32_e32 v1, v1, v18
	s_delay_alu instid0(VALU_DEP_4)
	v_cndmask_b32_e64 v20, v27, v25, s5
	v_cndmask_b32_e64 v26, v28, v26, s5
	;; [unrolled: 1-line block ×4, first 2 shown]
	v_sub_nc_u32_e32 v24, 32, v1
	v_cndmask_b32_e64 v22, v20, v15, s6
	v_cndmask_b32_e64 v20, v26, v20, s6
	;; [unrolled: 1-line block ×4, first 2 shown]
	v_cmp_eq_u32_e64 s8, 0, v1
	v_cndmask_b32_e64 v17, v18, v17, s6
	v_cndmask_b32_e64 v20, v20, v22, s7
	;; [unrolled: 1-line block ×4, first 2 shown]
	s_delay_alu instid0(VALU_DEP_4) | instskip(NEXT) | instid1(VALU_DEP_3)
	v_cndmask_b32_e64 v17, v25, v17, s7
	v_alignbit_b32 v26, v20, v22, v24
	s_delay_alu instid0(VALU_DEP_3) | instskip(NEXT) | instid1(VALU_DEP_3)
	v_alignbit_b32 v27, v22, v15, v24
	v_alignbit_b32 v24, v15, v17, v24
	s_delay_alu instid0(VALU_DEP_3) | instskip(NEXT) | instid1(VALU_DEP_3)
	v_cndmask_b32_e64 v1, v26, v20, s8
	v_cndmask_b32_e64 v20, v27, v22, s8
	s_delay_alu instid0(VALU_DEP_3) | instskip(NEXT) | instid1(VALU_DEP_3)
	v_cndmask_b32_e64 v15, v24, v15, s8
	v_bfe_u32 v22, v1, 29, 1
	s_delay_alu instid0(VALU_DEP_3) | instskip(NEXT) | instid1(VALU_DEP_3)
	v_alignbit_b32 v18, v1, v20, 30
	v_alignbit_b32 v20, v20, v15, 30
	;; [unrolled: 1-line block ×3, first 2 shown]
	s_delay_alu instid0(VALU_DEP_4) | instskip(NEXT) | instid1(VALU_DEP_1)
	v_sub_nc_u32_e32 v23, 0, v22
	v_xor_b32_e32 v25, v18, v23
	v_cmp_ne_u32_e64 s5, v18, v23
	v_xor_b32_e32 v17, v20, v23
	v_xor_b32_e32 v15, v15, v23
	s_delay_alu instid0(VALU_DEP_4) | instskip(NEXT) | instid1(VALU_DEP_1)
	v_clz_i32_u32_e32 v26, v25
	v_add_nc_u32_e32 v24, 1, v26
	s_delay_alu instid0(VALU_DEP_1) | instskip(NEXT) | instid1(VALU_DEP_1)
	v_cndmask_b32_e64 v18, 33, v24, s5
	v_sub_nc_u32_e32 v20, 32, v18
	s_delay_alu instid0(VALU_DEP_1) | instskip(SKIP_3) | instid1(VALU_DEP_3)
	v_alignbit_b32 v23, v25, v17, v20
	v_alignbit_b32 v15, v17, v15, v20
	v_lshrrev_b32_e32 v17, 29, v1
	v_lshrrev_b32_e32 v1, 30, v1
	v_alignbit_b32 v20, v23, v15, 9
	s_delay_alu instid0(VALU_DEP_3) | instskip(SKIP_1) | instid1(VALU_DEP_3)
	v_lshlrev_b32_e32 v17, 31, v17
	v_alignbit_b32 v23, v18, v23, 9
	v_clz_i32_u32_e32 v24, v20
	s_delay_alu instid0(VALU_DEP_2) | instskip(SKIP_1) | instid1(VALU_DEP_3)
	v_or_b32_e32 v23, v23, v17
	v_or_b32_e32 v17, 0x33800000, v17
	v_min_u32_e32 v24, 32, v24
	s_delay_alu instid0(VALU_DEP_3) | instskip(NEXT) | instid1(VALU_DEP_2)
	v_xor_b32_e32 v23, 1.0, v23
	v_sub_nc_u32_e32 v25, 31, v24
	v_add_lshl_u32 v18, v24, v18, 23
	s_delay_alu instid0(VALU_DEP_3) | instskip(NEXT) | instid1(VALU_DEP_3)
	v_mul_f32_e32 v24, 0x3fc90fda, v23
	v_alignbit_b32 v15, v20, v15, v25
	s_delay_alu instid0(VALU_DEP_3) | instskip(NEXT) | instid1(VALU_DEP_3)
	v_sub_nc_u32_e32 v17, v17, v18
	v_fma_f32 v18, 0x3fc90fda, v23, -v24
	s_delay_alu instid0(VALU_DEP_3) | instskip(NEXT) | instid1(VALU_DEP_2)
	v_lshrrev_b32_e32 v15, 9, v15
	v_fmac_f32_e32 v18, 0x33a22168, v23
	s_delay_alu instid0(VALU_DEP_2) | instskip(NEXT) | instid1(VALU_DEP_1)
	v_or_b32_e32 v15, v17, v15
	v_fmac_f32_e32 v18, 0x3fc90fda, v15
	s_delay_alu instid0(VALU_DEP_1)
	v_dual_add_f32 v15, v24, v18 :: v_dual_add_nc_u32 v18, v22, v1
.LBB116_14:                             ;   in Loop: Header=BB116_4 Depth=1
	s_and_not1_saveexec_b32 s5, s25
; %bb.15:                               ;   in Loop: Header=BB116_4 Depth=1
	v_mul_f32_e64 v1, 0x3f22f983, |v13|
	s_delay_alu instid0(VALU_DEP_1) | instskip(NEXT) | instid1(VALU_DEP_1)
	v_rndne_f32_e32 v1, v1
	v_fma_f32 v15, 0xbfc90fda, v1, |v13|
	v_cvt_i32_f32_e32 v18, v1
	s_delay_alu instid0(VALU_DEP_2) | instskip(NEXT) | instid1(VALU_DEP_1)
	v_fmac_f32_e32 v15, 0xb3a22168, v1
	v_fmac_f32_e32 v15, 0xa7c234c4, v1
; %bb.16:                               ;   in Loop: Header=BB116_4 Depth=1
	s_or_b32 exec_lo, exec_lo, s5
	v_cvt_f32_f16_e32 v16, v16
                                        ; implicit-def: $vgpr23
                                        ; implicit-def: $vgpr20
	s_mov_b32 s6, exec_lo
	s_delay_alu instid0(VALU_DEP_1)
	v_and_b32_e32 v17, 0x7fffffff, v16
	v_cmpx_ngt_f32_e64 0x48000000, |v16|
	s_xor_b32 s25, exec_lo, s6
	s_cbranch_execz .LBB116_18
; %bb.17:                               ;   in Loop: Header=BB116_4 Depth=1
	s_delay_alu instid0(VALU_DEP_2) | instskip(SKIP_1) | instid1(VALU_DEP_2)
	v_and_or_b32 v20, v17, s22, 0x800000
	v_lshrrev_b32_e32 v27, 23, v17
	v_mad_u64_u32 v[22:23], null, 0xfe5163ab, v20, 0
	s_delay_alu instid0(VALU_DEP_2) | instskip(NEXT) | instid1(VALU_DEP_1)
	v_add_nc_u32_e32 v28, 0xffffff88, v27
	v_cmp_lt_u32_e64 s5, 63, v28
	s_delay_alu instid0(VALU_DEP_3) | instskip(NEXT) | instid1(VALU_DEP_2)
	v_mov_b32_e32 v1, v23
	v_cndmask_b32_e64 v29, 0, 0xffffffc0, s5
	s_delay_alu instid0(VALU_DEP_2) | instskip(NEXT) | instid1(VALU_DEP_2)
	v_mad_u64_u32 v[23:24], null, 0x3c439041, v20, v[1:2]
	v_add_nc_u32_e32 v29, v29, v28
	s_delay_alu instid0(VALU_DEP_1) | instskip(NEXT) | instid1(VALU_DEP_1)
	v_cmp_lt_u32_e64 s6, 31, v29
	v_cndmask_b32_e64 v30, 0, 0xffffffe0, s6
	s_delay_alu instid0(VALU_DEP_1) | instskip(NEXT) | instid1(VALU_DEP_1)
	v_dual_mov_b32 v1, v24 :: v_dual_add_nc_u32 v30, v30, v29
	v_mad_u64_u32 v[24:25], null, 0xdb629599, v20, v[1:2]
	s_delay_alu instid0(VALU_DEP_2) | instskip(NEXT) | instid1(VALU_DEP_2)
	v_cmp_lt_u32_e64 s7, 31, v30
	v_mov_b32_e32 v1, v25
	s_delay_alu instid0(VALU_DEP_3) | instskip(NEXT) | instid1(VALU_DEP_2)
	v_cndmask_b32_e64 v22, v24, v22, s5
	v_mad_u64_u32 v[25:26], null, 0xf534ddc0, v20, v[1:2]
	s_delay_alu instid0(VALU_DEP_1) | instskip(NEXT) | instid1(VALU_DEP_2)
	v_mov_b32_e32 v1, v26
	v_cndmask_b32_e64 v23, v25, v23, s5
	s_delay_alu instid0(VALU_DEP_2) | instskip(NEXT) | instid1(VALU_DEP_2)
	v_mad_u64_u32 v[26:27], null, 0xfc2757d1, v20, v[1:2]
	v_cndmask_b32_e64 v22, v23, v22, s6
	s_delay_alu instid0(VALU_DEP_2) | instskip(NEXT) | instid1(VALU_DEP_1)
	v_mov_b32_e32 v1, v27
	v_mad_u64_u32 v[27:28], null, 0x4e441529, v20, v[1:2]
	s_delay_alu instid0(VALU_DEP_1) | instskip(NEXT) | instid1(VALU_DEP_1)
	v_mov_b32_e32 v1, v28
	v_mad_u64_u32 v[28:29], null, 0xa2f9836e, v20, v[1:2]
	v_cndmask_b32_e64 v1, 0, 0xffffffe0, s7
	s_delay_alu instid0(VALU_DEP_4) | instskip(NEXT) | instid1(VALU_DEP_2)
	v_cndmask_b32_e64 v20, v27, v25, s5
	v_add_nc_u32_e32 v1, v1, v30
	s_delay_alu instid0(VALU_DEP_4) | instskip(SKIP_2) | instid1(VALU_DEP_4)
	v_cndmask_b32_e64 v28, v28, v26, s5
	v_cndmask_b32_e64 v27, v29, v27, s5
	;; [unrolled: 1-line block ×3, first 2 shown]
	v_cmp_eq_u32_e64 s8, 0, v1
	s_delay_alu instid0(VALU_DEP_4) | instskip(NEXT) | instid1(VALU_DEP_4)
	v_cndmask_b32_e64 v25, v28, v20, s6
	v_cndmask_b32_e64 v27, v27, v28, s6
	s_delay_alu instid0(VALU_DEP_4) | instskip(SKIP_2) | instid1(VALU_DEP_4)
	v_cndmask_b32_e64 v20, v20, v26, s6
	v_sub_nc_u32_e32 v28, 32, v1
	v_cndmask_b32_e64 v26, v26, v23, s6
	v_cndmask_b32_e64 v27, v27, v25, s7
	s_delay_alu instid0(VALU_DEP_4) | instskip(NEXT) | instid1(VALU_DEP_3)
	v_cndmask_b32_e64 v25, v25, v20, s7
	v_cndmask_b32_e64 v20, v20, v26, s7
	;; [unrolled: 1-line block ×3, first 2 shown]
	s_delay_alu instid0(VALU_DEP_3) | instskip(NEXT) | instid1(VALU_DEP_3)
	v_alignbit_b32 v29, v27, v25, v28
	v_alignbit_b32 v30, v25, v20, v28
	s_delay_alu instid0(VALU_DEP_3) | instskip(NEXT) | instid1(VALU_DEP_3)
	v_alignbit_b32 v28, v20, v22, v28
	v_cndmask_b32_e64 v1, v29, v27, s8
	s_delay_alu instid0(VALU_DEP_3) | instskip(NEXT) | instid1(VALU_DEP_3)
	v_cndmask_b32_e64 v24, v30, v25, s8
	v_cndmask_b32_e64 v20, v28, v20, s8
	s_delay_alu instid0(VALU_DEP_3) | instskip(NEXT) | instid1(VALU_DEP_3)
	v_bfe_u32 v25, v1, 29, 1
	v_alignbit_b32 v23, v1, v24, 30
	s_delay_alu instid0(VALU_DEP_3) | instskip(SKIP_1) | instid1(VALU_DEP_4)
	v_alignbit_b32 v24, v24, v20, 30
	v_alignbit_b32 v20, v20, v22, 30
	v_sub_nc_u32_e32 v27, 0, v25
	s_delay_alu instid0(VALU_DEP_1) | instskip(SKIP_3) | instid1(VALU_DEP_4)
	v_xor_b32_e32 v26, v23, v27
	v_cmp_ne_u32_e64 s5, v23, v27
	v_xor_b32_e32 v22, v24, v27
	v_xor_b32_e32 v20, v20, v27
	v_clz_i32_u32_e32 v29, v26
	s_delay_alu instid0(VALU_DEP_1) | instskip(NEXT) | instid1(VALU_DEP_1)
	v_add_nc_u32_e32 v28, 1, v29
	v_cndmask_b32_e64 v23, 33, v28, s5
	s_delay_alu instid0(VALU_DEP_1) | instskip(NEXT) | instid1(VALU_DEP_1)
	v_sub_nc_u32_e32 v24, 32, v23
	v_alignbit_b32 v26, v26, v22, v24
	v_alignbit_b32 v20, v22, v20, v24
	v_lshrrev_b32_e32 v22, 29, v1
	v_lshrrev_b32_e32 v1, 30, v1
	s_delay_alu instid0(VALU_DEP_3) | instskip(NEXT) | instid1(VALU_DEP_3)
	v_alignbit_b32 v24, v26, v20, 9
	v_lshlrev_b32_e32 v22, 31, v22
	v_alignbit_b32 v26, v23, v26, 9
	s_delay_alu instid0(VALU_DEP_3) | instskip(NEXT) | instid1(VALU_DEP_2)
	v_clz_i32_u32_e32 v27, v24
	v_or_b32_e32 v26, v26, v22
	v_or_b32_e32 v22, 0x33800000, v22
	s_delay_alu instid0(VALU_DEP_3) | instskip(NEXT) | instid1(VALU_DEP_3)
	v_min_u32_e32 v27, 32, v27
	v_xor_b32_e32 v26, 1.0, v26
	s_delay_alu instid0(VALU_DEP_2) | instskip(SKIP_1) | instid1(VALU_DEP_3)
	v_sub_nc_u32_e32 v28, 31, v27
	v_add_lshl_u32 v23, v27, v23, 23
	v_mul_f32_e32 v27, 0x3fc90fda, v26
	s_delay_alu instid0(VALU_DEP_3) | instskip(NEXT) | instid1(VALU_DEP_3)
	v_alignbit_b32 v20, v24, v20, v28
	v_sub_nc_u32_e32 v22, v22, v23
	s_delay_alu instid0(VALU_DEP_3) | instskip(NEXT) | instid1(VALU_DEP_3)
	v_fma_f32 v23, 0x3fc90fda, v26, -v27
	v_lshrrev_b32_e32 v20, 9, v20
	s_delay_alu instid0(VALU_DEP_2) | instskip(NEXT) | instid1(VALU_DEP_2)
	v_fmac_f32_e32 v23, 0x33a22168, v26
	v_or_b32_e32 v20, v22, v20
	s_delay_alu instid0(VALU_DEP_1) | instskip(NEXT) | instid1(VALU_DEP_1)
	v_fmac_f32_e32 v23, 0x3fc90fda, v20
	v_dual_add_f32 v20, v27, v23 :: v_dual_add_nc_u32 v23, v25, v1
.LBB116_18:                             ;   in Loop: Header=BB116_4 Depth=1
	s_and_not1_saveexec_b32 s5, s25
; %bb.19:                               ;   in Loop: Header=BB116_4 Depth=1
	v_mul_f32_e64 v1, 0x3f22f983, |v16|
	s_delay_alu instid0(VALU_DEP_1) | instskip(NEXT) | instid1(VALU_DEP_1)
	v_rndne_f32_e32 v1, v1
	v_fma_f32 v20, 0xbfc90fda, v1, |v16|
	v_cvt_i32_f32_e32 v23, v1
	s_delay_alu instid0(VALU_DEP_2) | instskip(NEXT) | instid1(VALU_DEP_1)
	v_fmac_f32_e32 v20, 0xb3a22168, v1
	v_fmac_f32_e32 v20, 0xa7c234c4, v1
; %bb.20:                               ;   in Loop: Header=BB116_4 Depth=1
	s_or_b32 exec_lo, exec_lo, s5
	v_cvt_f32_f16_e32 v21, v21
                                        ; implicit-def: $vgpr26
                                        ; implicit-def: $vgpr24
	s_mov_b32 s6, exec_lo
	s_delay_alu instid0(VALU_DEP_1)
	v_and_b32_e32 v22, 0x7fffffff, v21
	v_cmpx_ngt_f32_e64 0x48000000, |v21|
	s_xor_b32 s25, exec_lo, s6
	s_cbranch_execz .LBB116_22
; %bb.21:                               ;   in Loop: Header=BB116_4 Depth=1
	s_delay_alu instid0(VALU_DEP_2) | instskip(SKIP_1) | instid1(VALU_DEP_2)
	v_and_or_b32 v32, v22, s22, 0x800000
	v_lshrrev_b32_e32 v29, 23, v22
	v_mad_u64_u32 v[24:25], null, 0xfe5163ab, v32, 0
	s_delay_alu instid0(VALU_DEP_2) | instskip(NEXT) | instid1(VALU_DEP_1)
	v_add_nc_u32_e32 v30, 0xffffff88, v29
	v_cmp_lt_u32_e64 s5, 63, v30
	s_delay_alu instid0(VALU_DEP_3) | instskip(NEXT) | instid1(VALU_DEP_2)
	v_mov_b32_e32 v1, v25
	v_cndmask_b32_e64 v31, 0, 0xffffffc0, s5
	s_delay_alu instid0(VALU_DEP_2) | instskip(NEXT) | instid1(VALU_DEP_2)
	v_mad_u64_u32 v[25:26], null, 0x3c439041, v32, v[1:2]
	v_add_nc_u32_e32 v31, v31, v30
	s_delay_alu instid0(VALU_DEP_2) | instskip(NEXT) | instid1(VALU_DEP_2)
	v_mov_b32_e32 v1, v26
	v_cmp_lt_u32_e64 s6, 31, v31
	s_delay_alu instid0(VALU_DEP_2) | instskip(NEXT) | instid1(VALU_DEP_2)
	v_mad_u64_u32 v[26:27], null, 0xdb629599, v32, v[1:2]
	v_cndmask_b32_e64 v33, 0, 0xffffffe0, s6
	s_delay_alu instid0(VALU_DEP_1) | instskip(NEXT) | instid1(VALU_DEP_3)
	v_add_nc_u32_e32 v33, v33, v31
	v_mov_b32_e32 v1, v27
	s_delay_alu instid0(VALU_DEP_4) | instskip(NEXT) | instid1(VALU_DEP_3)
	v_cndmask_b32_e64 v24, v26, v24, s5
	v_cmp_lt_u32_e64 s7, 31, v33
	s_delay_alu instid0(VALU_DEP_3) | instskip(NEXT) | instid1(VALU_DEP_1)
	v_mad_u64_u32 v[27:28], null, 0xf534ddc0, v32, v[1:2]
	v_mov_b32_e32 v1, v28
	s_delay_alu instid0(VALU_DEP_2) | instskip(NEXT) | instid1(VALU_DEP_2)
	v_cndmask_b32_e64 v25, v27, v25, s5
	v_mad_u64_u32 v[28:29], null, 0xfc2757d1, v32, v[1:2]
	s_delay_alu instid0(VALU_DEP_2) | instskip(NEXT) | instid1(VALU_DEP_2)
	v_cndmask_b32_e64 v24, v25, v24, s6
	v_mov_b32_e32 v1, v29
	s_delay_alu instid0(VALU_DEP_1) | instskip(NEXT) | instid1(VALU_DEP_1)
	v_mad_u64_u32 v[29:30], null, 0x4e441529, v32, v[1:2]
	v_mov_b32_e32 v1, v30
	s_delay_alu instid0(VALU_DEP_1) | instskip(SKIP_1) | instid1(VALU_DEP_4)
	v_mad_u64_u32 v[30:31], null, 0xa2f9836e, v32, v[1:2]
	v_cndmask_b32_e64 v1, 0, 0xffffffe0, s7
	v_cndmask_b32_e64 v32, v29, v27, s5
	s_delay_alu instid0(VALU_DEP_2) | instskip(NEXT) | instid1(VALU_DEP_4)
	v_add_nc_u32_e32 v1, v1, v33
	v_cndmask_b32_e64 v30, v30, v28, s5
	v_cndmask_b32_e64 v29, v31, v29, s5
	;; [unrolled: 1-line block ×3, first 2 shown]
	s_delay_alu instid0(VALU_DEP_4) | instskip(NEXT) | instid1(VALU_DEP_4)
	v_sub_nc_u32_e32 v31, 32, v1
	v_cndmask_b32_e64 v27, v30, v32, s6
	s_delay_alu instid0(VALU_DEP_4) | instskip(NEXT) | instid1(VALU_DEP_4)
	v_cndmask_b32_e64 v29, v29, v30, s6
	v_cndmask_b32_e64 v30, v32, v28, s6
	;; [unrolled: 1-line block ×3, first 2 shown]
	v_cmp_eq_u32_e64 s8, 0, v1
	s_delay_alu instid0(VALU_DEP_4) | instskip(NEXT) | instid1(VALU_DEP_4)
	v_cndmask_b32_e64 v29, v29, v27, s7
	v_cndmask_b32_e64 v27, v27, v30, s7
	s_delay_alu instid0(VALU_DEP_4) | instskip(SKIP_1) | instid1(VALU_DEP_3)
	v_cndmask_b32_e64 v30, v30, v28, s7
	v_cndmask_b32_e64 v24, v28, v24, s7
	v_alignbit_b32 v32, v29, v27, v31
	s_delay_alu instid0(VALU_DEP_3) | instskip(NEXT) | instid1(VALU_DEP_3)
	v_alignbit_b32 v33, v27, v30, v31
	v_alignbit_b32 v31, v30, v24, v31
	s_delay_alu instid0(VALU_DEP_3) | instskip(NEXT) | instid1(VALU_DEP_3)
	v_cndmask_b32_e64 v1, v32, v29, s8
	v_cndmask_b32_e64 v26, v33, v27, s8
	s_delay_alu instid0(VALU_DEP_3) | instskip(NEXT) | instid1(VALU_DEP_3)
	v_cndmask_b32_e64 v30, v31, v30, s8
	v_bfe_u32 v27, v1, 29, 1
	s_delay_alu instid0(VALU_DEP_3) | instskip(NEXT) | instid1(VALU_DEP_3)
	v_alignbit_b32 v25, v1, v26, 30
	v_alignbit_b32 v26, v26, v30, 30
	;; [unrolled: 1-line block ×3, first 2 shown]
	s_delay_alu instid0(VALU_DEP_4) | instskip(NEXT) | instid1(VALU_DEP_1)
	v_sub_nc_u32_e32 v29, 0, v27
	v_xor_b32_e32 v28, v25, v29
	v_cmp_ne_u32_e64 s5, v25, v29
	v_xor_b32_e32 v26, v26, v29
	v_xor_b32_e32 v24, v24, v29
	s_delay_alu instid0(VALU_DEP_4) | instskip(NEXT) | instid1(VALU_DEP_1)
	v_clz_i32_u32_e32 v32, v28
	v_add_nc_u32_e32 v31, 1, v32
	s_delay_alu instid0(VALU_DEP_1) | instskip(NEXT) | instid1(VALU_DEP_1)
	v_cndmask_b32_e64 v25, 33, v31, s5
	v_sub_nc_u32_e32 v30, 32, v25
	s_delay_alu instid0(VALU_DEP_1) | instskip(SKIP_3) | instid1(VALU_DEP_3)
	v_alignbit_b32 v28, v28, v26, v30
	v_alignbit_b32 v24, v26, v24, v30
	v_lshrrev_b32_e32 v26, 29, v1
	v_lshrrev_b32_e32 v1, 30, v1
	v_alignbit_b32 v29, v28, v24, 9
	s_delay_alu instid0(VALU_DEP_3) | instskip(SKIP_1) | instid1(VALU_DEP_3)
	v_lshlrev_b32_e32 v26, 31, v26
	v_alignbit_b32 v28, v25, v28, 9
	v_clz_i32_u32_e32 v30, v29
	s_delay_alu instid0(VALU_DEP_2) | instskip(SKIP_1) | instid1(VALU_DEP_3)
	v_or_b32_e32 v28, v28, v26
	v_or_b32_e32 v26, 0x33800000, v26
	v_min_u32_e32 v30, 32, v30
	s_delay_alu instid0(VALU_DEP_3) | instskip(NEXT) | instid1(VALU_DEP_2)
	v_xor_b32_e32 v28, 1.0, v28
	v_sub_nc_u32_e32 v31, 31, v30
	v_add_lshl_u32 v25, v30, v25, 23
	s_delay_alu instid0(VALU_DEP_3) | instskip(NEXT) | instid1(VALU_DEP_3)
	v_mul_f32_e32 v30, 0x3fc90fda, v28
	v_alignbit_b32 v24, v29, v24, v31
	s_delay_alu instid0(VALU_DEP_3) | instskip(NEXT) | instid1(VALU_DEP_3)
	v_sub_nc_u32_e32 v25, v26, v25
	v_fma_f32 v26, 0x3fc90fda, v28, -v30
	s_delay_alu instid0(VALU_DEP_3) | instskip(NEXT) | instid1(VALU_DEP_2)
	v_lshrrev_b32_e32 v24, 9, v24
	v_fmac_f32_e32 v26, 0x33a22168, v28
	s_delay_alu instid0(VALU_DEP_2) | instskip(NEXT) | instid1(VALU_DEP_1)
	v_or_b32_e32 v24, v25, v24
	v_fmac_f32_e32 v26, 0x3fc90fda, v24
	s_delay_alu instid0(VALU_DEP_1)
	v_add_f32_e32 v24, v30, v26
	v_add_nc_u32_e32 v26, v27, v1
.LBB116_22:                             ;   in Loop: Header=BB116_4 Depth=1
	s_and_not1_saveexec_b32 s5, s25
; %bb.23:                               ;   in Loop: Header=BB116_4 Depth=1
	v_mul_f32_e64 v1, 0x3f22f983, |v21|
	s_delay_alu instid0(VALU_DEP_1) | instskip(NEXT) | instid1(VALU_DEP_1)
	v_rndne_f32_e32 v1, v1
	v_fma_f32 v24, 0xbfc90fda, v1, |v21|
	v_cvt_i32_f32_e32 v26, v1
	s_delay_alu instid0(VALU_DEP_2) | instskip(NEXT) | instid1(VALU_DEP_1)
	v_fmac_f32_e32 v24, 0xb3a22168, v1
	v_fmac_f32_e32 v24, 0xa7c234c4, v1
; %bb.24:                               ;   in Loop: Header=BB116_4 Depth=1
	s_or_b32 exec_lo, exec_lo, s5
	v_cvt_f32_f16_e32 v19, v19
                                        ; implicit-def: $vgpr27
                                        ; implicit-def: $vgpr1
	s_mov_b32 s6, exec_lo
	s_delay_alu instid0(VALU_DEP_1)
	v_and_b32_e32 v25, 0x7fffffff, v19
	v_cmpx_ngt_f32_e64 0x48000000, |v19|
	s_xor_b32 s25, exec_lo, s6
	s_cbranch_execnz .LBB116_30
; %bb.25:                               ;   in Loop: Header=BB116_4 Depth=1
	s_and_not1_saveexec_b32 s5, s25
	s_cbranch_execnz .LBB116_31
.LBB116_26:                             ;   in Loop: Header=BB116_4 Depth=1
	s_or_b32 exec_lo, exec_lo, s5
	s_and_saveexec_b32 s5, s4
	s_delay_alu instid0(SALU_CYCLE_1)
	s_xor_b32 s5, exec_lo, s5
	s_cbranch_execnz .LBB116_32
.LBB116_27:                             ;   in Loop: Header=BB116_4 Depth=1
	s_or_b32 exec_lo, exec_lo, s5
	s_and_saveexec_b32 s4, s3
	s_cbranch_execnz .LBB116_33
.LBB116_28:                             ;   in Loop: Header=BB116_4 Depth=1
	s_or_b32 exec_lo, exec_lo, s4
	s_and_saveexec_b32 s3, s2
	s_cbranch_execnz .LBB116_34
.LBB116_29:                             ;   in Loop: Header=BB116_4 Depth=1
	s_or_b32 exec_lo, exec_lo, s3
	s_and_saveexec_b32 s2, vcc_lo
	s_cbranch_execz .LBB116_3
	s_branch .LBB116_35
.LBB116_30:                             ;   in Loop: Header=BB116_4 Depth=1
	s_delay_alu instid0(VALU_DEP_2) | instskip(SKIP_1) | instid1(VALU_DEP_2)
	v_lshrrev_b32_e32 v32, 23, v25
	v_and_or_b32 v35, v25, s22, 0x800000
	v_add_nc_u32_e32 v33, 0xffffff88, v32
	s_delay_alu instid0(VALU_DEP_2) | instskip(NEXT) | instid1(VALU_DEP_2)
	v_mad_u64_u32 v[27:28], null, 0xfe5163ab, v35, 0
	v_cmp_lt_u32_e64 s5, 63, v33
	s_delay_alu instid0(VALU_DEP_1) | instskip(NEXT) | instid1(VALU_DEP_1)
	v_cndmask_b32_e64 v34, 0, 0xffffffc0, s5
	v_dual_mov_b32 v1, v28 :: v_dual_add_nc_u32 v34, v34, v33
	s_delay_alu instid0(VALU_DEP_1) | instskip(NEXT) | instid1(VALU_DEP_2)
	v_mad_u64_u32 v[28:29], null, 0x3c439041, v35, v[1:2]
	v_cmp_lt_u32_e64 s6, 31, v34
	s_delay_alu instid0(VALU_DEP_1) | instskip(NEXT) | instid1(VALU_DEP_1)
	v_cndmask_b32_e64 v36, 0, 0xffffffe0, s6
	v_dual_mov_b32 v1, v29 :: v_dual_add_nc_u32 v36, v36, v34
	s_delay_alu instid0(VALU_DEP_1) | instskip(NEXT) | instid1(VALU_DEP_2)
	v_mad_u64_u32 v[29:30], null, 0xdb629599, v35, v[1:2]
	v_cmp_lt_u32_e64 s7, 31, v36
	s_delay_alu instid0(VALU_DEP_2) | instskip(NEXT) | instid1(VALU_DEP_3)
	v_mov_b32_e32 v1, v30
	v_cndmask_b32_e64 v27, v29, v27, s5
	s_delay_alu instid0(VALU_DEP_2) | instskip(NEXT) | instid1(VALU_DEP_1)
	v_mad_u64_u32 v[30:31], null, 0xf534ddc0, v35, v[1:2]
	v_mov_b32_e32 v1, v31
	s_delay_alu instid0(VALU_DEP_2) | instskip(NEXT) | instid1(VALU_DEP_2)
	v_cndmask_b32_e64 v28, v30, v28, s5
	v_mad_u64_u32 v[31:32], null, 0xfc2757d1, v35, v[1:2]
	s_delay_alu instid0(VALU_DEP_2) | instskip(NEXT) | instid1(VALU_DEP_2)
	v_cndmask_b32_e64 v27, v28, v27, s6
	v_mov_b32_e32 v1, v32
	s_delay_alu instid0(VALU_DEP_1) | instskip(NEXT) | instid1(VALU_DEP_1)
	v_mad_u64_u32 v[32:33], null, 0x4e441529, v35, v[1:2]
	v_mov_b32_e32 v1, v33
	s_delay_alu instid0(VALU_DEP_1) | instskip(SKIP_1) | instid1(VALU_DEP_4)
	v_mad_u64_u32 v[33:34], null, 0xa2f9836e, v35, v[1:2]
	v_cndmask_b32_e64 v1, 0, 0xffffffe0, s7
	v_cndmask_b32_e64 v35, v32, v30, s5
	s_delay_alu instid0(VALU_DEP_2) | instskip(NEXT) | instid1(VALU_DEP_4)
	v_add_nc_u32_e32 v1, v1, v36
	v_cndmask_b32_e64 v33, v33, v31, s5
	v_cndmask_b32_e64 v32, v34, v32, s5
	;; [unrolled: 1-line block ×3, first 2 shown]
	s_delay_alu instid0(VALU_DEP_4) | instskip(NEXT) | instid1(VALU_DEP_4)
	v_sub_nc_u32_e32 v34, 32, v1
	v_cndmask_b32_e64 v30, v33, v35, s6
	s_delay_alu instid0(VALU_DEP_4) | instskip(NEXT) | instid1(VALU_DEP_4)
	v_cndmask_b32_e64 v32, v32, v33, s6
	v_cndmask_b32_e64 v33, v35, v31, s6
	v_cndmask_b32_e64 v31, v31, v28, s6
	v_cmp_eq_u32_e64 s8, 0, v1
	s_delay_alu instid0(VALU_DEP_4) | instskip(NEXT) | instid1(VALU_DEP_4)
	v_cndmask_b32_e64 v32, v32, v30, s7
	v_cndmask_b32_e64 v30, v30, v33, s7
	s_delay_alu instid0(VALU_DEP_4) | instskip(SKIP_1) | instid1(VALU_DEP_3)
	v_cndmask_b32_e64 v33, v33, v31, s7
	v_cndmask_b32_e64 v27, v31, v27, s7
	v_alignbit_b32 v35, v32, v30, v34
	s_delay_alu instid0(VALU_DEP_3) | instskip(NEXT) | instid1(VALU_DEP_3)
	v_alignbit_b32 v36, v30, v33, v34
	v_alignbit_b32 v34, v33, v27, v34
	s_delay_alu instid0(VALU_DEP_3) | instskip(NEXT) | instid1(VALU_DEP_3)
	v_cndmask_b32_e64 v1, v35, v32, s8
	v_cndmask_b32_e64 v29, v36, v30, s8
	s_delay_alu instid0(VALU_DEP_3) | instskip(NEXT) | instid1(VALU_DEP_3)
	v_cndmask_b32_e64 v33, v34, v33, s8
	v_bfe_u32 v30, v1, 29, 1
	s_delay_alu instid0(VALU_DEP_3) | instskip(NEXT) | instid1(VALU_DEP_3)
	v_alignbit_b32 v28, v1, v29, 30
	v_alignbit_b32 v29, v29, v33, 30
	;; [unrolled: 1-line block ×3, first 2 shown]
	s_delay_alu instid0(VALU_DEP_4) | instskip(NEXT) | instid1(VALU_DEP_1)
	v_sub_nc_u32_e32 v32, 0, v30
	v_xor_b32_e32 v31, v28, v32
	v_cmp_ne_u32_e64 s5, v28, v32
	v_xor_b32_e32 v29, v29, v32
	v_xor_b32_e32 v27, v27, v32
	s_delay_alu instid0(VALU_DEP_4) | instskip(NEXT) | instid1(VALU_DEP_1)
	v_clz_i32_u32_e32 v35, v31
	v_add_nc_u32_e32 v34, 1, v35
	s_delay_alu instid0(VALU_DEP_1) | instskip(NEXT) | instid1(VALU_DEP_1)
	v_cndmask_b32_e64 v28, 33, v34, s5
	v_sub_nc_u32_e32 v33, 32, v28
	s_delay_alu instid0(VALU_DEP_1) | instskip(SKIP_2) | instid1(VALU_DEP_2)
	v_alignbit_b32 v31, v31, v29, v33
	v_alignbit_b32 v27, v29, v27, v33
	v_lshrrev_b32_e32 v29, 29, v1
	v_alignbit_b32 v32, v31, v27, 9
	s_delay_alu instid0(VALU_DEP_2) | instskip(SKIP_1) | instid1(VALU_DEP_3)
	v_lshlrev_b32_e32 v29, 31, v29
	v_alignbit_b32 v31, v28, v31, 9
	v_clz_i32_u32_e32 v33, v32
	s_delay_alu instid0(VALU_DEP_2) | instskip(SKIP_1) | instid1(VALU_DEP_3)
	v_or_b32_e32 v31, v31, v29
	v_or_b32_e32 v29, 0x33800000, v29
	v_min_u32_e32 v33, 32, v33
	s_delay_alu instid0(VALU_DEP_3) | instskip(NEXT) | instid1(VALU_DEP_2)
	v_xor_b32_e32 v31, 1.0, v31
	v_sub_nc_u32_e32 v34, 31, v33
	v_add_lshl_u32 v28, v33, v28, 23
	s_delay_alu instid0(VALU_DEP_3) | instskip(NEXT) | instid1(VALU_DEP_3)
	v_mul_f32_e32 v33, 0x3fc90fda, v31
	v_alignbit_b32 v27, v32, v27, v34
	s_delay_alu instid0(VALU_DEP_3) | instskip(NEXT) | instid1(VALU_DEP_3)
	v_sub_nc_u32_e32 v28, v29, v28
	v_fma_f32 v29, 0x3fc90fda, v31, -v33
	s_delay_alu instid0(VALU_DEP_3) | instskip(NEXT) | instid1(VALU_DEP_2)
	v_lshrrev_b32_e32 v27, 9, v27
	v_fmac_f32_e32 v29, 0x33a22168, v31
	s_delay_alu instid0(VALU_DEP_2) | instskip(NEXT) | instid1(VALU_DEP_1)
	v_or_b32_e32 v27, v28, v27
	v_fmac_f32_e32 v29, 0x3fc90fda, v27
	v_lshrrev_b32_e32 v27, 30, v1
	s_delay_alu instid0(VALU_DEP_2) | instskip(NEXT) | instid1(VALU_DEP_2)
	v_add_f32_e32 v1, v33, v29
	v_add_nc_u32_e32 v27, v30, v27
	s_and_not1_saveexec_b32 s5, s25
	s_cbranch_execz .LBB116_26
.LBB116_31:                             ;   in Loop: Header=BB116_4 Depth=1
	v_mul_f32_e64 v1, 0x3f22f983, |v19|
	s_delay_alu instid0(VALU_DEP_1) | instskip(NEXT) | instid1(VALU_DEP_1)
	v_rndne_f32_e32 v27, v1
	v_fma_f32 v1, 0xbfc90fda, v27, |v19|
	s_delay_alu instid0(VALU_DEP_1) | instskip(NEXT) | instid1(VALU_DEP_1)
	v_fmac_f32_e32 v1, 0xb3a22168, v27
	v_fmac_f32_e32 v1, 0xa7c234c4, v27
	v_cvt_i32_f32_e32 v27, v27
	s_or_b32 exec_lo, exec_lo, s5
	s_and_saveexec_b32 s5, s4
	s_delay_alu instid0(SALU_CYCLE_1)
	s_xor_b32 s5, exec_lo, s5
	s_cbranch_execz .LBB116_27
.LBB116_32:                             ;   in Loop: Header=BB116_4 Depth=1
	v_dual_mul_f32 v28, v15, v15 :: v_dual_and_b32 v31, 1, v18
	v_xor_b32_e32 v14, v14, v13
	s_delay_alu instid0(VALU_DEP_2) | instskip(NEXT) | instid1(VALU_DEP_3)
	v_dual_fmaak_f32 v29, s23, v28, 0x3c0881c4 :: v_dual_lshlrev_b32 v18, 30, v18
	v_cmp_eq_u32_e64 s4, 0, v31
	s_delay_alu instid0(VALU_DEP_2) | instskip(NEXT) | instid1(VALU_DEP_3)
	v_and_b32_e32 v18, 0x80000000, v18
	v_fmaak_f32 v29, v28, v29, 0xbe2aaa9d
	s_delay_alu instid0(VALU_DEP_1) | instskip(NEXT) | instid1(VALU_DEP_1)
	v_dual_fmaak_f32 v30, s24, v28, 0xbab64f3b :: v_dual_mul_f32 v29, v28, v29
	v_dual_fmaak_f32 v30, v28, v30, 0x3d2aabf7 :: v_dual_fmac_f32 v15, v15, v29
	s_delay_alu instid0(VALU_DEP_1) | instskip(NEXT) | instid1(VALU_DEP_1)
	v_fmaak_f32 v30, v28, v30, 0xbf000004
	v_fma_f32 v28, v28, v30, 1.0
	s_delay_alu instid0(VALU_DEP_1) | instskip(SKIP_1) | instid1(VALU_DEP_2)
	v_cndmask_b32_e64 v15, v28, v15, s4
	v_cmp_class_f32_e64 s4, v13, 0x1f8
	v_xor3_b32 v14, v14, v18, v15
	s_delay_alu instid0(VALU_DEP_1) | instskip(NEXT) | instid1(VALU_DEP_1)
	v_cndmask_b32_e64 v13, 0x7fc00000, v14, s4
	v_cvt_f16_f32_e32 v13, v13
	global_store_b16 v[3:4], v13, off
	s_or_b32 exec_lo, exec_lo, s5
	s_and_saveexec_b32 s4, s3
	s_cbranch_execz .LBB116_28
.LBB116_33:                             ;   in Loop: Header=BB116_4 Depth=1
	v_dual_mul_f32 v13, v20, v20 :: v_dual_and_b32 v18, 1, v23
	s_delay_alu instid0(VALU_DEP_1) | instskip(NEXT) | instid1(VALU_DEP_2)
	v_dual_fmaak_f32 v14, s23, v13, 0x3c0881c4 :: v_dual_lshlrev_b32 v23, 30, v23
	v_cmp_eq_u32_e64 s3, 0, v18
	s_delay_alu instid0(VALU_DEP_2) | instskip(NEXT) | instid1(VALU_DEP_1)
	v_fmaak_f32 v14, v13, v14, 0xbe2aaa9d
	v_dual_fmaak_f32 v15, s24, v13, 0xbab64f3b :: v_dual_mul_f32 v14, v13, v14
	s_delay_alu instid0(VALU_DEP_1) | instskip(NEXT) | instid1(VALU_DEP_1)
	v_dual_fmaak_f32 v15, v13, v15, 0x3d2aabf7 :: v_dual_fmac_f32 v20, v20, v14
	v_fmaak_f32 v15, v13, v15, 0xbf000004
	v_and_b32_e32 v14, 0x80000000, v23
	s_delay_alu instid0(VALU_DEP_2) | instskip(SKIP_1) | instid1(VALU_DEP_2)
	v_fma_f32 v13, v13, v15, 1.0
	v_xor_b32_e32 v15, v17, v16
	v_cndmask_b32_e64 v13, v13, v20, s3
	v_cmp_class_f32_e64 s3, v16, 0x1f8
	s_delay_alu instid0(VALU_DEP_2) | instskip(NEXT) | instid1(VALU_DEP_1)
	v_xor3_b32 v13, v15, v14, v13
	v_cndmask_b32_e64 v13, 0x7fc00000, v13, s3
	s_delay_alu instid0(VALU_DEP_1)
	v_cvt_f16_f32_e32 v13, v13
	global_store_b16 v[5:6], v13, off
	s_or_b32 exec_lo, exec_lo, s4
	s_and_saveexec_b32 s3, s2
	s_cbranch_execz .LBB116_29
.LBB116_34:                             ;   in Loop: Header=BB116_4 Depth=1
	v_dual_mul_f32 v13, v24, v24 :: v_dual_and_b32 v16, 1, v26
	s_delay_alu instid0(VALU_DEP_1) | instskip(NEXT) | instid1(VALU_DEP_2)
	v_dual_fmaak_f32 v14, s23, v13, 0x3c0881c4 :: v_dual_lshlrev_b32 v17, 30, v26
	v_cmp_eq_u32_e64 s2, 0, v16
	s_delay_alu instid0(VALU_DEP_2) | instskip(NEXT) | instid1(VALU_DEP_1)
	v_fmaak_f32 v14, v13, v14, 0xbe2aaa9d
	v_dual_fmaak_f32 v15, s24, v13, 0xbab64f3b :: v_dual_mul_f32 v14, v13, v14
	s_delay_alu instid0(VALU_DEP_1) | instskip(NEXT) | instid1(VALU_DEP_1)
	v_dual_fmaak_f32 v15, v13, v15, 0x3d2aabf7 :: v_dual_fmac_f32 v24, v24, v14
	v_fmaak_f32 v15, v13, v15, 0xbf000004
	v_xor_b32_e32 v14, v22, v21
	s_delay_alu instid0(VALU_DEP_2) | instskip(SKIP_1) | instid1(VALU_DEP_2)
	v_fma_f32 v13, v13, v15, 1.0
	v_and_b32_e32 v15, 0x80000000, v17
	v_cndmask_b32_e64 v13, v13, v24, s2
	v_cmp_class_f32_e64 s2, v21, 0x1f8
	s_delay_alu instid0(VALU_DEP_2) | instskip(NEXT) | instid1(VALU_DEP_1)
	v_xor3_b32 v13, v14, v15, v13
	v_cndmask_b32_e64 v13, 0x7fc00000, v13, s2
	s_delay_alu instid0(VALU_DEP_1) | instskip(SKIP_1) | instid1(VALU_DEP_1)
	v_cvt_f16_f32_e32 v15, v13
	v_add_co_u32 v13, s2, v3, s9
	v_add_co_ci_u32_e64 v14, s2, 0, v4, s2
	global_store_b16 v[13:14], v15, off
	s_or_b32 exec_lo, exec_lo, s3
	s_and_saveexec_b32 s2, vcc_lo
	s_cbranch_execz .LBB116_3
.LBB116_35:                             ;   in Loop: Header=BB116_4 Depth=1
	v_dual_mul_f32 v13, v1, v1 :: v_dual_and_b32 v16, 1, v27
	s_delay_alu instid0(VALU_DEP_1) | instskip(NEXT) | instid1(VALU_DEP_2)
	v_dual_fmaak_f32 v14, s23, v13, 0x3c0881c4 :: v_dual_lshlrev_b32 v17, 30, v27
	v_cmp_eq_u32_e32 vcc_lo, 0, v16
	s_delay_alu instid0(VALU_DEP_2) | instskip(NEXT) | instid1(VALU_DEP_1)
	v_fmaak_f32 v14, v13, v14, 0xbe2aaa9d
	v_dual_fmaak_f32 v15, s24, v13, 0xbab64f3b :: v_dual_mul_f32 v14, v13, v14
	s_delay_alu instid0(VALU_DEP_1) | instskip(NEXT) | instid1(VALU_DEP_2)
	v_fmaak_f32 v15, v13, v15, 0x3d2aabf7
	v_fmac_f32_e32 v1, v1, v14
	s_delay_alu instid0(VALU_DEP_2) | instskip(SKIP_1) | instid1(VALU_DEP_2)
	v_fmaak_f32 v15, v13, v15, 0xbf000004
	v_xor_b32_e32 v14, v25, v19
	v_fma_f32 v13, v13, v15, 1.0
	v_and_b32_e32 v15, 0x80000000, v17
	s_delay_alu instid0(VALU_DEP_2) | instskip(SKIP_1) | instid1(VALU_DEP_2)
	v_cndmask_b32_e32 v1, v13, v1, vcc_lo
	v_cmp_class_f32_e64 vcc_lo, v19, 0x1f8
	v_xor3_b32 v1, v14, v15, v1
	s_delay_alu instid0(VALU_DEP_1) | instskip(SKIP_2) | instid1(VALU_DEP_3)
	v_cndmask_b32_e32 v1, 0x7fc00000, v1, vcc_lo
	v_add_co_u32 v13, vcc_lo, v3, s20
	v_add_co_ci_u32_e32 v14, vcc_lo, 0, v4, vcc_lo
	v_cvt_f16_f32_e32 v1, v1
	global_store_b16 v[13:14], v1, off
	s_branch .LBB116_3
.LBB116_36:
	s_cbranch_execz .LBB116_38
	s_branch .LBB116_57
.LBB116_37:
.LBB116_38:
	v_dual_mov_b32 v2, 0 :: v_dual_lshlrev_b32 v1, 2, v0
	s_mov_b32 s3, 0
	s_mov_b32 s2, exec_lo
	s_delay_alu instid0(VALU_DEP_1)
	v_cmpx_gt_i64_e64 s[10:11], v[1:2]
	s_cbranch_execz .LBB116_57
; %bb.39:
	s_load_b32 s0, s[0:1], 0xd3c
	s_mov_b32 s6, 0x7fffff
	s_mov_b32 s7, 0xb94c1982
	;; [unrolled: 1-line block ×3, first 2 shown]
	s_waitcnt lgkmcnt(0)
	s_and_b32 s0, s0, 0xffff
	s_delay_alu instid0(SALU_CYCLE_1) | instskip(SKIP_4) | instid1(VALU_DEP_1)
	v_add_lshl_u32 v1, v0, s0, 2
	v_dual_mov_b32 v6, v2 :: v_dual_lshlrev_b32 v3, 3, v0
	s_lshl_b32 s4, s0, 2
	s_add_u32 s1, s12, s14
	s_addc_u32 s2, s13, s15
	v_add_co_u32 v0, s1, s1, v3
	s_delay_alu instid0(VALU_DEP_1) | instskip(SKIP_1) | instid1(VALU_DEP_3)
	v_add_co_ci_u32_e64 v4, null, s2, 0, s1
	v_mov_b32_e32 v5, v1
	v_add_co_u32 v3, vcc_lo, v0, 4
	s_delay_alu instid0(VALU_DEP_3)
	v_add_co_ci_u32_e32 v4, vcc_lo, 0, v4, vcc_lo
	s_lshl_b32 s5, s0, 3
	s_branch .LBB116_41
.LBB116_40:                             ;   in Loop: Header=BB116_41 Depth=1
	s_or_b32 exec_lo, exec_lo, s0
	v_dual_mul_f32 v23, v13, v13 :: v_dual_and_b32 v28, 1, v14
	v_dual_mul_f32 v21, v18, v18 :: v_dual_and_b32 v22, 1, v19
	v_lshlrev_b32_e32 v19, 30, v19
	s_delay_alu instid0(VALU_DEP_3) | instskip(NEXT) | instid1(VALU_DEP_3)
	v_dual_fmaak_f32 v26, s7, v23, 0x3c0881c4 :: v_dual_mul_f32 v29, v10, v10
	v_fmaak_f32 v24, s7, v21, 0x3c0881c4
	s_delay_alu instid0(VALU_DEP_4) | instskip(SKIP_1) | instid1(VALU_DEP_4)
	v_cmp_eq_u32_e32 vcc_lo, 0, v22
	v_xor_b32_e32 v16, v16, v15
	v_fmaak_f32 v26, v23, v26, 0xbe2aaa9d
	v_fmaak_f32 v27, s8, v23, 0xbab64f3b
	v_and_b32_e32 v19, 0x80000000, v19
	v_xor_b32_e32 v12, v12, v7
	v_xor_b32_e32 v17, v17, v8
	v_mul_f32_e32 v26, v23, v26
	v_fmaak_f32 v27, v23, v27, 0x3d2aabf7
	v_xor_b32_e32 v9, v9, v0
	v_cmp_lt_u64_e64 s0, 0xffff, v[5:6]
	s_delay_alu instid0(VALU_DEP_4) | instskip(NEXT) | instid1(VALU_DEP_4)
	v_dual_fmaak_f32 v22, s7, v29, 0x3c0881c4 :: v_dual_fmac_f32 v13, v13, v26
	v_dual_fmaak_f32 v27, v23, v27, 0xbf000004 :: v_dual_lshlrev_b32 v14, 30, v14
	s_delay_alu instid0(VALU_DEP_1) | instskip(SKIP_1) | instid1(VALU_DEP_1)
	v_fma_f32 v23, v23, v27, 1.0
	v_fmaak_f32 v24, v21, v24, 0xbe2aaa9d
	v_dual_fmaak_f32 v25, s8, v21, 0xbab64f3b :: v_dual_mul_f32 v24, v21, v24
	s_delay_alu instid0(VALU_DEP_1) | instskip(NEXT) | instid1(VALU_DEP_1)
	v_dual_fmaak_f32 v25, v21, v25, 0x3d2aabf7 :: v_dual_fmac_f32 v18, v18, v24
	v_fmaak_f32 v25, v21, v25, 0xbf000004
	s_delay_alu instid0(VALU_DEP_1) | instskip(NEXT) | instid1(VALU_DEP_1)
	v_fma_f32 v21, v21, v25, 1.0
	v_cndmask_b32_e32 v18, v21, v18, vcc_lo
	v_mul_f32_e32 v21, v1, v1
	v_cmp_eq_u32_e32 vcc_lo, 0, v28
	s_delay_alu instid0(VALU_DEP_3) | instskip(SKIP_1) | instid1(VALU_DEP_4)
	v_xor3_b32 v16, v16, v19, v18
	v_fmaak_f32 v19, v29, v22, 0xbe2aaa9d
	v_fmaak_f32 v22, s7, v21, 0x3c0881c4
	v_cndmask_b32_e32 v13, v23, v13, vcc_lo
	s_delay_alu instid0(VALU_DEP_3) | instskip(SKIP_1) | instid1(VALU_DEP_4)
	v_dual_fmaak_f32 v18, s8, v29, 0xbab64f3b :: v_dual_mul_f32 v19, v29, v19
	v_fmaak_f32 v23, s8, v21, 0xbab64f3b
	v_fmaak_f32 v22, v21, v22, 0xbe2aaa9d
	s_delay_alu instid0(VALU_DEP_3) | instskip(NEXT) | instid1(VALU_DEP_4)
	v_fmaak_f32 v18, v29, v18, 0x3d2aabf7
	v_fmac_f32_e32 v10, v10, v19
	s_delay_alu instid0(VALU_DEP_4) | instskip(NEXT) | instid1(VALU_DEP_4)
	v_fmaak_f32 v23, v21, v23, 0x3d2aabf7
	v_mul_f32_e32 v19, v21, v22
	s_delay_alu instid0(VALU_DEP_1) | instskip(NEXT) | instid1(VALU_DEP_3)
	v_dual_fmac_f32 v1, v1, v19 :: v_dual_and_b32 v14, 0x80000000, v14
	v_fmaak_f32 v22, v21, v23, 0xbf000004
	v_and_b32_e32 v23, 1, v11
	v_dual_fmaak_f32 v18, v29, v18, 0xbf000004 :: v_dual_lshlrev_b32 v11, 30, v11
	s_delay_alu instid0(VALU_DEP_4) | instskip(NEXT) | instid1(VALU_DEP_4)
	v_xor3_b32 v12, v12, v14, v13
	v_fma_f32 v19, v21, v22, 1.0
	v_and_b32_e32 v21, 1, v20
	v_cmp_eq_u32_e32 vcc_lo, 0, v23
	v_fma_f32 v18, v29, v18, 1.0
	v_lshlrev_b32_e32 v20, 30, v20
	s_delay_alu instid0(VALU_DEP_2) | instskip(SKIP_1) | instid1(VALU_DEP_3)
	v_dual_cndmask_b32 v10, v18, v10 :: v_dual_and_b32 v11, 0x80000000, v11
	v_cmp_eq_u32_e32 vcc_lo, 0, v21
	v_and_b32_e32 v18, 0x80000000, v20
	s_delay_alu instid0(VALU_DEP_3) | instskip(SKIP_2) | instid1(VALU_DEP_2)
	v_xor3_b32 v9, v9, v11, v10
	v_cndmask_b32_e32 v1, v19, v1, vcc_lo
	v_cmp_class_f32_e64 vcc_lo, v15, 0x1f8
	v_xor3_b32 v1, v17, v18, v1
	v_cndmask_b32_e32 v13, 0x7fc00000, v16, vcc_lo
	v_cmp_class_f32_e64 vcc_lo, v7, 0x1f8
	v_cndmask_b32_e32 v7, 0x7fc00000, v12, vcc_lo
	v_cmp_class_f32_e64 vcc_lo, v8, 0x1f8
	s_delay_alu instid0(VALU_DEP_4) | instskip(NEXT) | instid1(VALU_DEP_3)
	v_cvt_f16_f32_e32 v8, v13
	v_cvt_f16_f32_e32 v7, v7
	v_cndmask_b32_e32 v1, 0x7fc00000, v1, vcc_lo
	v_cmp_class_f32_e64 vcc_lo, v0, 0x1f8
	s_delay_alu instid0(VALU_DEP_2) | instskip(SKIP_2) | instid1(VALU_DEP_3)
	v_cvt_f16_f32_e32 v1, v1
	v_cndmask_b32_e32 v0, 0x7fc00000, v9, vcc_lo
	v_cmp_le_i64_e32 vcc_lo, s[10:11], v[5:6]
	v_pack_b32_f16 v1, v8, v1
	s_delay_alu instid0(VALU_DEP_3) | instskip(SKIP_2) | instid1(VALU_DEP_2)
	v_cvt_f16_f32_e32 v0, v0
	s_or_b32 s0, vcc_lo, s0
	v_add_co_u32 v5, vcc_lo, v5, s4
	v_pack_b32_f16 v0, v0, v7
	v_add_co_ci_u32_e32 v6, vcc_lo, 0, v6, vcc_lo
	s_and_b32 s0, exec_lo, s0
	global_store_b64 v[3:4], v[0:1], off offset:-4
	v_add_co_u32 v3, vcc_lo, v3, s5
	v_add_co_ci_u32_e32 v4, vcc_lo, 0, v4, vcc_lo
	s_or_b32 s3, s0, s3
	s_delay_alu instid0(SALU_CYCLE_1)
	s_and_not1_b32 exec_lo, exec_lo, s3
	s_cbranch_execz .LBB116_57
.LBB116_41:                             ; =>This Inner Loop Header: Depth=1
	global_load_b64 v[7:8], v[3:4], off offset:-4
                                        ; implicit-def: $vgpr11
                                        ; implicit-def: $vgpr10
	s_mov_b32 s1, exec_lo
	s_waitcnt vmcnt(0)
	v_cvt_f32_f16_e32 v0, v7
	s_delay_alu instid0(VALU_DEP_1)
	v_and_b32_e32 v9, 0x7fffffff, v0
	v_cmpx_ngt_f32_e64 0x48000000, |v0|
	s_xor_b32 s9, exec_lo, s1
	s_cbranch_execz .LBB116_43
; %bb.42:                               ;   in Loop: Header=BB116_41 Depth=1
	s_delay_alu instid0(VALU_DEP_2) | instskip(SKIP_1) | instid1(VALU_DEP_2)
	v_and_or_b32 v18, v9, s6, 0x800000
	v_lshrrev_b32_e32 v15, 23, v9
	v_mad_u64_u32 v[10:11], null, 0xfe5163ab, v18, 0
	s_delay_alu instid0(VALU_DEP_2) | instskip(NEXT) | instid1(VALU_DEP_1)
	v_add_nc_u32_e32 v16, 0xffffff88, v15
	v_cmp_lt_u32_e32 vcc_lo, 63, v16
	s_delay_alu instid0(VALU_DEP_3) | instskip(SKIP_1) | instid1(VALU_DEP_2)
	v_mov_b32_e32 v1, v11
	v_cndmask_b32_e64 v17, 0, 0xffffffc0, vcc_lo
	v_mad_u64_u32 v[11:12], null, 0x3c439041, v18, v[1:2]
	s_delay_alu instid0(VALU_DEP_2) | instskip(NEXT) | instid1(VALU_DEP_2)
	v_add_nc_u32_e32 v17, v17, v16
	v_mov_b32_e32 v1, v12
	s_delay_alu instid0(VALU_DEP_2) | instskip(NEXT) | instid1(VALU_DEP_2)
	v_cmp_lt_u32_e64 s0, 31, v17
	v_mad_u64_u32 v[12:13], null, 0xdb629599, v18, v[1:2]
	s_delay_alu instid0(VALU_DEP_2) | instskip(NEXT) | instid1(VALU_DEP_1)
	v_cndmask_b32_e64 v19, 0, 0xffffffe0, s0
	v_add_nc_u32_e32 v19, v19, v17
	s_delay_alu instid0(VALU_DEP_3) | instskip(NEXT) | instid1(VALU_DEP_2)
	v_dual_mov_b32 v1, v13 :: v_dual_cndmask_b32 v10, v12, v10
	v_cmp_lt_u32_e64 s1, 31, v19
	s_delay_alu instid0(VALU_DEP_2) | instskip(NEXT) | instid1(VALU_DEP_1)
	v_mad_u64_u32 v[13:14], null, 0xf534ddc0, v18, v[1:2]
	v_mov_b32_e32 v1, v14
	s_delay_alu instid0(VALU_DEP_2) | instskip(NEXT) | instid1(VALU_DEP_2)
	v_cndmask_b32_e32 v11, v13, v11, vcc_lo
	v_mad_u64_u32 v[14:15], null, 0xfc2757d1, v18, v[1:2]
	s_delay_alu instid0(VALU_DEP_2) | instskip(NEXT) | instid1(VALU_DEP_2)
	v_cndmask_b32_e64 v10, v11, v10, s0
	v_mov_b32_e32 v1, v15
	s_delay_alu instid0(VALU_DEP_1) | instskip(NEXT) | instid1(VALU_DEP_1)
	v_mad_u64_u32 v[15:16], null, 0x4e441529, v18, v[1:2]
	v_mov_b32_e32 v1, v16
	s_delay_alu instid0(VALU_DEP_1) | instskip(SKIP_1) | instid1(VALU_DEP_1)
	v_mad_u64_u32 v[16:17], null, 0xa2f9836e, v18, v[1:2]
	v_cndmask_b32_e64 v1, 0, 0xffffffe0, s1
	v_dual_cndmask_b32 v18, v15, v13 :: v_dual_add_nc_u32 v1, v1, v19
	s_delay_alu instid0(VALU_DEP_3) | instskip(SKIP_1) | instid1(VALU_DEP_3)
	v_dual_cndmask_b32 v16, v16, v14 :: v_dual_cndmask_b32 v15, v17, v15
	v_cndmask_b32_e32 v14, v14, v12, vcc_lo
	v_sub_nc_u32_e32 v17, 32, v1
	s_delay_alu instid0(VALU_DEP_3) | instskip(NEXT) | instid1(VALU_DEP_4)
	v_cndmask_b32_e64 v13, v16, v18, s0
	v_cndmask_b32_e64 v15, v15, v16, s0
	s_delay_alu instid0(VALU_DEP_4) | instskip(SKIP_2) | instid1(VALU_DEP_4)
	v_cndmask_b32_e64 v16, v18, v14, s0
	v_cndmask_b32_e64 v14, v14, v11, s0
	v_cmp_eq_u32_e64 s2, 0, v1
	v_cndmask_b32_e64 v15, v15, v13, s1
	s_delay_alu instid0(VALU_DEP_4) | instskip(NEXT) | instid1(VALU_DEP_4)
	v_cndmask_b32_e64 v13, v13, v16, s1
	v_cndmask_b32_e64 v16, v16, v14, s1
	;; [unrolled: 1-line block ×3, first 2 shown]
	s_delay_alu instid0(VALU_DEP_3) | instskip(NEXT) | instid1(VALU_DEP_3)
	v_alignbit_b32 v18, v15, v13, v17
	v_alignbit_b32 v19, v13, v16, v17
	s_delay_alu instid0(VALU_DEP_3) | instskip(NEXT) | instid1(VALU_DEP_3)
	v_alignbit_b32 v17, v16, v10, v17
	v_cndmask_b32_e64 v1, v18, v15, s2
	s_delay_alu instid0(VALU_DEP_3) | instskip(NEXT) | instid1(VALU_DEP_3)
	v_cndmask_b32_e64 v12, v19, v13, s2
	v_cndmask_b32_e64 v16, v17, v16, s2
	s_delay_alu instid0(VALU_DEP_3) | instskip(NEXT) | instid1(VALU_DEP_3)
	v_bfe_u32 v13, v1, 29, 1
	v_alignbit_b32 v11, v1, v12, 30
	s_delay_alu instid0(VALU_DEP_3) | instskip(SKIP_1) | instid1(VALU_DEP_4)
	v_alignbit_b32 v12, v12, v16, 30
	v_alignbit_b32 v10, v16, v10, 30
	v_sub_nc_u32_e32 v15, 0, v13
	s_delay_alu instid0(VALU_DEP_1) | instskip(SKIP_3) | instid1(VALU_DEP_4)
	v_xor_b32_e32 v14, v11, v15
	v_cmp_ne_u32_e32 vcc_lo, v11, v15
	v_xor_b32_e32 v12, v12, v15
	v_xor_b32_e32 v10, v10, v15
	v_clz_i32_u32_e32 v18, v14
	s_delay_alu instid0(VALU_DEP_1) | instskip(NEXT) | instid1(VALU_DEP_1)
	v_add_nc_u32_e32 v17, 1, v18
	v_cndmask_b32_e32 v11, 33, v17, vcc_lo
	s_delay_alu instid0(VALU_DEP_1) | instskip(NEXT) | instid1(VALU_DEP_1)
	v_sub_nc_u32_e32 v16, 32, v11
	v_alignbit_b32 v14, v14, v12, v16
	v_alignbit_b32 v10, v12, v10, v16
	v_lshrrev_b32_e32 v12, 29, v1
	v_lshrrev_b32_e32 v1, 30, v1
	s_delay_alu instid0(VALU_DEP_3) | instskip(NEXT) | instid1(VALU_DEP_3)
	v_alignbit_b32 v15, v14, v10, 9
	v_lshlrev_b32_e32 v12, 31, v12
	v_alignbit_b32 v14, v11, v14, 9
	s_delay_alu instid0(VALU_DEP_3) | instskip(NEXT) | instid1(VALU_DEP_2)
	v_clz_i32_u32_e32 v16, v15
	v_or_b32_e32 v14, v14, v12
	v_or_b32_e32 v12, 0x33800000, v12
	s_delay_alu instid0(VALU_DEP_3) | instskip(NEXT) | instid1(VALU_DEP_3)
	v_min_u32_e32 v16, 32, v16
	v_xor_b32_e32 v14, 1.0, v14
	s_delay_alu instid0(VALU_DEP_2) | instskip(SKIP_1) | instid1(VALU_DEP_3)
	v_sub_nc_u32_e32 v17, 31, v16
	v_add_lshl_u32 v11, v16, v11, 23
	v_mul_f32_e32 v16, 0x3fc90fda, v14
	s_delay_alu instid0(VALU_DEP_3) | instskip(NEXT) | instid1(VALU_DEP_3)
	v_alignbit_b32 v10, v15, v10, v17
	v_sub_nc_u32_e32 v11, v12, v11
	s_delay_alu instid0(VALU_DEP_3) | instskip(NEXT) | instid1(VALU_DEP_3)
	v_fma_f32 v12, 0x3fc90fda, v14, -v16
	v_lshrrev_b32_e32 v10, 9, v10
	s_delay_alu instid0(VALU_DEP_2) | instskip(NEXT) | instid1(VALU_DEP_2)
	v_fmac_f32_e32 v12, 0x33a22168, v14
	v_or_b32_e32 v10, v11, v10
	s_delay_alu instid0(VALU_DEP_1) | instskip(NEXT) | instid1(VALU_DEP_1)
	v_dual_fmac_f32 v12, 0x3fc90fda, v10 :: v_dual_add_nc_u32 v11, v13, v1
	v_add_f32_e32 v10, v16, v12
.LBB116_43:                             ;   in Loop: Header=BB116_41 Depth=1
	s_and_not1_saveexec_b32 s0, s9
; %bb.44:                               ;   in Loop: Header=BB116_41 Depth=1
	v_mul_f32_e64 v1, 0x3f22f983, |v0|
	s_delay_alu instid0(VALU_DEP_1) | instskip(NEXT) | instid1(VALU_DEP_1)
	v_rndne_f32_e32 v1, v1
	v_fma_f32 v10, 0xbfc90fda, v1, |v0|
	v_cvt_i32_f32_e32 v11, v1
	s_delay_alu instid0(VALU_DEP_2) | instskip(NEXT) | instid1(VALU_DEP_1)
	v_fmac_f32_e32 v10, 0xb3a22168, v1
	v_fmac_f32_e32 v10, 0xa7c234c4, v1
; %bb.45:                               ;   in Loop: Header=BB116_41 Depth=1
	s_or_b32 exec_lo, exec_lo, s0
	v_lshrrev_b32_e32 v1, 16, v7
                                        ; implicit-def: $vgpr14
                                        ; implicit-def: $vgpr13
	s_mov_b32 s1, exec_lo
	s_delay_alu instid0(VALU_DEP_1) | instskip(NEXT) | instid1(VALU_DEP_1)
	v_cvt_f32_f16_e32 v7, v1
	v_and_b32_e32 v12, 0x7fffffff, v7
	v_cmpx_ngt_f32_e64 0x48000000, |v7|
	s_xor_b32 s9, exec_lo, s1
	s_cbranch_execz .LBB116_47
; %bb.46:                               ;   in Loop: Header=BB116_41 Depth=1
	s_delay_alu instid0(VALU_DEP_2) | instskip(SKIP_1) | instid1(VALU_DEP_2)
	v_lshrrev_b32_e32 v18, 23, v12
	v_and_or_b32 v21, v12, s6, 0x800000
	v_add_nc_u32_e32 v19, 0xffffff88, v18
	s_delay_alu instid0(VALU_DEP_2) | instskip(NEXT) | instid1(VALU_DEP_2)
	v_mad_u64_u32 v[13:14], null, 0xfe5163ab, v21, 0
	v_cmp_lt_u32_e32 vcc_lo, 63, v19
	v_cndmask_b32_e64 v20, 0, 0xffffffc0, vcc_lo
	s_delay_alu instid0(VALU_DEP_1) | instskip(NEXT) | instid1(VALU_DEP_1)
	v_dual_mov_b32 v1, v14 :: v_dual_add_nc_u32 v20, v20, v19
	v_mad_u64_u32 v[14:15], null, 0x3c439041, v21, v[1:2]
	s_delay_alu instid0(VALU_DEP_2) | instskip(NEXT) | instid1(VALU_DEP_1)
	v_cmp_lt_u32_e64 s0, 31, v20
	v_cndmask_b32_e64 v22, 0, 0xffffffe0, s0
	s_delay_alu instid0(VALU_DEP_1) | instskip(NEXT) | instid1(VALU_DEP_1)
	v_dual_mov_b32 v1, v15 :: v_dual_add_nc_u32 v22, v22, v20
	v_mad_u64_u32 v[15:16], null, 0xdb629599, v21, v[1:2]
	s_delay_alu instid0(VALU_DEP_2) | instskip(NEXT) | instid1(VALU_DEP_2)
	v_cmp_lt_u32_e64 s1, 31, v22
	v_mov_b32_e32 v1, v16
	s_delay_alu instid0(VALU_DEP_3) | instskip(NEXT) | instid1(VALU_DEP_2)
	v_cndmask_b32_e32 v13, v15, v13, vcc_lo
	v_mad_u64_u32 v[16:17], null, 0xf534ddc0, v21, v[1:2]
	s_delay_alu instid0(VALU_DEP_1) | instskip(NEXT) | instid1(VALU_DEP_1)
	v_dual_mov_b32 v1, v17 :: v_dual_cndmask_b32 v14, v16, v14
	v_mad_u64_u32 v[17:18], null, 0xfc2757d1, v21, v[1:2]
	s_delay_alu instid0(VALU_DEP_2) | instskip(NEXT) | instid1(VALU_DEP_2)
	v_cndmask_b32_e64 v13, v14, v13, s0
	v_mov_b32_e32 v1, v18
	s_delay_alu instid0(VALU_DEP_1) | instskip(NEXT) | instid1(VALU_DEP_1)
	v_mad_u64_u32 v[18:19], null, 0x4e441529, v21, v[1:2]
	v_mov_b32_e32 v1, v19
	s_delay_alu instid0(VALU_DEP_1) | instskip(SKIP_1) | instid1(VALU_DEP_4)
	v_mad_u64_u32 v[19:20], null, 0xa2f9836e, v21, v[1:2]
	v_cndmask_b32_e64 v1, 0, 0xffffffe0, s1
	v_cndmask_b32_e32 v21, v18, v16, vcc_lo
	s_delay_alu instid0(VALU_DEP_2) | instskip(NEXT) | instid1(VALU_DEP_4)
	v_add_nc_u32_e32 v1, v1, v22
	v_dual_cndmask_b32 v19, v19, v17 :: v_dual_cndmask_b32 v18, v20, v18
	v_cndmask_b32_e32 v17, v17, v15, vcc_lo
	s_delay_alu instid0(VALU_DEP_3) | instskip(NEXT) | instid1(VALU_DEP_3)
	v_sub_nc_u32_e32 v20, 32, v1
	v_cndmask_b32_e64 v16, v19, v21, s0
	s_delay_alu instid0(VALU_DEP_4) | instskip(NEXT) | instid1(VALU_DEP_4)
	v_cndmask_b32_e64 v18, v18, v19, s0
	v_cndmask_b32_e64 v19, v21, v17, s0
	;; [unrolled: 1-line block ×3, first 2 shown]
	v_cmp_eq_u32_e64 s2, 0, v1
	s_delay_alu instid0(VALU_DEP_4) | instskip(NEXT) | instid1(VALU_DEP_4)
	v_cndmask_b32_e64 v18, v18, v16, s1
	v_cndmask_b32_e64 v16, v16, v19, s1
	s_delay_alu instid0(VALU_DEP_4) | instskip(SKIP_1) | instid1(VALU_DEP_3)
	v_cndmask_b32_e64 v19, v19, v17, s1
	v_cndmask_b32_e64 v13, v17, v13, s1
	v_alignbit_b32 v21, v18, v16, v20
	s_delay_alu instid0(VALU_DEP_3) | instskip(NEXT) | instid1(VALU_DEP_3)
	v_alignbit_b32 v22, v16, v19, v20
	v_alignbit_b32 v20, v19, v13, v20
	s_delay_alu instid0(VALU_DEP_3) | instskip(NEXT) | instid1(VALU_DEP_3)
	v_cndmask_b32_e64 v1, v21, v18, s2
	v_cndmask_b32_e64 v15, v22, v16, s2
	s_delay_alu instid0(VALU_DEP_3) | instskip(NEXT) | instid1(VALU_DEP_3)
	v_cndmask_b32_e64 v19, v20, v19, s2
	v_bfe_u32 v16, v1, 29, 1
	s_delay_alu instid0(VALU_DEP_3) | instskip(NEXT) | instid1(VALU_DEP_3)
	v_alignbit_b32 v14, v1, v15, 30
	v_alignbit_b32 v15, v15, v19, 30
	;; [unrolled: 1-line block ×3, first 2 shown]
	s_delay_alu instid0(VALU_DEP_4) | instskip(NEXT) | instid1(VALU_DEP_1)
	v_sub_nc_u32_e32 v18, 0, v16
	v_xor_b32_e32 v17, v14, v18
	v_cmp_ne_u32_e32 vcc_lo, v14, v18
	v_xor_b32_e32 v15, v15, v18
	v_xor_b32_e32 v13, v13, v18
	s_delay_alu instid0(VALU_DEP_4) | instskip(NEXT) | instid1(VALU_DEP_1)
	v_clz_i32_u32_e32 v21, v17
	v_add_nc_u32_e32 v20, 1, v21
	s_delay_alu instid0(VALU_DEP_1) | instskip(NEXT) | instid1(VALU_DEP_1)
	v_cndmask_b32_e32 v14, 33, v20, vcc_lo
	v_sub_nc_u32_e32 v19, 32, v14
	s_delay_alu instid0(VALU_DEP_1) | instskip(SKIP_3) | instid1(VALU_DEP_3)
	v_alignbit_b32 v17, v17, v15, v19
	v_alignbit_b32 v13, v15, v13, v19
	v_lshrrev_b32_e32 v15, 29, v1
	v_lshrrev_b32_e32 v1, 30, v1
	v_alignbit_b32 v18, v17, v13, 9
	s_delay_alu instid0(VALU_DEP_3) | instskip(SKIP_1) | instid1(VALU_DEP_3)
	v_lshlrev_b32_e32 v15, 31, v15
	v_alignbit_b32 v17, v14, v17, 9
	v_clz_i32_u32_e32 v19, v18
	s_delay_alu instid0(VALU_DEP_2) | instskip(SKIP_1) | instid1(VALU_DEP_3)
	v_or_b32_e32 v17, v17, v15
	v_or_b32_e32 v15, 0x33800000, v15
	v_min_u32_e32 v19, 32, v19
	s_delay_alu instid0(VALU_DEP_3) | instskip(NEXT) | instid1(VALU_DEP_2)
	v_xor_b32_e32 v17, 1.0, v17
	v_sub_nc_u32_e32 v20, 31, v19
	v_add_lshl_u32 v14, v19, v14, 23
	s_delay_alu instid0(VALU_DEP_3) | instskip(NEXT) | instid1(VALU_DEP_3)
	v_mul_f32_e32 v19, 0x3fc90fda, v17
	v_alignbit_b32 v13, v18, v13, v20
	s_delay_alu instid0(VALU_DEP_3) | instskip(NEXT) | instid1(VALU_DEP_3)
	v_sub_nc_u32_e32 v14, v15, v14
	v_fma_f32 v15, 0x3fc90fda, v17, -v19
	s_delay_alu instid0(VALU_DEP_3) | instskip(NEXT) | instid1(VALU_DEP_2)
	v_lshrrev_b32_e32 v13, 9, v13
	v_fmac_f32_e32 v15, 0x33a22168, v17
	s_delay_alu instid0(VALU_DEP_2) | instskip(SKIP_1) | instid1(VALU_DEP_2)
	v_or_b32_e32 v13, v14, v13
	v_add_nc_u32_e32 v14, v16, v1
	v_fmac_f32_e32 v15, 0x3fc90fda, v13
	s_delay_alu instid0(VALU_DEP_1)
	v_add_f32_e32 v13, v19, v15
.LBB116_47:                             ;   in Loop: Header=BB116_41 Depth=1
	s_and_not1_saveexec_b32 s0, s9
; %bb.48:                               ;   in Loop: Header=BB116_41 Depth=1
	v_mul_f32_e64 v1, 0x3f22f983, |v7|
	s_delay_alu instid0(VALU_DEP_1) | instskip(NEXT) | instid1(VALU_DEP_1)
	v_rndne_f32_e32 v1, v1
	v_fma_f32 v13, 0xbfc90fda, v1, |v7|
	v_cvt_i32_f32_e32 v14, v1
	s_delay_alu instid0(VALU_DEP_2) | instskip(NEXT) | instid1(VALU_DEP_1)
	v_fmac_f32_e32 v13, 0xb3a22168, v1
	v_fmac_f32_e32 v13, 0xa7c234c4, v1
; %bb.49:                               ;   in Loop: Header=BB116_41 Depth=1
	s_or_b32 exec_lo, exec_lo, s0
	v_cvt_f32_f16_e32 v15, v8
                                        ; implicit-def: $vgpr19
                                        ; implicit-def: $vgpr18
	s_mov_b32 s1, exec_lo
	s_delay_alu instid0(VALU_DEP_1)
	v_and_b32_e32 v16, 0x7fffffff, v15
	v_cmpx_ngt_f32_e64 0x48000000, |v15|
	s_xor_b32 s9, exec_lo, s1
	s_cbranch_execz .LBB116_51
; %bb.50:                               ;   in Loop: Header=BB116_41 Depth=1
	s_delay_alu instid0(VALU_DEP_2) | instskip(SKIP_1) | instid1(VALU_DEP_2)
	v_lshrrev_b32_e32 v22, 23, v16
	v_and_or_b32 v25, v16, s6, 0x800000
	v_add_nc_u32_e32 v23, 0xffffff88, v22
	s_delay_alu instid0(VALU_DEP_2) | instskip(NEXT) | instid1(VALU_DEP_2)
	v_mad_u64_u32 v[17:18], null, 0xfe5163ab, v25, 0
	v_cmp_lt_u32_e32 vcc_lo, 63, v23
	v_cndmask_b32_e64 v24, 0, 0xffffffc0, vcc_lo
	s_delay_alu instid0(VALU_DEP_1) | instskip(NEXT) | instid1(VALU_DEP_1)
	v_dual_mov_b32 v1, v18 :: v_dual_add_nc_u32 v24, v24, v23
	v_mad_u64_u32 v[18:19], null, 0x3c439041, v25, v[1:2]
	s_delay_alu instid0(VALU_DEP_2) | instskip(NEXT) | instid1(VALU_DEP_1)
	v_cmp_lt_u32_e64 s0, 31, v24
	v_cndmask_b32_e64 v26, 0, 0xffffffe0, s0
	s_delay_alu instid0(VALU_DEP_1) | instskip(NEXT) | instid1(VALU_DEP_1)
	v_dual_mov_b32 v1, v19 :: v_dual_add_nc_u32 v26, v26, v24
	v_mad_u64_u32 v[19:20], null, 0xdb629599, v25, v[1:2]
	s_delay_alu instid0(VALU_DEP_2) | instskip(NEXT) | instid1(VALU_DEP_2)
	v_cmp_lt_u32_e64 s1, 31, v26
	v_mov_b32_e32 v1, v20
	s_delay_alu instid0(VALU_DEP_3) | instskip(NEXT) | instid1(VALU_DEP_2)
	v_cndmask_b32_e32 v17, v19, v17, vcc_lo
	v_mad_u64_u32 v[20:21], null, 0xf534ddc0, v25, v[1:2]
	s_delay_alu instid0(VALU_DEP_1) | instskip(NEXT) | instid1(VALU_DEP_1)
	v_dual_mov_b32 v1, v21 :: v_dual_cndmask_b32 v18, v20, v18
	v_mad_u64_u32 v[21:22], null, 0xfc2757d1, v25, v[1:2]
	s_delay_alu instid0(VALU_DEP_2) | instskip(NEXT) | instid1(VALU_DEP_2)
	v_cndmask_b32_e64 v17, v18, v17, s0
	v_mov_b32_e32 v1, v22
	s_delay_alu instid0(VALU_DEP_1) | instskip(NEXT) | instid1(VALU_DEP_1)
	v_mad_u64_u32 v[22:23], null, 0x4e441529, v25, v[1:2]
	v_mov_b32_e32 v1, v23
	s_delay_alu instid0(VALU_DEP_1) | instskip(SKIP_1) | instid1(VALU_DEP_4)
	v_mad_u64_u32 v[23:24], null, 0xa2f9836e, v25, v[1:2]
	v_cndmask_b32_e64 v1, 0, 0xffffffe0, s1
	v_cndmask_b32_e32 v25, v22, v20, vcc_lo
	s_delay_alu instid0(VALU_DEP_2) | instskip(NEXT) | instid1(VALU_DEP_4)
	v_add_nc_u32_e32 v1, v1, v26
	v_dual_cndmask_b32 v23, v23, v21 :: v_dual_cndmask_b32 v22, v24, v22
	v_cndmask_b32_e32 v21, v21, v19, vcc_lo
	s_delay_alu instid0(VALU_DEP_3) | instskip(NEXT) | instid1(VALU_DEP_3)
	v_sub_nc_u32_e32 v24, 32, v1
	v_cndmask_b32_e64 v20, v23, v25, s0
	s_delay_alu instid0(VALU_DEP_4) | instskip(NEXT) | instid1(VALU_DEP_4)
	v_cndmask_b32_e64 v22, v22, v23, s0
	v_cndmask_b32_e64 v23, v25, v21, s0
	;; [unrolled: 1-line block ×3, first 2 shown]
	v_cmp_eq_u32_e64 s2, 0, v1
	s_delay_alu instid0(VALU_DEP_4) | instskip(NEXT) | instid1(VALU_DEP_4)
	v_cndmask_b32_e64 v22, v22, v20, s1
	v_cndmask_b32_e64 v20, v20, v23, s1
	s_delay_alu instid0(VALU_DEP_4) | instskip(SKIP_1) | instid1(VALU_DEP_3)
	v_cndmask_b32_e64 v23, v23, v21, s1
	v_cndmask_b32_e64 v17, v21, v17, s1
	v_alignbit_b32 v25, v22, v20, v24
	s_delay_alu instid0(VALU_DEP_3) | instskip(NEXT) | instid1(VALU_DEP_3)
	v_alignbit_b32 v26, v20, v23, v24
	v_alignbit_b32 v24, v23, v17, v24
	s_delay_alu instid0(VALU_DEP_3) | instskip(NEXT) | instid1(VALU_DEP_3)
	v_cndmask_b32_e64 v1, v25, v22, s2
	v_cndmask_b32_e64 v19, v26, v20, s2
	s_delay_alu instid0(VALU_DEP_3) | instskip(NEXT) | instid1(VALU_DEP_3)
	v_cndmask_b32_e64 v23, v24, v23, s2
	v_bfe_u32 v20, v1, 29, 1
	s_delay_alu instid0(VALU_DEP_3) | instskip(NEXT) | instid1(VALU_DEP_3)
	v_alignbit_b32 v18, v1, v19, 30
	v_alignbit_b32 v19, v19, v23, 30
	;; [unrolled: 1-line block ×3, first 2 shown]
	s_delay_alu instid0(VALU_DEP_4) | instskip(NEXT) | instid1(VALU_DEP_1)
	v_sub_nc_u32_e32 v22, 0, v20
	v_xor_b32_e32 v21, v18, v22
	v_cmp_ne_u32_e32 vcc_lo, v18, v22
	v_xor_b32_e32 v19, v19, v22
	v_xor_b32_e32 v17, v17, v22
	s_delay_alu instid0(VALU_DEP_4) | instskip(NEXT) | instid1(VALU_DEP_1)
	v_clz_i32_u32_e32 v25, v21
	v_add_nc_u32_e32 v24, 1, v25
	s_delay_alu instid0(VALU_DEP_1) | instskip(NEXT) | instid1(VALU_DEP_1)
	v_cndmask_b32_e32 v18, 33, v24, vcc_lo
	v_sub_nc_u32_e32 v23, 32, v18
	s_delay_alu instid0(VALU_DEP_1) | instskip(SKIP_3) | instid1(VALU_DEP_3)
	v_alignbit_b32 v21, v21, v19, v23
	v_alignbit_b32 v17, v19, v17, v23
	v_lshrrev_b32_e32 v19, 29, v1
	v_lshrrev_b32_e32 v1, 30, v1
	v_alignbit_b32 v22, v21, v17, 9
	s_delay_alu instid0(VALU_DEP_3) | instskip(SKIP_1) | instid1(VALU_DEP_3)
	v_lshlrev_b32_e32 v19, 31, v19
	v_alignbit_b32 v21, v18, v21, 9
	v_clz_i32_u32_e32 v23, v22
	s_delay_alu instid0(VALU_DEP_2) | instskip(SKIP_1) | instid1(VALU_DEP_3)
	v_or_b32_e32 v21, v21, v19
	v_or_b32_e32 v19, 0x33800000, v19
	v_min_u32_e32 v23, 32, v23
	s_delay_alu instid0(VALU_DEP_3) | instskip(NEXT) | instid1(VALU_DEP_2)
	v_xor_b32_e32 v21, 1.0, v21
	v_sub_nc_u32_e32 v24, 31, v23
	v_add_lshl_u32 v18, v23, v18, 23
	s_delay_alu instid0(VALU_DEP_3) | instskip(NEXT) | instid1(VALU_DEP_3)
	v_mul_f32_e32 v23, 0x3fc90fda, v21
	v_alignbit_b32 v17, v22, v17, v24
	s_delay_alu instid0(VALU_DEP_3) | instskip(NEXT) | instid1(VALU_DEP_3)
	v_sub_nc_u32_e32 v18, v19, v18
	v_fma_f32 v19, 0x3fc90fda, v21, -v23
	s_delay_alu instid0(VALU_DEP_3) | instskip(NEXT) | instid1(VALU_DEP_2)
	v_lshrrev_b32_e32 v17, 9, v17
	v_fmac_f32_e32 v19, 0x33a22168, v21
	s_delay_alu instid0(VALU_DEP_2) | instskip(NEXT) | instid1(VALU_DEP_1)
	v_or_b32_e32 v17, v18, v17
	v_fmac_f32_e32 v19, 0x3fc90fda, v17
	s_delay_alu instid0(VALU_DEP_1)
	v_dual_add_f32 v18, v23, v19 :: v_dual_add_nc_u32 v19, v20, v1
.LBB116_51:                             ;   in Loop: Header=BB116_41 Depth=1
	s_and_not1_saveexec_b32 s0, s9
; %bb.52:                               ;   in Loop: Header=BB116_41 Depth=1
	v_mul_f32_e64 v1, 0x3f22f983, |v15|
	s_delay_alu instid0(VALU_DEP_1) | instskip(NEXT) | instid1(VALU_DEP_1)
	v_rndne_f32_e32 v1, v1
	v_fma_f32 v18, 0xbfc90fda, v1, |v15|
	v_cvt_i32_f32_e32 v19, v1
	s_delay_alu instid0(VALU_DEP_2) | instskip(NEXT) | instid1(VALU_DEP_1)
	v_fmac_f32_e32 v18, 0xb3a22168, v1
	v_fmac_f32_e32 v18, 0xa7c234c4, v1
; %bb.53:                               ;   in Loop: Header=BB116_41 Depth=1
	s_or_b32 exec_lo, exec_lo, s0
	v_lshrrev_b32_e32 v1, 16, v8
                                        ; implicit-def: $vgpr20
	s_mov_b32 s1, exec_lo
	s_delay_alu instid0(VALU_DEP_1) | instskip(NEXT) | instid1(VALU_DEP_1)
	v_cvt_f32_f16_e32 v8, v1
                                        ; implicit-def: $vgpr1
	v_and_b32_e32 v17, 0x7fffffff, v8
	v_cmpx_ngt_f32_e64 0x48000000, |v8|
	s_xor_b32 s9, exec_lo, s1
	s_cbranch_execz .LBB116_55
; %bb.54:                               ;   in Loop: Header=BB116_41 Depth=1
	s_delay_alu instid0(VALU_DEP_2) | instskip(SKIP_1) | instid1(VALU_DEP_2)
	v_and_or_b32 v28, v17, s6, 0x800000
	v_lshrrev_b32_e32 v25, 23, v17
	v_mad_u64_u32 v[20:21], null, 0xfe5163ab, v28, 0
	s_delay_alu instid0(VALU_DEP_2) | instskip(NEXT) | instid1(VALU_DEP_1)
	v_add_nc_u32_e32 v26, 0xffffff88, v25
	v_cmp_lt_u32_e32 vcc_lo, 63, v26
	s_delay_alu instid0(VALU_DEP_3) | instskip(SKIP_1) | instid1(VALU_DEP_2)
	v_mov_b32_e32 v1, v21
	v_cndmask_b32_e64 v27, 0, 0xffffffc0, vcc_lo
	v_mad_u64_u32 v[21:22], null, 0x3c439041, v28, v[1:2]
	s_delay_alu instid0(VALU_DEP_2) | instskip(NEXT) | instid1(VALU_DEP_2)
	v_add_nc_u32_e32 v27, v27, v26
	v_mov_b32_e32 v1, v22
	s_delay_alu instid0(VALU_DEP_2) | instskip(NEXT) | instid1(VALU_DEP_2)
	v_cmp_lt_u32_e64 s0, 31, v27
	v_mad_u64_u32 v[22:23], null, 0xdb629599, v28, v[1:2]
	s_delay_alu instid0(VALU_DEP_2) | instskip(NEXT) | instid1(VALU_DEP_1)
	v_cndmask_b32_e64 v29, 0, 0xffffffe0, s0
	v_add_nc_u32_e32 v29, v29, v27
	s_delay_alu instid0(VALU_DEP_3) | instskip(NEXT) | instid1(VALU_DEP_2)
	v_dual_mov_b32 v1, v23 :: v_dual_cndmask_b32 v20, v22, v20
	v_cmp_lt_u32_e64 s1, 31, v29
	s_delay_alu instid0(VALU_DEP_2) | instskip(NEXT) | instid1(VALU_DEP_1)
	v_mad_u64_u32 v[23:24], null, 0xf534ddc0, v28, v[1:2]
	v_mov_b32_e32 v1, v24
	s_delay_alu instid0(VALU_DEP_2) | instskip(NEXT) | instid1(VALU_DEP_2)
	v_cndmask_b32_e32 v21, v23, v21, vcc_lo
	v_mad_u64_u32 v[24:25], null, 0xfc2757d1, v28, v[1:2]
	s_delay_alu instid0(VALU_DEP_2) | instskip(NEXT) | instid1(VALU_DEP_2)
	v_cndmask_b32_e64 v20, v21, v20, s0
	v_mov_b32_e32 v1, v25
	s_delay_alu instid0(VALU_DEP_1) | instskip(NEXT) | instid1(VALU_DEP_1)
	v_mad_u64_u32 v[25:26], null, 0x4e441529, v28, v[1:2]
	v_mov_b32_e32 v1, v26
	s_delay_alu instid0(VALU_DEP_1) | instskip(SKIP_1) | instid1(VALU_DEP_4)
	v_mad_u64_u32 v[26:27], null, 0xa2f9836e, v28, v[1:2]
	v_cndmask_b32_e64 v1, 0, 0xffffffe0, s1
	v_cndmask_b32_e32 v28, v25, v23, vcc_lo
	s_delay_alu instid0(VALU_DEP_2) | instskip(NEXT) | instid1(VALU_DEP_4)
	v_dual_cndmask_b32 v26, v26, v24 :: v_dual_add_nc_u32 v1, v1, v29
	v_dual_cndmask_b32 v25, v27, v25 :: v_dual_cndmask_b32 v24, v24, v22
	s_delay_alu instid0(VALU_DEP_2) | instskip(NEXT) | instid1(VALU_DEP_3)
	v_sub_nc_u32_e32 v27, 32, v1
	v_cndmask_b32_e64 v23, v26, v28, s0
	s_delay_alu instid0(VALU_DEP_3) | instskip(NEXT) | instid1(VALU_DEP_4)
	v_cndmask_b32_e64 v25, v25, v26, s0
	v_cndmask_b32_e64 v26, v28, v24, s0
	;; [unrolled: 1-line block ×3, first 2 shown]
	v_cmp_eq_u32_e64 s2, 0, v1
	s_delay_alu instid0(VALU_DEP_4) | instskip(NEXT) | instid1(VALU_DEP_4)
	v_cndmask_b32_e64 v25, v25, v23, s1
	v_cndmask_b32_e64 v23, v23, v26, s1
	s_delay_alu instid0(VALU_DEP_4) | instskip(SKIP_1) | instid1(VALU_DEP_3)
	v_cndmask_b32_e64 v26, v26, v24, s1
	v_cndmask_b32_e64 v20, v24, v20, s1
	v_alignbit_b32 v28, v25, v23, v27
	s_delay_alu instid0(VALU_DEP_3) | instskip(NEXT) | instid1(VALU_DEP_3)
	v_alignbit_b32 v29, v23, v26, v27
	v_alignbit_b32 v27, v26, v20, v27
	s_delay_alu instid0(VALU_DEP_3) | instskip(NEXT) | instid1(VALU_DEP_3)
	v_cndmask_b32_e64 v1, v28, v25, s2
	v_cndmask_b32_e64 v22, v29, v23, s2
	s_delay_alu instid0(VALU_DEP_3) | instskip(NEXT) | instid1(VALU_DEP_3)
	v_cndmask_b32_e64 v26, v27, v26, s2
	v_bfe_u32 v23, v1, 29, 1
	s_delay_alu instid0(VALU_DEP_3) | instskip(NEXT) | instid1(VALU_DEP_3)
	v_alignbit_b32 v21, v1, v22, 30
	v_alignbit_b32 v22, v22, v26, 30
	;; [unrolled: 1-line block ×3, first 2 shown]
	s_delay_alu instid0(VALU_DEP_4) | instskip(NEXT) | instid1(VALU_DEP_1)
	v_sub_nc_u32_e32 v25, 0, v23
	v_xor_b32_e32 v24, v21, v25
	v_cmp_ne_u32_e32 vcc_lo, v21, v25
	v_xor_b32_e32 v22, v22, v25
	v_xor_b32_e32 v20, v20, v25
	s_delay_alu instid0(VALU_DEP_4) | instskip(NEXT) | instid1(VALU_DEP_1)
	v_clz_i32_u32_e32 v28, v24
	v_add_nc_u32_e32 v27, 1, v28
	s_delay_alu instid0(VALU_DEP_1) | instskip(NEXT) | instid1(VALU_DEP_1)
	v_cndmask_b32_e32 v21, 33, v27, vcc_lo
	v_sub_nc_u32_e32 v26, 32, v21
	s_delay_alu instid0(VALU_DEP_1) | instskip(SKIP_2) | instid1(VALU_DEP_2)
	v_alignbit_b32 v24, v24, v22, v26
	v_alignbit_b32 v20, v22, v20, v26
	v_lshrrev_b32_e32 v22, 29, v1
	v_alignbit_b32 v25, v24, v20, 9
	s_delay_alu instid0(VALU_DEP_2) | instskip(SKIP_1) | instid1(VALU_DEP_3)
	v_lshlrev_b32_e32 v22, 31, v22
	v_alignbit_b32 v24, v21, v24, 9
	v_clz_i32_u32_e32 v26, v25
	s_delay_alu instid0(VALU_DEP_2) | instskip(SKIP_1) | instid1(VALU_DEP_3)
	v_or_b32_e32 v24, v24, v22
	v_or_b32_e32 v22, 0x33800000, v22
	v_min_u32_e32 v26, 32, v26
	s_delay_alu instid0(VALU_DEP_3) | instskip(NEXT) | instid1(VALU_DEP_2)
	v_xor_b32_e32 v24, 1.0, v24
	v_sub_nc_u32_e32 v27, 31, v26
	v_add_lshl_u32 v21, v26, v21, 23
	s_delay_alu instid0(VALU_DEP_3) | instskip(NEXT) | instid1(VALU_DEP_3)
	v_mul_f32_e32 v26, 0x3fc90fda, v24
	v_alignbit_b32 v20, v25, v20, v27
	s_delay_alu instid0(VALU_DEP_3) | instskip(NEXT) | instid1(VALU_DEP_3)
	v_sub_nc_u32_e32 v21, v22, v21
	v_fma_f32 v22, 0x3fc90fda, v24, -v26
	s_delay_alu instid0(VALU_DEP_3) | instskip(NEXT) | instid1(VALU_DEP_2)
	v_lshrrev_b32_e32 v20, 9, v20
	v_fmac_f32_e32 v22, 0x33a22168, v24
	s_delay_alu instid0(VALU_DEP_2) | instskip(NEXT) | instid1(VALU_DEP_1)
	v_or_b32_e32 v20, v21, v20
	v_fmac_f32_e32 v22, 0x3fc90fda, v20
	v_lshrrev_b32_e32 v20, 30, v1
	s_delay_alu instid0(VALU_DEP_1)
	v_dual_add_f32 v1, v26, v22 :: v_dual_add_nc_u32 v20, v23, v20
.LBB116_55:                             ;   in Loop: Header=BB116_41 Depth=1
	s_and_not1_saveexec_b32 s0, s9
	s_cbranch_execz .LBB116_40
; %bb.56:                               ;   in Loop: Header=BB116_41 Depth=1
	v_mul_f32_e64 v1, 0x3f22f983, |v8|
	s_delay_alu instid0(VALU_DEP_1) | instskip(NEXT) | instid1(VALU_DEP_1)
	v_rndne_f32_e32 v20, v1
	v_fma_f32 v1, 0xbfc90fda, v20, |v8|
	s_delay_alu instid0(VALU_DEP_1) | instskip(NEXT) | instid1(VALU_DEP_1)
	v_fmac_f32_e32 v1, 0xb3a22168, v20
	v_fmac_f32_e32 v1, 0xa7c234c4, v20
	v_cvt_i32_f32_e32 v20, v20
	s_branch .LBB116_40
.LBB116_57:
	s_nop 0
	s_sendmsg sendmsg(MSG_DEALLOC_VGPRS)
	s_endpgm
	.section	.rodata,"a",@progbits
	.p2align	6, 0x0
	.amdhsa_kernel _ZN2at6native12_GLOBAL__N_125multi_tensor_apply_kernelINS1_18TensorListMetadataILi1EEENS1_14UnaryOpFunctorIN3c104HalfELi1ELi1ELi0EEEJNS0_3SinIfEEEEEvT_T0_DpT1_
		.amdhsa_group_segment_fixed_size 0
		.amdhsa_private_segment_fixed_size 0
		.amdhsa_kernarg_size 3632
		.amdhsa_user_sgpr_count 15
		.amdhsa_user_sgpr_dispatch_ptr 0
		.amdhsa_user_sgpr_queue_ptr 0
		.amdhsa_user_sgpr_kernarg_segment_ptr 1
		.amdhsa_user_sgpr_dispatch_id 0
		.amdhsa_user_sgpr_private_segment_size 0
		.amdhsa_wavefront_size32 1
		.amdhsa_uses_dynamic_stack 0
		.amdhsa_enable_private_segment 0
		.amdhsa_system_sgpr_workgroup_id_x 1
		.amdhsa_system_sgpr_workgroup_id_y 0
		.amdhsa_system_sgpr_workgroup_id_z 0
		.amdhsa_system_sgpr_workgroup_info 0
		.amdhsa_system_vgpr_workitem_id 0
		.amdhsa_next_free_vgpr 37
		.amdhsa_next_free_sgpr 26
		.amdhsa_reserve_vcc 1
		.amdhsa_float_round_mode_32 0
		.amdhsa_float_round_mode_16_64 0
		.amdhsa_float_denorm_mode_32 3
		.amdhsa_float_denorm_mode_16_64 3
		.amdhsa_dx10_clamp 1
		.amdhsa_ieee_mode 1
		.amdhsa_fp16_overflow 0
		.amdhsa_workgroup_processor_mode 1
		.amdhsa_memory_ordered 1
		.amdhsa_forward_progress 0
		.amdhsa_shared_vgpr_count 0
		.amdhsa_exception_fp_ieee_invalid_op 0
		.amdhsa_exception_fp_denorm_src 0
		.amdhsa_exception_fp_ieee_div_zero 0
		.amdhsa_exception_fp_ieee_overflow 0
		.amdhsa_exception_fp_ieee_underflow 0
		.amdhsa_exception_fp_ieee_inexact 0
		.amdhsa_exception_int_div_zero 0
	.end_amdhsa_kernel
	.section	.text._ZN2at6native12_GLOBAL__N_125multi_tensor_apply_kernelINS1_18TensorListMetadataILi1EEENS1_14UnaryOpFunctorIN3c104HalfELi1ELi1ELi0EEEJNS0_3SinIfEEEEEvT_T0_DpT1_,"axG",@progbits,_ZN2at6native12_GLOBAL__N_125multi_tensor_apply_kernelINS1_18TensorListMetadataILi1EEENS1_14UnaryOpFunctorIN3c104HalfELi1ELi1ELi0EEEJNS0_3SinIfEEEEEvT_T0_DpT1_,comdat
.Lfunc_end116:
	.size	_ZN2at6native12_GLOBAL__N_125multi_tensor_apply_kernelINS1_18TensorListMetadataILi1EEENS1_14UnaryOpFunctorIN3c104HalfELi1ELi1ELi0EEEJNS0_3SinIfEEEEEvT_T0_DpT1_, .Lfunc_end116-_ZN2at6native12_GLOBAL__N_125multi_tensor_apply_kernelINS1_18TensorListMetadataILi1EEENS1_14UnaryOpFunctorIN3c104HalfELi1ELi1ELi0EEEJNS0_3SinIfEEEEEvT_T0_DpT1_
                                        ; -- End function
	.section	.AMDGPU.csdata,"",@progbits
; Kernel info:
; codeLenInByte = 8868
; NumSgprs: 28
; NumVgprs: 37
; ScratchSize: 0
; MemoryBound: 0
; FloatMode: 240
; IeeeMode: 1
; LDSByteSize: 0 bytes/workgroup (compile time only)
; SGPRBlocks: 3
; VGPRBlocks: 4
; NumSGPRsForWavesPerEU: 28
; NumVGPRsForWavesPerEU: 37
; Occupancy: 16
; WaveLimiterHint : 0
; COMPUTE_PGM_RSRC2:SCRATCH_EN: 0
; COMPUTE_PGM_RSRC2:USER_SGPR: 15
; COMPUTE_PGM_RSRC2:TRAP_HANDLER: 0
; COMPUTE_PGM_RSRC2:TGID_X_EN: 1
; COMPUTE_PGM_RSRC2:TGID_Y_EN: 0
; COMPUTE_PGM_RSRC2:TGID_Z_EN: 0
; COMPUTE_PGM_RSRC2:TIDIG_COMP_CNT: 0
	.section	.text._ZN2at6native12_GLOBAL__N_125multi_tensor_apply_kernelINS1_18TensorListMetadataILi1EEENS1_14UnaryOpFunctorIN3c108BFloat16ELi1ELi1ELi0EEEJNS0_3SinIfEEEEEvT_T0_DpT1_,"axG",@progbits,_ZN2at6native12_GLOBAL__N_125multi_tensor_apply_kernelINS1_18TensorListMetadataILi1EEENS1_14UnaryOpFunctorIN3c108BFloat16ELi1ELi1ELi0EEEJNS0_3SinIfEEEEEvT_T0_DpT1_,comdat
	.globl	_ZN2at6native12_GLOBAL__N_125multi_tensor_apply_kernelINS1_18TensorListMetadataILi1EEENS1_14UnaryOpFunctorIN3c108BFloat16ELi1ELi1ELi0EEEJNS0_3SinIfEEEEEvT_T0_DpT1_ ; -- Begin function _ZN2at6native12_GLOBAL__N_125multi_tensor_apply_kernelINS1_18TensorListMetadataILi1EEENS1_14UnaryOpFunctorIN3c108BFloat16ELi1ELi1ELi0EEEJNS0_3SinIfEEEEEvT_T0_DpT1_
	.p2align	8
	.type	_ZN2at6native12_GLOBAL__N_125multi_tensor_apply_kernelINS1_18TensorListMetadataILi1EEENS1_14UnaryOpFunctorIN3c108BFloat16ELi1ELi1ELi0EEEJNS0_3SinIfEEEEEvT_T0_DpT1_,@function
_ZN2at6native12_GLOBAL__N_125multi_tensor_apply_kernelINS1_18TensorListMetadataILi1EEENS1_14UnaryOpFunctorIN3c108BFloat16ELi1ELi1ELi0EEEJNS0_3SinIfEEEEEvT_T0_DpT1_: ; @_ZN2at6native12_GLOBAL__N_125multi_tensor_apply_kernelINS1_18TensorListMetadataILi1EEENS1_14UnaryOpFunctorIN3c108BFloat16ELi1ELi1ELi0EEEJNS0_3SinIfEEEEEvT_T0_DpT1_
; %bb.0:
	v_mov_b32_e32 v1, s15
	s_add_u32 s2, s0, s15
	s_mul_hi_u32 s3, s15, 3
	s_mul_i32 s15, s15, 3
	s_addc_u32 s4, s1, 0
	global_load_u8 v1, v1, s[0:1] offset:1760
	s_add_u32 s2, s2, s15
	s_addc_u32 s3, s4, s3
	s_mov_b32 s7, 0
	s_load_b32 s2, s[2:3], 0x820
	s_waitcnt vmcnt(0)
	v_readfirstlane_b32 s5, v1
	s_delay_alu instid0(VALU_DEP_1)
	s_lshl_b32 s3, s5, 3
	s_clause 0x1
	s_load_b64 s[12:13], s[0:1], s3 offset:0x0
	s_load_b64 s[4:5], s[0:1], s3 offset:0x370
	s_waitcnt lgkmcnt(0)
	s_ashr_i32 s3, s2, 31
	s_delay_alu instid0(SALU_CYCLE_1)
	s_lshl_b64 s[14:15], s[2:3], 17
	s_lshl_b64 s[2:3], s[2:3], 16
	s_and_b32 s6, s12, 7
	s_sub_u32 s10, s4, s2
	s_subb_u32 s11, s5, s3
	s_and_b32 s2, s4, 3
	s_mov_b32 s3, s7
	s_delay_alu instid0(SALU_CYCLE_1) | instskip(NEXT) | instid1(SALU_CYCLE_1)
	s_or_b64 s[2:3], s[6:7], s[2:3]
	s_cmp_eq_u64 s[2:3], 0
	s_cbranch_scc1 .LBB117_37
; %bb.1:
	v_cmp_lt_i64_e64 s2, s[10:11], 1
	s_delay_alu instid0(VALU_DEP_1)
	s_and_b32 vcc_lo, exec_lo, s2
	s_cbranch_vccnz .LBB117_36
; %bb.2:
	s_load_b32 s2, s[0:1], 0xd3c
	v_cmp_gt_u64_e64 s3, 0x10000, s[10:11]
	v_dual_mov_b32 v2, 0 :: v_dual_lshlrev_b32 v1, 1, v0
	s_mov_b64 s[18:19], 0
	s_mov_b32 s22, 0x7fffff
	s_mov_b32 s23, 0xb94c1982
	;; [unrolled: 1-line block ×3, first 2 shown]
	s_waitcnt lgkmcnt(0)
	s_and_b32 s2, s2, 0xffff
	s_and_b32 s3, s3, exec_lo
	v_add_co_u32 v7, s5, v0, s2
	s_cselect_b32 s17, s11, 0
	s_cselect_b32 s16, s10, 0x10000
	s_lshl_b32 s3, s2, 1
	s_mul_i32 s4, s2, 3
	s_lshl_b32 s9, s2, 2
	v_add_co_ci_u32_e64 v8, null, 0, 0, s5
	s_add_u32 s5, s12, s14
	s_mul_i32 s20, s2, 6
	s_addc_u32 s6, s13, s15
	s_lshl_b32 s21, s2, 3
	v_add_co_u32 v9, s2, s4, v0
	s_delay_alu instid0(VALU_DEP_1) | instskip(SKIP_4) | instid1(VALU_DEP_1)
	v_add_co_ci_u32_e64 v10, null, 0, 0, s2
	v_add_co_u32 v3, s2, s5, v1
	v_lshlrev_b32_e32 v1, 1, v7
	v_add_co_ci_u32_e64 v4, null, s6, 0, s2
	v_add_co_u32 v11, s2, s3, v0
	v_add_co_ci_u32_e64 v12, null, 0, 0, s2
	s_delay_alu instid0(VALU_DEP_4) | instskip(NEXT) | instid1(VALU_DEP_1)
	v_add_co_u32 v5, s2, s5, v1
	v_add_co_ci_u32_e64 v6, null, s6, 0, s2
	s_branch .LBB117_4
.LBB117_3:                              ;   in Loop: Header=BB117_4 Depth=1
	s_or_b32 exec_lo, exec_lo, s2
	s_add_u32 s18, s18, s9
	s_addc_u32 s19, s19, 0
	v_add_co_u32 v3, vcc_lo, v3, s21
	v_cmp_ge_i64_e64 s2, s[18:19], s[10:11]
	v_cmp_lt_u64_e64 s3, 0xffff, s[18:19]
	v_add_co_ci_u32_e32 v4, vcc_lo, 0, v4, vcc_lo
	v_add_co_u32 v5, vcc_lo, v5, s21
	v_add_co_ci_u32_e32 v6, vcc_lo, 0, v6, vcc_lo
	s_delay_alu instid0(VALU_DEP_4) | instskip(NEXT) | instid1(SALU_CYCLE_1)
	s_or_b32 s2, s2, s3
	s_and_b32 vcc_lo, exec_lo, s2
	s_cbranch_vccnz .LBB117_36
.LBB117_4:                              ; =>This Inner Loop Header: Depth=1
	v_add_co_u32 v13, s2, v0, s18
	s_delay_alu instid0(VALU_DEP_1) | instskip(SKIP_1) | instid1(VALU_DEP_2)
	v_add_co_ci_u32_e64 v14, null, 0, s19, s2
	v_mov_b32_e32 v1, 0
	v_cmp_gt_u64_e64 s4, s[16:17], v[13:14]
	s_delay_alu instid0(VALU_DEP_1)
	s_and_saveexec_b32 s2, s4
	s_cbranch_execz .LBB117_6
; %bb.5:                                ;   in Loop: Header=BB117_4 Depth=1
	global_load_u16 v1, v[3:4], off
.LBB117_6:                              ;   in Loop: Header=BB117_4 Depth=1
	s_or_b32 exec_lo, exec_lo, s2
	v_add_co_u32 v13, vcc_lo, v7, s18
	v_add_co_ci_u32_e32 v14, vcc_lo, s19, v8, vcc_lo
	v_mov_b32_e32 v16, 0
	s_delay_alu instid0(VALU_DEP_2) | instskip(NEXT) | instid1(VALU_DEP_1)
	v_cmp_gt_u64_e64 s3, s[16:17], v[13:14]
	s_and_saveexec_b32 s2, s3
	s_cbranch_execz .LBB117_8
; %bb.7:                                ;   in Loop: Header=BB117_4 Depth=1
	global_load_u16 v16, v[5:6], off
.LBB117_8:                              ;   in Loop: Header=BB117_4 Depth=1
	s_or_b32 exec_lo, exec_lo, s2
	v_add_co_u32 v13, vcc_lo, v11, s18
	v_add_co_ci_u32_e32 v14, vcc_lo, s19, v12, vcc_lo
	v_dual_mov_b32 v19, 0 :: v_dual_mov_b32 v20, 0
	s_delay_alu instid0(VALU_DEP_2) | instskip(NEXT) | instid1(VALU_DEP_1)
	v_cmp_gt_u64_e64 s2, s[16:17], v[13:14]
	s_and_saveexec_b32 s5, s2
	s_cbranch_execz .LBB117_10
; %bb.9:                                ;   in Loop: Header=BB117_4 Depth=1
	v_add_co_u32 v13, vcc_lo, v3, s9
	v_add_co_ci_u32_e32 v14, vcc_lo, 0, v4, vcc_lo
	global_load_u16 v20, v[13:14], off
.LBB117_10:                             ;   in Loop: Header=BB117_4 Depth=1
	s_or_b32 exec_lo, exec_lo, s5
	v_add_co_u32 v13, vcc_lo, v9, s18
	v_add_co_ci_u32_e32 v14, vcc_lo, s19, v10, vcc_lo
	s_delay_alu instid0(VALU_DEP_1)
	v_cmp_gt_u64_e32 vcc_lo, s[16:17], v[13:14]
	s_and_saveexec_b32 s6, vcc_lo
	s_cbranch_execz .LBB117_12
; %bb.11:                               ;   in Loop: Header=BB117_4 Depth=1
	v_add_co_u32 v13, s5, v3, s20
	s_delay_alu instid0(VALU_DEP_1)
	v_add_co_ci_u32_e64 v14, s5, 0, v4, s5
	global_load_u16 v19, v[13:14], off
.LBB117_12:                             ;   in Loop: Header=BB117_4 Depth=1
	s_or_b32 exec_lo, exec_lo, s6
	s_waitcnt vmcnt(0)
	v_lshlrev_b32_e32 v13, 16, v1
                                        ; implicit-def: $vgpr18
                                        ; implicit-def: $vgpr15
	s_mov_b32 s6, exec_lo
	s_delay_alu instid0(VALU_DEP_1)
	v_and_b32_e32 v14, 0x7fffffff, v13
	v_cmpx_ngt_f32_e64 0x48000000, |v13|
	s_xor_b32 s25, exec_lo, s6
	s_cbranch_execz .LBB117_14
; %bb.13:                               ;   in Loop: Header=BB117_4 Depth=1
	s_delay_alu instid0(VALU_DEP_2) | instskip(NEXT) | instid1(VALU_DEP_1)
	v_and_or_b32 v15, v14, s22, 0x800000
	v_mad_u64_u32 v[17:18], null, 0xfe5163ab, v15, 0
	s_delay_alu instid0(VALU_DEP_1) | instskip(SKIP_1) | instid1(VALU_DEP_1)
	v_mov_b32_e32 v1, v18
	v_lshrrev_b32_e32 v18, 23, v14
	v_add_nc_u32_e32 v18, 0xffffff88, v18
	s_delay_alu instid0(VALU_DEP_3) | instskip(NEXT) | instid1(VALU_DEP_2)
	v_mad_u64_u32 v[21:22], null, 0x3c439041, v15, v[1:2]
	v_cmp_lt_u32_e64 s5, 63, v18
	s_delay_alu instid0(VALU_DEP_1) | instskip(NEXT) | instid1(VALU_DEP_1)
	v_cndmask_b32_e64 v26, 0, 0xffffffc0, s5
	v_add_nc_u32_e32 v18, v26, v18
	s_delay_alu instid0(VALU_DEP_1) | instskip(NEXT) | instid1(VALU_DEP_1)
	v_cmp_lt_u32_e64 s6, 31, v18
	v_cndmask_b32_e64 v27, 0, 0xffffffe0, s6
	s_delay_alu instid0(VALU_DEP_1) | instskip(NEXT) | instid1(VALU_DEP_1)
	v_dual_mov_b32 v1, v22 :: v_dual_add_nc_u32 v18, v27, v18
	v_mad_u64_u32 v[22:23], null, 0xdb629599, v15, v[1:2]
	s_delay_alu instid0(VALU_DEP_2) | instskip(NEXT) | instid1(VALU_DEP_2)
	v_cmp_lt_u32_e64 s7, 31, v18
	v_mov_b32_e32 v1, v23
	s_delay_alu instid0(VALU_DEP_3) | instskip(NEXT) | instid1(VALU_DEP_2)
	v_cndmask_b32_e64 v17, v22, v17, s5
	v_mad_u64_u32 v[23:24], null, 0xf534ddc0, v15, v[1:2]
	s_delay_alu instid0(VALU_DEP_1) | instskip(NEXT) | instid1(VALU_DEP_1)
	v_mov_b32_e32 v1, v24
	v_mad_u64_u32 v[24:25], null, 0xfc2757d1, v15, v[1:2]
	s_delay_alu instid0(VALU_DEP_1) | instskip(NEXT) | instid1(VALU_DEP_1)
	v_mov_b32_e32 v1, v25
	;; [unrolled: 3-line block ×3, first 2 shown]
	v_mad_u64_u32 v[26:27], null, 0xa2f9836e, v15, v[1:2]
	v_cndmask_b32_e64 v1, 0, 0xffffffe0, s7
	s_delay_alu instid0(VALU_DEP_4) | instskip(NEXT) | instid1(VALU_DEP_2)
	v_cndmask_b32_e64 v15, v25, v23, s5
	v_add_nc_u32_e32 v1, v1, v18
	s_delay_alu instid0(VALU_DEP_4)
	v_cndmask_b32_e64 v26, v26, v24, s5
	v_cndmask_b32_e64 v25, v27, v25, s5
	;; [unrolled: 1-line block ×4, first 2 shown]
	v_cmp_eq_u32_e64 s8, 0, v1
	v_cndmask_b32_e64 v21, v26, v15, s6
	v_cndmask_b32_e64 v23, v25, v26, s6
	;; [unrolled: 1-line block ×3, first 2 shown]
	v_sub_nc_u32_e32 v25, 32, v1
	v_cndmask_b32_e64 v24, v24, v18, s6
	v_cndmask_b32_e64 v17, v18, v17, s6
	;; [unrolled: 1-line block ×4, first 2 shown]
	s_delay_alu instid0(VALU_DEP_4) | instskip(NEXT) | instid1(VALU_DEP_4)
	v_cndmask_b32_e64 v15, v15, v24, s7
	v_cndmask_b32_e64 v17, v24, v17, s7
	s_delay_alu instid0(VALU_DEP_3) | instskip(NEXT) | instid1(VALU_DEP_3)
	v_alignbit_b32 v26, v23, v21, v25
	v_alignbit_b32 v27, v21, v15, v25
	s_delay_alu instid0(VALU_DEP_3) | instskip(NEXT) | instid1(VALU_DEP_3)
	v_alignbit_b32 v25, v15, v17, v25
	v_cndmask_b32_e64 v1, v26, v23, s8
	s_delay_alu instid0(VALU_DEP_3) | instskip(NEXT) | instid1(VALU_DEP_3)
	v_cndmask_b32_e64 v21, v27, v21, s8
	v_cndmask_b32_e64 v15, v25, v15, s8
	s_delay_alu instid0(VALU_DEP_3) | instskip(NEXT) | instid1(VALU_DEP_3)
	v_bfe_u32 v22, v1, 29, 1
	v_alignbit_b32 v18, v1, v21, 30
	s_delay_alu instid0(VALU_DEP_3) | instskip(SKIP_1) | instid1(VALU_DEP_4)
	v_alignbit_b32 v21, v21, v15, 30
	v_alignbit_b32 v15, v15, v17, 30
	v_sub_nc_u32_e32 v23, 0, v22
	s_delay_alu instid0(VALU_DEP_1) | instskip(SKIP_3) | instid1(VALU_DEP_4)
	v_xor_b32_e32 v24, v18, v23
	v_cmp_ne_u32_e64 s5, v18, v23
	v_xor_b32_e32 v17, v21, v23
	v_xor_b32_e32 v15, v15, v23
	v_clz_i32_u32_e32 v26, v24
	s_delay_alu instid0(VALU_DEP_1) | instskip(NEXT) | instid1(VALU_DEP_1)
	v_add_nc_u32_e32 v25, 1, v26
	v_cndmask_b32_e64 v18, 33, v25, s5
	s_delay_alu instid0(VALU_DEP_1) | instskip(NEXT) | instid1(VALU_DEP_1)
	v_sub_nc_u32_e32 v21, 32, v18
	v_alignbit_b32 v23, v24, v17, v21
	v_alignbit_b32 v15, v17, v15, v21
	v_lshrrev_b32_e32 v17, 29, v1
	v_lshrrev_b32_e32 v1, 30, v1
	s_delay_alu instid0(VALU_DEP_3) | instskip(NEXT) | instid1(VALU_DEP_3)
	v_alignbit_b32 v21, v23, v15, 9
	v_lshlrev_b32_e32 v17, 31, v17
	v_alignbit_b32 v23, v18, v23, 9
	s_delay_alu instid0(VALU_DEP_3) | instskip(NEXT) | instid1(VALU_DEP_2)
	v_clz_i32_u32_e32 v24, v21
	v_or_b32_e32 v23, v23, v17
	v_or_b32_e32 v17, 0x33800000, v17
	s_delay_alu instid0(VALU_DEP_3) | instskip(NEXT) | instid1(VALU_DEP_3)
	v_min_u32_e32 v24, 32, v24
	v_xor_b32_e32 v23, 1.0, v23
	s_delay_alu instid0(VALU_DEP_2) | instskip(SKIP_1) | instid1(VALU_DEP_3)
	v_sub_nc_u32_e32 v25, 31, v24
	v_add_lshl_u32 v18, v24, v18, 23
	v_mul_f32_e32 v24, 0x3fc90fda, v23
	s_delay_alu instid0(VALU_DEP_3) | instskip(NEXT) | instid1(VALU_DEP_3)
	v_alignbit_b32 v15, v21, v15, v25
	v_sub_nc_u32_e32 v17, v17, v18
	s_delay_alu instid0(VALU_DEP_3) | instskip(NEXT) | instid1(VALU_DEP_3)
	v_fma_f32 v18, 0x3fc90fda, v23, -v24
	v_lshrrev_b32_e32 v15, 9, v15
	s_delay_alu instid0(VALU_DEP_2) | instskip(NEXT) | instid1(VALU_DEP_2)
	v_fmac_f32_e32 v18, 0x33a22168, v23
	v_or_b32_e32 v15, v17, v15
	s_delay_alu instid0(VALU_DEP_1) | instskip(NEXT) | instid1(VALU_DEP_1)
	v_fmac_f32_e32 v18, 0x3fc90fda, v15
	v_dual_add_f32 v15, v24, v18 :: v_dual_add_nc_u32 v18, v22, v1
.LBB117_14:                             ;   in Loop: Header=BB117_4 Depth=1
	s_and_not1_saveexec_b32 s5, s25
; %bb.15:                               ;   in Loop: Header=BB117_4 Depth=1
	v_mul_f32_e64 v1, 0x3f22f983, |v13|
	s_delay_alu instid0(VALU_DEP_1) | instskip(NEXT) | instid1(VALU_DEP_1)
	v_rndne_f32_e32 v1, v1
	v_fma_f32 v15, 0xbfc90fda, v1, |v13|
	v_cvt_i32_f32_e32 v18, v1
	s_delay_alu instid0(VALU_DEP_2) | instskip(NEXT) | instid1(VALU_DEP_1)
	v_fmac_f32_e32 v15, 0xb3a22168, v1
	v_fmac_f32_e32 v15, 0xa7c234c4, v1
; %bb.16:                               ;   in Loop: Header=BB117_4 Depth=1
	s_or_b32 exec_lo, exec_lo, s5
	v_lshlrev_b32_e32 v16, 16, v16
                                        ; implicit-def: $vgpr23
                                        ; implicit-def: $vgpr21
	s_mov_b32 s6, exec_lo
	s_delay_alu instid0(VALU_DEP_1)
	v_and_b32_e32 v17, 0x7fffffff, v16
	v_cmpx_ngt_f32_e64 0x48000000, |v16|
	s_xor_b32 s25, exec_lo, s6
	s_cbranch_execz .LBB117_18
; %bb.17:                               ;   in Loop: Header=BB117_4 Depth=1
	s_delay_alu instid0(VALU_DEP_2) | instskip(SKIP_1) | instid1(VALU_DEP_2)
	v_lshrrev_b32_e32 v26, 23, v17
	v_and_or_b32 v29, v17, s22, 0x800000
	v_add_nc_u32_e32 v27, 0xffffff88, v26
	s_delay_alu instid0(VALU_DEP_2) | instskip(NEXT) | instid1(VALU_DEP_2)
	v_mad_u64_u32 v[21:22], null, 0xfe5163ab, v29, 0
	v_cmp_lt_u32_e64 s5, 63, v27
	s_delay_alu instid0(VALU_DEP_1) | instskip(NEXT) | instid1(VALU_DEP_1)
	v_cndmask_b32_e64 v28, 0, 0xffffffc0, s5
	v_dual_mov_b32 v1, v22 :: v_dual_add_nc_u32 v28, v28, v27
	s_delay_alu instid0(VALU_DEP_1) | instskip(NEXT) | instid1(VALU_DEP_2)
	v_mad_u64_u32 v[22:23], null, 0x3c439041, v29, v[1:2]
	v_cmp_lt_u32_e64 s6, 31, v28
	s_delay_alu instid0(VALU_DEP_1) | instskip(NEXT) | instid1(VALU_DEP_1)
	v_cndmask_b32_e64 v30, 0, 0xffffffe0, s6
	v_dual_mov_b32 v1, v23 :: v_dual_add_nc_u32 v30, v30, v28
	s_delay_alu instid0(VALU_DEP_1) | instskip(NEXT) | instid1(VALU_DEP_2)
	v_mad_u64_u32 v[23:24], null, 0xdb629599, v29, v[1:2]
	v_cmp_lt_u32_e64 s7, 31, v30
	s_delay_alu instid0(VALU_DEP_2) | instskip(NEXT) | instid1(VALU_DEP_3)
	v_mov_b32_e32 v1, v24
	v_cndmask_b32_e64 v21, v23, v21, s5
	s_delay_alu instid0(VALU_DEP_2) | instskip(NEXT) | instid1(VALU_DEP_1)
	v_mad_u64_u32 v[24:25], null, 0xf534ddc0, v29, v[1:2]
	v_mov_b32_e32 v1, v25
	s_delay_alu instid0(VALU_DEP_2) | instskip(NEXT) | instid1(VALU_DEP_2)
	v_cndmask_b32_e64 v22, v24, v22, s5
	v_mad_u64_u32 v[25:26], null, 0xfc2757d1, v29, v[1:2]
	s_delay_alu instid0(VALU_DEP_2) | instskip(NEXT) | instid1(VALU_DEP_2)
	v_cndmask_b32_e64 v21, v22, v21, s6
	v_mov_b32_e32 v1, v26
	s_delay_alu instid0(VALU_DEP_1) | instskip(NEXT) | instid1(VALU_DEP_1)
	v_mad_u64_u32 v[26:27], null, 0x4e441529, v29, v[1:2]
	v_mov_b32_e32 v1, v27
	s_delay_alu instid0(VALU_DEP_1) | instskip(SKIP_1) | instid1(VALU_DEP_4)
	v_mad_u64_u32 v[27:28], null, 0xa2f9836e, v29, v[1:2]
	v_cndmask_b32_e64 v1, 0, 0xffffffe0, s7
	v_cndmask_b32_e64 v29, v26, v24, s5
	s_delay_alu instid0(VALU_DEP_2) | instskip(NEXT) | instid1(VALU_DEP_4)
	v_add_nc_u32_e32 v1, v1, v30
	v_cndmask_b32_e64 v27, v27, v25, s5
	v_cndmask_b32_e64 v26, v28, v26, s5
	;; [unrolled: 1-line block ×3, first 2 shown]
	s_delay_alu instid0(VALU_DEP_4) | instskip(NEXT) | instid1(VALU_DEP_4)
	v_sub_nc_u32_e32 v28, 32, v1
	v_cndmask_b32_e64 v24, v27, v29, s6
	s_delay_alu instid0(VALU_DEP_4) | instskip(NEXT) | instid1(VALU_DEP_4)
	v_cndmask_b32_e64 v26, v26, v27, s6
	v_cndmask_b32_e64 v27, v29, v25, s6
	;; [unrolled: 1-line block ×3, first 2 shown]
	v_cmp_eq_u32_e64 s8, 0, v1
	s_delay_alu instid0(VALU_DEP_4) | instskip(NEXT) | instid1(VALU_DEP_4)
	v_cndmask_b32_e64 v26, v26, v24, s7
	v_cndmask_b32_e64 v24, v24, v27, s7
	s_delay_alu instid0(VALU_DEP_4) | instskip(SKIP_1) | instid1(VALU_DEP_3)
	v_cndmask_b32_e64 v27, v27, v25, s7
	v_cndmask_b32_e64 v21, v25, v21, s7
	v_alignbit_b32 v29, v26, v24, v28
	s_delay_alu instid0(VALU_DEP_3) | instskip(NEXT) | instid1(VALU_DEP_3)
	v_alignbit_b32 v30, v24, v27, v28
	v_alignbit_b32 v28, v27, v21, v28
	s_delay_alu instid0(VALU_DEP_3) | instskip(NEXT) | instid1(VALU_DEP_3)
	v_cndmask_b32_e64 v1, v29, v26, s8
	v_cndmask_b32_e64 v23, v30, v24, s8
	s_delay_alu instid0(VALU_DEP_3) | instskip(NEXT) | instid1(VALU_DEP_3)
	v_cndmask_b32_e64 v27, v28, v27, s8
	v_bfe_u32 v24, v1, 29, 1
	s_delay_alu instid0(VALU_DEP_3) | instskip(NEXT) | instid1(VALU_DEP_3)
	v_alignbit_b32 v22, v1, v23, 30
	v_alignbit_b32 v23, v23, v27, 30
	;; [unrolled: 1-line block ×3, first 2 shown]
	s_delay_alu instid0(VALU_DEP_4) | instskip(NEXT) | instid1(VALU_DEP_1)
	v_sub_nc_u32_e32 v26, 0, v24
	v_xor_b32_e32 v25, v22, v26
	v_cmp_ne_u32_e64 s5, v22, v26
	v_xor_b32_e32 v23, v23, v26
	v_xor_b32_e32 v21, v21, v26
	s_delay_alu instid0(VALU_DEP_4) | instskip(NEXT) | instid1(VALU_DEP_1)
	v_clz_i32_u32_e32 v29, v25
	v_add_nc_u32_e32 v28, 1, v29
	s_delay_alu instid0(VALU_DEP_1) | instskip(NEXT) | instid1(VALU_DEP_1)
	v_cndmask_b32_e64 v22, 33, v28, s5
	v_sub_nc_u32_e32 v27, 32, v22
	s_delay_alu instid0(VALU_DEP_1) | instskip(SKIP_3) | instid1(VALU_DEP_3)
	v_alignbit_b32 v25, v25, v23, v27
	v_alignbit_b32 v21, v23, v21, v27
	v_lshrrev_b32_e32 v23, 29, v1
	v_lshrrev_b32_e32 v1, 30, v1
	v_alignbit_b32 v26, v25, v21, 9
	s_delay_alu instid0(VALU_DEP_3) | instskip(SKIP_1) | instid1(VALU_DEP_3)
	v_lshlrev_b32_e32 v23, 31, v23
	v_alignbit_b32 v25, v22, v25, 9
	v_clz_i32_u32_e32 v27, v26
	s_delay_alu instid0(VALU_DEP_2) | instskip(SKIP_1) | instid1(VALU_DEP_3)
	v_or_b32_e32 v25, v25, v23
	v_or_b32_e32 v23, 0x33800000, v23
	v_min_u32_e32 v27, 32, v27
	s_delay_alu instid0(VALU_DEP_3) | instskip(NEXT) | instid1(VALU_DEP_2)
	v_xor_b32_e32 v25, 1.0, v25
	v_sub_nc_u32_e32 v28, 31, v27
	v_add_lshl_u32 v22, v27, v22, 23
	s_delay_alu instid0(VALU_DEP_3) | instskip(NEXT) | instid1(VALU_DEP_3)
	v_mul_f32_e32 v27, 0x3fc90fda, v25
	v_alignbit_b32 v21, v26, v21, v28
	s_delay_alu instid0(VALU_DEP_3) | instskip(NEXT) | instid1(VALU_DEP_3)
	v_sub_nc_u32_e32 v22, v23, v22
	v_fma_f32 v23, 0x3fc90fda, v25, -v27
	s_delay_alu instid0(VALU_DEP_3) | instskip(NEXT) | instid1(VALU_DEP_2)
	v_lshrrev_b32_e32 v21, 9, v21
	v_fmac_f32_e32 v23, 0x33a22168, v25
	s_delay_alu instid0(VALU_DEP_2) | instskip(NEXT) | instid1(VALU_DEP_1)
	v_or_b32_e32 v21, v22, v21
	v_fmac_f32_e32 v23, 0x3fc90fda, v21
	s_delay_alu instid0(VALU_DEP_1)
	v_add_f32_e32 v21, v27, v23
	v_add_nc_u32_e32 v23, v24, v1
.LBB117_18:                             ;   in Loop: Header=BB117_4 Depth=1
	s_and_not1_saveexec_b32 s5, s25
; %bb.19:                               ;   in Loop: Header=BB117_4 Depth=1
	v_mul_f32_e64 v1, 0x3f22f983, |v16|
	s_delay_alu instid0(VALU_DEP_1) | instskip(NEXT) | instid1(VALU_DEP_1)
	v_rndne_f32_e32 v1, v1
	v_fma_f32 v21, 0xbfc90fda, v1, |v16|
	v_cvt_i32_f32_e32 v23, v1
	s_delay_alu instid0(VALU_DEP_2) | instskip(NEXT) | instid1(VALU_DEP_1)
	v_fmac_f32_e32 v21, 0xb3a22168, v1
	v_fmac_f32_e32 v21, 0xa7c234c4, v1
; %bb.20:                               ;   in Loop: Header=BB117_4 Depth=1
	s_or_b32 exec_lo, exec_lo, s5
	v_lshlrev_b32_e32 v20, 16, v20
                                        ; implicit-def: $vgpr26
                                        ; implicit-def: $vgpr24
	s_mov_b32 s6, exec_lo
	s_delay_alu instid0(VALU_DEP_1)
	v_and_b32_e32 v22, 0x7fffffff, v20
	v_cmpx_ngt_f32_e64 0x48000000, |v20|
	s_xor_b32 s25, exec_lo, s6
	s_cbranch_execz .LBB117_22
; %bb.21:                               ;   in Loop: Header=BB117_4 Depth=1
	s_delay_alu instid0(VALU_DEP_2) | instskip(SKIP_1) | instid1(VALU_DEP_2)
	v_and_or_b32 v32, v22, s22, 0x800000
	v_lshrrev_b32_e32 v29, 23, v22
	v_mad_u64_u32 v[24:25], null, 0xfe5163ab, v32, 0
	s_delay_alu instid0(VALU_DEP_2) | instskip(NEXT) | instid1(VALU_DEP_1)
	v_add_nc_u32_e32 v30, 0xffffff88, v29
	v_cmp_lt_u32_e64 s5, 63, v30
	s_delay_alu instid0(VALU_DEP_3) | instskip(NEXT) | instid1(VALU_DEP_2)
	v_mov_b32_e32 v1, v25
	v_cndmask_b32_e64 v31, 0, 0xffffffc0, s5
	s_delay_alu instid0(VALU_DEP_2) | instskip(NEXT) | instid1(VALU_DEP_2)
	v_mad_u64_u32 v[25:26], null, 0x3c439041, v32, v[1:2]
	v_add_nc_u32_e32 v31, v31, v30
	s_delay_alu instid0(VALU_DEP_2) | instskip(NEXT) | instid1(VALU_DEP_2)
	v_mov_b32_e32 v1, v26
	v_cmp_lt_u32_e64 s6, 31, v31
	s_delay_alu instid0(VALU_DEP_2) | instskip(NEXT) | instid1(VALU_DEP_2)
	v_mad_u64_u32 v[26:27], null, 0xdb629599, v32, v[1:2]
	v_cndmask_b32_e64 v33, 0, 0xffffffe0, s6
	s_delay_alu instid0(VALU_DEP_1) | instskip(NEXT) | instid1(VALU_DEP_3)
	v_add_nc_u32_e32 v33, v33, v31
	v_mov_b32_e32 v1, v27
	s_delay_alu instid0(VALU_DEP_4) | instskip(NEXT) | instid1(VALU_DEP_3)
	v_cndmask_b32_e64 v24, v26, v24, s5
	v_cmp_lt_u32_e64 s7, 31, v33
	s_delay_alu instid0(VALU_DEP_3) | instskip(NEXT) | instid1(VALU_DEP_1)
	v_mad_u64_u32 v[27:28], null, 0xf534ddc0, v32, v[1:2]
	v_mov_b32_e32 v1, v28
	s_delay_alu instid0(VALU_DEP_2) | instskip(NEXT) | instid1(VALU_DEP_2)
	v_cndmask_b32_e64 v25, v27, v25, s5
	v_mad_u64_u32 v[28:29], null, 0xfc2757d1, v32, v[1:2]
	s_delay_alu instid0(VALU_DEP_2) | instskip(NEXT) | instid1(VALU_DEP_2)
	v_cndmask_b32_e64 v24, v25, v24, s6
	v_mov_b32_e32 v1, v29
	s_delay_alu instid0(VALU_DEP_1) | instskip(NEXT) | instid1(VALU_DEP_1)
	v_mad_u64_u32 v[29:30], null, 0x4e441529, v32, v[1:2]
	v_mov_b32_e32 v1, v30
	s_delay_alu instid0(VALU_DEP_1) | instskip(SKIP_1) | instid1(VALU_DEP_4)
	v_mad_u64_u32 v[30:31], null, 0xa2f9836e, v32, v[1:2]
	v_cndmask_b32_e64 v1, 0, 0xffffffe0, s7
	v_cndmask_b32_e64 v32, v29, v27, s5
	s_delay_alu instid0(VALU_DEP_2) | instskip(NEXT) | instid1(VALU_DEP_4)
	v_add_nc_u32_e32 v1, v1, v33
	v_cndmask_b32_e64 v30, v30, v28, s5
	v_cndmask_b32_e64 v29, v31, v29, s5
	v_cndmask_b32_e64 v28, v28, v26, s5
	s_delay_alu instid0(VALU_DEP_4) | instskip(NEXT) | instid1(VALU_DEP_4)
	v_sub_nc_u32_e32 v31, 32, v1
	v_cndmask_b32_e64 v27, v30, v32, s6
	s_delay_alu instid0(VALU_DEP_4) | instskip(NEXT) | instid1(VALU_DEP_4)
	v_cndmask_b32_e64 v29, v29, v30, s6
	v_cndmask_b32_e64 v30, v32, v28, s6
	;; [unrolled: 1-line block ×3, first 2 shown]
	v_cmp_eq_u32_e64 s8, 0, v1
	s_delay_alu instid0(VALU_DEP_4) | instskip(NEXT) | instid1(VALU_DEP_4)
	v_cndmask_b32_e64 v29, v29, v27, s7
	v_cndmask_b32_e64 v27, v27, v30, s7
	s_delay_alu instid0(VALU_DEP_4) | instskip(SKIP_1) | instid1(VALU_DEP_3)
	v_cndmask_b32_e64 v30, v30, v28, s7
	v_cndmask_b32_e64 v24, v28, v24, s7
	v_alignbit_b32 v32, v29, v27, v31
	s_delay_alu instid0(VALU_DEP_3) | instskip(NEXT) | instid1(VALU_DEP_3)
	v_alignbit_b32 v33, v27, v30, v31
	v_alignbit_b32 v31, v30, v24, v31
	s_delay_alu instid0(VALU_DEP_3) | instskip(NEXT) | instid1(VALU_DEP_3)
	v_cndmask_b32_e64 v1, v32, v29, s8
	v_cndmask_b32_e64 v26, v33, v27, s8
	s_delay_alu instid0(VALU_DEP_3) | instskip(NEXT) | instid1(VALU_DEP_3)
	v_cndmask_b32_e64 v30, v31, v30, s8
	v_bfe_u32 v27, v1, 29, 1
	s_delay_alu instid0(VALU_DEP_3) | instskip(NEXT) | instid1(VALU_DEP_3)
	v_alignbit_b32 v25, v1, v26, 30
	v_alignbit_b32 v26, v26, v30, 30
	v_alignbit_b32 v24, v30, v24, 30
	s_delay_alu instid0(VALU_DEP_4) | instskip(NEXT) | instid1(VALU_DEP_1)
	v_sub_nc_u32_e32 v29, 0, v27
	v_xor_b32_e32 v28, v25, v29
	v_cmp_ne_u32_e64 s5, v25, v29
	v_xor_b32_e32 v26, v26, v29
	v_xor_b32_e32 v24, v24, v29
	s_delay_alu instid0(VALU_DEP_4) | instskip(NEXT) | instid1(VALU_DEP_1)
	v_clz_i32_u32_e32 v32, v28
	v_add_nc_u32_e32 v31, 1, v32
	s_delay_alu instid0(VALU_DEP_1) | instskip(NEXT) | instid1(VALU_DEP_1)
	v_cndmask_b32_e64 v25, 33, v31, s5
	v_sub_nc_u32_e32 v30, 32, v25
	s_delay_alu instid0(VALU_DEP_1) | instskip(SKIP_3) | instid1(VALU_DEP_3)
	v_alignbit_b32 v28, v28, v26, v30
	v_alignbit_b32 v24, v26, v24, v30
	v_lshrrev_b32_e32 v26, 29, v1
	v_lshrrev_b32_e32 v1, 30, v1
	v_alignbit_b32 v29, v28, v24, 9
	s_delay_alu instid0(VALU_DEP_3) | instskip(SKIP_1) | instid1(VALU_DEP_3)
	v_lshlrev_b32_e32 v26, 31, v26
	v_alignbit_b32 v28, v25, v28, 9
	v_clz_i32_u32_e32 v30, v29
	s_delay_alu instid0(VALU_DEP_2) | instskip(SKIP_1) | instid1(VALU_DEP_3)
	v_or_b32_e32 v28, v28, v26
	v_or_b32_e32 v26, 0x33800000, v26
	v_min_u32_e32 v30, 32, v30
	s_delay_alu instid0(VALU_DEP_3) | instskip(NEXT) | instid1(VALU_DEP_2)
	v_xor_b32_e32 v28, 1.0, v28
	v_sub_nc_u32_e32 v31, 31, v30
	v_add_lshl_u32 v25, v30, v25, 23
	s_delay_alu instid0(VALU_DEP_3) | instskip(NEXT) | instid1(VALU_DEP_3)
	v_mul_f32_e32 v30, 0x3fc90fda, v28
	v_alignbit_b32 v24, v29, v24, v31
	s_delay_alu instid0(VALU_DEP_3) | instskip(NEXT) | instid1(VALU_DEP_3)
	v_sub_nc_u32_e32 v25, v26, v25
	v_fma_f32 v26, 0x3fc90fda, v28, -v30
	s_delay_alu instid0(VALU_DEP_3) | instskip(NEXT) | instid1(VALU_DEP_2)
	v_lshrrev_b32_e32 v24, 9, v24
	v_fmac_f32_e32 v26, 0x33a22168, v28
	s_delay_alu instid0(VALU_DEP_2) | instskip(NEXT) | instid1(VALU_DEP_1)
	v_or_b32_e32 v24, v25, v24
	v_fmac_f32_e32 v26, 0x3fc90fda, v24
	s_delay_alu instid0(VALU_DEP_1)
	v_add_f32_e32 v24, v30, v26
	v_add_nc_u32_e32 v26, v27, v1
.LBB117_22:                             ;   in Loop: Header=BB117_4 Depth=1
	s_and_not1_saveexec_b32 s5, s25
; %bb.23:                               ;   in Loop: Header=BB117_4 Depth=1
	v_mul_f32_e64 v1, 0x3f22f983, |v20|
	s_delay_alu instid0(VALU_DEP_1) | instskip(NEXT) | instid1(VALU_DEP_1)
	v_rndne_f32_e32 v1, v1
	v_fma_f32 v24, 0xbfc90fda, v1, |v20|
	v_cvt_i32_f32_e32 v26, v1
	s_delay_alu instid0(VALU_DEP_2) | instskip(NEXT) | instid1(VALU_DEP_1)
	v_fmac_f32_e32 v24, 0xb3a22168, v1
	v_fmac_f32_e32 v24, 0xa7c234c4, v1
; %bb.24:                               ;   in Loop: Header=BB117_4 Depth=1
	s_or_b32 exec_lo, exec_lo, s5
	v_lshlrev_b32_e32 v19, 16, v19
                                        ; implicit-def: $vgpr27
                                        ; implicit-def: $vgpr1
	s_mov_b32 s6, exec_lo
	s_delay_alu instid0(VALU_DEP_1)
	v_and_b32_e32 v25, 0x7fffffff, v19
	v_cmpx_ngt_f32_e64 0x48000000, |v19|
	s_xor_b32 s25, exec_lo, s6
	s_cbranch_execnz .LBB117_30
; %bb.25:                               ;   in Loop: Header=BB117_4 Depth=1
	s_and_not1_saveexec_b32 s5, s25
	s_cbranch_execnz .LBB117_31
.LBB117_26:                             ;   in Loop: Header=BB117_4 Depth=1
	s_or_b32 exec_lo, exec_lo, s5
	s_and_saveexec_b32 s5, s4
	s_delay_alu instid0(SALU_CYCLE_1)
	s_xor_b32 s5, exec_lo, s5
	s_cbranch_execnz .LBB117_32
.LBB117_27:                             ;   in Loop: Header=BB117_4 Depth=1
	s_or_b32 exec_lo, exec_lo, s5
	s_and_saveexec_b32 s4, s3
	s_cbranch_execnz .LBB117_33
.LBB117_28:                             ;   in Loop: Header=BB117_4 Depth=1
	s_or_b32 exec_lo, exec_lo, s4
	s_and_saveexec_b32 s3, s2
	s_cbranch_execnz .LBB117_34
.LBB117_29:                             ;   in Loop: Header=BB117_4 Depth=1
	s_or_b32 exec_lo, exec_lo, s3
	s_and_saveexec_b32 s2, vcc_lo
	s_cbranch_execz .LBB117_3
	s_branch .LBB117_35
.LBB117_30:                             ;   in Loop: Header=BB117_4 Depth=1
	s_delay_alu instid0(VALU_DEP_2) | instskip(SKIP_1) | instid1(VALU_DEP_2)
	v_lshrrev_b32_e32 v32, 23, v25
	v_and_or_b32 v35, v25, s22, 0x800000
	v_add_nc_u32_e32 v33, 0xffffff88, v32
	s_delay_alu instid0(VALU_DEP_2) | instskip(NEXT) | instid1(VALU_DEP_2)
	v_mad_u64_u32 v[27:28], null, 0xfe5163ab, v35, 0
	v_cmp_lt_u32_e64 s5, 63, v33
	s_delay_alu instid0(VALU_DEP_1) | instskip(NEXT) | instid1(VALU_DEP_1)
	v_cndmask_b32_e64 v34, 0, 0xffffffc0, s5
	v_dual_mov_b32 v1, v28 :: v_dual_add_nc_u32 v34, v34, v33
	s_delay_alu instid0(VALU_DEP_1) | instskip(NEXT) | instid1(VALU_DEP_2)
	v_mad_u64_u32 v[28:29], null, 0x3c439041, v35, v[1:2]
	v_cmp_lt_u32_e64 s6, 31, v34
	s_delay_alu instid0(VALU_DEP_1) | instskip(NEXT) | instid1(VALU_DEP_1)
	v_cndmask_b32_e64 v36, 0, 0xffffffe0, s6
	v_dual_mov_b32 v1, v29 :: v_dual_add_nc_u32 v36, v36, v34
	s_delay_alu instid0(VALU_DEP_1) | instskip(NEXT) | instid1(VALU_DEP_2)
	v_mad_u64_u32 v[29:30], null, 0xdb629599, v35, v[1:2]
	v_cmp_lt_u32_e64 s7, 31, v36
	s_delay_alu instid0(VALU_DEP_2) | instskip(NEXT) | instid1(VALU_DEP_3)
	v_mov_b32_e32 v1, v30
	v_cndmask_b32_e64 v27, v29, v27, s5
	s_delay_alu instid0(VALU_DEP_2) | instskip(NEXT) | instid1(VALU_DEP_1)
	v_mad_u64_u32 v[30:31], null, 0xf534ddc0, v35, v[1:2]
	v_mov_b32_e32 v1, v31
	s_delay_alu instid0(VALU_DEP_2) | instskip(NEXT) | instid1(VALU_DEP_2)
	v_cndmask_b32_e64 v28, v30, v28, s5
	v_mad_u64_u32 v[31:32], null, 0xfc2757d1, v35, v[1:2]
	s_delay_alu instid0(VALU_DEP_2) | instskip(NEXT) | instid1(VALU_DEP_2)
	v_cndmask_b32_e64 v27, v28, v27, s6
	v_mov_b32_e32 v1, v32
	s_delay_alu instid0(VALU_DEP_1) | instskip(NEXT) | instid1(VALU_DEP_1)
	v_mad_u64_u32 v[32:33], null, 0x4e441529, v35, v[1:2]
	v_mov_b32_e32 v1, v33
	s_delay_alu instid0(VALU_DEP_1) | instskip(SKIP_1) | instid1(VALU_DEP_4)
	v_mad_u64_u32 v[33:34], null, 0xa2f9836e, v35, v[1:2]
	v_cndmask_b32_e64 v1, 0, 0xffffffe0, s7
	v_cndmask_b32_e64 v35, v32, v30, s5
	s_delay_alu instid0(VALU_DEP_2) | instskip(NEXT) | instid1(VALU_DEP_4)
	v_add_nc_u32_e32 v1, v1, v36
	v_cndmask_b32_e64 v33, v33, v31, s5
	v_cndmask_b32_e64 v32, v34, v32, s5
	;; [unrolled: 1-line block ×3, first 2 shown]
	s_delay_alu instid0(VALU_DEP_4) | instskip(NEXT) | instid1(VALU_DEP_4)
	v_sub_nc_u32_e32 v34, 32, v1
	v_cndmask_b32_e64 v30, v33, v35, s6
	s_delay_alu instid0(VALU_DEP_4) | instskip(NEXT) | instid1(VALU_DEP_4)
	v_cndmask_b32_e64 v32, v32, v33, s6
	v_cndmask_b32_e64 v33, v35, v31, s6
	;; [unrolled: 1-line block ×3, first 2 shown]
	v_cmp_eq_u32_e64 s8, 0, v1
	s_delay_alu instid0(VALU_DEP_4) | instskip(NEXT) | instid1(VALU_DEP_4)
	v_cndmask_b32_e64 v32, v32, v30, s7
	v_cndmask_b32_e64 v30, v30, v33, s7
	s_delay_alu instid0(VALU_DEP_4) | instskip(SKIP_1) | instid1(VALU_DEP_3)
	v_cndmask_b32_e64 v33, v33, v31, s7
	v_cndmask_b32_e64 v27, v31, v27, s7
	v_alignbit_b32 v35, v32, v30, v34
	s_delay_alu instid0(VALU_DEP_3) | instskip(NEXT) | instid1(VALU_DEP_3)
	v_alignbit_b32 v36, v30, v33, v34
	v_alignbit_b32 v34, v33, v27, v34
	s_delay_alu instid0(VALU_DEP_3) | instskip(NEXT) | instid1(VALU_DEP_3)
	v_cndmask_b32_e64 v1, v35, v32, s8
	v_cndmask_b32_e64 v29, v36, v30, s8
	s_delay_alu instid0(VALU_DEP_3) | instskip(NEXT) | instid1(VALU_DEP_3)
	v_cndmask_b32_e64 v33, v34, v33, s8
	v_bfe_u32 v30, v1, 29, 1
	s_delay_alu instid0(VALU_DEP_3) | instskip(NEXT) | instid1(VALU_DEP_3)
	v_alignbit_b32 v28, v1, v29, 30
	v_alignbit_b32 v29, v29, v33, 30
	;; [unrolled: 1-line block ×3, first 2 shown]
	s_delay_alu instid0(VALU_DEP_4) | instskip(NEXT) | instid1(VALU_DEP_1)
	v_sub_nc_u32_e32 v32, 0, v30
	v_xor_b32_e32 v31, v28, v32
	v_cmp_ne_u32_e64 s5, v28, v32
	v_xor_b32_e32 v29, v29, v32
	v_xor_b32_e32 v27, v27, v32
	s_delay_alu instid0(VALU_DEP_4) | instskip(NEXT) | instid1(VALU_DEP_1)
	v_clz_i32_u32_e32 v35, v31
	v_add_nc_u32_e32 v34, 1, v35
	s_delay_alu instid0(VALU_DEP_1) | instskip(NEXT) | instid1(VALU_DEP_1)
	v_cndmask_b32_e64 v28, 33, v34, s5
	v_sub_nc_u32_e32 v33, 32, v28
	s_delay_alu instid0(VALU_DEP_1) | instskip(SKIP_2) | instid1(VALU_DEP_2)
	v_alignbit_b32 v31, v31, v29, v33
	v_alignbit_b32 v27, v29, v27, v33
	v_lshrrev_b32_e32 v29, 29, v1
	v_alignbit_b32 v32, v31, v27, 9
	s_delay_alu instid0(VALU_DEP_2) | instskip(SKIP_1) | instid1(VALU_DEP_3)
	v_lshlrev_b32_e32 v29, 31, v29
	v_alignbit_b32 v31, v28, v31, 9
	v_clz_i32_u32_e32 v33, v32
	s_delay_alu instid0(VALU_DEP_2) | instskip(SKIP_1) | instid1(VALU_DEP_3)
	v_or_b32_e32 v31, v31, v29
	v_or_b32_e32 v29, 0x33800000, v29
	v_min_u32_e32 v33, 32, v33
	s_delay_alu instid0(VALU_DEP_3) | instskip(NEXT) | instid1(VALU_DEP_2)
	v_xor_b32_e32 v31, 1.0, v31
	v_sub_nc_u32_e32 v34, 31, v33
	v_add_lshl_u32 v28, v33, v28, 23
	s_delay_alu instid0(VALU_DEP_3) | instskip(NEXT) | instid1(VALU_DEP_3)
	v_mul_f32_e32 v33, 0x3fc90fda, v31
	v_alignbit_b32 v27, v32, v27, v34
	s_delay_alu instid0(VALU_DEP_3) | instskip(NEXT) | instid1(VALU_DEP_3)
	v_sub_nc_u32_e32 v28, v29, v28
	v_fma_f32 v29, 0x3fc90fda, v31, -v33
	s_delay_alu instid0(VALU_DEP_3) | instskip(NEXT) | instid1(VALU_DEP_2)
	v_lshrrev_b32_e32 v27, 9, v27
	v_fmac_f32_e32 v29, 0x33a22168, v31
	s_delay_alu instid0(VALU_DEP_2) | instskip(NEXT) | instid1(VALU_DEP_1)
	v_or_b32_e32 v27, v28, v27
	v_fmac_f32_e32 v29, 0x3fc90fda, v27
	v_lshrrev_b32_e32 v27, 30, v1
	s_delay_alu instid0(VALU_DEP_2) | instskip(NEXT) | instid1(VALU_DEP_2)
	v_add_f32_e32 v1, v33, v29
	v_add_nc_u32_e32 v27, v30, v27
	s_and_not1_saveexec_b32 s5, s25
	s_cbranch_execz .LBB117_26
.LBB117_31:                             ;   in Loop: Header=BB117_4 Depth=1
	v_mul_f32_e64 v1, 0x3f22f983, |v19|
	s_delay_alu instid0(VALU_DEP_1) | instskip(NEXT) | instid1(VALU_DEP_1)
	v_rndne_f32_e32 v27, v1
	v_fma_f32 v1, 0xbfc90fda, v27, |v19|
	s_delay_alu instid0(VALU_DEP_1) | instskip(NEXT) | instid1(VALU_DEP_1)
	v_fmac_f32_e32 v1, 0xb3a22168, v27
	v_fmac_f32_e32 v1, 0xa7c234c4, v27
	v_cvt_i32_f32_e32 v27, v27
	s_or_b32 exec_lo, exec_lo, s5
	s_and_saveexec_b32 s5, s4
	s_delay_alu instid0(SALU_CYCLE_1)
	s_xor_b32 s5, exec_lo, s5
	s_cbranch_execz .LBB117_27
.LBB117_32:                             ;   in Loop: Header=BB117_4 Depth=1
	v_dual_mul_f32 v28, v15, v15 :: v_dual_lshlrev_b32 v31, 30, v18
	s_delay_alu instid0(VALU_DEP_1) | instskip(NEXT) | instid1(VALU_DEP_1)
	v_dual_fmaak_f32 v29, s23, v28, 0x3c0881c4 :: v_dual_and_b32 v18, 1, v18
	v_cmp_eq_u32_e64 s4, 0, v18
	s_delay_alu instid0(VALU_DEP_2) | instskip(NEXT) | instid1(VALU_DEP_1)
	v_fmaak_f32 v29, v28, v29, 0xbe2aaa9d
	v_dual_fmaak_f32 v30, s24, v28, 0xbab64f3b :: v_dual_mul_f32 v29, v28, v29
	s_delay_alu instid0(VALU_DEP_1) | instskip(NEXT) | instid1(VALU_DEP_1)
	v_dual_fmaak_f32 v30, v28, v30, 0x3d2aabf7 :: v_dual_fmac_f32 v15, v15, v29
	v_fmaak_f32 v30, v28, v30, 0xbf000004
	v_and_b32_e32 v29, 0x80000000, v31
	s_delay_alu instid0(VALU_DEP_2) | instskip(NEXT) | instid1(VALU_DEP_2)
	v_fma_f32 v28, v28, v30, 1.0
	v_xor_b32_e32 v14, v14, v29
	s_delay_alu instid0(VALU_DEP_2) | instskip(SKIP_1) | instid1(VALU_DEP_2)
	v_cndmask_b32_e64 v15, v28, v15, s4
	v_cmp_class_f32_e64 s4, v13, 0x1f8
	v_xor3_b32 v14, v14, v15, v13
	s_delay_alu instid0(VALU_DEP_1) | instskip(NEXT) | instid1(VALU_DEP_1)
	v_cndmask_b32_e64 v13, 0x7fc00000, v14, s4
	v_bfe_u32 v14, v13, 16, 1
	v_cmp_o_f32_e64 s4, v13, v13
	s_delay_alu instid0(VALU_DEP_2) | instskip(NEXT) | instid1(VALU_DEP_1)
	v_add3_u32 v14, v13, v14, 0x7fff
	v_lshrrev_b32_e32 v14, 16, v14
	s_delay_alu instid0(VALU_DEP_1)
	v_cndmask_b32_e64 v13, 0x7fc0, v14, s4
	global_store_b16 v[3:4], v13, off
	s_or_b32 exec_lo, exec_lo, s5
	s_and_saveexec_b32 s4, s3
	s_cbranch_execz .LBB117_28
.LBB117_33:                             ;   in Loop: Header=BB117_4 Depth=1
	v_dual_mul_f32 v13, v21, v21 :: v_dual_lshlrev_b32 v18, 30, v23
	s_delay_alu instid0(VALU_DEP_1) | instskip(NEXT) | instid1(VALU_DEP_1)
	v_dual_fmaak_f32 v14, s23, v13, 0x3c0881c4 :: v_dual_and_b32 v23, 1, v23
	v_cmp_eq_u32_e64 s3, 0, v23
	s_delay_alu instid0(VALU_DEP_2) | instskip(NEXT) | instid1(VALU_DEP_1)
	v_fmaak_f32 v14, v13, v14, 0xbe2aaa9d
	v_dual_fmaak_f32 v15, s24, v13, 0xbab64f3b :: v_dual_mul_f32 v14, v13, v14
	s_delay_alu instid0(VALU_DEP_1) | instskip(NEXT) | instid1(VALU_DEP_2)
	v_fmaak_f32 v15, v13, v15, 0x3d2aabf7
	v_fmac_f32_e32 v21, v21, v14
	s_delay_alu instid0(VALU_DEP_2) | instskip(SKIP_1) | instid1(VALU_DEP_2)
	v_fmaak_f32 v15, v13, v15, 0xbf000004
	v_and_b32_e32 v14, 0x80000000, v18
	v_fma_f32 v13, v13, v15, 1.0
	s_delay_alu instid0(VALU_DEP_2) | instskip(NEXT) | instid1(VALU_DEP_2)
	v_xor_b32_e32 v14, v17, v14
	v_cndmask_b32_e64 v13, v13, v21, s3
	v_cmp_class_f32_e64 s3, v16, 0x1f8
	s_delay_alu instid0(VALU_DEP_2) | instskip(NEXT) | instid1(VALU_DEP_1)
	v_xor3_b32 v13, v14, v13, v16
	v_cndmask_b32_e64 v13, 0x7fc00000, v13, s3
	s_delay_alu instid0(VALU_DEP_1) | instskip(SKIP_1) | instid1(VALU_DEP_2)
	v_bfe_u32 v14, v13, 16, 1
	v_cmp_o_f32_e64 s3, v13, v13
	v_add3_u32 v14, v13, v14, 0x7fff
	s_delay_alu instid0(VALU_DEP_1) | instskip(NEXT) | instid1(VALU_DEP_1)
	v_lshrrev_b32_e32 v14, 16, v14
	v_cndmask_b32_e64 v13, 0x7fc0, v14, s3
	global_store_b16 v[5:6], v13, off
	s_or_b32 exec_lo, exec_lo, s4
	s_and_saveexec_b32 s3, s2
	s_cbranch_execz .LBB117_29
.LBB117_34:                             ;   in Loop: Header=BB117_4 Depth=1
	v_dual_mul_f32 v13, v24, v24 :: v_dual_lshlrev_b32 v16, 30, v26
	s_delay_alu instid0(VALU_DEP_1) | instskip(NEXT) | instid1(VALU_DEP_2)
	v_dual_fmaak_f32 v14, s23, v13, 0x3c0881c4 :: v_dual_and_b32 v17, 1, v26
	v_and_b32_e32 v16, 0x80000000, v16
	s_delay_alu instid0(VALU_DEP_2) | instskip(NEXT) | instid1(VALU_DEP_3)
	v_cmp_eq_u32_e64 s2, 0, v17
	v_fmaak_f32 v14, v13, v14, 0xbe2aaa9d
	s_delay_alu instid0(VALU_DEP_1) | instskip(NEXT) | instid1(VALU_DEP_1)
	v_dual_fmaak_f32 v15, s24, v13, 0xbab64f3b :: v_dual_mul_f32 v14, v13, v14
	v_dual_fmaak_f32 v15, v13, v15, 0x3d2aabf7 :: v_dual_fmac_f32 v24, v24, v14
	s_delay_alu instid0(VALU_DEP_1) | instskip(SKIP_1) | instid1(VALU_DEP_2)
	v_fmaak_f32 v15, v13, v15, 0xbf000004
	v_xor_b32_e32 v14, v22, v16
	v_fma_f32 v13, v13, v15, 1.0
	s_delay_alu instid0(VALU_DEP_1) | instskip(SKIP_1) | instid1(VALU_DEP_2)
	v_cndmask_b32_e64 v13, v13, v24, s2
	v_cmp_class_f32_e64 s2, v20, 0x1f8
	v_xor3_b32 v13, v14, v13, v20
	s_delay_alu instid0(VALU_DEP_1) | instskip(NEXT) | instid1(VALU_DEP_1)
	v_cndmask_b32_e64 v13, 0x7fc00000, v13, s2
	v_bfe_u32 v14, v13, 16, 1
	v_cmp_o_f32_e64 s2, v13, v13
	s_delay_alu instid0(VALU_DEP_2) | instskip(NEXT) | instid1(VALU_DEP_1)
	v_add3_u32 v14, v13, v14, 0x7fff
	v_lshrrev_b32_e32 v14, 16, v14
	s_delay_alu instid0(VALU_DEP_1) | instskip(SKIP_1) | instid1(VALU_DEP_1)
	v_cndmask_b32_e64 v15, 0x7fc0, v14, s2
	v_add_co_u32 v13, s2, v3, s9
	v_add_co_ci_u32_e64 v14, s2, 0, v4, s2
	global_store_b16 v[13:14], v15, off
	s_or_b32 exec_lo, exec_lo, s3
	s_and_saveexec_b32 s2, vcc_lo
	s_cbranch_execz .LBB117_3
.LBB117_35:                             ;   in Loop: Header=BB117_4 Depth=1
	v_dual_mul_f32 v13, v1, v1 :: v_dual_lshlrev_b32 v16, 30, v27
	s_delay_alu instid0(VALU_DEP_1) | instskip(NEXT) | instid1(VALU_DEP_1)
	v_dual_fmaak_f32 v14, s23, v13, 0x3c0881c4 :: v_dual_and_b32 v17, 1, v27
	v_cmp_eq_u32_e32 vcc_lo, 0, v17
	s_delay_alu instid0(VALU_DEP_2) | instskip(NEXT) | instid1(VALU_DEP_1)
	v_fmaak_f32 v14, v13, v14, 0xbe2aaa9d
	v_dual_fmaak_f32 v15, s24, v13, 0xbab64f3b :: v_dual_mul_f32 v14, v13, v14
	s_delay_alu instid0(VALU_DEP_1) | instskip(NEXT) | instid1(VALU_DEP_2)
	v_fmaak_f32 v15, v13, v15, 0x3d2aabf7
	v_dual_fmac_f32 v1, v1, v14 :: v_dual_and_b32 v16, 0x80000000, v16
	s_delay_alu instid0(VALU_DEP_2) | instskip(NEXT) | instid1(VALU_DEP_2)
	v_fmaak_f32 v15, v13, v15, 0xbf000004
	v_xor_b32_e32 v14, v25, v16
	s_delay_alu instid0(VALU_DEP_2) | instskip(NEXT) | instid1(VALU_DEP_1)
	v_fma_f32 v13, v13, v15, 1.0
	v_cndmask_b32_e32 v1, v13, v1, vcc_lo
	v_cmp_class_f32_e64 vcc_lo, v19, 0x1f8
	s_delay_alu instid0(VALU_DEP_2) | instskip(NEXT) | instid1(VALU_DEP_1)
	v_xor3_b32 v1, v14, v1, v19
	v_cndmask_b32_e32 v1, 0x7fc00000, v1, vcc_lo
	s_delay_alu instid0(VALU_DEP_1) | instskip(SKIP_1) | instid1(VALU_DEP_2)
	v_bfe_u32 v13, v1, 16, 1
	v_cmp_o_f32_e32 vcc_lo, v1, v1
	v_add3_u32 v13, v1, v13, 0x7fff
	s_delay_alu instid0(VALU_DEP_1) | instskip(NEXT) | instid1(VALU_DEP_1)
	v_lshrrev_b32_e32 v13, 16, v13
	v_cndmask_b32_e32 v1, 0x7fc0, v13, vcc_lo
	v_add_co_u32 v13, vcc_lo, v3, s20
	v_add_co_ci_u32_e32 v14, vcc_lo, 0, v4, vcc_lo
	global_store_b16 v[13:14], v1, off
	s_branch .LBB117_3
.LBB117_36:
	s_cbranch_execz .LBB117_38
	s_branch .LBB117_57
.LBB117_37:
.LBB117_38:
	v_dual_mov_b32 v2, 0 :: v_dual_lshlrev_b32 v1, 2, v0
	s_mov_b32 s3, 0
	s_mov_b32 s2, exec_lo
	s_delay_alu instid0(VALU_DEP_1)
	v_cmpx_gt_i64_e64 s[10:11], v[1:2]
	s_cbranch_execz .LBB117_57
; %bb.39:
	s_load_b32 s0, s[0:1], 0xd3c
	s_mov_b32 s6, 0x7fffff
	s_mov_b32 s7, 0xb94c1982
	s_mov_b32 s8, 0x37d75334
	s_waitcnt lgkmcnt(0)
	s_and_b32 s0, s0, 0xffff
	s_add_u32 s1, s12, s14
	v_add_lshl_u32 v1, v0, s0, 2
	v_dual_mov_b32 v6, v2 :: v_dual_lshlrev_b32 v3, 3, v0
	s_addc_u32 s2, s13, s15
	s_lshl_b32 s4, s0, 3
	s_delay_alu instid0(VALU_DEP_2) | instskip(NEXT) | instid1(VALU_DEP_2)
	v_mov_b32_e32 v5, v1
	v_add_co_u32 v3, s1, s1, v3
	s_delay_alu instid0(VALU_DEP_1)
	v_add_co_ci_u32_e64 v4, null, s2, 0, s1
	s_lshl_b32 s5, s0, 2
	s_branch .LBB117_41
.LBB117_40:                             ;   in Loop: Header=BB117_41 Depth=1
	s_or_b32 exec_lo, exec_lo, s0
	v_dual_mul_f32 v21, v17, v17 :: v_dual_and_b32 v22, 1, v19
	v_lshlrev_b32_e32 v19, 30, v19
	v_dual_mul_f32 v23, v14, v14 :: v_dual_and_b32 v26, 1, v16
	s_delay_alu instid0(VALU_DEP_3) | instskip(SKIP_1) | instid1(VALU_DEP_3)
	v_dual_fmaak_f32 v24, s7, v21, 0x3c0881c4 :: v_dual_mul_f32 v27, v10, v10
	v_dual_fmaak_f32 v25, s8, v21, 0xbab64f3b :: v_dual_lshlrev_b32 v16, 30, v16
	v_dual_fmaak_f32 v29, s8, v23, 0xbab64f3b :: v_dual_mul_f32 v30, v1, v1
	s_delay_alu instid0(VALU_DEP_3) | instskip(SKIP_3) | instid1(VALU_DEP_4)
	v_fmaak_f32 v24, v21, v24, 0xbe2aaa9d
	v_cmp_eq_u32_e32 vcc_lo, 0, v22
	v_and_b32_e32 v19, 0x80000000, v19
	v_and_b32_e32 v16, 0x80000000, v16
	v_dual_fmaak_f32 v29, v23, v29, 0x3d2aabf7 :: v_dual_mul_f32 v24, v21, v24
	v_fmaak_f32 v28, s7, v23, 0x3c0881c4
	s_delay_alu instid0(VALU_DEP_4) | instskip(NEXT) | instid1(VALU_DEP_4)
	v_xor_b32_e32 v15, v15, v19
	v_xor_b32_e32 v13, v13, v16
	v_cmp_lt_u64_e64 s0, 0xffff, v[5:6]
	v_fmac_f32_e32 v17, v17, v24
	v_fmaak_f32 v28, v23, v28, 0xbe2aaa9d
	s_delay_alu instid0(VALU_DEP_1) | instskip(NEXT) | instid1(VALU_DEP_1)
	v_dual_fmaak_f32 v25, v21, v25, 0x3d2aabf7 :: v_dual_mul_f32 v24, v23, v28
	v_dual_fmaak_f32 v25, v21, v25, 0xbf000004 :: v_dual_fmac_f32 v14, v14, v24
	s_delay_alu instid0(VALU_DEP_1) | instskip(NEXT) | instid1(VALU_DEP_1)
	v_fma_f32 v21, v21, v25, 1.0
	v_cndmask_b32_e32 v17, v21, v17, vcc_lo
	v_fmaak_f32 v21, s7, v27, 0x3c0881c4
	v_cmp_eq_u32_e32 vcc_lo, 0, v26
	s_delay_alu instid0(VALU_DEP_3) | instskip(NEXT) | instid1(VALU_DEP_3)
	v_xor3_b32 v15, v15, v17, v7
	v_fmaak_f32 v17, v27, v21, 0xbe2aaa9d
	v_fmaak_f32 v21, s7, v30, 0x3c0881c4
	s_delay_alu instid0(VALU_DEP_2) | instskip(NEXT) | instid1(VALU_DEP_2)
	v_dual_fmaak_f32 v22, s8, v27, 0xbab64f3b :: v_dual_mul_f32 v17, v27, v17
	v_fmaak_f32 v16, v30, v21, 0xbe2aaa9d
	v_fmaak_f32 v25, v23, v29, 0xbf000004
	s_delay_alu instid0(VALU_DEP_3) | instskip(NEXT) | instid1(VALU_DEP_3)
	v_fmac_f32_e32 v10, v10, v17
	v_mul_f32_e32 v16, v30, v16
	s_delay_alu instid0(VALU_DEP_3) | instskip(NEXT) | instid1(VALU_DEP_1)
	v_fma_f32 v19, v23, v25, 1.0
	v_cndmask_b32_e32 v14, v19, v14, vcc_lo
	v_fmaak_f32 v19, v27, v22, 0x3d2aabf7
	v_fmaak_f32 v22, s8, v30, 0xbab64f3b
	s_delay_alu instid0(VALU_DEP_2) | instskip(NEXT) | instid1(VALU_DEP_1)
	v_fmaak_f32 v19, v27, v19, 0xbf000004
	v_fma_f32 v17, v27, v19, 1.0
	v_lshlrev_b32_e32 v19, 30, v11
	v_and_b32_e32 v11, 1, v11
	v_dual_fmaak_f32 v21, v30, v22, 0x3d2aabf7 :: v_dual_lshlrev_b32 v22, 30, v20
	v_and_b32_e32 v20, 1, v20
	v_xor3_b32 v13, v13, v14, v12
	s_delay_alu instid0(VALU_DEP_4) | instskip(NEXT) | instid1(VALU_DEP_4)
	v_cmp_eq_u32_e32 vcc_lo, 0, v11
	v_fmaak_f32 v21, v30, v21, 0xbf000004
	v_fmac_f32_e32 v1, v1, v16
	v_dual_cndmask_b32 v10, v17, v10 :: v_dual_and_b32 v19, 0x80000000, v19
	s_delay_alu instid0(VALU_DEP_3) | instskip(SKIP_2) | instid1(VALU_DEP_4)
	v_fma_f32 v16, v30, v21, 1.0
	v_cmp_eq_u32_e32 vcc_lo, 0, v20
	v_and_b32_e32 v21, 0x80000000, v22
	v_xor_b32_e32 v9, v9, v19
	s_delay_alu instid0(VALU_DEP_4) | instskip(SKIP_1) | instid1(VALU_DEP_4)
	v_cndmask_b32_e32 v1, v16, v1, vcc_lo
	v_cmp_class_f32_e64 vcc_lo, v7, 0x1f8
	v_xor_b32_e32 v11, v18, v21
	s_delay_alu instid0(VALU_DEP_4) | instskip(SKIP_2) | instid1(VALU_DEP_4)
	v_xor3_b32 v9, v9, v10, v0
	v_cndmask_b32_e32 v7, 0x7fc00000, v15, vcc_lo
	v_cmp_class_f32_e64 vcc_lo, v12, 0x1f8
	v_xor3_b32 v1, v11, v1, v8
	v_cndmask_b32_e32 v10, 0x7fc00000, v13, vcc_lo
	v_cmp_class_f32_e64 vcc_lo, v0, 0x1f8
	v_cndmask_b32_e32 v0, 0x7fc00000, v9, vcc_lo
	v_cmp_class_f32_e64 vcc_lo, v8, 0x1f8
	s_delay_alu instid0(VALU_DEP_4) | instskip(SKIP_1) | instid1(VALU_DEP_4)
	v_bfe_u32 v8, v10, 16, 1
	v_bfe_u32 v9, v7, 16, 1
	;; [unrolled: 1-line block ×3, first 2 shown]
	v_cndmask_b32_e32 v1, 0x7fc00000, v1, vcc_lo
	s_delay_alu instid0(VALU_DEP_4)
	v_add3_u32 v8, v10, v8, 0x7fff
	v_cmp_o_f32_e32 vcc_lo, v10, v10
	v_add3_u32 v9, v7, v9, 0x7fff
	v_add3_u32 v11, v0, v11, 0x7fff
	v_bfe_u32 v12, v1, 16, 1
	v_and_b32_e32 v8, 0xffff0000, v8
	s_delay_alu instid0(VALU_DEP_4) | instskip(NEXT) | instid1(VALU_DEP_4)
	v_lshrrev_b32_e32 v9, 16, v9
	v_lshrrev_b32_e32 v11, 16, v11
	s_delay_alu instid0(VALU_DEP_4) | instskip(NEXT) | instid1(VALU_DEP_4)
	v_add3_u32 v12, v1, v12, 0x7fff
	v_cndmask_b32_e32 v8, 0x7fc00000, v8, vcc_lo
	v_cmp_o_f32_e32 vcc_lo, v0, v0
	s_delay_alu instid0(VALU_DEP_3) | instskip(SKIP_2) | instid1(VALU_DEP_2)
	v_and_b32_e32 v12, 0xffff0000, v12
	v_cndmask_b32_e32 v0, 0x7fc0, v11, vcc_lo
	v_cmp_o_f32_e32 vcc_lo, v1, v1
	v_or_b32_e32 v0, v8, v0
	s_delay_alu instid0(VALU_DEP_4) | instskip(SKIP_1) | instid1(VALU_DEP_3)
	v_cndmask_b32_e32 v1, 0x7fc00000, v12, vcc_lo
	v_cmp_o_f32_e32 vcc_lo, v7, v7
	v_or3_b32 v0, v0, 0, 0
	v_cndmask_b32_e32 v7, 0x7fc0, v9, vcc_lo
	v_cmp_le_i64_e32 vcc_lo, s[10:11], v[5:6]
	s_delay_alu instid0(VALU_DEP_2) | instskip(SKIP_1) | instid1(SALU_CYCLE_1)
	v_or3_b32 v1, 0, v7, v1
	s_or_b32 s0, vcc_lo, s0
	s_and_b32 s0, exec_lo, s0
	global_store_b64 v[3:4], v[0:1], off
	v_add_co_u32 v3, vcc_lo, v3, s4
	v_add_co_ci_u32_e32 v4, vcc_lo, 0, v4, vcc_lo
	v_add_co_u32 v5, vcc_lo, v5, s5
	v_add_co_ci_u32_e32 v6, vcc_lo, 0, v6, vcc_lo
	s_or_b32 s3, s0, s3
	s_delay_alu instid0(SALU_CYCLE_1)
	s_and_not1_b32 exec_lo, exec_lo, s3
	s_cbranch_execz .LBB117_57
.LBB117_41:                             ; =>This Inner Loop Header: Depth=1
	global_load_b64 v[7:8], v[3:4], off
                                        ; implicit-def: $vgpr11
                                        ; implicit-def: $vgpr10
	s_mov_b32 s1, exec_lo
	s_waitcnt vmcnt(0)
	v_lshlrev_b32_e32 v0, 16, v7
	s_delay_alu instid0(VALU_DEP_1)
	v_and_b32_e32 v9, 0x7fffffff, v0
	v_cmpx_ngt_f32_e64 0x48000000, |v0|
	s_xor_b32 s9, exec_lo, s1
	s_cbranch_execz .LBB117_43
; %bb.42:                               ;   in Loop: Header=BB117_41 Depth=1
	s_delay_alu instid0(VALU_DEP_2) | instskip(SKIP_1) | instid1(VALU_DEP_2)
	v_and_or_b32 v18, v9, s6, 0x800000
	v_lshrrev_b32_e32 v15, 23, v9
	v_mad_u64_u32 v[10:11], null, 0xfe5163ab, v18, 0
	s_delay_alu instid0(VALU_DEP_2) | instskip(NEXT) | instid1(VALU_DEP_1)
	v_add_nc_u32_e32 v16, 0xffffff88, v15
	v_cmp_lt_u32_e32 vcc_lo, 63, v16
	s_delay_alu instid0(VALU_DEP_3) | instskip(SKIP_1) | instid1(VALU_DEP_2)
	v_mov_b32_e32 v1, v11
	v_cndmask_b32_e64 v17, 0, 0xffffffc0, vcc_lo
	v_mad_u64_u32 v[11:12], null, 0x3c439041, v18, v[1:2]
	s_delay_alu instid0(VALU_DEP_2) | instskip(NEXT) | instid1(VALU_DEP_2)
	v_add_nc_u32_e32 v17, v17, v16
	v_mov_b32_e32 v1, v12
	s_delay_alu instid0(VALU_DEP_2) | instskip(NEXT) | instid1(VALU_DEP_2)
	v_cmp_lt_u32_e64 s0, 31, v17
	v_mad_u64_u32 v[12:13], null, 0xdb629599, v18, v[1:2]
	s_delay_alu instid0(VALU_DEP_2) | instskip(NEXT) | instid1(VALU_DEP_1)
	v_cndmask_b32_e64 v19, 0, 0xffffffe0, s0
	v_add_nc_u32_e32 v19, v19, v17
	s_delay_alu instid0(VALU_DEP_3) | instskip(NEXT) | instid1(VALU_DEP_2)
	v_dual_mov_b32 v1, v13 :: v_dual_cndmask_b32 v10, v12, v10
	v_cmp_lt_u32_e64 s1, 31, v19
	s_delay_alu instid0(VALU_DEP_2) | instskip(NEXT) | instid1(VALU_DEP_1)
	v_mad_u64_u32 v[13:14], null, 0xf534ddc0, v18, v[1:2]
	v_mov_b32_e32 v1, v14
	s_delay_alu instid0(VALU_DEP_2) | instskip(NEXT) | instid1(VALU_DEP_2)
	v_cndmask_b32_e32 v11, v13, v11, vcc_lo
	v_mad_u64_u32 v[14:15], null, 0xfc2757d1, v18, v[1:2]
	s_delay_alu instid0(VALU_DEP_2) | instskip(NEXT) | instid1(VALU_DEP_2)
	v_cndmask_b32_e64 v10, v11, v10, s0
	v_mov_b32_e32 v1, v15
	s_delay_alu instid0(VALU_DEP_1) | instskip(NEXT) | instid1(VALU_DEP_1)
	v_mad_u64_u32 v[15:16], null, 0x4e441529, v18, v[1:2]
	v_mov_b32_e32 v1, v16
	s_delay_alu instid0(VALU_DEP_1) | instskip(SKIP_1) | instid1(VALU_DEP_1)
	v_mad_u64_u32 v[16:17], null, 0xa2f9836e, v18, v[1:2]
	v_cndmask_b32_e64 v1, 0, 0xffffffe0, s1
	v_dual_cndmask_b32 v18, v15, v13 :: v_dual_add_nc_u32 v1, v1, v19
	s_delay_alu instid0(VALU_DEP_3) | instskip(SKIP_1) | instid1(VALU_DEP_3)
	v_dual_cndmask_b32 v16, v16, v14 :: v_dual_cndmask_b32 v15, v17, v15
	v_cndmask_b32_e32 v14, v14, v12, vcc_lo
	v_sub_nc_u32_e32 v17, 32, v1
	s_delay_alu instid0(VALU_DEP_3) | instskip(NEXT) | instid1(VALU_DEP_4)
	v_cndmask_b32_e64 v13, v16, v18, s0
	v_cndmask_b32_e64 v15, v15, v16, s0
	s_delay_alu instid0(VALU_DEP_4) | instskip(SKIP_2) | instid1(VALU_DEP_4)
	v_cndmask_b32_e64 v16, v18, v14, s0
	v_cndmask_b32_e64 v14, v14, v11, s0
	v_cmp_eq_u32_e64 s2, 0, v1
	v_cndmask_b32_e64 v15, v15, v13, s1
	s_delay_alu instid0(VALU_DEP_4) | instskip(NEXT) | instid1(VALU_DEP_4)
	v_cndmask_b32_e64 v13, v13, v16, s1
	v_cndmask_b32_e64 v16, v16, v14, s1
	;; [unrolled: 1-line block ×3, first 2 shown]
	s_delay_alu instid0(VALU_DEP_3) | instskip(NEXT) | instid1(VALU_DEP_3)
	v_alignbit_b32 v18, v15, v13, v17
	v_alignbit_b32 v19, v13, v16, v17
	s_delay_alu instid0(VALU_DEP_3) | instskip(NEXT) | instid1(VALU_DEP_3)
	v_alignbit_b32 v17, v16, v10, v17
	v_cndmask_b32_e64 v1, v18, v15, s2
	s_delay_alu instid0(VALU_DEP_3) | instskip(NEXT) | instid1(VALU_DEP_3)
	v_cndmask_b32_e64 v12, v19, v13, s2
	v_cndmask_b32_e64 v16, v17, v16, s2
	s_delay_alu instid0(VALU_DEP_3) | instskip(NEXT) | instid1(VALU_DEP_3)
	v_bfe_u32 v13, v1, 29, 1
	v_alignbit_b32 v11, v1, v12, 30
	s_delay_alu instid0(VALU_DEP_3) | instskip(SKIP_1) | instid1(VALU_DEP_4)
	v_alignbit_b32 v12, v12, v16, 30
	v_alignbit_b32 v10, v16, v10, 30
	v_sub_nc_u32_e32 v15, 0, v13
	s_delay_alu instid0(VALU_DEP_1) | instskip(SKIP_3) | instid1(VALU_DEP_4)
	v_xor_b32_e32 v14, v11, v15
	v_cmp_ne_u32_e32 vcc_lo, v11, v15
	v_xor_b32_e32 v12, v12, v15
	v_xor_b32_e32 v10, v10, v15
	v_clz_i32_u32_e32 v18, v14
	s_delay_alu instid0(VALU_DEP_1) | instskip(NEXT) | instid1(VALU_DEP_1)
	v_add_nc_u32_e32 v17, 1, v18
	v_cndmask_b32_e32 v11, 33, v17, vcc_lo
	s_delay_alu instid0(VALU_DEP_1) | instskip(NEXT) | instid1(VALU_DEP_1)
	v_sub_nc_u32_e32 v16, 32, v11
	v_alignbit_b32 v14, v14, v12, v16
	v_alignbit_b32 v10, v12, v10, v16
	v_lshrrev_b32_e32 v12, 29, v1
	v_lshrrev_b32_e32 v1, 30, v1
	s_delay_alu instid0(VALU_DEP_3) | instskip(NEXT) | instid1(VALU_DEP_3)
	v_alignbit_b32 v15, v14, v10, 9
	v_lshlrev_b32_e32 v12, 31, v12
	v_alignbit_b32 v14, v11, v14, 9
	s_delay_alu instid0(VALU_DEP_3) | instskip(NEXT) | instid1(VALU_DEP_2)
	v_clz_i32_u32_e32 v16, v15
	v_or_b32_e32 v14, v14, v12
	v_or_b32_e32 v12, 0x33800000, v12
	s_delay_alu instid0(VALU_DEP_3) | instskip(NEXT) | instid1(VALU_DEP_3)
	v_min_u32_e32 v16, 32, v16
	v_xor_b32_e32 v14, 1.0, v14
	s_delay_alu instid0(VALU_DEP_2) | instskip(SKIP_1) | instid1(VALU_DEP_3)
	v_sub_nc_u32_e32 v17, 31, v16
	v_add_lshl_u32 v11, v16, v11, 23
	v_mul_f32_e32 v16, 0x3fc90fda, v14
	s_delay_alu instid0(VALU_DEP_3) | instskip(NEXT) | instid1(VALU_DEP_3)
	v_alignbit_b32 v10, v15, v10, v17
	v_sub_nc_u32_e32 v11, v12, v11
	s_delay_alu instid0(VALU_DEP_3) | instskip(NEXT) | instid1(VALU_DEP_3)
	v_fma_f32 v12, 0x3fc90fda, v14, -v16
	v_lshrrev_b32_e32 v10, 9, v10
	s_delay_alu instid0(VALU_DEP_2) | instskip(NEXT) | instid1(VALU_DEP_2)
	v_fmac_f32_e32 v12, 0x33a22168, v14
	v_or_b32_e32 v10, v11, v10
	s_delay_alu instid0(VALU_DEP_1) | instskip(NEXT) | instid1(VALU_DEP_1)
	v_dual_fmac_f32 v12, 0x3fc90fda, v10 :: v_dual_add_nc_u32 v11, v13, v1
	v_add_f32_e32 v10, v16, v12
.LBB117_43:                             ;   in Loop: Header=BB117_41 Depth=1
	s_and_not1_saveexec_b32 s0, s9
; %bb.44:                               ;   in Loop: Header=BB117_41 Depth=1
	v_mul_f32_e64 v1, 0x3f22f983, |v0|
	s_delay_alu instid0(VALU_DEP_1) | instskip(NEXT) | instid1(VALU_DEP_1)
	v_rndne_f32_e32 v1, v1
	v_fma_f32 v10, 0xbfc90fda, v1, |v0|
	v_cvt_i32_f32_e32 v11, v1
	s_delay_alu instid0(VALU_DEP_2) | instskip(NEXT) | instid1(VALU_DEP_1)
	v_fmac_f32_e32 v10, 0xb3a22168, v1
	v_fmac_f32_e32 v10, 0xa7c234c4, v1
; %bb.45:                               ;   in Loop: Header=BB117_41 Depth=1
	s_or_b32 exec_lo, exec_lo, s0
	v_and_b32_e32 v12, 0xffff0000, v7
                                        ; implicit-def: $vgpr16
                                        ; implicit-def: $vgpr14
	s_mov_b32 s1, exec_lo
	s_delay_alu instid0(VALU_DEP_1)
	v_and_b32_e32 v13, 0x7fffffff, v12
	v_cmpx_ngt_f32_e64 0x48000000, |v12|
	s_xor_b32 s9, exec_lo, s1
	s_cbranch_execz .LBB117_47
; %bb.46:                               ;   in Loop: Header=BB117_41 Depth=1
	s_delay_alu instid0(VALU_DEP_2) | instskip(SKIP_1) | instid1(VALU_DEP_2)
	v_and_or_b32 v22, v13, s6, 0x800000
	v_lshrrev_b32_e32 v19, 23, v13
	v_mad_u64_u32 v[14:15], null, 0xfe5163ab, v22, 0
	s_delay_alu instid0(VALU_DEP_2) | instskip(NEXT) | instid1(VALU_DEP_1)
	v_add_nc_u32_e32 v20, 0xffffff88, v19
	v_cmp_lt_u32_e32 vcc_lo, 63, v20
	s_delay_alu instid0(VALU_DEP_3) | instskip(SKIP_1) | instid1(VALU_DEP_2)
	v_mov_b32_e32 v1, v15
	v_cndmask_b32_e64 v21, 0, 0xffffffc0, vcc_lo
	v_mad_u64_u32 v[15:16], null, 0x3c439041, v22, v[1:2]
	s_delay_alu instid0(VALU_DEP_2) | instskip(NEXT) | instid1(VALU_DEP_2)
	v_add_nc_u32_e32 v21, v21, v20
	v_mov_b32_e32 v1, v16
	s_delay_alu instid0(VALU_DEP_2) | instskip(NEXT) | instid1(VALU_DEP_2)
	v_cmp_lt_u32_e64 s0, 31, v21
	v_mad_u64_u32 v[16:17], null, 0xdb629599, v22, v[1:2]
	s_delay_alu instid0(VALU_DEP_2) | instskip(NEXT) | instid1(VALU_DEP_1)
	v_cndmask_b32_e64 v23, 0, 0xffffffe0, s0
	v_add_nc_u32_e32 v23, v23, v21
	s_delay_alu instid0(VALU_DEP_3) | instskip(NEXT) | instid1(VALU_DEP_2)
	v_dual_mov_b32 v1, v17 :: v_dual_cndmask_b32 v14, v16, v14
	v_cmp_lt_u32_e64 s1, 31, v23
	s_delay_alu instid0(VALU_DEP_2) | instskip(NEXT) | instid1(VALU_DEP_1)
	v_mad_u64_u32 v[17:18], null, 0xf534ddc0, v22, v[1:2]
	v_mov_b32_e32 v1, v18
	s_delay_alu instid0(VALU_DEP_2) | instskip(NEXT) | instid1(VALU_DEP_2)
	v_cndmask_b32_e32 v15, v17, v15, vcc_lo
	v_mad_u64_u32 v[18:19], null, 0xfc2757d1, v22, v[1:2]
	s_delay_alu instid0(VALU_DEP_2) | instskip(NEXT) | instid1(VALU_DEP_2)
	v_cndmask_b32_e64 v14, v15, v14, s0
	v_mov_b32_e32 v1, v19
	s_delay_alu instid0(VALU_DEP_1) | instskip(NEXT) | instid1(VALU_DEP_1)
	v_mad_u64_u32 v[19:20], null, 0x4e441529, v22, v[1:2]
	v_mov_b32_e32 v1, v20
	s_delay_alu instid0(VALU_DEP_1) | instskip(SKIP_1) | instid1(VALU_DEP_1)
	v_mad_u64_u32 v[20:21], null, 0xa2f9836e, v22, v[1:2]
	v_cndmask_b32_e64 v1, 0, 0xffffffe0, s1
	v_dual_cndmask_b32 v22, v19, v17 :: v_dual_add_nc_u32 v1, v1, v23
	s_delay_alu instid0(VALU_DEP_3) | instskip(SKIP_1) | instid1(VALU_DEP_3)
	v_dual_cndmask_b32 v20, v20, v18 :: v_dual_cndmask_b32 v19, v21, v19
	v_cndmask_b32_e32 v18, v18, v16, vcc_lo
	v_sub_nc_u32_e32 v21, 32, v1
	s_delay_alu instid0(VALU_DEP_3) | instskip(NEXT) | instid1(VALU_DEP_4)
	v_cndmask_b32_e64 v17, v20, v22, s0
	v_cndmask_b32_e64 v19, v19, v20, s0
	s_delay_alu instid0(VALU_DEP_4) | instskip(SKIP_2) | instid1(VALU_DEP_4)
	v_cndmask_b32_e64 v20, v22, v18, s0
	v_cndmask_b32_e64 v18, v18, v15, s0
	v_cmp_eq_u32_e64 s2, 0, v1
	v_cndmask_b32_e64 v19, v19, v17, s1
	s_delay_alu instid0(VALU_DEP_4) | instskip(NEXT) | instid1(VALU_DEP_4)
	v_cndmask_b32_e64 v17, v17, v20, s1
	v_cndmask_b32_e64 v20, v20, v18, s1
	;; [unrolled: 1-line block ×3, first 2 shown]
	s_delay_alu instid0(VALU_DEP_3) | instskip(NEXT) | instid1(VALU_DEP_3)
	v_alignbit_b32 v22, v19, v17, v21
	v_alignbit_b32 v23, v17, v20, v21
	s_delay_alu instid0(VALU_DEP_3) | instskip(NEXT) | instid1(VALU_DEP_3)
	v_alignbit_b32 v21, v20, v14, v21
	v_cndmask_b32_e64 v1, v22, v19, s2
	s_delay_alu instid0(VALU_DEP_3) | instskip(NEXT) | instid1(VALU_DEP_3)
	v_cndmask_b32_e64 v16, v23, v17, s2
	v_cndmask_b32_e64 v20, v21, v20, s2
	s_delay_alu instid0(VALU_DEP_3) | instskip(NEXT) | instid1(VALU_DEP_3)
	v_bfe_u32 v17, v1, 29, 1
	v_alignbit_b32 v15, v1, v16, 30
	s_delay_alu instid0(VALU_DEP_3) | instskip(SKIP_1) | instid1(VALU_DEP_4)
	v_alignbit_b32 v16, v16, v20, 30
	v_alignbit_b32 v14, v20, v14, 30
	v_sub_nc_u32_e32 v19, 0, v17
	s_delay_alu instid0(VALU_DEP_1) | instskip(SKIP_3) | instid1(VALU_DEP_4)
	v_xor_b32_e32 v18, v15, v19
	v_cmp_ne_u32_e32 vcc_lo, v15, v19
	v_xor_b32_e32 v16, v16, v19
	v_xor_b32_e32 v14, v14, v19
	v_clz_i32_u32_e32 v22, v18
	s_delay_alu instid0(VALU_DEP_1) | instskip(NEXT) | instid1(VALU_DEP_1)
	v_add_nc_u32_e32 v21, 1, v22
	v_cndmask_b32_e32 v15, 33, v21, vcc_lo
	s_delay_alu instid0(VALU_DEP_1) | instskip(NEXT) | instid1(VALU_DEP_1)
	v_sub_nc_u32_e32 v20, 32, v15
	v_alignbit_b32 v18, v18, v16, v20
	v_alignbit_b32 v14, v16, v14, v20
	v_lshrrev_b32_e32 v16, 29, v1
	v_lshrrev_b32_e32 v1, 30, v1
	s_delay_alu instid0(VALU_DEP_3) | instskip(NEXT) | instid1(VALU_DEP_3)
	v_alignbit_b32 v19, v18, v14, 9
	v_lshlrev_b32_e32 v16, 31, v16
	v_alignbit_b32 v18, v15, v18, 9
	s_delay_alu instid0(VALU_DEP_3) | instskip(NEXT) | instid1(VALU_DEP_2)
	v_clz_i32_u32_e32 v20, v19
	v_or_b32_e32 v18, v18, v16
	v_or_b32_e32 v16, 0x33800000, v16
	s_delay_alu instid0(VALU_DEP_3) | instskip(NEXT) | instid1(VALU_DEP_3)
	v_min_u32_e32 v20, 32, v20
	v_xor_b32_e32 v18, 1.0, v18
	s_delay_alu instid0(VALU_DEP_2) | instskip(SKIP_1) | instid1(VALU_DEP_3)
	v_sub_nc_u32_e32 v21, 31, v20
	v_add_lshl_u32 v15, v20, v15, 23
	v_mul_f32_e32 v20, 0x3fc90fda, v18
	s_delay_alu instid0(VALU_DEP_3) | instskip(NEXT) | instid1(VALU_DEP_3)
	v_alignbit_b32 v14, v19, v14, v21
	v_sub_nc_u32_e32 v15, v16, v15
	s_delay_alu instid0(VALU_DEP_3) | instskip(NEXT) | instid1(VALU_DEP_3)
	v_fma_f32 v16, 0x3fc90fda, v18, -v20
	v_lshrrev_b32_e32 v14, 9, v14
	s_delay_alu instid0(VALU_DEP_2) | instskip(NEXT) | instid1(VALU_DEP_2)
	v_fmac_f32_e32 v16, 0x33a22168, v18
	v_or_b32_e32 v14, v15, v14
	s_delay_alu instid0(VALU_DEP_1) | instskip(NEXT) | instid1(VALU_DEP_1)
	v_fmac_f32_e32 v16, 0x3fc90fda, v14
	v_add_f32_e32 v14, v20, v16
	v_add_nc_u32_e32 v16, v17, v1
.LBB117_47:                             ;   in Loop: Header=BB117_41 Depth=1
	s_and_not1_saveexec_b32 s0, s9
; %bb.48:                               ;   in Loop: Header=BB117_41 Depth=1
	v_mul_f32_e64 v1, 0x3f22f983, |v12|
	s_delay_alu instid0(VALU_DEP_1) | instskip(NEXT) | instid1(VALU_DEP_1)
	v_rndne_f32_e32 v1, v1
	v_fma_f32 v14, 0xbfc90fda, v1, |v12|
	v_cvt_i32_f32_e32 v16, v1
	s_delay_alu instid0(VALU_DEP_2) | instskip(NEXT) | instid1(VALU_DEP_1)
	v_fmac_f32_e32 v14, 0xb3a22168, v1
	v_fmac_f32_e32 v14, 0xa7c234c4, v1
; %bb.49:                               ;   in Loop: Header=BB117_41 Depth=1
	s_or_b32 exec_lo, exec_lo, s0
	v_alignbit_b32 v1, v8, v7, 16
                                        ; implicit-def: $vgpr19
                                        ; implicit-def: $vgpr17
	s_mov_b32 s1, exec_lo
	s_delay_alu instid0(VALU_DEP_1) | instskip(NEXT) | instid1(VALU_DEP_1)
	v_and_b32_e32 v7, 0xffff0000, v1
	v_and_b32_e32 v15, 0x7fffffff, v7
	v_cmpx_ngt_f32_e64 0x48000000, |v7|
	s_xor_b32 s9, exec_lo, s1
	s_cbranch_execz .LBB117_51
; %bb.50:                               ;   in Loop: Header=BB117_41 Depth=1
	s_delay_alu instid0(VALU_DEP_2) | instskip(SKIP_1) | instid1(VALU_DEP_2)
	v_lshrrev_b32_e32 v22, 23, v15
	v_and_or_b32 v25, v15, s6, 0x800000
	v_add_nc_u32_e32 v23, 0xffffff88, v22
	s_delay_alu instid0(VALU_DEP_2) | instskip(NEXT) | instid1(VALU_DEP_2)
	v_mad_u64_u32 v[17:18], null, 0xfe5163ab, v25, 0
	v_cmp_lt_u32_e32 vcc_lo, 63, v23
	v_cndmask_b32_e64 v24, 0, 0xffffffc0, vcc_lo
	s_delay_alu instid0(VALU_DEP_1) | instskip(NEXT) | instid1(VALU_DEP_1)
	v_dual_mov_b32 v1, v18 :: v_dual_add_nc_u32 v24, v24, v23
	v_mad_u64_u32 v[18:19], null, 0x3c439041, v25, v[1:2]
	s_delay_alu instid0(VALU_DEP_2) | instskip(NEXT) | instid1(VALU_DEP_1)
	v_cmp_lt_u32_e64 s0, 31, v24
	v_cndmask_b32_e64 v26, 0, 0xffffffe0, s0
	s_delay_alu instid0(VALU_DEP_1) | instskip(NEXT) | instid1(VALU_DEP_1)
	v_dual_mov_b32 v1, v19 :: v_dual_add_nc_u32 v26, v26, v24
	v_mad_u64_u32 v[19:20], null, 0xdb629599, v25, v[1:2]
	s_delay_alu instid0(VALU_DEP_2) | instskip(NEXT) | instid1(VALU_DEP_2)
	v_cmp_lt_u32_e64 s1, 31, v26
	v_mov_b32_e32 v1, v20
	s_delay_alu instid0(VALU_DEP_3) | instskip(NEXT) | instid1(VALU_DEP_2)
	v_cndmask_b32_e32 v17, v19, v17, vcc_lo
	v_mad_u64_u32 v[20:21], null, 0xf534ddc0, v25, v[1:2]
	s_delay_alu instid0(VALU_DEP_1) | instskip(NEXT) | instid1(VALU_DEP_1)
	v_dual_mov_b32 v1, v21 :: v_dual_cndmask_b32 v18, v20, v18
	v_mad_u64_u32 v[21:22], null, 0xfc2757d1, v25, v[1:2]
	s_delay_alu instid0(VALU_DEP_2) | instskip(NEXT) | instid1(VALU_DEP_2)
	v_cndmask_b32_e64 v17, v18, v17, s0
	v_mov_b32_e32 v1, v22
	s_delay_alu instid0(VALU_DEP_1) | instskip(NEXT) | instid1(VALU_DEP_1)
	v_mad_u64_u32 v[22:23], null, 0x4e441529, v25, v[1:2]
	v_mov_b32_e32 v1, v23
	s_delay_alu instid0(VALU_DEP_1) | instskip(SKIP_1) | instid1(VALU_DEP_4)
	v_mad_u64_u32 v[23:24], null, 0xa2f9836e, v25, v[1:2]
	v_cndmask_b32_e64 v1, 0, 0xffffffe0, s1
	v_cndmask_b32_e32 v25, v22, v20, vcc_lo
	s_delay_alu instid0(VALU_DEP_2) | instskip(NEXT) | instid1(VALU_DEP_4)
	v_add_nc_u32_e32 v1, v1, v26
	v_dual_cndmask_b32 v23, v23, v21 :: v_dual_cndmask_b32 v22, v24, v22
	v_cndmask_b32_e32 v21, v21, v19, vcc_lo
	s_delay_alu instid0(VALU_DEP_3) | instskip(NEXT) | instid1(VALU_DEP_3)
	v_sub_nc_u32_e32 v24, 32, v1
	v_cndmask_b32_e64 v20, v23, v25, s0
	s_delay_alu instid0(VALU_DEP_4) | instskip(NEXT) | instid1(VALU_DEP_4)
	v_cndmask_b32_e64 v22, v22, v23, s0
	v_cndmask_b32_e64 v23, v25, v21, s0
	;; [unrolled: 1-line block ×3, first 2 shown]
	v_cmp_eq_u32_e64 s2, 0, v1
	s_delay_alu instid0(VALU_DEP_4) | instskip(NEXT) | instid1(VALU_DEP_4)
	v_cndmask_b32_e64 v22, v22, v20, s1
	v_cndmask_b32_e64 v20, v20, v23, s1
	s_delay_alu instid0(VALU_DEP_4) | instskip(SKIP_1) | instid1(VALU_DEP_3)
	v_cndmask_b32_e64 v23, v23, v21, s1
	v_cndmask_b32_e64 v17, v21, v17, s1
	v_alignbit_b32 v25, v22, v20, v24
	s_delay_alu instid0(VALU_DEP_3) | instskip(NEXT) | instid1(VALU_DEP_3)
	v_alignbit_b32 v26, v20, v23, v24
	v_alignbit_b32 v24, v23, v17, v24
	s_delay_alu instid0(VALU_DEP_3) | instskip(NEXT) | instid1(VALU_DEP_3)
	v_cndmask_b32_e64 v1, v25, v22, s2
	v_cndmask_b32_e64 v19, v26, v20, s2
	s_delay_alu instid0(VALU_DEP_3) | instskip(NEXT) | instid1(VALU_DEP_3)
	v_cndmask_b32_e64 v23, v24, v23, s2
	v_bfe_u32 v20, v1, 29, 1
	s_delay_alu instid0(VALU_DEP_3) | instskip(NEXT) | instid1(VALU_DEP_3)
	v_alignbit_b32 v18, v1, v19, 30
	v_alignbit_b32 v19, v19, v23, 30
	;; [unrolled: 1-line block ×3, first 2 shown]
	s_delay_alu instid0(VALU_DEP_4) | instskip(NEXT) | instid1(VALU_DEP_1)
	v_sub_nc_u32_e32 v22, 0, v20
	v_xor_b32_e32 v21, v18, v22
	v_cmp_ne_u32_e32 vcc_lo, v18, v22
	v_xor_b32_e32 v19, v19, v22
	v_xor_b32_e32 v17, v17, v22
	s_delay_alu instid0(VALU_DEP_4) | instskip(NEXT) | instid1(VALU_DEP_1)
	v_clz_i32_u32_e32 v25, v21
	v_add_nc_u32_e32 v24, 1, v25
	s_delay_alu instid0(VALU_DEP_1) | instskip(NEXT) | instid1(VALU_DEP_1)
	v_cndmask_b32_e32 v18, 33, v24, vcc_lo
	v_sub_nc_u32_e32 v23, 32, v18
	s_delay_alu instid0(VALU_DEP_1) | instskip(SKIP_3) | instid1(VALU_DEP_3)
	v_alignbit_b32 v21, v21, v19, v23
	v_alignbit_b32 v17, v19, v17, v23
	v_lshrrev_b32_e32 v19, 29, v1
	v_lshrrev_b32_e32 v1, 30, v1
	v_alignbit_b32 v22, v21, v17, 9
	s_delay_alu instid0(VALU_DEP_3) | instskip(SKIP_1) | instid1(VALU_DEP_3)
	v_lshlrev_b32_e32 v19, 31, v19
	v_alignbit_b32 v21, v18, v21, 9
	v_clz_i32_u32_e32 v23, v22
	s_delay_alu instid0(VALU_DEP_2) | instskip(SKIP_1) | instid1(VALU_DEP_3)
	v_or_b32_e32 v21, v21, v19
	v_or_b32_e32 v19, 0x33800000, v19
	v_min_u32_e32 v23, 32, v23
	s_delay_alu instid0(VALU_DEP_3) | instskip(NEXT) | instid1(VALU_DEP_2)
	v_xor_b32_e32 v21, 1.0, v21
	v_sub_nc_u32_e32 v24, 31, v23
	v_add_lshl_u32 v18, v23, v18, 23
	s_delay_alu instid0(VALU_DEP_3) | instskip(NEXT) | instid1(VALU_DEP_3)
	v_mul_f32_e32 v23, 0x3fc90fda, v21
	v_alignbit_b32 v17, v22, v17, v24
	s_delay_alu instid0(VALU_DEP_3) | instskip(NEXT) | instid1(VALU_DEP_3)
	v_sub_nc_u32_e32 v18, v19, v18
	v_fma_f32 v19, 0x3fc90fda, v21, -v23
	s_delay_alu instid0(VALU_DEP_3) | instskip(NEXT) | instid1(VALU_DEP_2)
	v_lshrrev_b32_e32 v17, 9, v17
	v_fmac_f32_e32 v19, 0x33a22168, v21
	s_delay_alu instid0(VALU_DEP_2) | instskip(NEXT) | instid1(VALU_DEP_1)
	v_or_b32_e32 v17, v18, v17
	v_fmac_f32_e32 v19, 0x3fc90fda, v17
	s_delay_alu instid0(VALU_DEP_1)
	v_add_f32_e32 v17, v23, v19
	v_add_nc_u32_e32 v19, v20, v1
.LBB117_51:                             ;   in Loop: Header=BB117_41 Depth=1
	s_and_not1_saveexec_b32 s0, s9
; %bb.52:                               ;   in Loop: Header=BB117_41 Depth=1
	v_mul_f32_e64 v1, 0x3f22f983, |v7|
	s_delay_alu instid0(VALU_DEP_1) | instskip(NEXT) | instid1(VALU_DEP_1)
	v_rndne_f32_e32 v1, v1
	v_fma_f32 v17, 0xbfc90fda, v1, |v7|
	v_cvt_i32_f32_e32 v19, v1
	s_delay_alu instid0(VALU_DEP_2) | instskip(NEXT) | instid1(VALU_DEP_1)
	v_fmac_f32_e32 v17, 0xb3a22168, v1
	v_fmac_f32_e32 v17, 0xa7c234c4, v1
; %bb.53:                               ;   in Loop: Header=BB117_41 Depth=1
	s_or_b32 exec_lo, exec_lo, s0
	v_and_b32_e32 v8, 0xffff0000, v8
                                        ; implicit-def: $vgpr20
                                        ; implicit-def: $vgpr1
	s_mov_b32 s1, exec_lo
	s_delay_alu instid0(VALU_DEP_1)
	v_and_b32_e32 v18, 0x7fffffff, v8
	v_cmpx_ngt_f32_e64 0x48000000, |v8|
	s_xor_b32 s9, exec_lo, s1
	s_cbranch_execz .LBB117_55
; %bb.54:                               ;   in Loop: Header=BB117_41 Depth=1
	s_delay_alu instid0(VALU_DEP_2) | instskip(SKIP_1) | instid1(VALU_DEP_2)
	v_and_or_b32 v28, v18, s6, 0x800000
	v_lshrrev_b32_e32 v25, 23, v18
	v_mad_u64_u32 v[20:21], null, 0xfe5163ab, v28, 0
	s_delay_alu instid0(VALU_DEP_2) | instskip(NEXT) | instid1(VALU_DEP_1)
	v_add_nc_u32_e32 v26, 0xffffff88, v25
	v_cmp_lt_u32_e32 vcc_lo, 63, v26
	s_delay_alu instid0(VALU_DEP_3) | instskip(SKIP_1) | instid1(VALU_DEP_2)
	v_mov_b32_e32 v1, v21
	v_cndmask_b32_e64 v27, 0, 0xffffffc0, vcc_lo
	v_mad_u64_u32 v[21:22], null, 0x3c439041, v28, v[1:2]
	s_delay_alu instid0(VALU_DEP_2) | instskip(NEXT) | instid1(VALU_DEP_2)
	v_add_nc_u32_e32 v27, v27, v26
	v_mov_b32_e32 v1, v22
	s_delay_alu instid0(VALU_DEP_2) | instskip(NEXT) | instid1(VALU_DEP_2)
	v_cmp_lt_u32_e64 s0, 31, v27
	v_mad_u64_u32 v[22:23], null, 0xdb629599, v28, v[1:2]
	s_delay_alu instid0(VALU_DEP_2) | instskip(NEXT) | instid1(VALU_DEP_1)
	v_cndmask_b32_e64 v29, 0, 0xffffffe0, s0
	v_add_nc_u32_e32 v29, v29, v27
	s_delay_alu instid0(VALU_DEP_3) | instskip(NEXT) | instid1(VALU_DEP_2)
	v_dual_mov_b32 v1, v23 :: v_dual_cndmask_b32 v20, v22, v20
	v_cmp_lt_u32_e64 s1, 31, v29
	s_delay_alu instid0(VALU_DEP_2) | instskip(NEXT) | instid1(VALU_DEP_1)
	v_mad_u64_u32 v[23:24], null, 0xf534ddc0, v28, v[1:2]
	v_mov_b32_e32 v1, v24
	s_delay_alu instid0(VALU_DEP_2) | instskip(NEXT) | instid1(VALU_DEP_2)
	v_cndmask_b32_e32 v21, v23, v21, vcc_lo
	v_mad_u64_u32 v[24:25], null, 0xfc2757d1, v28, v[1:2]
	s_delay_alu instid0(VALU_DEP_2) | instskip(NEXT) | instid1(VALU_DEP_2)
	v_cndmask_b32_e64 v20, v21, v20, s0
	v_mov_b32_e32 v1, v25
	s_delay_alu instid0(VALU_DEP_1) | instskip(NEXT) | instid1(VALU_DEP_1)
	v_mad_u64_u32 v[25:26], null, 0x4e441529, v28, v[1:2]
	v_mov_b32_e32 v1, v26
	s_delay_alu instid0(VALU_DEP_1) | instskip(SKIP_1) | instid1(VALU_DEP_4)
	v_mad_u64_u32 v[26:27], null, 0xa2f9836e, v28, v[1:2]
	v_cndmask_b32_e64 v1, 0, 0xffffffe0, s1
	v_cndmask_b32_e32 v28, v25, v23, vcc_lo
	s_delay_alu instid0(VALU_DEP_2) | instskip(NEXT) | instid1(VALU_DEP_4)
	v_dual_cndmask_b32 v26, v26, v24 :: v_dual_add_nc_u32 v1, v1, v29
	v_dual_cndmask_b32 v25, v27, v25 :: v_dual_cndmask_b32 v24, v24, v22
	s_delay_alu instid0(VALU_DEP_2) | instskip(NEXT) | instid1(VALU_DEP_3)
	v_sub_nc_u32_e32 v27, 32, v1
	v_cndmask_b32_e64 v23, v26, v28, s0
	s_delay_alu instid0(VALU_DEP_3) | instskip(NEXT) | instid1(VALU_DEP_4)
	v_cndmask_b32_e64 v25, v25, v26, s0
	v_cndmask_b32_e64 v26, v28, v24, s0
	;; [unrolled: 1-line block ×3, first 2 shown]
	v_cmp_eq_u32_e64 s2, 0, v1
	s_delay_alu instid0(VALU_DEP_4) | instskip(NEXT) | instid1(VALU_DEP_4)
	v_cndmask_b32_e64 v25, v25, v23, s1
	v_cndmask_b32_e64 v23, v23, v26, s1
	s_delay_alu instid0(VALU_DEP_4) | instskip(SKIP_1) | instid1(VALU_DEP_3)
	v_cndmask_b32_e64 v26, v26, v24, s1
	v_cndmask_b32_e64 v20, v24, v20, s1
	v_alignbit_b32 v28, v25, v23, v27
	s_delay_alu instid0(VALU_DEP_3) | instskip(NEXT) | instid1(VALU_DEP_3)
	v_alignbit_b32 v29, v23, v26, v27
	v_alignbit_b32 v27, v26, v20, v27
	s_delay_alu instid0(VALU_DEP_3) | instskip(NEXT) | instid1(VALU_DEP_3)
	v_cndmask_b32_e64 v1, v28, v25, s2
	v_cndmask_b32_e64 v22, v29, v23, s2
	s_delay_alu instid0(VALU_DEP_3) | instskip(NEXT) | instid1(VALU_DEP_3)
	v_cndmask_b32_e64 v26, v27, v26, s2
	v_bfe_u32 v23, v1, 29, 1
	s_delay_alu instid0(VALU_DEP_3) | instskip(NEXT) | instid1(VALU_DEP_3)
	v_alignbit_b32 v21, v1, v22, 30
	v_alignbit_b32 v22, v22, v26, 30
	;; [unrolled: 1-line block ×3, first 2 shown]
	s_delay_alu instid0(VALU_DEP_4) | instskip(NEXT) | instid1(VALU_DEP_1)
	v_sub_nc_u32_e32 v25, 0, v23
	v_xor_b32_e32 v24, v21, v25
	v_cmp_ne_u32_e32 vcc_lo, v21, v25
	v_xor_b32_e32 v22, v22, v25
	v_xor_b32_e32 v20, v20, v25
	s_delay_alu instid0(VALU_DEP_4) | instskip(NEXT) | instid1(VALU_DEP_1)
	v_clz_i32_u32_e32 v28, v24
	v_add_nc_u32_e32 v27, 1, v28
	s_delay_alu instid0(VALU_DEP_1) | instskip(NEXT) | instid1(VALU_DEP_1)
	v_cndmask_b32_e32 v21, 33, v27, vcc_lo
	v_sub_nc_u32_e32 v26, 32, v21
	s_delay_alu instid0(VALU_DEP_1) | instskip(SKIP_2) | instid1(VALU_DEP_2)
	v_alignbit_b32 v24, v24, v22, v26
	v_alignbit_b32 v20, v22, v20, v26
	v_lshrrev_b32_e32 v22, 29, v1
	v_alignbit_b32 v25, v24, v20, 9
	s_delay_alu instid0(VALU_DEP_2) | instskip(SKIP_1) | instid1(VALU_DEP_3)
	v_lshlrev_b32_e32 v22, 31, v22
	v_alignbit_b32 v24, v21, v24, 9
	v_clz_i32_u32_e32 v26, v25
	s_delay_alu instid0(VALU_DEP_2) | instskip(SKIP_1) | instid1(VALU_DEP_3)
	v_or_b32_e32 v24, v24, v22
	v_or_b32_e32 v22, 0x33800000, v22
	v_min_u32_e32 v26, 32, v26
	s_delay_alu instid0(VALU_DEP_3) | instskip(NEXT) | instid1(VALU_DEP_2)
	v_xor_b32_e32 v24, 1.0, v24
	v_sub_nc_u32_e32 v27, 31, v26
	v_add_lshl_u32 v21, v26, v21, 23
	s_delay_alu instid0(VALU_DEP_3) | instskip(NEXT) | instid1(VALU_DEP_3)
	v_mul_f32_e32 v26, 0x3fc90fda, v24
	v_alignbit_b32 v20, v25, v20, v27
	s_delay_alu instid0(VALU_DEP_3) | instskip(NEXT) | instid1(VALU_DEP_3)
	v_sub_nc_u32_e32 v21, v22, v21
	v_fma_f32 v22, 0x3fc90fda, v24, -v26
	s_delay_alu instid0(VALU_DEP_3) | instskip(NEXT) | instid1(VALU_DEP_2)
	v_lshrrev_b32_e32 v20, 9, v20
	v_fmac_f32_e32 v22, 0x33a22168, v24
	s_delay_alu instid0(VALU_DEP_2) | instskip(NEXT) | instid1(VALU_DEP_1)
	v_or_b32_e32 v20, v21, v20
	v_fmac_f32_e32 v22, 0x3fc90fda, v20
	v_lshrrev_b32_e32 v20, 30, v1
	s_delay_alu instid0(VALU_DEP_1)
	v_dual_add_f32 v1, v26, v22 :: v_dual_add_nc_u32 v20, v23, v20
.LBB117_55:                             ;   in Loop: Header=BB117_41 Depth=1
	s_and_not1_saveexec_b32 s0, s9
	s_cbranch_execz .LBB117_40
; %bb.56:                               ;   in Loop: Header=BB117_41 Depth=1
	v_mul_f32_e64 v1, 0x3f22f983, |v8|
	s_delay_alu instid0(VALU_DEP_1) | instskip(NEXT) | instid1(VALU_DEP_1)
	v_rndne_f32_e32 v20, v1
	v_fma_f32 v1, 0xbfc90fda, v20, |v8|
	s_delay_alu instid0(VALU_DEP_1) | instskip(NEXT) | instid1(VALU_DEP_1)
	v_fmac_f32_e32 v1, 0xb3a22168, v20
	v_fmac_f32_e32 v1, 0xa7c234c4, v20
	v_cvt_i32_f32_e32 v20, v20
	s_branch .LBB117_40
.LBB117_57:
	s_nop 0
	s_sendmsg sendmsg(MSG_DEALLOC_VGPRS)
	s_endpgm
	.section	.rodata,"a",@progbits
	.p2align	6, 0x0
	.amdhsa_kernel _ZN2at6native12_GLOBAL__N_125multi_tensor_apply_kernelINS1_18TensorListMetadataILi1EEENS1_14UnaryOpFunctorIN3c108BFloat16ELi1ELi1ELi0EEEJNS0_3SinIfEEEEEvT_T0_DpT1_
		.amdhsa_group_segment_fixed_size 0
		.amdhsa_private_segment_fixed_size 0
		.amdhsa_kernarg_size 3632
		.amdhsa_user_sgpr_count 15
		.amdhsa_user_sgpr_dispatch_ptr 0
		.amdhsa_user_sgpr_queue_ptr 0
		.amdhsa_user_sgpr_kernarg_segment_ptr 1
		.amdhsa_user_sgpr_dispatch_id 0
		.amdhsa_user_sgpr_private_segment_size 0
		.amdhsa_wavefront_size32 1
		.amdhsa_uses_dynamic_stack 0
		.amdhsa_enable_private_segment 0
		.amdhsa_system_sgpr_workgroup_id_x 1
		.amdhsa_system_sgpr_workgroup_id_y 0
		.amdhsa_system_sgpr_workgroup_id_z 0
		.amdhsa_system_sgpr_workgroup_info 0
		.amdhsa_system_vgpr_workitem_id 0
		.amdhsa_next_free_vgpr 37
		.amdhsa_next_free_sgpr 26
		.amdhsa_reserve_vcc 1
		.amdhsa_float_round_mode_32 0
		.amdhsa_float_round_mode_16_64 0
		.amdhsa_float_denorm_mode_32 3
		.amdhsa_float_denorm_mode_16_64 3
		.amdhsa_dx10_clamp 1
		.amdhsa_ieee_mode 1
		.amdhsa_fp16_overflow 0
		.amdhsa_workgroup_processor_mode 1
		.amdhsa_memory_ordered 1
		.amdhsa_forward_progress 0
		.amdhsa_shared_vgpr_count 0
		.amdhsa_exception_fp_ieee_invalid_op 0
		.amdhsa_exception_fp_denorm_src 0
		.amdhsa_exception_fp_ieee_div_zero 0
		.amdhsa_exception_fp_ieee_overflow 0
		.amdhsa_exception_fp_ieee_underflow 0
		.amdhsa_exception_fp_ieee_inexact 0
		.amdhsa_exception_int_div_zero 0
	.end_amdhsa_kernel
	.section	.text._ZN2at6native12_GLOBAL__N_125multi_tensor_apply_kernelINS1_18TensorListMetadataILi1EEENS1_14UnaryOpFunctorIN3c108BFloat16ELi1ELi1ELi0EEEJNS0_3SinIfEEEEEvT_T0_DpT1_,"axG",@progbits,_ZN2at6native12_GLOBAL__N_125multi_tensor_apply_kernelINS1_18TensorListMetadataILi1EEENS1_14UnaryOpFunctorIN3c108BFloat16ELi1ELi1ELi0EEEJNS0_3SinIfEEEEEvT_T0_DpT1_,comdat
.Lfunc_end117:
	.size	_ZN2at6native12_GLOBAL__N_125multi_tensor_apply_kernelINS1_18TensorListMetadataILi1EEENS1_14UnaryOpFunctorIN3c108BFloat16ELi1ELi1ELi0EEEJNS0_3SinIfEEEEEvT_T0_DpT1_, .Lfunc_end117-_ZN2at6native12_GLOBAL__N_125multi_tensor_apply_kernelINS1_18TensorListMetadataILi1EEENS1_14UnaryOpFunctorIN3c108BFloat16ELi1ELi1ELi0EEEJNS0_3SinIfEEEEEvT_T0_DpT1_
                                        ; -- End function
	.section	.AMDGPU.csdata,"",@progbits
; Kernel info:
; codeLenInByte = 9204
; NumSgprs: 28
; NumVgprs: 37
; ScratchSize: 0
; MemoryBound: 0
; FloatMode: 240
; IeeeMode: 1
; LDSByteSize: 0 bytes/workgroup (compile time only)
; SGPRBlocks: 3
; VGPRBlocks: 4
; NumSGPRsForWavesPerEU: 28
; NumVGPRsForWavesPerEU: 37
; Occupancy: 16
; WaveLimiterHint : 0
; COMPUTE_PGM_RSRC2:SCRATCH_EN: 0
; COMPUTE_PGM_RSRC2:USER_SGPR: 15
; COMPUTE_PGM_RSRC2:TRAP_HANDLER: 0
; COMPUTE_PGM_RSRC2:TGID_X_EN: 1
; COMPUTE_PGM_RSRC2:TGID_Y_EN: 0
; COMPUTE_PGM_RSRC2:TGID_Z_EN: 0
; COMPUTE_PGM_RSRC2:TIDIG_COMP_CNT: 0
	.section	.text._ZN2at6native12_GLOBAL__N_125multi_tensor_apply_kernelINS1_18TensorListMetadataILi2EEENS1_14UnaryOpFunctorIdLi2ELi1ELi1EEEJNS0_4SinhIdEEEEEvT_T0_DpT1_,"axG",@progbits,_ZN2at6native12_GLOBAL__N_125multi_tensor_apply_kernelINS1_18TensorListMetadataILi2EEENS1_14UnaryOpFunctorIdLi2ELi1ELi1EEEJNS0_4SinhIdEEEEEvT_T0_DpT1_,comdat
	.globl	_ZN2at6native12_GLOBAL__N_125multi_tensor_apply_kernelINS1_18TensorListMetadataILi2EEENS1_14UnaryOpFunctorIdLi2ELi1ELi1EEEJNS0_4SinhIdEEEEEvT_T0_DpT1_ ; -- Begin function _ZN2at6native12_GLOBAL__N_125multi_tensor_apply_kernelINS1_18TensorListMetadataILi2EEENS1_14UnaryOpFunctorIdLi2ELi1ELi1EEEJNS0_4SinhIdEEEEEvT_T0_DpT1_
	.p2align	8
	.type	_ZN2at6native12_GLOBAL__N_125multi_tensor_apply_kernelINS1_18TensorListMetadataILi2EEENS1_14UnaryOpFunctorIdLi2ELi1ELi1EEEJNS0_4SinhIdEEEEEvT_T0_DpT1_,@function
_ZN2at6native12_GLOBAL__N_125multi_tensor_apply_kernelINS1_18TensorListMetadataILi2EEENS1_14UnaryOpFunctorIdLi2ELi1ELi1EEEJNS0_4SinhIdEEEEEvT_T0_DpT1_: ; @_ZN2at6native12_GLOBAL__N_125multi_tensor_apply_kernelINS1_18TensorListMetadataILi2EEENS1_14UnaryOpFunctorIdLi2ELi1ELi1EEEJNS0_4SinhIdEEEEEvT_T0_DpT1_
; %bb.0:
	v_mov_b32_e32 v1, s15
	s_add_u32 s2, s0, s15
	s_mul_hi_u32 s3, s15, 3
	s_mul_i32 s15, s15, 3
	s_addc_u32 s4, s1, 0
	global_load_u8 v1, v1, s[0:1] offset:1536
	s_add_u32 s2, s2, s15
	s_addc_u32 s3, s4, s3
	s_mov_b32 s7, 0
	s_load_b32 s2, s[2:3], 0x740
	s_mov_b32 s11, s7
	s_mov_b32 s17, s7
	s_waitcnt vmcnt(0)
	v_readfirstlane_b32 s5, v1
	s_delay_alu instid0(VALU_DEP_1)
	s_lshl_b32 s3, s5, 3
	s_clause 0x2
	s_load_b64 s[14:15], s[0:1], s3 offset:0x0
	s_load_b64 s[12:13], s[0:1], s3 offset:0x200
	;; [unrolled: 1-line block ×3, first 2 shown]
	s_waitcnt lgkmcnt(0)
	s_ashr_i32 s3, s2, 31
	s_delay_alu instid0(SALU_CYCLE_1) | instskip(NEXT) | instid1(SALU_CYCLE_1)
	s_lshl_b64 s[8:9], s[2:3], 19
	s_add_u32 s33, s14, s8
	s_addc_u32 s54, s15, s9
	s_and_b32 s6, s33, 31
	s_add_u32 s55, s12, s8
	s_addc_u32 s56, s13, s9
	s_and_b32 s10, s4, 3
	s_and_b32 s16, s55, 31
	s_or_b64 s[6:7], s[6:7], s[10:11]
	s_lshl_b64 s[2:3], s[2:3], 16
	s_or_b64 s[6:7], s[16:17], s[6:7]
	s_sub_u32 s10, s4, s2
	s_subb_u32 s11, s5, s3
	s_cmp_eq_u64 s[6:7], 0
	s_mov_b32 s2, -1
	s_cbranch_scc0 .LBB118_5
; %bb.1:
	v_dual_mov_b32 v10, 0 :: v_dual_lshlrev_b32 v9, 2, v0
	s_mov_b32 s57, exec_lo
	s_delay_alu instid0(VALU_DEP_1)
	v_cmpx_gt_i64_e64 s[10:11], v[9:10]
	s_cbranch_execz .LBB118_4
; %bb.2:
	s_load_b32 s2, s[0:1], 0xc5c
	v_lshlrev_b32_e32 v11, 5, v0
	s_mov_b32 s16, 0xfefa39ef
	s_mov_b32 s17, 0xbfe62e42
	;; [unrolled: 1-line block ×18, first 2 shown]
	s_waitcnt lgkmcnt(0)
	s_and_b32 s2, s2, 0xffff
	s_mov_b32 s19, 0xbc7abc9e
	v_add_lshl_u32 v9, v0, s2, 2
	s_mov_b32 s21, 0x3ff71547
	s_mov_b32 s23, 0x3d53de6a
	;; [unrolled: 1-line block ×6, first 2 shown]
	s_lshl_b32 s59, s2, 2
	s_lshl_b32 s60, s2, 5
	s_mov_b32 s35, 0x3efa0199
	s_mov_b32 s37, 0x3f2a01a0
	;; [unrolled: 1-line block ×12, first 2 shown]
.LBB118_3:                              ; =>This Inner Loop Header: Depth=1
	v_add_co_u32 v1, s2, s33, v11
	s_delay_alu instid0(VALU_DEP_1)
	v_add_co_ci_u32_e64 v2, null, s54, 0, s2
	v_cmp_le_i64_e64 s5, s[10:11], v[9:10]
	v_cmp_lt_u64_e64 s6, 0xffff, v[9:10]
	s_clause 0x1
	global_load_b128 v[5:8], v[1:2], off
	global_load_b128 v[1:4], v[1:2], off offset:16
	s_or_b32 s5, s5, s6
	s_add_u32 s33, s33, s60
	s_addc_u32 s54, s54, 0
	s_waitcnt vmcnt(1)
	v_add_f64 v[12:13], |v[5:6]|, s[16:17]
	v_add_f64 v[14:15], |v[7:8]|, s[16:17]
	s_waitcnt vmcnt(0)
	v_add_f64 v[16:17], |v[1:2]|, s[16:17]
	v_add_f64 v[18:19], |v[3:4]|, s[16:17]
	v_cmp_nge_f64_e64 vcc_lo, |v[5:6]|, s[48:49]
	v_cmp_nge_f64_e64 s2, |v[7:8]|, s[48:49]
	v_cmp_nge_f64_e64 s3, |v[1:2]|, s[48:49]
	;; [unrolled: 1-line block ×3, first 2 shown]
	v_add_f64 v[20:21], v[12:13], -|v[5:6]|
	v_add_f64 v[22:23], v[14:15], -|v[7:8]|
	;; [unrolled: 1-line block ×4, first 2 shown]
	s_delay_alu instid0(VALU_DEP_4) | instskip(NEXT) | instid1(VALU_DEP_4)
	v_add_f64 v[28:29], v[20:21], -v[12:13]
	v_add_f64 v[30:31], v[22:23], -v[14:15]
	s_delay_alu instid0(VALU_DEP_4) | instskip(NEXT) | instid1(VALU_DEP_4)
	v_add_f64 v[32:33], v[24:25], -v[16:17]
	v_add_f64 v[34:35], v[26:27], -v[18:19]
	v_add_f64 v[20:21], v[20:21], s[50:51]
	v_add_f64 v[22:23], v[22:23], s[50:51]
	;; [unrolled: 1-line block ×4, first 2 shown]
	v_add_f64 v[28:29], |v[5:6]|, v[28:29]
	v_add_f64 v[30:31], |v[7:8]|, v[30:31]
	;; [unrolled: 1-line block ×4, first 2 shown]
	s_delay_alu instid0(VALU_DEP_4) | instskip(NEXT) | instid1(VALU_DEP_4)
	v_add_f64 v[20:21], v[28:29], -v[20:21]
	v_add_f64 v[22:23], v[30:31], -v[22:23]
	s_delay_alu instid0(VALU_DEP_4) | instskip(NEXT) | instid1(VALU_DEP_4)
	v_add_f64 v[24:25], v[32:33], -v[24:25]
	v_add_f64 v[26:27], v[34:35], -v[26:27]
	s_delay_alu instid0(VALU_DEP_4) | instskip(NEXT) | instid1(VALU_DEP_4)
	v_add_f64 v[20:21], v[20:21], s[18:19]
	v_add_f64 v[22:23], v[22:23], s[18:19]
	s_delay_alu instid0(VALU_DEP_4) | instskip(NEXT) | instid1(VALU_DEP_4)
	v_add_f64 v[24:25], v[24:25], s[18:19]
	v_add_f64 v[26:27], v[26:27], s[18:19]
	;; [unrolled: 3-line block ×4, first 2 shown]
	s_delay_alu instid0(VALU_DEP_4) | instskip(NEXT) | instid1(VALU_DEP_4)
	v_mul_f64 v[36:37], v[28:29], s[20:21]
	v_mul_f64 v[38:39], v[30:31], s[20:21]
	s_delay_alu instid0(VALU_DEP_4) | instskip(NEXT) | instid1(VALU_DEP_4)
	v_mul_f64 v[40:41], v[32:33], s[20:21]
	v_mul_f64 v[42:43], v[34:35], s[20:21]
	v_add_f64 v[12:13], v[12:13], -v[28:29]
	v_add_f64 v[14:15], v[14:15], -v[30:31]
	v_add_f64 v[16:17], v[16:17], -v[32:33]
	v_add_f64 v[18:19], v[18:19], -v[34:35]
	v_rndne_f64_e32 v[36:37], v[36:37]
	v_rndne_f64_e32 v[38:39], v[38:39]
	v_rndne_f64_e32 v[40:41], v[40:41]
	v_rndne_f64_e32 v[42:43], v[42:43]
	v_add_f64 v[12:13], v[20:21], v[12:13]
	v_add_f64 v[14:15], v[22:23], v[14:15]
	;; [unrolled: 1-line block ×4, first 2 shown]
	v_fma_f64 v[20:21], v[36:37], s[52:53], v[28:29]
	v_fma_f64 v[22:23], v[38:39], s[52:53], v[30:31]
	;; [unrolled: 1-line block ×4, first 2 shown]
	v_mul_f64 v[28:29], v[36:37], s[22:23]
	v_mul_f64 v[30:31], v[38:39], s[22:23]
	;; [unrolled: 1-line block ×4, first 2 shown]
	v_add_f64 v[44:45], v[12:13], v[20:21]
	v_add_f64 v[46:47], v[14:15], v[22:23]
	;; [unrolled: 1-line block ×4, first 2 shown]
	s_delay_alu instid0(VALU_DEP_4) | instskip(NEXT) | instid1(VALU_DEP_4)
	v_add_f64 v[52:53], v[44:45], -v[28:29]
	v_add_f64 v[54:55], v[46:47], -v[30:31]
	s_delay_alu instid0(VALU_DEP_4) | instskip(NEXT) | instid1(VALU_DEP_4)
	v_add_f64 v[56:57], v[48:49], -v[32:33]
	v_add_f64 v[58:59], v[50:51], -v[34:35]
	;; [unrolled: 1-line block ×10, first 2 shown]
	v_add_f64 v[12:13], v[12:13], v[20:21]
	v_add_f64 v[14:15], v[14:15], v[22:23]
	;; [unrolled: 1-line block ×4, first 2 shown]
	v_add_f64 v[20:21], v[44:45], -v[28:29]
	v_add_f64 v[22:23], v[46:47], -v[30:31]
	;; [unrolled: 1-line block ×4, first 2 shown]
	s_delay_alu instid0(VALU_DEP_4) | instskip(NEXT) | instid1(VALU_DEP_4)
	v_add_f64 v[12:13], v[12:13], v[20:21]
	v_add_f64 v[14:15], v[14:15], v[22:23]
	s_delay_alu instid0(VALU_DEP_4) | instskip(NEXT) | instid1(VALU_DEP_4)
	v_add_f64 v[16:17], v[16:17], v[24:25]
	v_add_f64 v[18:19], v[18:19], v[26:27]
	v_mul_f64 v[20:21], v[36:37], s[24:25]
	v_mul_f64 v[22:23], v[38:39], s[24:25]
	;; [unrolled: 1-line block ×4, first 2 shown]
	v_add_f64 v[28:29], v[52:53], v[12:13]
	v_add_f64 v[30:31], v[54:55], v[14:15]
	;; [unrolled: 1-line block ×4, first 2 shown]
	s_delay_alu instid0(VALU_DEP_4) | instskip(NEXT) | instid1(VALU_DEP_4)
	v_add_f64 v[44:45], v[28:29], -v[20:21]
	v_add_f64 v[46:47], v[30:31], -v[22:23]
	s_delay_alu instid0(VALU_DEP_4) | instskip(NEXT) | instid1(VALU_DEP_4)
	v_add_f64 v[48:49], v[32:33], -v[24:25]
	v_add_f64 v[50:51], v[34:35], -v[26:27]
	;; [unrolled: 1-line block ×10, first 2 shown]
	v_add_f64 v[12:13], v[12:13], v[52:53]
	v_add_f64 v[14:15], v[14:15], v[54:55]
	;; [unrolled: 1-line block ×4, first 2 shown]
	v_add_f64 v[20:21], v[28:29], -v[20:21]
	v_add_f64 v[22:23], v[30:31], -v[22:23]
	;; [unrolled: 1-line block ×4, first 2 shown]
	s_delay_alu instid0(VALU_DEP_4) | instskip(NEXT) | instid1(VALU_DEP_4)
	v_add_f64 v[12:13], v[12:13], v[20:21]
	v_add_f64 v[14:15], v[14:15], v[22:23]
	s_delay_alu instid0(VALU_DEP_4) | instskip(NEXT) | instid1(VALU_DEP_4)
	v_add_f64 v[16:17], v[16:17], v[24:25]
	v_add_f64 v[18:19], v[18:19], v[26:27]
	;; [unrolled: 3-line block ×4, first 2 shown]
	s_delay_alu instid0(VALU_DEP_4) | instskip(NEXT) | instid1(VALU_DEP_4)
	v_fma_f64 v[28:29], v[20:21], s[28:29], s[26:27]
	v_fma_f64 v[30:31], v[22:23], s[28:29], s[26:27]
	s_delay_alu instid0(VALU_DEP_4) | instskip(NEXT) | instid1(VALU_DEP_4)
	v_fma_f64 v[32:33], v[24:25], s[28:29], s[26:27]
	v_fma_f64 v[34:35], v[26:27], s[28:29], s[26:27]
	v_add_f64 v[44:45], v[44:45], -v[20:21]
	v_add_f64 v[46:47], v[46:47], -v[22:23]
	;; [unrolled: 1-line block ×4, first 2 shown]
	v_mul_f64 v[52:53], v[20:21], v[20:21]
	v_mul_f64 v[54:55], v[22:23], v[22:23]
	;; [unrolled: 1-line block ×4, first 2 shown]
	v_fma_f64 v[28:29], v[20:21], v[28:29], s[30:31]
	v_fma_f64 v[30:31], v[22:23], v[30:31], s[30:31]
	;; [unrolled: 1-line block ×4, first 2 shown]
	v_add_f64 v[12:13], v[12:13], v[44:45]
	v_add_f64 v[14:15], v[14:15], v[46:47]
	;; [unrolled: 1-line block ×4, first 2 shown]
	v_fma_f64 v[44:45], v[20:21], v[20:21], -v[52:53]
	v_fma_f64 v[46:47], v[22:23], v[22:23], -v[54:55]
	;; [unrolled: 1-line block ×4, first 2 shown]
	v_fma_f64 v[28:29], v[20:21], v[28:29], s[34:35]
	v_fma_f64 v[30:31], v[22:23], v[30:31], s[34:35]
	;; [unrolled: 1-line block ×4, first 2 shown]
	v_add_f64 v[60:61], v[12:13], v[12:13]
	v_add_f64 v[62:63], v[14:15], v[14:15]
	;; [unrolled: 1-line block ×4, first 2 shown]
	v_fma_f64 v[28:29], v[20:21], v[28:29], s[36:37]
	v_fma_f64 v[30:31], v[22:23], v[30:31], s[36:37]
	v_fma_f64 v[32:33], v[24:25], v[32:33], s[36:37]
	v_fma_f64 v[34:35], v[26:27], v[34:35], s[36:37]
	v_fma_f64 v[44:45], v[20:21], v[60:61], v[44:45]
	v_fma_f64 v[46:47], v[22:23], v[62:63], v[46:47]
	v_fma_f64 v[48:49], v[24:25], v[64:65], v[48:49]
	v_fma_f64 v[50:51], v[26:27], v[66:67], v[50:51]
	v_fma_f64 v[28:29], v[20:21], v[28:29], s[38:39]
	v_fma_f64 v[30:31], v[22:23], v[30:31], s[38:39]
	v_fma_f64 v[32:33], v[24:25], v[32:33], s[38:39]
	v_fma_f64 v[34:35], v[26:27], v[34:35], s[38:39]
	v_add_f64 v[60:61], v[52:53], v[44:45]
	v_add_f64 v[62:63], v[54:55], v[46:47]
	v_add_f64 v[64:65], v[56:57], v[48:49]
	v_add_f64 v[66:67], v[58:59], v[50:51]
	v_fma_f64 v[28:29], v[20:21], v[28:29], s[40:41]
	v_fma_f64 v[30:31], v[22:23], v[30:31], s[40:41]
	;; [unrolled: 1-line block ×4, first 2 shown]
	v_add_f64 v[52:53], v[60:61], -v[52:53]
	v_add_f64 v[54:55], v[62:63], -v[54:55]
	;; [unrolled: 1-line block ×4, first 2 shown]
	v_fma_f64 v[28:29], v[20:21], v[28:29], s[42:43]
	v_fma_f64 v[30:31], v[22:23], v[30:31], s[42:43]
	;; [unrolled: 1-line block ×4, first 2 shown]
	v_add_f64 v[44:45], v[44:45], -v[52:53]
	v_add_f64 v[46:47], v[46:47], -v[54:55]
	;; [unrolled: 1-line block ×4, first 2 shown]
	v_fma_f64 v[28:29], v[20:21], v[28:29], s[44:45]
	v_fma_f64 v[30:31], v[22:23], v[30:31], s[44:45]
	;; [unrolled: 1-line block ×4, first 2 shown]
	s_delay_alu instid0(VALU_DEP_4) | instskip(NEXT) | instid1(VALU_DEP_4)
	v_fma_f64 v[28:29], v[20:21], v[28:29], s[46:47]
	v_fma_f64 v[30:31], v[22:23], v[30:31], s[46:47]
	s_delay_alu instid0(VALU_DEP_4) | instskip(NEXT) | instid1(VALU_DEP_4)
	v_fma_f64 v[32:33], v[24:25], v[32:33], s[46:47]
	v_fma_f64 v[34:35], v[26:27], v[34:35], s[46:47]
	s_delay_alu instid0(VALU_DEP_4) | instskip(NEXT) | instid1(VALU_DEP_4)
	v_mul_f64 v[68:69], v[60:61], v[28:29]
	v_mul_f64 v[70:71], v[62:63], v[30:31]
	s_delay_alu instid0(VALU_DEP_4) | instskip(NEXT) | instid1(VALU_DEP_4)
	v_mul_f64 v[72:73], v[64:65], v[32:33]
	v_mul_f64 v[74:75], v[66:67], v[34:35]
	s_delay_alu instid0(VALU_DEP_4) | instskip(NEXT) | instid1(VALU_DEP_4)
	v_fma_f64 v[52:53], v[60:61], v[28:29], -v[68:69]
	v_fma_f64 v[54:55], v[62:63], v[30:31], -v[70:71]
	s_delay_alu instid0(VALU_DEP_4) | instskip(NEXT) | instid1(VALU_DEP_4)
	v_fma_f64 v[56:57], v[64:65], v[32:33], -v[72:73]
	v_fma_f64 v[58:59], v[66:67], v[34:35], -v[74:75]
	s_delay_alu instid0(VALU_DEP_4) | instskip(NEXT) | instid1(VALU_DEP_4)
	v_fma_f64 v[28:29], v[44:45], v[28:29], v[52:53]
	v_fma_f64 v[30:31], v[46:47], v[30:31], v[54:55]
	s_delay_alu instid0(VALU_DEP_4) | instskip(NEXT) | instid1(VALU_DEP_4)
	v_fma_f64 v[32:33], v[48:49], v[32:33], v[56:57]
	v_fma_f64 v[34:35], v[50:51], v[34:35], v[58:59]
	s_delay_alu instid0(VALU_DEP_4) | instskip(NEXT) | instid1(VALU_DEP_4)
	v_add_f64 v[44:45], v[68:69], v[28:29]
	v_add_f64 v[46:47], v[70:71], v[30:31]
	s_delay_alu instid0(VALU_DEP_4) | instskip(NEXT) | instid1(VALU_DEP_4)
	v_add_f64 v[48:49], v[72:73], v[32:33]
	v_add_f64 v[50:51], v[74:75], v[34:35]
	s_delay_alu instid0(VALU_DEP_4)
	v_add_f64 v[52:53], v[20:21], v[44:45]
	v_add_f64 v[54:55], v[44:45], -v[68:69]
	v_add_f64 v[56:57], v[22:23], v[46:47]
	v_add_f64 v[58:59], v[46:47], -v[70:71]
	;; [unrolled: 2-line block ×4, first 2 shown]
	v_add_f64 v[20:21], v[52:53], -v[20:21]
	v_add_f64 v[28:29], v[28:29], -v[54:55]
	;; [unrolled: 1-line block ×8, first 2 shown]
	v_cvt_i32_f64_e32 v62, v[40:41]
	v_cvt_i32_f64_e32 v63, v[42:43]
	v_add_f64 v[20:21], v[44:45], -v[20:21]
	v_add_f64 v[12:13], v[12:13], v[28:29]
	v_add_f64 v[22:23], v[46:47], -v[22:23]
	v_add_f64 v[14:15], v[14:15], v[30:31]
	;; [unrolled: 2-line block ×4, first 2 shown]
	v_add_f64 v[12:13], v[12:13], v[20:21]
	v_add_f64 v[14:15], v[14:15], v[22:23]
	;; [unrolled: 1-line block ×3, first 2 shown]
	s_delay_alu instid0(VALU_DEP_4) | instskip(NEXT) | instid1(VALU_DEP_4)
	v_add_f64 v[18:19], v[18:19], v[26:27]
	v_add_f64 v[20:21], v[52:53], v[12:13]
	s_delay_alu instid0(VALU_DEP_4) | instskip(NEXT) | instid1(VALU_DEP_4)
	v_add_f64 v[22:23], v[56:57], v[14:15]
	v_add_f64 v[24:25], v[60:61], v[16:17]
	s_delay_alu instid0(VALU_DEP_4) | instskip(NEXT) | instid1(VALU_DEP_4)
	v_add_f64 v[26:27], v[64:65], v[18:19]
	v_add_f64 v[28:29], v[20:21], 1.0
	v_add_f64 v[44:45], v[20:21], -v[52:53]
	v_add_f64 v[30:31], v[22:23], 1.0
	v_add_f64 v[46:47], v[22:23], -v[56:57]
	;; [unrolled: 2-line block ×4, first 2 shown]
	v_cvt_i32_f64_e32 v60, v[36:37]
	v_cvt_i32_f64_e32 v61, v[38:39]
	v_add_f64 v[52:53], v[28:29], -1.0
	v_add_f64 v[12:13], v[12:13], -v[44:45]
	v_add_f64 v[54:55], v[30:31], -1.0
	v_add_f64 v[14:15], v[14:15], -v[46:47]
	;; [unrolled: 2-line block ×4, first 2 shown]
	v_add_f64 v[20:21], v[20:21], -v[52:53]
	v_add_f64 v[22:23], v[22:23], -v[54:55]
	;; [unrolled: 1-line block ×4, first 2 shown]
	s_delay_alu instid0(VALU_DEP_4) | instskip(NEXT) | instid1(VALU_DEP_4)
	v_add_f64 v[12:13], v[12:13], v[20:21]
	v_add_f64 v[14:15], v[14:15], v[22:23]
	s_delay_alu instid0(VALU_DEP_4) | instskip(NEXT) | instid1(VALU_DEP_4)
	v_add_f64 v[16:17], v[16:17], v[24:25]
	v_add_f64 v[18:19], v[18:19], v[26:27]
	;; [unrolled: 3-line block ×4, first 2 shown]
	s_delay_alu instid0(VALU_DEP_4)
	v_ldexp_f64 v[36:37], v[20:21], v60
	v_add_f64 v[20:21], v[20:21], -v[28:29]
	v_ldexp_f64 v[38:39], v[22:23], v61
	v_add_f64 v[22:23], v[22:23], -v[30:31]
	;; [unrolled: 2-line block ×4, first 2 shown]
	v_rcp_f64_e32 v[44:45], v[36:37]
	v_add_f64 v[12:13], v[12:13], -v[20:21]
	v_rcp_f64_e32 v[46:47], v[38:39]
	v_add_f64 v[14:15], v[14:15], -v[22:23]
	;; [unrolled: 2-line block ×3, first 2 shown]
	v_rcp_f64_e32 v[50:51], v[42:43]
	s_delay_alu instid0(VALU_DEP_4) | instskip(NEXT) | instid1(VALU_DEP_4)
	v_add_f64 v[18:19], v[18:19], -v[26:27]
	v_ldexp_f64 v[12:13], v[12:13], v60
	v_fma_f64 v[52:53], -v[36:37], v[44:45], 1.0
	v_ldexp_f64 v[14:15], v[14:15], v61
	s_delay_alu instid0(TRANS32_DEP_3) | instskip(SKIP_1) | instid1(TRANS32_DEP_2)
	v_fma_f64 v[54:55], -v[38:39], v[46:47], 1.0
	v_ldexp_f64 v[16:17], v[16:17], v62
	v_fma_f64 v[56:57], -v[40:41], v[48:49], 1.0
	v_ldexp_f64 v[18:19], v[18:19], v63
	s_delay_alu instid0(TRANS32_DEP_1) | instskip(SKIP_3) | instid1(VALU_DEP_4)
	v_fma_f64 v[58:59], -v[42:43], v[50:51], 1.0
	v_fma_f64 v[44:45], v[52:53], v[44:45], v[44:45]
	v_fma_f64 v[46:47], v[54:55], v[46:47], v[46:47]
	;; [unrolled: 1-line block ×4, first 2 shown]
	s_delay_alu instid0(VALU_DEP_4) | instskip(NEXT) | instid1(VALU_DEP_4)
	v_fma_f64 v[52:53], -v[36:37], v[44:45], 1.0
	v_fma_f64 v[54:55], -v[38:39], v[46:47], 1.0
	s_delay_alu instid0(VALU_DEP_4) | instskip(NEXT) | instid1(VALU_DEP_4)
	v_fma_f64 v[56:57], -v[40:41], v[48:49], 1.0
	v_fma_f64 v[58:59], -v[42:43], v[50:51], 1.0
	s_delay_alu instid0(VALU_DEP_4) | instskip(NEXT) | instid1(VALU_DEP_4)
	v_fma_f64 v[28:29], v[52:53], v[44:45], v[44:45]
	v_fma_f64 v[30:31], v[54:55], v[46:47], v[46:47]
	s_delay_alu instid0(VALU_DEP_4) | instskip(NEXT) | instid1(VALU_DEP_4)
	v_fma_f64 v[32:33], v[56:57], v[48:49], v[48:49]
	v_fma_f64 v[34:35], v[58:59], v[50:51], v[50:51]
	s_delay_alu instid0(VALU_DEP_4) | instskip(NEXT) | instid1(VALU_DEP_4)
	v_mul_f64 v[20:21], v[36:37], v[28:29]
	v_mul_f64 v[22:23], v[38:39], v[30:31]
	s_delay_alu instid0(VALU_DEP_4) | instskip(NEXT) | instid1(VALU_DEP_4)
	v_mul_f64 v[24:25], v[40:41], v[32:33]
	v_mul_f64 v[26:27], v[42:43], v[34:35]
	s_delay_alu instid0(VALU_DEP_4) | instskip(NEXT) | instid1(VALU_DEP_4)
	v_fma_f64 v[44:45], v[28:29], v[36:37], -v[20:21]
	v_fma_f64 v[46:47], v[30:31], v[38:39], -v[22:23]
	s_delay_alu instid0(VALU_DEP_4) | instskip(NEXT) | instid1(VALU_DEP_4)
	v_fma_f64 v[48:49], v[32:33], v[40:41], -v[24:25]
	v_fma_f64 v[50:51], v[34:35], v[42:43], -v[26:27]
	s_delay_alu instid0(VALU_DEP_4) | instskip(NEXT) | instid1(VALU_DEP_4)
	v_fma_f64 v[44:45], v[28:29], v[12:13], v[44:45]
	v_fma_f64 v[46:47], v[30:31], v[14:15], v[46:47]
	s_delay_alu instid0(VALU_DEP_4) | instskip(NEXT) | instid1(VALU_DEP_4)
	v_fma_f64 v[48:49], v[32:33], v[16:17], v[48:49]
	v_fma_f64 v[50:51], v[34:35], v[18:19], v[50:51]
	s_delay_alu instid0(VALU_DEP_4) | instskip(NEXT) | instid1(VALU_DEP_4)
	v_add_f64 v[52:53], v[20:21], v[44:45]
	v_add_f64 v[54:55], v[22:23], v[46:47]
	s_delay_alu instid0(VALU_DEP_4) | instskip(NEXT) | instid1(VALU_DEP_4)
	v_add_f64 v[56:57], v[24:25], v[48:49]
	v_add_f64 v[58:59], v[26:27], v[50:51]
	s_delay_alu instid0(VALU_DEP_4)
	v_add_f64 v[60:61], -v[52:53], 1.0
	v_add_f64 v[20:21], v[52:53], -v[20:21]
	v_add_f64 v[62:63], -v[54:55], 1.0
	v_add_f64 v[22:23], v[54:55], -v[22:23]
	;; [unrolled: 2-line block ×8, first 2 shown]
	v_add_f64 v[44:45], v[68:69], -v[52:53]
	v_add_f64 v[46:47], v[70:71], -v[54:55]
	;; [unrolled: 1-line block ×4, first 2 shown]
	s_delay_alu instid0(VALU_DEP_4) | instskip(NEXT) | instid1(VALU_DEP_4)
	v_add_f64 v[20:21], v[20:21], v[44:45]
	v_add_f64 v[22:23], v[22:23], v[46:47]
	s_delay_alu instid0(VALU_DEP_4) | instskip(NEXT) | instid1(VALU_DEP_4)
	v_add_f64 v[24:25], v[24:25], v[48:49]
	v_add_f64 v[26:27], v[26:27], v[50:51]
	;; [unrolled: 3-line block ×4, first 2 shown]
	s_delay_alu instid0(VALU_DEP_4)
	v_mul_f64 v[52:53], v[28:29], v[44:45]
	v_add_f64 v[60:61], v[60:61], -v[44:45]
	v_mul_f64 v[54:55], v[30:31], v[46:47]
	v_add_f64 v[62:63], v[62:63], -v[46:47]
	;; [unrolled: 2-line block ×4, first 2 shown]
	v_mul_f64 v[68:69], v[36:37], v[52:53]
	v_add_f64 v[20:21], v[20:21], v[60:61]
	v_mul_f64 v[70:71], v[38:39], v[54:55]
	v_add_f64 v[22:23], v[22:23], v[62:63]
	;; [unrolled: 2-line block ×4, first 2 shown]
	v_fma_f64 v[76:77], v[52:53], v[36:37], -v[68:69]
	v_fma_f64 v[78:79], v[54:55], v[38:39], -v[70:71]
	;; [unrolled: 1-line block ×4, first 2 shown]
	s_delay_alu instid0(VALU_DEP_4) | instskip(NEXT) | instid1(VALU_DEP_4)
	v_fma_f64 v[76:77], v[52:53], v[12:13], v[76:77]
	v_fma_f64 v[78:79], v[54:55], v[14:15], v[78:79]
	s_delay_alu instid0(VALU_DEP_4) | instskip(NEXT) | instid1(VALU_DEP_4)
	v_fma_f64 v[80:81], v[56:57], v[16:17], v[80:81]
	v_fma_f64 v[82:83], v[58:59], v[18:19], v[82:83]
	s_delay_alu instid0(VALU_DEP_4) | instskip(NEXT) | instid1(VALU_DEP_4)
	v_add_f64 v[84:85], v[68:69], v[76:77]
	v_add_f64 v[86:87], v[70:71], v[78:79]
	s_delay_alu instid0(VALU_DEP_4) | instskip(NEXT) | instid1(VALU_DEP_4)
	v_add_f64 v[88:89], v[72:73], v[80:81]
	v_add_f64 v[90:91], v[74:75], v[82:83]
	s_delay_alu instid0(VALU_DEP_4)
	v_add_f64 v[60:61], v[44:45], -v[84:85]
	v_add_f64 v[68:69], v[84:85], -v[68:69]
	;; [unrolled: 1-line block ×20, first 2 shown]
	s_delay_alu instid0(VALU_DEP_4)
	v_add_f64 v[20:21], v[20:21], v[44:45]
	v_add_f64 v[44:45], v[28:29], v[52:53]
	;; [unrolled: 1-line block ×9, first 2 shown]
	v_add_f64 v[68:69], v[44:45], -v[28:29]
	v_add_f64 v[22:23], v[70:71], v[22:23]
	v_add_f64 v[70:71], v[46:47], -v[30:31]
	v_add_f64 v[24:25], v[72:73], v[24:25]
	;; [unrolled: 2-line block ×7, first 2 shown]
	v_add_f64 v[58:59], v[58:59], -v[74:75]
	v_mul_f64 v[20:21], v[28:29], v[20:21]
	v_mul_f64 v[22:23], v[30:31], v[22:23]
	;; [unrolled: 1-line block ×4, first 2 shown]
	s_delay_alu instid0(VALU_DEP_4) | instskip(NEXT) | instid1(VALU_DEP_4)
	v_add_f64 v[20:21], v[52:53], v[20:21]
	v_add_f64 v[22:23], v[54:55], v[22:23]
	s_delay_alu instid0(VALU_DEP_4) | instskip(NEXT) | instid1(VALU_DEP_4)
	v_add_f64 v[24:25], v[56:57], v[24:25]
	v_add_f64 v[26:27], v[58:59], v[26:27]
	;; [unrolled: 3-line block ×4, first 2 shown]
	s_delay_alu instid0(VALU_DEP_4)
	v_ldexp_f64 v[52:53], v[28:29], -2
	v_add_f64 v[28:29], v[28:29], -v[44:45]
	v_ldexp_f64 v[54:55], v[30:31], -2
	v_add_f64 v[30:31], v[30:31], -v[46:47]
	;; [unrolled: 2-line block ×4, first 2 shown]
	v_add_f64 v[60:61], v[36:37], -v[52:53]
	v_add_f64 v[20:21], v[20:21], -v[28:29]
	;; [unrolled: 1-line block ×9, first 2 shown]
	v_ldexp_f64 v[20:21], v[20:21], -2
	v_add_f64 v[38:39], v[38:39], -v[62:63]
	v_ldexp_f64 v[22:23], v[22:23], -2
	v_add_f64 v[40:41], v[40:41], -v[64:65]
	;; [unrolled: 2-line block ×4, first 2 shown]
	v_add_f64 v[30:31], v[38:39], -v[54:55]
	v_add_f64 v[32:33], v[40:41], -v[56:57]
	;; [unrolled: 1-line block ×3, first 2 shown]
	s_delay_alu instid0(VALU_DEP_4) | instskip(NEXT) | instid1(VALU_DEP_4)
	v_add_f64 v[12:13], v[12:13], v[28:29]
	v_add_f64 v[14:15], v[14:15], v[30:31]
	s_delay_alu instid0(VALU_DEP_4) | instskip(NEXT) | instid1(VALU_DEP_4)
	v_add_f64 v[16:17], v[16:17], v[32:33]
	v_add_f64 v[18:19], v[18:19], v[34:35]
	s_delay_alu instid0(VALU_DEP_4) | instskip(NEXT) | instid1(VALU_DEP_4)
	v_add_f64 v[12:13], v[12:13], -v[20:21]
	v_add_f64 v[14:15], v[14:15], -v[22:23]
	v_and_b32_e32 v22, 0x7fffffff, v6
	v_add_f64 v[16:17], v[16:17], -v[24:25]
	v_and_b32_e32 v25, 0x7fffffff, v4
	v_add_f64 v[18:19], v[18:19], -v[26:27]
	v_add_f64 v[12:13], v[60:61], v[12:13]
	v_add_f64 v[14:15], v[62:63], v[14:15]
	;; [unrolled: 1-line block ×3, first 2 shown]
	s_delay_alu instid0(VALU_DEP_4) | instskip(NEXT) | instid1(VALU_DEP_4)
	v_add_f64 v[18:19], v[66:67], v[18:19]
	v_cndmask_b32_e32 v20, 0x7ff00000, v13, vcc_lo
	v_cndmask_b32_e32 v21, 0, v12, vcc_lo
	v_cmp_gt_f64_e64 vcc_lo, 0x3e400000, |v[5:6]|
	v_cndmask_b32_e64 v15, 0x7ff00000, v15, s2
	v_cndmask_b32_e64 v14, 0, v14, s2
	v_cmp_gt_f64_e64 s2, 0x3e400000, |v[7:8]|
	v_cndmask_b32_e64 v17, 0x7ff00000, v17, s3
	v_cndmask_b32_e64 v16, 0, v16, s3
	v_cmp_gt_f64_e64 s3, 0x3e400000, |v[1:2]|
	v_cndmask_b32_e64 v19, 0x7ff00000, v19, s4
	v_cndmask_b32_e64 v18, 0, v18, s4
	v_cmp_gt_f64_e64 s4, 0x3e400000, |v[3:4]|
	v_and_b32_e32 v23, 0x7fffffff, v8
	v_and_b32_e32 v24, 0x7fffffff, v2
	v_add_co_u32 v12, s7, s55, v11
	s_delay_alu instid0(VALU_DEP_1)
	v_add_co_ci_u32_e64 v13, null, s56, 0, s7
	v_add_co_u32 v9, s7, v9, s59
	s_add_u32 s55, s55, s60
	v_add_co_ci_u32_e64 v10, s7, 0, v10, s7
	s_addc_u32 s56, s56, 0
	v_cndmask_b32_e32 v5, v21, v5, vcc_lo
	v_cndmask_b32_e64 v7, v14, v7, s2
	v_cndmask_b32_e32 v14, v20, v22, vcc_lo
	v_cndmask_b32_e64 v15, v15, v23, s2
	v_cndmask_b32_e64 v1, v16, v1, s3
	;; [unrolled: 1-line block ×3, first 2 shown]
	s_and_b32 s2, exec_lo, s5
	v_cndmask_b32_e64 v17, v19, v25, s4
	v_bfi_b32 v6, 0x7fffffff, v14, v6
	v_bfi_b32 v8, 0x7fffffff, v15, v8
	v_cndmask_b32_e64 v3, v18, v3, s4
	v_bfi_b32 v2, 0x7fffffff, v16, v2
	v_bfi_b32 v4, 0x7fffffff, v17, v4
	s_or_b32 s58, s2, s58
	s_clause 0x1
	global_store_b128 v[12:13], v[5:8], off
	global_store_b128 v[12:13], v[1:4], off offset:16
	s_and_not1_b32 exec_lo, exec_lo, s58
	s_cbranch_execnz .LBB118_3
.LBB118_4:
	s_or_b32 exec_lo, exec_lo, s57
	s_mov_b32 s2, 0
.LBB118_5:
	s_delay_alu instid0(SALU_CYCLE_1)
	s_and_not1_b32 vcc_lo, exec_lo, s2
	s_cbranch_vccnz .LBB118_25
; %bb.6:
	v_cmp_lt_i64_e64 s2, s[10:11], 1
	s_delay_alu instid0(VALU_DEP_1)
	s_and_b32 vcc_lo, exec_lo, s2
	s_cbranch_vccnz .LBB118_25
; %bb.7:
	s_load_b32 s0, s[0:1], 0xc5c
	v_dual_mov_b32 v2, 0 :: v_dual_lshlrev_b32 v1, 3, v0
	v_cmp_gt_u64_e64 s1, 0x10000, s[10:11]
	s_mov_b32 s6, 0xfefa39ef
	s_mov_b32 s16, 0x652b82fe
	s_delay_alu instid0(VALU_DEP_2) | instskip(NEXT) | instid1(VALU_DEP_1)
	v_add_co_u32 v9, s2, s14, v1
	v_add_co_ci_u32_e64 v10, null, s15, 0, s2
	v_add_co_u32 v11, s2, s12, v1
	s_delay_alu instid0(VALU_DEP_1)
	v_add_co_ci_u32_e64 v12, null, s13, 0, s2
	s_mov_b32 s18, 0xf278e000
	s_mov_b32 s20, 0xf97b57a0
	;; [unrolled: 1-line block ×6, first 2 shown]
	s_waitcnt lgkmcnt(0)
	s_and_b32 s0, s0, 0xffff
	s_and_b32 s1, s1, exec_lo
	v_mad_u64_u32 v[3:4], null, s0, 24, v[1:2]
	s_cselect_b32 s5, s11, 0
	s_cselect_b32 s4, s10, 0x10000
	s_lshl_b32 s3, s0, 4
	s_lshl_b32 s1, s0, 1
	v_add_co_u32 v1, s3, s3, v1
	s_delay_alu instid0(VALU_DEP_2) | instskip(NEXT) | instid1(VALU_DEP_3)
	v_add_co_u32 v13, vcc_lo, s14, v3
	v_add_co_ci_u32_e32 v14, vcc_lo, s15, v4, vcc_lo
	v_add_co_u32 v15, vcc_lo, s12, v3
	v_add_co_ci_u32_e64 v2, null, 0, 0, s3
	s_mul_i32 s2, s0, 3
	s_lshl_b32 s33, s0, 2
	s_lshl_b32 s50, s0, 5
	v_add_co_u32 v21, s0, v0, s0
	v_add_co_ci_u32_e32 v16, vcc_lo, s13, v4, vcc_lo
	v_add_co_u32 v19, vcc_lo, s14, v1
	v_add_co_ci_u32_e32 v20, vcc_lo, s15, v2, vcc_lo
	v_add_co_u32 v22, vcc_lo, s12, v1
	v_lshlrev_b32_e32 v1, 3, v21
	v_add_co_ci_u32_e64 v24, null, 0, 0, s0
	v_add_co_u32 v25, s0, s1, v0
	s_delay_alu instid0(VALU_DEP_1) | instskip(NEXT) | instid1(VALU_DEP_4)
	v_add_co_ci_u32_e64 v26, null, 0, 0, s0
	v_add_co_u32 v27, s0, s14, v1
	v_add_co_u32 v17, s2, s2, v0
	v_add_co_ci_u32_e64 v28, null, s15, 0, s0
	v_add_co_u32 v29, s0, s12, v1
	v_add_co_ci_u32_e64 v18, null, 0, 0, s2
	v_add_co_ci_u32_e32 v23, vcc_lo, s13, v2, vcc_lo
	v_add_co_ci_u32_e64 v30, null, s13, 0, s0
	s_mov_b32 s14, 0x3b39803f
	s_mov_b32 s30, 0x14761f6e
	;; [unrolled: 1-line block ×24, first 2 shown]
	s_mov_b64 s[12:13], 0
	s_mov_b32 s47, 0x3fe62e42
	s_mov_b32 s48, 0xfefa3000
	s_branch .LBB118_9
.LBB118_8:                              ;   in Loop: Header=BB118_9 Depth=1
	s_or_b32 exec_lo, exec_lo, s0
	v_add_co_u32 v9, vcc_lo, v9, s50
	v_add_co_ci_u32_e32 v10, vcc_lo, 0, v10, vcc_lo
	v_add_co_u32 v11, vcc_lo, v11, s50
	v_add_co_ci_u32_e32 v12, vcc_lo, 0, v12, vcc_lo
	;; [unrolled: 2-line block ×5, first 2 shown]
	s_add_u32 s12, s12, s33
	v_add_co_u32 v22, vcc_lo, v22, s50
	s_addc_u32 s13, s13, 0
	v_add_co_ci_u32_e32 v23, vcc_lo, 0, v23, vcc_lo
	v_cmp_ge_i64_e64 s0, s[12:13], s[10:11]
	v_cmp_lt_u64_e64 s1, 0xffff, s[12:13]
	v_add_co_u32 v27, vcc_lo, v27, s50
	v_add_co_ci_u32_e32 v28, vcc_lo, 0, v28, vcc_lo
	v_add_co_u32 v29, vcc_lo, v29, s50
	v_add_co_ci_u32_e32 v30, vcc_lo, 0, v30, vcc_lo
	s_or_b32 s0, s0, s1
	s_delay_alu instid0(SALU_CYCLE_1)
	s_and_b32 vcc_lo, exec_lo, s0
	s_cbranch_vccnz .LBB118_25
.LBB118_9:                              ; =>This Inner Loop Header: Depth=1
	s_waitcnt vmcnt(0)
	v_add_co_u32 v1, s0, v0, s12
	s_delay_alu instid0(VALU_DEP_1) | instskip(SKIP_2) | instid1(VALU_DEP_3)
	v_add_co_ci_u32_e64 v2, null, 0, s13, s0
	v_mov_b32_e32 v5, 0
	v_mov_b32_e32 v6, 0
	v_cmp_gt_u64_e64 s2, s[4:5], v[1:2]
	s_delay_alu instid0(VALU_DEP_2) | instskip(NEXT) | instid1(VALU_DEP_2)
	v_dual_mov_b32 v8, v6 :: v_dual_mov_b32 v7, v5
	s_and_saveexec_b32 s0, s2
	s_cbranch_execz .LBB118_11
; %bb.10:                               ;   in Loop: Header=BB118_9 Depth=1
	v_add_co_u32 v1, vcc_lo, v9, s8
	v_add_co_ci_u32_e32 v2, vcc_lo, s9, v10, vcc_lo
	global_load_b64 v[7:8], v[1:2], off
.LBB118_11:                             ;   in Loop: Header=BB118_9 Depth=1
	s_or_b32 exec_lo, exec_lo, s0
	v_add_co_u32 v1, vcc_lo, v21, s12
	v_add_co_ci_u32_e32 v2, vcc_lo, s13, v24, vcc_lo
	s_delay_alu instid0(VALU_DEP_1) | instskip(NEXT) | instid1(VALU_DEP_1)
	v_cmp_gt_u64_e64 s1, s[4:5], v[1:2]
	s_and_saveexec_b32 s0, s1
	s_cbranch_execz .LBB118_13
; %bb.12:                               ;   in Loop: Header=BB118_9 Depth=1
	v_add_co_u32 v1, vcc_lo, v27, s8
	v_add_co_ci_u32_e32 v2, vcc_lo, s9, v28, vcc_lo
	global_load_b64 v[5:6], v[1:2], off
.LBB118_13:                             ;   in Loop: Header=BB118_9 Depth=1
	s_or_b32 exec_lo, exec_lo, s0
	v_add_co_u32 v3, vcc_lo, v25, s12
	v_add_co_ci_u32_e32 v4, vcc_lo, s13, v26, vcc_lo
	v_mov_b32_e32 v1, 0
	v_mov_b32_e32 v2, 0
	s_delay_alu instid0(VALU_DEP_3) | instskip(NEXT) | instid1(VALU_DEP_2)
	v_cmp_gt_u64_e64 s0, s[4:5], v[3:4]
	v_dual_mov_b32 v4, v2 :: v_dual_mov_b32 v3, v1
	s_delay_alu instid0(VALU_DEP_2)
	s_and_saveexec_b32 s3, s0
	s_cbranch_execz .LBB118_15
; %bb.14:                               ;   in Loop: Header=BB118_9 Depth=1
	v_add_co_u32 v3, vcc_lo, v19, s8
	v_add_co_ci_u32_e32 v4, vcc_lo, s9, v20, vcc_lo
	global_load_b64 v[3:4], v[3:4], off
.LBB118_15:                             ;   in Loop: Header=BB118_9 Depth=1
	s_or_b32 exec_lo, exec_lo, s3
	v_add_co_u32 v31, vcc_lo, v17, s12
	v_add_co_ci_u32_e32 v32, vcc_lo, s13, v18, vcc_lo
	s_delay_alu instid0(VALU_DEP_1)
	v_cmp_gt_u64_e32 vcc_lo, s[4:5], v[31:32]
	s_and_saveexec_b32 s46, vcc_lo
	s_cbranch_execnz .LBB118_20
; %bb.16:                               ;   in Loop: Header=BB118_9 Depth=1
	s_or_b32 exec_lo, exec_lo, s46
	s_and_saveexec_b32 s3, s2
	s_cbranch_execnz .LBB118_21
.LBB118_17:                             ;   in Loop: Header=BB118_9 Depth=1
	s_or_b32 exec_lo, exec_lo, s3
	s_and_saveexec_b32 s2, s1
	s_cbranch_execnz .LBB118_22
.LBB118_18:                             ;   in Loop: Header=BB118_9 Depth=1
	s_or_b32 exec_lo, exec_lo, s2
	s_and_saveexec_b32 s1, s0
	s_cbranch_execnz .LBB118_23
.LBB118_19:                             ;   in Loop: Header=BB118_9 Depth=1
	s_or_b32 exec_lo, exec_lo, s1
	s_and_saveexec_b32 s0, vcc_lo
	s_cbranch_execz .LBB118_8
	s_branch .LBB118_24
.LBB118_20:                             ;   in Loop: Header=BB118_9 Depth=1
	v_add_co_u32 v1, s3, v13, s8
	s_delay_alu instid0(VALU_DEP_1)
	v_add_co_ci_u32_e64 v2, s3, s9, v14, s3
	global_load_b64 v[1:2], v[1:2], off
	s_or_b32 exec_lo, exec_lo, s46
	s_and_saveexec_b32 s3, s2
	s_cbranch_execz .LBB118_17
.LBB118_21:                             ;   in Loop: Header=BB118_9 Depth=1
	s_waitcnt vmcnt(0)
	v_add_f64 v[31:32], |v[7:8]|, s[6:7]
	s_mov_b32 s46, s6
	s_mov_b32 s49, s7
	v_cmp_nge_f64_e64 s2, |v[7:8]|, s[44:45]
	s_delay_alu instid0(VALU_DEP_2) | instskip(NEXT) | instid1(VALU_DEP_1)
	v_add_f64 v[33:34], v[31:32], -|v[7:8]|
	v_add_f64 v[35:36], v[33:34], -v[31:32]
	v_add_f64 v[33:34], v[33:34], s[46:47]
	s_delay_alu instid0(VALU_DEP_2) | instskip(NEXT) | instid1(VALU_DEP_1)
	v_add_f64 v[35:36], |v[7:8]|, v[35:36]
	v_add_f64 v[33:34], v[35:36], -v[33:34]
	s_delay_alu instid0(VALU_DEP_1) | instskip(NEXT) | instid1(VALU_DEP_1)
	v_add_f64 v[33:34], v[33:34], s[14:15]
	v_add_f64 v[35:36], v[31:32], v[33:34]
	s_delay_alu instid0(VALU_DEP_1) | instskip(SKIP_1) | instid1(VALU_DEP_2)
	v_mul_f64 v[37:38], v[35:36], s[16:17]
	v_add_f64 v[31:32], v[31:32], -v[35:36]
	v_rndne_f64_e32 v[37:38], v[37:38]
	s_delay_alu instid0(VALU_DEP_2) | instskip(NEXT) | instid1(VALU_DEP_2)
	v_add_f64 v[31:32], v[33:34], v[31:32]
	v_fma_f64 v[33:34], v[37:38], s[48:49], v[35:36]
	v_mul_f64 v[35:36], v[37:38], s[18:19]
	s_delay_alu instid0(VALU_DEP_2) | instskip(NEXT) | instid1(VALU_DEP_1)
	v_add_f64 v[39:40], v[31:32], v[33:34]
	v_add_f64 v[41:42], v[39:40], v[35:36]
	v_add_f64 v[33:34], v[33:34], -v[39:40]
	s_delay_alu instid0(VALU_DEP_2) | instskip(NEXT) | instid1(VALU_DEP_2)
	v_add_f64 v[39:40], v[39:40], -v[41:42]
	v_add_f64 v[31:32], v[31:32], v[33:34]
	s_delay_alu instid0(VALU_DEP_2) | instskip(NEXT) | instid1(VALU_DEP_1)
	v_add_f64 v[33:34], v[39:40], v[35:36]
	v_add_f64 v[31:32], v[31:32], v[33:34]
	v_mul_f64 v[33:34], v[37:38], s[20:21]
	s_delay_alu instid0(VALU_DEP_2) | instskip(NEXT) | instid1(VALU_DEP_1)
	v_add_f64 v[35:36], v[41:42], v[31:32]
	v_add_f64 v[39:40], v[35:36], v[33:34]
	v_add_f64 v[41:42], v[41:42], -v[35:36]
	s_delay_alu instid0(VALU_DEP_2) | instskip(NEXT) | instid1(VALU_DEP_2)
	v_add_f64 v[35:36], v[35:36], -v[39:40]
	v_add_f64 v[31:32], v[31:32], v[41:42]
	s_delay_alu instid0(VALU_DEP_2) | instskip(NEXT) | instid1(VALU_DEP_1)
	v_add_f64 v[33:34], v[35:36], v[33:34]
	v_add_f64 v[31:32], v[31:32], v[33:34]
	s_delay_alu instid0(VALU_DEP_1) | instskip(NEXT) | instid1(VALU_DEP_1)
	v_add_f64 v[33:34], v[39:40], v[31:32]
	v_fma_f64 v[35:36], v[33:34], s[24:25], s[22:23]
	v_add_f64 v[39:40], v[39:40], -v[33:34]
	v_mul_f64 v[41:42], v[33:34], v[33:34]
	s_delay_alu instid0(VALU_DEP_3) | instskip(NEXT) | instid1(VALU_DEP_3)
	v_fma_f64 v[35:36], v[33:34], v[35:36], s[26:27]
	v_add_f64 v[31:32], v[31:32], v[39:40]
	s_delay_alu instid0(VALU_DEP_3) | instskip(NEXT) | instid1(VALU_DEP_3)
	v_fma_f64 v[39:40], v[33:34], v[33:34], -v[41:42]
	v_fma_f64 v[35:36], v[33:34], v[35:36], s[28:29]
	s_delay_alu instid0(VALU_DEP_3) | instskip(NEXT) | instid1(VALU_DEP_2)
	v_add_f64 v[43:44], v[31:32], v[31:32]
	v_fma_f64 v[35:36], v[33:34], v[35:36], s[30:31]
	s_delay_alu instid0(VALU_DEP_2) | instskip(NEXT) | instid1(VALU_DEP_2)
	v_fma_f64 v[39:40], v[33:34], v[43:44], v[39:40]
	v_fma_f64 v[35:36], v[33:34], v[35:36], s[34:35]
	s_delay_alu instid0(VALU_DEP_2) | instskip(NEXT) | instid1(VALU_DEP_2)
	v_add_f64 v[43:44], v[41:42], v[39:40]
	v_fma_f64 v[35:36], v[33:34], v[35:36], s[36:37]
	s_delay_alu instid0(VALU_DEP_2) | instskip(NEXT) | instid1(VALU_DEP_2)
	v_add_f64 v[41:42], v[43:44], -v[41:42]
	v_fma_f64 v[35:36], v[33:34], v[35:36], s[38:39]
	s_delay_alu instid0(VALU_DEP_2) | instskip(NEXT) | instid1(VALU_DEP_2)
	v_add_f64 v[39:40], v[39:40], -v[41:42]
	v_fma_f64 v[35:36], v[33:34], v[35:36], s[40:41]
	s_delay_alu instid0(VALU_DEP_1) | instskip(NEXT) | instid1(VALU_DEP_1)
	v_fma_f64 v[35:36], v[33:34], v[35:36], s[42:43]
	v_mul_f64 v[45:46], v[43:44], v[35:36]
	s_delay_alu instid0(VALU_DEP_1) | instskip(NEXT) | instid1(VALU_DEP_1)
	v_fma_f64 v[41:42], v[43:44], v[35:36], -v[45:46]
	v_fma_f64 v[35:36], v[39:40], v[35:36], v[41:42]
	s_delay_alu instid0(VALU_DEP_1) | instskip(NEXT) | instid1(VALU_DEP_1)
	v_add_f64 v[39:40], v[45:46], v[35:36]
	v_add_f64 v[41:42], v[39:40], -v[45:46]
	v_add_f64 v[43:44], v[33:34], v[39:40]
	s_delay_alu instid0(VALU_DEP_2) | instskip(NEXT) | instid1(VALU_DEP_2)
	v_add_f64 v[35:36], v[35:36], -v[41:42]
	v_add_f64 v[33:34], v[43:44], -v[33:34]
	s_delay_alu instid0(VALU_DEP_2) | instskip(NEXT) | instid1(VALU_DEP_2)
	v_add_f64 v[31:32], v[31:32], v[35:36]
	v_add_f64 v[33:34], v[39:40], -v[33:34]
	s_delay_alu instid0(VALU_DEP_1) | instskip(NEXT) | instid1(VALU_DEP_1)
	v_add_f64 v[31:32], v[31:32], v[33:34]
	v_add_f64 v[33:34], v[43:44], v[31:32]
	s_delay_alu instid0(VALU_DEP_1) | instskip(SKIP_2) | instid1(VALU_DEP_3)
	v_add_f64 v[35:36], v[33:34], 1.0
	v_add_f64 v[39:40], v[33:34], -v[43:44]
	v_cvt_i32_f64_e32 v43, v[37:38]
	v_add_f64 v[41:42], v[35:36], -1.0
	s_delay_alu instid0(VALU_DEP_3) | instskip(NEXT) | instid1(VALU_DEP_2)
	v_add_f64 v[31:32], v[31:32], -v[39:40]
	v_add_f64 v[33:34], v[33:34], -v[41:42]
	s_delay_alu instid0(VALU_DEP_1) | instskip(NEXT) | instid1(VALU_DEP_1)
	v_add_f64 v[31:32], v[31:32], v[33:34]
	v_add_f64 v[33:34], v[35:36], v[31:32]
	s_delay_alu instid0(VALU_DEP_1) | instskip(SKIP_1) | instid1(VALU_DEP_2)
	v_ldexp_f64 v[37:38], v[33:34], v43
	v_add_f64 v[33:34], v[33:34], -v[35:36]
	v_rcp_f64_e32 v[39:40], v[37:38]
	s_delay_alu instid0(VALU_DEP_1) | instskip(NEXT) | instid1(VALU_DEP_1)
	v_add_f64 v[31:32], v[31:32], -v[33:34]
	v_ldexp_f64 v[31:32], v[31:32], v43
	s_waitcnt_depctr 0xfff
	v_fma_f64 v[41:42], -v[37:38], v[39:40], 1.0
	s_delay_alu instid0(VALU_DEP_1) | instskip(NEXT) | instid1(VALU_DEP_1)
	v_fma_f64 v[39:40], v[41:42], v[39:40], v[39:40]
	v_fma_f64 v[41:42], -v[37:38], v[39:40], 1.0
	s_delay_alu instid0(VALU_DEP_1) | instskip(NEXT) | instid1(VALU_DEP_1)
	v_fma_f64 v[35:36], v[41:42], v[39:40], v[39:40]
	v_mul_f64 v[33:34], v[37:38], v[35:36]
	s_delay_alu instid0(VALU_DEP_1) | instskip(NEXT) | instid1(VALU_DEP_1)
	v_fma_f64 v[39:40], v[35:36], v[37:38], -v[33:34]
	v_fma_f64 v[39:40], v[35:36], v[31:32], v[39:40]
	s_delay_alu instid0(VALU_DEP_1) | instskip(NEXT) | instid1(VALU_DEP_1)
	v_add_f64 v[41:42], v[33:34], v[39:40]
	v_add_f64 v[43:44], -v[41:42], 1.0
	v_add_f64 v[33:34], v[41:42], -v[33:34]
	s_delay_alu instid0(VALU_DEP_2) | instskip(NEXT) | instid1(VALU_DEP_2)
	v_add_f64 v[45:46], -v[43:44], 1.0
	v_add_f64 v[33:34], v[33:34], -v[39:40]
	s_delay_alu instid0(VALU_DEP_2) | instskip(NEXT) | instid1(VALU_DEP_1)
	v_add_f64 v[39:40], v[45:46], -v[41:42]
	v_add_f64 v[33:34], v[33:34], v[39:40]
	s_delay_alu instid0(VALU_DEP_1) | instskip(NEXT) | instid1(VALU_DEP_1)
	v_add_f64 v[39:40], v[43:44], v[33:34]
	v_mul_f64 v[41:42], v[35:36], v[39:40]
	v_add_f64 v[43:44], v[43:44], -v[39:40]
	s_delay_alu instid0(VALU_DEP_2) | instskip(NEXT) | instid1(VALU_DEP_2)
	v_mul_f64 v[45:46], v[37:38], v[41:42]
	v_add_f64 v[33:34], v[33:34], v[43:44]
	s_delay_alu instid0(VALU_DEP_2) | instskip(NEXT) | instid1(VALU_DEP_1)
	v_fma_f64 v[47:48], v[41:42], v[37:38], -v[45:46]
	v_fma_f64 v[47:48], v[41:42], v[31:32], v[47:48]
	s_delay_alu instid0(VALU_DEP_1) | instskip(NEXT) | instid1(VALU_DEP_1)
	v_add_f64 v[49:50], v[45:46], v[47:48]
	v_add_f64 v[51:52], v[39:40], -v[49:50]
	v_add_f64 v[43:44], v[49:50], -v[45:46]
	s_delay_alu instid0(VALU_DEP_2) | instskip(NEXT) | instid1(VALU_DEP_2)
	v_add_f64 v[39:40], v[39:40], -v[51:52]
	v_add_f64 v[43:44], v[43:44], -v[47:48]
	s_delay_alu instid0(VALU_DEP_2) | instskip(NEXT) | instid1(VALU_DEP_1)
	v_add_f64 v[39:40], v[39:40], -v[49:50]
	v_add_f64 v[33:34], v[33:34], v[39:40]
	v_add_f64 v[39:40], v[35:36], v[41:42]
	s_delay_alu instid0(VALU_DEP_2) | instskip(NEXT) | instid1(VALU_DEP_2)
	v_add_f64 v[33:34], v[43:44], v[33:34]
	v_add_f64 v[43:44], v[39:40], -v[35:36]
	s_delay_alu instid0(VALU_DEP_2) | instskip(NEXT) | instid1(VALU_DEP_2)
	v_add_f64 v[33:34], v[51:52], v[33:34]
	v_add_f64 v[41:42], v[41:42], -v[43:44]
	s_delay_alu instid0(VALU_DEP_2) | instskip(NEXT) | instid1(VALU_DEP_1)
	v_mul_f64 v[33:34], v[35:36], v[33:34]
	v_add_f64 v[33:34], v[41:42], v[33:34]
	s_delay_alu instid0(VALU_DEP_1) | instskip(NEXT) | instid1(VALU_DEP_1)
	v_add_f64 v[35:36], v[39:40], v[33:34]
	v_ldexp_f64 v[41:42], v[35:36], -2
	v_add_f64 v[35:36], v[35:36], -v[39:40]
	s_delay_alu instid0(VALU_DEP_2) | instskip(NEXT) | instid1(VALU_DEP_2)
	v_add_f64 v[43:44], v[37:38], -v[41:42]
	v_add_f64 v[33:34], v[33:34], -v[35:36]
	s_delay_alu instid0(VALU_DEP_2) | instskip(NEXT) | instid1(VALU_DEP_2)
	v_add_f64 v[37:38], v[37:38], -v[43:44]
	v_ldexp_f64 v[33:34], v[33:34], -2
	s_delay_alu instid0(VALU_DEP_2) | instskip(NEXT) | instid1(VALU_DEP_1)
	v_add_f64 v[35:36], v[37:38], -v[41:42]
	v_add_f64 v[31:32], v[31:32], v[35:36]
	s_delay_alu instid0(VALU_DEP_1) | instskip(SKIP_1) | instid1(VALU_DEP_2)
	v_add_f64 v[31:32], v[31:32], -v[33:34]
	v_and_b32_e32 v33, 0x7fffffff, v8
	v_add_f64 v[31:32], v[43:44], v[31:32]
	s_delay_alu instid0(VALU_DEP_1) | instskip(NEXT) | instid1(VALU_DEP_2)
	v_cndmask_b32_e64 v32, 0x7ff00000, v32, s2
	v_cndmask_b32_e64 v31, 0, v31, s2
	v_cmp_gt_f64_e64 s2, 0x3e400000, |v[7:8]|
	s_delay_alu instid0(VALU_DEP_1) | instskip(NEXT) | instid1(VALU_DEP_4)
	v_cndmask_b32_e64 v7, v31, v7, s2
	v_cndmask_b32_e64 v31, v32, v33, s2
	s_delay_alu instid0(VALU_DEP_1) | instskip(SKIP_1) | instid1(VALU_DEP_1)
	v_bfi_b32 v8, 0x7fffffff, v31, v8
	v_add_co_u32 v31, s2, v11, s8
	v_add_co_ci_u32_e64 v32, s2, s9, v12, s2
	global_store_b64 v[31:32], v[7:8], off
	s_or_b32 exec_lo, exec_lo, s3
	s_and_saveexec_b32 s2, s1
	s_cbranch_execz .LBB118_18
.LBB118_22:                             ;   in Loop: Header=BB118_9 Depth=1
	s_waitcnt vmcnt(0)
	v_add_f64 v[7:8], |v[5:6]|, s[6:7]
	s_mov_b32 s46, s6
	s_mov_b32 s49, s7
	v_cmp_nge_f64_e64 s1, |v[5:6]|, s[44:45]
	s_delay_alu instid0(VALU_DEP_2) | instskip(NEXT) | instid1(VALU_DEP_1)
	v_add_f64 v[31:32], v[7:8], -|v[5:6]|
	v_add_f64 v[33:34], v[31:32], -v[7:8]
	v_add_f64 v[31:32], v[31:32], s[46:47]
	s_delay_alu instid0(VALU_DEP_2) | instskip(NEXT) | instid1(VALU_DEP_1)
	v_add_f64 v[33:34], |v[5:6]|, v[33:34]
	v_add_f64 v[31:32], v[33:34], -v[31:32]
	s_delay_alu instid0(VALU_DEP_1) | instskip(NEXT) | instid1(VALU_DEP_1)
	v_add_f64 v[31:32], v[31:32], s[14:15]
	v_add_f64 v[33:34], v[7:8], v[31:32]
	s_delay_alu instid0(VALU_DEP_1) | instskip(SKIP_1) | instid1(VALU_DEP_2)
	v_mul_f64 v[35:36], v[33:34], s[16:17]
	v_add_f64 v[7:8], v[7:8], -v[33:34]
	v_rndne_f64_e32 v[35:36], v[35:36]
	s_delay_alu instid0(VALU_DEP_2) | instskip(NEXT) | instid1(VALU_DEP_2)
	v_add_f64 v[7:8], v[31:32], v[7:8]
	v_fma_f64 v[31:32], v[35:36], s[48:49], v[33:34]
	v_mul_f64 v[33:34], v[35:36], s[18:19]
	s_delay_alu instid0(VALU_DEP_2) | instskip(NEXT) | instid1(VALU_DEP_1)
	v_add_f64 v[37:38], v[7:8], v[31:32]
	v_add_f64 v[39:40], v[37:38], v[33:34]
	v_add_f64 v[31:32], v[31:32], -v[37:38]
	s_delay_alu instid0(VALU_DEP_2) | instskip(NEXT) | instid1(VALU_DEP_2)
	v_add_f64 v[37:38], v[37:38], -v[39:40]
	v_add_f64 v[7:8], v[7:8], v[31:32]
	s_delay_alu instid0(VALU_DEP_2) | instskip(NEXT) | instid1(VALU_DEP_1)
	v_add_f64 v[31:32], v[37:38], v[33:34]
	v_add_f64 v[7:8], v[7:8], v[31:32]
	v_mul_f64 v[31:32], v[35:36], s[20:21]
	s_delay_alu instid0(VALU_DEP_2) | instskip(NEXT) | instid1(VALU_DEP_1)
	v_add_f64 v[33:34], v[39:40], v[7:8]
	v_add_f64 v[37:38], v[33:34], v[31:32]
	v_add_f64 v[39:40], v[39:40], -v[33:34]
	s_delay_alu instid0(VALU_DEP_2) | instskip(NEXT) | instid1(VALU_DEP_2)
	v_add_f64 v[33:34], v[33:34], -v[37:38]
	v_add_f64 v[7:8], v[7:8], v[39:40]
	s_delay_alu instid0(VALU_DEP_2) | instskip(NEXT) | instid1(VALU_DEP_1)
	v_add_f64 v[31:32], v[33:34], v[31:32]
	v_add_f64 v[7:8], v[7:8], v[31:32]
	s_delay_alu instid0(VALU_DEP_1) | instskip(NEXT) | instid1(VALU_DEP_1)
	v_add_f64 v[31:32], v[37:38], v[7:8]
	v_fma_f64 v[33:34], v[31:32], s[24:25], s[22:23]
	v_add_f64 v[37:38], v[37:38], -v[31:32]
	v_mul_f64 v[39:40], v[31:32], v[31:32]
	s_delay_alu instid0(VALU_DEP_3) | instskip(NEXT) | instid1(VALU_DEP_3)
	v_fma_f64 v[33:34], v[31:32], v[33:34], s[26:27]
	v_add_f64 v[7:8], v[7:8], v[37:38]
	s_delay_alu instid0(VALU_DEP_3) | instskip(NEXT) | instid1(VALU_DEP_3)
	v_fma_f64 v[37:38], v[31:32], v[31:32], -v[39:40]
	v_fma_f64 v[33:34], v[31:32], v[33:34], s[28:29]
	s_delay_alu instid0(VALU_DEP_3) | instskip(NEXT) | instid1(VALU_DEP_2)
	v_add_f64 v[41:42], v[7:8], v[7:8]
	v_fma_f64 v[33:34], v[31:32], v[33:34], s[30:31]
	s_delay_alu instid0(VALU_DEP_2) | instskip(NEXT) | instid1(VALU_DEP_2)
	v_fma_f64 v[37:38], v[31:32], v[41:42], v[37:38]
	v_fma_f64 v[33:34], v[31:32], v[33:34], s[34:35]
	s_delay_alu instid0(VALU_DEP_2) | instskip(NEXT) | instid1(VALU_DEP_2)
	v_add_f64 v[41:42], v[39:40], v[37:38]
	v_fma_f64 v[33:34], v[31:32], v[33:34], s[36:37]
	s_delay_alu instid0(VALU_DEP_2) | instskip(NEXT) | instid1(VALU_DEP_2)
	v_add_f64 v[39:40], v[41:42], -v[39:40]
	v_fma_f64 v[33:34], v[31:32], v[33:34], s[38:39]
	s_delay_alu instid0(VALU_DEP_2) | instskip(NEXT) | instid1(VALU_DEP_2)
	v_add_f64 v[37:38], v[37:38], -v[39:40]
	v_fma_f64 v[33:34], v[31:32], v[33:34], s[40:41]
	s_delay_alu instid0(VALU_DEP_1) | instskip(NEXT) | instid1(VALU_DEP_1)
	v_fma_f64 v[33:34], v[31:32], v[33:34], s[42:43]
	v_mul_f64 v[43:44], v[41:42], v[33:34]
	s_delay_alu instid0(VALU_DEP_1) | instskip(NEXT) | instid1(VALU_DEP_1)
	v_fma_f64 v[39:40], v[41:42], v[33:34], -v[43:44]
	v_fma_f64 v[33:34], v[37:38], v[33:34], v[39:40]
	s_delay_alu instid0(VALU_DEP_1) | instskip(NEXT) | instid1(VALU_DEP_1)
	v_add_f64 v[37:38], v[43:44], v[33:34]
	v_add_f64 v[39:40], v[31:32], v[37:38]
	v_add_f64 v[41:42], v[37:38], -v[43:44]
	s_delay_alu instid0(VALU_DEP_2) | instskip(NEXT) | instid1(VALU_DEP_2)
	v_add_f64 v[31:32], v[39:40], -v[31:32]
	v_add_f64 v[33:34], v[33:34], -v[41:42]
	v_cvt_i32_f64_e32 v41, v[35:36]
	s_delay_alu instid0(VALU_DEP_3) | instskip(NEXT) | instid1(VALU_DEP_3)
	v_add_f64 v[31:32], v[37:38], -v[31:32]
	v_add_f64 v[7:8], v[7:8], v[33:34]
	s_delay_alu instid0(VALU_DEP_1) | instskip(NEXT) | instid1(VALU_DEP_1)
	v_add_f64 v[7:8], v[7:8], v[31:32]
	v_add_f64 v[31:32], v[39:40], v[7:8]
	s_delay_alu instid0(VALU_DEP_1) | instskip(SKIP_1) | instid1(VALU_DEP_2)
	v_add_f64 v[33:34], v[31:32], 1.0
	v_add_f64 v[37:38], v[31:32], -v[39:40]
	v_add_f64 v[39:40], v[33:34], -1.0
	s_delay_alu instid0(VALU_DEP_2) | instskip(NEXT) | instid1(VALU_DEP_2)
	v_add_f64 v[7:8], v[7:8], -v[37:38]
	v_add_f64 v[31:32], v[31:32], -v[39:40]
	s_delay_alu instid0(VALU_DEP_1) | instskip(NEXT) | instid1(VALU_DEP_1)
	v_add_f64 v[7:8], v[7:8], v[31:32]
	v_add_f64 v[31:32], v[33:34], v[7:8]
	s_delay_alu instid0(VALU_DEP_1) | instskip(SKIP_1) | instid1(VALU_DEP_2)
	v_ldexp_f64 v[35:36], v[31:32], v41
	v_add_f64 v[31:32], v[31:32], -v[33:34]
	v_rcp_f64_e32 v[37:38], v[35:36]
	s_delay_alu instid0(VALU_DEP_1) | instskip(NEXT) | instid1(VALU_DEP_1)
	v_add_f64 v[7:8], v[7:8], -v[31:32]
	v_ldexp_f64 v[7:8], v[7:8], v41
	s_waitcnt_depctr 0xfff
	v_fma_f64 v[39:40], -v[35:36], v[37:38], 1.0
	s_delay_alu instid0(VALU_DEP_1) | instskip(NEXT) | instid1(VALU_DEP_1)
	v_fma_f64 v[37:38], v[39:40], v[37:38], v[37:38]
	v_fma_f64 v[39:40], -v[35:36], v[37:38], 1.0
	s_delay_alu instid0(VALU_DEP_1) | instskip(NEXT) | instid1(VALU_DEP_1)
	v_fma_f64 v[33:34], v[39:40], v[37:38], v[37:38]
	v_mul_f64 v[31:32], v[35:36], v[33:34]
	s_delay_alu instid0(VALU_DEP_1) | instskip(NEXT) | instid1(VALU_DEP_1)
	v_fma_f64 v[37:38], v[33:34], v[35:36], -v[31:32]
	v_fma_f64 v[37:38], v[33:34], v[7:8], v[37:38]
	s_delay_alu instid0(VALU_DEP_1) | instskip(NEXT) | instid1(VALU_DEP_1)
	v_add_f64 v[39:40], v[31:32], v[37:38]
	v_add_f64 v[41:42], -v[39:40], 1.0
	v_add_f64 v[31:32], v[39:40], -v[31:32]
	s_delay_alu instid0(VALU_DEP_2) | instskip(NEXT) | instid1(VALU_DEP_2)
	v_add_f64 v[43:44], -v[41:42], 1.0
	v_add_f64 v[31:32], v[31:32], -v[37:38]
	s_delay_alu instid0(VALU_DEP_2) | instskip(NEXT) | instid1(VALU_DEP_1)
	v_add_f64 v[37:38], v[43:44], -v[39:40]
	v_add_f64 v[31:32], v[31:32], v[37:38]
	s_delay_alu instid0(VALU_DEP_1) | instskip(NEXT) | instid1(VALU_DEP_1)
	v_add_f64 v[37:38], v[41:42], v[31:32]
	v_mul_f64 v[39:40], v[33:34], v[37:38]
	v_add_f64 v[41:42], v[41:42], -v[37:38]
	s_delay_alu instid0(VALU_DEP_2) | instskip(NEXT) | instid1(VALU_DEP_2)
	v_mul_f64 v[43:44], v[35:36], v[39:40]
	v_add_f64 v[31:32], v[31:32], v[41:42]
	s_delay_alu instid0(VALU_DEP_2) | instskip(NEXT) | instid1(VALU_DEP_1)
	v_fma_f64 v[45:46], v[39:40], v[35:36], -v[43:44]
	v_fma_f64 v[45:46], v[39:40], v[7:8], v[45:46]
	s_delay_alu instid0(VALU_DEP_1) | instskip(NEXT) | instid1(VALU_DEP_1)
	v_add_f64 v[47:48], v[43:44], v[45:46]
	v_add_f64 v[49:50], v[37:38], -v[47:48]
	v_add_f64 v[41:42], v[47:48], -v[43:44]
	s_delay_alu instid0(VALU_DEP_2) | instskip(NEXT) | instid1(VALU_DEP_2)
	v_add_f64 v[37:38], v[37:38], -v[49:50]
	v_add_f64 v[41:42], v[41:42], -v[45:46]
	s_delay_alu instid0(VALU_DEP_2) | instskip(NEXT) | instid1(VALU_DEP_1)
	v_add_f64 v[37:38], v[37:38], -v[47:48]
	v_add_f64 v[31:32], v[31:32], v[37:38]
	v_add_f64 v[37:38], v[33:34], v[39:40]
	s_delay_alu instid0(VALU_DEP_2) | instskip(NEXT) | instid1(VALU_DEP_2)
	v_add_f64 v[31:32], v[41:42], v[31:32]
	v_add_f64 v[41:42], v[37:38], -v[33:34]
	s_delay_alu instid0(VALU_DEP_2) | instskip(NEXT) | instid1(VALU_DEP_2)
	v_add_f64 v[31:32], v[49:50], v[31:32]
	v_add_f64 v[39:40], v[39:40], -v[41:42]
	s_delay_alu instid0(VALU_DEP_2) | instskip(NEXT) | instid1(VALU_DEP_1)
	v_mul_f64 v[31:32], v[33:34], v[31:32]
	v_add_f64 v[31:32], v[39:40], v[31:32]
	s_delay_alu instid0(VALU_DEP_1) | instskip(NEXT) | instid1(VALU_DEP_1)
	v_add_f64 v[33:34], v[37:38], v[31:32]
	v_ldexp_f64 v[39:40], v[33:34], -2
	v_add_f64 v[33:34], v[33:34], -v[37:38]
	s_delay_alu instid0(VALU_DEP_2) | instskip(NEXT) | instid1(VALU_DEP_2)
	v_add_f64 v[41:42], v[35:36], -v[39:40]
	v_add_f64 v[31:32], v[31:32], -v[33:34]
	s_delay_alu instid0(VALU_DEP_2) | instskip(NEXT) | instid1(VALU_DEP_2)
	v_add_f64 v[35:36], v[35:36], -v[41:42]
	v_ldexp_f64 v[31:32], v[31:32], -2
	s_delay_alu instid0(VALU_DEP_2) | instskip(NEXT) | instid1(VALU_DEP_1)
	v_add_f64 v[33:34], v[35:36], -v[39:40]
	v_add_f64 v[7:8], v[7:8], v[33:34]
	s_delay_alu instid0(VALU_DEP_1) | instskip(SKIP_1) | instid1(VALU_DEP_2)
	v_add_f64 v[7:8], v[7:8], -v[31:32]
	v_and_b32_e32 v31, 0x7fffffff, v6
	v_add_f64 v[7:8], v[41:42], v[7:8]
	s_delay_alu instid0(VALU_DEP_1) | instskip(NEXT) | instid1(VALU_DEP_2)
	v_cndmask_b32_e64 v8, 0x7ff00000, v8, s1
	v_cndmask_b32_e64 v7, 0, v7, s1
	v_cmp_gt_f64_e64 s1, 0x3e400000, |v[5:6]|
	s_delay_alu instid0(VALU_DEP_1) | instskip(NEXT) | instid1(VALU_DEP_4)
	v_cndmask_b32_e64 v5, v7, v5, s1
	v_cndmask_b32_e64 v7, v8, v31, s1
	s_delay_alu instid0(VALU_DEP_1) | instskip(SKIP_1) | instid1(VALU_DEP_1)
	v_bfi_b32 v6, 0x7fffffff, v7, v6
	v_add_co_u32 v7, s1, v29, s8
	v_add_co_ci_u32_e64 v8, s1, s9, v30, s1
	global_store_b64 v[7:8], v[5:6], off
	s_or_b32 exec_lo, exec_lo, s2
	s_and_saveexec_b32 s1, s0
	s_cbranch_execz .LBB118_19
.LBB118_23:                             ;   in Loop: Header=BB118_9 Depth=1
	s_waitcnt vmcnt(0)
	v_add_f64 v[5:6], |v[3:4]|, s[6:7]
	s_mov_b32 s46, s6
	s_mov_b32 s49, s7
	v_cmp_nge_f64_e64 s0, |v[3:4]|, s[44:45]
	s_delay_alu instid0(VALU_DEP_2) | instskip(NEXT) | instid1(VALU_DEP_1)
	v_add_f64 v[7:8], v[5:6], -|v[3:4]|
	v_add_f64 v[31:32], v[7:8], -v[5:6]
	v_add_f64 v[7:8], v[7:8], s[46:47]
	s_delay_alu instid0(VALU_DEP_2) | instskip(NEXT) | instid1(VALU_DEP_1)
	v_add_f64 v[31:32], |v[3:4]|, v[31:32]
	v_add_f64 v[7:8], v[31:32], -v[7:8]
	s_delay_alu instid0(VALU_DEP_1) | instskip(NEXT) | instid1(VALU_DEP_1)
	v_add_f64 v[7:8], v[7:8], s[14:15]
	v_add_f64 v[31:32], v[5:6], v[7:8]
	s_delay_alu instid0(VALU_DEP_1) | instskip(SKIP_1) | instid1(VALU_DEP_2)
	v_mul_f64 v[33:34], v[31:32], s[16:17]
	v_add_f64 v[5:6], v[5:6], -v[31:32]
	v_rndne_f64_e32 v[33:34], v[33:34]
	s_delay_alu instid0(VALU_DEP_2) | instskip(NEXT) | instid1(VALU_DEP_2)
	v_add_f64 v[5:6], v[7:8], v[5:6]
	v_fma_f64 v[7:8], v[33:34], s[48:49], v[31:32]
	v_mul_f64 v[31:32], v[33:34], s[18:19]
	s_delay_alu instid0(VALU_DEP_2) | instskip(NEXT) | instid1(VALU_DEP_1)
	v_add_f64 v[35:36], v[5:6], v[7:8]
	v_add_f64 v[37:38], v[35:36], v[31:32]
	v_add_f64 v[7:8], v[7:8], -v[35:36]
	s_delay_alu instid0(VALU_DEP_2) | instskip(NEXT) | instid1(VALU_DEP_2)
	v_add_f64 v[35:36], v[35:36], -v[37:38]
	v_add_f64 v[5:6], v[5:6], v[7:8]
	s_delay_alu instid0(VALU_DEP_2) | instskip(NEXT) | instid1(VALU_DEP_1)
	v_add_f64 v[7:8], v[35:36], v[31:32]
	v_add_f64 v[5:6], v[5:6], v[7:8]
	v_mul_f64 v[7:8], v[33:34], s[20:21]
	s_delay_alu instid0(VALU_DEP_2) | instskip(NEXT) | instid1(VALU_DEP_1)
	v_add_f64 v[31:32], v[37:38], v[5:6]
	v_add_f64 v[35:36], v[31:32], v[7:8]
	v_add_f64 v[37:38], v[37:38], -v[31:32]
	s_delay_alu instid0(VALU_DEP_2) | instskip(NEXT) | instid1(VALU_DEP_2)
	v_add_f64 v[31:32], v[31:32], -v[35:36]
	v_add_f64 v[5:6], v[5:6], v[37:38]
	s_delay_alu instid0(VALU_DEP_2) | instskip(NEXT) | instid1(VALU_DEP_1)
	v_add_f64 v[7:8], v[31:32], v[7:8]
	v_add_f64 v[5:6], v[5:6], v[7:8]
	s_delay_alu instid0(VALU_DEP_1) | instskip(NEXT) | instid1(VALU_DEP_1)
	v_add_f64 v[7:8], v[35:36], v[5:6]
	v_fma_f64 v[31:32], v[7:8], s[24:25], s[22:23]
	v_add_f64 v[35:36], v[35:36], -v[7:8]
	v_mul_f64 v[37:38], v[7:8], v[7:8]
	s_delay_alu instid0(VALU_DEP_3) | instskip(NEXT) | instid1(VALU_DEP_3)
	v_fma_f64 v[31:32], v[7:8], v[31:32], s[26:27]
	v_add_f64 v[5:6], v[5:6], v[35:36]
	s_delay_alu instid0(VALU_DEP_3) | instskip(NEXT) | instid1(VALU_DEP_3)
	v_fma_f64 v[35:36], v[7:8], v[7:8], -v[37:38]
	v_fma_f64 v[31:32], v[7:8], v[31:32], s[28:29]
	s_delay_alu instid0(VALU_DEP_3) | instskip(NEXT) | instid1(VALU_DEP_2)
	v_add_f64 v[39:40], v[5:6], v[5:6]
	v_fma_f64 v[31:32], v[7:8], v[31:32], s[30:31]
	s_delay_alu instid0(VALU_DEP_2) | instskip(NEXT) | instid1(VALU_DEP_2)
	v_fma_f64 v[35:36], v[7:8], v[39:40], v[35:36]
	v_fma_f64 v[31:32], v[7:8], v[31:32], s[34:35]
	s_delay_alu instid0(VALU_DEP_2) | instskip(NEXT) | instid1(VALU_DEP_2)
	v_add_f64 v[39:40], v[37:38], v[35:36]
	v_fma_f64 v[31:32], v[7:8], v[31:32], s[36:37]
	s_delay_alu instid0(VALU_DEP_2) | instskip(NEXT) | instid1(VALU_DEP_2)
	v_add_f64 v[37:38], v[39:40], -v[37:38]
	v_fma_f64 v[31:32], v[7:8], v[31:32], s[38:39]
	s_delay_alu instid0(VALU_DEP_2) | instskip(NEXT) | instid1(VALU_DEP_2)
	v_add_f64 v[35:36], v[35:36], -v[37:38]
	v_fma_f64 v[31:32], v[7:8], v[31:32], s[40:41]
	s_delay_alu instid0(VALU_DEP_1) | instskip(NEXT) | instid1(VALU_DEP_1)
	v_fma_f64 v[31:32], v[7:8], v[31:32], s[42:43]
	v_mul_f64 v[41:42], v[39:40], v[31:32]
	s_delay_alu instid0(VALU_DEP_1) | instskip(NEXT) | instid1(VALU_DEP_1)
	v_fma_f64 v[37:38], v[39:40], v[31:32], -v[41:42]
	v_fma_f64 v[31:32], v[35:36], v[31:32], v[37:38]
	s_delay_alu instid0(VALU_DEP_1) | instskip(NEXT) | instid1(VALU_DEP_1)
	v_add_f64 v[35:36], v[41:42], v[31:32]
	v_add_f64 v[37:38], v[7:8], v[35:36]
	v_add_f64 v[39:40], v[35:36], -v[41:42]
	s_delay_alu instid0(VALU_DEP_2) | instskip(NEXT) | instid1(VALU_DEP_2)
	v_add_f64 v[7:8], v[37:38], -v[7:8]
	v_add_f64 v[31:32], v[31:32], -v[39:40]
	v_cvt_i32_f64_e32 v39, v[33:34]
	s_delay_alu instid0(VALU_DEP_3) | instskip(NEXT) | instid1(VALU_DEP_3)
	v_add_f64 v[7:8], v[35:36], -v[7:8]
	v_add_f64 v[5:6], v[5:6], v[31:32]
	s_delay_alu instid0(VALU_DEP_1) | instskip(NEXT) | instid1(VALU_DEP_1)
	v_add_f64 v[5:6], v[5:6], v[7:8]
	v_add_f64 v[7:8], v[37:38], v[5:6]
	s_delay_alu instid0(VALU_DEP_1) | instskip(SKIP_1) | instid1(VALU_DEP_2)
	v_add_f64 v[31:32], v[7:8], 1.0
	v_add_f64 v[35:36], v[7:8], -v[37:38]
	v_add_f64 v[37:38], v[31:32], -1.0
	s_delay_alu instid0(VALU_DEP_2) | instskip(NEXT) | instid1(VALU_DEP_2)
	v_add_f64 v[5:6], v[5:6], -v[35:36]
	v_add_f64 v[7:8], v[7:8], -v[37:38]
	s_delay_alu instid0(VALU_DEP_1) | instskip(NEXT) | instid1(VALU_DEP_1)
	v_add_f64 v[5:6], v[5:6], v[7:8]
	v_add_f64 v[7:8], v[31:32], v[5:6]
	s_delay_alu instid0(VALU_DEP_1) | instskip(SKIP_1) | instid1(VALU_DEP_2)
	v_ldexp_f64 v[33:34], v[7:8], v39
	v_add_f64 v[7:8], v[7:8], -v[31:32]
	v_rcp_f64_e32 v[35:36], v[33:34]
	s_delay_alu instid0(VALU_DEP_1) | instskip(NEXT) | instid1(VALU_DEP_1)
	v_add_f64 v[5:6], v[5:6], -v[7:8]
	v_ldexp_f64 v[5:6], v[5:6], v39
	s_waitcnt_depctr 0xfff
	v_fma_f64 v[37:38], -v[33:34], v[35:36], 1.0
	s_delay_alu instid0(VALU_DEP_1) | instskip(NEXT) | instid1(VALU_DEP_1)
	v_fma_f64 v[35:36], v[37:38], v[35:36], v[35:36]
	v_fma_f64 v[37:38], -v[33:34], v[35:36], 1.0
	s_delay_alu instid0(VALU_DEP_1) | instskip(NEXT) | instid1(VALU_DEP_1)
	v_fma_f64 v[31:32], v[37:38], v[35:36], v[35:36]
	v_mul_f64 v[7:8], v[33:34], v[31:32]
	s_delay_alu instid0(VALU_DEP_1) | instskip(NEXT) | instid1(VALU_DEP_1)
	v_fma_f64 v[35:36], v[31:32], v[33:34], -v[7:8]
	v_fma_f64 v[35:36], v[31:32], v[5:6], v[35:36]
	s_delay_alu instid0(VALU_DEP_1) | instskip(NEXT) | instid1(VALU_DEP_1)
	v_add_f64 v[37:38], v[7:8], v[35:36]
	v_add_f64 v[39:40], -v[37:38], 1.0
	v_add_f64 v[7:8], v[37:38], -v[7:8]
	s_delay_alu instid0(VALU_DEP_2) | instskip(NEXT) | instid1(VALU_DEP_2)
	v_add_f64 v[41:42], -v[39:40], 1.0
	v_add_f64 v[7:8], v[7:8], -v[35:36]
	s_delay_alu instid0(VALU_DEP_2) | instskip(NEXT) | instid1(VALU_DEP_1)
	v_add_f64 v[35:36], v[41:42], -v[37:38]
	v_add_f64 v[7:8], v[7:8], v[35:36]
	s_delay_alu instid0(VALU_DEP_1) | instskip(NEXT) | instid1(VALU_DEP_1)
	v_add_f64 v[35:36], v[39:40], v[7:8]
	v_mul_f64 v[37:38], v[31:32], v[35:36]
	v_add_f64 v[39:40], v[39:40], -v[35:36]
	s_delay_alu instid0(VALU_DEP_2) | instskip(NEXT) | instid1(VALU_DEP_2)
	v_mul_f64 v[41:42], v[33:34], v[37:38]
	v_add_f64 v[7:8], v[7:8], v[39:40]
	s_delay_alu instid0(VALU_DEP_2) | instskip(NEXT) | instid1(VALU_DEP_1)
	v_fma_f64 v[43:44], v[37:38], v[33:34], -v[41:42]
	v_fma_f64 v[43:44], v[37:38], v[5:6], v[43:44]
	s_delay_alu instid0(VALU_DEP_1) | instskip(NEXT) | instid1(VALU_DEP_1)
	v_add_f64 v[45:46], v[41:42], v[43:44]
	v_add_f64 v[47:48], v[35:36], -v[45:46]
	v_add_f64 v[39:40], v[45:46], -v[41:42]
	s_delay_alu instid0(VALU_DEP_2) | instskip(NEXT) | instid1(VALU_DEP_2)
	v_add_f64 v[35:36], v[35:36], -v[47:48]
	v_add_f64 v[39:40], v[39:40], -v[43:44]
	s_delay_alu instid0(VALU_DEP_2) | instskip(NEXT) | instid1(VALU_DEP_1)
	v_add_f64 v[35:36], v[35:36], -v[45:46]
	v_add_f64 v[7:8], v[7:8], v[35:36]
	v_add_f64 v[35:36], v[31:32], v[37:38]
	s_delay_alu instid0(VALU_DEP_2) | instskip(NEXT) | instid1(VALU_DEP_2)
	v_add_f64 v[7:8], v[39:40], v[7:8]
	v_add_f64 v[39:40], v[35:36], -v[31:32]
	s_delay_alu instid0(VALU_DEP_2) | instskip(NEXT) | instid1(VALU_DEP_2)
	v_add_f64 v[7:8], v[47:48], v[7:8]
	v_add_f64 v[37:38], v[37:38], -v[39:40]
	s_delay_alu instid0(VALU_DEP_2) | instskip(NEXT) | instid1(VALU_DEP_1)
	v_mul_f64 v[7:8], v[31:32], v[7:8]
	v_add_f64 v[7:8], v[37:38], v[7:8]
	s_delay_alu instid0(VALU_DEP_1) | instskip(NEXT) | instid1(VALU_DEP_1)
	v_add_f64 v[31:32], v[35:36], v[7:8]
	v_ldexp_f64 v[37:38], v[31:32], -2
	v_add_f64 v[31:32], v[31:32], -v[35:36]
	s_delay_alu instid0(VALU_DEP_2) | instskip(NEXT) | instid1(VALU_DEP_2)
	v_add_f64 v[39:40], v[33:34], -v[37:38]
	v_add_f64 v[7:8], v[7:8], -v[31:32]
	s_delay_alu instid0(VALU_DEP_2) | instskip(NEXT) | instid1(VALU_DEP_2)
	v_add_f64 v[33:34], v[33:34], -v[39:40]
	v_ldexp_f64 v[7:8], v[7:8], -2
	s_delay_alu instid0(VALU_DEP_2) | instskip(NEXT) | instid1(VALU_DEP_1)
	v_add_f64 v[31:32], v[33:34], -v[37:38]
	v_add_f64 v[5:6], v[5:6], v[31:32]
	s_delay_alu instid0(VALU_DEP_1) | instskip(SKIP_1) | instid1(VALU_DEP_2)
	v_add_f64 v[5:6], v[5:6], -v[7:8]
	v_and_b32_e32 v7, 0x7fffffff, v4
	v_add_f64 v[5:6], v[39:40], v[5:6]
	s_delay_alu instid0(VALU_DEP_1) | instskip(NEXT) | instid1(VALU_DEP_2)
	v_cndmask_b32_e64 v6, 0x7ff00000, v6, s0
	v_cndmask_b32_e64 v5, 0, v5, s0
	v_cmp_gt_f64_e64 s0, 0x3e400000, |v[3:4]|
	s_delay_alu instid0(VALU_DEP_1) | instskip(NEXT) | instid1(VALU_DEP_4)
	v_cndmask_b32_e64 v3, v5, v3, s0
	v_cndmask_b32_e64 v5, v6, v7, s0
	s_delay_alu instid0(VALU_DEP_1) | instskip(SKIP_1) | instid1(VALU_DEP_1)
	v_bfi_b32 v4, 0x7fffffff, v5, v4
	v_add_co_u32 v5, s0, v22, s8
	v_add_co_ci_u32_e64 v6, s0, s9, v23, s0
	global_store_b64 v[5:6], v[3:4], off
	s_or_b32 exec_lo, exec_lo, s1
	s_and_saveexec_b32 s0, vcc_lo
	s_cbranch_execz .LBB118_8
.LBB118_24:                             ;   in Loop: Header=BB118_9 Depth=1
	s_waitcnt vmcnt(0)
	v_add_f64 v[3:4], |v[1:2]|, s[6:7]
	s_mov_b32 s46, s6
	s_mov_b32 s49, s7
	v_cmp_nge_f64_e64 vcc_lo, |v[1:2]|, s[44:45]
	s_delay_alu instid0(VALU_DEP_2) | instskip(NEXT) | instid1(VALU_DEP_1)
	v_add_f64 v[5:6], v[3:4], -|v[1:2]|
	v_add_f64 v[7:8], v[5:6], -v[3:4]
	v_add_f64 v[5:6], v[5:6], s[46:47]
	s_delay_alu instid0(VALU_DEP_2) | instskip(NEXT) | instid1(VALU_DEP_1)
	v_add_f64 v[7:8], |v[1:2]|, v[7:8]
	v_add_f64 v[5:6], v[7:8], -v[5:6]
	s_delay_alu instid0(VALU_DEP_1) | instskip(NEXT) | instid1(VALU_DEP_1)
	v_add_f64 v[5:6], v[5:6], s[14:15]
	v_add_f64 v[7:8], v[3:4], v[5:6]
	s_delay_alu instid0(VALU_DEP_1) | instskip(SKIP_1) | instid1(VALU_DEP_2)
	v_mul_f64 v[31:32], v[7:8], s[16:17]
	v_add_f64 v[3:4], v[3:4], -v[7:8]
	v_rndne_f64_e32 v[31:32], v[31:32]
	s_delay_alu instid0(VALU_DEP_2) | instskip(NEXT) | instid1(VALU_DEP_2)
	v_add_f64 v[3:4], v[5:6], v[3:4]
	v_fma_f64 v[5:6], v[31:32], s[48:49], v[7:8]
	v_mul_f64 v[7:8], v[31:32], s[18:19]
	s_delay_alu instid0(VALU_DEP_2) | instskip(NEXT) | instid1(VALU_DEP_1)
	v_add_f64 v[33:34], v[3:4], v[5:6]
	v_add_f64 v[35:36], v[33:34], v[7:8]
	v_add_f64 v[5:6], v[5:6], -v[33:34]
	s_delay_alu instid0(VALU_DEP_2) | instskip(NEXT) | instid1(VALU_DEP_2)
	v_add_f64 v[33:34], v[33:34], -v[35:36]
	v_add_f64 v[3:4], v[3:4], v[5:6]
	s_delay_alu instid0(VALU_DEP_2) | instskip(NEXT) | instid1(VALU_DEP_1)
	v_add_f64 v[5:6], v[33:34], v[7:8]
	v_add_f64 v[3:4], v[3:4], v[5:6]
	v_mul_f64 v[5:6], v[31:32], s[20:21]
	s_delay_alu instid0(VALU_DEP_2) | instskip(NEXT) | instid1(VALU_DEP_1)
	v_add_f64 v[7:8], v[35:36], v[3:4]
	v_add_f64 v[33:34], v[7:8], v[5:6]
	v_add_f64 v[35:36], v[35:36], -v[7:8]
	s_delay_alu instid0(VALU_DEP_2) | instskip(NEXT) | instid1(VALU_DEP_2)
	v_add_f64 v[7:8], v[7:8], -v[33:34]
	v_add_f64 v[3:4], v[3:4], v[35:36]
	s_delay_alu instid0(VALU_DEP_2) | instskip(NEXT) | instid1(VALU_DEP_1)
	v_add_f64 v[5:6], v[7:8], v[5:6]
	v_add_f64 v[3:4], v[3:4], v[5:6]
	s_delay_alu instid0(VALU_DEP_1) | instskip(NEXT) | instid1(VALU_DEP_1)
	v_add_f64 v[5:6], v[33:34], v[3:4]
	v_fma_f64 v[7:8], v[5:6], s[24:25], s[22:23]
	v_add_f64 v[33:34], v[33:34], -v[5:6]
	v_mul_f64 v[35:36], v[5:6], v[5:6]
	s_delay_alu instid0(VALU_DEP_3) | instskip(NEXT) | instid1(VALU_DEP_3)
	v_fma_f64 v[7:8], v[5:6], v[7:8], s[26:27]
	v_add_f64 v[3:4], v[3:4], v[33:34]
	s_delay_alu instid0(VALU_DEP_3) | instskip(NEXT) | instid1(VALU_DEP_3)
	v_fma_f64 v[33:34], v[5:6], v[5:6], -v[35:36]
	v_fma_f64 v[7:8], v[5:6], v[7:8], s[28:29]
	s_delay_alu instid0(VALU_DEP_3) | instskip(NEXT) | instid1(VALU_DEP_2)
	v_add_f64 v[37:38], v[3:4], v[3:4]
	v_fma_f64 v[7:8], v[5:6], v[7:8], s[30:31]
	s_delay_alu instid0(VALU_DEP_2) | instskip(NEXT) | instid1(VALU_DEP_2)
	v_fma_f64 v[33:34], v[5:6], v[37:38], v[33:34]
	v_fma_f64 v[7:8], v[5:6], v[7:8], s[34:35]
	s_delay_alu instid0(VALU_DEP_2) | instskip(NEXT) | instid1(VALU_DEP_2)
	v_add_f64 v[37:38], v[35:36], v[33:34]
	v_fma_f64 v[7:8], v[5:6], v[7:8], s[36:37]
	s_delay_alu instid0(VALU_DEP_2) | instskip(NEXT) | instid1(VALU_DEP_2)
	v_add_f64 v[35:36], v[37:38], -v[35:36]
	v_fma_f64 v[7:8], v[5:6], v[7:8], s[38:39]
	s_delay_alu instid0(VALU_DEP_2) | instskip(NEXT) | instid1(VALU_DEP_2)
	v_add_f64 v[33:34], v[33:34], -v[35:36]
	v_fma_f64 v[7:8], v[5:6], v[7:8], s[40:41]
	s_delay_alu instid0(VALU_DEP_1) | instskip(NEXT) | instid1(VALU_DEP_1)
	v_fma_f64 v[7:8], v[5:6], v[7:8], s[42:43]
	v_mul_f64 v[39:40], v[37:38], v[7:8]
	s_delay_alu instid0(VALU_DEP_1) | instskip(NEXT) | instid1(VALU_DEP_1)
	v_fma_f64 v[35:36], v[37:38], v[7:8], -v[39:40]
	v_fma_f64 v[7:8], v[33:34], v[7:8], v[35:36]
	s_delay_alu instid0(VALU_DEP_1) | instskip(NEXT) | instid1(VALU_DEP_1)
	v_add_f64 v[33:34], v[39:40], v[7:8]
	v_add_f64 v[35:36], v[5:6], v[33:34]
	v_add_f64 v[37:38], v[33:34], -v[39:40]
	s_delay_alu instid0(VALU_DEP_2) | instskip(NEXT) | instid1(VALU_DEP_2)
	v_add_f64 v[5:6], v[35:36], -v[5:6]
	v_add_f64 v[7:8], v[7:8], -v[37:38]
	v_cvt_i32_f64_e32 v37, v[31:32]
	s_delay_alu instid0(VALU_DEP_3) | instskip(NEXT) | instid1(VALU_DEP_3)
	v_add_f64 v[5:6], v[33:34], -v[5:6]
	v_add_f64 v[3:4], v[3:4], v[7:8]
	s_delay_alu instid0(VALU_DEP_1) | instskip(NEXT) | instid1(VALU_DEP_1)
	v_add_f64 v[3:4], v[3:4], v[5:6]
	v_add_f64 v[5:6], v[35:36], v[3:4]
	s_delay_alu instid0(VALU_DEP_1) | instskip(SKIP_1) | instid1(VALU_DEP_2)
	v_add_f64 v[7:8], v[5:6], 1.0
	v_add_f64 v[33:34], v[5:6], -v[35:36]
	v_add_f64 v[35:36], v[7:8], -1.0
	s_delay_alu instid0(VALU_DEP_2) | instskip(NEXT) | instid1(VALU_DEP_2)
	v_add_f64 v[3:4], v[3:4], -v[33:34]
	v_add_f64 v[5:6], v[5:6], -v[35:36]
	s_delay_alu instid0(VALU_DEP_1) | instskip(NEXT) | instid1(VALU_DEP_1)
	v_add_f64 v[3:4], v[3:4], v[5:6]
	v_add_f64 v[5:6], v[7:8], v[3:4]
	s_delay_alu instid0(VALU_DEP_1) | instskip(SKIP_1) | instid1(VALU_DEP_2)
	v_ldexp_f64 v[31:32], v[5:6], v37
	v_add_f64 v[5:6], v[5:6], -v[7:8]
	v_rcp_f64_e32 v[33:34], v[31:32]
	s_delay_alu instid0(VALU_DEP_1) | instskip(NEXT) | instid1(VALU_DEP_1)
	v_add_f64 v[3:4], v[3:4], -v[5:6]
	v_ldexp_f64 v[3:4], v[3:4], v37
	s_waitcnt_depctr 0xfff
	v_fma_f64 v[35:36], -v[31:32], v[33:34], 1.0
	s_delay_alu instid0(VALU_DEP_1) | instskip(NEXT) | instid1(VALU_DEP_1)
	v_fma_f64 v[33:34], v[35:36], v[33:34], v[33:34]
	v_fma_f64 v[35:36], -v[31:32], v[33:34], 1.0
	s_delay_alu instid0(VALU_DEP_1) | instskip(NEXT) | instid1(VALU_DEP_1)
	v_fma_f64 v[7:8], v[35:36], v[33:34], v[33:34]
	v_mul_f64 v[5:6], v[31:32], v[7:8]
	s_delay_alu instid0(VALU_DEP_1) | instskip(NEXT) | instid1(VALU_DEP_1)
	v_fma_f64 v[33:34], v[7:8], v[31:32], -v[5:6]
	v_fma_f64 v[33:34], v[7:8], v[3:4], v[33:34]
	s_delay_alu instid0(VALU_DEP_1) | instskip(NEXT) | instid1(VALU_DEP_1)
	v_add_f64 v[35:36], v[5:6], v[33:34]
	v_add_f64 v[37:38], -v[35:36], 1.0
	v_add_f64 v[5:6], v[35:36], -v[5:6]
	s_delay_alu instid0(VALU_DEP_2) | instskip(NEXT) | instid1(VALU_DEP_2)
	v_add_f64 v[39:40], -v[37:38], 1.0
	v_add_f64 v[5:6], v[5:6], -v[33:34]
	s_delay_alu instid0(VALU_DEP_2) | instskip(NEXT) | instid1(VALU_DEP_1)
	v_add_f64 v[33:34], v[39:40], -v[35:36]
	v_add_f64 v[5:6], v[5:6], v[33:34]
	s_delay_alu instid0(VALU_DEP_1) | instskip(NEXT) | instid1(VALU_DEP_1)
	v_add_f64 v[33:34], v[37:38], v[5:6]
	v_mul_f64 v[35:36], v[7:8], v[33:34]
	v_add_f64 v[37:38], v[37:38], -v[33:34]
	s_delay_alu instid0(VALU_DEP_2) | instskip(NEXT) | instid1(VALU_DEP_2)
	v_mul_f64 v[39:40], v[31:32], v[35:36]
	v_add_f64 v[5:6], v[5:6], v[37:38]
	s_delay_alu instid0(VALU_DEP_2) | instskip(NEXT) | instid1(VALU_DEP_1)
	v_fma_f64 v[41:42], v[35:36], v[31:32], -v[39:40]
	v_fma_f64 v[41:42], v[35:36], v[3:4], v[41:42]
	s_delay_alu instid0(VALU_DEP_1) | instskip(NEXT) | instid1(VALU_DEP_1)
	v_add_f64 v[43:44], v[39:40], v[41:42]
	v_add_f64 v[45:46], v[33:34], -v[43:44]
	v_add_f64 v[37:38], v[43:44], -v[39:40]
	s_delay_alu instid0(VALU_DEP_2) | instskip(NEXT) | instid1(VALU_DEP_2)
	v_add_f64 v[33:34], v[33:34], -v[45:46]
	v_add_f64 v[37:38], v[37:38], -v[41:42]
	s_delay_alu instid0(VALU_DEP_2) | instskip(NEXT) | instid1(VALU_DEP_1)
	v_add_f64 v[33:34], v[33:34], -v[43:44]
	v_add_f64 v[5:6], v[5:6], v[33:34]
	v_add_f64 v[33:34], v[7:8], v[35:36]
	s_delay_alu instid0(VALU_DEP_2) | instskip(NEXT) | instid1(VALU_DEP_2)
	v_add_f64 v[5:6], v[37:38], v[5:6]
	v_add_f64 v[37:38], v[33:34], -v[7:8]
	s_delay_alu instid0(VALU_DEP_2) | instskip(NEXT) | instid1(VALU_DEP_2)
	v_add_f64 v[5:6], v[45:46], v[5:6]
	v_add_f64 v[35:36], v[35:36], -v[37:38]
	s_delay_alu instid0(VALU_DEP_2) | instskip(NEXT) | instid1(VALU_DEP_1)
	v_mul_f64 v[5:6], v[7:8], v[5:6]
	v_add_f64 v[5:6], v[35:36], v[5:6]
	s_delay_alu instid0(VALU_DEP_1) | instskip(NEXT) | instid1(VALU_DEP_1)
	v_add_f64 v[7:8], v[33:34], v[5:6]
	v_ldexp_f64 v[35:36], v[7:8], -2
	v_add_f64 v[7:8], v[7:8], -v[33:34]
	s_delay_alu instid0(VALU_DEP_2) | instskip(NEXT) | instid1(VALU_DEP_2)
	v_add_f64 v[37:38], v[31:32], -v[35:36]
	v_add_f64 v[5:6], v[5:6], -v[7:8]
	s_delay_alu instid0(VALU_DEP_2) | instskip(NEXT) | instid1(VALU_DEP_2)
	v_add_f64 v[31:32], v[31:32], -v[37:38]
	v_ldexp_f64 v[5:6], v[5:6], -2
	s_delay_alu instid0(VALU_DEP_2) | instskip(NEXT) | instid1(VALU_DEP_1)
	v_add_f64 v[7:8], v[31:32], -v[35:36]
	v_add_f64 v[3:4], v[3:4], v[7:8]
	s_delay_alu instid0(VALU_DEP_1) | instskip(SKIP_1) | instid1(VALU_DEP_2)
	v_add_f64 v[3:4], v[3:4], -v[5:6]
	v_and_b32_e32 v5, 0x7fffffff, v2
	v_add_f64 v[3:4], v[37:38], v[3:4]
	s_delay_alu instid0(VALU_DEP_1) | instskip(NEXT) | instid1(VALU_DEP_2)
	v_cndmask_b32_e32 v4, 0x7ff00000, v4, vcc_lo
	v_cndmask_b32_e32 v3, 0, v3, vcc_lo
	v_cmp_gt_f64_e64 vcc_lo, 0x3e400000, |v[1:2]|
	s_delay_alu instid0(VALU_DEP_2) | instskip(NEXT) | instid1(VALU_DEP_4)
	v_cndmask_b32_e32 v1, v3, v1, vcc_lo
	v_cndmask_b32_e32 v3, v4, v5, vcc_lo
	s_delay_alu instid0(VALU_DEP_1)
	v_bfi_b32 v2, 0x7fffffff, v3, v2
	v_add_co_u32 v3, vcc_lo, v15, s8
	v_add_co_ci_u32_e32 v4, vcc_lo, s9, v16, vcc_lo
	global_store_b64 v[3:4], v[1:2], off
	s_branch .LBB118_8
.LBB118_25:
	s_nop 0
	s_sendmsg sendmsg(MSG_DEALLOC_VGPRS)
	s_endpgm
	.section	.rodata,"a",@progbits
	.p2align	6, 0x0
	.amdhsa_kernel _ZN2at6native12_GLOBAL__N_125multi_tensor_apply_kernelINS1_18TensorListMetadataILi2EEENS1_14UnaryOpFunctorIdLi2ELi1ELi1EEEJNS0_4SinhIdEEEEEvT_T0_DpT1_
		.amdhsa_group_segment_fixed_size 0
		.amdhsa_private_segment_fixed_size 0
		.amdhsa_kernarg_size 3408
		.amdhsa_user_sgpr_count 15
		.amdhsa_user_sgpr_dispatch_ptr 0
		.amdhsa_user_sgpr_queue_ptr 0
		.amdhsa_user_sgpr_kernarg_segment_ptr 1
		.amdhsa_user_sgpr_dispatch_id 0
		.amdhsa_user_sgpr_private_segment_size 0
		.amdhsa_wavefront_size32 1
		.amdhsa_uses_dynamic_stack 0
		.amdhsa_enable_private_segment 0
		.amdhsa_system_sgpr_workgroup_id_x 1
		.amdhsa_system_sgpr_workgroup_id_y 0
		.amdhsa_system_sgpr_workgroup_id_z 0
		.amdhsa_system_sgpr_workgroup_info 0
		.amdhsa_system_vgpr_workitem_id 0
		.amdhsa_next_free_vgpr 92
		.amdhsa_next_free_sgpr 61
		.amdhsa_reserve_vcc 1
		.amdhsa_float_round_mode_32 0
		.amdhsa_float_round_mode_16_64 0
		.amdhsa_float_denorm_mode_32 3
		.amdhsa_float_denorm_mode_16_64 3
		.amdhsa_dx10_clamp 1
		.amdhsa_ieee_mode 1
		.amdhsa_fp16_overflow 0
		.amdhsa_workgroup_processor_mode 1
		.amdhsa_memory_ordered 1
		.amdhsa_forward_progress 0
		.amdhsa_shared_vgpr_count 0
		.amdhsa_exception_fp_ieee_invalid_op 0
		.amdhsa_exception_fp_denorm_src 0
		.amdhsa_exception_fp_ieee_div_zero 0
		.amdhsa_exception_fp_ieee_overflow 0
		.amdhsa_exception_fp_ieee_underflow 0
		.amdhsa_exception_fp_ieee_inexact 0
		.amdhsa_exception_int_div_zero 0
	.end_amdhsa_kernel
	.section	.text._ZN2at6native12_GLOBAL__N_125multi_tensor_apply_kernelINS1_18TensorListMetadataILi2EEENS1_14UnaryOpFunctorIdLi2ELi1ELi1EEEJNS0_4SinhIdEEEEEvT_T0_DpT1_,"axG",@progbits,_ZN2at6native12_GLOBAL__N_125multi_tensor_apply_kernelINS1_18TensorListMetadataILi2EEENS1_14UnaryOpFunctorIdLi2ELi1ELi1EEEJNS0_4SinhIdEEEEEvT_T0_DpT1_,comdat
.Lfunc_end118:
	.size	_ZN2at6native12_GLOBAL__N_125multi_tensor_apply_kernelINS1_18TensorListMetadataILi2EEENS1_14UnaryOpFunctorIdLi2ELi1ELi1EEEJNS0_4SinhIdEEEEEvT_T0_DpT1_, .Lfunc_end118-_ZN2at6native12_GLOBAL__N_125multi_tensor_apply_kernelINS1_18TensorListMetadataILi2EEENS1_14UnaryOpFunctorIdLi2ELi1ELi1EEEJNS0_4SinhIdEEEEEvT_T0_DpT1_
                                        ; -- End function
	.section	.AMDGPU.csdata,"",@progbits
; Kernel info:
; codeLenInByte = 11220
; NumSgprs: 63
; NumVgprs: 92
; ScratchSize: 0
; MemoryBound: 0
; FloatMode: 240
; IeeeMode: 1
; LDSByteSize: 0 bytes/workgroup (compile time only)
; SGPRBlocks: 7
; VGPRBlocks: 11
; NumSGPRsForWavesPerEU: 63
; NumVGPRsForWavesPerEU: 92
; Occupancy: 16
; WaveLimiterHint : 0
; COMPUTE_PGM_RSRC2:SCRATCH_EN: 0
; COMPUTE_PGM_RSRC2:USER_SGPR: 15
; COMPUTE_PGM_RSRC2:TRAP_HANDLER: 0
; COMPUTE_PGM_RSRC2:TGID_X_EN: 1
; COMPUTE_PGM_RSRC2:TGID_Y_EN: 0
; COMPUTE_PGM_RSRC2:TGID_Z_EN: 0
; COMPUTE_PGM_RSRC2:TIDIG_COMP_CNT: 0
	.section	.text._ZN2at6native12_GLOBAL__N_125multi_tensor_apply_kernelINS1_18TensorListMetadataILi2EEENS1_14UnaryOpFunctorIfLi2ELi1ELi1EEEJNS0_4SinhIfEEEEEvT_T0_DpT1_,"axG",@progbits,_ZN2at6native12_GLOBAL__N_125multi_tensor_apply_kernelINS1_18TensorListMetadataILi2EEENS1_14UnaryOpFunctorIfLi2ELi1ELi1EEEJNS0_4SinhIfEEEEEvT_T0_DpT1_,comdat
	.globl	_ZN2at6native12_GLOBAL__N_125multi_tensor_apply_kernelINS1_18TensorListMetadataILi2EEENS1_14UnaryOpFunctorIfLi2ELi1ELi1EEEJNS0_4SinhIfEEEEEvT_T0_DpT1_ ; -- Begin function _ZN2at6native12_GLOBAL__N_125multi_tensor_apply_kernelINS1_18TensorListMetadataILi2EEENS1_14UnaryOpFunctorIfLi2ELi1ELi1EEEJNS0_4SinhIfEEEEEvT_T0_DpT1_
	.p2align	8
	.type	_ZN2at6native12_GLOBAL__N_125multi_tensor_apply_kernelINS1_18TensorListMetadataILi2EEENS1_14UnaryOpFunctorIfLi2ELi1ELi1EEEJNS0_4SinhIfEEEEEvT_T0_DpT1_,@function
_ZN2at6native12_GLOBAL__N_125multi_tensor_apply_kernelINS1_18TensorListMetadataILi2EEENS1_14UnaryOpFunctorIfLi2ELi1ELi1EEEJNS0_4SinhIfEEEEEvT_T0_DpT1_: ; @_ZN2at6native12_GLOBAL__N_125multi_tensor_apply_kernelINS1_18TensorListMetadataILi2EEENS1_14UnaryOpFunctorIfLi2ELi1ELi1EEEJNS0_4SinhIfEEEEEvT_T0_DpT1_
; %bb.0:
	v_mov_b32_e32 v1, s15
	s_add_u32 s2, s0, s15
	s_mul_hi_u32 s3, s15, 3
	s_mul_i32 s15, s15, 3
	s_addc_u32 s4, s1, 0
	global_load_u8 v1, v1, s[0:1] offset:1536
	s_add_u32 s2, s2, s15
	s_addc_u32 s3, s4, s3
	s_mov_b32 s19, 0
	s_load_b32 s2, s[2:3], 0x740
	s_mov_b32 s21, s19
	s_mov_b32 s23, s19
	s_waitcnt vmcnt(0)
	v_readfirstlane_b32 s5, v1
	s_delay_alu instid0(VALU_DEP_1)
	s_lshl_b32 s3, s5, 3
	s_clause 0x2
	s_load_b64 s[10:11], s[0:1], s3 offset:0x0
	s_load_b64 s[12:13], s[0:1], s3 offset:0x200
	;; [unrolled: 1-line block ×3, first 2 shown]
	s_waitcnt lgkmcnt(0)
	s_ashr_i32 s3, s2, 31
	s_delay_alu instid0(SALU_CYCLE_1) | instskip(NEXT) | instid1(SALU_CYCLE_1)
	s_lshl_b64 s[6:7], s[2:3], 18
	s_add_u32 s5, s10, s6
	s_addc_u32 s14, s11, s7
	s_and_b32 s18, s5, 15
	s_add_u32 s15, s12, s6
	s_addc_u32 s16, s13, s7
	s_and_b32 s20, s8, 3
	s_and_b32 s22, s15, 15
	s_or_b64 s[18:19], s[18:19], s[20:21]
	s_lshl_b64 s[2:3], s[2:3], 16
	s_or_b64 s[18:19], s[22:23], s[18:19]
	s_sub_u32 s8, s8, s2
	s_subb_u32 s9, s9, s3
	s_cmp_eq_u64 s[18:19], 0
	s_mov_b32 s2, -1
	s_cbranch_scc0 .LBB119_5
; %bb.1:
	v_dual_mov_b32 v6, 0 :: v_dual_lshlrev_b32 v5, 2, v0
	s_mov_b32 s17, exec_lo
	s_delay_alu instid0(VALU_DEP_1)
	v_cmpx_gt_i64_e64 s[8:9], v[5:6]
	s_cbranch_execz .LBB119_4
; %bb.2:
	s_load_b32 s2, s[0:1], 0xc5c
	v_lshlrev_b32_e32 v7, 4, v0
	s_mov_b32 s18, 0
	s_mov_b32 s21, 0x3ab42872
	s_waitcnt lgkmcnt(0)
	s_and_b32 s2, s2, 0xffff
	s_delay_alu instid0(SALU_CYCLE_1)
	v_add_lshl_u32 v5, v0, s2, 2
	s_lshl_b32 s19, s2, 2
	s_lshl_b32 s20, s2, 4
.LBB119_3:                              ; =>This Inner Loop Header: Depth=1
	v_add_co_u32 v1, s2, s5, v7
	s_delay_alu instid0(VALU_DEP_1)
	v_add_co_ci_u32_e64 v2, null, s14, 0, s2
	v_cmp_le_i64_e32 vcc_lo, s[8:9], v[5:6]
	v_cmp_lt_u64_e64 s2, 0xffff, v[5:6]
	v_add_co_u32 v8, s3, s15, v7
	global_load_b128 v[1:4], v[1:2], off
	v_add_co_ci_u32_e64 v9, null, s16, 0, s3
	s_or_b32 s22, vcc_lo, s2
	v_add_co_u32 v5, s3, v5, s19
	s_delay_alu instid0(VALU_DEP_1)
	v_add_co_ci_u32_e64 v6, s3, 0, v6, s3
	s_add_u32 s5, s5, s20
	s_addc_u32 s14, s14, 0
	s_add_u32 s15, s15, s20
	s_addc_u32 s16, s16, 0
	s_waitcnt vmcnt(0)
	v_add_f32_e64 v10, 0xbf317218, |v1|
	v_add_f32_e64 v11, 0xbf317218, |v2|
	;; [unrolled: 1-line block ×4, first 2 shown]
	v_cmp_nlt_f32_e64 vcc_lo, 0x42b2d4fc, |v2|
	v_sub_f32_e64 v14, v10, |v1|
	v_sub_f32_e64 v15, v11, |v2|
	;; [unrolled: 1-line block ×4, first 2 shown]
	v_cmp_nlt_f32_e64 s2, 0x42b2d4fc, |v3|
	s_delay_alu instid0(VALU_DEP_4) | instskip(SKIP_1) | instid1(VALU_DEP_4)
	v_dual_sub_f32 v18, v14, v10 :: v_dual_sub_f32 v19, v15, v11
	v_dual_add_f32 v14, 0x3f317218, v14 :: v_dual_add_f32 v15, 0x3f317218, v15
	v_dual_sub_f32 v20, v16, v12 :: v_dual_sub_f32 v21, v17, v13
	s_delay_alu instid0(VALU_DEP_3) | instskip(SKIP_2) | instid1(VALU_DEP_4)
	v_add_f32_e64 v18, |v1|, v18
	v_dual_add_f32 v16, 0x3f317218, v16 :: v_dual_add_f32 v17, 0x3f317218, v17
	v_add_f32_e64 v19, |v2|, v19
	v_add_f32_e64 v20, |v3|, v20
	;; [unrolled: 1-line block ×3, first 2 shown]
	v_sub_f32_e32 v14, v18, v14
	v_cmp_nlt_f32_e64 s3, 0x42b2d4fc, |v4|
	s_delay_alu instid0(VALU_DEP_4) | instskip(NEXT) | instid1(VALU_DEP_3)
	v_dual_sub_f32 v15, v19, v15 :: v_dual_sub_f32 v16, v20, v16
	v_dual_sub_f32 v17, v21, v17 :: v_dual_add_f32 v14, 0x3102e308, v14
	v_cmp_nlt_f32_e64 s4, 0x42b2d4fc, |v1|
	s_delay_alu instid0(VALU_DEP_3) | instskip(NEXT) | instid1(VALU_DEP_3)
	v_dual_add_f32 v15, 0x3102e308, v15 :: v_dual_add_f32 v16, 0x3102e308, v16
	v_dual_add_f32 v17, 0x3102e308, v17 :: v_dual_add_f32 v18, v10, v14
	v_cmp_gt_f32_e64 s23, 0x39800000, |v1|
	s_delay_alu instid0(VALU_DEP_3) | instskip(NEXT) | instid1(VALU_DEP_3)
	v_dual_add_f32 v19, v11, v15 :: v_dual_add_f32 v20, v12, v16
	v_dual_add_f32 v21, v13, v17 :: v_dual_sub_f32 v10, v10, v18
	s_delay_alu instid0(VALU_DEP_2) | instskip(NEXT) | instid1(VALU_DEP_3)
	v_dual_mul_f32 v22, 0x3fb8aa3b, v18 :: v_dual_mul_f32 v23, 0x3fb8aa3b, v19
	v_dual_sub_f32 v11, v11, v19 :: v_dual_sub_f32 v12, v12, v20
	s_delay_alu instid0(VALU_DEP_3) | instskip(NEXT) | instid1(VALU_DEP_4)
	v_dual_sub_f32 v13, v13, v21 :: v_dual_mul_f32 v24, 0x3fb8aa3b, v20
	v_dual_mul_f32 v25, 0x3fb8aa3b, v21 :: v_dual_add_f32 v10, v14, v10
	s_delay_alu instid0(VALU_DEP_3)
	v_add_f32_e32 v11, v15, v11
	v_rndne_f32_e32 v14, v22
	v_rndne_f32_e32 v15, v23
	v_dual_add_f32 v12, v16, v12 :: v_dual_add_f32 v13, v17, v13
	v_rndne_f32_e32 v16, v24
	v_rndne_f32_e32 v17, v25
	s_delay_alu instid0(VALU_DEP_4) | instskip(SKIP_2) | instid1(VALU_DEP_4)
	v_dual_fmac_f32 v18, 0xbf317200, v14 :: v_dual_fmac_f32 v19, 0xbf317200, v15
	v_mul_f32_e32 v22, 0x35bfbc00, v14
	v_mul_f32_e32 v25, 0x2ea39ef3, v15
	v_dual_fmac_f32 v20, 0xbf317200, v16 :: v_dual_fmac_f32 v21, 0xbf317200, v17
	s_delay_alu instid0(VALU_DEP_4) | instskip(SKIP_3) | instid1(VALU_DEP_4)
	v_add_f32_e32 v30, v10, v18
	v_mul_f32_e32 v23, 0x2ea39ef3, v14
	v_mul_f32_e32 v24, 0x35bfbc00, v15
	;; [unrolled: 1-line block ×3, first 2 shown]
	v_dual_add_f32 v31, v11, v19 :: v_dual_sub_f32 v18, v18, v30
	v_mul_f32_e32 v26, 0x35bfbc00, v16
	v_dual_mul_f32 v29, 0x2ea39ef3, v17 :: v_dual_sub_f32 v34, v30, v22
	v_dual_add_f32 v32, v12, v20 :: v_dual_add_f32 v33, v13, v21
	s_delay_alu instid0(VALU_DEP_4) | instskip(NEXT) | instid1(VALU_DEP_2)
	v_dual_mul_f32 v28, 0x35bfbc00, v17 :: v_dual_sub_f32 v35, v31, v24
	v_dual_sub_f32 v19, v19, v31 :: v_dual_sub_f32 v20, v20, v32
	s_delay_alu instid0(VALU_DEP_3) | instskip(NEXT) | instid1(VALU_DEP_3)
	v_dual_sub_f32 v21, v21, v33 :: v_dual_sub_f32 v36, v32, v26
	v_dual_sub_f32 v37, v33, v28 :: v_dual_add_f32 v10, v10, v18
	s_delay_alu instid0(VALU_DEP_3) | instskip(NEXT) | instid1(VALU_DEP_4)
	v_dual_add_f32 v11, v11, v19 :: v_dual_sub_f32 v18, v30, v34
	v_dual_sub_f32 v19, v31, v35 :: v_dual_add_f32 v12, v12, v20
	s_delay_alu instid0(VALU_DEP_4) | instskip(NEXT) | instid1(VALU_DEP_3)
	v_dual_add_f32 v13, v13, v21 :: v_dual_sub_f32 v20, v32, v36
	v_dual_sub_f32 v21, v33, v37 :: v_dual_sub_f32 v18, v18, v22
	s_delay_alu instid0(VALU_DEP_3) | instskip(SKIP_1) | instid1(VALU_DEP_3)
	v_sub_f32_e32 v19, v19, v24
	v_cvt_i32_f32_e32 v17, v17
	v_dual_sub_f32 v20, v20, v26 :: v_dual_sub_f32 v21, v21, v28
	s_delay_alu instid0(VALU_DEP_3) | instskip(SKIP_1) | instid1(VALU_DEP_3)
	v_dual_add_f32 v10, v10, v18 :: v_dual_add_f32 v11, v11, v19
	v_cvt_i32_f32_e32 v15, v15
	v_dual_add_f32 v12, v12, v20 :: v_dual_add_f32 v13, v13, v21
	s_delay_alu instid0(VALU_DEP_3) | instskip(SKIP_1) | instid1(VALU_DEP_3)
	v_dual_add_f32 v18, v34, v10 :: v_dual_add_f32 v19, v35, v11
	v_cvt_i32_f32_e32 v16, v16
	v_dual_add_f32 v20, v36, v12 :: v_dual_add_f32 v21, v37, v13
	s_delay_alu instid0(VALU_DEP_3) | instskip(SKIP_2) | instid1(VALU_DEP_4)
	v_sub_f32_e32 v24, v18, v23
	v_sub_f32_e32 v22, v34, v18
	v_cvt_i32_f32_e32 v14, v14
	v_sub_f32_e32 v31, v20, v27
	s_delay_alu instid0(VALU_DEP_4) | instskip(NEXT) | instid1(VALU_DEP_4)
	v_dual_sub_f32 v33, v21, v29 :: v_dual_sub_f32 v18, v18, v24
	v_add_f32_e32 v10, v10, v22
	s_delay_alu instid0(VALU_DEP_2) | instskip(NEXT) | instid1(VALU_DEP_1)
	v_sub_f32_e32 v18, v18, v23
	v_add_f32_e32 v10, v10, v18
	s_delay_alu instid0(VALU_DEP_1) | instskip(NEXT) | instid1(VALU_DEP_1)
	v_add_f32_e32 v18, v24, v10
	v_dual_sub_f32 v28, v19, v25 :: v_dual_sub_f32 v23, v24, v18
	v_sub_f32_e32 v32, v37, v21
	v_sub_f32_e32 v26, v35, v19
	s_delay_alu instid0(VALU_DEP_3) | instskip(SKIP_1) | instid1(VALU_DEP_4)
	v_sub_f32_e32 v19, v19, v28
	v_sub_f32_e32 v21, v21, v33
	v_add_f32_e32 v13, v13, v32
	s_delay_alu instid0(VALU_DEP_4) | instskip(NEXT) | instid1(VALU_DEP_3)
	v_dual_sub_f32 v30, v36, v20 :: v_dual_add_f32 v11, v11, v26
	v_dual_sub_f32 v21, v21, v29 :: v_dual_sub_f32 v20, v20, v31
	s_delay_alu instid0(VALU_DEP_2) | instskip(NEXT) | instid1(VALU_DEP_2)
	v_dual_sub_f32 v19, v19, v25 :: v_dual_add_f32 v12, v12, v30
	v_add_f32_e32 v13, v13, v21
	s_delay_alu instid0(VALU_DEP_2) | instskip(NEXT) | instid1(VALU_DEP_2)
	v_add_f32_e32 v11, v11, v19
	v_dual_add_f32 v21, v33, v13 :: v_dual_sub_f32 v20, v20, v27
	s_delay_alu instid0(VALU_DEP_2) | instskip(NEXT) | instid1(VALU_DEP_1)
	v_add_f32_e32 v19, v28, v11
	v_dual_add_f32 v12, v12, v20 :: v_dual_fmaak_f32 v25, s21, v19, 0x3c091de6
	s_delay_alu instid0(VALU_DEP_1) | instskip(NEXT) | instid1(VALU_DEP_2)
	v_add_f32_e32 v20, v31, v12
	v_dual_sub_f32 v26, v28, v19 :: v_dual_fmaak_f32 v25, v19, v25, 0x3d2aadcc
	v_dual_mul_f32 v27, v19, v19 :: v_dual_fmaak_f32 v22, s21, v18, 0x3c091de6
	s_delay_alu instid0(VALU_DEP_3) | instskip(NEXT) | instid1(VALU_DEP_3)
	v_sub_f32_e32 v29, v31, v20
	v_dual_fmaak_f32 v28, s21, v20, 0x3c091de6 :: v_dual_add_f32 v11, v11, v26
	v_fmaak_f32 v31, s21, v21, 0x3c091de6
	v_sub_f32_e32 v32, v33, v21
	v_dual_mul_f32 v24, v18, v18 :: v_dual_mul_f32 v33, v21, v21
	s_delay_alu instid0(VALU_DEP_3) | instskip(SKIP_1) | instid1(VALU_DEP_4)
	v_dual_mul_f32 v30, v20, v20 :: v_dual_fmaak_f32 v31, v21, v31, 0x3d2aadcc
	v_dual_add_f32 v35, v11, v11 :: v_dual_fmaak_f32 v22, v18, v22, 0x3d2aadcc
	v_add_f32_e32 v13, v13, v32
	v_fmaak_f32 v28, v20, v28, 0x3d2aadcc
	s_delay_alu instid0(VALU_DEP_4) | instskip(SKIP_1) | instid1(VALU_DEP_4)
	v_dual_add_f32 v12, v12, v29 :: v_dual_fmaak_f32 v31, v21, v31, 0x3e2aaa47
	v_fma_f32 v32, v21, v21, -v33
	v_dual_add_f32 v37, v13, v13 :: v_dual_add_f32 v10, v10, v23
	v_fmaak_f32 v25, v19, v25, 0x3e2aaa47
	v_fma_f32 v26, v19, v19, -v27
	v_fma_f32 v29, v20, v20, -v30
	v_dual_add_f32 v36, v12, v12 :: v_dual_fmaak_f32 v31, v21, v31, 0x3efffffc
	v_fmaak_f32 v22, v18, v22, 0x3e2aaa47
	v_fmac_f32_e32 v32, v21, v37
	v_fma_f32 v23, v18, v18, -v24
	v_dual_add_f32 v34, v10, v10 :: v_dual_fmaak_f32 v25, v19, v25, 0x3efffffc
	v_fmaak_f32 v28, v20, v28, 0x3e2aaa47
	v_dual_fmac_f32 v29, v20, v36 :: v_dual_fmaak_f32 v22, v18, v22, 0x3efffffc
	v_dual_add_f32 v37, v33, v32 :: v_dual_fmac_f32 v26, v19, v35
	s_delay_alu instid0(VALU_DEP_4) | instskip(NEXT) | instid1(VALU_DEP_2)
	v_fmac_f32_e32 v23, v18, v34
	v_dual_sub_f32 v33, v37, v33 :: v_dual_fmaak_f32 v28, v20, v28, 0x3efffffc
	s_delay_alu instid0(VALU_DEP_3) | instskip(NEXT) | instid1(VALU_DEP_3)
	v_dual_add_f32 v35, v27, v26 :: v_dual_add_f32 v36, v30, v29
	v_dual_add_f32 v34, v24, v23 :: v_dual_mul_f32 v41, v31, v37
	s_delay_alu instid0(VALU_DEP_2) | instskip(SKIP_1) | instid1(VALU_DEP_2)
	v_sub_f32_e32 v27, v35, v27
	v_mul_f32_e32 v39, v25, v35
	v_sub_f32_e32 v26, v26, v27
	s_delay_alu instid0(VALU_DEP_2) | instskip(NEXT) | instid1(VALU_DEP_1)
	v_fma_f32 v27, v35, v25, -v39
	v_dual_sub_f32 v30, v36, v30 :: v_dual_fmac_f32 v27, v26, v25
	s_delay_alu instid0(VALU_DEP_1) | instskip(SKIP_2) | instid1(VALU_DEP_3)
	v_dual_sub_f32 v24, v34, v24 :: v_dual_sub_f32 v29, v29, v30
	v_mul_f32_e32 v38, v22, v34
	v_mul_f32_e32 v40, v28, v36
	v_sub_f32_e32 v23, v23, v24
	s_delay_alu instid0(VALU_DEP_3) | instskip(NEXT) | instid1(VALU_DEP_1)
	v_fma_f32 v24, v34, v22, -v38
	v_fmac_f32_e32 v24, v23, v22
	v_add_f32_e32 v23, v39, v27
	v_fma_f32 v30, v36, v28, -v40
	s_delay_alu instid0(VALU_DEP_3) | instskip(SKIP_2) | instid1(VALU_DEP_3)
	v_add_f32_e32 v22, v38, v24
	v_sub_f32_e32 v32, v32, v33
	v_fma_f32 v33, v37, v31, -v41
	v_dual_fmac_f32 v30, v29, v28 :: v_dual_add_f32 v29, v18, v22
	s_delay_alu instid0(VALU_DEP_2) | instskip(SKIP_1) | instid1(VALU_DEP_2)
	v_fmac_f32_e32 v33, v32, v31
	v_sub_f32_e32 v31, v23, v39
	v_dual_add_f32 v25, v40, v30 :: v_dual_add_f32 v26, v41, v33
	s_delay_alu instid0(VALU_DEP_2) | instskip(NEXT) | instid1(VALU_DEP_2)
	v_sub_f32_e32 v27, v27, v31
	v_dual_add_f32 v32, v19, v23 :: v_dual_add_f32 v35, v20, v25
	s_delay_alu instid0(VALU_DEP_3) | instskip(NEXT) | instid1(VALU_DEP_2)
	v_add_f32_e32 v37, v21, v26
	v_dual_sub_f32 v28, v22, v38 :: v_dual_sub_f32 v19, v32, v19
	v_sub_f32_e32 v34, v25, v40
	v_dual_sub_f32 v36, v26, v41 :: v_dual_add_f32 v11, v11, v27
	s_delay_alu instid0(VALU_DEP_3) | instskip(NEXT) | instid1(VALU_DEP_3)
	v_dual_sub_f32 v24, v24, v28 :: v_dual_sub_f32 v21, v37, v21
	v_dual_sub_f32 v19, v23, v19 :: v_dual_sub_f32 v28, v30, v34
	s_delay_alu instid0(VALU_DEP_2) | instskip(NEXT) | instid1(VALU_DEP_2)
	v_dual_sub_f32 v18, v29, v18 :: v_dual_sub_f32 v21, v26, v21
	v_dual_add_f32 v11, v11, v19 :: v_dual_sub_f32 v30, v33, v36
	s_delay_alu instid0(VALU_DEP_1) | instskip(NEXT) | instid1(VALU_DEP_2)
	v_dual_add_f32 v19, v32, v11 :: v_dual_sub_f32 v20, v35, v20
	v_add_f32_e32 v13, v13, v30
	s_delay_alu instid0(VALU_DEP_4) | instskip(NEXT) | instid1(VALU_DEP_2)
	v_sub_f32_e32 v18, v22, v18
	v_dual_add_f32 v12, v12, v28 :: v_dual_add_f32 v13, v13, v21
	v_add_f32_e32 v10, v10, v24
	s_delay_alu instid0(VALU_DEP_2) | instskip(NEXT) | instid1(VALU_DEP_1)
	v_dual_sub_f32 v24, v19, v32 :: v_dual_add_f32 v21, v37, v13
	v_dual_add_f32 v10, v10, v18 :: v_dual_sub_f32 v11, v11, v24
	s_delay_alu instid0(VALU_DEP_2) | instskip(NEXT) | instid1(VALU_DEP_2)
	v_sub_f32_e32 v28, v21, v37
	v_add_f32_e32 v18, v29, v10
	v_dual_sub_f32 v20, v25, v20 :: v_dual_add_f32 v25, 1.0, v19
	s_delay_alu instid0(VALU_DEP_3) | instskip(NEXT) | instid1(VALU_DEP_2)
	v_sub_f32_e32 v13, v13, v28
	v_dual_add_f32 v23, 1.0, v18 :: v_dual_add_f32 v12, v12, v20
	v_sub_f32_e32 v22, v18, v29
	v_add_f32_e32 v29, 1.0, v21
	s_delay_alu instid0(VALU_DEP_1) | instskip(NEXT) | instid1(VALU_DEP_1)
	v_add_f32_e32 v28, -1.0, v29
	v_dual_add_f32 v24, -1.0, v25 :: v_dual_sub_f32 v21, v21, v28
	v_add_f32_e32 v20, v35, v12
	s_delay_alu instid0(VALU_DEP_2) | instskip(NEXT) | instid1(VALU_DEP_2)
	v_sub_f32_e32 v19, v19, v24
	v_dual_add_f32 v13, v13, v21 :: v_dual_sub_f32 v26, v20, v35
	s_delay_alu instid0(VALU_DEP_2) | instskip(SKIP_1) | instid1(VALU_DEP_3)
	v_add_f32_e32 v11, v11, v19
	v_dual_add_f32 v27, 1.0, v20 :: v_dual_sub_f32 v10, v10, v22
	v_dual_add_f32 v21, v29, v13 :: v_dual_sub_f32 v12, v12, v26
	s_delay_alu instid0(VALU_DEP_3) | instskip(SKIP_1) | instid1(VALU_DEP_1)
	v_add_f32_e32 v19, v25, v11
	v_add_f32_e32 v22, -1.0, v23
	v_sub_f32_e32 v18, v18, v22
	s_delay_alu instid0(VALU_DEP_1) | instskip(NEXT) | instid1(VALU_DEP_1)
	v_add_f32_e32 v10, v10, v18
	v_add_f32_e32 v18, v23, v10
	s_delay_alu instid0(VALU_DEP_1)
	v_dual_sub_f32 v22, v18, v23 :: v_dual_sub_f32 v23, v19, v25
	v_sub_f32_e32 v25, v21, v29
	v_ldexp_f32 v21, v21, v17
	v_add_f32_e32 v26, -1.0, v27
	v_ldexp_f32 v19, v19, v15
	v_sub_f32_e32 v11, v11, v23
	v_sub_f32_e32 v13, v13, v25
	v_rcp_f32_e32 v25, v21
	v_sub_f32_e32 v20, v20, v26
	v_rcp_f32_e32 v23, v19
	v_ldexp_f32 v11, v11, v15
	v_ldexp_f32 v13, v13, v17
	s_waitcnt_depctr 0xfff
	v_mul_f32_e32 v17, v21, v25
	v_mul_f32_e32 v15, v19, v23
	s_delay_alu instid0(VALU_DEP_2) | instskip(NEXT) | instid1(VALU_DEP_1)
	v_fma_f32 v29, v25, v21, -v17
	v_dual_add_f32 v12, v12, v20 :: v_dual_fmac_f32 v29, v25, v13
	s_delay_alu instid0(VALU_DEP_1) | instskip(NEXT) | instid1(VALU_DEP_1)
	v_dual_add_f32 v20, v27, v12 :: v_dual_add_f32 v33, v17, v29
	v_sub_f32_e32 v24, v20, v27
	v_fma_f32 v27, v23, v19, -v15
	v_ldexp_f32 v18, v18, v14
	s_delay_alu instid0(VALU_DEP_4) | instskip(SKIP_1) | instid1(VALU_DEP_4)
	v_sub_f32_e32 v17, v33, v17
	v_sub_f32_e32 v37, 1.0, v33
	v_dual_fmac_f32 v27, v23, v11 :: v_dual_sub_f32 v10, v10, v22
	s_delay_alu instid0(VALU_DEP_4) | instskip(NEXT) | instid1(VALU_DEP_3)
	v_rcp_f32_e32 v22, v18
	v_sub_f32_e32 v17, v17, v29
	s_delay_alu instid0(VALU_DEP_2) | instskip(NEXT) | instid1(VALU_DEP_3)
	v_dual_add_f32 v31, v15, v27 :: v_dual_sub_f32 v12, v12, v24
	v_ldexp_f32 v10, v10, v14
	s_delay_alu instid0(VALU_DEP_2)
	v_sub_f32_e32 v15, v31, v15
	v_sub_f32_e32 v35, 1.0, v31
	v_ldexp_f32 v20, v20, v16
	v_ldexp_f32 v12, v12, v16
	s_delay_alu instid0(TRANS32_DEP_1) | instid1(VALU_DEP_4)
	v_dual_mul_f32 v14, v18, v22 :: v_dual_sub_f32 v15, v15, v27
	s_delay_alu instid0(VALU_DEP_3) | instskip(NEXT) | instid1(VALU_DEP_1)
	v_rcp_f32_e32 v24, v20
	v_fma_f32 v26, v22, v18, -v14
	s_waitcnt_depctr 0xfff
	v_mul_f32_e32 v16, v20, v24
	s_delay_alu instid0(VALU_DEP_1) | instskip(NEXT) | instid1(VALU_DEP_1)
	v_fma_f32 v28, v24, v20, -v16
	v_fmac_f32_e32 v28, v24, v12
	s_delay_alu instid0(VALU_DEP_1) | instskip(NEXT) | instid1(VALU_DEP_1)
	v_add_f32_e32 v32, v16, v28
	v_sub_f32_e32 v36, 1.0, v32
	s_delay_alu instid0(VALU_DEP_1) | instskip(NEXT) | instid1(VALU_DEP_1)
	v_dual_fmac_f32 v26, v22, v10 :: v_dual_sub_f32 v27, 1.0, v36
	v_dual_add_f32 v30, v14, v26 :: v_dual_sub_f32 v27, v27, v32
	s_delay_alu instid0(VALU_DEP_1) | instskip(SKIP_1) | instid1(VALU_DEP_2)
	v_sub_f32_e32 v14, v30, v14
	v_sub_f32_e32 v34, 1.0, v30
	v_sub_f32_e32 v14, v14, v26
	v_sub_f32_e32 v26, 1.0, v35
	s_delay_alu instid0(VALU_DEP_3) | instskip(NEXT) | instid1(VALU_DEP_2)
	v_sub_f32_e32 v38, 1.0, v34
	v_sub_f32_e32 v26, v26, v31
	s_delay_alu instid0(VALU_DEP_2) | instskip(NEXT) | instid1(VALU_DEP_2)
	v_sub_f32_e32 v29, v38, v30
	v_dual_add_f32 v15, v15, v26 :: v_dual_sub_f32 v16, v32, v16
	s_delay_alu instid0(VALU_DEP_2) | instskip(NEXT) | instid1(VALU_DEP_2)
	v_add_f32_e32 v14, v14, v29
	v_sub_f32_e32 v16, v16, v28
	v_sub_f32_e32 v28, 1.0, v37
	s_delay_alu instid0(VALU_DEP_1) | instskip(NEXT) | instid1(VALU_DEP_1)
	v_sub_f32_e32 v28, v28, v33
	v_add_f32_e32 v17, v17, v28
	s_delay_alu instid0(VALU_DEP_1) | instskip(NEXT) | instid1(VALU_DEP_1)
	v_add_f32_e32 v29, v37, v17
	v_dual_sub_f32 v37, v37, v29 :: v_dual_add_f32 v26, v34, v14
	s_delay_alu instid0(VALU_DEP_1) | instskip(SKIP_1) | instid1(VALU_DEP_1)
	v_dual_add_f32 v17, v17, v37 :: v_dual_mul_f32 v30, v22, v26
	v_sub_f32_e32 v31, v34, v26
	v_add_f32_e32 v14, v14, v31
	s_delay_alu instid0(VALU_DEP_3) | instskip(SKIP_1) | instid1(VALU_DEP_2)
	v_dual_add_f32 v31, v22, v30 :: v_dual_add_f32 v16, v16, v27
	v_add_f32_e32 v27, v35, v15
	v_dual_sub_f32 v43, v31, v22 :: v_dual_add_f32 v28, v36, v16
	s_delay_alu instid0(VALU_DEP_2) | instskip(NEXT) | instid1(VALU_DEP_2)
	v_sub_f32_e32 v33, v35, v27
	v_dual_sub_f32 v35, v36, v28 :: v_dual_mul_f32 v36, v25, v29
	s_delay_alu instid0(VALU_DEP_2) | instskip(NEXT) | instid1(VALU_DEP_2)
	v_add_f32_e32 v15, v15, v33
	v_dual_add_f32 v37, v25, v36 :: v_dual_mul_f32 v32, v23, v27
	v_mul_f32_e32 v41, v21, v36
	s_delay_alu instid0(VALU_DEP_2) | instskip(NEXT) | instid1(VALU_DEP_3)
	v_sub_f32_e32 v49, v37, v25
	v_mul_f32_e32 v39, v19, v32
	v_add_f32_e32 v33, v23, v32
	v_mul_f32_e32 v34, v24, v28
	s_delay_alu instid0(VALU_DEP_3) | instskip(NEXT) | instid1(VALU_DEP_3)
	v_fma_f32 v44, v32, v19, -v39
	v_sub_f32_e32 v45, v33, v23
	s_delay_alu instid0(VALU_DEP_2) | instskip(SKIP_1) | instid1(VALU_DEP_2)
	v_fmac_f32_e32 v44, v32, v11
	v_mul_f32_e32 v38, v18, v30
	v_dual_sub_f32 v32, v32, v45 :: v_dual_add_f32 v45, v39, v44
	s_delay_alu instid0(VALU_DEP_2) | instskip(NEXT) | instid1(VALU_DEP_1)
	v_fma_f32 v42, v30, v18, -v38
	v_dual_sub_f32 v51, v27, v45 :: v_dual_fmac_f32 v42, v30, v10
	v_sub_f32_e32 v39, v45, v39
	v_sub_f32_e32 v30, v30, v43
	v_add_f32_e32 v16, v16, v35
	v_add_f32_e32 v35, v24, v34
	v_add_f32_e32 v43, v38, v42
	v_sub_f32_e32 v27, v27, v51
	s_delay_alu instid0(VALU_DEP_3) | instskip(SKIP_1) | instid1(VALU_DEP_3)
	v_sub_f32_e32 v47, v35, v24
	v_fma_f32 v48, v36, v21, -v41
	v_dual_sub_f32 v50, v26, v43 :: v_dual_sub_f32 v27, v27, v45
	s_delay_alu instid0(VALU_DEP_1) | instskip(SKIP_1) | instid1(VALU_DEP_2)
	v_dual_fmac_f32 v48, v36, v13 :: v_dual_add_f32 v15, v15, v27
	v_mul_f32_e32 v40, v20, v34
	v_dual_sub_f32 v36, v36, v49 :: v_dual_add_f32 v49, v41, v48
	s_delay_alu instid0(VALU_DEP_2) | instskip(NEXT) | instid1(VALU_DEP_2)
	v_fma_f32 v46, v34, v20, -v40
	v_dual_sub_f32 v53, v29, v49 :: v_dual_sub_f32 v38, v43, v38
	s_delay_alu instid0(VALU_DEP_2) | instskip(SKIP_1) | instid1(VALU_DEP_3)
	v_dual_sub_f32 v41, v49, v41 :: v_dual_fmac_f32 v46, v34, v12
	v_dual_sub_f32 v34, v34, v47 :: v_dual_sub_f32 v39, v39, v44
	v_sub_f32_e32 v29, v29, v53
	s_delay_alu instid0(VALU_DEP_3) | instskip(NEXT) | instid1(VALU_DEP_4)
	v_sub_f32_e32 v41, v41, v48
	v_add_f32_e32 v47, v40, v46
	s_delay_alu instid0(VALU_DEP_4) | instskip(NEXT) | instid1(VALU_DEP_2)
	v_dual_sub_f32 v26, v26, v50 :: v_dual_add_f32 v15, v39, v15
	v_dual_sub_f32 v29, v29, v49 :: v_dual_sub_f32 v40, v47, v40
	v_sub_f32_e32 v52, v28, v47
	s_delay_alu instid0(VALU_DEP_3) | instskip(NEXT) | instid1(VALU_DEP_3)
	v_add_f32_e32 v15, v51, v15
	v_dual_add_f32 v17, v17, v29 :: v_dual_sub_f32 v38, v38, v42
	s_delay_alu instid0(VALU_DEP_2) | instskip(NEXT) | instid1(VALU_DEP_2)
	v_dual_sub_f32 v28, v28, v52 :: v_dual_mul_f32 v15, v23, v15
	v_dual_add_f32 v17, v41, v17 :: v_dual_sub_f32 v40, v40, v46
	s_delay_alu instid0(VALU_DEP_2) | instskip(NEXT) | instid1(VALU_DEP_2)
	v_add_f32_e32 v15, v32, v15
	v_dual_add_f32 v17, v53, v17 :: v_dual_sub_f32 v26, v26, v43
	s_delay_alu instid0(VALU_DEP_2) | instskip(NEXT) | instid1(VALU_DEP_2)
	v_add_f32_e32 v23, v33, v15
	v_dual_mul_f32 v17, v25, v17 :: v_dual_add_f32 v14, v14, v26
	s_delay_alu instid0(VALU_DEP_2) | instskip(NEXT) | instid1(VALU_DEP_2)
	v_sub_f32_e32 v27, v23, v33
	v_dual_add_f32 v17, v36, v17 :: v_dual_add_f32 v14, v38, v14
	v_sub_f32_e32 v28, v28, v47
	v_ldexp_f32 v23, v23, -2
	s_delay_alu instid0(VALU_DEP_4) | instskip(NEXT) | instid1(VALU_DEP_4)
	v_sub_f32_e32 v15, v15, v27
	v_dual_add_f32 v25, v37, v17 :: v_dual_add_f32 v14, v50, v14
	s_delay_alu instid0(VALU_DEP_3) | instskip(NEXT) | instid1(VALU_DEP_3)
	v_dual_add_f32 v16, v16, v28 :: v_dual_sub_f32 v27, v19, v23
	v_ldexp_f32 v15, v15, -2
	s_delay_alu instid0(VALU_DEP_3) | instskip(NEXT) | instid1(VALU_DEP_3)
	v_dual_sub_f32 v29, v25, v37 :: v_dual_mul_f32 v14, v22, v14
	v_add_f32_e32 v16, v40, v16
	v_ldexp_f32 v25, v25, -2
	v_sub_f32_e32 v19, v19, v27
	s_delay_alu instid0(VALU_DEP_4) | instskip(NEXT) | instid1(VALU_DEP_3)
	v_dual_sub_f32 v17, v17, v29 :: v_dual_add_f32 v14, v30, v14
	v_dual_add_f32 v16, v52, v16 :: v_dual_sub_f32 v29, v21, v25
	s_delay_alu instid0(VALU_DEP_3) | instskip(NEXT) | instid1(VALU_DEP_3)
	v_sub_f32_e32 v19, v19, v23
	v_ldexp_f32 v17, v17, -2
	s_delay_alu instid0(VALU_DEP_4) | instskip(NEXT) | instid1(VALU_DEP_4)
	v_add_f32_e32 v22, v31, v14
	v_dual_mul_f32 v16, v24, v16 :: v_dual_sub_f32 v21, v21, v29
	s_delay_alu instid0(VALU_DEP_1) | instskip(NEXT) | instid1(VALU_DEP_2)
	v_dual_add_f32 v11, v11, v19 :: v_dual_add_f32 v16, v34, v16
	v_dual_sub_f32 v21, v21, v25 :: v_dual_sub_f32 v26, v22, v31
	v_ldexp_f32 v22, v22, -2
	s_delay_alu instid0(VALU_DEP_3) | instskip(NEXT) | instid1(VALU_DEP_3)
	v_sub_f32_e32 v11, v11, v15
	v_dual_add_f32 v24, v35, v16 :: v_dual_add_f32 v13, v13, v21
	s_delay_alu instid0(VALU_DEP_4) | instskip(NEXT) | instid1(VALU_DEP_3)
	v_sub_f32_e32 v14, v14, v26
	v_dual_sub_f32 v26, v18, v22 :: v_dual_add_f32 v11, v27, v11
	s_delay_alu instid0(VALU_DEP_3) | instskip(SKIP_1) | instid1(VALU_DEP_3)
	v_dual_sub_f32 v28, v24, v35 :: v_dual_sub_f32 v13, v13, v17
	v_ldexp_f32 v24, v24, -2
	v_sub_f32_e32 v18, v18, v26
	v_ldexp_f32 v14, v14, -2
	s_delay_alu instid0(VALU_DEP_4) | instskip(NEXT) | instid1(VALU_DEP_4)
	v_dual_sub_f32 v16, v16, v28 :: v_dual_add_f32 v13, v29, v13
	v_sub_f32_e32 v28, v20, v24
	s_delay_alu instid0(VALU_DEP_4) | instskip(NEXT) | instid1(VALU_DEP_3)
	v_dual_sub_f32 v18, v18, v22 :: v_dual_cndmask_b32 v11, 0x7f800000, v11
	v_ldexp_f32 v16, v16, -2
	s_delay_alu instid0(VALU_DEP_4) | instskip(NEXT) | instid1(VALU_DEP_4)
	v_cndmask_b32_e64 v13, 0x7f800000, v13, s3
	v_sub_f32_e32 v20, v20, v28
	s_delay_alu instid0(VALU_DEP_4) | instskip(SKIP_1) | instid1(VALU_DEP_3)
	v_add_f32_e32 v10, v10, v18
	v_cmp_gt_f32_e64 s3, 0x39800000, |v4|
	v_sub_f32_e32 v20, v20, v24
	s_delay_alu instid0(VALU_DEP_3) | instskip(NEXT) | instid1(VALU_DEP_3)
	v_sub_f32_e32 v10, v10, v14
	v_cndmask_b32_e64 v13, v13, |v4|, s3
	s_delay_alu instid0(VALU_DEP_3) | instskip(NEXT) | instid1(VALU_DEP_3)
	v_add_f32_e32 v12, v12, v20
	v_add_f32_e32 v10, v26, v10
	s_delay_alu instid0(VALU_DEP_3) | instskip(NEXT) | instid1(VALU_DEP_3)
	v_bfi_b32 v4, 0x7fffffff, v13, v4
	v_sub_f32_e32 v12, v12, v16
	s_delay_alu instid0(VALU_DEP_3) | instskip(SKIP_1) | instid1(VALU_DEP_3)
	v_cndmask_b32_e64 v10, 0x7f800000, v10, s4
	v_cmp_gt_f32_e64 s4, 0x39800000, |v2|
	v_add_f32_e32 v12, v28, v12
	s_delay_alu instid0(VALU_DEP_3) | instskip(NEXT) | instid1(VALU_DEP_3)
	v_cndmask_b32_e64 v10, v10, |v1|, s23
	v_cndmask_b32_e64 v11, v11, |v2|, s4
	s_delay_alu instid0(VALU_DEP_3) | instskip(SKIP_1) | instid1(VALU_DEP_4)
	v_cndmask_b32_e64 v12, 0x7f800000, v12, s2
	v_cmp_gt_f32_e64 s2, 0x39800000, |v3|
	v_bfi_b32 v1, 0x7fffffff, v10, v1
	s_delay_alu instid0(VALU_DEP_4) | instskip(NEXT) | instid1(VALU_DEP_3)
	v_bfi_b32 v2, 0x7fffffff, v11, v2
	v_cndmask_b32_e64 v12, v12, |v3|, s2
	s_and_b32 s2, exec_lo, s22
	s_delay_alu instid0(SALU_CYCLE_1) | instskip(NEXT) | instid1(VALU_DEP_1)
	s_or_b32 s18, s2, s18
	v_bfi_b32 v3, 0x7fffffff, v12, v3
	global_store_b128 v[8:9], v[1:4], off
	s_and_not1_b32 exec_lo, exec_lo, s18
	s_cbranch_execnz .LBB119_3
.LBB119_4:
	s_or_b32 exec_lo, exec_lo, s17
	s_mov_b32 s2, 0
.LBB119_5:
	s_delay_alu instid0(SALU_CYCLE_1)
	s_and_not1_b32 vcc_lo, exec_lo, s2
	s_cbranch_vccnz .LBB119_25
; %bb.6:
	v_cmp_lt_i64_e64 s2, s[8:9], 1
	s_delay_alu instid0(VALU_DEP_1)
	s_and_b32 vcc_lo, exec_lo, s2
	s_cbranch_vccnz .LBB119_25
; %bb.7:
	s_load_b32 s0, s[0:1], 0xc5c
	v_dual_mov_b32 v10, 0 :: v_dual_lshlrev_b32 v9, 2, v0
	v_cmp_gt_u64_e64 s1, 0x10000, s[8:9]
	s_delay_alu instid0(VALU_DEP_2) | instskip(NEXT) | instid1(VALU_DEP_1)
	v_add_co_u32 v1, s2, s10, v9
	v_add_co_ci_u32_e64 v2, null, s11, 0, s2
	v_add_co_u32 v3, s2, s12, v9
	s_delay_alu instid0(VALU_DEP_1)
	v_add_co_ci_u32_e64 v4, null, s13, 0, s2
	s_waitcnt lgkmcnt(0)
	s_and_b32 s0, s0, 0xffff
	s_and_b32 s1, s1, exec_lo
	v_mad_u64_u32 v[7:8], null, s0, 12, v[9:10]
	s_cselect_b32 s5, s9, 0
	s_cselect_b32 s4, s8, 0x10000
	s_mul_i32 s2, s0, 3
	s_lshl_b32 s3, s0, 3
	s_lshl_b32 s1, s0, 1
	v_add_co_u32 v14, s3, s3, v9
	v_add_co_u32 v9, s2, s2, v0
	s_delay_alu instid0(VALU_DEP_1) | instskip(SKIP_3) | instid1(VALU_DEP_3)
	v_add_co_ci_u32_e64 v10, null, 0, 0, s2
	v_add_co_u32 v13, s2, v0, s0
	v_add_co_u32 v5, vcc_lo, s10, v7
	v_add_co_ci_u32_e32 v6, vcc_lo, s11, v8, vcc_lo
	v_lshlrev_b32_e32 v21, 2, v13
	v_add_co_u32 v7, vcc_lo, s12, v7
	v_add_co_ci_u32_e64 v15, null, 0, 0, s3
	v_add_co_ci_u32_e32 v8, vcc_lo, s13, v8, vcc_lo
	v_add_co_u32 v17, s1, s1, v0
	v_add_co_u32 v11, vcc_lo, s10, v14
	v_add_co_ci_u32_e64 v18, null, 0, 0, s1
	v_add_co_u32 v19, s1, s10, v21
	v_add_co_ci_u32_e32 v12, vcc_lo, s11, v15, vcc_lo
	v_add_co_u32 v14, vcc_lo, s12, v14
	v_add_co_ci_u32_e64 v20, null, s11, 0, s1
	v_add_co_u32 v21, s1, s12, v21
	v_add_co_ci_u32_e32 v15, vcc_lo, s13, v15, vcc_lo
	v_add_co_ci_u32_e64 v16, null, 0, 0, s2
	v_add_co_ci_u32_e64 v22, null, s13, 0, s1
	s_lshl_b32 s14, s0, 2
	s_lshl_b32 s12, s0, 4
	s_mov_b64 s[10:11], 0
	s_mov_b32 s13, 0x3ab42872
	s_branch .LBB119_9
.LBB119_8:                              ;   in Loop: Header=BB119_9 Depth=1
	s_or_b32 exec_lo, exec_lo, s0
	v_add_co_u32 v1, vcc_lo, v1, s12
	v_add_co_ci_u32_e32 v2, vcc_lo, 0, v2, vcc_lo
	v_add_co_u32 v3, vcc_lo, v3, s12
	v_add_co_ci_u32_e32 v4, vcc_lo, 0, v4, vcc_lo
	;; [unrolled: 2-line block ×5, first 2 shown]
	s_add_u32 s10, s10, s14
	v_add_co_u32 v14, vcc_lo, v14, s12
	s_addc_u32 s11, s11, 0
	v_add_co_ci_u32_e32 v15, vcc_lo, 0, v15, vcc_lo
	v_cmp_ge_i64_e64 s0, s[10:11], s[8:9]
	v_cmp_lt_u64_e64 s1, 0xffff, s[10:11]
	v_add_co_u32 v19, vcc_lo, v19, s12
	v_add_co_ci_u32_e32 v20, vcc_lo, 0, v20, vcc_lo
	v_add_co_u32 v21, vcc_lo, v21, s12
	v_add_co_ci_u32_e32 v22, vcc_lo, 0, v22, vcc_lo
	s_or_b32 s0, s0, s1
	s_delay_alu instid0(SALU_CYCLE_1)
	s_and_b32 vcc_lo, exec_lo, s0
	s_cbranch_vccnz .LBB119_25
.LBB119_9:                              ; =>This Inner Loop Header: Depth=1
	s_waitcnt vmcnt(0)
	v_add_co_u32 v23, s0, v0, s10
	s_delay_alu instid0(VALU_DEP_1) | instskip(SKIP_1) | instid1(VALU_DEP_2)
	v_add_co_ci_u32_e64 v24, null, 0, s11, s0
	v_mov_b32_e32 v26, 0
	v_cmp_gt_u64_e64 s2, s[4:5], v[23:24]
	s_delay_alu instid0(VALU_DEP_1)
	s_and_saveexec_b32 s0, s2
	s_cbranch_execz .LBB119_11
; %bb.10:                               ;   in Loop: Header=BB119_9 Depth=1
	v_add_co_u32 v23, vcc_lo, v1, s6
	v_add_co_ci_u32_e32 v24, vcc_lo, s7, v2, vcc_lo
	global_load_b32 v26, v[23:24], off
.LBB119_11:                             ;   in Loop: Header=BB119_9 Depth=1
	s_or_b32 exec_lo, exec_lo, s0
	v_add_co_u32 v23, vcc_lo, v13, s10
	v_add_co_ci_u32_e32 v24, vcc_lo, s11, v16, vcc_lo
	v_mov_b32_e32 v25, 0
	s_delay_alu instid0(VALU_DEP_2) | instskip(NEXT) | instid1(VALU_DEP_1)
	v_cmp_gt_u64_e64 s1, s[4:5], v[23:24]
	s_and_saveexec_b32 s0, s1
	s_cbranch_execz .LBB119_13
; %bb.12:                               ;   in Loop: Header=BB119_9 Depth=1
	v_add_co_u32 v23, vcc_lo, v19, s6
	v_add_co_ci_u32_e32 v24, vcc_lo, s7, v20, vcc_lo
	global_load_b32 v25, v[23:24], off
.LBB119_13:                             ;   in Loop: Header=BB119_9 Depth=1
	s_or_b32 exec_lo, exec_lo, s0
	v_add_co_u32 v23, vcc_lo, v17, s10
	v_add_co_ci_u32_e32 v24, vcc_lo, s11, v18, vcc_lo
	s_delay_alu instid0(VALU_DEP_1) | instskip(SKIP_1) | instid1(VALU_DEP_2)
	v_cmp_gt_u64_e64 s0, s[4:5], v[23:24]
	v_dual_mov_b32 v23, 0 :: v_dual_mov_b32 v24, 0
	s_and_saveexec_b32 s3, s0
	s_cbranch_execz .LBB119_15
; %bb.14:                               ;   in Loop: Header=BB119_9 Depth=1
	v_add_co_u32 v27, vcc_lo, v11, s6
	v_add_co_ci_u32_e32 v28, vcc_lo, s7, v12, vcc_lo
	global_load_b32 v24, v[27:28], off
.LBB119_15:                             ;   in Loop: Header=BB119_9 Depth=1
	s_or_b32 exec_lo, exec_lo, s3
	v_add_co_u32 v27, vcc_lo, v9, s10
	v_add_co_ci_u32_e32 v28, vcc_lo, s11, v10, vcc_lo
	s_delay_alu instid0(VALU_DEP_1)
	v_cmp_gt_u64_e32 vcc_lo, s[4:5], v[27:28]
	s_and_saveexec_b32 s15, vcc_lo
	s_cbranch_execnz .LBB119_20
; %bb.16:                               ;   in Loop: Header=BB119_9 Depth=1
	s_or_b32 exec_lo, exec_lo, s15
	s_and_saveexec_b32 s3, s2
	s_cbranch_execnz .LBB119_21
.LBB119_17:                             ;   in Loop: Header=BB119_9 Depth=1
	s_or_b32 exec_lo, exec_lo, s3
	s_and_saveexec_b32 s2, s1
	s_cbranch_execnz .LBB119_22
.LBB119_18:                             ;   in Loop: Header=BB119_9 Depth=1
	s_or_b32 exec_lo, exec_lo, s2
	s_and_saveexec_b32 s1, s0
	s_cbranch_execnz .LBB119_23
.LBB119_19:                             ;   in Loop: Header=BB119_9 Depth=1
	s_or_b32 exec_lo, exec_lo, s1
	s_and_saveexec_b32 s0, vcc_lo
	s_cbranch_execz .LBB119_8
	s_branch .LBB119_24
.LBB119_20:                             ;   in Loop: Header=BB119_9 Depth=1
	v_add_co_u32 v27, s3, v5, s6
	s_delay_alu instid0(VALU_DEP_1)
	v_add_co_ci_u32_e64 v28, s3, s7, v6, s3
	global_load_b32 v23, v[27:28], off
	s_or_b32 exec_lo, exec_lo, s15
	s_and_saveexec_b32 s3, s2
	s_cbranch_execz .LBB119_17
.LBB119_21:                             ;   in Loop: Header=BB119_9 Depth=1
	s_waitcnt vmcnt(0)
	v_add_f32_e64 v27, 0xbf317218, |v26|
	v_cmp_nlt_f32_e64 s2, 0x42b2d4fc, |v26|
	s_delay_alu instid0(VALU_DEP_2) | instskip(NEXT) | instid1(VALU_DEP_1)
	v_sub_f32_e64 v28, v27, |v26|
	v_dual_sub_f32 v29, v28, v27 :: v_dual_add_f32 v28, 0x3f317218, v28
	s_delay_alu instid0(VALU_DEP_1) | instskip(NEXT) | instid1(VALU_DEP_1)
	v_add_f32_e64 v29, |v26|, v29
	v_sub_f32_e32 v28, v29, v28
	s_delay_alu instid0(VALU_DEP_1) | instskip(NEXT) | instid1(VALU_DEP_1)
	v_add_f32_e32 v28, 0x3102e308, v28
	v_add_f32_e32 v29, v27, v28
	s_delay_alu instid0(VALU_DEP_1) | instskip(NEXT) | instid1(VALU_DEP_1)
	v_sub_f32_e32 v27, v27, v29
	v_dual_mul_f32 v30, 0x3fb8aa3b, v29 :: v_dual_add_f32 v27, v28, v27
	s_delay_alu instid0(VALU_DEP_1) | instskip(NEXT) | instid1(VALU_DEP_1)
	v_rndne_f32_e32 v30, v30
	v_mul_f32_e32 v28, 0x35bfbc00, v30
	v_fmac_f32_e32 v29, 0xbf317200, v30
	s_delay_alu instid0(VALU_DEP_1) | instskip(NEXT) | instid1(VALU_DEP_1)
	v_add_f32_e32 v31, v27, v29
	v_dual_sub_f32 v32, v31, v28 :: v_dual_sub_f32 v29, v29, v31
	s_delay_alu instid0(VALU_DEP_1) | instskip(NEXT) | instid1(VALU_DEP_1)
	v_sub_f32_e32 v31, v31, v32
	v_sub_f32_e32 v28, v31, v28
	s_delay_alu instid0(VALU_DEP_3) | instskip(NEXT) | instid1(VALU_DEP_1)
	v_add_f32_e32 v27, v27, v29
	v_dual_add_f32 v27, v27, v28 :: v_dual_mul_f32 v28, 0x2ea39ef3, v30
	s_delay_alu instid0(VALU_DEP_1) | instskip(NEXT) | instid1(VALU_DEP_1)
	v_add_f32_e32 v29, v32, v27
	v_dual_sub_f32 v31, v29, v28 :: v_dual_sub_f32 v32, v32, v29
	s_delay_alu instid0(VALU_DEP_1) | instskip(NEXT) | instid1(VALU_DEP_2)
	v_sub_f32_e32 v29, v29, v31
	v_add_f32_e32 v27, v27, v32
	s_delay_alu instid0(VALU_DEP_2) | instskip(NEXT) | instid1(VALU_DEP_1)
	v_sub_f32_e32 v28, v29, v28
	v_add_f32_e32 v27, v27, v28
	s_delay_alu instid0(VALU_DEP_1) | instskip(NEXT) | instid1(VALU_DEP_1)
	v_add_f32_e32 v28, v31, v27
	v_sub_f32_e32 v29, v31, v28
	v_mul_f32_e32 v31, v28, v28
	s_delay_alu instid0(VALU_DEP_2) | instskip(SKIP_1) | instid1(VALU_DEP_3)
	v_add_f32_e32 v27, v27, v29
	v_fmaak_f32 v29, s13, v28, 0x3c091de6
	v_fma_f32 v32, v28, v28, -v31
	s_delay_alu instid0(VALU_DEP_3) | instskip(NEXT) | instid1(VALU_DEP_3)
	v_add_f32_e32 v33, v27, v27
	v_fmaak_f32 v29, v28, v29, 0x3d2aadcc
	s_delay_alu instid0(VALU_DEP_2) | instskip(NEXT) | instid1(VALU_DEP_2)
	v_fmac_f32_e32 v32, v28, v33
	v_fmaak_f32 v29, v28, v29, 0x3e2aaa47
	s_delay_alu instid0(VALU_DEP_2) | instskip(NEXT) | instid1(VALU_DEP_2)
	v_add_f32_e32 v33, v31, v32
	v_fmaak_f32 v29, v28, v29, 0x3efffffc
	s_delay_alu instid0(VALU_DEP_2) | instskip(NEXT) | instid1(VALU_DEP_1)
	v_sub_f32_e32 v31, v33, v31
	v_dual_mul_f32 v34, v29, v33 :: v_dual_sub_f32 v31, v32, v31
	s_delay_alu instid0(VALU_DEP_1) | instskip(NEXT) | instid1(VALU_DEP_1)
	v_fma_f32 v32, v33, v29, -v34
	v_fmac_f32_e32 v32, v31, v29
	s_delay_alu instid0(VALU_DEP_1) | instskip(NEXT) | instid1(VALU_DEP_1)
	v_add_f32_e32 v29, v34, v32
	v_sub_f32_e32 v31, v29, v34
	v_add_f32_e32 v33, v28, v29
	s_delay_alu instid0(VALU_DEP_1) | instskip(NEXT) | instid1(VALU_DEP_1)
	v_dual_sub_f32 v31, v32, v31 :: v_dual_sub_f32 v28, v33, v28
	v_dual_sub_f32 v28, v29, v28 :: v_dual_add_f32 v27, v27, v31
	s_delay_alu instid0(VALU_DEP_1) | instskip(NEXT) | instid1(VALU_DEP_1)
	v_add_f32_e32 v27, v27, v28
	v_add_f32_e32 v28, v33, v27
	s_delay_alu instid0(VALU_DEP_1) | instskip(SKIP_1) | instid1(VALU_DEP_1)
	v_add_f32_e32 v29, 1.0, v28
	v_sub_f32_e32 v31, v28, v33
	v_dual_add_f32 v32, -1.0, v29 :: v_dual_sub_f32 v27, v27, v31
	s_delay_alu instid0(VALU_DEP_1) | instskip(NEXT) | instid1(VALU_DEP_1)
	v_sub_f32_e32 v28, v28, v32
	v_add_f32_e32 v27, v27, v28
	v_cvt_i32_f32_e32 v28, v30
	s_delay_alu instid0(VALU_DEP_2) | instskip(NEXT) | instid1(VALU_DEP_1)
	v_add_f32_e32 v30, v29, v27
	v_ldexp_f32 v31, v30, v28
	s_delay_alu instid0(VALU_DEP_1) | instskip(SKIP_1) | instid1(VALU_DEP_1)
	v_rcp_f32_e32 v32, v31
	v_sub_f32_e32 v29, v30, v29
	v_sub_f32_e32 v27, v27, v29
	s_waitcnt_depctr 0xfff
	v_mul_f32_e32 v29, v31, v32
	v_ldexp_f32 v27, v27, v28
	s_delay_alu instid0(VALU_DEP_2) | instskip(NEXT) | instid1(VALU_DEP_1)
	v_fma_f32 v28, v32, v31, -v29
	v_fmac_f32_e32 v28, v32, v27
	s_delay_alu instid0(VALU_DEP_1) | instskip(NEXT) | instid1(VALU_DEP_1)
	v_add_f32_e32 v30, v29, v28
	v_sub_f32_e32 v33, 1.0, v30
	v_sub_f32_e32 v29, v30, v29
	s_delay_alu instid0(VALU_DEP_2) | instskip(NEXT) | instid1(VALU_DEP_1)
	v_sub_f32_e32 v34, 1.0, v33
	v_dual_sub_f32 v28, v29, v28 :: v_dual_sub_f32 v29, v34, v30
	s_delay_alu instid0(VALU_DEP_1) | instskip(NEXT) | instid1(VALU_DEP_1)
	v_add_f32_e32 v28, v28, v29
	v_add_f32_e32 v29, v33, v28
	s_delay_alu instid0(VALU_DEP_1) | instskip(NEXT) | instid1(VALU_DEP_1)
	v_mul_f32_e32 v30, v32, v29
	v_dual_sub_f32 v33, v33, v29 :: v_dual_mul_f32 v34, v31, v30
	s_delay_alu instid0(VALU_DEP_1) | instskip(NEXT) | instid1(VALU_DEP_2)
	v_add_f32_e32 v28, v28, v33
	v_fma_f32 v35, v30, v31, -v34
	s_delay_alu instid0(VALU_DEP_1) | instskip(NEXT) | instid1(VALU_DEP_1)
	v_fmac_f32_e32 v35, v30, v27
	v_add_f32_e32 v36, v34, v35
	s_delay_alu instid0(VALU_DEP_1) | instskip(SKIP_1) | instid1(VALU_DEP_2)
	v_sub_f32_e32 v37, v29, v36
	v_sub_f32_e32 v33, v36, v34
	;; [unrolled: 1-line block ×3, first 2 shown]
	s_delay_alu instid0(VALU_DEP_2) | instskip(NEXT) | instid1(VALU_DEP_2)
	v_sub_f32_e32 v33, v33, v35
	v_sub_f32_e32 v29, v29, v36
	s_delay_alu instid0(VALU_DEP_1) | instskip(NEXT) | instid1(VALU_DEP_1)
	v_add_f32_e32 v28, v28, v29
	v_dual_add_f32 v29, v32, v30 :: v_dual_add_f32 v28, v33, v28
	s_delay_alu instid0(VALU_DEP_1) | instskip(NEXT) | instid1(VALU_DEP_2)
	v_sub_f32_e32 v33, v29, v32
	v_add_f32_e32 v28, v37, v28
	s_delay_alu instid0(VALU_DEP_2) | instskip(NEXT) | instid1(VALU_DEP_2)
	v_sub_f32_e32 v30, v30, v33
	v_mul_f32_e32 v28, v32, v28
	s_delay_alu instid0(VALU_DEP_1) | instskip(NEXT) | instid1(VALU_DEP_1)
	v_add_f32_e32 v28, v30, v28
	v_add_f32_e32 v30, v29, v28
	s_delay_alu instid0(VALU_DEP_1) | instskip(SKIP_1) | instid1(VALU_DEP_1)
	v_ldexp_f32 v32, v30, -2
	v_sub_f32_e32 v29, v30, v29
	v_dual_sub_f32 v33, v31, v32 :: v_dual_sub_f32 v28, v28, v29
	s_delay_alu instid0(VALU_DEP_1) | instskip(NEXT) | instid1(VALU_DEP_2)
	v_sub_f32_e32 v30, v31, v33
	v_ldexp_f32 v28, v28, -2
	s_delay_alu instid0(VALU_DEP_2) | instskip(NEXT) | instid1(VALU_DEP_1)
	v_sub_f32_e32 v29, v30, v32
	v_add_f32_e32 v27, v27, v29
	s_delay_alu instid0(VALU_DEP_1) | instskip(NEXT) | instid1(VALU_DEP_1)
	v_sub_f32_e32 v27, v27, v28
	v_add_f32_e32 v27, v33, v27
	s_delay_alu instid0(VALU_DEP_1) | instskip(SKIP_1) | instid1(VALU_DEP_1)
	v_cndmask_b32_e64 v27, 0x7f800000, v27, s2
	v_cmp_gt_f32_e64 s2, 0x39800000, |v26|
	v_cndmask_b32_e64 v27, v27, |v26|, s2
	s_delay_alu instid0(VALU_DEP_1) | instskip(SKIP_1) | instid1(VALU_DEP_1)
	v_bfi_b32 v28, 0x7fffffff, v27, v26
	v_add_co_u32 v26, s2, v3, s6
	v_add_co_ci_u32_e64 v27, s2, s7, v4, s2
	global_store_b32 v[26:27], v28, off
	s_or_b32 exec_lo, exec_lo, s3
	s_and_saveexec_b32 s2, s1
	s_cbranch_execz .LBB119_18
.LBB119_22:                             ;   in Loop: Header=BB119_9 Depth=1
	s_waitcnt vmcnt(0)
	v_add_f32_e64 v26, 0xbf317218, |v25|
	v_cmp_nlt_f32_e64 s1, 0x42b2d4fc, |v25|
	s_delay_alu instid0(VALU_DEP_2) | instskip(NEXT) | instid1(VALU_DEP_1)
	v_sub_f32_e64 v27, v26, |v25|
	v_dual_sub_f32 v28, v27, v26 :: v_dual_add_f32 v27, 0x3f317218, v27
	s_delay_alu instid0(VALU_DEP_1) | instskip(NEXT) | instid1(VALU_DEP_1)
	v_add_f32_e64 v28, |v25|, v28
	v_sub_f32_e32 v27, v28, v27
	s_delay_alu instid0(VALU_DEP_1) | instskip(NEXT) | instid1(VALU_DEP_1)
	v_add_f32_e32 v27, 0x3102e308, v27
	v_add_f32_e32 v28, v26, v27
	s_delay_alu instid0(VALU_DEP_1) | instskip(NEXT) | instid1(VALU_DEP_1)
	v_sub_f32_e32 v26, v26, v28
	v_dual_mul_f32 v29, 0x3fb8aa3b, v28 :: v_dual_add_f32 v26, v27, v26
	s_delay_alu instid0(VALU_DEP_1) | instskip(NEXT) | instid1(VALU_DEP_1)
	v_rndne_f32_e32 v29, v29
	v_mul_f32_e32 v27, 0x35bfbc00, v29
	v_fmac_f32_e32 v28, 0xbf317200, v29
	s_delay_alu instid0(VALU_DEP_1) | instskip(NEXT) | instid1(VALU_DEP_1)
	v_add_f32_e32 v30, v26, v28
	v_dual_sub_f32 v31, v30, v27 :: v_dual_sub_f32 v28, v28, v30
	s_delay_alu instid0(VALU_DEP_1) | instskip(NEXT) | instid1(VALU_DEP_1)
	v_sub_f32_e32 v30, v30, v31
	v_sub_f32_e32 v27, v30, v27
	s_delay_alu instid0(VALU_DEP_3) | instskip(NEXT) | instid1(VALU_DEP_1)
	v_add_f32_e32 v26, v26, v28
	v_dual_add_f32 v26, v26, v27 :: v_dual_mul_f32 v27, 0x2ea39ef3, v29
	s_delay_alu instid0(VALU_DEP_1) | instskip(NEXT) | instid1(VALU_DEP_1)
	v_add_f32_e32 v28, v31, v26
	v_dual_sub_f32 v30, v28, v27 :: v_dual_sub_f32 v31, v31, v28
	s_delay_alu instid0(VALU_DEP_1) | instskip(NEXT) | instid1(VALU_DEP_2)
	v_sub_f32_e32 v28, v28, v30
	v_add_f32_e32 v26, v26, v31
	s_delay_alu instid0(VALU_DEP_2) | instskip(NEXT) | instid1(VALU_DEP_1)
	v_sub_f32_e32 v27, v28, v27
	v_add_f32_e32 v26, v26, v27
	s_delay_alu instid0(VALU_DEP_1) | instskip(NEXT) | instid1(VALU_DEP_1)
	v_add_f32_e32 v27, v30, v26
	v_sub_f32_e32 v28, v30, v27
	v_mul_f32_e32 v30, v27, v27
	s_delay_alu instid0(VALU_DEP_2) | instskip(SKIP_1) | instid1(VALU_DEP_3)
	v_add_f32_e32 v26, v26, v28
	v_fmaak_f32 v28, s13, v27, 0x3c091de6
	v_fma_f32 v31, v27, v27, -v30
	s_delay_alu instid0(VALU_DEP_3) | instskip(NEXT) | instid1(VALU_DEP_3)
	v_add_f32_e32 v32, v26, v26
	v_fmaak_f32 v28, v27, v28, 0x3d2aadcc
	s_delay_alu instid0(VALU_DEP_2) | instskip(NEXT) | instid1(VALU_DEP_2)
	v_fmac_f32_e32 v31, v27, v32
	v_fmaak_f32 v28, v27, v28, 0x3e2aaa47
	s_delay_alu instid0(VALU_DEP_2) | instskip(NEXT) | instid1(VALU_DEP_2)
	v_add_f32_e32 v32, v30, v31
	v_fmaak_f32 v28, v27, v28, 0x3efffffc
	s_delay_alu instid0(VALU_DEP_2) | instskip(NEXT) | instid1(VALU_DEP_1)
	v_sub_f32_e32 v30, v32, v30
	v_dual_mul_f32 v33, v28, v32 :: v_dual_sub_f32 v30, v31, v30
	s_delay_alu instid0(VALU_DEP_1) | instskip(NEXT) | instid1(VALU_DEP_1)
	v_fma_f32 v31, v32, v28, -v33
	v_fmac_f32_e32 v31, v30, v28
	s_delay_alu instid0(VALU_DEP_1) | instskip(NEXT) | instid1(VALU_DEP_1)
	v_add_f32_e32 v28, v33, v31
	v_sub_f32_e32 v32, v28, v33
	v_add_f32_e32 v30, v27, v28
	s_delay_alu instid0(VALU_DEP_2) | instskip(NEXT) | instid1(VALU_DEP_2)
	v_sub_f32_e32 v31, v31, v32
	v_sub_f32_e32 v27, v30, v27
	s_delay_alu instid0(VALU_DEP_1) | instskip(NEXT) | instid1(VALU_DEP_3)
	v_sub_f32_e32 v27, v28, v27
	v_add_f32_e32 v26, v26, v31
	s_delay_alu instid0(VALU_DEP_1) | instskip(NEXT) | instid1(VALU_DEP_1)
	v_add_f32_e32 v26, v26, v27
	v_add_f32_e32 v27, v30, v26
	s_delay_alu instid0(VALU_DEP_1) | instskip(NEXT) | instid1(VALU_DEP_1)
	v_add_f32_e32 v28, 1.0, v27
	v_dual_sub_f32 v30, v27, v30 :: v_dual_add_f32 v31, -1.0, v28
	s_delay_alu instid0(VALU_DEP_1) | instskip(NEXT) | instid1(VALU_DEP_1)
	v_dual_sub_f32 v26, v26, v30 :: v_dual_sub_f32 v27, v27, v31
	v_add_f32_e32 v26, v26, v27
	v_cvt_i32_f32_e32 v27, v29
	s_delay_alu instid0(VALU_DEP_2) | instskip(NEXT) | instid1(VALU_DEP_1)
	v_add_f32_e32 v29, v28, v26
	v_ldexp_f32 v30, v29, v27
	s_delay_alu instid0(VALU_DEP_1) | instskip(SKIP_1) | instid1(VALU_DEP_1)
	v_rcp_f32_e32 v31, v30
	v_sub_f32_e32 v28, v29, v28
	v_sub_f32_e32 v26, v26, v28
	s_waitcnt_depctr 0xfff
	v_mul_f32_e32 v28, v30, v31
	v_ldexp_f32 v26, v26, v27
	s_delay_alu instid0(VALU_DEP_2) | instskip(NEXT) | instid1(VALU_DEP_1)
	v_fma_f32 v27, v31, v30, -v28
	v_fmac_f32_e32 v27, v31, v26
	s_delay_alu instid0(VALU_DEP_1) | instskip(NEXT) | instid1(VALU_DEP_1)
	v_add_f32_e32 v29, v28, v27
	v_sub_f32_e32 v32, 1.0, v29
	v_sub_f32_e32 v28, v29, v28
	s_delay_alu instid0(VALU_DEP_2) | instskip(NEXT) | instid1(VALU_DEP_1)
	v_sub_f32_e32 v33, 1.0, v32
	v_dual_sub_f32 v27, v28, v27 :: v_dual_sub_f32 v28, v33, v29
	s_delay_alu instid0(VALU_DEP_1) | instskip(NEXT) | instid1(VALU_DEP_1)
	v_add_f32_e32 v27, v27, v28
	v_add_f32_e32 v28, v32, v27
	s_delay_alu instid0(VALU_DEP_1) | instskip(NEXT) | instid1(VALU_DEP_1)
	v_mul_f32_e32 v29, v31, v28
	v_dual_sub_f32 v32, v32, v28 :: v_dual_mul_f32 v33, v30, v29
	s_delay_alu instid0(VALU_DEP_1) | instskip(NEXT) | instid1(VALU_DEP_2)
	v_add_f32_e32 v27, v27, v32
	v_fma_f32 v34, v29, v30, -v33
	s_delay_alu instid0(VALU_DEP_1) | instskip(NEXT) | instid1(VALU_DEP_1)
	v_fmac_f32_e32 v34, v29, v26
	v_add_f32_e32 v35, v33, v34
	s_delay_alu instid0(VALU_DEP_1) | instskip(SKIP_1) | instid1(VALU_DEP_2)
	v_sub_f32_e32 v36, v28, v35
	v_sub_f32_e32 v32, v35, v33
	;; [unrolled: 1-line block ×3, first 2 shown]
	s_delay_alu instid0(VALU_DEP_2) | instskip(NEXT) | instid1(VALU_DEP_2)
	v_sub_f32_e32 v32, v32, v34
	v_sub_f32_e32 v28, v28, v35
	s_delay_alu instid0(VALU_DEP_1) | instskip(NEXT) | instid1(VALU_DEP_1)
	v_add_f32_e32 v27, v27, v28
	v_dual_add_f32 v28, v31, v29 :: v_dual_add_f32 v27, v32, v27
	s_delay_alu instid0(VALU_DEP_1) | instskip(NEXT) | instid1(VALU_DEP_2)
	v_sub_f32_e32 v32, v28, v31
	v_add_f32_e32 v27, v36, v27
	s_delay_alu instid0(VALU_DEP_2) | instskip(NEXT) | instid1(VALU_DEP_2)
	v_sub_f32_e32 v29, v29, v32
	v_mul_f32_e32 v27, v31, v27
	s_delay_alu instid0(VALU_DEP_1) | instskip(NEXT) | instid1(VALU_DEP_1)
	v_add_f32_e32 v27, v29, v27
	v_add_f32_e32 v29, v28, v27
	s_delay_alu instid0(VALU_DEP_1) | instskip(SKIP_1) | instid1(VALU_DEP_1)
	v_ldexp_f32 v31, v29, -2
	v_sub_f32_e32 v28, v29, v28
	v_dual_sub_f32 v32, v30, v31 :: v_dual_sub_f32 v27, v27, v28
	s_delay_alu instid0(VALU_DEP_1) | instskip(NEXT) | instid1(VALU_DEP_2)
	v_sub_f32_e32 v29, v30, v32
	v_ldexp_f32 v27, v27, -2
	s_delay_alu instid0(VALU_DEP_2) | instskip(NEXT) | instid1(VALU_DEP_1)
	v_sub_f32_e32 v28, v29, v31
	v_add_f32_e32 v26, v26, v28
	s_delay_alu instid0(VALU_DEP_1) | instskip(NEXT) | instid1(VALU_DEP_1)
	v_sub_f32_e32 v26, v26, v27
	v_add_f32_e32 v26, v32, v26
	s_delay_alu instid0(VALU_DEP_1) | instskip(SKIP_1) | instid1(VALU_DEP_1)
	v_cndmask_b32_e64 v26, 0x7f800000, v26, s1
	v_cmp_gt_f32_e64 s1, 0x39800000, |v25|
	v_cndmask_b32_e64 v26, v26, |v25|, s1
	s_delay_alu instid0(VALU_DEP_1) | instskip(SKIP_1) | instid1(VALU_DEP_1)
	v_bfi_b32 v27, 0x7fffffff, v26, v25
	v_add_co_u32 v25, s1, v21, s6
	v_add_co_ci_u32_e64 v26, s1, s7, v22, s1
	global_store_b32 v[25:26], v27, off
	s_or_b32 exec_lo, exec_lo, s2
	s_and_saveexec_b32 s1, s0
	s_cbranch_execz .LBB119_19
.LBB119_23:                             ;   in Loop: Header=BB119_9 Depth=1
	s_waitcnt vmcnt(0)
	v_add_f32_e64 v25, 0xbf317218, |v24|
	v_cmp_nlt_f32_e64 s0, 0x42b2d4fc, |v24|
	s_delay_alu instid0(VALU_DEP_2) | instskip(NEXT) | instid1(VALU_DEP_1)
	v_sub_f32_e64 v26, v25, |v24|
	v_dual_sub_f32 v27, v26, v25 :: v_dual_add_f32 v26, 0x3f317218, v26
	s_delay_alu instid0(VALU_DEP_1) | instskip(NEXT) | instid1(VALU_DEP_1)
	v_add_f32_e64 v27, |v24|, v27
	v_sub_f32_e32 v26, v27, v26
	s_delay_alu instid0(VALU_DEP_1) | instskip(NEXT) | instid1(VALU_DEP_1)
	v_add_f32_e32 v26, 0x3102e308, v26
	v_add_f32_e32 v27, v25, v26
	s_delay_alu instid0(VALU_DEP_1) | instskip(NEXT) | instid1(VALU_DEP_1)
	v_sub_f32_e32 v25, v25, v27
	v_dual_mul_f32 v28, 0x3fb8aa3b, v27 :: v_dual_add_f32 v25, v26, v25
	s_delay_alu instid0(VALU_DEP_1) | instskip(NEXT) | instid1(VALU_DEP_1)
	v_rndne_f32_e32 v28, v28
	v_mul_f32_e32 v26, 0x35bfbc00, v28
	v_fmac_f32_e32 v27, 0xbf317200, v28
	s_delay_alu instid0(VALU_DEP_1) | instskip(NEXT) | instid1(VALU_DEP_1)
	v_add_f32_e32 v29, v25, v27
	v_dual_sub_f32 v30, v29, v26 :: v_dual_sub_f32 v27, v27, v29
	s_delay_alu instid0(VALU_DEP_1) | instskip(NEXT) | instid1(VALU_DEP_1)
	v_sub_f32_e32 v29, v29, v30
	v_sub_f32_e32 v26, v29, v26
	s_delay_alu instid0(VALU_DEP_3) | instskip(NEXT) | instid1(VALU_DEP_1)
	v_add_f32_e32 v25, v25, v27
	v_dual_add_f32 v25, v25, v26 :: v_dual_mul_f32 v26, 0x2ea39ef3, v28
	s_delay_alu instid0(VALU_DEP_1) | instskip(NEXT) | instid1(VALU_DEP_1)
	v_add_f32_e32 v27, v30, v25
	v_dual_sub_f32 v29, v27, v26 :: v_dual_sub_f32 v30, v30, v27
	s_delay_alu instid0(VALU_DEP_1) | instskip(NEXT) | instid1(VALU_DEP_2)
	v_sub_f32_e32 v27, v27, v29
	v_add_f32_e32 v25, v25, v30
	s_delay_alu instid0(VALU_DEP_2) | instskip(NEXT) | instid1(VALU_DEP_1)
	v_sub_f32_e32 v26, v27, v26
	v_add_f32_e32 v25, v25, v26
	s_delay_alu instid0(VALU_DEP_1) | instskip(NEXT) | instid1(VALU_DEP_1)
	v_add_f32_e32 v26, v29, v25
	v_sub_f32_e32 v27, v29, v26
	v_mul_f32_e32 v29, v26, v26
	s_delay_alu instid0(VALU_DEP_2) | instskip(SKIP_1) | instid1(VALU_DEP_3)
	v_add_f32_e32 v25, v25, v27
	v_fmaak_f32 v27, s13, v26, 0x3c091de6
	v_fma_f32 v30, v26, v26, -v29
	s_delay_alu instid0(VALU_DEP_3) | instskip(NEXT) | instid1(VALU_DEP_3)
	v_add_f32_e32 v31, v25, v25
	v_fmaak_f32 v27, v26, v27, 0x3d2aadcc
	s_delay_alu instid0(VALU_DEP_2) | instskip(NEXT) | instid1(VALU_DEP_2)
	v_fmac_f32_e32 v30, v26, v31
	v_fmaak_f32 v27, v26, v27, 0x3e2aaa47
	s_delay_alu instid0(VALU_DEP_2) | instskip(NEXT) | instid1(VALU_DEP_2)
	v_add_f32_e32 v31, v29, v30
	v_fmaak_f32 v27, v26, v27, 0x3efffffc
	s_delay_alu instid0(VALU_DEP_2) | instskip(NEXT) | instid1(VALU_DEP_1)
	v_sub_f32_e32 v29, v31, v29
	v_dual_mul_f32 v32, v27, v31 :: v_dual_sub_f32 v29, v30, v29
	s_delay_alu instid0(VALU_DEP_1) | instskip(NEXT) | instid1(VALU_DEP_1)
	v_fma_f32 v30, v31, v27, -v32
	v_fmac_f32_e32 v30, v29, v27
	s_delay_alu instid0(VALU_DEP_1) | instskip(NEXT) | instid1(VALU_DEP_1)
	v_add_f32_e32 v27, v32, v30
	v_sub_f32_e32 v31, v27, v32
	v_add_f32_e32 v29, v26, v27
	s_delay_alu instid0(VALU_DEP_2) | instskip(NEXT) | instid1(VALU_DEP_2)
	v_sub_f32_e32 v30, v30, v31
	v_sub_f32_e32 v26, v29, v26
	s_delay_alu instid0(VALU_DEP_1) | instskip(NEXT) | instid1(VALU_DEP_3)
	v_sub_f32_e32 v26, v27, v26
	v_add_f32_e32 v25, v25, v30
	s_delay_alu instid0(VALU_DEP_1) | instskip(NEXT) | instid1(VALU_DEP_1)
	v_add_f32_e32 v25, v25, v26
	v_add_f32_e32 v26, v29, v25
	s_delay_alu instid0(VALU_DEP_1) | instskip(NEXT) | instid1(VALU_DEP_1)
	v_add_f32_e32 v27, 1.0, v26
	v_dual_sub_f32 v29, v26, v29 :: v_dual_add_f32 v30, -1.0, v27
	s_delay_alu instid0(VALU_DEP_1) | instskip(NEXT) | instid1(VALU_DEP_1)
	v_dual_sub_f32 v25, v25, v29 :: v_dual_sub_f32 v26, v26, v30
	v_add_f32_e32 v25, v25, v26
	v_cvt_i32_f32_e32 v26, v28
	s_delay_alu instid0(VALU_DEP_2) | instskip(NEXT) | instid1(VALU_DEP_1)
	v_add_f32_e32 v28, v27, v25
	v_ldexp_f32 v29, v28, v26
	s_delay_alu instid0(VALU_DEP_1) | instskip(SKIP_1) | instid1(VALU_DEP_1)
	v_rcp_f32_e32 v30, v29
	v_sub_f32_e32 v27, v28, v27
	v_sub_f32_e32 v25, v25, v27
	s_waitcnt_depctr 0xfff
	v_mul_f32_e32 v27, v29, v30
	v_ldexp_f32 v25, v25, v26
	s_delay_alu instid0(VALU_DEP_2) | instskip(NEXT) | instid1(VALU_DEP_1)
	v_fma_f32 v26, v30, v29, -v27
	v_fmac_f32_e32 v26, v30, v25
	s_delay_alu instid0(VALU_DEP_1) | instskip(NEXT) | instid1(VALU_DEP_1)
	v_add_f32_e32 v28, v27, v26
	v_sub_f32_e32 v31, 1.0, v28
	v_sub_f32_e32 v27, v28, v27
	s_delay_alu instid0(VALU_DEP_2) | instskip(NEXT) | instid1(VALU_DEP_1)
	v_sub_f32_e32 v32, 1.0, v31
	v_dual_sub_f32 v26, v27, v26 :: v_dual_sub_f32 v27, v32, v28
	s_delay_alu instid0(VALU_DEP_1) | instskip(NEXT) | instid1(VALU_DEP_1)
	v_add_f32_e32 v26, v26, v27
	v_add_f32_e32 v27, v31, v26
	s_delay_alu instid0(VALU_DEP_1) | instskip(NEXT) | instid1(VALU_DEP_1)
	v_mul_f32_e32 v28, v30, v27
	v_dual_sub_f32 v31, v31, v27 :: v_dual_mul_f32 v32, v29, v28
	s_delay_alu instid0(VALU_DEP_1) | instskip(NEXT) | instid1(VALU_DEP_2)
	v_add_f32_e32 v26, v26, v31
	v_fma_f32 v33, v28, v29, -v32
	s_delay_alu instid0(VALU_DEP_1) | instskip(NEXT) | instid1(VALU_DEP_1)
	v_fmac_f32_e32 v33, v28, v25
	v_add_f32_e32 v34, v32, v33
	s_delay_alu instid0(VALU_DEP_1) | instskip(SKIP_1) | instid1(VALU_DEP_2)
	v_sub_f32_e32 v35, v27, v34
	v_sub_f32_e32 v31, v34, v32
	;; [unrolled: 1-line block ×3, first 2 shown]
	s_delay_alu instid0(VALU_DEP_2) | instskip(NEXT) | instid1(VALU_DEP_2)
	v_sub_f32_e32 v31, v31, v33
	v_sub_f32_e32 v27, v27, v34
	s_delay_alu instid0(VALU_DEP_1) | instskip(NEXT) | instid1(VALU_DEP_1)
	v_add_f32_e32 v26, v26, v27
	v_dual_add_f32 v27, v30, v28 :: v_dual_add_f32 v26, v31, v26
	s_delay_alu instid0(VALU_DEP_1) | instskip(NEXT) | instid1(VALU_DEP_2)
	v_sub_f32_e32 v31, v27, v30
	v_add_f32_e32 v26, v35, v26
	s_delay_alu instid0(VALU_DEP_2) | instskip(NEXT) | instid1(VALU_DEP_2)
	v_sub_f32_e32 v28, v28, v31
	v_mul_f32_e32 v26, v30, v26
	s_delay_alu instid0(VALU_DEP_1) | instskip(NEXT) | instid1(VALU_DEP_1)
	v_add_f32_e32 v26, v28, v26
	v_add_f32_e32 v28, v27, v26
	s_delay_alu instid0(VALU_DEP_1) | instskip(SKIP_1) | instid1(VALU_DEP_1)
	v_ldexp_f32 v30, v28, -2
	v_sub_f32_e32 v27, v28, v27
	v_dual_sub_f32 v31, v29, v30 :: v_dual_sub_f32 v26, v26, v27
	s_delay_alu instid0(VALU_DEP_1) | instskip(NEXT) | instid1(VALU_DEP_2)
	v_sub_f32_e32 v28, v29, v31
	v_ldexp_f32 v26, v26, -2
	s_delay_alu instid0(VALU_DEP_2) | instskip(NEXT) | instid1(VALU_DEP_1)
	v_sub_f32_e32 v27, v28, v30
	v_add_f32_e32 v25, v25, v27
	s_delay_alu instid0(VALU_DEP_1) | instskip(NEXT) | instid1(VALU_DEP_1)
	v_sub_f32_e32 v25, v25, v26
	v_add_f32_e32 v25, v31, v25
	s_delay_alu instid0(VALU_DEP_1) | instskip(SKIP_1) | instid1(VALU_DEP_1)
	v_cndmask_b32_e64 v25, 0x7f800000, v25, s0
	v_cmp_gt_f32_e64 s0, 0x39800000, |v24|
	v_cndmask_b32_e64 v25, v25, |v24|, s0
	s_delay_alu instid0(VALU_DEP_1) | instskip(SKIP_1) | instid1(VALU_DEP_1)
	v_bfi_b32 v26, 0x7fffffff, v25, v24
	v_add_co_u32 v24, s0, v14, s6
	v_add_co_ci_u32_e64 v25, s0, s7, v15, s0
	global_store_b32 v[24:25], v26, off
	s_or_b32 exec_lo, exec_lo, s1
	s_and_saveexec_b32 s0, vcc_lo
	s_cbranch_execz .LBB119_8
.LBB119_24:                             ;   in Loop: Header=BB119_9 Depth=1
	s_waitcnt vmcnt(0)
	v_add_f32_e64 v24, 0xbf317218, |v23|
	v_cmp_nlt_f32_e64 vcc_lo, 0x42b2d4fc, |v23|
	v_cmp_gt_f32_e64 s1, 0x39800000, |v23|
	s_delay_alu instid0(VALU_DEP_3) | instskip(NEXT) | instid1(VALU_DEP_1)
	v_sub_f32_e64 v25, v24, |v23|
	v_dual_sub_f32 v26, v25, v24 :: v_dual_add_f32 v25, 0x3f317218, v25
	s_delay_alu instid0(VALU_DEP_1) | instskip(NEXT) | instid1(VALU_DEP_1)
	v_add_f32_e64 v26, |v23|, v26
	v_sub_f32_e32 v25, v26, v25
	s_delay_alu instid0(VALU_DEP_1) | instskip(NEXT) | instid1(VALU_DEP_1)
	v_add_f32_e32 v25, 0x3102e308, v25
	v_add_f32_e32 v26, v24, v25
	s_delay_alu instid0(VALU_DEP_1) | instskip(NEXT) | instid1(VALU_DEP_1)
	v_sub_f32_e32 v24, v24, v26
	v_dual_mul_f32 v27, 0x3fb8aa3b, v26 :: v_dual_add_f32 v24, v25, v24
	s_delay_alu instid0(VALU_DEP_1) | instskip(NEXT) | instid1(VALU_DEP_1)
	v_rndne_f32_e32 v27, v27
	v_mul_f32_e32 v25, 0x35bfbc00, v27
	v_fmac_f32_e32 v26, 0xbf317200, v27
	s_delay_alu instid0(VALU_DEP_1) | instskip(NEXT) | instid1(VALU_DEP_1)
	v_add_f32_e32 v28, v24, v26
	v_dual_sub_f32 v29, v28, v25 :: v_dual_sub_f32 v26, v26, v28
	s_delay_alu instid0(VALU_DEP_1) | instskip(NEXT) | instid1(VALU_DEP_1)
	v_sub_f32_e32 v28, v28, v29
	v_sub_f32_e32 v25, v28, v25
	s_delay_alu instid0(VALU_DEP_3) | instskip(NEXT) | instid1(VALU_DEP_1)
	v_add_f32_e32 v24, v24, v26
	v_dual_add_f32 v24, v24, v25 :: v_dual_mul_f32 v25, 0x2ea39ef3, v27
	s_delay_alu instid0(VALU_DEP_1) | instskip(NEXT) | instid1(VALU_DEP_1)
	v_add_f32_e32 v26, v29, v24
	v_dual_sub_f32 v28, v26, v25 :: v_dual_sub_f32 v29, v29, v26
	s_delay_alu instid0(VALU_DEP_1) | instskip(NEXT) | instid1(VALU_DEP_2)
	v_sub_f32_e32 v26, v26, v28
	v_add_f32_e32 v24, v24, v29
	s_delay_alu instid0(VALU_DEP_2) | instskip(NEXT) | instid1(VALU_DEP_1)
	v_sub_f32_e32 v25, v26, v25
	v_add_f32_e32 v24, v24, v25
	s_delay_alu instid0(VALU_DEP_1) | instskip(NEXT) | instid1(VALU_DEP_1)
	v_add_f32_e32 v25, v28, v24
	v_sub_f32_e32 v26, v28, v25
	v_mul_f32_e32 v28, v25, v25
	s_delay_alu instid0(VALU_DEP_2) | instskip(SKIP_1) | instid1(VALU_DEP_3)
	v_add_f32_e32 v24, v24, v26
	v_fmaak_f32 v26, s13, v25, 0x3c091de6
	v_fma_f32 v29, v25, v25, -v28
	s_delay_alu instid0(VALU_DEP_3) | instskip(NEXT) | instid1(VALU_DEP_3)
	v_add_f32_e32 v30, v24, v24
	v_fmaak_f32 v26, v25, v26, 0x3d2aadcc
	s_delay_alu instid0(VALU_DEP_2) | instskip(NEXT) | instid1(VALU_DEP_2)
	v_fmac_f32_e32 v29, v25, v30
	v_fmaak_f32 v26, v25, v26, 0x3e2aaa47
	s_delay_alu instid0(VALU_DEP_2) | instskip(NEXT) | instid1(VALU_DEP_2)
	v_add_f32_e32 v30, v28, v29
	v_fmaak_f32 v26, v25, v26, 0x3efffffc
	s_delay_alu instid0(VALU_DEP_2) | instskip(NEXT) | instid1(VALU_DEP_1)
	v_sub_f32_e32 v28, v30, v28
	v_dual_mul_f32 v31, v26, v30 :: v_dual_sub_f32 v28, v29, v28
	s_delay_alu instid0(VALU_DEP_1) | instskip(NEXT) | instid1(VALU_DEP_1)
	v_fma_f32 v29, v30, v26, -v31
	v_fmac_f32_e32 v29, v28, v26
	s_delay_alu instid0(VALU_DEP_1) | instskip(NEXT) | instid1(VALU_DEP_1)
	v_add_f32_e32 v26, v31, v29
	v_sub_f32_e32 v30, v26, v31
	v_add_f32_e32 v28, v25, v26
	s_delay_alu instid0(VALU_DEP_2) | instskip(NEXT) | instid1(VALU_DEP_2)
	v_sub_f32_e32 v29, v29, v30
	v_sub_f32_e32 v25, v28, v25
	s_delay_alu instid0(VALU_DEP_1) | instskip(NEXT) | instid1(VALU_DEP_3)
	v_sub_f32_e32 v25, v26, v25
	v_add_f32_e32 v24, v24, v29
	s_delay_alu instid0(VALU_DEP_1) | instskip(NEXT) | instid1(VALU_DEP_1)
	v_add_f32_e32 v24, v24, v25
	v_add_f32_e32 v25, v28, v24
	s_delay_alu instid0(VALU_DEP_1) | instskip(NEXT) | instid1(VALU_DEP_1)
	v_add_f32_e32 v26, 1.0, v25
	v_dual_sub_f32 v28, v25, v28 :: v_dual_add_f32 v29, -1.0, v26
	s_delay_alu instid0(VALU_DEP_1) | instskip(NEXT) | instid1(VALU_DEP_1)
	v_dual_sub_f32 v24, v24, v28 :: v_dual_sub_f32 v25, v25, v29
	v_add_f32_e32 v24, v24, v25
	v_cvt_i32_f32_e32 v25, v27
	s_delay_alu instid0(VALU_DEP_2) | instskip(NEXT) | instid1(VALU_DEP_1)
	v_add_f32_e32 v27, v26, v24
	v_ldexp_f32 v28, v27, v25
	s_delay_alu instid0(VALU_DEP_1) | instskip(SKIP_1) | instid1(VALU_DEP_1)
	v_rcp_f32_e32 v29, v28
	v_sub_f32_e32 v26, v27, v26
	v_sub_f32_e32 v24, v24, v26
	s_waitcnt_depctr 0xfff
	v_mul_f32_e32 v26, v28, v29
	v_ldexp_f32 v24, v24, v25
	s_delay_alu instid0(VALU_DEP_2) | instskip(NEXT) | instid1(VALU_DEP_1)
	v_fma_f32 v25, v29, v28, -v26
	v_fmac_f32_e32 v25, v29, v24
	s_delay_alu instid0(VALU_DEP_1) | instskip(NEXT) | instid1(VALU_DEP_1)
	v_add_f32_e32 v27, v26, v25
	v_sub_f32_e32 v30, 1.0, v27
	v_sub_f32_e32 v26, v27, v26
	s_delay_alu instid0(VALU_DEP_2) | instskip(NEXT) | instid1(VALU_DEP_1)
	v_sub_f32_e32 v31, 1.0, v30
	v_dual_sub_f32 v25, v26, v25 :: v_dual_sub_f32 v26, v31, v27
	s_delay_alu instid0(VALU_DEP_1) | instskip(NEXT) | instid1(VALU_DEP_1)
	v_add_f32_e32 v25, v25, v26
	v_add_f32_e32 v26, v30, v25
	s_delay_alu instid0(VALU_DEP_1) | instskip(NEXT) | instid1(VALU_DEP_1)
	v_mul_f32_e32 v27, v29, v26
	v_dual_sub_f32 v30, v30, v26 :: v_dual_mul_f32 v31, v28, v27
	s_delay_alu instid0(VALU_DEP_1) | instskip(NEXT) | instid1(VALU_DEP_2)
	v_add_f32_e32 v25, v25, v30
	v_fma_f32 v32, v27, v28, -v31
	s_delay_alu instid0(VALU_DEP_1) | instskip(NEXT) | instid1(VALU_DEP_1)
	v_fmac_f32_e32 v32, v27, v24
	v_add_f32_e32 v33, v31, v32
	s_delay_alu instid0(VALU_DEP_1) | instskip(SKIP_1) | instid1(VALU_DEP_2)
	v_sub_f32_e32 v34, v26, v33
	v_sub_f32_e32 v30, v33, v31
	;; [unrolled: 1-line block ×3, first 2 shown]
	s_delay_alu instid0(VALU_DEP_2) | instskip(NEXT) | instid1(VALU_DEP_2)
	v_sub_f32_e32 v30, v30, v32
	v_sub_f32_e32 v26, v26, v33
	s_delay_alu instid0(VALU_DEP_1) | instskip(NEXT) | instid1(VALU_DEP_1)
	v_add_f32_e32 v25, v25, v26
	v_dual_add_f32 v26, v29, v27 :: v_dual_add_f32 v25, v30, v25
	s_delay_alu instid0(VALU_DEP_1) | instskip(NEXT) | instid1(VALU_DEP_2)
	v_sub_f32_e32 v30, v26, v29
	v_add_f32_e32 v25, v34, v25
	s_delay_alu instid0(VALU_DEP_2) | instskip(NEXT) | instid1(VALU_DEP_2)
	v_sub_f32_e32 v27, v27, v30
	v_mul_f32_e32 v25, v29, v25
	s_delay_alu instid0(VALU_DEP_1) | instskip(NEXT) | instid1(VALU_DEP_1)
	v_add_f32_e32 v25, v27, v25
	v_add_f32_e32 v27, v26, v25
	s_delay_alu instid0(VALU_DEP_1) | instskip(SKIP_1) | instid1(VALU_DEP_1)
	v_ldexp_f32 v29, v27, -2
	v_sub_f32_e32 v26, v27, v26
	v_dual_sub_f32 v30, v28, v29 :: v_dual_sub_f32 v25, v25, v26
	s_delay_alu instid0(VALU_DEP_1) | instskip(NEXT) | instid1(VALU_DEP_2)
	v_sub_f32_e32 v27, v28, v30
	v_ldexp_f32 v25, v25, -2
	s_delay_alu instid0(VALU_DEP_2) | instskip(NEXT) | instid1(VALU_DEP_1)
	v_sub_f32_e32 v26, v27, v29
	v_add_f32_e32 v24, v24, v26
	s_delay_alu instid0(VALU_DEP_1) | instskip(NEXT) | instid1(VALU_DEP_1)
	v_sub_f32_e32 v24, v24, v25
	v_add_f32_e32 v24, v30, v24
	s_delay_alu instid0(VALU_DEP_1) | instskip(NEXT) | instid1(VALU_DEP_1)
	v_cndmask_b32_e32 v24, 0x7f800000, v24, vcc_lo
	v_cndmask_b32_e64 v24, v24, |v23|, s1
	s_delay_alu instid0(VALU_DEP_1)
	v_bfi_b32 v25, 0x7fffffff, v24, v23
	v_add_co_u32 v23, vcc_lo, v7, s6
	v_add_co_ci_u32_e32 v24, vcc_lo, s7, v8, vcc_lo
	global_store_b32 v[23:24], v25, off
	s_branch .LBB119_8
.LBB119_25:
	s_nop 0
	s_sendmsg sendmsg(MSG_DEALLOC_VGPRS)
	s_endpgm
	.section	.rodata,"a",@progbits
	.p2align	6, 0x0
	.amdhsa_kernel _ZN2at6native12_GLOBAL__N_125multi_tensor_apply_kernelINS1_18TensorListMetadataILi2EEENS1_14UnaryOpFunctorIfLi2ELi1ELi1EEEJNS0_4SinhIfEEEEEvT_T0_DpT1_
		.amdhsa_group_segment_fixed_size 0
		.amdhsa_private_segment_fixed_size 0
		.amdhsa_kernarg_size 3408
		.amdhsa_user_sgpr_count 15
		.amdhsa_user_sgpr_dispatch_ptr 0
		.amdhsa_user_sgpr_queue_ptr 0
		.amdhsa_user_sgpr_kernarg_segment_ptr 1
		.amdhsa_user_sgpr_dispatch_id 0
		.amdhsa_user_sgpr_private_segment_size 0
		.amdhsa_wavefront_size32 1
		.amdhsa_uses_dynamic_stack 0
		.amdhsa_enable_private_segment 0
		.amdhsa_system_sgpr_workgroup_id_x 1
		.amdhsa_system_sgpr_workgroup_id_y 0
		.amdhsa_system_sgpr_workgroup_id_z 0
		.amdhsa_system_sgpr_workgroup_info 0
		.amdhsa_system_vgpr_workitem_id 0
		.amdhsa_next_free_vgpr 54
		.amdhsa_next_free_sgpr 24
		.amdhsa_reserve_vcc 1
		.amdhsa_float_round_mode_32 0
		.amdhsa_float_round_mode_16_64 0
		.amdhsa_float_denorm_mode_32 3
		.amdhsa_float_denorm_mode_16_64 3
		.amdhsa_dx10_clamp 1
		.amdhsa_ieee_mode 1
		.amdhsa_fp16_overflow 0
		.amdhsa_workgroup_processor_mode 1
		.amdhsa_memory_ordered 1
		.amdhsa_forward_progress 0
		.amdhsa_shared_vgpr_count 0
		.amdhsa_exception_fp_ieee_invalid_op 0
		.amdhsa_exception_fp_denorm_src 0
		.amdhsa_exception_fp_ieee_div_zero 0
		.amdhsa_exception_fp_ieee_overflow 0
		.amdhsa_exception_fp_ieee_underflow 0
		.amdhsa_exception_fp_ieee_inexact 0
		.amdhsa_exception_int_div_zero 0
	.end_amdhsa_kernel
	.section	.text._ZN2at6native12_GLOBAL__N_125multi_tensor_apply_kernelINS1_18TensorListMetadataILi2EEENS1_14UnaryOpFunctorIfLi2ELi1ELi1EEEJNS0_4SinhIfEEEEEvT_T0_DpT1_,"axG",@progbits,_ZN2at6native12_GLOBAL__N_125multi_tensor_apply_kernelINS1_18TensorListMetadataILi2EEENS1_14UnaryOpFunctorIfLi2ELi1ELi1EEEJNS0_4SinhIfEEEEEvT_T0_DpT1_,comdat
.Lfunc_end119:
	.size	_ZN2at6native12_GLOBAL__N_125multi_tensor_apply_kernelINS1_18TensorListMetadataILi2EEENS1_14UnaryOpFunctorIfLi2ELi1ELi1EEEJNS0_4SinhIfEEEEEvT_T0_DpT1_, .Lfunc_end119-_ZN2at6native12_GLOBAL__N_125multi_tensor_apply_kernelINS1_18TensorListMetadataILi2EEENS1_14UnaryOpFunctorIfLi2ELi1ELi1EEEJNS0_4SinhIfEEEEEvT_T0_DpT1_
                                        ; -- End function
	.section	.AMDGPU.csdata,"",@progbits
; Kernel info:
; codeLenInByte = 7164
; NumSgprs: 26
; NumVgprs: 54
; ScratchSize: 0
; MemoryBound: 0
; FloatMode: 240
; IeeeMode: 1
; LDSByteSize: 0 bytes/workgroup (compile time only)
; SGPRBlocks: 3
; VGPRBlocks: 6
; NumSGPRsForWavesPerEU: 26
; NumVGPRsForWavesPerEU: 54
; Occupancy: 16
; WaveLimiterHint : 0
; COMPUTE_PGM_RSRC2:SCRATCH_EN: 0
; COMPUTE_PGM_RSRC2:USER_SGPR: 15
; COMPUTE_PGM_RSRC2:TRAP_HANDLER: 0
; COMPUTE_PGM_RSRC2:TGID_X_EN: 1
; COMPUTE_PGM_RSRC2:TGID_Y_EN: 0
; COMPUTE_PGM_RSRC2:TGID_Z_EN: 0
; COMPUTE_PGM_RSRC2:TIDIG_COMP_CNT: 0
	.section	.text._ZN2at6native12_GLOBAL__N_125multi_tensor_apply_kernelINS1_18TensorListMetadataILi2EEENS1_14UnaryOpFunctorIN3c107complexIdEELi2ELi1ELi1EEEJNS0_4SinhIS8_EEEEEvT_T0_DpT1_,"axG",@progbits,_ZN2at6native12_GLOBAL__N_125multi_tensor_apply_kernelINS1_18TensorListMetadataILi2EEENS1_14UnaryOpFunctorIN3c107complexIdEELi2ELi1ELi1EEEJNS0_4SinhIS8_EEEEEvT_T0_DpT1_,comdat
	.globl	_ZN2at6native12_GLOBAL__N_125multi_tensor_apply_kernelINS1_18TensorListMetadataILi2EEENS1_14UnaryOpFunctorIN3c107complexIdEELi2ELi1ELi1EEEJNS0_4SinhIS8_EEEEEvT_T0_DpT1_ ; -- Begin function _ZN2at6native12_GLOBAL__N_125multi_tensor_apply_kernelINS1_18TensorListMetadataILi2EEENS1_14UnaryOpFunctorIN3c107complexIdEELi2ELi1ELi1EEEJNS0_4SinhIS8_EEEEEvT_T0_DpT1_
	.p2align	8
	.type	_ZN2at6native12_GLOBAL__N_125multi_tensor_apply_kernelINS1_18TensorListMetadataILi2EEENS1_14UnaryOpFunctorIN3c107complexIdEELi2ELi1ELi1EEEJNS0_4SinhIS8_EEEEEvT_T0_DpT1_,@function
_ZN2at6native12_GLOBAL__N_125multi_tensor_apply_kernelINS1_18TensorListMetadataILi2EEENS1_14UnaryOpFunctorIN3c107complexIdEELi2ELi1ELi1EEEJNS0_4SinhIS8_EEEEEvT_T0_DpT1_: ; @_ZN2at6native12_GLOBAL__N_125multi_tensor_apply_kernelINS1_18TensorListMetadataILi2EEENS1_14UnaryOpFunctorIN3c107complexIdEELi2ELi1ELi1EEEJNS0_4SinhIS8_EEEEEvT_T0_DpT1_
; %bb.0:
	v_mov_b32_e32 v60, v0
	v_mov_b32_e32 v0, s15
	s_mov_b64 s[22:23], s[0:1]
	s_mov_b32 s5, 0
	s_mov_b32 s32, 0
	s_mov_b32 s7, s5
	global_load_u8 v0, v0, s[0:1] offset:1536
	s_add_u32 s0, s22, s15
	s_mul_hi_u32 s1, s15, 3
	s_mul_i32 s15, s15, 3
	s_addc_u32 s2, s23, 0
	s_add_u32 s0, s0, s15
	s_addc_u32 s1, s2, s1
	s_mov_b32 s9, s5
	s_load_b32 s0, s[0:1], 0x740
	s_waitcnt vmcnt(0)
	v_readfirstlane_b32 s3, v0
	s_delay_alu instid0(VALU_DEP_1)
	s_lshl_b32 s1, s3, 3
	s_clause 0x2
	s_load_b64 s[24:25], s[22:23], s1 offset:0x0
	s_load_b64 s[38:39], s[22:23], s1 offset:0x200
	s_load_b64 s[2:3], s[22:23], s1 offset:0x400
	s_waitcnt lgkmcnt(0)
	s_ashr_i32 s1, s0, 31
	s_delay_alu instid0(SALU_CYCLE_1) | instskip(NEXT) | instid1(SALU_CYCLE_1)
	s_lshl_b64 s[26:27], s[0:1], 20
	s_add_u32 s33, s24, s26
	s_addc_u32 s34, s25, s27
	s_add_u32 s35, s38, s26
	s_addc_u32 s36, s39, s27
	s_and_b32 s6, s33, 63
	s_and_b32 s8, s2, 3
	;; [unrolled: 1-line block ×3, first 2 shown]
	s_or_b64 s[6:7], s[6:7], s[8:9]
	s_lshl_b64 s[0:1], s[0:1], 16
	s_or_b64 s[4:5], s[4:5], s[6:7]
	s_sub_u32 s28, s2, s0
	s_subb_u32 s29, s3, s1
	s_cmp_eq_u64 s[4:5], 0
	s_mov_b32 s0, -1
	s_cbranch_scc0 .LBB120_5
; %bb.1:
	v_dual_mov_b32 v62, 0 :: v_dual_lshlrev_b32 v61, 2, v60
	s_mov_b32 s37, exec_lo
	s_delay_alu instid0(VALU_DEP_1)
	v_cmpx_gt_i64_e64 s[28:29], v[61:62]
	s_cbranch_execz .LBB120_4
; %bb.2:
	s_load_b32 s0, s[22:23], 0xc5c
	v_lshlrev_b32_e32 v63, 6, v60
	s_mov_b32 s40, 0
	s_waitcnt lgkmcnt(0)
	s_and_b32 s0, s0, 0xffff
	s_delay_alu instid0(SALU_CYCLE_1)
	v_add_lshl_u32 v61, v60, s0, 2
	s_lshl_b32 s41, s0, 2
	s_lshl_b32 s42, s0, 6
.LBB120_3:                              ; =>This Inner Loop Header: Depth=1
	v_add_co_u32 v4, s0, s33, v63
	s_delay_alu instid0(VALU_DEP_1)
	v_add_co_ci_u32_e64 v5, null, s34, 0, s0
	s_getpc_b64 s[44:45]
	s_add_u32 s44, s44, _ZN6thrust23THRUST_200600_302600_NS6detail7complex5csinhERKNS0_7complexIdEE@rel32@lo+4
	s_addc_u32 s45, s45, _ZN6thrust23THRUST_200600_302600_NS6detail7complex5csinhERKNS0_7complexIdEE@rel32@hi+12
	s_clause 0x3
	global_load_b128 v[0:3], v[4:5], off
	global_load_b128 v[40:43], v[4:5], off offset:16
	global_load_b128 v[44:47], v[4:5], off offset:48
	;; [unrolled: 1-line block ×3, first 2 shown]
	s_swappc_b64 s[30:31], s[44:45]
	v_dual_mov_b32 v72, v0 :: v_dual_mov_b32 v73, v1
	v_dual_mov_b32 v74, v2 :: v_dual_mov_b32 v75, v3
	;; [unrolled: 1-line block ×4, first 2 shown]
	s_swappc_b64 s[30:31], s[44:45]
	s_delay_alu instid0(VALU_DEP_2) | instskip(NEXT) | instid1(VALU_DEP_2)
	v_dual_mov_b32 v40, v0 :: v_dual_mov_b32 v41, v1
	v_dual_mov_b32 v42, v2 :: v_dual_mov_b32 v43, v3
	;; [unrolled: 1-line block ×4, first 2 shown]
	s_swappc_b64 s[30:31], s[44:45]
	s_delay_alu instid0(VALU_DEP_2) | instskip(NEXT) | instid1(VALU_DEP_2)
	v_dual_mov_b32 v56, v0 :: v_dual_mov_b32 v57, v1
	v_dual_mov_b32 v58, v2 :: v_dual_mov_b32 v59, v3
	;; [unrolled: 1-line block ×4, first 2 shown]
	s_swappc_b64 s[30:31], s[44:45]
	v_add_co_u32 v4, s0, s35, v63
	s_delay_alu instid0(VALU_DEP_1) | instskip(SKIP_3) | instid1(VALU_DEP_1)
	v_add_co_ci_u32_e64 v5, null, s36, 0, s0
	v_cmp_le_i64_e32 vcc_lo, s[28:29], v[61:62]
	v_cmp_lt_u64_e64 s0, 0xffff, v[61:62]
	v_add_co_u32 v61, s1, v61, s41
	v_add_co_ci_u32_e64 v62, s1, 0, v62, s1
	s_clause 0x1
	global_store_b128 v[4:5], v[72:75], off
	global_store_b128 v[4:5], v[40:43], off offset:16
	s_or_b32 s0, vcc_lo, s0
	s_add_u32 s33, s33, s42
	s_addc_u32 s34, s34, 0
	s_add_u32 s35, s35, s42
	s_addc_u32 s36, s36, 0
	s_and_b32 s0, exec_lo, s0
	s_clause 0x1
	global_store_b128 v[4:5], v[56:59], off offset:32
	global_store_b128 v[4:5], v[0:3], off offset:48
	s_or_b32 s40, s0, s40
	s_delay_alu instid0(SALU_CYCLE_1)
	s_and_not1_b32 exec_lo, exec_lo, s40
	s_cbranch_execnz .LBB120_3
.LBB120_4:
	s_or_b32 exec_lo, exec_lo, s37
	s_mov_b32 s0, 0
.LBB120_5:
	s_delay_alu instid0(SALU_CYCLE_1)
	s_and_not1_b32 vcc_lo, exec_lo, s0
	s_cbranch_vccnz .LBB120_25
; %bb.6:
	v_cmp_lt_i64_e64 s0, s[28:29], 1
	s_delay_alu instid0(VALU_DEP_1)
	s_and_b32 vcc_lo, exec_lo, s0
	s_cbranch_vccnz .LBB120_25
; %bb.7:
	s_load_b32 s0, s[22:23], 0xc5c
	v_mov_b32_e32 v61, 0
	v_lshl_or_b32 v0, v60, 4, 8
	v_cmp_gt_u64_e64 s1, 0x10000, s[28:29]
	s_mov_b32 s35, 0
	s_delay_alu instid0(VALU_DEP_3) | instskip(NEXT) | instid1(VALU_DEP_3)
	v_mov_b32_e32 v1, v61
	v_add_co_u32 v62, s2, s24, v0
	s_delay_alu instid0(VALU_DEP_1) | instskip(SKIP_1) | instid1(VALU_DEP_1)
	v_add_co_ci_u32_e64 v63, null, s25, 0, s2
	v_add_co_u32 v72, s2, s38, v0
	v_add_co_ci_u32_e64 v73, null, s39, 0, s2
	s_waitcnt lgkmcnt(0)
	s_and_b32 s33, s0, 0xffff
	s_and_b32 s0, s1, exec_lo
	v_add_lshl_u32 v4, v60, s33, 4
	v_mad_u64_u32 v[2:3], null, s33, 48, v[0:1]
	s_cselect_b32 s37, s29, 0
	s_cselect_b32 s36, s28, 0x10000
	s_delay_alu instid0(VALU_DEP_2) | instskip(NEXT) | instid1(VALU_DEP_1)
	v_add_co_u32 v74, s0, s38, v4
	v_add_co_ci_u32_e64 v75, null, s39, 0, s0
	v_add_co_u32 v78, s0, s24, v4
	s_delay_alu instid0(VALU_DEP_1)
	v_add_co_ci_u32_e64 v79, null, s25, 0, s0
	s_lshl_b32 s0, s33, 5
	v_add_co_u32 v76, vcc_lo, s24, v2
	v_add_co_u32 v0, s0, v0, s0
	v_add_co_ci_u32_e32 v77, vcc_lo, s25, v3, vcc_lo
	v_add_co_ci_u32_e64 v1, null, 0, 0, s0
	v_add_co_u32 v84, vcc_lo, s38, v2
	v_add_co_ci_u32_e32 v85, vcc_lo, s39, v3, vcc_lo
	v_add_co_u32 v86, vcc_lo, s24, v0
	s_delay_alu instid0(VALU_DEP_4)
	v_add_co_ci_u32_e32 v87, vcc_lo, s25, v1, vcc_lo
	v_add_co_u32 v88, vcc_lo, s38, v0
	v_add_co_ci_u32_e32 v89, vcc_lo, s39, v1, vcc_lo
	s_lshl_b32 s34, s33, 2
	s_lshl_b32 s40, s33, 1
	s_mul_i32 s41, s33, 3
	s_lshl_b32 s25, s33, 6
	s_mov_b64 s[38:39], s[34:35]
	s_branch .LBB120_9
.LBB120_8:                              ;   in Loop: Header=BB120_9 Depth=1
	s_or_b32 exec_lo, exec_lo, s23
	v_add_co_u32 v60, vcc_lo, v60, s34
	v_add_co_ci_u32_e32 v61, vcc_lo, 0, v61, vcc_lo
	v_add_co_u32 v62, vcc_lo, v62, s25
	v_add_co_ci_u32_e32 v63, vcc_lo, 0, v63, vcc_lo
	;; [unrolled: 2-line block ×7, first 2 shown]
	v_cmp_ge_i64_e64 s0, s[38:39], s[28:29]
	v_cmp_lt_u64_e64 s1, 0xffff, s[38:39]
	v_add_co_u32 v86, vcc_lo, v86, s25
	v_add_co_ci_u32_e32 v87, vcc_lo, 0, v87, vcc_lo
	v_add_co_u32 v88, vcc_lo, v88, s25
	v_add_co_ci_u32_e32 v89, vcc_lo, 0, v89, vcc_lo
	s_or_b32 s0, s0, s1
	s_add_u32 s38, s38, s34
	s_addc_u32 s39, s39, 0
	s_and_b32 vcc_lo, exec_lo, s0
	s_cbranch_vccnz .LBB120_25
.LBB120_9:                              ; =>This Inner Loop Header: Depth=1
	s_waitcnt vmcnt(0)
	v_mov_b32_e32 v46, 0
	v_mov_b32_e32 v47, 0
	v_cmp_gt_u64_e32 vcc_lo, s[36:37], v[60:61]
	s_delay_alu instid0(VALU_DEP_3) | instskip(NEXT) | instid1(VALU_DEP_3)
	v_mov_b32_e32 v2, v46
	v_dual_mov_b32 v0, v46 :: v_dual_mov_b32 v1, v47
	v_mov_b32_e32 v3, v47
	s_and_saveexec_b32 s1, vcc_lo
	s_cbranch_execz .LBB120_11
; %bb.10:                               ;   in Loop: Header=BB120_9 Depth=1
	v_add_co_u32 v0, s0, v62, s26
	s_delay_alu instid0(VALU_DEP_1)
	v_add_co_ci_u32_e64 v1, s0, s27, v63, s0
	global_load_b128 v[0:3], v[0:1], off offset:-8
.LBB120_11:                             ;   in Loop: Header=BB120_9 Depth=1
	s_or_b32 exec_lo, exec_lo, s1
	v_add_co_u32 v4, s0, s33, v60
	s_delay_alu instid0(VALU_DEP_1) | instskip(SKIP_1) | instid1(VALU_DEP_2)
	v_add_co_ci_u32_e64 v5, s0, 0, v61, s0
	v_dual_mov_b32 v44, v46 :: v_dual_mov_b32 v45, v47
	v_cmp_gt_u64_e64 s24, s[36:37], v[4:5]
	s_delay_alu instid0(VALU_DEP_1)
	s_and_saveexec_b32 s1, s24
	s_cbranch_execz .LBB120_13
; %bb.12:                               ;   in Loop: Header=BB120_9 Depth=1
	v_add_co_u32 v4, s0, v78, s26
	s_delay_alu instid0(VALU_DEP_1)
	v_add_co_ci_u32_e64 v5, s0, s27, v79, s0
	global_load_b128 v[44:47], v[4:5], off
.LBB120_13:                             ;   in Loop: Header=BB120_9 Depth=1
	s_or_b32 exec_lo, exec_lo, s1
	v_add_co_u32 v4, s0, s40, v60
	s_delay_alu instid0(VALU_DEP_1) | instskip(SKIP_2) | instid1(VALU_DEP_3)
	v_add_co_ci_u32_e64 v5, s0, 0, v61, s0
	v_mov_b32_e32 v42, 0
	v_mov_b32_e32 v43, 0
	v_cmp_gt_u64_e64 s23, s[36:37], v[4:5]
	s_delay_alu instid0(VALU_DEP_2) | instskip(SKIP_1) | instid1(VALU_DEP_3)
	v_dual_mov_b32 v59, v43 :: v_dual_mov_b32 v58, v42
	v_dual_mov_b32 v57, v43 :: v_dual_mov_b32 v56, v42
	s_and_saveexec_b32 s1, s23
	s_cbranch_execz .LBB120_15
; %bb.14:                               ;   in Loop: Header=BB120_9 Depth=1
	v_add_co_u32 v4, s0, v86, s26
	s_delay_alu instid0(VALU_DEP_1)
	v_add_co_ci_u32_e64 v5, s0, s27, v87, s0
	global_load_b128 v[56:59], v[4:5], off offset:-8
.LBB120_15:                             ;   in Loop: Header=BB120_9 Depth=1
	s_or_b32 exec_lo, exec_lo, s1
	v_add_co_u32 v4, s0, s41, v60
	s_delay_alu instid0(VALU_DEP_1) | instskip(SKIP_1) | instid1(VALU_DEP_2)
	v_add_co_ci_u32_e64 v5, s0, 0, v61, s0
	v_dual_mov_b32 v40, v42 :: v_dual_mov_b32 v41, v43
	v_cmp_gt_u64_e64 s22, s[36:37], v[4:5]
	s_delay_alu instid0(VALU_DEP_1)
	s_and_saveexec_b32 s1, s22
	s_cbranch_execnz .LBB120_20
; %bb.16:                               ;   in Loop: Header=BB120_9 Depth=1
	s_or_b32 exec_lo, exec_lo, s1
	s_and_saveexec_b32 s35, vcc_lo
	s_cbranch_execnz .LBB120_21
.LBB120_17:                             ;   in Loop: Header=BB120_9 Depth=1
	s_or_b32 exec_lo, exec_lo, s35
	s_and_saveexec_b32 s35, s24
	s_cbranch_execnz .LBB120_22
.LBB120_18:                             ;   in Loop: Header=BB120_9 Depth=1
	s_or_b32 exec_lo, exec_lo, s35
	s_and_saveexec_b32 s24, s23
	s_cbranch_execnz .LBB120_23
.LBB120_19:                             ;   in Loop: Header=BB120_9 Depth=1
	s_or_b32 exec_lo, exec_lo, s24
	s_and_saveexec_b32 s23, s22
	s_cbranch_execz .LBB120_8
	s_branch .LBB120_24
.LBB120_20:                             ;   in Loop: Header=BB120_9 Depth=1
	v_add_co_u32 v4, s0, v76, s26
	s_delay_alu instid0(VALU_DEP_1)
	v_add_co_ci_u32_e64 v5, s0, s27, v77, s0
	global_load_b128 v[40:43], v[4:5], off offset:-8
	s_or_b32 exec_lo, exec_lo, s1
	s_and_saveexec_b32 s35, vcc_lo
	s_cbranch_execz .LBB120_17
.LBB120_21:                             ;   in Loop: Header=BB120_9 Depth=1
	s_getpc_b64 s[0:1]
	s_add_u32 s0, s0, _ZN6thrust23THRUST_200600_302600_NS6detail7complex5csinhERKNS0_7complexIdEE@rel32@lo+4
	s_addc_u32 s1, s1, _ZN6thrust23THRUST_200600_302600_NS6detail7complex5csinhERKNS0_7complexIdEE@rel32@hi+12
	s_delay_alu instid0(SALU_CYCLE_1)
	s_swappc_b64 s[30:31], s[0:1]
	v_add_co_u32 v4, vcc_lo, v72, s26
	v_add_co_ci_u32_e32 v5, vcc_lo, s27, v73, vcc_lo
	global_store_b128 v[4:5], v[0:3], off offset:-8
	s_or_b32 exec_lo, exec_lo, s35
	s_and_saveexec_b32 s35, s24
	s_cbranch_execz .LBB120_18
.LBB120_22:                             ;   in Loop: Header=BB120_9 Depth=1
	s_waitcnt vmcnt(0)
	v_dual_mov_b32 v0, v44 :: v_dual_mov_b32 v1, v45
	v_dual_mov_b32 v2, v46 :: v_dual_mov_b32 v3, v47
	s_getpc_b64 s[0:1]
	s_add_u32 s0, s0, _ZN6thrust23THRUST_200600_302600_NS6detail7complex5csinhERKNS0_7complexIdEE@rel32@lo+4
	s_addc_u32 s1, s1, _ZN6thrust23THRUST_200600_302600_NS6detail7complex5csinhERKNS0_7complexIdEE@rel32@hi+12
	s_delay_alu instid0(SALU_CYCLE_1)
	s_swappc_b64 s[30:31], s[0:1]
	v_add_co_u32 v4, vcc_lo, v74, s26
	v_add_co_ci_u32_e32 v5, vcc_lo, s27, v75, vcc_lo
	global_store_b128 v[4:5], v[0:3], off
	s_or_b32 exec_lo, exec_lo, s35
	s_and_saveexec_b32 s24, s23
	s_cbranch_execz .LBB120_19
.LBB120_23:                             ;   in Loop: Header=BB120_9 Depth=1
	s_waitcnt vmcnt(0)
	v_dual_mov_b32 v0, v56 :: v_dual_mov_b32 v1, v57
	v_dual_mov_b32 v2, v58 :: v_dual_mov_b32 v3, v59
	s_getpc_b64 s[0:1]
	s_add_u32 s0, s0, _ZN6thrust23THRUST_200600_302600_NS6detail7complex5csinhERKNS0_7complexIdEE@rel32@lo+4
	s_addc_u32 s1, s1, _ZN6thrust23THRUST_200600_302600_NS6detail7complex5csinhERKNS0_7complexIdEE@rel32@hi+12
	s_delay_alu instid0(SALU_CYCLE_1)
	s_swappc_b64 s[30:31], s[0:1]
	v_add_co_u32 v4, vcc_lo, v88, s26
	v_add_co_ci_u32_e32 v5, vcc_lo, s27, v89, vcc_lo
	global_store_b128 v[4:5], v[0:3], off offset:-8
	s_or_b32 exec_lo, exec_lo, s24
	s_and_saveexec_b32 s23, s22
	s_cbranch_execz .LBB120_8
.LBB120_24:                             ;   in Loop: Header=BB120_9 Depth=1
	s_waitcnt vmcnt(0)
	v_dual_mov_b32 v0, v40 :: v_dual_mov_b32 v1, v41
	v_dual_mov_b32 v2, v42 :: v_dual_mov_b32 v3, v43
	s_getpc_b64 s[0:1]
	s_add_u32 s0, s0, _ZN6thrust23THRUST_200600_302600_NS6detail7complex5csinhERKNS0_7complexIdEE@rel32@lo+4
	s_addc_u32 s1, s1, _ZN6thrust23THRUST_200600_302600_NS6detail7complex5csinhERKNS0_7complexIdEE@rel32@hi+12
	s_delay_alu instid0(SALU_CYCLE_1)
	s_swappc_b64 s[30:31], s[0:1]
	v_add_co_u32 v4, vcc_lo, v84, s26
	v_add_co_ci_u32_e32 v5, vcc_lo, s27, v85, vcc_lo
	global_store_b128 v[4:5], v[0:3], off offset:-8
	s_branch .LBB120_8
.LBB120_25:
	s_endpgm
	.section	.rodata,"a",@progbits
	.p2align	6, 0x0
	.amdhsa_kernel _ZN2at6native12_GLOBAL__N_125multi_tensor_apply_kernelINS1_18TensorListMetadataILi2EEENS1_14UnaryOpFunctorIN3c107complexIdEELi2ELi1ELi1EEEJNS0_4SinhIS8_EEEEEvT_T0_DpT1_
		.amdhsa_group_segment_fixed_size 0
		.amdhsa_private_segment_fixed_size 0
		.amdhsa_kernarg_size 3408
		.amdhsa_user_sgpr_count 15
		.amdhsa_user_sgpr_dispatch_ptr 0
		.amdhsa_user_sgpr_queue_ptr 0
		.amdhsa_user_sgpr_kernarg_segment_ptr 1
		.amdhsa_user_sgpr_dispatch_id 0
		.amdhsa_user_sgpr_private_segment_size 0
		.amdhsa_wavefront_size32 1
		.amdhsa_uses_dynamic_stack 0
		.amdhsa_enable_private_segment 0
		.amdhsa_system_sgpr_workgroup_id_x 1
		.amdhsa_system_sgpr_workgroup_id_y 0
		.amdhsa_system_sgpr_workgroup_id_z 0
		.amdhsa_system_sgpr_workgroup_info 0
		.amdhsa_system_vgpr_workitem_id 0
		.amdhsa_next_free_vgpr 90
		.amdhsa_next_free_sgpr 46
		.amdhsa_reserve_vcc 1
		.amdhsa_float_round_mode_32 0
		.amdhsa_float_round_mode_16_64 0
		.amdhsa_float_denorm_mode_32 3
		.amdhsa_float_denorm_mode_16_64 3
		.amdhsa_dx10_clamp 1
		.amdhsa_ieee_mode 1
		.amdhsa_fp16_overflow 0
		.amdhsa_workgroup_processor_mode 1
		.amdhsa_memory_ordered 1
		.amdhsa_forward_progress 0
		.amdhsa_shared_vgpr_count 0
		.amdhsa_exception_fp_ieee_invalid_op 0
		.amdhsa_exception_fp_denorm_src 0
		.amdhsa_exception_fp_ieee_div_zero 0
		.amdhsa_exception_fp_ieee_overflow 0
		.amdhsa_exception_fp_ieee_underflow 0
		.amdhsa_exception_fp_ieee_inexact 0
		.amdhsa_exception_int_div_zero 0
	.end_amdhsa_kernel
	.section	.text._ZN2at6native12_GLOBAL__N_125multi_tensor_apply_kernelINS1_18TensorListMetadataILi2EEENS1_14UnaryOpFunctorIN3c107complexIdEELi2ELi1ELi1EEEJNS0_4SinhIS8_EEEEEvT_T0_DpT1_,"axG",@progbits,_ZN2at6native12_GLOBAL__N_125multi_tensor_apply_kernelINS1_18TensorListMetadataILi2EEENS1_14UnaryOpFunctorIN3c107complexIdEELi2ELi1ELi1EEEJNS0_4SinhIS8_EEEEEvT_T0_DpT1_,comdat
.Lfunc_end120:
	.size	_ZN2at6native12_GLOBAL__N_125multi_tensor_apply_kernelINS1_18TensorListMetadataILi2EEENS1_14UnaryOpFunctorIN3c107complexIdEELi2ELi1ELi1EEEJNS0_4SinhIS8_EEEEEvT_T0_DpT1_, .Lfunc_end120-_ZN2at6native12_GLOBAL__N_125multi_tensor_apply_kernelINS1_18TensorListMetadataILi2EEENS1_14UnaryOpFunctorIN3c107complexIdEELi2ELi1ELi1EEEJNS0_4SinhIS8_EEEEEvT_T0_DpT1_
                                        ; -- End function
	.section	.AMDGPU.csdata,"",@progbits
; Kernel info:
; codeLenInByte = 1732
; NumSgprs: 48
; NumVgprs: 90
; ScratchSize: 0
; MemoryBound: 1
; FloatMode: 240
; IeeeMode: 1
; LDSByteSize: 0 bytes/workgroup (compile time only)
; SGPRBlocks: 5
; VGPRBlocks: 11
; NumSGPRsForWavesPerEU: 48
; NumVGPRsForWavesPerEU: 90
; Occupancy: 16
; WaveLimiterHint : 0
; COMPUTE_PGM_RSRC2:SCRATCH_EN: 0
; COMPUTE_PGM_RSRC2:USER_SGPR: 15
; COMPUTE_PGM_RSRC2:TRAP_HANDLER: 0
; COMPUTE_PGM_RSRC2:TGID_X_EN: 1
; COMPUTE_PGM_RSRC2:TGID_Y_EN: 0
; COMPUTE_PGM_RSRC2:TGID_Z_EN: 0
; COMPUTE_PGM_RSRC2:TIDIG_COMP_CNT: 0
	.section	.text._ZN2at6native12_GLOBAL__N_125multi_tensor_apply_kernelINS1_18TensorListMetadataILi2EEENS1_14UnaryOpFunctorIN3c107complexIfEELi2ELi1ELi1EEEJNS0_4SinhIS8_EEEEEvT_T0_DpT1_,"axG",@progbits,_ZN2at6native12_GLOBAL__N_125multi_tensor_apply_kernelINS1_18TensorListMetadataILi2EEENS1_14UnaryOpFunctorIN3c107complexIfEELi2ELi1ELi1EEEJNS0_4SinhIS8_EEEEEvT_T0_DpT1_,comdat
	.globl	_ZN2at6native12_GLOBAL__N_125multi_tensor_apply_kernelINS1_18TensorListMetadataILi2EEENS1_14UnaryOpFunctorIN3c107complexIfEELi2ELi1ELi1EEEJNS0_4SinhIS8_EEEEEvT_T0_DpT1_ ; -- Begin function _ZN2at6native12_GLOBAL__N_125multi_tensor_apply_kernelINS1_18TensorListMetadataILi2EEENS1_14UnaryOpFunctorIN3c107complexIfEELi2ELi1ELi1EEEJNS0_4SinhIS8_EEEEEvT_T0_DpT1_
	.p2align	8
	.type	_ZN2at6native12_GLOBAL__N_125multi_tensor_apply_kernelINS1_18TensorListMetadataILi2EEENS1_14UnaryOpFunctorIN3c107complexIfEELi2ELi1ELi1EEEJNS0_4SinhIS8_EEEEEvT_T0_DpT1_,@function
_ZN2at6native12_GLOBAL__N_125multi_tensor_apply_kernelINS1_18TensorListMetadataILi2EEENS1_14UnaryOpFunctorIN3c107complexIfEELi2ELi1ELi1EEEJNS0_4SinhIS8_EEEEEvT_T0_DpT1_: ; @_ZN2at6native12_GLOBAL__N_125multi_tensor_apply_kernelINS1_18TensorListMetadataILi2EEENS1_14UnaryOpFunctorIN3c107complexIfEELi2ELi1ELi1EEEJNS0_4SinhIS8_EEEEEvT_T0_DpT1_
; %bb.0:
	v_dual_mov_b32 v21, v0 :: v_dual_mov_b32 v0, s15
	s_mov_b64 s[12:13], s[0:1]
	s_mov_b32 s5, 0
	s_mov_b32 s32, 0
	;; [unrolled: 1-line block ×3, first 2 shown]
	global_load_u8 v0, v0, s[0:1] offset:1536
	s_add_u32 s0, s12, s15
	s_mul_hi_u32 s1, s15, 3
	s_mul_i32 s15, s15, 3
	s_addc_u32 s2, s13, 0
	s_add_u32 s0, s0, s15
	s_addc_u32 s1, s2, s1
	s_mov_b32 s9, s5
	s_load_b32 s0, s[0:1], 0x740
	s_waitcnt vmcnt(0)
	v_readfirstlane_b32 s3, v0
	s_delay_alu instid0(VALU_DEP_1)
	s_lshl_b32 s1, s3, 3
	s_clause 0x2
	s_load_b64 s[22:23], s[12:13], s1 offset:0x0
	s_load_b64 s[24:25], s[12:13], s1 offset:0x200
	s_load_b64 s[2:3], s[12:13], s1 offset:0x400
	s_waitcnt lgkmcnt(0)
	s_ashr_i32 s1, s0, 31
	s_delay_alu instid0(SALU_CYCLE_1) | instskip(NEXT) | instid1(SALU_CYCLE_1)
	s_lshl_b64 s[14:15], s[0:1], 19
	s_add_u32 s11, s22, s14
	s_addc_u32 s18, s23, s15
	s_add_u32 s19, s24, s14
	s_addc_u32 s20, s25, s15
	s_and_b32 s6, s11, 31
	s_and_b32 s8, s2, 3
	;; [unrolled: 1-line block ×3, first 2 shown]
	s_or_b64 s[6:7], s[6:7], s[8:9]
	s_lshl_b64 s[0:1], s[0:1], 16
	s_or_b64 s[4:5], s[4:5], s[6:7]
	s_sub_u32 s16, s2, s0
	s_subb_u32 s17, s3, s1
	s_cmp_eq_u64 s[4:5], 0
	s_mov_b32 s0, -1
	s_cbranch_scc0 .LBB121_5
; %bb.1:
	v_dual_mov_b32 v31, 0 :: v_dual_lshlrev_b32 v30, 2, v21
	s_mov_b32 s21, exec_lo
	s_delay_alu instid0(VALU_DEP_1)
	v_cmpx_gt_i64_e64 s[16:17], v[30:31]
	s_cbranch_execz .LBB121_4
; %bb.2:
	s_load_b32 s0, s[12:13], 0xc5c
	v_lshlrev_b32_e32 v32, 5, v21
	s_mov_b32 s26, 0
	s_waitcnt lgkmcnt(0)
	s_and_b32 s0, s0, 0xffff
	s_delay_alu instid0(SALU_CYCLE_1)
	v_add_lshl_u32 v30, v21, s0, 2
	s_lshl_b32 s27, s0, 2
	s_lshl_b32 s28, s0, 5
.LBB121_3:                              ; =>This Inner Loop Header: Depth=1
	v_add_co_u32 v0, s0, s11, v32
	s_delay_alu instid0(VALU_DEP_1)
	v_add_co_ci_u32_e64 v1, null, s18, 0, s0
	s_getpc_b64 s[34:35]
	s_add_u32 s34, s34, _ZN6thrust23THRUST_200600_302600_NS6detail7complex6csinhfERKNS0_7complexIfEE@rel32@lo+4
	s_addc_u32 s35, s35, _ZN6thrust23THRUST_200600_302600_NS6detail7complex6csinhfERKNS0_7complexIfEE@rel32@hi+12
	s_clause 0x1
	global_load_b128 v[22:25], v[0:1], off
	global_load_b128 v[26:29], v[0:1], off offset:16
	s_waitcnt vmcnt(1)
	v_dual_mov_b32 v0, v22 :: v_dual_mov_b32 v1, v23
	s_swappc_b64 s[30:31], s[34:35]
	s_delay_alu instid0(VALU_DEP_1) | instskip(SKIP_2) | instid1(VALU_DEP_1)
	v_dual_mov_b32 v22, v0 :: v_dual_mov_b32 v23, v1
	v_dual_mov_b32 v0, v24 :: v_dual_mov_b32 v1, v25
	s_swappc_b64 s[30:31], s[34:35]
	v_dual_mov_b32 v24, v0 :: v_dual_mov_b32 v25, v1
	v_dual_mov_b32 v0, v26 :: v_dual_mov_b32 v1, v27
	s_swappc_b64 s[30:31], s[34:35]
	s_delay_alu instid0(VALU_DEP_1) | instskip(SKIP_4) | instid1(VALU_DEP_3)
	v_dual_mov_b32 v26, v0 :: v_dual_mov_b32 v27, v1
	v_dual_mov_b32 v0, v28 :: v_dual_mov_b32 v1, v29
	s_swappc_b64 s[30:31], s[34:35]
	v_cmp_le_i64_e32 vcc_lo, s[16:17], v[30:31]
	v_cmp_lt_u64_e64 s0, 0xffff, v[30:31]
	v_dual_mov_b32 v28, v0 :: v_dual_mov_b32 v29, v1
	v_add_co_u32 v0, s1, s19, v32
	s_delay_alu instid0(VALU_DEP_1) | instskip(NEXT) | instid1(VALU_DEP_4)
	v_add_co_ci_u32_e64 v1, null, s20, 0, s1
	s_or_b32 s0, vcc_lo, s0
	s_add_u32 s11, s11, s28
	v_add_co_u32 v30, s1, v30, s27
	s_addc_u32 s18, s18, 0
	s_add_u32 s19, s19, s28
	v_add_co_ci_u32_e64 v31, s1, 0, v31, s1
	s_addc_u32 s20, s20, 0
	s_and_b32 s0, exec_lo, s0
	s_clause 0x1
	global_store_b128 v[0:1], v[22:25], off
	global_store_b128 v[0:1], v[26:29], off offset:16
	s_or_b32 s26, s0, s26
	s_delay_alu instid0(SALU_CYCLE_1)
	s_and_not1_b32 exec_lo, exec_lo, s26
	s_cbranch_execnz .LBB121_3
.LBB121_4:
	s_or_b32 exec_lo, exec_lo, s21
	s_mov_b32 s0, 0
.LBB121_5:
	s_delay_alu instid0(SALU_CYCLE_1)
	s_and_not1_b32 vcc_lo, exec_lo, s0
	s_cbranch_vccnz .LBB121_25
; %bb.6:
	v_cmp_lt_i64_e64 s0, s[16:17], 1
	s_delay_alu instid0(VALU_DEP_1)
	s_and_b32 vcc_lo, exec_lo, s0
	s_cbranch_vccnz .LBB121_25
; %bb.7:
	s_load_b32 s0, s[12:13], 0xc5c
	v_mov_b32_e32 v22, 0
	v_lshl_or_b32 v0, v21, 3, 4
	v_cmp_gt_u64_e64 s1, 0x10000, s[16:17]
	s_mov_b32 s19, 0
	s_delay_alu instid0(VALU_DEP_3) | instskip(NEXT) | instid1(VALU_DEP_3)
	v_mov_b32_e32 v1, v22
	v_add_co_u32 v29, s2, s22, v0
	s_delay_alu instid0(VALU_DEP_1) | instskip(SKIP_1) | instid1(VALU_DEP_1)
	v_add_co_ci_u32_e64 v30, null, s23, 0, s2
	v_add_co_u32 v31, s2, s24, v0
	v_add_co_ci_u32_e64 v32, null, s25, 0, s2
	s_waitcnt lgkmcnt(0)
	s_and_b32 s26, s0, 0xffff
	s_and_b32 s0, s1, exec_lo
	v_add_lshl_u32 v4, v21, s26, 3
	v_mad_u64_u32 v[2:3], null, s26, 24, v[0:1]
	s_cselect_b32 s21, s17, 0
	s_cselect_b32 s20, s16, 0x10000
	s_delay_alu instid0(VALU_DEP_2) | instskip(NEXT) | instid1(VALU_DEP_1)
	v_add_co_u32 v33, s0, s24, v4
	v_add_co_ci_u32_e64 v34, null, s25, 0, s0
	v_add_co_u32 v37, s0, s22, v4
	s_delay_alu instid0(VALU_DEP_1)
	v_add_co_ci_u32_e64 v38, null, s23, 0, s0
	s_lshl_b32 s0, s26, 4
	v_add_co_u32 v35, vcc_lo, s22, v2
	v_add_co_u32 v0, s0, v0, s0
	v_add_co_ci_u32_e32 v36, vcc_lo, s23, v3, vcc_lo
	v_add_co_ci_u32_e64 v1, null, 0, 0, s0
	v_add_co_u32 v39, vcc_lo, s24, v2
	v_add_co_ci_u32_e32 v40, vcc_lo, s25, v3, vcc_lo
	v_add_co_u32 v41, vcc_lo, s22, v0
	s_delay_alu instid0(VALU_DEP_4)
	v_add_co_ci_u32_e32 v42, vcc_lo, s23, v1, vcc_lo
	v_add_co_u32 v43, vcc_lo, s24, v0
	v_add_co_ci_u32_e32 v44, vcc_lo, s25, v1, vcc_lo
	s_lshl_b32 s18, s26, 2
	s_lshl_b32 s27, s26, 1
	s_mul_i32 s28, s26, 3
	s_lshl_b32 s24, s26, 5
	s_mov_b64 s[22:23], s[18:19]
	s_branch .LBB121_9
.LBB121_8:                              ;   in Loop: Header=BB121_9 Depth=1
	s_or_b32 exec_lo, exec_lo, s11
	v_add_co_u32 v21, vcc_lo, v21, s18
	v_add_co_ci_u32_e32 v22, vcc_lo, 0, v22, vcc_lo
	v_add_co_u32 v29, vcc_lo, v29, s24
	v_add_co_ci_u32_e32 v30, vcc_lo, 0, v30, vcc_lo
	v_add_co_u32 v31, vcc_lo, v31, s24
	v_add_co_ci_u32_e32 v32, vcc_lo, 0, v32, vcc_lo
	v_add_co_u32 v33, vcc_lo, v33, s24
	v_add_co_ci_u32_e32 v34, vcc_lo, 0, v34, vcc_lo
	v_add_co_u32 v35, vcc_lo, v35, s24
	v_add_co_ci_u32_e32 v36, vcc_lo, 0, v36, vcc_lo
	v_add_co_u32 v37, vcc_lo, v37, s24
	v_add_co_ci_u32_e32 v38, vcc_lo, 0, v38, vcc_lo
	v_add_co_u32 v39, vcc_lo, v39, s24
	v_add_co_ci_u32_e32 v40, vcc_lo, 0, v40, vcc_lo
	v_cmp_ge_i64_e64 s0, s[22:23], s[16:17]
	v_cmp_lt_u64_e64 s1, 0xffff, s[22:23]
	v_add_co_u32 v41, vcc_lo, v41, s24
	v_add_co_ci_u32_e32 v42, vcc_lo, 0, v42, vcc_lo
	v_add_co_u32 v43, vcc_lo, v43, s24
	v_add_co_ci_u32_e32 v44, vcc_lo, 0, v44, vcc_lo
	s_or_b32 s0, s0, s1
	s_add_u32 s22, s22, s18
	s_addc_u32 s23, s23, 0
	s_and_b32 vcc_lo, exec_lo, s0
	s_cbranch_vccnz .LBB121_25
.LBB121_9:                              ; =>This Inner Loop Header: Depth=1
	v_cmp_gt_u64_e32 vcc_lo, s[20:21], v[21:22]
	s_waitcnt vmcnt(0)
	v_dual_mov_b32 v1, 0 :: v_dual_mov_b32 v0, 0
	s_and_saveexec_b32 s1, vcc_lo
	s_cbranch_execz .LBB121_11
; %bb.10:                               ;   in Loop: Header=BB121_9 Depth=1
	v_add_co_u32 v0, s0, v29, s14
	s_delay_alu instid0(VALU_DEP_1)
	v_add_co_ci_u32_e64 v1, s0, s15, v30, s0
	global_load_b64 v[0:1], v[0:1], off offset:-4
.LBB121_11:                             ;   in Loop: Header=BB121_9 Depth=1
	s_or_b32 exec_lo, exec_lo, s1
	v_add_co_u32 v2, s0, s26, v21
	s_delay_alu instid0(VALU_DEP_1) | instskip(SKIP_2) | instid1(VALU_DEP_3)
	v_add_co_ci_u32_e64 v3, s0, 0, v22, s0
	v_dual_mov_b32 v24, 0 :: v_dual_mov_b32 v25, 0
	v_mov_b32_e32 v26, 0
	v_cmp_gt_u64_e64 s11, s[20:21], v[2:3]
	s_delay_alu instid0(VALU_DEP_1)
	s_and_saveexec_b32 s1, s11
	s_cbranch_execz .LBB121_13
; %bb.12:                               ;   in Loop: Header=BB121_9 Depth=1
	v_add_co_u32 v2, s0, v37, s14
	s_delay_alu instid0(VALU_DEP_1)
	v_add_co_ci_u32_e64 v3, s0, s15, v38, s0
	global_load_b64 v[25:26], v[2:3], off
.LBB121_13:                             ;   in Loop: Header=BB121_9 Depth=1
	s_or_b32 exec_lo, exec_lo, s1
	v_add_co_u32 v2, s0, s27, v21
	s_delay_alu instid0(VALU_DEP_1) | instskip(SKIP_1) | instid1(VALU_DEP_2)
	v_add_co_ci_u32_e64 v3, s0, 0, v22, s0
	v_mov_b32_e32 v23, 0
	v_cmp_gt_u64_e64 s12, s[20:21], v[2:3]
	s_delay_alu instid0(VALU_DEP_1)
	s_and_saveexec_b32 s1, s12
	s_cbranch_execz .LBB121_15
; %bb.14:                               ;   in Loop: Header=BB121_9 Depth=1
	v_add_co_u32 v2, s0, v41, s14
	s_delay_alu instid0(VALU_DEP_1)
	v_add_co_ci_u32_e64 v3, s0, s15, v42, s0
	global_load_b64 v[23:24], v[2:3], off offset:-4
.LBB121_15:                             ;   in Loop: Header=BB121_9 Depth=1
	s_or_b32 exec_lo, exec_lo, s1
	v_add_co_u32 v2, s0, s28, v21
	s_delay_alu instid0(VALU_DEP_1) | instskip(SKIP_1) | instid1(VALU_DEP_2)
	v_add_co_ci_u32_e64 v3, s0, 0, v22, s0
	v_dual_mov_b32 v28, 0 :: v_dual_mov_b32 v27, 0
	v_cmp_gt_u64_e64 s13, s[20:21], v[2:3]
	s_delay_alu instid0(VALU_DEP_1)
	s_and_saveexec_b32 s1, s13
	s_cbranch_execnz .LBB121_20
; %bb.16:                               ;   in Loop: Header=BB121_9 Depth=1
	s_or_b32 exec_lo, exec_lo, s1
	s_and_saveexec_b32 s19, vcc_lo
	s_cbranch_execnz .LBB121_21
.LBB121_17:                             ;   in Loop: Header=BB121_9 Depth=1
	s_or_b32 exec_lo, exec_lo, s19
	s_and_saveexec_b32 s19, s11
	s_cbranch_execnz .LBB121_22
.LBB121_18:                             ;   in Loop: Header=BB121_9 Depth=1
	s_or_b32 exec_lo, exec_lo, s19
	s_and_saveexec_b32 s11, s12
	s_cbranch_execnz .LBB121_23
.LBB121_19:                             ;   in Loop: Header=BB121_9 Depth=1
	s_or_b32 exec_lo, exec_lo, s11
	s_and_saveexec_b32 s11, s13
	s_cbranch_execz .LBB121_8
	s_branch .LBB121_24
.LBB121_20:                             ;   in Loop: Header=BB121_9 Depth=1
	v_add_co_u32 v2, s0, v35, s14
	s_delay_alu instid0(VALU_DEP_1)
	v_add_co_ci_u32_e64 v3, s0, s15, v36, s0
	global_load_b64 v[27:28], v[2:3], off offset:-4
	s_or_b32 exec_lo, exec_lo, s1
	s_and_saveexec_b32 s19, vcc_lo
	s_cbranch_execz .LBB121_17
.LBB121_21:                             ;   in Loop: Header=BB121_9 Depth=1
	s_getpc_b64 s[0:1]
	s_add_u32 s0, s0, _ZN6thrust23THRUST_200600_302600_NS6detail7complex6csinhfERKNS0_7complexIfEE@rel32@lo+4
	s_addc_u32 s1, s1, _ZN6thrust23THRUST_200600_302600_NS6detail7complex6csinhfERKNS0_7complexIfEE@rel32@hi+12
	s_delay_alu instid0(SALU_CYCLE_1)
	s_swappc_b64 s[30:31], s[0:1]
	v_add_co_u32 v2, vcc_lo, v31, s14
	v_add_co_ci_u32_e32 v3, vcc_lo, s15, v32, vcc_lo
	global_store_b64 v[2:3], v[0:1], off offset:-4
	s_or_b32 exec_lo, exec_lo, s19
	s_and_saveexec_b32 s19, s11
	s_cbranch_execz .LBB121_18
.LBB121_22:                             ;   in Loop: Header=BB121_9 Depth=1
	s_waitcnt vmcnt(0)
	v_dual_mov_b32 v0, v25 :: v_dual_mov_b32 v1, v26
	s_getpc_b64 s[0:1]
	s_add_u32 s0, s0, _ZN6thrust23THRUST_200600_302600_NS6detail7complex6csinhfERKNS0_7complexIfEE@rel32@lo+4
	s_addc_u32 s1, s1, _ZN6thrust23THRUST_200600_302600_NS6detail7complex6csinhfERKNS0_7complexIfEE@rel32@hi+12
	s_delay_alu instid0(SALU_CYCLE_1)
	s_swappc_b64 s[30:31], s[0:1]
	v_add_co_u32 v2, vcc_lo, v33, s14
	v_add_co_ci_u32_e32 v3, vcc_lo, s15, v34, vcc_lo
	global_store_b64 v[2:3], v[0:1], off
	s_or_b32 exec_lo, exec_lo, s19
	s_and_saveexec_b32 s11, s12
	s_cbranch_execz .LBB121_19
.LBB121_23:                             ;   in Loop: Header=BB121_9 Depth=1
	s_waitcnt vmcnt(0)
	v_dual_mov_b32 v0, v23 :: v_dual_mov_b32 v1, v24
	s_getpc_b64 s[0:1]
	s_add_u32 s0, s0, _ZN6thrust23THRUST_200600_302600_NS6detail7complex6csinhfERKNS0_7complexIfEE@rel32@lo+4
	s_addc_u32 s1, s1, _ZN6thrust23THRUST_200600_302600_NS6detail7complex6csinhfERKNS0_7complexIfEE@rel32@hi+12
	s_delay_alu instid0(SALU_CYCLE_1)
	s_swappc_b64 s[30:31], s[0:1]
	v_add_co_u32 v2, vcc_lo, v43, s14
	v_add_co_ci_u32_e32 v3, vcc_lo, s15, v44, vcc_lo
	global_store_b64 v[2:3], v[0:1], off offset:-4
	s_or_b32 exec_lo, exec_lo, s11
	s_and_saveexec_b32 s11, s13
	s_cbranch_execz .LBB121_8
.LBB121_24:                             ;   in Loop: Header=BB121_9 Depth=1
	s_waitcnt vmcnt(0)
	v_dual_mov_b32 v0, v27 :: v_dual_mov_b32 v1, v28
	s_getpc_b64 s[0:1]
	s_add_u32 s0, s0, _ZN6thrust23THRUST_200600_302600_NS6detail7complex6csinhfERKNS0_7complexIfEE@rel32@lo+4
	s_addc_u32 s1, s1, _ZN6thrust23THRUST_200600_302600_NS6detail7complex6csinhfERKNS0_7complexIfEE@rel32@hi+12
	s_delay_alu instid0(SALU_CYCLE_1)
	s_swappc_b64 s[30:31], s[0:1]
	v_add_co_u32 v2, vcc_lo, v39, s14
	v_add_co_ci_u32_e32 v3, vcc_lo, s15, v40, vcc_lo
	global_store_b64 v[2:3], v[0:1], off offset:-4
	s_branch .LBB121_8
.LBB121_25:
	s_endpgm
	.section	.rodata,"a",@progbits
	.p2align	6, 0x0
	.amdhsa_kernel _ZN2at6native12_GLOBAL__N_125multi_tensor_apply_kernelINS1_18TensorListMetadataILi2EEENS1_14UnaryOpFunctorIN3c107complexIfEELi2ELi1ELi1EEEJNS0_4SinhIS8_EEEEEvT_T0_DpT1_
		.amdhsa_group_segment_fixed_size 0
		.amdhsa_private_segment_fixed_size 0
		.amdhsa_kernarg_size 3408
		.amdhsa_user_sgpr_count 15
		.amdhsa_user_sgpr_dispatch_ptr 0
		.amdhsa_user_sgpr_queue_ptr 0
		.amdhsa_user_sgpr_kernarg_segment_ptr 1
		.amdhsa_user_sgpr_dispatch_id 0
		.amdhsa_user_sgpr_private_segment_size 0
		.amdhsa_wavefront_size32 1
		.amdhsa_uses_dynamic_stack 0
		.amdhsa_enable_private_segment 0
		.amdhsa_system_sgpr_workgroup_id_x 1
		.amdhsa_system_sgpr_workgroup_id_y 0
		.amdhsa_system_sgpr_workgroup_id_z 0
		.amdhsa_system_sgpr_workgroup_info 0
		.amdhsa_system_vgpr_workitem_id 0
		.amdhsa_next_free_vgpr 45
		.amdhsa_next_free_sgpr 36
		.amdhsa_reserve_vcc 1
		.amdhsa_float_round_mode_32 0
		.amdhsa_float_round_mode_16_64 0
		.amdhsa_float_denorm_mode_32 3
		.amdhsa_float_denorm_mode_16_64 3
		.amdhsa_dx10_clamp 1
		.amdhsa_ieee_mode 1
		.amdhsa_fp16_overflow 0
		.amdhsa_workgroup_processor_mode 1
		.amdhsa_memory_ordered 1
		.amdhsa_forward_progress 0
		.amdhsa_shared_vgpr_count 0
		.amdhsa_exception_fp_ieee_invalid_op 0
		.amdhsa_exception_fp_denorm_src 0
		.amdhsa_exception_fp_ieee_div_zero 0
		.amdhsa_exception_fp_ieee_overflow 0
		.amdhsa_exception_fp_ieee_underflow 0
		.amdhsa_exception_fp_ieee_inexact 0
		.amdhsa_exception_int_div_zero 0
	.end_amdhsa_kernel
	.section	.text._ZN2at6native12_GLOBAL__N_125multi_tensor_apply_kernelINS1_18TensorListMetadataILi2EEENS1_14UnaryOpFunctorIN3c107complexIfEELi2ELi1ELi1EEEJNS0_4SinhIS8_EEEEEvT_T0_DpT1_,"axG",@progbits,_ZN2at6native12_GLOBAL__N_125multi_tensor_apply_kernelINS1_18TensorListMetadataILi2EEENS1_14UnaryOpFunctorIN3c107complexIfEELi2ELi1ELi1EEEJNS0_4SinhIS8_EEEEEvT_T0_DpT1_,comdat
.Lfunc_end121:
	.size	_ZN2at6native12_GLOBAL__N_125multi_tensor_apply_kernelINS1_18TensorListMetadataILi2EEENS1_14UnaryOpFunctorIN3c107complexIfEELi2ELi1ELi1EEEJNS0_4SinhIS8_EEEEEvT_T0_DpT1_, .Lfunc_end121-_ZN2at6native12_GLOBAL__N_125multi_tensor_apply_kernelINS1_18TensorListMetadataILi2EEENS1_14UnaryOpFunctorIN3c107complexIfEELi2ELi1ELi1EEEJNS0_4SinhIS8_EEEEEvT_T0_DpT1_
                                        ; -- End function
	.section	.AMDGPU.csdata,"",@progbits
; Kernel info:
; codeLenInByte = 1608
; NumSgprs: 38
; NumVgprs: 45
; ScratchSize: 0
; MemoryBound: 0
; FloatMode: 240
; IeeeMode: 1
; LDSByteSize: 0 bytes/workgroup (compile time only)
; SGPRBlocks: 4
; VGPRBlocks: 5
; NumSGPRsForWavesPerEU: 38
; NumVGPRsForWavesPerEU: 45
; Occupancy: 16
; WaveLimiterHint : 0
; COMPUTE_PGM_RSRC2:SCRATCH_EN: 0
; COMPUTE_PGM_RSRC2:USER_SGPR: 15
; COMPUTE_PGM_RSRC2:TRAP_HANDLER: 0
; COMPUTE_PGM_RSRC2:TGID_X_EN: 1
; COMPUTE_PGM_RSRC2:TGID_Y_EN: 0
; COMPUTE_PGM_RSRC2:TGID_Z_EN: 0
; COMPUTE_PGM_RSRC2:TIDIG_COMP_CNT: 0
	.section	.text._ZN2at6native12_GLOBAL__N_125multi_tensor_apply_kernelINS1_18TensorListMetadataILi2EEENS1_14UnaryOpFunctorIN3c104HalfELi2ELi1ELi1EEEJNS0_4SinhIfEEEEEvT_T0_DpT1_,"axG",@progbits,_ZN2at6native12_GLOBAL__N_125multi_tensor_apply_kernelINS1_18TensorListMetadataILi2EEENS1_14UnaryOpFunctorIN3c104HalfELi2ELi1ELi1EEEJNS0_4SinhIfEEEEEvT_T0_DpT1_,comdat
	.globl	_ZN2at6native12_GLOBAL__N_125multi_tensor_apply_kernelINS1_18TensorListMetadataILi2EEENS1_14UnaryOpFunctorIN3c104HalfELi2ELi1ELi1EEEJNS0_4SinhIfEEEEEvT_T0_DpT1_ ; -- Begin function _ZN2at6native12_GLOBAL__N_125multi_tensor_apply_kernelINS1_18TensorListMetadataILi2EEENS1_14UnaryOpFunctorIN3c104HalfELi2ELi1ELi1EEEJNS0_4SinhIfEEEEEvT_T0_DpT1_
	.p2align	8
	.type	_ZN2at6native12_GLOBAL__N_125multi_tensor_apply_kernelINS1_18TensorListMetadataILi2EEENS1_14UnaryOpFunctorIN3c104HalfELi2ELi1ELi1EEEJNS0_4SinhIfEEEEEvT_T0_DpT1_,@function
_ZN2at6native12_GLOBAL__N_125multi_tensor_apply_kernelINS1_18TensorListMetadataILi2EEENS1_14UnaryOpFunctorIN3c104HalfELi2ELi1ELi1EEEJNS0_4SinhIfEEEEEvT_T0_DpT1_: ; @_ZN2at6native12_GLOBAL__N_125multi_tensor_apply_kernelINS1_18TensorListMetadataILi2EEENS1_14UnaryOpFunctorIN3c104HalfELi2ELi1ELi1EEEJNS0_4SinhIfEEEEEvT_T0_DpT1_
; %bb.0:
	v_mov_b32_e32 v1, s15
	s_add_u32 s2, s0, s15
	s_mul_hi_u32 s3, s15, 3
	s_mul_i32 s15, s15, 3
	s_addc_u32 s4, s1, 0
	global_load_u8 v1, v1, s[0:1] offset:1536
	s_add_u32 s2, s2, s15
	s_addc_u32 s3, s4, s3
	s_mov_b32 s19, 0
	s_load_b32 s2, s[2:3], 0x740
	s_mov_b32 s21, s19
	s_mov_b32 s23, s19
	s_waitcnt vmcnt(0)
	v_readfirstlane_b32 s5, v1
	s_delay_alu instid0(VALU_DEP_1)
	s_lshl_b32 s3, s5, 3
	s_clause 0x2
	s_load_b64 s[10:11], s[0:1], s3 offset:0x0
	s_load_b64 s[12:13], s[0:1], s3 offset:0x200
	;; [unrolled: 1-line block ×3, first 2 shown]
	s_waitcnt lgkmcnt(0)
	s_ashr_i32 s3, s2, 31
	s_delay_alu instid0(SALU_CYCLE_1) | instskip(NEXT) | instid1(SALU_CYCLE_1)
	s_lshl_b64 s[6:7], s[2:3], 17
	s_add_u32 s5, s10, s6
	s_addc_u32 s14, s11, s7
	s_and_b32 s18, s5, 7
	s_add_u32 s15, s12, s6
	s_addc_u32 s16, s13, s7
	s_and_b32 s20, s8, 3
	s_and_b32 s22, s15, 7
	s_or_b64 s[18:19], s[18:19], s[20:21]
	s_lshl_b64 s[2:3], s[2:3], 16
	s_or_b64 s[18:19], s[22:23], s[18:19]
	s_sub_u32 s8, s8, s2
	s_subb_u32 s9, s9, s3
	s_cmp_eq_u64 s[18:19], 0
	s_mov_b32 s2, -1
	s_cbranch_scc0 .LBB122_5
; %bb.1:
	v_dual_mov_b32 v2, 0 :: v_dual_lshlrev_b32 v1, 2, v0
	s_mov_b32 s17, exec_lo
	s_delay_alu instid0(VALU_DEP_1)
	v_cmpx_gt_i64_e64 s[8:9], v[1:2]
	s_cbranch_execz .LBB122_4
; %bb.2:
	s_load_b32 s2, s[0:1], 0xc5c
	v_lshlrev_b32_e32 v5, 3, v0
	s_mov_b32 s18, 0
	s_mov_b32 s21, 0x3ab42872
	s_waitcnt lgkmcnt(0)
	s_and_b32 s2, s2, 0xffff
	s_delay_alu instid0(SALU_CYCLE_1)
	v_add_lshl_u32 v1, v0, s2, 2
	s_lshl_b32 s19, s2, 2
	s_lshl_b32 s20, s2, 3
.LBB122_3:                              ; =>This Inner Loop Header: Depth=1
	v_add_co_u32 v3, s2, s5, v5
	s_delay_alu instid0(VALU_DEP_1) | instskip(SKIP_1) | instid1(VALU_DEP_1)
	v_add_co_ci_u32_e64 v4, null, s14, 0, s2
	v_add_co_u32 v6, s2, s15, v5
	v_add_co_ci_u32_e64 v7, null, s16, 0, s2
	global_load_b64 v[3:4], v[3:4], off
	v_cmp_le_i64_e32 vcc_lo, s[8:9], v[1:2]
	v_cmp_lt_u64_e64 s2, 0xffff, v[1:2]
	v_add_co_u32 v1, s3, v1, s19
	s_delay_alu instid0(VALU_DEP_1) | instskip(NEXT) | instid1(VALU_DEP_3)
	v_add_co_ci_u32_e64 v2, s3, 0, v2, s3
	s_or_b32 s2, vcc_lo, s2
	s_add_u32 s5, s5, s20
	s_addc_u32 s14, s14, 0
	s_add_u32 s15, s15, s20
	s_addc_u32 s16, s16, 0
	s_and_b32 s2, exec_lo, s2
	s_delay_alu instid0(SALU_CYCLE_1)
	s_or_b32 s18, s2, s18
	s_waitcnt vmcnt(0)
	v_cvt_f32_f16_e32 v10, v4
	v_lshrrev_b32_e32 v11, 16, v4
	v_cvt_f32_f16_e32 v8, v3
	v_lshrrev_b32_e32 v9, 16, v3
	s_delay_alu instid0(VALU_DEP_4) | instskip(NEXT) | instid1(VALU_DEP_4)
	v_add_f32_e64 v14, 0xbf317218, |v10|
	v_cvt_f32_f16_e32 v15, v11
	s_delay_alu instid0(VALU_DEP_4) | instskip(NEXT) | instid1(VALU_DEP_4)
	v_add_f32_e64 v12, 0xbf317218, |v8|
	v_cvt_f32_f16_e32 v13, v9
	v_cmp_nlt_f32_e64 s3, 0x42b2d4fc, |v10|
	v_sub_f32_e64 v18, v14, |v10|
	v_add_f32_e64 v19, 0xbf317218, |v15|
	v_sub_f32_e64 v16, v12, |v8|
	v_add_f32_e64 v17, 0xbf317218, |v13|
	v_cmp_nlt_f32_e64 s4, 0x42b2d4fc, |v8|
	v_cmp_gt_f32_e64 s23, 0x39800000, |v8|
	v_sub_f32_e64 v23, v19, |v15|
	v_sub_f32_e32 v22, v18, v14
	v_sub_f32_e64 v21, v17, |v13|
	v_sub_f32_e32 v20, v16, v12
	s_delay_alu instid0(VALU_DEP_4) | instskip(SKIP_3) | instid1(VALU_DEP_2)
	v_dual_add_f32 v16, 0x3f317218, v16 :: v_dual_sub_f32 v25, v23, v19
	v_dual_add_f32 v23, 0x3f317218, v23 :: v_dual_add_f32 v18, 0x3f317218, v18
	v_add_f32_e64 v22, |v10|, v22
	v_cmp_gt_f32_e64 s22, 0x39800000, |v10|
	v_sub_f32_e32 v18, v22, v18
	v_add_f32_e64 v22, |v15|, v25
	s_delay_alu instid0(VALU_DEP_2) | instskip(SKIP_3) | instid1(VALU_DEP_1)
	v_add_f32_e32 v18, 0x3102e308, v18
	v_sub_f32_e32 v24, v21, v17
	v_add_f32_e32 v21, 0x3f317218, v21
	v_add_f32_e64 v20, |v8|, v20
	v_sub_f32_e32 v16, v20, v16
	s_delay_alu instid0(VALU_DEP_4) | instskip(NEXT) | instid1(VALU_DEP_1)
	v_add_f32_e64 v20, |v13|, v24
	v_dual_sub_f32 v20, v20, v21 :: v_dual_sub_f32 v21, v22, v23
	s_delay_alu instid0(VALU_DEP_1) | instskip(NEXT) | instid1(VALU_DEP_1)
	v_dual_add_f32 v21, 0x3102e308, v21 :: v_dual_add_f32 v16, 0x3102e308, v16
	v_add_f32_e32 v27, v19, v21
	s_delay_alu instid0(VALU_DEP_1) | instskip(NEXT) | instid1(VALU_DEP_1)
	v_dual_sub_f32 v19, v19, v27 :: v_dual_add_f32 v20, 0x3102e308, v20
	v_add_f32_e32 v19, v21, v19
	s_delay_alu instid0(VALU_DEP_2) | instskip(NEXT) | instid1(VALU_DEP_1)
	v_add_f32_e32 v25, v17, v20
	v_sub_f32_e32 v17, v17, v25
	v_add_f32_e32 v23, v14, v18
	s_delay_alu instid0(VALU_DEP_1) | instskip(SKIP_1) | instid1(VALU_DEP_2)
	v_dual_add_f32 v17, v20, v17 :: v_dual_sub_f32 v14, v14, v23
	v_mul_f32_e32 v26, 0x3fb8aa3b, v23
	v_add_f32_e32 v14, v18, v14
	s_delay_alu instid0(VALU_DEP_2) | instskip(NEXT) | instid1(VALU_DEP_1)
	v_rndne_f32_e32 v18, v26
	v_dual_add_f32 v22, v12, v16 :: v_dual_fmac_f32 v23, 0xbf317200, v18
	s_delay_alu instid0(VALU_DEP_1) | instskip(SKIP_2) | instid1(VALU_DEP_3)
	v_sub_f32_e32 v12, v12, v22
	v_mul_f32_e32 v24, 0x3fb8aa3b, v22
	v_mul_f32_e32 v26, 0x3fb8aa3b, v27
	v_add_f32_e32 v12, v16, v12
	s_delay_alu instid0(VALU_DEP_3) | instskip(NEXT) | instid1(VALU_DEP_3)
	v_rndne_f32_e32 v16, v24
	v_rndne_f32_e32 v21, v26
	v_mul_f32_e32 v30, 0x2ea39ef3, v18
	s_delay_alu instid0(VALU_DEP_2) | instskip(SKIP_3) | instid1(VALU_DEP_4)
	v_dual_fmac_f32 v22, 0xbf317200, v16 :: v_dual_fmac_f32 v27, 0xbf317200, v21
	v_mul_f32_e32 v24, 0x3fb8aa3b, v25
	v_mul_f32_e32 v35, 0x2ea39ef3, v21
	;; [unrolled: 1-line block ×3, first 2 shown]
	v_add_f32_e32 v39, v19, v27
	s_delay_alu instid0(VALU_DEP_4) | instskip(SKIP_2) | instid1(VALU_DEP_4)
	v_rndne_f32_e32 v20, v24
	v_mul_f32_e32 v24, 0x35bfbc00, v18
	v_cvt_i32_f32_e32 v18, v18
	v_sub_f32_e32 v27, v27, v39
	s_delay_alu instid0(VALU_DEP_4) | instskip(SKIP_2) | instid1(VALU_DEP_4)
	v_fmac_f32_e32 v25, 0xbf317200, v20
	v_mul_f32_e32 v31, 0x35bfbc00, v20
	v_add_f32_e32 v33, v14, v23
	v_add_f32_e32 v19, v19, v27
	s_delay_alu instid0(VALU_DEP_4) | instskip(NEXT) | instid1(VALU_DEP_3)
	v_dual_add_f32 v37, v17, v25 :: v_dual_mul_f32 v28, 0x35bfbc00, v16
	v_dual_sub_f32 v23, v23, v33 :: v_dual_sub_f32 v38, v33, v24
	s_delay_alu instid0(VALU_DEP_2) | instskip(SKIP_3) | instid1(VALU_DEP_3)
	v_dual_mul_f32 v32, 0x2ea39ef3, v20 :: v_dual_sub_f32 v25, v25, v37
	v_add_f32_e32 v26, v12, v22
	v_cvt_i32_f32_e32 v20, v20
	v_cvt_i32_f32_e32 v16, v16
	v_dual_add_f32 v17, v17, v25 :: v_dual_sub_f32 v36, v26, v28
	v_dual_add_f32 v14, v14, v23 :: v_dual_sub_f32 v23, v33, v38
	s_delay_alu instid0(VALU_DEP_1) | instskip(NEXT) | instid1(VALU_DEP_1)
	v_dual_sub_f32 v22, v22, v26 :: v_dual_sub_f32 v23, v23, v24
	v_add_f32_e32 v12, v12, v22
	s_delay_alu instid0(VALU_DEP_4) | instskip(SKIP_4) | instid1(VALU_DEP_4)
	v_sub_f32_e32 v22, v26, v36
	v_sub_f32_e32 v26, v37, v31
	v_mul_f32_e32 v34, 0x35bfbc00, v21
	v_add_f32_e32 v14, v14, v23
	v_cvt_i32_f32_e32 v21, v21
	v_sub_f32_e32 v25, v37, v26
	s_delay_alu instid0(VALU_DEP_4) | instskip(NEXT) | instid1(VALU_DEP_1)
	v_sub_f32_e32 v33, v39, v34
	v_sub_f32_e32 v24, v39, v33
	s_delay_alu instid0(VALU_DEP_1) | instskip(NEXT) | instid1(VALU_DEP_1)
	v_dual_sub_f32 v23, v24, v34 :: v_dual_sub_f32 v22, v22, v28
	v_dual_add_f32 v19, v19, v23 :: v_dual_add_f32 v12, v12, v22
	s_delay_alu instid0(VALU_DEP_1) | instskip(NEXT) | instid1(VALU_DEP_2)
	v_add_f32_e32 v34, v33, v19
	v_add_f32_e32 v24, v36, v12
	s_delay_alu instid0(VALU_DEP_1) | instskip(NEXT) | instid1(VALU_DEP_1)
	v_dual_sub_f32 v22, v25, v31 :: v_dual_sub_f32 v23, v36, v24
	v_add_f32_e32 v17, v17, v22
	v_sub_f32_e32 v25, v24, v29
	s_delay_alu instid0(VALU_DEP_2) | instskip(NEXT) | instid1(VALU_DEP_1)
	v_dual_add_f32 v27, v26, v17 :: v_dual_add_f32 v12, v12, v23
	v_dual_sub_f32 v23, v24, v25 :: v_dual_sub_f32 v24, v26, v27
	s_delay_alu instid0(VALU_DEP_1) | instskip(NEXT) | instid1(VALU_DEP_2)
	v_dual_sub_f32 v23, v23, v29 :: v_dual_add_f32 v22, v38, v14
	v_add_f32_e32 v17, v17, v24
	v_sub_f32_e32 v26, v27, v32
	s_delay_alu instid0(VALU_DEP_3) | instskip(NEXT) | instid1(VALU_DEP_2)
	v_dual_add_f32 v12, v12, v23 :: v_dual_sub_f32 v31, v22, v30
	v_sub_f32_e32 v24, v27, v26
	s_delay_alu instid0(VALU_DEP_1) | instskip(NEXT) | instid1(VALU_DEP_1)
	v_dual_sub_f32 v28, v38, v22 :: v_dual_sub_f32 v23, v24, v32
	v_add_f32_e32 v14, v14, v28
	s_delay_alu instid0(VALU_DEP_4) | instskip(SKIP_3) | instid1(VALU_DEP_4)
	v_add_f32_e32 v24, v25, v12
	v_sub_f32_e32 v28, v33, v34
	v_sub_f32_e32 v22, v22, v31
	v_add_f32_e32 v17, v17, v23
	v_sub_f32_e32 v25, v25, v24
	s_delay_alu instid0(VALU_DEP_4) | instskip(SKIP_3) | instid1(VALU_DEP_3)
	v_add_f32_e32 v19, v19, v28
	v_sub_f32_e32 v33, v34, v35
	v_sub_f32_e32 v22, v22, v30
	v_add_f32_e32 v28, v26, v17
	v_sub_f32_e32 v27, v34, v33
	s_delay_alu instid0(VALU_DEP_3) | instskip(NEXT) | instid1(VALU_DEP_2)
	v_add_f32_e32 v14, v14, v22
	v_sub_f32_e32 v22, v27, v35
	s_delay_alu instid0(VALU_DEP_1) | instskip(NEXT) | instid1(VALU_DEP_1)
	v_add_f32_e32 v19, v19, v22
	v_add_f32_e32 v32, v33, v19
	s_delay_alu instid0(VALU_DEP_1) | instskip(NEXT) | instid1(VALU_DEP_1)
	v_sub_f32_e32 v33, v33, v32
	v_add_f32_e32 v19, v19, v33
	v_mul_f32_e32 v37, v32, v32
	v_mul_f32_e32 v35, v28, v28
	v_add_f32_e32 v23, v31, v14
	s_delay_alu instid0(VALU_DEP_3) | instskip(NEXT) | instid1(VALU_DEP_2)
	v_fma_f32 v33, v32, v32, -v37
	v_fmaak_f32 v29, s21, v23, 0x3c091de6
	v_sub_f32_e32 v30, v31, v23
	v_mul_f32_e32 v31, v23, v23
	s_delay_alu instid0(VALU_DEP_2) | instskip(NEXT) | instid1(VALU_DEP_2)
	v_dual_fmaak_f32 v29, v23, v29, 0x3d2aadcc :: v_dual_add_f32 v14, v14, v30
	v_fma_f32 v30, v23, v23, -v31
	s_delay_alu instid0(VALU_DEP_2) | instskip(NEXT) | instid1(VALU_DEP_3)
	v_dual_fmaak_f32 v29, v23, v29, 0x3e2aaa47 :: v_dual_sub_f32 v26, v26, v28
	v_add_f32_e32 v39, v14, v14
	v_mul_f32_e32 v27, v24, v24
	s_delay_alu instid0(VALU_DEP_3) | instskip(NEXT) | instid1(VALU_DEP_4)
	v_fmaak_f32 v29, v23, v29, 0x3efffffc
	v_dual_fmaak_f32 v22, s21, v24, 0x3c091de6 :: v_dual_add_f32 v17, v17, v26
	s_delay_alu instid0(VALU_DEP_4) | instskip(SKIP_2) | instid1(VALU_DEP_4)
	v_fmac_f32_e32 v30, v23, v39
	v_add_f32_e32 v39, v19, v19
	v_fma_f32 v26, v28, v28, -v35
	v_fmaak_f32 v22, v24, v22, 0x3d2aadcc
	s_delay_alu instid0(VALU_DEP_3) | instskip(NEXT) | instid1(VALU_DEP_1)
	v_fmac_f32_e32 v33, v32, v39
	v_dual_fmaak_f32 v22, v24, v22, 0x3e2aaa47 :: v_dual_add_f32 v43, v37, v33
	s_delay_alu instid0(VALU_DEP_1) | instskip(SKIP_2) | instid1(VALU_DEP_2)
	v_fmaak_f32 v22, v24, v22, 0x3efffffc
	v_add_f32_e32 v12, v12, v25
	v_fma_f32 v25, v24, v24, -v27
	v_dual_sub_f32 v37, v43, v37 :: v_dual_add_f32 v38, v12, v12
	s_delay_alu instid0(VALU_DEP_1) | instskip(NEXT) | instid1(VALU_DEP_1)
	v_dual_fmaak_f32 v34, s21, v28, 0x3c091de6 :: v_dual_fmac_f32 v25, v24, v38
	v_fmaak_f32 v34, v28, v34, 0x3d2aadcc
	s_delay_alu instid0(VALU_DEP_2) | instskip(NEXT) | instid1(VALU_DEP_2)
	v_add_f32_e32 v40, v27, v25
	v_fmaak_f32 v34, v28, v34, 0x3e2aaa47
	s_delay_alu instid0(VALU_DEP_2) | instskip(NEXT) | instid1(VALU_DEP_2)
	v_dual_fmaak_f32 v36, s21, v32, 0x3c091de6 :: v_dual_sub_f32 v27, v40, v27
	v_fmaak_f32 v34, v28, v34, 0x3efffffc
	v_add_f32_e32 v38, v17, v17
	s_delay_alu instid0(VALU_DEP_3) | instskip(NEXT) | instid1(VALU_DEP_2)
	v_dual_fmaak_f32 v36, v32, v36, 0x3d2aadcc :: v_dual_sub_f32 v25, v25, v27
	v_fmac_f32_e32 v26, v28, v38
	s_delay_alu instid0(VALU_DEP_1) | instskip(NEXT) | instid1(VALU_DEP_1)
	v_add_f32_e32 v41, v35, v26
	v_sub_f32_e32 v35, v41, v35
	v_mul_f32_e32 v39, v22, v40
	s_delay_alu instid0(VALU_DEP_1) | instskip(NEXT) | instid1(VALU_DEP_1)
	v_fma_f32 v27, v40, v22, -v39
	v_fmac_f32_e32 v27, v25, v22
	v_add_f32_e32 v38, v31, v30
	s_delay_alu instid0(VALU_DEP_1) | instskip(NEXT) | instid1(VALU_DEP_1)
	v_dual_sub_f32 v31, v38, v31 :: v_dual_mul_f32 v42, v29, v38
	v_sub_f32_e32 v30, v30, v31
	s_delay_alu instid0(VALU_DEP_2) | instskip(NEXT) | instid1(VALU_DEP_1)
	v_fma_f32 v31, v38, v29, -v42
	v_dual_fmaak_f32 v36, v32, v36, 0x3e2aaa47 :: v_dual_fmac_f32 v31, v30, v29
	s_delay_alu instid0(VALU_DEP_1) | instskip(SKIP_1) | instid1(VALU_DEP_2)
	v_fmaak_f32 v36, v32, v36, 0x3efffffc
	v_add_f32_e32 v30, v39, v27
	v_mul_f32_e32 v38, v36, v43
	v_sub_f32_e32 v22, v26, v35
	s_delay_alu instid0(VALU_DEP_3) | instskip(NEXT) | instid1(VALU_DEP_3)
	v_dual_sub_f32 v26, v33, v37 :: v_dual_add_f32 v33, v24, v30
	v_fma_f32 v29, v43, v36, -v38
	s_delay_alu instid0(VALU_DEP_2) | instskip(NEXT) | instid1(VALU_DEP_2)
	v_sub_f32_e32 v24, v33, v24
	v_fmac_f32_e32 v29, v26, v36
	v_sub_f32_e32 v26, v30, v39
	s_delay_alu instid0(VALU_DEP_3) | instskip(NEXT) | instid1(VALU_DEP_3)
	v_sub_f32_e32 v24, v30, v24
	v_add_f32_e32 v37, v38, v29
	v_mul_f32_e32 v40, v34, v41
	s_delay_alu instid0(VALU_DEP_4) | instskip(NEXT) | instid1(VALU_DEP_2)
	v_sub_f32_e32 v26, v27, v26
	v_fma_f32 v25, v41, v34, -v40
	s_delay_alu instid0(VALU_DEP_2) | instskip(NEXT) | instid1(VALU_DEP_1)
	v_add_f32_e32 v12, v12, v26
	v_dual_fmac_f32 v25, v22, v34 :: v_dual_add_f32 v12, v12, v24
	s_delay_alu instid0(VALU_DEP_1) | instskip(NEXT) | instid1(VALU_DEP_1)
	v_add_f32_e32 v34, v40, v25
	v_sub_f32_e32 v27, v34, v40
	s_delay_alu instid0(VALU_DEP_1) | instskip(SKIP_1) | instid1(VALU_DEP_1)
	v_sub_f32_e32 v25, v25, v27
	v_add_f32_e32 v39, v28, v34
	v_dual_add_f32 v17, v17, v25 :: v_dual_sub_f32 v26, v39, v28
	s_delay_alu instid0(VALU_DEP_1) | instskip(NEXT) | instid1(VALU_DEP_1)
	v_sub_f32_e32 v24, v34, v26
	v_dual_add_f32 v22, v42, v31 :: v_dual_add_f32 v17, v17, v24
	s_delay_alu instid0(VALU_DEP_1) | instskip(NEXT) | instid1(VALU_DEP_1)
	v_dual_sub_f32 v35, v22, v42 :: v_dual_add_f32 v26, v39, v17
	v_sub_f32_e32 v31, v31, v35
	v_sub_f32_e32 v35, v37, v38
	v_add_f32_e32 v36, v23, v22
	v_add_f32_e32 v38, v32, v37
	s_delay_alu instid0(VALU_DEP_4) | instskip(NEXT) | instid1(VALU_DEP_3)
	v_dual_add_f32 v14, v14, v31 :: v_dual_add_f32 v31, 1.0, v26
	v_sub_f32_e32 v23, v36, v23
	s_delay_alu instid0(VALU_DEP_3) | instskip(NEXT) | instid1(VALU_DEP_2)
	v_sub_f32_e32 v27, v38, v32
	v_sub_f32_e32 v22, v22, v23
	s_delay_alu instid0(VALU_DEP_1) | instskip(NEXT) | instid1(VALU_DEP_1)
	v_dual_sub_f32 v23, v29, v35 :: v_dual_add_f32 v14, v14, v22
	v_add_f32_e32 v19, v19, v23
	v_add_f32_e32 v23, v33, v12
	s_delay_alu instid0(VALU_DEP_1) | instskip(SKIP_1) | instid1(VALU_DEP_1)
	v_add_f32_e32 v25, 1.0, v23
	v_sub_f32_e32 v22, v37, v27
	v_add_f32_e32 v19, v19, v22
	s_delay_alu instid0(VALU_DEP_1) | instskip(SKIP_1) | instid1(VALU_DEP_2)
	v_dual_sub_f32 v22, v23, v33 :: v_dual_add_f32 v29, v38, v19
	v_add_f32_e32 v24, v36, v14
	v_sub_f32_e32 v12, v12, v22
	v_add_f32_e32 v22, -1.0, v25
	s_delay_alu instid0(VALU_DEP_3) | instskip(NEXT) | instid1(VALU_DEP_2)
	v_dual_sub_f32 v32, v29, v38 :: v_dual_sub_f32 v27, v24, v36
	v_dual_add_f32 v33, 1.0, v29 :: v_dual_sub_f32 v22, v23, v22
	v_add_f32_e32 v23, -1.0, v31
	s_delay_alu instid0(VALU_DEP_3) | instskip(SKIP_3) | instid1(VALU_DEP_3)
	v_sub_f32_e32 v19, v19, v32
	v_add_f32_e32 v28, 1.0, v24
	v_sub_f32_e32 v14, v14, v27
	v_add_f32_e32 v12, v12, v22
	v_dual_sub_f32 v22, v26, v23 :: v_dual_add_f32 v27, -1.0, v28
	s_delay_alu instid0(VALU_DEP_1) | instskip(NEXT) | instid1(VALU_DEP_1)
	v_dual_sub_f32 v24, v24, v27 :: v_dual_add_f32 v27, -1.0, v33
	v_dual_add_f32 v14, v14, v24 :: v_dual_sub_f32 v23, v29, v27
	s_delay_alu instid0(VALU_DEP_1) | instskip(NEXT) | instid1(VALU_DEP_1)
	v_dual_add_f32 v24, v25, v12 :: v_dual_add_f32 v19, v19, v23
	v_sub_f32_e32 v23, v24, v25
	v_ldexp_f32 v24, v24, v16
	s_delay_alu instid0(VALU_DEP_3) | instskip(NEXT) | instid1(VALU_DEP_1)
	v_add_f32_e32 v27, v33, v19
	v_dual_sub_f32 v30, v26, v39 :: v_dual_sub_f32 v29, v27, v33
	s_delay_alu instid0(VALU_DEP_1) | instskip(SKIP_1) | instid1(VALU_DEP_2)
	v_sub_f32_e32 v17, v17, v30
	v_ldexp_f32 v27, v27, v21
	v_add_f32_e32 v17, v17, v22
	s_delay_alu instid0(VALU_DEP_1) | instskip(NEXT) | instid1(VALU_DEP_1)
	v_dual_add_f32 v22, v28, v14 :: v_dual_add_f32 v25, v31, v17
	v_sub_f32_e32 v26, v22, v28
	v_ldexp_f32 v22, v22, v18
	s_delay_alu instid0(VALU_DEP_3) | instskip(NEXT) | instid1(VALU_DEP_3)
	v_sub_f32_e32 v28, v25, v31
	v_sub_f32_e32 v14, v14, v26
	v_ldexp_f32 v25, v25, v20
	s_delay_alu instid0(VALU_DEP_4) | instskip(NEXT) | instid1(VALU_DEP_2)
	v_rcp_f32_e32 v26, v22
	v_ldexp_f32 v14, v14, v18
	v_sub_f32_e32 v18, v19, v29
	v_rcp_f32_e32 v19, v27
	s_delay_alu instid0(VALU_DEP_1) | instskip(SKIP_2) | instid1(VALU_DEP_1)
	v_ldexp_f32 v18, v18, v21
	s_waitcnt_depctr 0xfff
	v_mul_f32_e32 v31, v27, v19
	v_fma_f32 v33, v19, v27, -v31
	s_delay_alu instid0(VALU_DEP_1) | instskip(NEXT) | instid1(VALU_DEP_1)
	v_fmac_f32_e32 v33, v19, v18
	v_dual_add_f32 v39, v31, v33 :: v_dual_sub_f32 v12, v12, v23
	v_rcp_f32_e32 v23, v24
	s_delay_alu instid0(VALU_DEP_1) | instskip(NEXT) | instid1(VALU_DEP_2)
	v_sub_f32_e32 v31, v39, v31
	v_ldexp_f32 v12, v12, v16
	v_sub_f32_e32 v16, v17, v28
	v_rcp_f32_e32 v17, v25
	s_delay_alu instid0(VALU_DEP_3) | instskip(NEXT) | instid1(VALU_DEP_2)
	v_sub_f32_e32 v31, v31, v33
	v_ldexp_f32 v16, v16, v20
	s_waitcnt_depctr 0xfff
	v_dual_mul_f32 v20, v22, v26 :: v_dual_mul_f32 v29, v25, v17
	s_delay_alu instid0(VALU_DEP_1) | instskip(NEXT) | instid1(VALU_DEP_2)
	v_fma_f32 v30, v26, v22, -v20
	v_fma_f32 v32, v17, v25, -v29
	s_delay_alu instid0(VALU_DEP_1) | instskip(NEXT) | instid1(VALU_DEP_1)
	v_fmac_f32_e32 v32, v17, v16
	v_add_f32_e32 v37, v29, v32
	s_delay_alu instid0(VALU_DEP_1) | instskip(NEXT) | instid1(VALU_DEP_1)
	v_sub_f32_e32 v29, v37, v29
	v_dual_sub_f32 v29, v29, v32 :: v_dual_mul_f32 v28, v24, v23
	s_delay_alu instid0(VALU_DEP_1) | instskip(NEXT) | instid1(VALU_DEP_1)
	v_fma_f32 v21, v23, v24, -v28
	v_fmac_f32_e32 v21, v23, v12
	s_delay_alu instid0(VALU_DEP_1) | instskip(NEXT) | instid1(VALU_DEP_1)
	v_add_f32_e32 v34, v28, v21
	v_sub_f32_e32 v36, 1.0, v34
	v_sub_f32_e32 v28, v34, v28
	s_delay_alu instid0(VALU_DEP_1) | instskip(SKIP_1) | instid1(VALU_DEP_2)
	v_dual_sub_f32 v40, 1.0, v36 :: v_dual_sub_f32 v21, v28, v21
	v_sub_f32_e32 v28, 1.0, v37
	v_sub_f32_e32 v34, v40, v34
	s_delay_alu instid0(VALU_DEP_1) | instskip(NEXT) | instid1(VALU_DEP_1)
	v_dual_sub_f32 v40, 1.0, v28 :: v_dual_add_f32 v21, v21, v34
	v_dual_fmac_f32 v30, v26, v14 :: v_dual_sub_f32 v33, v40, v37
	s_delay_alu instid0(VALU_DEP_1) | instskip(NEXT) | instid1(VALU_DEP_1)
	v_add_f32_e32 v35, v20, v30
	v_dual_add_f32 v29, v29, v33 :: v_dual_sub_f32 v38, 1.0, v35
	s_delay_alu instid0(VALU_DEP_1) | instskip(NEXT) | instid1(VALU_DEP_1)
	v_dual_sub_f32 v20, v35, v20 :: v_dual_sub_f32 v41, 1.0, v38
	v_sub_f32_e32 v20, v20, v30
	s_delay_alu instid0(VALU_DEP_2) | instskip(NEXT) | instid1(VALU_DEP_1)
	v_sub_f32_e32 v32, v41, v35
	v_add_f32_e32 v20, v20, v32
	s_delay_alu instid0(VALU_DEP_1) | instskip(NEXT) | instid1(VALU_DEP_1)
	v_add_f32_e32 v33, v38, v20
	v_mul_f32_e32 v37, v26, v33
	v_add_f32_e32 v34, v36, v21
	s_delay_alu instid0(VALU_DEP_2) | instskip(NEXT) | instid1(VALU_DEP_1)
	v_mul_f32_e32 v42, v22, v37
	v_fma_f32 v47, v37, v22, -v42
	s_delay_alu instid0(VALU_DEP_1) | instskip(NEXT) | instid1(VALU_DEP_1)
	v_dual_sub_f32 v30, 1.0, v39 :: v_dual_fmac_f32 v47, v37, v14
	v_sub_f32_e32 v35, 1.0, v30
	s_delay_alu instid0(VALU_DEP_1) | instskip(NEXT) | instid1(VALU_DEP_1)
	v_dual_sub_f32 v32, v35, v39 :: v_dual_sub_f32 v35, v36, v34
	v_dual_add_f32 v36, v28, v29 :: v_dual_add_f32 v31, v31, v32
	s_delay_alu instid0(VALU_DEP_2) | instskip(NEXT) | instid1(VALU_DEP_2)
	v_add_f32_e32 v21, v21, v35
	v_mul_f32_e32 v41, v17, v36
	s_delay_alu instid0(VALU_DEP_1) | instskip(SKIP_1) | instid1(VALU_DEP_2)
	v_dual_add_f32 v39, v30, v31 :: v_dual_mul_f32 v46, v25, v41
	v_mul_f32_e32 v32, v23, v34
	v_mul_f32_e32 v43, v19, v39
	s_delay_alu instid0(VALU_DEP_2) | instskip(NEXT) | instid1(VALU_DEP_2)
	v_dual_sub_f32 v30, v30, v39 :: v_dual_add_f32 v35, v23, v32
	v_dual_mul_f32 v40, v24, v32 :: v_dual_mul_f32 v49, v27, v43
	s_delay_alu instid0(VALU_DEP_2) | instskip(SKIP_1) | instid1(VALU_DEP_4)
	v_add_f32_e32 v30, v31, v30
	v_add_f32_e32 v31, v19, v43
	v_sub_f32_e32 v45, v35, v23
	s_delay_alu instid0(VALU_DEP_4) | instskip(NEXT) | instid1(VALU_DEP_3)
	v_fma_f32 v44, v32, v24, -v40
	v_dual_sub_f32 v51, v31, v19 :: v_dual_sub_f32 v38, v38, v33
	s_delay_alu instid0(VALU_DEP_2) | instskip(NEXT) | instid1(VALU_DEP_4)
	v_fmac_f32_e32 v44, v32, v12
	v_sub_f32_e32 v32, v32, v45
	v_fma_f32 v45, v41, v25, -v46
	s_delay_alu instid0(VALU_DEP_4) | instskip(NEXT) | instid1(VALU_DEP_2)
	v_add_f32_e32 v20, v20, v38
	v_dual_add_f32 v38, v26, v37 :: v_dual_fmac_f32 v45, v41, v16
	s_delay_alu instid0(VALU_DEP_1) | instskip(NEXT) | instid1(VALU_DEP_2)
	v_sub_f32_e32 v48, v38, v26
	v_add_f32_e32 v53, v46, v45
	s_delay_alu instid0(VALU_DEP_2) | instskip(SKIP_1) | instid1(VALU_DEP_1)
	v_sub_f32_e32 v37, v37, v48
	v_fma_f32 v48, v43, v27, -v49
	v_fmac_f32_e32 v48, v43, v18
	v_sub_f32_e32 v43, v43, v51
	s_delay_alu instid0(VALU_DEP_2) | instskip(SKIP_1) | instid1(VALU_DEP_1)
	v_add_f32_e32 v55, v49, v48
	v_sub_f32_e32 v28, v28, v36
	v_add_f32_e32 v28, v29, v28
	v_add_f32_e32 v29, v17, v41
	s_delay_alu instid0(VALU_DEP_1) | instskip(NEXT) | instid1(VALU_DEP_1)
	v_sub_f32_e32 v50, v29, v17
	v_dual_sub_f32 v41, v41, v50 :: v_dual_add_f32 v50, v42, v47
	s_delay_alu instid0(VALU_DEP_1) | instskip(NEXT) | instid1(VALU_DEP_1)
	v_sub_f32_e32 v54, v33, v50
	v_dual_sub_f32 v33, v33, v54 :: v_dual_add_f32 v52, v40, v44
	s_delay_alu instid0(VALU_DEP_1) | instskip(SKIP_1) | instid1(VALU_DEP_2)
	v_sub_f32_e32 v51, v34, v52
	v_sub_f32_e32 v40, v52, v40
	;; [unrolled: 1-line block ×3, first 2 shown]
	s_delay_alu instid0(VALU_DEP_1) | instskip(NEXT) | instid1(VALU_DEP_1)
	v_sub_f32_e32 v34, v34, v52
	v_dual_add_f32 v21, v21, v34 :: v_dual_sub_f32 v40, v40, v44
	v_sub_f32_e32 v44, v53, v46
	v_sub_f32_e32 v46, v36, v53
	s_delay_alu instid0(VALU_DEP_3) | instskip(NEXT) | instid1(VALU_DEP_3)
	v_add_f32_e32 v21, v40, v21
	v_sub_f32_e32 v44, v44, v45
	s_delay_alu instid0(VALU_DEP_2) | instskip(NEXT) | instid1(VALU_DEP_1)
	v_dual_sub_f32 v36, v36, v46 :: v_dual_add_f32 v21, v51, v21
	v_sub_f32_e32 v34, v36, v53
	s_delay_alu instid0(VALU_DEP_2) | instskip(NEXT) | instid1(VALU_DEP_1)
	v_dual_mul_f32 v21, v23, v21 :: v_dual_sub_f32 v42, v50, v42
	v_dual_sub_f32 v33, v33, v50 :: v_dual_sub_f32 v42, v42, v47
	v_sub_f32_e32 v47, v55, v49
	s_delay_alu instid0(VALU_DEP_2) | instskip(NEXT) | instid1(VALU_DEP_1)
	v_dual_sub_f32 v49, v39, v55 :: v_dual_add_f32 v20, v20, v33
	v_sub_f32_e32 v39, v39, v49
	s_delay_alu instid0(VALU_DEP_1) | instskip(NEXT) | instid1(VALU_DEP_1)
	v_dual_sub_f32 v33, v39, v55 :: v_dual_add_f32 v28, v28, v34
	v_add_f32_e32 v28, v44, v28
	s_delay_alu instid0(VALU_DEP_1) | instskip(NEXT) | instid1(VALU_DEP_1)
	v_add_f32_e32 v23, v46, v28
	v_dual_add_f32 v30, v30, v33 :: v_dual_mul_f32 v17, v17, v23
	v_add_f32_e32 v21, v32, v21
	v_sub_f32_e32 v45, v47, v48
	s_delay_alu instid0(VALU_DEP_3) | instskip(NEXT) | instid1(VALU_DEP_2)
	v_add_f32_e32 v17, v41, v17
	v_dual_add_f32 v23, v35, v21 :: v_dual_add_f32 v30, v45, v30
	s_delay_alu instid0(VALU_DEP_1) | instskip(SKIP_1) | instid1(VALU_DEP_1)
	v_sub_f32_e32 v28, v23, v35
	v_ldexp_f32 v23, v23, -2
	v_dual_sub_f32 v21, v21, v28 :: v_dual_sub_f32 v28, v24, v23
	s_delay_alu instid0(VALU_DEP_1) | instskip(NEXT) | instid1(VALU_DEP_2)
	v_ldexp_f32 v21, v21, -2
	v_sub_f32_e32 v24, v24, v28
	s_delay_alu instid0(VALU_DEP_1) | instskip(NEXT) | instid1(VALU_DEP_1)
	v_dual_add_f32 v20, v42, v20 :: v_dual_sub_f32 v23, v24, v23
	v_add_f32_e32 v20, v54, v20
	s_delay_alu instid0(VALU_DEP_2) | instskip(NEXT) | instid1(VALU_DEP_2)
	v_add_f32_e32 v12, v12, v23
	v_mul_f32_e32 v20, v26, v20
	v_add_f32_e32 v26, v49, v30
	v_add_f32_e32 v30, v29, v17
	s_delay_alu instid0(VALU_DEP_4) | instskip(NEXT) | instid1(VALU_DEP_3)
	v_sub_f32_e32 v12, v12, v21
	v_dual_add_f32 v20, v37, v20 :: v_dual_mul_f32 v19, v19, v26
	s_delay_alu instid0(VALU_DEP_3) | instskip(SKIP_1) | instid1(VALU_DEP_4)
	v_sub_f32_e32 v29, v30, v29
	v_ldexp_f32 v30, v30, -2
	v_add_f32_e32 v12, v28, v12
	s_delay_alu instid0(VALU_DEP_4) | instskip(NEXT) | instid1(VALU_DEP_4)
	v_dual_add_f32 v26, v38, v20 :: v_dual_add_f32 v19, v43, v19
	v_sub_f32_e32 v17, v17, v29
	s_delay_alu instid0(VALU_DEP_4) | instskip(NEXT) | instid1(VALU_DEP_4)
	v_sub_f32_e32 v29, v25, v30
	v_cndmask_b32_e64 v12, 0x7f800000, v12, s4
	s_delay_alu instid0(VALU_DEP_4) | instskip(SKIP_1) | instid1(VALU_DEP_4)
	v_sub_f32_e32 v32, v26, v38
	v_ldexp_f32 v26, v26, -2
	v_dual_add_f32 v33, v31, v19 :: v_dual_sub_f32 v24, v25, v29
	v_ldexp_f32 v17, v17, -2
	s_delay_alu instid0(VALU_DEP_4) | instskip(NEXT) | instid1(VALU_DEP_3)
	v_sub_f32_e32 v20, v20, v32
	v_dual_sub_f32 v32, v22, v26 :: v_dual_sub_f32 v31, v33, v31
	s_delay_alu instid0(VALU_DEP_4) | instskip(SKIP_1) | instid1(VALU_DEP_4)
	v_sub_f32_e32 v23, v24, v30
	v_ldexp_f32 v33, v33, -2
	v_ldexp_f32 v20, v20, -2
	s_delay_alu instid0(VALU_DEP_4) | instskip(NEXT) | instid1(VALU_DEP_3)
	v_dual_sub_f32 v22, v22, v32 :: v_dual_sub_f32 v19, v19, v31
	v_dual_add_f32 v16, v16, v23 :: v_dual_sub_f32 v31, v27, v33
	v_cmp_nlt_f32_e64 s4, 0x42b2d4fc, |v13|
	s_delay_alu instid0(VALU_DEP_3) | instskip(NEXT) | instid1(VALU_DEP_4)
	v_sub_f32_e32 v22, v22, v26
	v_ldexp_f32 v19, v19, -2
	s_delay_alu instid0(VALU_DEP_4) | instskip(SKIP_1) | instid1(VALU_DEP_4)
	v_dual_sub_f32 v16, v16, v17 :: v_dual_sub_f32 v25, v27, v31
	v_cndmask_b32_e64 v8, v12, |v8|, s23
	v_add_f32_e32 v14, v14, v22
	s_delay_alu instid0(VALU_DEP_3) | instskip(NEXT) | instid1(VALU_DEP_4)
	v_add_f32_e32 v16, v29, v16
	v_sub_f32_e32 v22, v25, v33
	s_delay_alu instid0(VALU_DEP_4) | instskip(NEXT) | instid1(VALU_DEP_4)
	v_cvt_f16_f32_e32 v8, v8
	v_sub_f32_e32 v14, v14, v20
	s_delay_alu instid0(VALU_DEP_4) | instskip(NEXT) | instid1(VALU_DEP_4)
	v_cndmask_b32_e64 v16, 0x7f800000, v16, s4
	v_add_f32_e32 v18, v18, v22
	v_cmp_gt_f32_e64 s4, 0x39800000, |v15|
	s_delay_alu instid0(VALU_DEP_4) | instskip(SKIP_1) | instid1(VALU_DEP_4)
	v_add_f32_e32 v14, v32, v14
	v_bfi_b32 v3, 0x7fff, v8, v3
	v_sub_f32_e32 v17, v18, v19
	s_delay_alu instid0(VALU_DEP_3) | instskip(SKIP_1) | instid1(VALU_DEP_3)
	v_cndmask_b32_e64 v14, 0x7f800000, v14, s3
	v_cmp_nlt_f32_e64 s3, 0x42b2d4fc, |v15|
	v_add_f32_e32 v17, v31, v17
	s_delay_alu instid0(VALU_DEP_3) | instskip(NEXT) | instid1(VALU_DEP_2)
	v_cndmask_b32_e64 v10, v14, |v10|, s22
	v_cndmask_b32_e64 v12, 0x7f800000, v17, s3
	v_cmp_gt_f32_e64 s3, 0x39800000, |v13|
	s_delay_alu instid0(VALU_DEP_3) | instskip(NEXT) | instid1(VALU_DEP_3)
	v_cvt_f16_f32_e32 v10, v10
	v_cndmask_b32_e64 v12, v12, |v15|, s4
	s_delay_alu instid0(VALU_DEP_3) | instskip(NEXT) | instid1(VALU_DEP_3)
	v_cndmask_b32_e64 v13, v16, |v13|, s3
	v_bfi_b32 v4, 0x7fff, v10, v4
	s_delay_alu instid0(VALU_DEP_3) | instskip(NEXT) | instid1(VALU_DEP_3)
	v_cvt_f16_f32_e32 v12, v12
	v_cvt_f16_f32_e32 v13, v13
	s_delay_alu instid0(VALU_DEP_2) | instskip(NEXT) | instid1(VALU_DEP_2)
	v_bfi_b32 v8, 0x7fff, v12, v11
	v_bfi_b32 v9, 0x7fff, v13, v9
	s_delay_alu instid0(VALU_DEP_2) | instskip(NEXT) | instid1(VALU_DEP_2)
	v_pack_b32_f16 v4, v4, v8
	v_pack_b32_f16 v3, v3, v9
	global_store_b64 v[6:7], v[3:4], off
	s_and_not1_b32 exec_lo, exec_lo, s18
	s_cbranch_execnz .LBB122_3
.LBB122_4:
	s_or_b32 exec_lo, exec_lo, s17
	s_mov_b32 s2, 0
.LBB122_5:
	s_delay_alu instid0(SALU_CYCLE_1)
	s_and_not1_b32 vcc_lo, exec_lo, s2
	s_cbranch_vccnz .LBB122_25
; %bb.6:
	v_cmp_lt_i64_e64 s2, s[8:9], 1
	s_delay_alu instid0(VALU_DEP_1)
	s_and_b32 vcc_lo, exec_lo, s2
	s_cbranch_vccnz .LBB122_25
; %bb.7:
	s_load_b32 s0, s[0:1], 0xc5c
	v_dual_mov_b32 v10, 0 :: v_dual_lshlrev_b32 v9, 1, v0
	v_cmp_gt_u64_e64 s1, 0x10000, s[8:9]
	s_delay_alu instid0(VALU_DEP_2) | instskip(NEXT) | instid1(VALU_DEP_1)
	v_add_co_u32 v1, s2, s10, v9
	v_add_co_ci_u32_e64 v2, null, s11, 0, s2
	v_add_co_u32 v3, s2, s12, v9
	s_delay_alu instid0(VALU_DEP_1)
	v_add_co_ci_u32_e64 v4, null, s13, 0, s2
	s_waitcnt lgkmcnt(0)
	s_and_b32 s0, s0, 0xffff
	s_and_b32 s1, s1, exec_lo
	v_mad_u64_u32 v[7:8], null, s0, 6, v[9:10]
	s_cselect_b32 s5, s9, 0
	s_cselect_b32 s4, s8, 0x10000
	s_mul_i32 s2, s0, 3
	s_lshl_b32 s14, s0, 2
	s_lshl_b32 s1, s0, 1
	v_add_co_u32 v14, s3, s14, v9
	v_add_co_u32 v9, s2, s2, v0
	s_delay_alu instid0(VALU_DEP_1) | instskip(SKIP_3) | instid1(VALU_DEP_3)
	v_add_co_ci_u32_e64 v10, null, 0, 0, s2
	v_add_co_u32 v13, s2, v0, s0
	v_add_co_u32 v5, vcc_lo, s10, v7
	v_add_co_ci_u32_e32 v6, vcc_lo, s11, v8, vcc_lo
	v_lshlrev_b32_e32 v21, 1, v13
	v_add_co_u32 v7, vcc_lo, s12, v7
	v_add_co_ci_u32_e64 v15, null, 0, 0, s3
	v_add_co_ci_u32_e32 v8, vcc_lo, s13, v8, vcc_lo
	v_add_co_u32 v17, s1, s1, v0
	v_add_co_u32 v11, vcc_lo, s10, v14
	v_add_co_ci_u32_e64 v18, null, 0, 0, s1
	v_add_co_u32 v19, s1, s10, v21
	v_add_co_ci_u32_e32 v12, vcc_lo, s11, v15, vcc_lo
	v_add_co_u32 v14, vcc_lo, s12, v14
	v_add_co_ci_u32_e64 v20, null, s11, 0, s1
	v_add_co_u32 v21, s1, s12, v21
	v_add_co_ci_u32_e32 v15, vcc_lo, s13, v15, vcc_lo
	v_add_co_ci_u32_e64 v16, null, 0, 0, s2
	v_add_co_ci_u32_e64 v22, null, s13, 0, s1
	s_lshl_b32 s12, s0, 3
	s_mov_b64 s[10:11], 0
	s_mov_b32 s13, 0x3ab42872
	s_branch .LBB122_9
.LBB122_8:                              ;   in Loop: Header=BB122_9 Depth=1
	s_or_b32 exec_lo, exec_lo, s0
	v_add_co_u32 v1, vcc_lo, v1, s12
	v_add_co_ci_u32_e32 v2, vcc_lo, 0, v2, vcc_lo
	v_add_co_u32 v3, vcc_lo, v3, s12
	v_add_co_ci_u32_e32 v4, vcc_lo, 0, v4, vcc_lo
	v_add_co_u32 v5, vcc_lo, v5, s12
	v_add_co_ci_u32_e32 v6, vcc_lo, 0, v6, vcc_lo
	v_add_co_u32 v7, vcc_lo, v7, s12
	v_add_co_ci_u32_e32 v8, vcc_lo, 0, v8, vcc_lo
	v_add_co_u32 v11, vcc_lo, v11, s12
	v_add_co_ci_u32_e32 v12, vcc_lo, 0, v12, vcc_lo
	s_add_u32 s10, s10, s14
	v_add_co_u32 v14, vcc_lo, v14, s12
	s_addc_u32 s11, s11, 0
	v_add_co_ci_u32_e32 v15, vcc_lo, 0, v15, vcc_lo
	v_cmp_ge_i64_e64 s0, s[10:11], s[8:9]
	v_cmp_lt_u64_e64 s1, 0xffff, s[10:11]
	v_add_co_u32 v19, vcc_lo, v19, s12
	v_add_co_ci_u32_e32 v20, vcc_lo, 0, v20, vcc_lo
	v_add_co_u32 v21, vcc_lo, v21, s12
	v_add_co_ci_u32_e32 v22, vcc_lo, 0, v22, vcc_lo
	s_or_b32 s0, s0, s1
	s_delay_alu instid0(SALU_CYCLE_1)
	s_and_b32 vcc_lo, exec_lo, s0
	s_cbranch_vccnz .LBB122_25
.LBB122_9:                              ; =>This Inner Loop Header: Depth=1
	s_waitcnt vmcnt(0)
	v_add_co_u32 v23, s0, v0, s10
	s_delay_alu instid0(VALU_DEP_1) | instskip(SKIP_1) | instid1(VALU_DEP_2)
	v_add_co_ci_u32_e64 v24, null, 0, s11, s0
	v_mov_b32_e32 v26, 0
	v_cmp_gt_u64_e64 s2, s[4:5], v[23:24]
	s_delay_alu instid0(VALU_DEP_1)
	s_and_saveexec_b32 s0, s2
	s_cbranch_execz .LBB122_11
; %bb.10:                               ;   in Loop: Header=BB122_9 Depth=1
	v_add_co_u32 v23, vcc_lo, v1, s6
	v_add_co_ci_u32_e32 v24, vcc_lo, s7, v2, vcc_lo
	global_load_u16 v26, v[23:24], off
.LBB122_11:                             ;   in Loop: Header=BB122_9 Depth=1
	s_or_b32 exec_lo, exec_lo, s0
	v_add_co_u32 v23, vcc_lo, v13, s10
	v_add_co_ci_u32_e32 v24, vcc_lo, s11, v16, vcc_lo
	v_mov_b32_e32 v25, 0
	s_delay_alu instid0(VALU_DEP_2) | instskip(NEXT) | instid1(VALU_DEP_1)
	v_cmp_gt_u64_e64 s1, s[4:5], v[23:24]
	s_and_saveexec_b32 s0, s1
	s_cbranch_execz .LBB122_13
; %bb.12:                               ;   in Loop: Header=BB122_9 Depth=1
	v_add_co_u32 v23, vcc_lo, v19, s6
	v_add_co_ci_u32_e32 v24, vcc_lo, s7, v20, vcc_lo
	global_load_u16 v25, v[23:24], off
.LBB122_13:                             ;   in Loop: Header=BB122_9 Depth=1
	s_or_b32 exec_lo, exec_lo, s0
	v_add_co_u32 v23, vcc_lo, v17, s10
	v_add_co_ci_u32_e32 v24, vcc_lo, s11, v18, vcc_lo
	s_delay_alu instid0(VALU_DEP_1) | instskip(SKIP_1) | instid1(VALU_DEP_2)
	v_cmp_gt_u64_e64 s0, s[4:5], v[23:24]
	v_dual_mov_b32 v23, 0 :: v_dual_mov_b32 v24, 0
	s_and_saveexec_b32 s3, s0
	s_cbranch_execz .LBB122_15
; %bb.14:                               ;   in Loop: Header=BB122_9 Depth=1
	v_add_co_u32 v27, vcc_lo, v11, s6
	v_add_co_ci_u32_e32 v28, vcc_lo, s7, v12, vcc_lo
	global_load_u16 v24, v[27:28], off
.LBB122_15:                             ;   in Loop: Header=BB122_9 Depth=1
	s_or_b32 exec_lo, exec_lo, s3
	v_add_co_u32 v27, vcc_lo, v9, s10
	v_add_co_ci_u32_e32 v28, vcc_lo, s11, v10, vcc_lo
	s_delay_alu instid0(VALU_DEP_1)
	v_cmp_gt_u64_e32 vcc_lo, s[4:5], v[27:28]
	s_and_saveexec_b32 s15, vcc_lo
	s_cbranch_execnz .LBB122_20
; %bb.16:                               ;   in Loop: Header=BB122_9 Depth=1
	s_or_b32 exec_lo, exec_lo, s15
	s_and_saveexec_b32 s3, s2
	s_cbranch_execnz .LBB122_21
.LBB122_17:                             ;   in Loop: Header=BB122_9 Depth=1
	s_or_b32 exec_lo, exec_lo, s3
	s_and_saveexec_b32 s2, s1
	s_cbranch_execnz .LBB122_22
.LBB122_18:                             ;   in Loop: Header=BB122_9 Depth=1
	s_or_b32 exec_lo, exec_lo, s2
	s_and_saveexec_b32 s1, s0
	s_cbranch_execnz .LBB122_23
.LBB122_19:                             ;   in Loop: Header=BB122_9 Depth=1
	s_or_b32 exec_lo, exec_lo, s1
	s_and_saveexec_b32 s0, vcc_lo
	s_cbranch_execz .LBB122_8
	s_branch .LBB122_24
.LBB122_20:                             ;   in Loop: Header=BB122_9 Depth=1
	v_add_co_u32 v27, s3, v5, s6
	s_delay_alu instid0(VALU_DEP_1)
	v_add_co_ci_u32_e64 v28, s3, s7, v6, s3
	global_load_u16 v23, v[27:28], off
	s_or_b32 exec_lo, exec_lo, s15
	s_and_saveexec_b32 s3, s2
	s_cbranch_execz .LBB122_17
.LBB122_21:                             ;   in Loop: Header=BB122_9 Depth=1
	s_waitcnt vmcnt(0)
	v_cvt_f32_f16_e32 v27, v26
	s_delay_alu instid0(VALU_DEP_1) | instskip(SKIP_1) | instid1(VALU_DEP_2)
	v_add_f32_e64 v28, 0xbf317218, |v27|
	v_cmp_nlt_f32_e64 s2, 0x42b2d4fc, |v27|
	v_sub_f32_e64 v29, v28, |v27|
	s_delay_alu instid0(VALU_DEP_1) | instskip(NEXT) | instid1(VALU_DEP_1)
	v_dual_sub_f32 v30, v29, v28 :: v_dual_add_f32 v29, 0x3f317218, v29
	v_add_f32_e64 v30, |v27|, v30
	s_delay_alu instid0(VALU_DEP_1) | instskip(NEXT) | instid1(VALU_DEP_1)
	v_sub_f32_e32 v29, v30, v29
	v_add_f32_e32 v29, 0x3102e308, v29
	s_delay_alu instid0(VALU_DEP_1) | instskip(NEXT) | instid1(VALU_DEP_1)
	v_add_f32_e32 v30, v28, v29
	v_sub_f32_e32 v28, v28, v30
	s_delay_alu instid0(VALU_DEP_1) | instskip(NEXT) | instid1(VALU_DEP_1)
	v_dual_mul_f32 v31, 0x3fb8aa3b, v30 :: v_dual_add_f32 v28, v29, v28
	v_rndne_f32_e32 v31, v31
	s_delay_alu instid0(VALU_DEP_1) | instskip(SKIP_1) | instid1(VALU_DEP_1)
	v_mul_f32_e32 v29, 0x35bfbc00, v31
	v_fmac_f32_e32 v30, 0xbf317200, v31
	v_add_f32_e32 v32, v28, v30
	s_delay_alu instid0(VALU_DEP_1) | instskip(NEXT) | instid1(VALU_DEP_1)
	v_dual_sub_f32 v33, v32, v29 :: v_dual_sub_f32 v30, v30, v32
	v_sub_f32_e32 v32, v32, v33
	s_delay_alu instid0(VALU_DEP_1) | instskip(NEXT) | instid1(VALU_DEP_3)
	v_sub_f32_e32 v29, v32, v29
	v_add_f32_e32 v28, v28, v30
	s_delay_alu instid0(VALU_DEP_1) | instskip(NEXT) | instid1(VALU_DEP_1)
	v_dual_add_f32 v28, v28, v29 :: v_dual_mul_f32 v29, 0x2ea39ef3, v31
	v_add_f32_e32 v30, v33, v28
	s_delay_alu instid0(VALU_DEP_1) | instskip(NEXT) | instid1(VALU_DEP_1)
	v_dual_sub_f32 v32, v30, v29 :: v_dual_sub_f32 v33, v33, v30
	v_sub_f32_e32 v30, v30, v32
	s_delay_alu instid0(VALU_DEP_2) | instskip(NEXT) | instid1(VALU_DEP_2)
	v_add_f32_e32 v28, v28, v33
	v_sub_f32_e32 v29, v30, v29
	s_delay_alu instid0(VALU_DEP_1) | instskip(NEXT) | instid1(VALU_DEP_1)
	v_add_f32_e32 v28, v28, v29
	v_add_f32_e32 v29, v32, v28
	s_delay_alu instid0(VALU_DEP_1) | instskip(SKIP_1) | instid1(VALU_DEP_2)
	v_sub_f32_e32 v30, v32, v29
	v_mul_f32_e32 v32, v29, v29
	v_add_f32_e32 v28, v28, v30
	v_fmaak_f32 v30, s13, v29, 0x3c091de6
	s_delay_alu instid0(VALU_DEP_3) | instskip(NEXT) | instid1(VALU_DEP_3)
	v_fma_f32 v33, v29, v29, -v32
	v_add_f32_e32 v34, v28, v28
	s_delay_alu instid0(VALU_DEP_3) | instskip(NEXT) | instid1(VALU_DEP_2)
	v_fmaak_f32 v30, v29, v30, 0x3d2aadcc
	v_fmac_f32_e32 v33, v29, v34
	s_delay_alu instid0(VALU_DEP_2) | instskip(NEXT) | instid1(VALU_DEP_2)
	v_fmaak_f32 v30, v29, v30, 0x3e2aaa47
	v_add_f32_e32 v34, v32, v33
	s_delay_alu instid0(VALU_DEP_2) | instskip(NEXT) | instid1(VALU_DEP_2)
	v_fmaak_f32 v30, v29, v30, 0x3efffffc
	v_sub_f32_e32 v32, v34, v32
	s_delay_alu instid0(VALU_DEP_1) | instskip(NEXT) | instid1(VALU_DEP_1)
	v_dual_mul_f32 v35, v30, v34 :: v_dual_sub_f32 v32, v33, v32
	v_fma_f32 v33, v34, v30, -v35
	s_delay_alu instid0(VALU_DEP_1) | instskip(NEXT) | instid1(VALU_DEP_1)
	v_fmac_f32_e32 v33, v32, v30
	v_add_f32_e32 v30, v35, v33
	s_delay_alu instid0(VALU_DEP_1) | instskip(SKIP_1) | instid1(VALU_DEP_1)
	v_sub_f32_e32 v32, v30, v35
	v_add_f32_e32 v34, v29, v30
	v_dual_sub_f32 v32, v33, v32 :: v_dual_sub_f32 v29, v34, v29
	s_delay_alu instid0(VALU_DEP_1) | instskip(NEXT) | instid1(VALU_DEP_1)
	v_dual_sub_f32 v29, v30, v29 :: v_dual_add_f32 v28, v28, v32
	v_add_f32_e32 v28, v28, v29
	s_delay_alu instid0(VALU_DEP_1) | instskip(NEXT) | instid1(VALU_DEP_1)
	v_add_f32_e32 v29, v34, v28
	v_add_f32_e32 v30, 1.0, v29
	v_sub_f32_e32 v32, v29, v34
	s_delay_alu instid0(VALU_DEP_1) | instskip(NEXT) | instid1(VALU_DEP_1)
	v_dual_add_f32 v33, -1.0, v30 :: v_dual_sub_f32 v28, v28, v32
	v_sub_f32_e32 v29, v29, v33
	s_delay_alu instid0(VALU_DEP_1) | instskip(SKIP_1) | instid1(VALU_DEP_2)
	v_add_f32_e32 v28, v28, v29
	v_cvt_i32_f32_e32 v29, v31
	v_add_f32_e32 v31, v30, v28
	s_delay_alu instid0(VALU_DEP_1) | instskip(NEXT) | instid1(VALU_DEP_1)
	v_ldexp_f32 v32, v31, v29
	v_rcp_f32_e32 v33, v32
	v_sub_f32_e32 v30, v31, v30
	s_delay_alu instid0(VALU_DEP_1) | instskip(SKIP_3) | instid1(VALU_DEP_2)
	v_sub_f32_e32 v28, v28, v30
	s_waitcnt_depctr 0xfff
	v_mul_f32_e32 v30, v32, v33
	v_ldexp_f32 v28, v28, v29
	v_fma_f32 v29, v33, v32, -v30
	s_delay_alu instid0(VALU_DEP_1) | instskip(NEXT) | instid1(VALU_DEP_1)
	v_fmac_f32_e32 v29, v33, v28
	v_add_f32_e32 v31, v30, v29
	s_delay_alu instid0(VALU_DEP_1) | instskip(SKIP_1) | instid1(VALU_DEP_2)
	v_sub_f32_e32 v34, 1.0, v31
	v_sub_f32_e32 v30, v31, v30
	v_sub_f32_e32 v35, 1.0, v34
	s_delay_alu instid0(VALU_DEP_1) | instskip(NEXT) | instid1(VALU_DEP_1)
	v_dual_sub_f32 v29, v30, v29 :: v_dual_sub_f32 v30, v35, v31
	v_add_f32_e32 v29, v29, v30
	s_delay_alu instid0(VALU_DEP_1) | instskip(NEXT) | instid1(VALU_DEP_1)
	v_add_f32_e32 v30, v34, v29
	v_mul_f32_e32 v31, v33, v30
	s_delay_alu instid0(VALU_DEP_1) | instskip(NEXT) | instid1(VALU_DEP_1)
	v_dual_sub_f32 v34, v34, v30 :: v_dual_mul_f32 v35, v32, v31
	v_add_f32_e32 v29, v29, v34
	s_delay_alu instid0(VALU_DEP_2) | instskip(NEXT) | instid1(VALU_DEP_1)
	v_fma_f32 v36, v31, v32, -v35
	v_fmac_f32_e32 v36, v31, v28
	s_delay_alu instid0(VALU_DEP_1) | instskip(NEXT) | instid1(VALU_DEP_1)
	v_add_f32_e32 v37, v35, v36
	v_sub_f32_e32 v38, v30, v37
	v_sub_f32_e32 v34, v37, v35
	s_delay_alu instid0(VALU_DEP_2) | instskip(NEXT) | instid1(VALU_DEP_2)
	v_sub_f32_e32 v30, v30, v38
	v_sub_f32_e32 v34, v34, v36
	s_delay_alu instid0(VALU_DEP_2) | instskip(NEXT) | instid1(VALU_DEP_1)
	v_sub_f32_e32 v30, v30, v37
	v_add_f32_e32 v29, v29, v30
	s_delay_alu instid0(VALU_DEP_1) | instskip(NEXT) | instid1(VALU_DEP_1)
	v_dual_add_f32 v30, v33, v31 :: v_dual_add_f32 v29, v34, v29
	v_sub_f32_e32 v34, v30, v33
	s_delay_alu instid0(VALU_DEP_2) | instskip(NEXT) | instid1(VALU_DEP_2)
	v_add_f32_e32 v29, v38, v29
	v_sub_f32_e32 v31, v31, v34
	s_delay_alu instid0(VALU_DEP_2) | instskip(NEXT) | instid1(VALU_DEP_1)
	v_mul_f32_e32 v29, v33, v29
	v_add_f32_e32 v29, v31, v29
	s_delay_alu instid0(VALU_DEP_1) | instskip(NEXT) | instid1(VALU_DEP_1)
	v_add_f32_e32 v31, v30, v29
	v_ldexp_f32 v33, v31, -2
	v_sub_f32_e32 v30, v31, v30
	s_delay_alu instid0(VALU_DEP_1) | instskip(NEXT) | instid1(VALU_DEP_1)
	v_dual_sub_f32 v34, v32, v33 :: v_dual_sub_f32 v29, v29, v30
	v_sub_f32_e32 v31, v32, v34
	s_delay_alu instid0(VALU_DEP_2) | instskip(NEXT) | instid1(VALU_DEP_2)
	v_ldexp_f32 v29, v29, -2
	v_sub_f32_e32 v30, v31, v33
	s_delay_alu instid0(VALU_DEP_1) | instskip(NEXT) | instid1(VALU_DEP_1)
	v_add_f32_e32 v28, v28, v30
	v_sub_f32_e32 v28, v28, v29
	s_delay_alu instid0(VALU_DEP_1) | instskip(NEXT) | instid1(VALU_DEP_1)
	v_add_f32_e32 v28, v34, v28
	v_cndmask_b32_e64 v28, 0x7f800000, v28, s2
	v_cmp_gt_f32_e64 s2, 0x39800000, |v27|
	s_delay_alu instid0(VALU_DEP_1) | instskip(NEXT) | instid1(VALU_DEP_1)
	v_cndmask_b32_e64 v27, v28, |v27|, s2
	v_cvt_f16_f32_e32 v27, v27
	s_delay_alu instid0(VALU_DEP_1) | instskip(SKIP_1) | instid1(VALU_DEP_1)
	v_bfi_b32 v28, 0x7fff, v27, v26
	v_add_co_u32 v26, s2, v3, s6
	v_add_co_ci_u32_e64 v27, s2, s7, v4, s2
	global_store_b16 v[26:27], v28, off
	s_or_b32 exec_lo, exec_lo, s3
	s_and_saveexec_b32 s2, s1
	s_cbranch_execz .LBB122_18
.LBB122_22:                             ;   in Loop: Header=BB122_9 Depth=1
	s_waitcnt vmcnt(0)
	v_cvt_f32_f16_e32 v26, v25
	s_delay_alu instid0(VALU_DEP_1) | instskip(SKIP_1) | instid1(VALU_DEP_2)
	v_add_f32_e64 v27, 0xbf317218, |v26|
	v_cmp_nlt_f32_e64 s1, 0x42b2d4fc, |v26|
	v_sub_f32_e64 v28, v27, |v26|
	s_delay_alu instid0(VALU_DEP_1) | instskip(NEXT) | instid1(VALU_DEP_1)
	v_dual_sub_f32 v29, v28, v27 :: v_dual_add_f32 v28, 0x3f317218, v28
	v_add_f32_e64 v29, |v26|, v29
	s_delay_alu instid0(VALU_DEP_1) | instskip(NEXT) | instid1(VALU_DEP_1)
	v_sub_f32_e32 v28, v29, v28
	v_add_f32_e32 v28, 0x3102e308, v28
	s_delay_alu instid0(VALU_DEP_1) | instskip(NEXT) | instid1(VALU_DEP_1)
	v_add_f32_e32 v29, v27, v28
	v_sub_f32_e32 v27, v27, v29
	s_delay_alu instid0(VALU_DEP_1) | instskip(NEXT) | instid1(VALU_DEP_1)
	v_dual_mul_f32 v30, 0x3fb8aa3b, v29 :: v_dual_add_f32 v27, v28, v27
	v_rndne_f32_e32 v30, v30
	s_delay_alu instid0(VALU_DEP_1) | instskip(SKIP_1) | instid1(VALU_DEP_1)
	v_mul_f32_e32 v28, 0x35bfbc00, v30
	v_fmac_f32_e32 v29, 0xbf317200, v30
	v_add_f32_e32 v31, v27, v29
	s_delay_alu instid0(VALU_DEP_1) | instskip(NEXT) | instid1(VALU_DEP_1)
	v_dual_sub_f32 v32, v31, v28 :: v_dual_sub_f32 v29, v29, v31
	v_sub_f32_e32 v31, v31, v32
	s_delay_alu instid0(VALU_DEP_1) | instskip(NEXT) | instid1(VALU_DEP_3)
	v_sub_f32_e32 v28, v31, v28
	v_add_f32_e32 v27, v27, v29
	s_delay_alu instid0(VALU_DEP_1) | instskip(NEXT) | instid1(VALU_DEP_1)
	v_dual_add_f32 v27, v27, v28 :: v_dual_mul_f32 v28, 0x2ea39ef3, v30
	v_add_f32_e32 v29, v32, v27
	s_delay_alu instid0(VALU_DEP_1) | instskip(NEXT) | instid1(VALU_DEP_1)
	v_dual_sub_f32 v31, v29, v28 :: v_dual_sub_f32 v32, v32, v29
	v_sub_f32_e32 v29, v29, v31
	s_delay_alu instid0(VALU_DEP_2) | instskip(NEXT) | instid1(VALU_DEP_2)
	v_add_f32_e32 v27, v27, v32
	v_sub_f32_e32 v28, v29, v28
	s_delay_alu instid0(VALU_DEP_1) | instskip(NEXT) | instid1(VALU_DEP_1)
	v_add_f32_e32 v27, v27, v28
	v_add_f32_e32 v28, v31, v27
	s_delay_alu instid0(VALU_DEP_1) | instskip(SKIP_1) | instid1(VALU_DEP_2)
	v_sub_f32_e32 v29, v31, v28
	v_mul_f32_e32 v31, v28, v28
	v_add_f32_e32 v27, v27, v29
	v_fmaak_f32 v29, s13, v28, 0x3c091de6
	s_delay_alu instid0(VALU_DEP_3) | instskip(NEXT) | instid1(VALU_DEP_3)
	v_fma_f32 v32, v28, v28, -v31
	v_add_f32_e32 v33, v27, v27
	s_delay_alu instid0(VALU_DEP_3) | instskip(NEXT) | instid1(VALU_DEP_2)
	v_fmaak_f32 v29, v28, v29, 0x3d2aadcc
	v_fmac_f32_e32 v32, v28, v33
	s_delay_alu instid0(VALU_DEP_2) | instskip(NEXT) | instid1(VALU_DEP_2)
	v_fmaak_f32 v29, v28, v29, 0x3e2aaa47
	v_add_f32_e32 v33, v31, v32
	s_delay_alu instid0(VALU_DEP_2) | instskip(NEXT) | instid1(VALU_DEP_2)
	v_fmaak_f32 v29, v28, v29, 0x3efffffc
	v_sub_f32_e32 v31, v33, v31
	s_delay_alu instid0(VALU_DEP_1) | instskip(NEXT) | instid1(VALU_DEP_1)
	v_dual_mul_f32 v34, v29, v33 :: v_dual_sub_f32 v31, v32, v31
	v_fma_f32 v32, v33, v29, -v34
	s_delay_alu instid0(VALU_DEP_1) | instskip(NEXT) | instid1(VALU_DEP_1)
	v_fmac_f32_e32 v32, v31, v29
	v_add_f32_e32 v29, v34, v32
	s_delay_alu instid0(VALU_DEP_1) | instskip(SKIP_1) | instid1(VALU_DEP_2)
	v_sub_f32_e32 v33, v29, v34
	v_add_f32_e32 v31, v28, v29
	v_sub_f32_e32 v32, v32, v33
	s_delay_alu instid0(VALU_DEP_2) | instskip(NEXT) | instid1(VALU_DEP_1)
	v_sub_f32_e32 v28, v31, v28
	v_sub_f32_e32 v28, v29, v28
	s_delay_alu instid0(VALU_DEP_3) | instskip(NEXT) | instid1(VALU_DEP_1)
	v_add_f32_e32 v27, v27, v32
	v_add_f32_e32 v27, v27, v28
	s_delay_alu instid0(VALU_DEP_1) | instskip(NEXT) | instid1(VALU_DEP_1)
	v_add_f32_e32 v28, v31, v27
	v_add_f32_e32 v29, 1.0, v28
	s_delay_alu instid0(VALU_DEP_1) | instskip(NEXT) | instid1(VALU_DEP_1)
	v_dual_sub_f32 v31, v28, v31 :: v_dual_add_f32 v32, -1.0, v29
	v_dual_sub_f32 v27, v27, v31 :: v_dual_sub_f32 v28, v28, v32
	s_delay_alu instid0(VALU_DEP_1) | instskip(SKIP_1) | instid1(VALU_DEP_2)
	v_add_f32_e32 v27, v27, v28
	v_cvt_i32_f32_e32 v28, v30
	v_add_f32_e32 v30, v29, v27
	s_delay_alu instid0(VALU_DEP_1) | instskip(NEXT) | instid1(VALU_DEP_1)
	v_ldexp_f32 v31, v30, v28
	v_rcp_f32_e32 v32, v31
	v_sub_f32_e32 v29, v30, v29
	s_delay_alu instid0(VALU_DEP_1) | instskip(SKIP_3) | instid1(VALU_DEP_2)
	v_sub_f32_e32 v27, v27, v29
	s_waitcnt_depctr 0xfff
	v_mul_f32_e32 v29, v31, v32
	v_ldexp_f32 v27, v27, v28
	v_fma_f32 v28, v32, v31, -v29
	s_delay_alu instid0(VALU_DEP_1) | instskip(NEXT) | instid1(VALU_DEP_1)
	v_fmac_f32_e32 v28, v32, v27
	v_add_f32_e32 v30, v29, v28
	s_delay_alu instid0(VALU_DEP_1) | instskip(SKIP_1) | instid1(VALU_DEP_2)
	v_sub_f32_e32 v33, 1.0, v30
	v_sub_f32_e32 v29, v30, v29
	v_sub_f32_e32 v34, 1.0, v33
	s_delay_alu instid0(VALU_DEP_1) | instskip(NEXT) | instid1(VALU_DEP_1)
	v_dual_sub_f32 v28, v29, v28 :: v_dual_sub_f32 v29, v34, v30
	v_add_f32_e32 v28, v28, v29
	s_delay_alu instid0(VALU_DEP_1) | instskip(NEXT) | instid1(VALU_DEP_1)
	v_add_f32_e32 v29, v33, v28
	v_mul_f32_e32 v30, v32, v29
	s_delay_alu instid0(VALU_DEP_1) | instskip(NEXT) | instid1(VALU_DEP_1)
	v_dual_sub_f32 v33, v33, v29 :: v_dual_mul_f32 v34, v31, v30
	v_add_f32_e32 v28, v28, v33
	s_delay_alu instid0(VALU_DEP_2) | instskip(NEXT) | instid1(VALU_DEP_1)
	v_fma_f32 v35, v30, v31, -v34
	v_fmac_f32_e32 v35, v30, v27
	s_delay_alu instid0(VALU_DEP_1) | instskip(NEXT) | instid1(VALU_DEP_1)
	v_add_f32_e32 v36, v34, v35
	v_sub_f32_e32 v37, v29, v36
	v_sub_f32_e32 v33, v36, v34
	s_delay_alu instid0(VALU_DEP_2) | instskip(NEXT) | instid1(VALU_DEP_2)
	v_sub_f32_e32 v29, v29, v37
	v_sub_f32_e32 v33, v33, v35
	s_delay_alu instid0(VALU_DEP_2) | instskip(NEXT) | instid1(VALU_DEP_1)
	v_sub_f32_e32 v29, v29, v36
	v_add_f32_e32 v28, v28, v29
	s_delay_alu instid0(VALU_DEP_1) | instskip(NEXT) | instid1(VALU_DEP_1)
	v_dual_add_f32 v29, v32, v30 :: v_dual_add_f32 v28, v33, v28
	v_sub_f32_e32 v33, v29, v32
	s_delay_alu instid0(VALU_DEP_2) | instskip(NEXT) | instid1(VALU_DEP_2)
	v_add_f32_e32 v28, v37, v28
	v_sub_f32_e32 v30, v30, v33
	s_delay_alu instid0(VALU_DEP_2) | instskip(NEXT) | instid1(VALU_DEP_1)
	v_mul_f32_e32 v28, v32, v28
	v_add_f32_e32 v28, v30, v28
	s_delay_alu instid0(VALU_DEP_1) | instskip(NEXT) | instid1(VALU_DEP_1)
	v_add_f32_e32 v30, v29, v28
	v_ldexp_f32 v32, v30, -2
	v_sub_f32_e32 v29, v30, v29
	s_delay_alu instid0(VALU_DEP_1) | instskip(NEXT) | instid1(VALU_DEP_1)
	v_dual_sub_f32 v33, v31, v32 :: v_dual_sub_f32 v28, v28, v29
	v_sub_f32_e32 v30, v31, v33
	s_delay_alu instid0(VALU_DEP_2) | instskip(NEXT) | instid1(VALU_DEP_2)
	v_ldexp_f32 v28, v28, -2
	v_sub_f32_e32 v29, v30, v32
	s_delay_alu instid0(VALU_DEP_1) | instskip(NEXT) | instid1(VALU_DEP_1)
	v_add_f32_e32 v27, v27, v29
	v_sub_f32_e32 v27, v27, v28
	s_delay_alu instid0(VALU_DEP_1) | instskip(NEXT) | instid1(VALU_DEP_1)
	v_add_f32_e32 v27, v33, v27
	v_cndmask_b32_e64 v27, 0x7f800000, v27, s1
	v_cmp_gt_f32_e64 s1, 0x39800000, |v26|
	s_delay_alu instid0(VALU_DEP_1) | instskip(NEXT) | instid1(VALU_DEP_1)
	v_cndmask_b32_e64 v26, v27, |v26|, s1
	v_cvt_f16_f32_e32 v26, v26
	s_delay_alu instid0(VALU_DEP_1) | instskip(SKIP_1) | instid1(VALU_DEP_1)
	v_bfi_b32 v27, 0x7fff, v26, v25
	v_add_co_u32 v25, s1, v21, s6
	v_add_co_ci_u32_e64 v26, s1, s7, v22, s1
	global_store_b16 v[25:26], v27, off
	s_or_b32 exec_lo, exec_lo, s2
	s_and_saveexec_b32 s1, s0
	s_cbranch_execz .LBB122_19
.LBB122_23:                             ;   in Loop: Header=BB122_9 Depth=1
	s_waitcnt vmcnt(0)
	v_cvt_f32_f16_e32 v25, v24
	s_delay_alu instid0(VALU_DEP_1) | instskip(SKIP_1) | instid1(VALU_DEP_2)
	v_add_f32_e64 v26, 0xbf317218, |v25|
	v_cmp_nlt_f32_e64 s0, 0x42b2d4fc, |v25|
	v_sub_f32_e64 v27, v26, |v25|
	s_delay_alu instid0(VALU_DEP_1) | instskip(NEXT) | instid1(VALU_DEP_1)
	v_dual_sub_f32 v28, v27, v26 :: v_dual_add_f32 v27, 0x3f317218, v27
	v_add_f32_e64 v28, |v25|, v28
	s_delay_alu instid0(VALU_DEP_1) | instskip(NEXT) | instid1(VALU_DEP_1)
	v_sub_f32_e32 v27, v28, v27
	v_add_f32_e32 v27, 0x3102e308, v27
	s_delay_alu instid0(VALU_DEP_1) | instskip(NEXT) | instid1(VALU_DEP_1)
	v_add_f32_e32 v28, v26, v27
	v_sub_f32_e32 v26, v26, v28
	s_delay_alu instid0(VALU_DEP_1) | instskip(NEXT) | instid1(VALU_DEP_1)
	v_dual_mul_f32 v29, 0x3fb8aa3b, v28 :: v_dual_add_f32 v26, v27, v26
	v_rndne_f32_e32 v29, v29
	s_delay_alu instid0(VALU_DEP_1) | instskip(SKIP_1) | instid1(VALU_DEP_1)
	v_mul_f32_e32 v27, 0x35bfbc00, v29
	v_fmac_f32_e32 v28, 0xbf317200, v29
	v_add_f32_e32 v30, v26, v28
	s_delay_alu instid0(VALU_DEP_1) | instskip(NEXT) | instid1(VALU_DEP_1)
	v_dual_sub_f32 v31, v30, v27 :: v_dual_sub_f32 v28, v28, v30
	v_sub_f32_e32 v30, v30, v31
	s_delay_alu instid0(VALU_DEP_1) | instskip(NEXT) | instid1(VALU_DEP_3)
	v_sub_f32_e32 v27, v30, v27
	v_add_f32_e32 v26, v26, v28
	s_delay_alu instid0(VALU_DEP_1) | instskip(NEXT) | instid1(VALU_DEP_1)
	v_dual_add_f32 v26, v26, v27 :: v_dual_mul_f32 v27, 0x2ea39ef3, v29
	v_add_f32_e32 v28, v31, v26
	s_delay_alu instid0(VALU_DEP_1) | instskip(NEXT) | instid1(VALU_DEP_1)
	v_dual_sub_f32 v30, v28, v27 :: v_dual_sub_f32 v31, v31, v28
	v_sub_f32_e32 v28, v28, v30
	s_delay_alu instid0(VALU_DEP_2) | instskip(NEXT) | instid1(VALU_DEP_2)
	v_add_f32_e32 v26, v26, v31
	v_sub_f32_e32 v27, v28, v27
	s_delay_alu instid0(VALU_DEP_1) | instskip(NEXT) | instid1(VALU_DEP_1)
	v_add_f32_e32 v26, v26, v27
	v_add_f32_e32 v27, v30, v26
	s_delay_alu instid0(VALU_DEP_1) | instskip(SKIP_1) | instid1(VALU_DEP_2)
	v_sub_f32_e32 v28, v30, v27
	v_mul_f32_e32 v30, v27, v27
	v_add_f32_e32 v26, v26, v28
	v_fmaak_f32 v28, s13, v27, 0x3c091de6
	s_delay_alu instid0(VALU_DEP_3) | instskip(NEXT) | instid1(VALU_DEP_3)
	v_fma_f32 v31, v27, v27, -v30
	v_add_f32_e32 v32, v26, v26
	s_delay_alu instid0(VALU_DEP_3) | instskip(NEXT) | instid1(VALU_DEP_2)
	v_fmaak_f32 v28, v27, v28, 0x3d2aadcc
	v_fmac_f32_e32 v31, v27, v32
	s_delay_alu instid0(VALU_DEP_2) | instskip(NEXT) | instid1(VALU_DEP_2)
	v_fmaak_f32 v28, v27, v28, 0x3e2aaa47
	v_add_f32_e32 v32, v30, v31
	s_delay_alu instid0(VALU_DEP_2) | instskip(NEXT) | instid1(VALU_DEP_2)
	v_fmaak_f32 v28, v27, v28, 0x3efffffc
	v_sub_f32_e32 v30, v32, v30
	s_delay_alu instid0(VALU_DEP_1) | instskip(NEXT) | instid1(VALU_DEP_1)
	v_dual_mul_f32 v33, v28, v32 :: v_dual_sub_f32 v30, v31, v30
	v_fma_f32 v31, v32, v28, -v33
	s_delay_alu instid0(VALU_DEP_1) | instskip(NEXT) | instid1(VALU_DEP_1)
	v_fmac_f32_e32 v31, v30, v28
	v_add_f32_e32 v28, v33, v31
	s_delay_alu instid0(VALU_DEP_1) | instskip(SKIP_1) | instid1(VALU_DEP_2)
	v_sub_f32_e32 v32, v28, v33
	v_add_f32_e32 v30, v27, v28
	v_sub_f32_e32 v31, v31, v32
	s_delay_alu instid0(VALU_DEP_2) | instskip(NEXT) | instid1(VALU_DEP_1)
	v_sub_f32_e32 v27, v30, v27
	v_sub_f32_e32 v27, v28, v27
	s_delay_alu instid0(VALU_DEP_3) | instskip(NEXT) | instid1(VALU_DEP_1)
	v_add_f32_e32 v26, v26, v31
	v_add_f32_e32 v26, v26, v27
	s_delay_alu instid0(VALU_DEP_1) | instskip(NEXT) | instid1(VALU_DEP_1)
	v_add_f32_e32 v27, v30, v26
	v_add_f32_e32 v28, 1.0, v27
	s_delay_alu instid0(VALU_DEP_1) | instskip(NEXT) | instid1(VALU_DEP_1)
	v_dual_sub_f32 v30, v27, v30 :: v_dual_add_f32 v31, -1.0, v28
	v_dual_sub_f32 v26, v26, v30 :: v_dual_sub_f32 v27, v27, v31
	s_delay_alu instid0(VALU_DEP_1) | instskip(SKIP_1) | instid1(VALU_DEP_2)
	v_add_f32_e32 v26, v26, v27
	v_cvt_i32_f32_e32 v27, v29
	v_add_f32_e32 v29, v28, v26
	s_delay_alu instid0(VALU_DEP_1) | instskip(NEXT) | instid1(VALU_DEP_1)
	v_ldexp_f32 v30, v29, v27
	v_rcp_f32_e32 v31, v30
	v_sub_f32_e32 v28, v29, v28
	s_delay_alu instid0(VALU_DEP_1) | instskip(SKIP_3) | instid1(VALU_DEP_2)
	v_sub_f32_e32 v26, v26, v28
	s_waitcnt_depctr 0xfff
	v_mul_f32_e32 v28, v30, v31
	v_ldexp_f32 v26, v26, v27
	v_fma_f32 v27, v31, v30, -v28
	s_delay_alu instid0(VALU_DEP_1) | instskip(NEXT) | instid1(VALU_DEP_1)
	v_fmac_f32_e32 v27, v31, v26
	v_add_f32_e32 v29, v28, v27
	s_delay_alu instid0(VALU_DEP_1) | instskip(SKIP_1) | instid1(VALU_DEP_2)
	v_sub_f32_e32 v32, 1.0, v29
	v_sub_f32_e32 v28, v29, v28
	v_sub_f32_e32 v33, 1.0, v32
	s_delay_alu instid0(VALU_DEP_1) | instskip(NEXT) | instid1(VALU_DEP_1)
	v_dual_sub_f32 v27, v28, v27 :: v_dual_sub_f32 v28, v33, v29
	v_add_f32_e32 v27, v27, v28
	s_delay_alu instid0(VALU_DEP_1) | instskip(NEXT) | instid1(VALU_DEP_1)
	v_add_f32_e32 v28, v32, v27
	v_mul_f32_e32 v29, v31, v28
	s_delay_alu instid0(VALU_DEP_1) | instskip(NEXT) | instid1(VALU_DEP_1)
	v_dual_sub_f32 v32, v32, v28 :: v_dual_mul_f32 v33, v30, v29
	v_add_f32_e32 v27, v27, v32
	s_delay_alu instid0(VALU_DEP_2) | instskip(NEXT) | instid1(VALU_DEP_1)
	v_fma_f32 v34, v29, v30, -v33
	v_fmac_f32_e32 v34, v29, v26
	s_delay_alu instid0(VALU_DEP_1) | instskip(NEXT) | instid1(VALU_DEP_1)
	v_add_f32_e32 v35, v33, v34
	v_sub_f32_e32 v36, v28, v35
	v_sub_f32_e32 v32, v35, v33
	s_delay_alu instid0(VALU_DEP_2) | instskip(NEXT) | instid1(VALU_DEP_2)
	v_sub_f32_e32 v28, v28, v36
	v_sub_f32_e32 v32, v32, v34
	s_delay_alu instid0(VALU_DEP_2) | instskip(NEXT) | instid1(VALU_DEP_1)
	v_sub_f32_e32 v28, v28, v35
	v_add_f32_e32 v27, v27, v28
	s_delay_alu instid0(VALU_DEP_1) | instskip(NEXT) | instid1(VALU_DEP_1)
	v_dual_add_f32 v28, v31, v29 :: v_dual_add_f32 v27, v32, v27
	v_sub_f32_e32 v32, v28, v31
	s_delay_alu instid0(VALU_DEP_2) | instskip(NEXT) | instid1(VALU_DEP_2)
	v_add_f32_e32 v27, v36, v27
	v_sub_f32_e32 v29, v29, v32
	s_delay_alu instid0(VALU_DEP_2) | instskip(NEXT) | instid1(VALU_DEP_1)
	v_mul_f32_e32 v27, v31, v27
	v_add_f32_e32 v27, v29, v27
	s_delay_alu instid0(VALU_DEP_1) | instskip(NEXT) | instid1(VALU_DEP_1)
	v_add_f32_e32 v29, v28, v27
	v_ldexp_f32 v31, v29, -2
	v_sub_f32_e32 v28, v29, v28
	s_delay_alu instid0(VALU_DEP_1) | instskip(NEXT) | instid1(VALU_DEP_1)
	v_dual_sub_f32 v32, v30, v31 :: v_dual_sub_f32 v27, v27, v28
	v_sub_f32_e32 v29, v30, v32
	s_delay_alu instid0(VALU_DEP_2) | instskip(NEXT) | instid1(VALU_DEP_2)
	v_ldexp_f32 v27, v27, -2
	v_sub_f32_e32 v28, v29, v31
	s_delay_alu instid0(VALU_DEP_1) | instskip(NEXT) | instid1(VALU_DEP_1)
	v_add_f32_e32 v26, v26, v28
	v_sub_f32_e32 v26, v26, v27
	s_delay_alu instid0(VALU_DEP_1) | instskip(NEXT) | instid1(VALU_DEP_1)
	v_add_f32_e32 v26, v32, v26
	v_cndmask_b32_e64 v26, 0x7f800000, v26, s0
	v_cmp_gt_f32_e64 s0, 0x39800000, |v25|
	s_delay_alu instid0(VALU_DEP_1) | instskip(NEXT) | instid1(VALU_DEP_1)
	v_cndmask_b32_e64 v25, v26, |v25|, s0
	v_cvt_f16_f32_e32 v25, v25
	s_delay_alu instid0(VALU_DEP_1) | instskip(SKIP_1) | instid1(VALU_DEP_1)
	v_bfi_b32 v26, 0x7fff, v25, v24
	v_add_co_u32 v24, s0, v14, s6
	v_add_co_ci_u32_e64 v25, s0, s7, v15, s0
	global_store_b16 v[24:25], v26, off
	s_or_b32 exec_lo, exec_lo, s1
	s_and_saveexec_b32 s0, vcc_lo
	s_cbranch_execz .LBB122_8
.LBB122_24:                             ;   in Loop: Header=BB122_9 Depth=1
	s_waitcnt vmcnt(0)
	v_cvt_f32_f16_e32 v24, v23
	s_delay_alu instid0(VALU_DEP_1) | instskip(SKIP_2) | instid1(VALU_DEP_3)
	v_add_f32_e64 v25, 0xbf317218, |v24|
	v_cmp_nlt_f32_e64 vcc_lo, 0x42b2d4fc, |v24|
	v_cmp_gt_f32_e64 s1, 0x39800000, |v24|
	v_sub_f32_e64 v26, v25, |v24|
	s_delay_alu instid0(VALU_DEP_1) | instskip(NEXT) | instid1(VALU_DEP_1)
	v_dual_sub_f32 v27, v26, v25 :: v_dual_add_f32 v26, 0x3f317218, v26
	v_add_f32_e64 v27, |v24|, v27
	s_delay_alu instid0(VALU_DEP_1) | instskip(NEXT) | instid1(VALU_DEP_1)
	v_sub_f32_e32 v26, v27, v26
	v_add_f32_e32 v26, 0x3102e308, v26
	s_delay_alu instid0(VALU_DEP_1) | instskip(NEXT) | instid1(VALU_DEP_1)
	v_add_f32_e32 v27, v25, v26
	v_sub_f32_e32 v25, v25, v27
	s_delay_alu instid0(VALU_DEP_1) | instskip(NEXT) | instid1(VALU_DEP_1)
	v_dual_mul_f32 v28, 0x3fb8aa3b, v27 :: v_dual_add_f32 v25, v26, v25
	v_rndne_f32_e32 v28, v28
	s_delay_alu instid0(VALU_DEP_1) | instskip(SKIP_1) | instid1(VALU_DEP_1)
	v_mul_f32_e32 v26, 0x35bfbc00, v28
	v_fmac_f32_e32 v27, 0xbf317200, v28
	v_add_f32_e32 v29, v25, v27
	s_delay_alu instid0(VALU_DEP_1) | instskip(NEXT) | instid1(VALU_DEP_1)
	v_dual_sub_f32 v30, v29, v26 :: v_dual_sub_f32 v27, v27, v29
	v_sub_f32_e32 v29, v29, v30
	s_delay_alu instid0(VALU_DEP_1) | instskip(NEXT) | instid1(VALU_DEP_3)
	v_sub_f32_e32 v26, v29, v26
	v_add_f32_e32 v25, v25, v27
	s_delay_alu instid0(VALU_DEP_1) | instskip(NEXT) | instid1(VALU_DEP_1)
	v_dual_add_f32 v25, v25, v26 :: v_dual_mul_f32 v26, 0x2ea39ef3, v28
	v_add_f32_e32 v27, v30, v25
	s_delay_alu instid0(VALU_DEP_1) | instskip(NEXT) | instid1(VALU_DEP_1)
	v_dual_sub_f32 v29, v27, v26 :: v_dual_sub_f32 v30, v30, v27
	v_sub_f32_e32 v27, v27, v29
	s_delay_alu instid0(VALU_DEP_2) | instskip(NEXT) | instid1(VALU_DEP_2)
	v_add_f32_e32 v25, v25, v30
	v_sub_f32_e32 v26, v27, v26
	s_delay_alu instid0(VALU_DEP_1) | instskip(NEXT) | instid1(VALU_DEP_1)
	v_add_f32_e32 v25, v25, v26
	v_add_f32_e32 v26, v29, v25
	s_delay_alu instid0(VALU_DEP_1) | instskip(SKIP_1) | instid1(VALU_DEP_2)
	v_sub_f32_e32 v27, v29, v26
	v_mul_f32_e32 v29, v26, v26
	v_add_f32_e32 v25, v25, v27
	v_fmaak_f32 v27, s13, v26, 0x3c091de6
	s_delay_alu instid0(VALU_DEP_3) | instskip(NEXT) | instid1(VALU_DEP_3)
	v_fma_f32 v30, v26, v26, -v29
	v_add_f32_e32 v31, v25, v25
	s_delay_alu instid0(VALU_DEP_3) | instskip(NEXT) | instid1(VALU_DEP_2)
	v_fmaak_f32 v27, v26, v27, 0x3d2aadcc
	v_fmac_f32_e32 v30, v26, v31
	s_delay_alu instid0(VALU_DEP_2) | instskip(NEXT) | instid1(VALU_DEP_2)
	v_fmaak_f32 v27, v26, v27, 0x3e2aaa47
	v_add_f32_e32 v31, v29, v30
	s_delay_alu instid0(VALU_DEP_2) | instskip(NEXT) | instid1(VALU_DEP_2)
	v_fmaak_f32 v27, v26, v27, 0x3efffffc
	v_sub_f32_e32 v29, v31, v29
	s_delay_alu instid0(VALU_DEP_1) | instskip(NEXT) | instid1(VALU_DEP_1)
	v_dual_mul_f32 v32, v27, v31 :: v_dual_sub_f32 v29, v30, v29
	v_fma_f32 v30, v31, v27, -v32
	s_delay_alu instid0(VALU_DEP_1) | instskip(NEXT) | instid1(VALU_DEP_1)
	v_fmac_f32_e32 v30, v29, v27
	v_add_f32_e32 v27, v32, v30
	s_delay_alu instid0(VALU_DEP_1) | instskip(SKIP_1) | instid1(VALU_DEP_2)
	v_sub_f32_e32 v31, v27, v32
	v_add_f32_e32 v29, v26, v27
	v_sub_f32_e32 v30, v30, v31
	s_delay_alu instid0(VALU_DEP_2) | instskip(NEXT) | instid1(VALU_DEP_1)
	v_sub_f32_e32 v26, v29, v26
	v_sub_f32_e32 v26, v27, v26
	s_delay_alu instid0(VALU_DEP_3) | instskip(NEXT) | instid1(VALU_DEP_1)
	v_add_f32_e32 v25, v25, v30
	v_add_f32_e32 v25, v25, v26
	s_delay_alu instid0(VALU_DEP_1) | instskip(NEXT) | instid1(VALU_DEP_1)
	v_add_f32_e32 v26, v29, v25
	v_add_f32_e32 v27, 1.0, v26
	s_delay_alu instid0(VALU_DEP_1) | instskip(NEXT) | instid1(VALU_DEP_1)
	v_dual_sub_f32 v29, v26, v29 :: v_dual_add_f32 v30, -1.0, v27
	v_dual_sub_f32 v25, v25, v29 :: v_dual_sub_f32 v26, v26, v30
	s_delay_alu instid0(VALU_DEP_1) | instskip(SKIP_1) | instid1(VALU_DEP_2)
	v_add_f32_e32 v25, v25, v26
	v_cvt_i32_f32_e32 v26, v28
	v_add_f32_e32 v28, v27, v25
	s_delay_alu instid0(VALU_DEP_1) | instskip(NEXT) | instid1(VALU_DEP_1)
	v_ldexp_f32 v29, v28, v26
	v_rcp_f32_e32 v30, v29
	v_sub_f32_e32 v27, v28, v27
	s_delay_alu instid0(VALU_DEP_1) | instskip(SKIP_3) | instid1(VALU_DEP_2)
	v_sub_f32_e32 v25, v25, v27
	s_waitcnt_depctr 0xfff
	v_mul_f32_e32 v27, v29, v30
	v_ldexp_f32 v25, v25, v26
	v_fma_f32 v26, v30, v29, -v27
	s_delay_alu instid0(VALU_DEP_1) | instskip(NEXT) | instid1(VALU_DEP_1)
	v_fmac_f32_e32 v26, v30, v25
	v_add_f32_e32 v28, v27, v26
	s_delay_alu instid0(VALU_DEP_1) | instskip(SKIP_1) | instid1(VALU_DEP_2)
	v_sub_f32_e32 v31, 1.0, v28
	v_sub_f32_e32 v27, v28, v27
	v_sub_f32_e32 v32, 1.0, v31
	s_delay_alu instid0(VALU_DEP_1) | instskip(NEXT) | instid1(VALU_DEP_1)
	v_dual_sub_f32 v26, v27, v26 :: v_dual_sub_f32 v27, v32, v28
	v_add_f32_e32 v26, v26, v27
	s_delay_alu instid0(VALU_DEP_1) | instskip(NEXT) | instid1(VALU_DEP_1)
	v_add_f32_e32 v27, v31, v26
	v_mul_f32_e32 v28, v30, v27
	s_delay_alu instid0(VALU_DEP_1) | instskip(NEXT) | instid1(VALU_DEP_1)
	v_dual_sub_f32 v31, v31, v27 :: v_dual_mul_f32 v32, v29, v28
	v_add_f32_e32 v26, v26, v31
	s_delay_alu instid0(VALU_DEP_2) | instskip(NEXT) | instid1(VALU_DEP_1)
	v_fma_f32 v33, v28, v29, -v32
	v_fmac_f32_e32 v33, v28, v25
	s_delay_alu instid0(VALU_DEP_1) | instskip(NEXT) | instid1(VALU_DEP_1)
	v_add_f32_e32 v34, v32, v33
	v_sub_f32_e32 v35, v27, v34
	v_sub_f32_e32 v31, v34, v32
	s_delay_alu instid0(VALU_DEP_2) | instskip(NEXT) | instid1(VALU_DEP_2)
	v_sub_f32_e32 v27, v27, v35
	v_sub_f32_e32 v31, v31, v33
	s_delay_alu instid0(VALU_DEP_2) | instskip(NEXT) | instid1(VALU_DEP_1)
	v_sub_f32_e32 v27, v27, v34
	v_add_f32_e32 v26, v26, v27
	s_delay_alu instid0(VALU_DEP_1) | instskip(NEXT) | instid1(VALU_DEP_1)
	v_dual_add_f32 v27, v30, v28 :: v_dual_add_f32 v26, v31, v26
	v_sub_f32_e32 v31, v27, v30
	s_delay_alu instid0(VALU_DEP_2) | instskip(NEXT) | instid1(VALU_DEP_2)
	v_add_f32_e32 v26, v35, v26
	v_sub_f32_e32 v28, v28, v31
	s_delay_alu instid0(VALU_DEP_2) | instskip(NEXT) | instid1(VALU_DEP_1)
	v_mul_f32_e32 v26, v30, v26
	v_add_f32_e32 v26, v28, v26
	s_delay_alu instid0(VALU_DEP_1) | instskip(NEXT) | instid1(VALU_DEP_1)
	v_add_f32_e32 v28, v27, v26
	v_ldexp_f32 v30, v28, -2
	v_sub_f32_e32 v27, v28, v27
	s_delay_alu instid0(VALU_DEP_1) | instskip(NEXT) | instid1(VALU_DEP_1)
	v_dual_sub_f32 v31, v29, v30 :: v_dual_sub_f32 v26, v26, v27
	v_sub_f32_e32 v28, v29, v31
	s_delay_alu instid0(VALU_DEP_2) | instskip(NEXT) | instid1(VALU_DEP_2)
	v_ldexp_f32 v26, v26, -2
	v_sub_f32_e32 v27, v28, v30
	s_delay_alu instid0(VALU_DEP_1) | instskip(NEXT) | instid1(VALU_DEP_1)
	v_add_f32_e32 v25, v25, v27
	v_sub_f32_e32 v25, v25, v26
	s_delay_alu instid0(VALU_DEP_1) | instskip(NEXT) | instid1(VALU_DEP_1)
	v_add_f32_e32 v25, v31, v25
	v_cndmask_b32_e32 v25, 0x7f800000, v25, vcc_lo
	s_delay_alu instid0(VALU_DEP_1) | instskip(NEXT) | instid1(VALU_DEP_1)
	v_cndmask_b32_e64 v24, v25, |v24|, s1
	v_cvt_f16_f32_e32 v24, v24
	s_delay_alu instid0(VALU_DEP_1)
	v_bfi_b32 v25, 0x7fff, v24, v23
	v_add_co_u32 v23, vcc_lo, v7, s6
	v_add_co_ci_u32_e32 v24, vcc_lo, s7, v8, vcc_lo
	global_store_b16 v[23:24], v25, off
	s_branch .LBB122_8
.LBB122_25:
	s_nop 0
	s_sendmsg sendmsg(MSG_DEALLOC_VGPRS)
	s_endpgm
	.section	.rodata,"a",@progbits
	.p2align	6, 0x0
	.amdhsa_kernel _ZN2at6native12_GLOBAL__N_125multi_tensor_apply_kernelINS1_18TensorListMetadataILi2EEENS1_14UnaryOpFunctorIN3c104HalfELi2ELi1ELi1EEEJNS0_4SinhIfEEEEEvT_T0_DpT1_
		.amdhsa_group_segment_fixed_size 0
		.amdhsa_private_segment_fixed_size 0
		.amdhsa_kernarg_size 3408
		.amdhsa_user_sgpr_count 15
		.amdhsa_user_sgpr_dispatch_ptr 0
		.amdhsa_user_sgpr_queue_ptr 0
		.amdhsa_user_sgpr_kernarg_segment_ptr 1
		.amdhsa_user_sgpr_dispatch_id 0
		.amdhsa_user_sgpr_private_segment_size 0
		.amdhsa_wavefront_size32 1
		.amdhsa_uses_dynamic_stack 0
		.amdhsa_enable_private_segment 0
		.amdhsa_system_sgpr_workgroup_id_x 1
		.amdhsa_system_sgpr_workgroup_id_y 0
		.amdhsa_system_sgpr_workgroup_id_z 0
		.amdhsa_system_sgpr_workgroup_info 0
		.amdhsa_system_vgpr_workitem_id 0
		.amdhsa_next_free_vgpr 56
		.amdhsa_next_free_sgpr 24
		.amdhsa_reserve_vcc 1
		.amdhsa_float_round_mode_32 0
		.amdhsa_float_round_mode_16_64 0
		.amdhsa_float_denorm_mode_32 3
		.amdhsa_float_denorm_mode_16_64 3
		.amdhsa_dx10_clamp 1
		.amdhsa_ieee_mode 1
		.amdhsa_fp16_overflow 0
		.amdhsa_workgroup_processor_mode 1
		.amdhsa_memory_ordered 1
		.amdhsa_forward_progress 0
		.amdhsa_shared_vgpr_count 0
		.amdhsa_exception_fp_ieee_invalid_op 0
		.amdhsa_exception_fp_denorm_src 0
		.amdhsa_exception_fp_ieee_div_zero 0
		.amdhsa_exception_fp_ieee_overflow 0
		.amdhsa_exception_fp_ieee_underflow 0
		.amdhsa_exception_fp_ieee_inexact 0
		.amdhsa_exception_int_div_zero 0
	.end_amdhsa_kernel
	.section	.text._ZN2at6native12_GLOBAL__N_125multi_tensor_apply_kernelINS1_18TensorListMetadataILi2EEENS1_14UnaryOpFunctorIN3c104HalfELi2ELi1ELi1EEEJNS0_4SinhIfEEEEEvT_T0_DpT1_,"axG",@progbits,_ZN2at6native12_GLOBAL__N_125multi_tensor_apply_kernelINS1_18TensorListMetadataILi2EEENS1_14UnaryOpFunctorIN3c104HalfELi2ELi1ELi1EEEJNS0_4SinhIfEEEEEvT_T0_DpT1_,comdat
.Lfunc_end122:
	.size	_ZN2at6native12_GLOBAL__N_125multi_tensor_apply_kernelINS1_18TensorListMetadataILi2EEENS1_14UnaryOpFunctorIN3c104HalfELi2ELi1ELi1EEEJNS0_4SinhIfEEEEEvT_T0_DpT1_, .Lfunc_end122-_ZN2at6native12_GLOBAL__N_125multi_tensor_apply_kernelINS1_18TensorListMetadataILi2EEENS1_14UnaryOpFunctorIN3c104HalfELi2ELi1ELi1EEEJNS0_4SinhIfEEEEEvT_T0_DpT1_
                                        ; -- End function
	.section	.AMDGPU.csdata,"",@progbits
; Kernel info:
; codeLenInByte = 7380
; NumSgprs: 26
; NumVgprs: 56
; ScratchSize: 0
; MemoryBound: 0
; FloatMode: 240
; IeeeMode: 1
; LDSByteSize: 0 bytes/workgroup (compile time only)
; SGPRBlocks: 3
; VGPRBlocks: 6
; NumSGPRsForWavesPerEU: 26
; NumVGPRsForWavesPerEU: 56
; Occupancy: 16
; WaveLimiterHint : 0
; COMPUTE_PGM_RSRC2:SCRATCH_EN: 0
; COMPUTE_PGM_RSRC2:USER_SGPR: 15
; COMPUTE_PGM_RSRC2:TRAP_HANDLER: 0
; COMPUTE_PGM_RSRC2:TGID_X_EN: 1
; COMPUTE_PGM_RSRC2:TGID_Y_EN: 0
; COMPUTE_PGM_RSRC2:TGID_Z_EN: 0
; COMPUTE_PGM_RSRC2:TIDIG_COMP_CNT: 0
	.section	.text._ZN2at6native12_GLOBAL__N_125multi_tensor_apply_kernelINS1_18TensorListMetadataILi2EEENS1_14UnaryOpFunctorIN3c108BFloat16ELi2ELi1ELi1EEEJNS0_4SinhIfEEEEEvT_T0_DpT1_,"axG",@progbits,_ZN2at6native12_GLOBAL__N_125multi_tensor_apply_kernelINS1_18TensorListMetadataILi2EEENS1_14UnaryOpFunctorIN3c108BFloat16ELi2ELi1ELi1EEEJNS0_4SinhIfEEEEEvT_T0_DpT1_,comdat
	.globl	_ZN2at6native12_GLOBAL__N_125multi_tensor_apply_kernelINS1_18TensorListMetadataILi2EEENS1_14UnaryOpFunctorIN3c108BFloat16ELi2ELi1ELi1EEEJNS0_4SinhIfEEEEEvT_T0_DpT1_ ; -- Begin function _ZN2at6native12_GLOBAL__N_125multi_tensor_apply_kernelINS1_18TensorListMetadataILi2EEENS1_14UnaryOpFunctorIN3c108BFloat16ELi2ELi1ELi1EEEJNS0_4SinhIfEEEEEvT_T0_DpT1_
	.p2align	8
	.type	_ZN2at6native12_GLOBAL__N_125multi_tensor_apply_kernelINS1_18TensorListMetadataILi2EEENS1_14UnaryOpFunctorIN3c108BFloat16ELi2ELi1ELi1EEEJNS0_4SinhIfEEEEEvT_T0_DpT1_,@function
_ZN2at6native12_GLOBAL__N_125multi_tensor_apply_kernelINS1_18TensorListMetadataILi2EEENS1_14UnaryOpFunctorIN3c108BFloat16ELi2ELi1ELi1EEEJNS0_4SinhIfEEEEEvT_T0_DpT1_: ; @_ZN2at6native12_GLOBAL__N_125multi_tensor_apply_kernelINS1_18TensorListMetadataILi2EEENS1_14UnaryOpFunctorIN3c108BFloat16ELi2ELi1ELi1EEEJNS0_4SinhIfEEEEEvT_T0_DpT1_
; %bb.0:
	v_mov_b32_e32 v1, s15
	s_add_u32 s2, s0, s15
	s_mul_hi_u32 s3, s15, 3
	s_mul_i32 s15, s15, 3
	s_addc_u32 s4, s1, 0
	global_load_u8 v1, v1, s[0:1] offset:1536
	s_add_u32 s2, s2, s15
	s_addc_u32 s3, s4, s3
	s_mov_b32 s7, 0
	s_load_b32 s2, s[2:3], 0x740
	s_mov_b32 s17, s7
	s_mov_b32 s11, s7
	s_waitcnt vmcnt(0)
	v_readfirstlane_b32 s5, v1
	s_delay_alu instid0(VALU_DEP_1)
	s_lshl_b32 s3, s5, 3
	s_clause 0x2
	s_load_b64 s[12:13], s[0:1], s3 offset:0x0
	s_load_b64 s[14:15], s[0:1], s3 offset:0x200
	;; [unrolled: 1-line block ×3, first 2 shown]
	s_waitcnt lgkmcnt(0)
	s_ashr_i32 s3, s2, 31
	s_delay_alu instid0(SALU_CYCLE_1) | instskip(SKIP_4) | instid1(SALU_CYCLE_1)
	s_lshl_b64 s[8:9], s[2:3], 17
	s_lshl_b64 s[2:3], s[2:3], 16
	s_and_b32 s6, s12, 7
	s_and_b32 s10, s14, 7
	;; [unrolled: 1-line block ×3, first 2 shown]
	s_or_b64 s[6:7], s[6:7], s[16:17]
	s_delay_alu instid0(SALU_CYCLE_1)
	s_or_b64 s[6:7], s[10:11], s[6:7]
	s_sub_u32 s10, s4, s2
	s_subb_u32 s11, s5, s3
	s_cmp_eq_u64 s[6:7], 0
	s_mov_b32 s2, -1
	s_cbranch_scc0 .LBB123_5
; %bb.1:
	v_dual_mov_b32 v2, 0 :: v_dual_lshlrev_b32 v1, 2, v0
	s_mov_b32 s7, exec_lo
	s_delay_alu instid0(VALU_DEP_1)
	v_cmpx_gt_i64_e64 s[10:11], v[1:2]
	s_cbranch_execz .LBB123_4
; %bb.2:
	s_load_b32 s2, s[0:1], 0xc5c
	v_lshlrev_b32_e32 v1, 3, v0
	s_mov_b32 s16, 0
	s_mov_b32 s19, 0x3ab42872
	s_delay_alu instid0(VALU_DEP_1) | instskip(NEXT) | instid1(VALU_DEP_1)
	v_add_co_u32 v7, s3, s8, v1
	v_add_co_ci_u32_e64 v8, null, s9, 0, s3
	s_waitcnt lgkmcnt(0)
	s_and_b32 s2, s2, 0xffff
	s_delay_alu instid0(SALU_CYCLE_1)
	v_add_lshl_u32 v1, v0, s2, 2
	s_lshl_b32 s17, s2, 3
	s_lshl_b32 s18, s2, 2
.LBB123_3:                              ; =>This Inner Loop Header: Depth=1
	v_add_co_u32 v3, vcc_lo, s12, v7
	v_add_co_ci_u32_e32 v4, vcc_lo, s13, v8, vcc_lo
	v_add_co_u32 v5, vcc_lo, s14, v7
	v_add_co_ci_u32_e32 v6, vcc_lo, s15, v8, vcc_lo
	global_load_b64 v[3:4], v[3:4], off
	v_cmp_le_i64_e32 vcc_lo, s[10:11], v[1:2]
	v_cmp_lt_u64_e64 s2, 0xffff, v[1:2]
	v_add_co_u32 v7, s3, v7, s17
	s_delay_alu instid0(VALU_DEP_1) | instskip(SKIP_1) | instid1(VALU_DEP_4)
	v_add_co_ci_u32_e64 v8, s3, 0, v8, s3
	v_add_co_u32 v1, s3, v1, s18
	s_or_b32 s2, vcc_lo, s2
	v_add_co_ci_u32_e64 v2, s3, 0, v2, s3
	s_and_b32 s2, exec_lo, s2
	s_delay_alu instid0(SALU_CYCLE_1)
	s_or_b32 s16, s2, s16
	s_waitcnt vmcnt(0)
	v_lshlrev_b32_e32 v9, 16, v3
	v_and_b32_e32 v10, 0xffff0000, v3
	v_alignbit_b32 v3, v4, v3, 16
	v_and_b32_e32 v4, 0xffff0000, v4
	s_delay_alu instid0(VALU_DEP_4) | instskip(NEXT) | instid1(VALU_DEP_4)
	v_add_f32_e64 v11, 0xbf317218, |v9|
	v_add_f32_e64 v12, 0xbf317218, |v10|
	s_delay_alu instid0(VALU_DEP_4) | instskip(NEXT) | instid1(VALU_DEP_4)
	v_and_b32_e32 v3, 0xffff0000, v3
	v_add_f32_e64 v13, 0xbf317218, |v4|
	s_delay_alu instid0(VALU_DEP_4) | instskip(NEXT) | instid1(VALU_DEP_4)
	v_sub_f32_e64 v14, v11, |v9|
	v_sub_f32_e64 v15, v12, |v10|
	s_delay_alu instid0(VALU_DEP_4) | instskip(NEXT) | instid1(VALU_DEP_4)
	v_add_f32_e64 v16, 0xbf317218, |v3|
	v_sub_f32_e64 v17, v13, |v4|
	s_delay_alu instid0(VALU_DEP_3) | instskip(NEXT) | instid1(VALU_DEP_3)
	v_dual_sub_f32 v18, v14, v11 :: v_dual_sub_f32 v19, v15, v12
	v_sub_f32_e64 v20, v16, |v3|
	v_dual_add_f32 v14, 0x3f317218, v14 :: v_dual_add_f32 v15, 0x3f317218, v15
	s_delay_alu instid0(VALU_DEP_4)
	v_sub_f32_e32 v21, v17, v13
	v_add_f32_e32 v17, 0x3f317218, v17
	v_add_f32_e64 v18, |v9|, v18
	v_add_f32_e64 v19, |v10|, v19
	v_sub_f32_e32 v22, v20, v16
	v_add_f32_e32 v20, 0x3f317218, v20
	v_add_f32_e64 v21, |v4|, v21
	s_delay_alu instid0(VALU_DEP_4) | instskip(NEXT) | instid1(VALU_DEP_4)
	v_dual_sub_f32 v14, v18, v14 :: v_dual_sub_f32 v15, v19, v15
	v_add_f32_e64 v18, |v3|, v22
	v_cmp_nlt_f32_e64 s4, 0x42b2d4fc, |v10|
	s_delay_alu instid0(VALU_DEP_3) | instskip(NEXT) | instid1(VALU_DEP_3)
	v_dual_sub_f32 v17, v21, v17 :: v_dual_add_f32 v14, 0x3102e308, v14
	v_dual_add_f32 v15, 0x3102e308, v15 :: v_dual_sub_f32 v18, v18, v20
	v_cmp_nlt_f32_e64 s6, 0x42b2d4fc, |v9|
	s_delay_alu instid0(VALU_DEP_3) | instskip(SKIP_1) | instid1(VALU_DEP_4)
	v_add_f32_e32 v17, 0x3102e308, v17
	v_cmp_gt_f32_e64 s20, 0x39800000, |v9|
	v_dual_add_f32 v20, v12, v15 :: v_dual_add_f32 v19, v11, v14
	s_delay_alu instid0(VALU_DEP_3) | instskip(SKIP_1) | instid1(VALU_DEP_3)
	v_dual_add_f32 v18, 0x3102e308, v18 :: v_dual_add_f32 v21, v13, v17
	v_cmp_nlt_f32_e64 s5, 0x42b2d4fc, |v4|
	v_dual_sub_f32 v12, v12, v20 :: v_dual_sub_f32 v11, v11, v19
	s_delay_alu instid0(VALU_DEP_3) | instskip(SKIP_1) | instid1(VALU_DEP_3)
	v_add_f32_e32 v24, v16, v18
	v_dual_mul_f32 v22, 0x3fb8aa3b, v19 :: v_dual_mul_f32 v23, 0x3fb8aa3b, v20
	v_dual_sub_f32 v13, v13, v21 :: v_dual_add_f32 v12, v15, v12
	s_delay_alu instid0(VALU_DEP_3) | instskip(SKIP_1) | instid1(VALU_DEP_4)
	v_dual_mul_f32 v25, 0x3fb8aa3b, v21 :: v_dual_sub_f32 v16, v16, v24
	v_add_f32_e32 v11, v14, v11
	v_rndne_f32_e32 v14, v22
	v_mul_f32_e32 v22, 0x3fb8aa3b, v24
	v_rndne_f32_e32 v15, v23
	v_add_f32_e32 v13, v17, v13
	v_rndne_f32_e32 v17, v25
	v_dual_fmac_f32 v19, 0xbf317200, v14 :: v_dual_add_f32 v16, v18, v16
	s_delay_alu instid0(VALU_DEP_4) | instskip(SKIP_2) | instid1(VALU_DEP_3)
	v_fmac_f32_e32 v20, 0xbf317200, v15
	v_rndne_f32_e32 v18, v22
	v_dual_mul_f32 v23, 0x35bfbc00, v14 :: v_dual_mul_f32 v26, 0x35bfbc00, v15
	v_dual_mul_f32 v27, 0x2ea39ef3, v15 :: v_dual_add_f32 v30, v12, v20
	s_delay_alu instid0(VALU_DEP_3) | instskip(SKIP_2) | instid1(VALU_DEP_3)
	v_dual_fmac_f32 v21, 0xbf317200, v17 :: v_dual_fmac_f32 v24, 0xbf317200, v18
	v_dual_mul_f32 v22, 0x35bfbc00, v17 :: v_dual_add_f32 v29, v11, v19
	v_mul_f32_e32 v31, 0x35bfbc00, v18
	v_dual_mul_f32 v32, 0x2ea39ef3, v18 :: v_dual_add_f32 v33, v13, v21
	s_delay_alu instid0(VALU_DEP_3) | instskip(SKIP_1) | instid1(VALU_DEP_3)
	v_dual_sub_f32 v20, v20, v30 :: v_dual_sub_f32 v19, v19, v29
	v_dual_sub_f32 v34, v29, v23 :: v_dual_sub_f32 v35, v30, v26
	v_dual_add_f32 v36, v16, v24 :: v_dual_sub_f32 v21, v21, v33
	s_delay_alu instid0(VALU_DEP_3) | instskip(NEXT) | instid1(VALU_DEP_3)
	v_dual_add_f32 v12, v12, v20 :: v_dual_sub_f32 v37, v33, v22
	v_sub_f32_e32 v20, v30, v35
	s_delay_alu instid0(VALU_DEP_3) | instskip(SKIP_1) | instid1(VALU_DEP_3)
	v_dual_add_f32 v11, v11, v19 :: v_dual_sub_f32 v24, v24, v36
	v_sub_f32_e32 v19, v29, v34
	v_dual_add_f32 v13, v13, v21 :: v_dual_sub_f32 v20, v20, v26
	s_delay_alu instid0(VALU_DEP_3) | instskip(NEXT) | instid1(VALU_DEP_3)
	v_dual_sub_f32 v21, v33, v37 :: v_dual_add_f32 v16, v16, v24
	v_sub_f32_e32 v19, v19, v23
	v_dual_mul_f32 v25, 0x2ea39ef3, v14 :: v_dual_mul_f32 v28, 0x2ea39ef3, v17
	s_delay_alu instid0(VALU_DEP_4) | instskip(SKIP_1) | instid1(VALU_DEP_4)
	v_add_f32_e32 v12, v12, v20
	v_cvt_i32_f32_e32 v14, v14
	v_add_f32_e32 v11, v11, v19
	v_sub_f32_e32 v21, v21, v22
	v_cvt_i32_f32_e32 v18, v18
	v_cvt_i32_f32_e32 v15, v15
	v_cvt_i32_f32_e32 v17, v17
	v_add_f32_e32 v20, v34, v11
	v_sub_f32_e32 v29, v36, v31
	v_add_f32_e32 v13, v13, v21
	v_add_f32_e32 v21, v35, v12
	s_delay_alu instid0(VALU_DEP_3) | instskip(NEXT) | instid1(VALU_DEP_2)
	v_dual_sub_f32 v22, v34, v20 :: v_dual_sub_f32 v23, v36, v29
	v_sub_f32_e32 v26, v21, v27
	s_delay_alu instid0(VALU_DEP_2) | instskip(NEXT) | instid1(VALU_DEP_1)
	v_sub_f32_e32 v19, v23, v31
	v_add_f32_e32 v16, v16, v19
	s_delay_alu instid0(VALU_DEP_1) | instskip(NEXT) | instid1(VALU_DEP_1)
	v_dual_add_f32 v30, v29, v16 :: v_dual_sub_f32 v23, v20, v25
	v_dual_add_f32 v19, v37, v13 :: v_dual_sub_f32 v20, v20, v23
	v_dual_sub_f32 v24, v35, v21 :: v_dual_sub_f32 v21, v21, v26
	s_delay_alu instid0(VALU_DEP_2) | instskip(NEXT) | instid1(VALU_DEP_2)
	v_sub_f32_e32 v20, v20, v25
	v_add_f32_e32 v12, v12, v24
	s_delay_alu instid0(VALU_DEP_4) | instskip(NEXT) | instid1(VALU_DEP_4)
	v_dual_sub_f32 v24, v30, v32 :: v_dual_sub_f32 v31, v37, v19
	v_sub_f32_e32 v21, v21, v27
	v_add_f32_e32 v11, v11, v22
	v_dual_sub_f32 v22, v29, v30 :: v_dual_sub_f32 v33, v19, v28
	s_delay_alu instid0(VALU_DEP_3) | instskip(NEXT) | instid1(VALU_DEP_2)
	v_dual_add_f32 v13, v13, v31 :: v_dual_add_f32 v12, v12, v21
	v_dual_add_f32 v11, v11, v20 :: v_dual_add_f32 v16, v16, v22
	v_sub_f32_e32 v22, v30, v24
	s_delay_alu instid0(VALU_DEP_3) | instskip(NEXT) | instid1(VALU_DEP_2)
	v_add_f32_e32 v21, v26, v12
	v_dual_sub_f32 v20, v22, v32 :: v_dual_sub_f32 v19, v19, v33
	s_delay_alu instid0(VALU_DEP_1) | instskip(NEXT) | instid1(VALU_DEP_2)
	v_add_f32_e32 v16, v16, v20
	v_dual_sub_f32 v19, v19, v28 :: v_dual_mul_f32 v28, v21, v21
	s_delay_alu instid0(VALU_DEP_1) | instskip(SKIP_1) | instid1(VALU_DEP_1)
	v_add_f32_e32 v13, v13, v19
	v_add_f32_e32 v19, v23, v11
	v_fmaak_f32 v22, s19, v19, 0x3c091de6
	s_delay_alu instid0(VALU_DEP_1) | instskip(SKIP_3) | instid1(VALU_DEP_4)
	v_fmaak_f32 v22, v19, v22, 0x3d2aadcc
	v_sub_f32_e32 v26, v26, v21
	v_dual_add_f32 v20, v33, v13 :: v_dual_sub_f32 v23, v23, v19
	v_mul_f32_e32 v25, v19, v19
	v_dual_add_f32 v29, v24, v16 :: v_dual_fmaak_f32 v22, v19, v22, 0x3e2aaa47
	s_delay_alu instid0(VALU_DEP_3) | instskip(SKIP_1) | instid1(VALU_DEP_3)
	v_fmaak_f32 v30, s19, v20, 0x3c091de6
	v_dual_add_f32 v12, v12, v26 :: v_dual_fmaak_f32 v27, s19, v21, 0x3c091de6
	v_dual_sub_f32 v31, v33, v20 :: v_dual_sub_f32 v24, v24, v29
	v_dual_mul_f32 v32, v20, v20 :: v_dual_add_f32 v11, v11, v23
	v_mul_f32_e32 v34, v29, v29
	v_fmaak_f32 v30, v20, v30, 0x3d2aadcc
	v_dual_add_f32 v36, v12, v12 :: v_dual_fmaak_f32 v27, v21, v27, 0x3d2aadcc
	v_fma_f32 v23, v19, v19, -v25
	v_fma_f32 v26, v21, v21, -v28
	v_dual_fmaak_f32 v33, s19, v29, 0x3c091de6 :: v_dual_add_f32 v16, v16, v24
	v_dual_add_f32 v13, v13, v31 :: v_dual_fmaak_f32 v30, v20, v30, 0x3e2aaa47
	s_delay_alu instid0(VALU_DEP_3) | instskip(SKIP_2) | instid1(VALU_DEP_4)
	v_dual_add_f32 v35, v11, v11 :: v_dual_fmac_f32 v26, v21, v36
	v_fma_f32 v31, v20, v20, -v32
	v_fma_f32 v24, v29, v29, -v34
	v_dual_add_f32 v37, v13, v13 :: v_dual_fmaak_f32 v22, v19, v22, 0x3efffffc
	s_delay_alu instid0(VALU_DEP_4) | instskip(NEXT) | instid1(VALU_DEP_1)
	v_dual_fmac_f32 v23, v19, v35 :: v_dual_fmaak_f32 v30, v20, v30, 0x3efffffc
	v_dual_add_f32 v35, v16, v16 :: v_dual_add_f32 v36, v25, v23
	s_delay_alu instid0(VALU_DEP_1) | instskip(SKIP_1) | instid1(VALU_DEP_3)
	v_dual_fmac_f32 v31, v20, v37 :: v_dual_fmac_f32 v24, v29, v35
	v_fmaak_f32 v27, v21, v27, 0x3e2aaa47
	v_dual_fmaak_f32 v33, v29, v33, 0x3d2aadcc :: v_dual_mul_f32 v38, v22, v36
	s_delay_alu instid0(VALU_DEP_3) | instskip(NEXT) | instid1(VALU_DEP_4)
	v_dual_add_f32 v40, v34, v24 :: v_dual_add_f32 v37, v28, v26
	v_add_f32_e32 v35, v32, v31
	s_delay_alu instid0(VALU_DEP_2) | instskip(NEXT) | instid1(VALU_DEP_3)
	v_sub_f32_e32 v34, v40, v34
	v_sub_f32_e32 v28, v37, v28
	s_delay_alu instid0(VALU_DEP_3) | instskip(NEXT) | instid1(VALU_DEP_2)
	v_dual_fmaak_f32 v27, v21, v27, 0x3efffffc :: v_dual_sub_f32 v32, v35, v32
	v_dual_fmaak_f32 v33, v29, v33, 0x3e2aaa47 :: v_dual_sub_f32 v26, v26, v28
	v_sub_f32_e32 v25, v36, v25
	s_delay_alu instid0(VALU_DEP_3) | instskip(SKIP_1) | instid1(VALU_DEP_4)
	v_sub_f32_e32 v31, v31, v32
	v_mul_f32_e32 v41, v30, v35
	v_fmaak_f32 v33, v29, v33, 0x3efffffc
	s_delay_alu instid0(VALU_DEP_2) | instskip(NEXT) | instid1(VALU_DEP_1)
	v_fma_f32 v32, v35, v30, -v41
	v_fmac_f32_e32 v32, v31, v30
	v_sub_f32_e32 v23, v23, v25
	v_fma_f32 v25, v36, v22, -v38
	v_dual_mul_f32 v36, v33, v40 :: v_dual_mul_f32 v39, v27, v37
	s_delay_alu instid0(VALU_DEP_2) | instskip(SKIP_1) | instid1(VALU_DEP_3)
	v_fmac_f32_e32 v25, v23, v22
	v_sub_f32_e32 v22, v24, v34
	v_fma_f32 v28, v37, v27, -v39
	s_delay_alu instid0(VALU_DEP_4) | instskip(NEXT) | instid1(VALU_DEP_2)
	v_fma_f32 v23, v40, v33, -v36
	v_fmac_f32_e32 v28, v26, v27
	s_delay_alu instid0(VALU_DEP_2) | instskip(NEXT) | instid1(VALU_DEP_2)
	v_dual_fmac_f32 v23, v22, v33 :: v_dual_add_f32 v22, v41, v32
	v_add_f32_e32 v26, v39, v28
	s_delay_alu instid0(VALU_DEP_2) | instskip(NEXT) | instid1(VALU_DEP_3)
	v_add_f32_e32 v34, v36, v23
	v_dual_add_f32 v24, v38, v25 :: v_dual_add_f32 v37, v20, v22
	s_delay_alu instid0(VALU_DEP_3) | instskip(SKIP_1) | instid1(VALU_DEP_3)
	v_sub_f32_e32 v31, v26, v39
	v_add_f32_e32 v33, v21, v26
	v_dual_sub_f32 v27, v24, v38 :: v_dual_add_f32 v30, v19, v24
	s_delay_alu instid0(VALU_DEP_4) | instskip(NEXT) | instid1(VALU_DEP_2)
	v_sub_f32_e32 v20, v37, v20
	v_sub_f32_e32 v25, v25, v27
	;; [unrolled: 1-line block ×6, first 2 shown]
	s_delay_alu instid0(VALU_DEP_4) | instskip(NEXT) | instid1(VALU_DEP_3)
	v_dual_add_f32 v12, v12, v27 :: v_dual_sub_f32 v21, v33, v21
	v_dual_sub_f32 v32, v32, v35 :: v_dual_sub_f32 v23, v23, v28
	v_add_f32_e32 v31, v29, v34
	s_delay_alu instid0(VALU_DEP_3) | instskip(SKIP_1) | instid1(VALU_DEP_4)
	v_sub_f32_e32 v21, v26, v21
	v_sub_f32_e32 v19, v30, v19
	v_dual_add_f32 v16, v16, v23 :: v_dual_add_f32 v11, v11, v25
	s_delay_alu instid0(VALU_DEP_3) | instskip(NEXT) | instid1(VALU_DEP_3)
	v_dual_add_f32 v13, v13, v32 :: v_dual_add_f32 v12, v12, v21
	v_dual_sub_f32 v19, v24, v19 :: v_dual_sub_f32 v24, v31, v29
	s_delay_alu instid0(VALU_DEP_2) | instskip(NEXT) | instid1(VALU_DEP_2)
	v_add_f32_e32 v21, v33, v12
	v_add_f32_e32 v11, v11, v19
	s_delay_alu instid0(VALU_DEP_2) | instskip(SKIP_2) | instid1(VALU_DEP_3)
	v_dual_sub_f32 v19, v34, v24 :: v_dual_sub_f32 v24, v21, v33
	v_add_f32_e32 v25, 1.0, v21
	v_add_f32_e32 v13, v13, v20
	v_sub_f32_e32 v12, v12, v24
	s_delay_alu instid0(VALU_DEP_3) | instskip(SKIP_1) | instid1(VALU_DEP_1)
	v_add_f32_e32 v24, -1.0, v25
	v_add_f32_e32 v20, v30, v11
	v_dual_sub_f32 v22, v20, v30 :: v_dual_add_f32 v23, 1.0, v20
	s_delay_alu instid0(VALU_DEP_1) | instskip(SKIP_1) | instid1(VALU_DEP_2)
	v_dual_sub_f32 v11, v11, v22 :: v_dual_add_f32 v22, -1.0, v23
	v_dual_add_f32 v16, v16, v19 :: v_dual_add_f32 v19, v37, v13
	v_sub_f32_e32 v20, v20, v22
	s_delay_alu instid0(VALU_DEP_2) | instskip(NEXT) | instid1(VALU_DEP_3)
	v_add_f32_e32 v26, v31, v16
	v_add_f32_e32 v28, 1.0, v19
	s_delay_alu instid0(VALU_DEP_2) | instskip(NEXT) | instid1(VALU_DEP_1)
	v_dual_add_f32 v30, 1.0, v26 :: v_dual_sub_f32 v21, v21, v24
	v_dual_add_f32 v22, -1.0, v30 :: v_dual_sub_f32 v27, v19, v37
	s_delay_alu instid0(VALU_DEP_2) | instskip(NEXT) | instid1(VALU_DEP_2)
	v_dual_add_f32 v12, v12, v21 :: v_dual_add_f32 v11, v11, v20
	v_sub_f32_e32 v20, v26, v22
	v_sub_f32_e32 v29, v26, v31
	s_delay_alu instid0(VALU_DEP_1) | instskip(NEXT) | instid1(VALU_DEP_1)
	v_sub_f32_e32 v16, v16, v29
	v_dual_add_f32 v16, v16, v20 :: v_dual_sub_f32 v13, v13, v27
	v_add_f32_e32 v27, -1.0, v28
	s_delay_alu instid0(VALU_DEP_1) | instskip(NEXT) | instid1(VALU_DEP_1)
	v_dual_add_f32 v24, v30, v16 :: v_dual_sub_f32 v19, v19, v27
	v_sub_f32_e32 v26, v24, v30
	v_ldexp_f32 v24, v24, v18
	s_delay_alu instid0(VALU_DEP_3) | instskip(SKIP_1) | instid1(VALU_DEP_1)
	v_add_f32_e32 v13, v13, v19
	v_add_f32_e32 v19, v23, v11
	v_sub_f32_e32 v22, v19, v23
	v_ldexp_f32 v19, v19, v14
	v_add_f32_e32 v21, v25, v12
	s_delay_alu instid0(VALU_DEP_1) | instskip(NEXT) | instid1(VALU_DEP_1)
	v_sub_f32_e32 v23, v21, v25
	v_dual_sub_f32 v12, v12, v23 :: v_dual_sub_f32 v11, v11, v22
	s_delay_alu instid0(VALU_DEP_4) | instskip(NEXT) | instid1(VALU_DEP_1)
	v_rcp_f32_e32 v22, v19
	v_ldexp_f32 v12, v12, v15
	s_delay_alu instid0(VALU_DEP_2)
	v_ldexp_f32 v11, v11, v14
	v_sub_f32_e32 v14, v16, v26
	v_add_f32_e32 v20, v28, v13
	s_waitcnt_depctr 0xfff
	v_mul_f32_e32 v16, v19, v22
	v_ldexp_f32 v21, v21, v15
	v_rcp_f32_e32 v15, v24
	v_ldexp_f32 v14, v14, v18
	s_delay_alu instid0(VALU_DEP_3) | instskip(SKIP_3) | instid1(VALU_DEP_3)
	v_fma_f32 v26, v22, v19, -v16
	v_sub_f32_e32 v25, v20, v28
	v_ldexp_f32 v20, v20, v17
	v_rcp_f32_e32 v23, v21
	v_fmac_f32_e32 v26, v22, v11
	s_delay_alu instid0(TRANS32_DEP_2) | instskip(NEXT) | instid1(VALU_DEP_2)
	v_mul_f32_e32 v28, v24, v15
	v_add_f32_e32 v31, v16, v26
	s_delay_alu instid0(VALU_DEP_2) | instskip(SKIP_2) | instid1(VALU_DEP_3)
	v_fma_f32 v30, v15, v24, -v28
	v_sub_f32_e32 v13, v13, v25
	v_rcp_f32_e32 v25, v20
	v_sub_f32_e32 v16, v31, v16
	v_sub_f32_e32 v34, 1.0, v31
	v_fmac_f32_e32 v30, v15, v14
	v_ldexp_f32 v13, v13, v17
	s_delay_alu instid0(VALU_DEP_4) | instskip(NEXT) | instid1(VALU_DEP_4)
	v_dual_mul_f32 v17, v21, v23 :: v_dual_sub_f32 v16, v16, v26
	v_sub_f32_e32 v38, 1.0, v34
	s_delay_alu instid0(VALU_DEP_4) | instskip(NEXT) | instid1(TRANS32_DEP_1)
	v_add_f32_e32 v36, v28, v30
	v_mul_f32_e32 v18, v20, v25
	s_delay_alu instid0(VALU_DEP_4) | instskip(NEXT) | instid1(VALU_DEP_3)
	v_fma_f32 v27, v23, v21, -v17
	v_sub_f32_e32 v28, v36, v28
	s_delay_alu instid0(VALU_DEP_3) | instskip(NEXT) | instid1(VALU_DEP_2)
	v_fma_f32 v29, v25, v20, -v18
	v_dual_fmac_f32 v27, v23, v12 :: v_dual_sub_f32 v28, v28, v30
	s_delay_alu instid0(VALU_DEP_2) | instskip(NEXT) | instid1(VALU_DEP_1)
	v_fmac_f32_e32 v29, v25, v13
	v_dual_add_f32 v32, v17, v27 :: v_dual_add_f32 v33, v18, v29
	s_delay_alu instid0(VALU_DEP_1) | instskip(NEXT) | instid1(VALU_DEP_1)
	v_dual_sub_f32 v35, 1.0, v32 :: v_dual_sub_f32 v18, v33, v18
	v_dual_sub_f32 v37, 1.0, v33 :: v_dual_sub_f32 v26, 1.0, v35
	v_sub_f32_e32 v17, v32, v17
	s_delay_alu instid0(VALU_DEP_3) | instskip(NEXT) | instid1(VALU_DEP_3)
	v_sub_f32_e32 v18, v18, v29
	v_dual_sub_f32 v39, 1.0, v37 :: v_dual_sub_f32 v26, v26, v32
	s_delay_alu instid0(VALU_DEP_3) | instskip(SKIP_1) | instid1(VALU_DEP_3)
	v_sub_f32_e32 v17, v17, v27
	v_sub_f32_e32 v27, 1.0, v36
	v_dual_sub_f32 v29, v38, v31 :: v_dual_sub_f32 v30, v39, v33
	s_delay_alu instid0(VALU_DEP_1) | instskip(NEXT) | instid1(VALU_DEP_4)
	v_dual_sub_f32 v31, 1.0, v27 :: v_dual_add_f32 v16, v16, v29
	v_add_f32_e32 v17, v17, v26
	s_delay_alu instid0(VALU_DEP_3) | instskip(NEXT) | instid1(VALU_DEP_3)
	v_add_f32_e32 v18, v18, v30
	v_sub_f32_e32 v26, v31, v36
	s_delay_alu instid0(VALU_DEP_3) | instskip(NEXT) | instid1(VALU_DEP_1)
	v_dual_add_f32 v29, v34, v16 :: v_dual_add_f32 v30, v35, v17
	v_dual_add_f32 v26, v28, v26 :: v_dual_mul_f32 v31, v22, v29
	s_delay_alu instid0(VALU_DEP_2) | instskip(SKIP_1) | instid1(VALU_DEP_3)
	v_dual_sub_f32 v32, v34, v29 :: v_dual_mul_f32 v33, v23, v30
	v_sub_f32_e32 v34, v35, v30
	v_add_f32_e32 v35, v27, v26
	v_add_f32_e32 v28, v37, v18
	s_delay_alu instid0(VALU_DEP_4) | instskip(NEXT) | instid1(VALU_DEP_4)
	v_dual_mul_f32 v39, v21, v33 :: v_dual_mul_f32 v38, v19, v31
	v_add_f32_e32 v17, v17, v34
	s_delay_alu instid0(VALU_DEP_3) | instskip(SKIP_1) | instid1(VALU_DEP_4)
	v_dual_sub_f32 v27, v27, v35 :: v_dual_mul_f32 v36, v25, v28
	v_dual_sub_f32 v37, v37, v28 :: v_dual_add_f32 v34, v23, v33
	v_fma_f32 v42, v31, v19, -v38
	v_fma_f32 v44, v33, v21, -v39
	s_delay_alu instid0(VALU_DEP_3)
	v_dual_mul_f32 v41, v20, v36 :: v_dual_add_f32 v18, v18, v37
	v_add_f32_e32 v37, v25, v36
	v_dual_add_f32 v16, v16, v32 :: v_dual_sub_f32 v45, v34, v23
	v_add_f32_e32 v32, v22, v31
	v_mul_f32_e32 v40, v15, v35
	v_add_f32_e32 v26, v26, v27
	v_fma_f32 v47, v36, v20, -v41
	s_delay_alu instid0(VALU_DEP_4) | instskip(NEXT) | instid1(VALU_DEP_4)
	v_dual_fmac_f32 v42, v31, v11 :: v_dual_sub_f32 v43, v32, v22
	v_mul_f32_e32 v46, v24, v40
	v_dual_add_f32 v27, v15, v40 :: v_dual_sub_f32 v48, v37, v25
	s_delay_alu instid0(VALU_DEP_4) | instskip(NEXT) | instid1(VALU_DEP_4)
	v_fmac_f32_e32 v47, v36, v13
	v_sub_f32_e32 v31, v31, v43
	s_delay_alu instid0(VALU_DEP_4) | instskip(SKIP_3) | instid1(VALU_DEP_4)
	v_fma_f32 v43, v40, v24, -v46
	v_fmac_f32_e32 v44, v33, v12
	v_sub_f32_e32 v33, v33, v45
	v_dual_sub_f32 v45, v27, v15 :: v_dual_sub_f32 v36, v36, v48
	v_fmac_f32_e32 v43, v40, v14
	s_delay_alu instid0(VALU_DEP_4) | instskip(NEXT) | instid1(VALU_DEP_3)
	v_dual_add_f32 v48, v38, v42 :: v_dual_add_f32 v49, v39, v44
	v_dual_sub_f32 v40, v40, v45 :: v_dual_add_f32 v45, v41, v47
	s_delay_alu instid0(VALU_DEP_3) | instskip(NEXT) | instid1(VALU_DEP_3)
	v_add_f32_e32 v52, v46, v43
	v_dual_sub_f32 v38, v48, v38 :: v_dual_sub_f32 v51, v30, v49
	s_delay_alu instid0(VALU_DEP_3) | instskip(SKIP_1) | instid1(VALU_DEP_3)
	v_dual_sub_f32 v50, v29, v48 :: v_dual_sub_f32 v53, v28, v45
	v_sub_f32_e32 v39, v49, v39
	v_dual_sub_f32 v41, v45, v41 :: v_dual_sub_f32 v30, v30, v51
	s_delay_alu instid0(VALU_DEP_3) | instskip(NEXT) | instid1(VALU_DEP_3)
	v_sub_f32_e32 v29, v29, v50
	v_dual_sub_f32 v38, v38, v42 :: v_dual_sub_f32 v39, v39, v44
	s_delay_alu instid0(VALU_DEP_3) | instskip(NEXT) | instid1(VALU_DEP_4)
	v_dual_sub_f32 v42, v52, v46 :: v_dual_sub_f32 v41, v41, v47
	v_sub_f32_e32 v30, v30, v49
	v_sub_f32_e32 v44, v35, v52
	v_dual_sub_f32 v28, v28, v53 :: v_dual_sub_f32 v29, v29, v48
	s_delay_alu instid0(VALU_DEP_3) | instskip(NEXT) | instid1(VALU_DEP_3)
	v_add_f32_e32 v17, v17, v30
	v_dual_sub_f32 v35, v35, v44 :: v_dual_sub_f32 v42, v42, v43
	s_delay_alu instid0(VALU_DEP_3) | instskip(NEXT) | instid1(VALU_DEP_3)
	v_add_f32_e32 v16, v16, v29
	v_add_f32_e32 v17, v39, v17
	s_delay_alu instid0(VALU_DEP_3) | instskip(NEXT) | instid1(VALU_DEP_2)
	v_sub_f32_e32 v29, v35, v52
	v_dual_add_f32 v16, v38, v16 :: v_dual_add_f32 v17, v51, v17
	s_delay_alu instid0(VALU_DEP_2) | instskip(NEXT) | instid1(VALU_DEP_2)
	v_add_f32_e32 v26, v26, v29
	v_dual_add_f32 v16, v50, v16 :: v_dual_mul_f32 v17, v23, v17
	s_delay_alu instid0(VALU_DEP_2) | instskip(NEXT) | instid1(VALU_DEP_2)
	v_add_f32_e32 v26, v42, v26
	v_dual_mul_f32 v16, v22, v16 :: v_dual_add_f32 v17, v33, v17
	s_delay_alu instid0(VALU_DEP_2) | instskip(SKIP_1) | instid1(VALU_DEP_3)
	v_add_f32_e32 v22, v44, v26
	v_sub_f32_e32 v28, v28, v45
	v_add_f32_e32 v23, v34, v17
	s_delay_alu instid0(VALU_DEP_2) | instskip(NEXT) | instid1(VALU_DEP_1)
	v_dual_mul_f32 v15, v15, v22 :: v_dual_add_f32 v18, v18, v28
	v_dual_sub_f32 v28, v23, v34 :: v_dual_add_f32 v15, v40, v15
	s_delay_alu instid0(VALU_DEP_2) | instskip(SKIP_1) | instid1(VALU_DEP_3)
	v_add_f32_e32 v18, v41, v18
	v_ldexp_f32 v23, v23, -2
	v_sub_f32_e32 v17, v17, v28
	s_delay_alu instid0(VALU_DEP_3) | instskip(NEXT) | instid1(VALU_DEP_3)
	v_dual_add_f32 v29, v27, v15 :: v_dual_add_f32 v18, v53, v18
	v_sub_f32_e32 v28, v21, v23
	s_delay_alu instid0(VALU_DEP_3) | instskip(NEXT) | instid1(VALU_DEP_3)
	v_ldexp_f32 v17, v17, -2
	v_sub_f32_e32 v27, v29, v27
	v_ldexp_f32 v29, v29, -2
	v_add_f32_e32 v16, v31, v16
	v_mul_f32_e32 v18, v25, v18
	v_sub_f32_e32 v21, v21, v28
	v_sub_f32_e32 v15, v15, v27
	;; [unrolled: 1-line block ×3, first 2 shown]
	v_add_f32_e32 v22, v32, v16
	s_delay_alu instid0(VALU_DEP_4) | instskip(NEXT) | instid1(VALU_DEP_4)
	v_dual_add_f32 v18, v36, v18 :: v_dual_sub_f32 v21, v21, v23
	v_ldexp_f32 v15, v15, -2
	s_delay_alu instid0(VALU_DEP_3) | instskip(SKIP_1) | instid1(VALU_DEP_4)
	v_sub_f32_e32 v26, v22, v32
	v_ldexp_f32 v22, v22, -2
	v_dual_add_f32 v25, v37, v18 :: v_dual_add_f32 v12, v12, v21
	s_delay_alu instid0(VALU_DEP_3) | instskip(NEXT) | instid1(VALU_DEP_3)
	v_sub_f32_e32 v16, v16, v26
	v_sub_f32_e32 v26, v19, v22
	s_delay_alu instid0(VALU_DEP_1) | instskip(NEXT) | instid1(VALU_DEP_1)
	v_dual_sub_f32 v12, v12, v17 :: v_dual_sub_f32 v19, v19, v26
	v_dual_sub_f32 v19, v19, v22 :: v_dual_sub_f32 v30, v25, v37
	v_ldexp_f32 v25, v25, -2
	s_delay_alu instid0(VALU_DEP_2) | instskip(NEXT) | instid1(VALU_DEP_2)
	v_dual_add_f32 v11, v11, v19 :: v_dual_sub_f32 v18, v18, v30
	v_sub_f32_e32 v30, v20, v25
	v_sub_f32_e32 v22, v24, v27
	s_delay_alu instid0(VALU_DEP_1) | instskip(SKIP_1) | instid1(VALU_DEP_1)
	v_sub_f32_e32 v19, v22, v29
	v_ldexp_f32 v16, v16, -2
	v_dual_add_f32 v14, v14, v19 :: v_dual_sub_f32 v11, v11, v16
	v_sub_f32_e32 v20, v20, v30
	v_add_f32_e32 v12, v28, v12
	s_delay_alu instid0(VALU_DEP_3) | instskip(NEXT) | instid1(VALU_DEP_3)
	v_sub_f32_e32 v14, v14, v15
	v_sub_f32_e32 v20, v20, v25
	s_delay_alu instid0(VALU_DEP_3) | instskip(SKIP_1) | instid1(VALU_DEP_3)
	v_cndmask_b32_e64 v12, 0x7f800000, v12, s4
	v_cmp_nlt_f32_e64 s4, 0x42b2d4fc, |v3|
	v_dual_add_f32 v14, v27, v14 :: v_dual_add_f32 v13, v13, v20
	v_add_f32_e32 v11, v26, v11
	s_delay_alu instid0(VALU_DEP_2) | instskip(SKIP_1) | instid1(VALU_DEP_3)
	v_cndmask_b32_e64 v14, 0x7f800000, v14, s4
	v_cmp_gt_f32_e64 s4, 0x39800000, |v3|
	v_cndmask_b32_e64 v11, 0x7f800000, v11, s6
	v_cmp_gt_f32_e64 s6, 0x39800000, |v10|
	s_delay_alu instid0(VALU_DEP_2) | instskip(NEXT) | instid1(VALU_DEP_2)
	v_cndmask_b32_e64 v11, v11, |v9|, s20
	v_cndmask_b32_e64 v12, v12, |v10|, s6
	s_delay_alu instid0(VALU_DEP_2) | instskip(SKIP_1) | instid1(VALU_DEP_3)
	v_bfi_b32 v9, 0x7fffffff, v11, v9
	v_cndmask_b32_e64 v11, v14, |v3|, s4
	v_bfi_b32 v10, 0x7fffffff, v12, v10
	s_delay_alu instid0(VALU_DEP_3) | instskip(NEXT) | instid1(VALU_DEP_3)
	v_bfe_u32 v12, v9, 16, 1
	v_bfi_b32 v3, 0x7fffffff, v11, v3
	s_delay_alu instid0(VALU_DEP_3) | instskip(SKIP_1) | instid1(VALU_DEP_4)
	v_bfe_u32 v11, v10, 16, 1
	v_cmp_o_f32_e64 s4, v9, v9
	v_add3_u32 v12, v9, v12, 0x7fff
	s_delay_alu instid0(VALU_DEP_4) | instskip(NEXT) | instid1(VALU_DEP_4)
	v_bfe_u32 v14, v3, 16, 1
	v_add3_u32 v11, v10, v11, 0x7fff
	s_delay_alu instid0(VALU_DEP_3) | instskip(NEXT) | instid1(VALU_DEP_3)
	v_lshrrev_b32_e32 v12, 16, v12
	v_add3_u32 v14, v3, v14, 0x7fff
	s_delay_alu instid0(VALU_DEP_3) | instskip(SKIP_1) | instid1(VALU_DEP_3)
	v_and_b32_e32 v11, 0xffff0000, v11
	v_ldexp_f32 v18, v18, -2
	v_lshrrev_b32_e32 v9, 16, v14
	s_delay_alu instid0(VALU_DEP_2) | instskip(NEXT) | instid1(VALU_DEP_1)
	v_sub_f32_e32 v13, v13, v18
	v_add_f32_e32 v13, v30, v13
	s_delay_alu instid0(VALU_DEP_1) | instskip(SKIP_1) | instid1(VALU_DEP_1)
	v_cndmask_b32_e64 v13, 0x7f800000, v13, s5
	v_cmp_gt_f32_e64 s5, 0x39800000, |v4|
	v_cndmask_b32_e64 v13, v13, |v4|, s5
	v_cmp_o_f32_e64 s5, v10, v10
	s_delay_alu instid0(VALU_DEP_2) | instskip(NEXT) | instid1(VALU_DEP_2)
	v_bfi_b32 v4, 0x7fffffff, v13, v4
	v_cndmask_b32_e64 v10, 0x7fc00000, v11, s5
	v_cndmask_b32_e64 v11, 0x7fc0, v12, s4
	s_delay_alu instid0(VALU_DEP_3) | instskip(SKIP_1) | instid1(VALU_DEP_2)
	v_bfe_u32 v13, v4, 16, 1
	v_cmp_o_f32_e64 s4, v4, v4
	v_add3_u32 v13, v4, v13, 0x7fff
	s_delay_alu instid0(VALU_DEP_1) | instskip(NEXT) | instid1(VALU_DEP_1)
	v_and_b32_e32 v13, 0xffff0000, v13
	v_cndmask_b32_e64 v4, 0x7fc00000, v13, s4
	v_cmp_o_f32_e64 s4, v3, v3
	s_delay_alu instid0(VALU_DEP_1) | instskip(SKIP_1) | instid1(VALU_DEP_2)
	v_cndmask_b32_e64 v3, 0x7fc0, v9, s4
	v_or_b32_e32 v9, v11, v10
	v_or3_b32 v4, 0, v3, v4
	s_delay_alu instid0(VALU_DEP_2)
	v_or3_b32 v3, v9, 0, 0
	global_store_b64 v[5:6], v[3:4], off
	s_and_not1_b32 exec_lo, exec_lo, s16
	s_cbranch_execnz .LBB123_3
.LBB123_4:
	s_or_b32 exec_lo, exec_lo, s7
	s_mov_b32 s2, 0
.LBB123_5:
	s_delay_alu instid0(SALU_CYCLE_1)
	s_and_not1_b32 vcc_lo, exec_lo, s2
	s_cbranch_vccnz .LBB123_25
; %bb.6:
	v_cmp_lt_i64_e64 s2, s[10:11], 1
	s_delay_alu instid0(VALU_DEP_1)
	s_and_b32 vcc_lo, exec_lo, s2
	s_cbranch_vccnz .LBB123_25
; %bb.7:
	s_load_b32 s0, s[0:1], 0xc5c
	v_dual_mov_b32 v10, 0 :: v_dual_lshlrev_b32 v9, 1, v0
	v_cmp_gt_u64_e64 s1, 0x10000, s[10:11]
	s_mov_b64 s[6:7], 0
	s_delay_alu instid0(VALU_DEP_2) | instskip(NEXT) | instid1(VALU_DEP_1)
	v_add_co_u32 v1, s2, s12, v9
	v_add_co_ci_u32_e64 v2, null, s13, 0, s2
	v_add_co_u32 v3, s2, s14, v9
	s_delay_alu instid0(VALU_DEP_1)
	v_add_co_ci_u32_e64 v4, null, s15, 0, s2
	s_waitcnt lgkmcnt(0)
	s_and_b32 s0, s0, 0xffff
	s_and_b32 s1, s1, exec_lo
	v_mad_u64_u32 v[7:8], null, s0, 6, v[9:10]
	s_cselect_b32 s5, s11, 0
	s_cselect_b32 s4, s10, 0x10000
	s_mul_i32 s2, s0, 3
	s_lshl_b32 s16, s0, 2
	s_lshl_b32 s1, s0, 1
	v_add_co_u32 v14, s3, s16, v9
	v_add_co_u32 v9, s2, s2, v0
	s_delay_alu instid0(VALU_DEP_1) | instskip(SKIP_3) | instid1(VALU_DEP_3)
	v_add_co_ci_u32_e64 v10, null, 0, 0, s2
	v_add_co_u32 v13, s2, v0, s0
	v_add_co_u32 v5, vcc_lo, s12, v7
	v_add_co_ci_u32_e32 v6, vcc_lo, s13, v8, vcc_lo
	v_lshlrev_b32_e32 v21, 1, v13
	v_add_co_u32 v7, vcc_lo, s14, v7
	v_add_co_ci_u32_e64 v15, null, 0, 0, s3
	v_add_co_ci_u32_e32 v8, vcc_lo, s15, v8, vcc_lo
	v_add_co_u32 v17, s1, s1, v0
	v_add_co_u32 v11, vcc_lo, s12, v14
	v_add_co_ci_u32_e64 v18, null, 0, 0, s1
	v_add_co_u32 v19, s1, s12, v21
	v_add_co_ci_u32_e32 v12, vcc_lo, s13, v15, vcc_lo
	v_add_co_u32 v14, vcc_lo, s14, v14
	v_add_co_ci_u32_e64 v20, null, s13, 0, s1
	v_add_co_u32 v21, s1, s14, v21
	v_add_co_ci_u32_e32 v15, vcc_lo, s15, v15, vcc_lo
	v_add_co_ci_u32_e64 v16, null, 0, 0, s2
	v_add_co_ci_u32_e64 v22, null, s15, 0, s1
	s_lshl_b32 s12, s0, 3
	s_mov_b32 s13, 0x3ab42872
	s_branch .LBB123_9
.LBB123_8:                              ;   in Loop: Header=BB123_9 Depth=1
	s_or_b32 exec_lo, exec_lo, s0
	v_add_co_u32 v1, vcc_lo, v1, s12
	v_add_co_ci_u32_e32 v2, vcc_lo, 0, v2, vcc_lo
	v_add_co_u32 v3, vcc_lo, v3, s12
	v_add_co_ci_u32_e32 v4, vcc_lo, 0, v4, vcc_lo
	;; [unrolled: 2-line block ×5, first 2 shown]
	s_add_u32 s6, s6, s16
	v_add_co_u32 v14, vcc_lo, v14, s12
	s_addc_u32 s7, s7, 0
	v_add_co_ci_u32_e32 v15, vcc_lo, 0, v15, vcc_lo
	v_cmp_ge_i64_e64 s0, s[6:7], s[10:11]
	v_cmp_lt_u64_e64 s1, 0xffff, s[6:7]
	v_add_co_u32 v19, vcc_lo, v19, s12
	v_add_co_ci_u32_e32 v20, vcc_lo, 0, v20, vcc_lo
	v_add_co_u32 v21, vcc_lo, v21, s12
	v_add_co_ci_u32_e32 v22, vcc_lo, 0, v22, vcc_lo
	s_or_b32 s0, s0, s1
	s_delay_alu instid0(SALU_CYCLE_1)
	s_and_b32 vcc_lo, exec_lo, s0
	s_cbranch_vccnz .LBB123_25
.LBB123_9:                              ; =>This Inner Loop Header: Depth=1
	s_waitcnt vmcnt(0)
	v_add_co_u32 v23, s0, v0, s6
	s_delay_alu instid0(VALU_DEP_1) | instskip(SKIP_1) | instid1(VALU_DEP_2)
	v_add_co_ci_u32_e64 v24, null, 0, s7, s0
	v_mov_b32_e32 v26, 0
	v_cmp_gt_u64_e64 s2, s[4:5], v[23:24]
	s_delay_alu instid0(VALU_DEP_1)
	s_and_saveexec_b32 s0, s2
	s_cbranch_execz .LBB123_11
; %bb.10:                               ;   in Loop: Header=BB123_9 Depth=1
	v_add_co_u32 v23, vcc_lo, v1, s8
	v_add_co_ci_u32_e32 v24, vcc_lo, s9, v2, vcc_lo
	global_load_u16 v26, v[23:24], off
.LBB123_11:                             ;   in Loop: Header=BB123_9 Depth=1
	s_or_b32 exec_lo, exec_lo, s0
	v_add_co_u32 v23, vcc_lo, v13, s6
	v_add_co_ci_u32_e32 v24, vcc_lo, s7, v16, vcc_lo
	v_mov_b32_e32 v25, 0
	s_delay_alu instid0(VALU_DEP_2) | instskip(NEXT) | instid1(VALU_DEP_1)
	v_cmp_gt_u64_e64 s1, s[4:5], v[23:24]
	s_and_saveexec_b32 s0, s1
	s_cbranch_execz .LBB123_13
; %bb.12:                               ;   in Loop: Header=BB123_9 Depth=1
	v_add_co_u32 v23, vcc_lo, v19, s8
	v_add_co_ci_u32_e32 v24, vcc_lo, s9, v20, vcc_lo
	global_load_u16 v25, v[23:24], off
.LBB123_13:                             ;   in Loop: Header=BB123_9 Depth=1
	s_or_b32 exec_lo, exec_lo, s0
	v_add_co_u32 v23, vcc_lo, v17, s6
	v_add_co_ci_u32_e32 v24, vcc_lo, s7, v18, vcc_lo
	s_delay_alu instid0(VALU_DEP_1) | instskip(SKIP_1) | instid1(VALU_DEP_2)
	v_cmp_gt_u64_e64 s0, s[4:5], v[23:24]
	v_dual_mov_b32 v23, 0 :: v_dual_mov_b32 v24, 0
	s_and_saveexec_b32 s3, s0
	s_cbranch_execz .LBB123_15
; %bb.14:                               ;   in Loop: Header=BB123_9 Depth=1
	v_add_co_u32 v27, vcc_lo, v11, s8
	v_add_co_ci_u32_e32 v28, vcc_lo, s9, v12, vcc_lo
	global_load_u16 v24, v[27:28], off
.LBB123_15:                             ;   in Loop: Header=BB123_9 Depth=1
	s_or_b32 exec_lo, exec_lo, s3
	v_add_co_u32 v27, vcc_lo, v9, s6
	v_add_co_ci_u32_e32 v28, vcc_lo, s7, v10, vcc_lo
	s_delay_alu instid0(VALU_DEP_1)
	v_cmp_gt_u64_e32 vcc_lo, s[4:5], v[27:28]
	s_and_saveexec_b32 s14, vcc_lo
	s_cbranch_execnz .LBB123_20
; %bb.16:                               ;   in Loop: Header=BB123_9 Depth=1
	s_or_b32 exec_lo, exec_lo, s14
	s_and_saveexec_b32 s3, s2
	s_cbranch_execnz .LBB123_21
.LBB123_17:                             ;   in Loop: Header=BB123_9 Depth=1
	s_or_b32 exec_lo, exec_lo, s3
	s_and_saveexec_b32 s2, s1
	s_cbranch_execnz .LBB123_22
.LBB123_18:                             ;   in Loop: Header=BB123_9 Depth=1
	s_or_b32 exec_lo, exec_lo, s2
	s_and_saveexec_b32 s1, s0
	s_cbranch_execnz .LBB123_23
.LBB123_19:                             ;   in Loop: Header=BB123_9 Depth=1
	s_or_b32 exec_lo, exec_lo, s1
	s_and_saveexec_b32 s0, vcc_lo
	s_cbranch_execz .LBB123_8
	s_branch .LBB123_24
.LBB123_20:                             ;   in Loop: Header=BB123_9 Depth=1
	v_add_co_u32 v27, s3, v5, s8
	s_delay_alu instid0(VALU_DEP_1)
	v_add_co_ci_u32_e64 v28, s3, s9, v6, s3
	global_load_u16 v23, v[27:28], off
	s_or_b32 exec_lo, exec_lo, s14
	s_and_saveexec_b32 s3, s2
	s_cbranch_execz .LBB123_17
.LBB123_21:                             ;   in Loop: Header=BB123_9 Depth=1
	s_waitcnt vmcnt(0)
	v_lshlrev_b32_e32 v26, 16, v26
	s_delay_alu instid0(VALU_DEP_1) | instskip(NEXT) | instid1(VALU_DEP_1)
	v_add_f32_e64 v27, 0xbf317218, |v26|
	v_sub_f32_e64 v28, v27, |v26|
	s_delay_alu instid0(VALU_DEP_1) | instskip(SKIP_1) | instid1(VALU_DEP_2)
	v_dual_sub_f32 v29, v28, v27 :: v_dual_add_f32 v28, 0x3f317218, v28
	v_cmp_nlt_f32_e64 s2, 0x42b2d4fc, |v26|
	v_add_f32_e64 v29, |v26|, v29
	s_delay_alu instid0(VALU_DEP_1) | instskip(NEXT) | instid1(VALU_DEP_1)
	v_sub_f32_e32 v28, v29, v28
	v_add_f32_e32 v28, 0x3102e308, v28
	s_delay_alu instid0(VALU_DEP_1) | instskip(NEXT) | instid1(VALU_DEP_1)
	v_add_f32_e32 v29, v27, v28
	v_sub_f32_e32 v27, v27, v29
	s_delay_alu instid0(VALU_DEP_1) | instskip(NEXT) | instid1(VALU_DEP_1)
	v_dual_mul_f32 v30, 0x3fb8aa3b, v29 :: v_dual_add_f32 v27, v28, v27
	v_rndne_f32_e32 v30, v30
	s_delay_alu instid0(VALU_DEP_1) | instskip(SKIP_1) | instid1(VALU_DEP_1)
	v_mul_f32_e32 v28, 0x35bfbc00, v30
	v_fmac_f32_e32 v29, 0xbf317200, v30
	v_add_f32_e32 v31, v27, v29
	s_delay_alu instid0(VALU_DEP_1) | instskip(NEXT) | instid1(VALU_DEP_1)
	v_dual_sub_f32 v32, v31, v28 :: v_dual_sub_f32 v29, v29, v31
	v_sub_f32_e32 v31, v31, v32
	s_delay_alu instid0(VALU_DEP_2) | instskip(NEXT) | instid1(VALU_DEP_2)
	v_add_f32_e32 v27, v27, v29
	v_sub_f32_e32 v28, v31, v28
	s_delay_alu instid0(VALU_DEP_1) | instskip(NEXT) | instid1(VALU_DEP_1)
	v_dual_add_f32 v27, v27, v28 :: v_dual_mul_f32 v28, 0x2ea39ef3, v30
	v_add_f32_e32 v29, v32, v27
	s_delay_alu instid0(VALU_DEP_1) | instskip(NEXT) | instid1(VALU_DEP_1)
	v_dual_sub_f32 v32, v32, v29 :: v_dual_sub_f32 v31, v29, v28
	v_add_f32_e32 v27, v27, v32
	s_delay_alu instid0(VALU_DEP_2) | instskip(NEXT) | instid1(VALU_DEP_1)
	v_sub_f32_e32 v29, v29, v31
	v_sub_f32_e32 v28, v29, v28
	s_delay_alu instid0(VALU_DEP_1) | instskip(NEXT) | instid1(VALU_DEP_1)
	v_add_f32_e32 v27, v27, v28
	v_add_f32_e32 v28, v31, v27
	s_delay_alu instid0(VALU_DEP_1) | instskip(SKIP_1) | instid1(VALU_DEP_2)
	v_sub_f32_e32 v29, v31, v28
	v_mul_f32_e32 v31, v28, v28
	v_add_f32_e32 v27, v27, v29
	v_fmaak_f32 v29, s13, v28, 0x3c091de6
	s_delay_alu instid0(VALU_DEP_3) | instskip(NEXT) | instid1(VALU_DEP_3)
	v_fma_f32 v32, v28, v28, -v31
	v_add_f32_e32 v33, v27, v27
	s_delay_alu instid0(VALU_DEP_3) | instskip(NEXT) | instid1(VALU_DEP_2)
	v_fmaak_f32 v29, v28, v29, 0x3d2aadcc
	v_fmac_f32_e32 v32, v28, v33
	s_delay_alu instid0(VALU_DEP_2) | instskip(NEXT) | instid1(VALU_DEP_2)
	v_fmaak_f32 v29, v28, v29, 0x3e2aaa47
	v_add_f32_e32 v33, v31, v32
	s_delay_alu instid0(VALU_DEP_2) | instskip(NEXT) | instid1(VALU_DEP_2)
	v_fmaak_f32 v29, v28, v29, 0x3efffffc
	v_sub_f32_e32 v31, v33, v31
	s_delay_alu instid0(VALU_DEP_1) | instskip(NEXT) | instid1(VALU_DEP_1)
	v_dual_mul_f32 v34, v29, v33 :: v_dual_sub_f32 v31, v32, v31
	v_fma_f32 v32, v33, v29, -v34
	s_delay_alu instid0(VALU_DEP_1) | instskip(NEXT) | instid1(VALU_DEP_1)
	v_fmac_f32_e32 v32, v31, v29
	v_add_f32_e32 v29, v34, v32
	s_delay_alu instid0(VALU_DEP_1) | instskip(SKIP_1) | instid1(VALU_DEP_1)
	v_sub_f32_e32 v31, v29, v34
	v_add_f32_e32 v33, v28, v29
	v_dual_sub_f32 v31, v32, v31 :: v_dual_sub_f32 v28, v33, v28
	s_delay_alu instid0(VALU_DEP_1) | instskip(NEXT) | instid1(VALU_DEP_1)
	v_dual_add_f32 v27, v27, v31 :: v_dual_sub_f32 v28, v29, v28
	v_add_f32_e32 v27, v27, v28
	s_delay_alu instid0(VALU_DEP_1) | instskip(NEXT) | instid1(VALU_DEP_1)
	v_add_f32_e32 v28, v33, v27
	v_add_f32_e32 v29, 1.0, v28
	v_sub_f32_e32 v31, v28, v33
	s_delay_alu instid0(VALU_DEP_1) | instskip(NEXT) | instid1(VALU_DEP_1)
	v_dual_add_f32 v32, -1.0, v29 :: v_dual_sub_f32 v27, v27, v31
	v_sub_f32_e32 v28, v28, v32
	s_delay_alu instid0(VALU_DEP_1) | instskip(SKIP_1) | instid1(VALU_DEP_2)
	v_add_f32_e32 v27, v27, v28
	v_cvt_i32_f32_e32 v28, v30
	v_add_f32_e32 v30, v29, v27
	s_delay_alu instid0(VALU_DEP_1) | instskip(NEXT) | instid1(VALU_DEP_1)
	v_ldexp_f32 v31, v30, v28
	v_rcp_f32_e32 v32, v31
	v_sub_f32_e32 v29, v30, v29
	s_delay_alu instid0(VALU_DEP_1) | instskip(SKIP_3) | instid1(VALU_DEP_2)
	v_sub_f32_e32 v27, v27, v29
	s_waitcnt_depctr 0xfff
	v_mul_f32_e32 v29, v31, v32
	v_ldexp_f32 v27, v27, v28
	v_fma_f32 v28, v32, v31, -v29
	s_delay_alu instid0(VALU_DEP_1) | instskip(NEXT) | instid1(VALU_DEP_1)
	v_fmac_f32_e32 v28, v32, v27
	v_add_f32_e32 v30, v29, v28
	s_delay_alu instid0(VALU_DEP_1) | instskip(SKIP_1) | instid1(VALU_DEP_2)
	v_sub_f32_e32 v33, 1.0, v30
	v_sub_f32_e32 v29, v30, v29
	v_sub_f32_e32 v34, 1.0, v33
	s_delay_alu instid0(VALU_DEP_1) | instskip(NEXT) | instid1(VALU_DEP_1)
	v_dual_sub_f32 v28, v29, v28 :: v_dual_sub_f32 v29, v34, v30
	v_add_f32_e32 v28, v28, v29
	s_delay_alu instid0(VALU_DEP_1) | instskip(NEXT) | instid1(VALU_DEP_1)
	v_add_f32_e32 v29, v33, v28
	v_mul_f32_e32 v30, v32, v29
	s_delay_alu instid0(VALU_DEP_1) | instskip(NEXT) | instid1(VALU_DEP_1)
	v_dual_sub_f32 v33, v33, v29 :: v_dual_mul_f32 v34, v31, v30
	v_add_f32_e32 v28, v28, v33
	s_delay_alu instid0(VALU_DEP_2) | instskip(NEXT) | instid1(VALU_DEP_1)
	v_fma_f32 v35, v30, v31, -v34
	v_fmac_f32_e32 v35, v30, v27
	s_delay_alu instid0(VALU_DEP_1) | instskip(NEXT) | instid1(VALU_DEP_1)
	v_add_f32_e32 v36, v34, v35
	v_sub_f32_e32 v37, v29, v36
	v_sub_f32_e32 v33, v36, v34
	s_delay_alu instid0(VALU_DEP_2) | instskip(NEXT) | instid1(VALU_DEP_2)
	v_sub_f32_e32 v29, v29, v37
	v_sub_f32_e32 v33, v33, v35
	s_delay_alu instid0(VALU_DEP_2) | instskip(NEXT) | instid1(VALU_DEP_1)
	v_sub_f32_e32 v29, v29, v36
	v_add_f32_e32 v28, v28, v29
	s_delay_alu instid0(VALU_DEP_1) | instskip(NEXT) | instid1(VALU_DEP_1)
	v_dual_add_f32 v29, v32, v30 :: v_dual_add_f32 v28, v33, v28
	v_sub_f32_e32 v33, v29, v32
	s_delay_alu instid0(VALU_DEP_2) | instskip(NEXT) | instid1(VALU_DEP_2)
	v_add_f32_e32 v28, v37, v28
	v_sub_f32_e32 v30, v30, v33
	s_delay_alu instid0(VALU_DEP_2) | instskip(NEXT) | instid1(VALU_DEP_1)
	v_mul_f32_e32 v28, v32, v28
	v_add_f32_e32 v28, v30, v28
	s_delay_alu instid0(VALU_DEP_1) | instskip(NEXT) | instid1(VALU_DEP_1)
	v_add_f32_e32 v30, v29, v28
	v_ldexp_f32 v32, v30, -2
	v_sub_f32_e32 v29, v30, v29
	s_delay_alu instid0(VALU_DEP_1) | instskip(NEXT) | instid1(VALU_DEP_1)
	v_dual_sub_f32 v33, v31, v32 :: v_dual_sub_f32 v28, v28, v29
	v_sub_f32_e32 v30, v31, v33
	s_delay_alu instid0(VALU_DEP_2) | instskip(NEXT) | instid1(VALU_DEP_2)
	v_ldexp_f32 v28, v28, -2
	v_sub_f32_e32 v29, v30, v32
	s_delay_alu instid0(VALU_DEP_1) | instskip(NEXT) | instid1(VALU_DEP_1)
	v_add_f32_e32 v27, v27, v29
	v_sub_f32_e32 v27, v27, v28
	s_delay_alu instid0(VALU_DEP_1) | instskip(NEXT) | instid1(VALU_DEP_1)
	v_add_f32_e32 v27, v33, v27
	v_cndmask_b32_e64 v27, 0x7f800000, v27, s2
	v_cmp_gt_f32_e64 s2, 0x39800000, |v26|
	s_delay_alu instid0(VALU_DEP_1) | instskip(NEXT) | instid1(VALU_DEP_1)
	v_cndmask_b32_e64 v27, v27, |v26|, s2
	v_bfi_b32 v26, 0x7fffffff, v27, v26
	s_delay_alu instid0(VALU_DEP_1) | instskip(SKIP_1) | instid1(VALU_DEP_2)
	v_bfe_u32 v27, v26, 16, 1
	v_cmp_o_f32_e64 s2, v26, v26
	v_add3_u32 v27, v26, v27, 0x7fff
	s_delay_alu instid0(VALU_DEP_1) | instskip(NEXT) | instid1(VALU_DEP_1)
	v_lshrrev_b32_e32 v27, 16, v27
	v_cndmask_b32_e64 v28, 0x7fc0, v27, s2
	v_add_co_u32 v26, s2, v3, s8
	s_delay_alu instid0(VALU_DEP_1)
	v_add_co_ci_u32_e64 v27, s2, s9, v4, s2
	global_store_b16 v[26:27], v28, off
	s_or_b32 exec_lo, exec_lo, s3
	s_and_saveexec_b32 s2, s1
	s_cbranch_execz .LBB123_18
.LBB123_22:                             ;   in Loop: Header=BB123_9 Depth=1
	s_waitcnt vmcnt(0)
	v_lshlrev_b32_e32 v25, 16, v25
	s_delay_alu instid0(VALU_DEP_1) | instskip(NEXT) | instid1(VALU_DEP_1)
	v_add_f32_e64 v26, 0xbf317218, |v25|
	v_sub_f32_e64 v27, v26, |v25|
	s_delay_alu instid0(VALU_DEP_1) | instskip(SKIP_1) | instid1(VALU_DEP_2)
	v_dual_sub_f32 v28, v27, v26 :: v_dual_add_f32 v27, 0x3f317218, v27
	v_cmp_nlt_f32_e64 s1, 0x42b2d4fc, |v25|
	v_add_f32_e64 v28, |v25|, v28
	s_delay_alu instid0(VALU_DEP_1) | instskip(NEXT) | instid1(VALU_DEP_1)
	v_sub_f32_e32 v27, v28, v27
	v_add_f32_e32 v27, 0x3102e308, v27
	s_delay_alu instid0(VALU_DEP_1) | instskip(NEXT) | instid1(VALU_DEP_1)
	v_add_f32_e32 v28, v26, v27
	v_sub_f32_e32 v26, v26, v28
	s_delay_alu instid0(VALU_DEP_1) | instskip(NEXT) | instid1(VALU_DEP_1)
	v_dual_mul_f32 v29, 0x3fb8aa3b, v28 :: v_dual_add_f32 v26, v27, v26
	v_rndne_f32_e32 v29, v29
	s_delay_alu instid0(VALU_DEP_1) | instskip(SKIP_1) | instid1(VALU_DEP_1)
	v_mul_f32_e32 v27, 0x35bfbc00, v29
	v_fmac_f32_e32 v28, 0xbf317200, v29
	v_add_f32_e32 v30, v26, v28
	s_delay_alu instid0(VALU_DEP_1) | instskip(NEXT) | instid1(VALU_DEP_1)
	v_dual_sub_f32 v31, v30, v27 :: v_dual_sub_f32 v28, v28, v30
	v_sub_f32_e32 v30, v30, v31
	s_delay_alu instid0(VALU_DEP_2) | instskip(NEXT) | instid1(VALU_DEP_2)
	v_add_f32_e32 v26, v26, v28
	v_sub_f32_e32 v27, v30, v27
	s_delay_alu instid0(VALU_DEP_1) | instskip(NEXT) | instid1(VALU_DEP_1)
	v_dual_add_f32 v26, v26, v27 :: v_dual_mul_f32 v27, 0x2ea39ef3, v29
	v_add_f32_e32 v28, v31, v26
	s_delay_alu instid0(VALU_DEP_1) | instskip(NEXT) | instid1(VALU_DEP_1)
	v_dual_sub_f32 v31, v31, v28 :: v_dual_sub_f32 v30, v28, v27
	v_add_f32_e32 v26, v26, v31
	s_delay_alu instid0(VALU_DEP_2) | instskip(NEXT) | instid1(VALU_DEP_1)
	v_sub_f32_e32 v28, v28, v30
	v_sub_f32_e32 v27, v28, v27
	s_delay_alu instid0(VALU_DEP_1) | instskip(NEXT) | instid1(VALU_DEP_1)
	v_add_f32_e32 v26, v26, v27
	v_add_f32_e32 v27, v30, v26
	s_delay_alu instid0(VALU_DEP_1) | instskip(SKIP_1) | instid1(VALU_DEP_2)
	v_sub_f32_e32 v28, v30, v27
	v_mul_f32_e32 v30, v27, v27
	v_add_f32_e32 v26, v26, v28
	v_fmaak_f32 v28, s13, v27, 0x3c091de6
	s_delay_alu instid0(VALU_DEP_3) | instskip(NEXT) | instid1(VALU_DEP_3)
	v_fma_f32 v31, v27, v27, -v30
	v_add_f32_e32 v32, v26, v26
	s_delay_alu instid0(VALU_DEP_3) | instskip(NEXT) | instid1(VALU_DEP_2)
	v_fmaak_f32 v28, v27, v28, 0x3d2aadcc
	v_fmac_f32_e32 v31, v27, v32
	s_delay_alu instid0(VALU_DEP_2) | instskip(NEXT) | instid1(VALU_DEP_2)
	v_fmaak_f32 v28, v27, v28, 0x3e2aaa47
	v_add_f32_e32 v32, v30, v31
	s_delay_alu instid0(VALU_DEP_2) | instskip(NEXT) | instid1(VALU_DEP_2)
	v_fmaak_f32 v28, v27, v28, 0x3efffffc
	v_sub_f32_e32 v30, v32, v30
	s_delay_alu instid0(VALU_DEP_1) | instskip(NEXT) | instid1(VALU_DEP_1)
	v_dual_mul_f32 v33, v28, v32 :: v_dual_sub_f32 v30, v31, v30
	v_fma_f32 v31, v32, v28, -v33
	s_delay_alu instid0(VALU_DEP_1) | instskip(NEXT) | instid1(VALU_DEP_1)
	v_fmac_f32_e32 v31, v30, v28
	v_add_f32_e32 v28, v33, v31
	s_delay_alu instid0(VALU_DEP_1) | instskip(SKIP_1) | instid1(VALU_DEP_2)
	v_sub_f32_e32 v32, v28, v33
	v_add_f32_e32 v30, v27, v28
	v_sub_f32_e32 v31, v31, v32
	s_delay_alu instid0(VALU_DEP_2) | instskip(NEXT) | instid1(VALU_DEP_1)
	v_sub_f32_e32 v27, v30, v27
	v_sub_f32_e32 v27, v28, v27
	s_delay_alu instid0(VALU_DEP_3) | instskip(NEXT) | instid1(VALU_DEP_1)
	v_add_f32_e32 v26, v26, v31
	v_add_f32_e32 v26, v26, v27
	s_delay_alu instid0(VALU_DEP_1) | instskip(NEXT) | instid1(VALU_DEP_1)
	v_add_f32_e32 v27, v30, v26
	v_add_f32_e32 v28, 1.0, v27
	s_delay_alu instid0(VALU_DEP_1) | instskip(NEXT) | instid1(VALU_DEP_1)
	v_dual_sub_f32 v30, v27, v30 :: v_dual_add_f32 v31, -1.0, v28
	v_dual_sub_f32 v26, v26, v30 :: v_dual_sub_f32 v27, v27, v31
	s_delay_alu instid0(VALU_DEP_1) | instskip(SKIP_1) | instid1(VALU_DEP_2)
	v_add_f32_e32 v26, v26, v27
	v_cvt_i32_f32_e32 v27, v29
	v_add_f32_e32 v29, v28, v26
	s_delay_alu instid0(VALU_DEP_1) | instskip(NEXT) | instid1(VALU_DEP_1)
	v_ldexp_f32 v30, v29, v27
	v_rcp_f32_e32 v31, v30
	v_sub_f32_e32 v28, v29, v28
	s_delay_alu instid0(VALU_DEP_1) | instskip(SKIP_3) | instid1(VALU_DEP_2)
	v_sub_f32_e32 v26, v26, v28
	s_waitcnt_depctr 0xfff
	v_mul_f32_e32 v28, v30, v31
	v_ldexp_f32 v26, v26, v27
	v_fma_f32 v27, v31, v30, -v28
	s_delay_alu instid0(VALU_DEP_1) | instskip(NEXT) | instid1(VALU_DEP_1)
	v_fmac_f32_e32 v27, v31, v26
	v_add_f32_e32 v29, v28, v27
	s_delay_alu instid0(VALU_DEP_1) | instskip(SKIP_1) | instid1(VALU_DEP_2)
	v_sub_f32_e32 v32, 1.0, v29
	v_sub_f32_e32 v28, v29, v28
	v_sub_f32_e32 v33, 1.0, v32
	s_delay_alu instid0(VALU_DEP_1) | instskip(NEXT) | instid1(VALU_DEP_1)
	v_dual_sub_f32 v27, v28, v27 :: v_dual_sub_f32 v28, v33, v29
	v_add_f32_e32 v27, v27, v28
	s_delay_alu instid0(VALU_DEP_1) | instskip(NEXT) | instid1(VALU_DEP_1)
	v_add_f32_e32 v28, v32, v27
	v_mul_f32_e32 v29, v31, v28
	s_delay_alu instid0(VALU_DEP_1) | instskip(NEXT) | instid1(VALU_DEP_1)
	v_dual_sub_f32 v32, v32, v28 :: v_dual_mul_f32 v33, v30, v29
	v_add_f32_e32 v27, v27, v32
	s_delay_alu instid0(VALU_DEP_2) | instskip(NEXT) | instid1(VALU_DEP_1)
	v_fma_f32 v34, v29, v30, -v33
	v_fmac_f32_e32 v34, v29, v26
	s_delay_alu instid0(VALU_DEP_1) | instskip(NEXT) | instid1(VALU_DEP_1)
	v_add_f32_e32 v35, v33, v34
	v_sub_f32_e32 v36, v28, v35
	v_sub_f32_e32 v32, v35, v33
	s_delay_alu instid0(VALU_DEP_2) | instskip(NEXT) | instid1(VALU_DEP_2)
	v_sub_f32_e32 v28, v28, v36
	v_sub_f32_e32 v32, v32, v34
	s_delay_alu instid0(VALU_DEP_2) | instskip(NEXT) | instid1(VALU_DEP_1)
	v_sub_f32_e32 v28, v28, v35
	v_add_f32_e32 v27, v27, v28
	s_delay_alu instid0(VALU_DEP_1) | instskip(NEXT) | instid1(VALU_DEP_1)
	v_dual_add_f32 v28, v31, v29 :: v_dual_add_f32 v27, v32, v27
	v_sub_f32_e32 v32, v28, v31
	s_delay_alu instid0(VALU_DEP_2) | instskip(NEXT) | instid1(VALU_DEP_2)
	v_add_f32_e32 v27, v36, v27
	v_sub_f32_e32 v29, v29, v32
	s_delay_alu instid0(VALU_DEP_2) | instskip(NEXT) | instid1(VALU_DEP_1)
	v_mul_f32_e32 v27, v31, v27
	v_add_f32_e32 v27, v29, v27
	s_delay_alu instid0(VALU_DEP_1) | instskip(NEXT) | instid1(VALU_DEP_1)
	v_add_f32_e32 v29, v28, v27
	v_ldexp_f32 v31, v29, -2
	v_sub_f32_e32 v28, v29, v28
	s_delay_alu instid0(VALU_DEP_1) | instskip(NEXT) | instid1(VALU_DEP_1)
	v_dual_sub_f32 v32, v30, v31 :: v_dual_sub_f32 v27, v27, v28
	v_sub_f32_e32 v29, v30, v32
	s_delay_alu instid0(VALU_DEP_2) | instskip(NEXT) | instid1(VALU_DEP_2)
	v_ldexp_f32 v27, v27, -2
	v_sub_f32_e32 v28, v29, v31
	s_delay_alu instid0(VALU_DEP_1) | instskip(NEXT) | instid1(VALU_DEP_1)
	v_add_f32_e32 v26, v26, v28
	v_sub_f32_e32 v26, v26, v27
	s_delay_alu instid0(VALU_DEP_1) | instskip(NEXT) | instid1(VALU_DEP_1)
	v_add_f32_e32 v26, v32, v26
	v_cndmask_b32_e64 v26, 0x7f800000, v26, s1
	v_cmp_gt_f32_e64 s1, 0x39800000, |v25|
	s_delay_alu instid0(VALU_DEP_1) | instskip(NEXT) | instid1(VALU_DEP_1)
	v_cndmask_b32_e64 v26, v26, |v25|, s1
	v_bfi_b32 v25, 0x7fffffff, v26, v25
	s_delay_alu instid0(VALU_DEP_1) | instskip(SKIP_1) | instid1(VALU_DEP_2)
	v_bfe_u32 v26, v25, 16, 1
	v_cmp_o_f32_e64 s1, v25, v25
	v_add3_u32 v26, v25, v26, 0x7fff
	s_delay_alu instid0(VALU_DEP_1) | instskip(NEXT) | instid1(VALU_DEP_1)
	v_lshrrev_b32_e32 v26, 16, v26
	v_cndmask_b32_e64 v27, 0x7fc0, v26, s1
	v_add_co_u32 v25, s1, v21, s8
	s_delay_alu instid0(VALU_DEP_1)
	v_add_co_ci_u32_e64 v26, s1, s9, v22, s1
	global_store_b16 v[25:26], v27, off
	s_or_b32 exec_lo, exec_lo, s2
	s_and_saveexec_b32 s1, s0
	s_cbranch_execz .LBB123_19
.LBB123_23:                             ;   in Loop: Header=BB123_9 Depth=1
	s_waitcnt vmcnt(0)
	v_lshlrev_b32_e32 v24, 16, v24
	s_delay_alu instid0(VALU_DEP_1) | instskip(NEXT) | instid1(VALU_DEP_1)
	v_add_f32_e64 v25, 0xbf317218, |v24|
	v_sub_f32_e64 v26, v25, |v24|
	s_delay_alu instid0(VALU_DEP_1) | instskip(SKIP_1) | instid1(VALU_DEP_2)
	v_dual_sub_f32 v27, v26, v25 :: v_dual_add_f32 v26, 0x3f317218, v26
	v_cmp_nlt_f32_e64 s0, 0x42b2d4fc, |v24|
	v_add_f32_e64 v27, |v24|, v27
	s_delay_alu instid0(VALU_DEP_1) | instskip(NEXT) | instid1(VALU_DEP_1)
	v_sub_f32_e32 v26, v27, v26
	v_add_f32_e32 v26, 0x3102e308, v26
	s_delay_alu instid0(VALU_DEP_1) | instskip(NEXT) | instid1(VALU_DEP_1)
	v_add_f32_e32 v27, v25, v26
	v_sub_f32_e32 v25, v25, v27
	s_delay_alu instid0(VALU_DEP_1) | instskip(NEXT) | instid1(VALU_DEP_1)
	v_dual_mul_f32 v28, 0x3fb8aa3b, v27 :: v_dual_add_f32 v25, v26, v25
	v_rndne_f32_e32 v28, v28
	s_delay_alu instid0(VALU_DEP_1) | instskip(SKIP_1) | instid1(VALU_DEP_1)
	v_mul_f32_e32 v26, 0x35bfbc00, v28
	v_fmac_f32_e32 v27, 0xbf317200, v28
	v_add_f32_e32 v29, v25, v27
	s_delay_alu instid0(VALU_DEP_1) | instskip(NEXT) | instid1(VALU_DEP_1)
	v_dual_sub_f32 v30, v29, v26 :: v_dual_sub_f32 v27, v27, v29
	v_sub_f32_e32 v29, v29, v30
	s_delay_alu instid0(VALU_DEP_2) | instskip(NEXT) | instid1(VALU_DEP_2)
	v_add_f32_e32 v25, v25, v27
	v_sub_f32_e32 v26, v29, v26
	s_delay_alu instid0(VALU_DEP_1) | instskip(NEXT) | instid1(VALU_DEP_1)
	v_dual_add_f32 v25, v25, v26 :: v_dual_mul_f32 v26, 0x2ea39ef3, v28
	v_add_f32_e32 v27, v30, v25
	s_delay_alu instid0(VALU_DEP_1) | instskip(NEXT) | instid1(VALU_DEP_1)
	v_dual_sub_f32 v30, v30, v27 :: v_dual_sub_f32 v29, v27, v26
	v_add_f32_e32 v25, v25, v30
	s_delay_alu instid0(VALU_DEP_2) | instskip(NEXT) | instid1(VALU_DEP_1)
	v_sub_f32_e32 v27, v27, v29
	v_sub_f32_e32 v26, v27, v26
	s_delay_alu instid0(VALU_DEP_1) | instskip(NEXT) | instid1(VALU_DEP_1)
	v_add_f32_e32 v25, v25, v26
	v_add_f32_e32 v26, v29, v25
	s_delay_alu instid0(VALU_DEP_1) | instskip(SKIP_1) | instid1(VALU_DEP_2)
	v_sub_f32_e32 v27, v29, v26
	v_mul_f32_e32 v29, v26, v26
	v_add_f32_e32 v25, v25, v27
	v_fmaak_f32 v27, s13, v26, 0x3c091de6
	s_delay_alu instid0(VALU_DEP_3) | instskip(NEXT) | instid1(VALU_DEP_3)
	v_fma_f32 v30, v26, v26, -v29
	v_add_f32_e32 v31, v25, v25
	s_delay_alu instid0(VALU_DEP_3) | instskip(NEXT) | instid1(VALU_DEP_2)
	v_fmaak_f32 v27, v26, v27, 0x3d2aadcc
	v_fmac_f32_e32 v30, v26, v31
	s_delay_alu instid0(VALU_DEP_2) | instskip(NEXT) | instid1(VALU_DEP_2)
	v_fmaak_f32 v27, v26, v27, 0x3e2aaa47
	v_add_f32_e32 v31, v29, v30
	s_delay_alu instid0(VALU_DEP_2) | instskip(NEXT) | instid1(VALU_DEP_2)
	v_fmaak_f32 v27, v26, v27, 0x3efffffc
	v_sub_f32_e32 v29, v31, v29
	s_delay_alu instid0(VALU_DEP_1) | instskip(NEXT) | instid1(VALU_DEP_1)
	v_dual_mul_f32 v32, v27, v31 :: v_dual_sub_f32 v29, v30, v29
	v_fma_f32 v30, v31, v27, -v32
	s_delay_alu instid0(VALU_DEP_1) | instskip(NEXT) | instid1(VALU_DEP_1)
	v_fmac_f32_e32 v30, v29, v27
	v_add_f32_e32 v27, v32, v30
	s_delay_alu instid0(VALU_DEP_1) | instskip(SKIP_1) | instid1(VALU_DEP_2)
	v_sub_f32_e32 v31, v27, v32
	v_add_f32_e32 v29, v26, v27
	v_sub_f32_e32 v30, v30, v31
	s_delay_alu instid0(VALU_DEP_2) | instskip(NEXT) | instid1(VALU_DEP_1)
	v_sub_f32_e32 v26, v29, v26
	v_sub_f32_e32 v26, v27, v26
	s_delay_alu instid0(VALU_DEP_3) | instskip(NEXT) | instid1(VALU_DEP_1)
	v_add_f32_e32 v25, v25, v30
	v_add_f32_e32 v25, v25, v26
	s_delay_alu instid0(VALU_DEP_1) | instskip(NEXT) | instid1(VALU_DEP_1)
	v_add_f32_e32 v26, v29, v25
	v_add_f32_e32 v27, 1.0, v26
	s_delay_alu instid0(VALU_DEP_1) | instskip(NEXT) | instid1(VALU_DEP_1)
	v_dual_sub_f32 v29, v26, v29 :: v_dual_add_f32 v30, -1.0, v27
	v_dual_sub_f32 v25, v25, v29 :: v_dual_sub_f32 v26, v26, v30
	s_delay_alu instid0(VALU_DEP_1) | instskip(SKIP_1) | instid1(VALU_DEP_2)
	v_add_f32_e32 v25, v25, v26
	v_cvt_i32_f32_e32 v26, v28
	v_add_f32_e32 v28, v27, v25
	s_delay_alu instid0(VALU_DEP_1) | instskip(NEXT) | instid1(VALU_DEP_1)
	v_ldexp_f32 v29, v28, v26
	v_rcp_f32_e32 v30, v29
	v_sub_f32_e32 v27, v28, v27
	s_delay_alu instid0(VALU_DEP_1) | instskip(SKIP_3) | instid1(VALU_DEP_2)
	v_sub_f32_e32 v25, v25, v27
	s_waitcnt_depctr 0xfff
	v_mul_f32_e32 v27, v29, v30
	v_ldexp_f32 v25, v25, v26
	v_fma_f32 v26, v30, v29, -v27
	s_delay_alu instid0(VALU_DEP_1) | instskip(NEXT) | instid1(VALU_DEP_1)
	v_fmac_f32_e32 v26, v30, v25
	v_add_f32_e32 v28, v27, v26
	s_delay_alu instid0(VALU_DEP_1) | instskip(SKIP_1) | instid1(VALU_DEP_2)
	v_sub_f32_e32 v31, 1.0, v28
	v_sub_f32_e32 v27, v28, v27
	v_sub_f32_e32 v32, 1.0, v31
	s_delay_alu instid0(VALU_DEP_1) | instskip(NEXT) | instid1(VALU_DEP_1)
	v_dual_sub_f32 v26, v27, v26 :: v_dual_sub_f32 v27, v32, v28
	v_add_f32_e32 v26, v26, v27
	s_delay_alu instid0(VALU_DEP_1) | instskip(NEXT) | instid1(VALU_DEP_1)
	v_add_f32_e32 v27, v31, v26
	v_mul_f32_e32 v28, v30, v27
	s_delay_alu instid0(VALU_DEP_1) | instskip(NEXT) | instid1(VALU_DEP_1)
	v_dual_sub_f32 v31, v31, v27 :: v_dual_mul_f32 v32, v29, v28
	v_add_f32_e32 v26, v26, v31
	s_delay_alu instid0(VALU_DEP_2) | instskip(NEXT) | instid1(VALU_DEP_1)
	v_fma_f32 v33, v28, v29, -v32
	v_fmac_f32_e32 v33, v28, v25
	s_delay_alu instid0(VALU_DEP_1) | instskip(NEXT) | instid1(VALU_DEP_1)
	v_add_f32_e32 v34, v32, v33
	v_sub_f32_e32 v35, v27, v34
	v_sub_f32_e32 v31, v34, v32
	s_delay_alu instid0(VALU_DEP_2) | instskip(NEXT) | instid1(VALU_DEP_2)
	v_sub_f32_e32 v27, v27, v35
	v_sub_f32_e32 v31, v31, v33
	s_delay_alu instid0(VALU_DEP_2) | instskip(NEXT) | instid1(VALU_DEP_1)
	v_sub_f32_e32 v27, v27, v34
	v_add_f32_e32 v26, v26, v27
	s_delay_alu instid0(VALU_DEP_1) | instskip(NEXT) | instid1(VALU_DEP_1)
	v_dual_add_f32 v27, v30, v28 :: v_dual_add_f32 v26, v31, v26
	v_sub_f32_e32 v31, v27, v30
	s_delay_alu instid0(VALU_DEP_2) | instskip(NEXT) | instid1(VALU_DEP_2)
	v_add_f32_e32 v26, v35, v26
	v_sub_f32_e32 v28, v28, v31
	s_delay_alu instid0(VALU_DEP_2) | instskip(NEXT) | instid1(VALU_DEP_1)
	v_mul_f32_e32 v26, v30, v26
	v_add_f32_e32 v26, v28, v26
	s_delay_alu instid0(VALU_DEP_1) | instskip(NEXT) | instid1(VALU_DEP_1)
	v_add_f32_e32 v28, v27, v26
	v_ldexp_f32 v30, v28, -2
	v_sub_f32_e32 v27, v28, v27
	s_delay_alu instid0(VALU_DEP_1) | instskip(NEXT) | instid1(VALU_DEP_1)
	v_dual_sub_f32 v31, v29, v30 :: v_dual_sub_f32 v26, v26, v27
	v_sub_f32_e32 v28, v29, v31
	s_delay_alu instid0(VALU_DEP_2) | instskip(NEXT) | instid1(VALU_DEP_2)
	v_ldexp_f32 v26, v26, -2
	v_sub_f32_e32 v27, v28, v30
	s_delay_alu instid0(VALU_DEP_1) | instskip(NEXT) | instid1(VALU_DEP_1)
	v_add_f32_e32 v25, v25, v27
	v_sub_f32_e32 v25, v25, v26
	s_delay_alu instid0(VALU_DEP_1) | instskip(NEXT) | instid1(VALU_DEP_1)
	v_add_f32_e32 v25, v31, v25
	v_cndmask_b32_e64 v25, 0x7f800000, v25, s0
	v_cmp_gt_f32_e64 s0, 0x39800000, |v24|
	s_delay_alu instid0(VALU_DEP_1) | instskip(NEXT) | instid1(VALU_DEP_1)
	v_cndmask_b32_e64 v25, v25, |v24|, s0
	v_bfi_b32 v24, 0x7fffffff, v25, v24
	s_delay_alu instid0(VALU_DEP_1) | instskip(SKIP_1) | instid1(VALU_DEP_2)
	v_bfe_u32 v25, v24, 16, 1
	v_cmp_o_f32_e64 s0, v24, v24
	v_add3_u32 v25, v24, v25, 0x7fff
	s_delay_alu instid0(VALU_DEP_1) | instskip(NEXT) | instid1(VALU_DEP_1)
	v_lshrrev_b32_e32 v25, 16, v25
	v_cndmask_b32_e64 v26, 0x7fc0, v25, s0
	v_add_co_u32 v24, s0, v14, s8
	s_delay_alu instid0(VALU_DEP_1)
	v_add_co_ci_u32_e64 v25, s0, s9, v15, s0
	global_store_b16 v[24:25], v26, off
	s_or_b32 exec_lo, exec_lo, s1
	s_and_saveexec_b32 s0, vcc_lo
	s_cbranch_execz .LBB123_8
.LBB123_24:                             ;   in Loop: Header=BB123_9 Depth=1
	s_waitcnt vmcnt(0)
	v_lshlrev_b32_e32 v23, 16, v23
	s_delay_alu instid0(VALU_DEP_1) | instskip(NEXT) | instid1(VALU_DEP_1)
	v_add_f32_e64 v24, 0xbf317218, |v23|
	v_sub_f32_e64 v25, v24, |v23|
	s_delay_alu instid0(VALU_DEP_1) | instskip(SKIP_2) | instid1(VALU_DEP_3)
	v_dual_sub_f32 v26, v25, v24 :: v_dual_add_f32 v25, 0x3f317218, v25
	v_cmp_nlt_f32_e64 vcc_lo, 0x42b2d4fc, |v23|
	v_cmp_gt_f32_e64 s1, 0x39800000, |v23|
	v_add_f32_e64 v26, |v23|, v26
	s_delay_alu instid0(VALU_DEP_1) | instskip(NEXT) | instid1(VALU_DEP_1)
	v_sub_f32_e32 v25, v26, v25
	v_add_f32_e32 v25, 0x3102e308, v25
	s_delay_alu instid0(VALU_DEP_1) | instskip(NEXT) | instid1(VALU_DEP_1)
	v_add_f32_e32 v26, v24, v25
	v_sub_f32_e32 v24, v24, v26
	s_delay_alu instid0(VALU_DEP_1) | instskip(NEXT) | instid1(VALU_DEP_1)
	v_dual_mul_f32 v27, 0x3fb8aa3b, v26 :: v_dual_add_f32 v24, v25, v24
	v_rndne_f32_e32 v27, v27
	s_delay_alu instid0(VALU_DEP_1) | instskip(SKIP_1) | instid1(VALU_DEP_1)
	v_mul_f32_e32 v25, 0x35bfbc00, v27
	v_fmac_f32_e32 v26, 0xbf317200, v27
	v_add_f32_e32 v28, v24, v26
	s_delay_alu instid0(VALU_DEP_1) | instskip(NEXT) | instid1(VALU_DEP_1)
	v_dual_sub_f32 v29, v28, v25 :: v_dual_sub_f32 v26, v26, v28
	v_sub_f32_e32 v28, v28, v29
	s_delay_alu instid0(VALU_DEP_2) | instskip(NEXT) | instid1(VALU_DEP_2)
	v_add_f32_e32 v24, v24, v26
	v_sub_f32_e32 v25, v28, v25
	s_delay_alu instid0(VALU_DEP_1) | instskip(NEXT) | instid1(VALU_DEP_1)
	v_dual_add_f32 v24, v24, v25 :: v_dual_mul_f32 v25, 0x2ea39ef3, v27
	v_add_f32_e32 v26, v29, v24
	s_delay_alu instid0(VALU_DEP_1) | instskip(NEXT) | instid1(VALU_DEP_1)
	v_dual_sub_f32 v29, v29, v26 :: v_dual_sub_f32 v28, v26, v25
	v_add_f32_e32 v24, v24, v29
	s_delay_alu instid0(VALU_DEP_2) | instskip(NEXT) | instid1(VALU_DEP_1)
	v_sub_f32_e32 v26, v26, v28
	v_sub_f32_e32 v25, v26, v25
	s_delay_alu instid0(VALU_DEP_1) | instskip(NEXT) | instid1(VALU_DEP_1)
	v_add_f32_e32 v24, v24, v25
	v_add_f32_e32 v25, v28, v24
	s_delay_alu instid0(VALU_DEP_1) | instskip(SKIP_1) | instid1(VALU_DEP_2)
	v_sub_f32_e32 v26, v28, v25
	v_mul_f32_e32 v28, v25, v25
	v_add_f32_e32 v24, v24, v26
	v_fmaak_f32 v26, s13, v25, 0x3c091de6
	s_delay_alu instid0(VALU_DEP_3) | instskip(NEXT) | instid1(VALU_DEP_3)
	v_fma_f32 v29, v25, v25, -v28
	v_add_f32_e32 v30, v24, v24
	s_delay_alu instid0(VALU_DEP_3) | instskip(NEXT) | instid1(VALU_DEP_2)
	v_fmaak_f32 v26, v25, v26, 0x3d2aadcc
	v_fmac_f32_e32 v29, v25, v30
	s_delay_alu instid0(VALU_DEP_2) | instskip(NEXT) | instid1(VALU_DEP_2)
	v_fmaak_f32 v26, v25, v26, 0x3e2aaa47
	v_add_f32_e32 v30, v28, v29
	s_delay_alu instid0(VALU_DEP_2) | instskip(NEXT) | instid1(VALU_DEP_2)
	v_fmaak_f32 v26, v25, v26, 0x3efffffc
	v_sub_f32_e32 v28, v30, v28
	s_delay_alu instid0(VALU_DEP_1) | instskip(NEXT) | instid1(VALU_DEP_1)
	v_dual_mul_f32 v31, v26, v30 :: v_dual_sub_f32 v28, v29, v28
	v_fma_f32 v29, v30, v26, -v31
	s_delay_alu instid0(VALU_DEP_1) | instskip(NEXT) | instid1(VALU_DEP_1)
	v_fmac_f32_e32 v29, v28, v26
	v_add_f32_e32 v26, v31, v29
	s_delay_alu instid0(VALU_DEP_1) | instskip(SKIP_1) | instid1(VALU_DEP_2)
	v_sub_f32_e32 v30, v26, v31
	v_add_f32_e32 v28, v25, v26
	v_sub_f32_e32 v29, v29, v30
	s_delay_alu instid0(VALU_DEP_2) | instskip(NEXT) | instid1(VALU_DEP_1)
	v_sub_f32_e32 v25, v28, v25
	v_sub_f32_e32 v25, v26, v25
	s_delay_alu instid0(VALU_DEP_3) | instskip(NEXT) | instid1(VALU_DEP_1)
	v_add_f32_e32 v24, v24, v29
	v_add_f32_e32 v24, v24, v25
	s_delay_alu instid0(VALU_DEP_1) | instskip(NEXT) | instid1(VALU_DEP_1)
	v_add_f32_e32 v25, v28, v24
	v_add_f32_e32 v26, 1.0, v25
	s_delay_alu instid0(VALU_DEP_1) | instskip(NEXT) | instid1(VALU_DEP_1)
	v_dual_sub_f32 v28, v25, v28 :: v_dual_add_f32 v29, -1.0, v26
	v_dual_sub_f32 v24, v24, v28 :: v_dual_sub_f32 v25, v25, v29
	s_delay_alu instid0(VALU_DEP_1) | instskip(SKIP_1) | instid1(VALU_DEP_2)
	v_add_f32_e32 v24, v24, v25
	v_cvt_i32_f32_e32 v25, v27
	v_add_f32_e32 v27, v26, v24
	s_delay_alu instid0(VALU_DEP_1) | instskip(NEXT) | instid1(VALU_DEP_1)
	v_ldexp_f32 v28, v27, v25
	v_rcp_f32_e32 v29, v28
	v_sub_f32_e32 v26, v27, v26
	s_delay_alu instid0(VALU_DEP_1) | instskip(SKIP_3) | instid1(VALU_DEP_2)
	v_sub_f32_e32 v24, v24, v26
	s_waitcnt_depctr 0xfff
	v_mul_f32_e32 v26, v28, v29
	v_ldexp_f32 v24, v24, v25
	v_fma_f32 v25, v29, v28, -v26
	s_delay_alu instid0(VALU_DEP_1) | instskip(NEXT) | instid1(VALU_DEP_1)
	v_fmac_f32_e32 v25, v29, v24
	v_add_f32_e32 v27, v26, v25
	s_delay_alu instid0(VALU_DEP_1) | instskip(SKIP_1) | instid1(VALU_DEP_2)
	v_sub_f32_e32 v30, 1.0, v27
	v_sub_f32_e32 v26, v27, v26
	v_sub_f32_e32 v31, 1.0, v30
	s_delay_alu instid0(VALU_DEP_1) | instskip(NEXT) | instid1(VALU_DEP_1)
	v_dual_sub_f32 v25, v26, v25 :: v_dual_sub_f32 v26, v31, v27
	v_add_f32_e32 v25, v25, v26
	s_delay_alu instid0(VALU_DEP_1) | instskip(NEXT) | instid1(VALU_DEP_1)
	v_add_f32_e32 v26, v30, v25
	v_mul_f32_e32 v27, v29, v26
	s_delay_alu instid0(VALU_DEP_1) | instskip(NEXT) | instid1(VALU_DEP_1)
	v_dual_sub_f32 v30, v30, v26 :: v_dual_mul_f32 v31, v28, v27
	v_add_f32_e32 v25, v25, v30
	s_delay_alu instid0(VALU_DEP_2) | instskip(NEXT) | instid1(VALU_DEP_1)
	v_fma_f32 v32, v27, v28, -v31
	v_fmac_f32_e32 v32, v27, v24
	s_delay_alu instid0(VALU_DEP_1) | instskip(NEXT) | instid1(VALU_DEP_1)
	v_add_f32_e32 v33, v31, v32
	v_sub_f32_e32 v34, v26, v33
	v_sub_f32_e32 v30, v33, v31
	s_delay_alu instid0(VALU_DEP_2) | instskip(NEXT) | instid1(VALU_DEP_2)
	v_sub_f32_e32 v26, v26, v34
	v_sub_f32_e32 v30, v30, v32
	s_delay_alu instid0(VALU_DEP_2) | instskip(NEXT) | instid1(VALU_DEP_1)
	v_sub_f32_e32 v26, v26, v33
	v_add_f32_e32 v25, v25, v26
	s_delay_alu instid0(VALU_DEP_1) | instskip(NEXT) | instid1(VALU_DEP_1)
	v_dual_add_f32 v26, v29, v27 :: v_dual_add_f32 v25, v30, v25
	v_sub_f32_e32 v30, v26, v29
	s_delay_alu instid0(VALU_DEP_2) | instskip(NEXT) | instid1(VALU_DEP_2)
	v_add_f32_e32 v25, v34, v25
	v_sub_f32_e32 v27, v27, v30
	s_delay_alu instid0(VALU_DEP_2) | instskip(NEXT) | instid1(VALU_DEP_1)
	v_mul_f32_e32 v25, v29, v25
	v_add_f32_e32 v25, v27, v25
	s_delay_alu instid0(VALU_DEP_1) | instskip(NEXT) | instid1(VALU_DEP_1)
	v_add_f32_e32 v27, v26, v25
	v_ldexp_f32 v29, v27, -2
	v_sub_f32_e32 v26, v27, v26
	s_delay_alu instid0(VALU_DEP_1) | instskip(NEXT) | instid1(VALU_DEP_1)
	v_dual_sub_f32 v30, v28, v29 :: v_dual_sub_f32 v25, v25, v26
	v_sub_f32_e32 v27, v28, v30
	s_delay_alu instid0(VALU_DEP_2) | instskip(NEXT) | instid1(VALU_DEP_2)
	v_ldexp_f32 v25, v25, -2
	v_sub_f32_e32 v26, v27, v29
	s_delay_alu instid0(VALU_DEP_1) | instskip(NEXT) | instid1(VALU_DEP_1)
	v_add_f32_e32 v24, v24, v26
	v_sub_f32_e32 v24, v24, v25
	s_delay_alu instid0(VALU_DEP_1) | instskip(NEXT) | instid1(VALU_DEP_1)
	v_add_f32_e32 v24, v30, v24
	v_cndmask_b32_e32 v24, 0x7f800000, v24, vcc_lo
	s_delay_alu instid0(VALU_DEP_1) | instskip(NEXT) | instid1(VALU_DEP_1)
	v_cndmask_b32_e64 v24, v24, |v23|, s1
	v_bfi_b32 v23, 0x7fffffff, v24, v23
	s_delay_alu instid0(VALU_DEP_1) | instskip(SKIP_1) | instid1(VALU_DEP_2)
	v_bfe_u32 v24, v23, 16, 1
	v_cmp_o_f32_e32 vcc_lo, v23, v23
	v_add3_u32 v24, v23, v24, 0x7fff
	s_delay_alu instid0(VALU_DEP_1) | instskip(NEXT) | instid1(VALU_DEP_1)
	v_lshrrev_b32_e32 v24, 16, v24
	v_cndmask_b32_e32 v25, 0x7fc0, v24, vcc_lo
	v_add_co_u32 v23, vcc_lo, v7, s8
	v_add_co_ci_u32_e32 v24, vcc_lo, s9, v8, vcc_lo
	global_store_b16 v[23:24], v25, off
	s_branch .LBB123_8
.LBB123_25:
	s_nop 0
	s_sendmsg sendmsg(MSG_DEALLOC_VGPRS)
	s_endpgm
	.section	.rodata,"a",@progbits
	.p2align	6, 0x0
	.amdhsa_kernel _ZN2at6native12_GLOBAL__N_125multi_tensor_apply_kernelINS1_18TensorListMetadataILi2EEENS1_14UnaryOpFunctorIN3c108BFloat16ELi2ELi1ELi1EEEJNS0_4SinhIfEEEEEvT_T0_DpT1_
		.amdhsa_group_segment_fixed_size 0
		.amdhsa_private_segment_fixed_size 0
		.amdhsa_kernarg_size 3408
		.amdhsa_user_sgpr_count 15
		.amdhsa_user_sgpr_dispatch_ptr 0
		.amdhsa_user_sgpr_queue_ptr 0
		.amdhsa_user_sgpr_kernarg_segment_ptr 1
		.amdhsa_user_sgpr_dispatch_id 0
		.amdhsa_user_sgpr_private_segment_size 0
		.amdhsa_wavefront_size32 1
		.amdhsa_uses_dynamic_stack 0
		.amdhsa_enable_private_segment 0
		.amdhsa_system_sgpr_workgroup_id_x 1
		.amdhsa_system_sgpr_workgroup_id_y 0
		.amdhsa_system_sgpr_workgroup_id_z 0
		.amdhsa_system_sgpr_workgroup_info 0
		.amdhsa_system_vgpr_workitem_id 0
		.amdhsa_next_free_vgpr 54
		.amdhsa_next_free_sgpr 21
		.amdhsa_reserve_vcc 1
		.amdhsa_float_round_mode_32 0
		.amdhsa_float_round_mode_16_64 0
		.amdhsa_float_denorm_mode_32 3
		.amdhsa_float_denorm_mode_16_64 3
		.amdhsa_dx10_clamp 1
		.amdhsa_ieee_mode 1
		.amdhsa_fp16_overflow 0
		.amdhsa_workgroup_processor_mode 1
		.amdhsa_memory_ordered 1
		.amdhsa_forward_progress 0
		.amdhsa_shared_vgpr_count 0
		.amdhsa_exception_fp_ieee_invalid_op 0
		.amdhsa_exception_fp_denorm_src 0
		.amdhsa_exception_fp_ieee_div_zero 0
		.amdhsa_exception_fp_ieee_overflow 0
		.amdhsa_exception_fp_ieee_underflow 0
		.amdhsa_exception_fp_ieee_inexact 0
		.amdhsa_exception_int_div_zero 0
	.end_amdhsa_kernel
	.section	.text._ZN2at6native12_GLOBAL__N_125multi_tensor_apply_kernelINS1_18TensorListMetadataILi2EEENS1_14UnaryOpFunctorIN3c108BFloat16ELi2ELi1ELi1EEEJNS0_4SinhIfEEEEEvT_T0_DpT1_,"axG",@progbits,_ZN2at6native12_GLOBAL__N_125multi_tensor_apply_kernelINS1_18TensorListMetadataILi2EEENS1_14UnaryOpFunctorIN3c108BFloat16ELi2ELi1ELi1EEEJNS0_4SinhIfEEEEEvT_T0_DpT1_,comdat
.Lfunc_end123:
	.size	_ZN2at6native12_GLOBAL__N_125multi_tensor_apply_kernelINS1_18TensorListMetadataILi2EEENS1_14UnaryOpFunctorIN3c108BFloat16ELi2ELi1ELi1EEEJNS0_4SinhIfEEEEEvT_T0_DpT1_, .Lfunc_end123-_ZN2at6native12_GLOBAL__N_125multi_tensor_apply_kernelINS1_18TensorListMetadataILi2EEENS1_14UnaryOpFunctorIN3c108BFloat16ELi2ELi1ELi1EEEJNS0_4SinhIfEEEEEvT_T0_DpT1_
                                        ; -- End function
	.section	.AMDGPU.csdata,"",@progbits
; Kernel info:
; codeLenInByte = 7664
; NumSgprs: 23
; NumVgprs: 54
; ScratchSize: 0
; MemoryBound: 0
; FloatMode: 240
; IeeeMode: 1
; LDSByteSize: 0 bytes/workgroup (compile time only)
; SGPRBlocks: 2
; VGPRBlocks: 6
; NumSGPRsForWavesPerEU: 23
; NumVGPRsForWavesPerEU: 54
; Occupancy: 16
; WaveLimiterHint : 0
; COMPUTE_PGM_RSRC2:SCRATCH_EN: 0
; COMPUTE_PGM_RSRC2:USER_SGPR: 15
; COMPUTE_PGM_RSRC2:TRAP_HANDLER: 0
; COMPUTE_PGM_RSRC2:TGID_X_EN: 1
; COMPUTE_PGM_RSRC2:TGID_Y_EN: 0
; COMPUTE_PGM_RSRC2:TGID_Z_EN: 0
; COMPUTE_PGM_RSRC2:TIDIG_COMP_CNT: 0
	.section	.text._ZN2at6native12_GLOBAL__N_125multi_tensor_apply_kernelINS1_18TensorListMetadataILi1EEENS1_14UnaryOpFunctorIdLi1ELi1ELi0EEEJNS0_4SinhIdEEEEEvT_T0_DpT1_,"axG",@progbits,_ZN2at6native12_GLOBAL__N_125multi_tensor_apply_kernelINS1_18TensorListMetadataILi1EEENS1_14UnaryOpFunctorIdLi1ELi1ELi0EEEJNS0_4SinhIdEEEEEvT_T0_DpT1_,comdat
	.globl	_ZN2at6native12_GLOBAL__N_125multi_tensor_apply_kernelINS1_18TensorListMetadataILi1EEENS1_14UnaryOpFunctorIdLi1ELi1ELi0EEEJNS0_4SinhIdEEEEEvT_T0_DpT1_ ; -- Begin function _ZN2at6native12_GLOBAL__N_125multi_tensor_apply_kernelINS1_18TensorListMetadataILi1EEENS1_14UnaryOpFunctorIdLi1ELi1ELi0EEEJNS0_4SinhIdEEEEEvT_T0_DpT1_
	.p2align	8
	.type	_ZN2at6native12_GLOBAL__N_125multi_tensor_apply_kernelINS1_18TensorListMetadataILi1EEENS1_14UnaryOpFunctorIdLi1ELi1ELi0EEEJNS0_4SinhIdEEEEEvT_T0_DpT1_,@function
_ZN2at6native12_GLOBAL__N_125multi_tensor_apply_kernelINS1_18TensorListMetadataILi1EEENS1_14UnaryOpFunctorIdLi1ELi1ELi0EEEJNS0_4SinhIdEEEEEvT_T0_DpT1_: ; @_ZN2at6native12_GLOBAL__N_125multi_tensor_apply_kernelINS1_18TensorListMetadataILi1EEENS1_14UnaryOpFunctorIdLi1ELi1ELi0EEEJNS0_4SinhIdEEEEEvT_T0_DpT1_
; %bb.0:
	v_mov_b32_e32 v1, s15
	s_add_u32 s2, s0, s15
	s_mul_hi_u32 s3, s15, 3
	s_mul_i32 s15, s15, 3
	s_addc_u32 s4, s1, 0
	global_load_u8 v1, v1, s[0:1] offset:1760
	s_add_u32 s2, s2, s15
	s_addc_u32 s3, s4, s3
	s_mov_b32 s13, 0
	s_load_b32 s2, s[2:3], 0x820
	s_waitcnt vmcnt(0)
	v_readfirstlane_b32 s5, v1
	s_delay_alu instid0(VALU_DEP_1)
	s_lshl_b32 s3, s5, 3
	s_clause 0x1
	s_load_b64 s[8:9], s[0:1], s3 offset:0x0
	s_load_b64 s[4:5], s[0:1], s3 offset:0x370
	s_waitcnt lgkmcnt(0)
	s_ashr_i32 s3, s2, 31
	s_delay_alu instid0(SALU_CYCLE_1)
	s_lshl_b64 s[10:11], s[2:3], 19
	s_lshl_b64 s[2:3], s[2:3], 16
	s_and_b32 s12, s8, 31
	s_sub_u32 s6, s4, s2
	s_subb_u32 s7, s5, s3
	s_and_b32 s2, s4, 3
	s_mov_b32 s3, s13
	s_delay_alu instid0(SALU_CYCLE_1) | instskip(NEXT) | instid1(SALU_CYCLE_1)
	s_or_b64 s[2:3], s[12:13], s[2:3]
	s_cmp_eq_u64 s[2:3], 0
	s_cbranch_scc1 .LBB124_21
; %bb.1:
	v_cmp_lt_i64_e64 s2, s[6:7], 1
	s_delay_alu instid0(VALU_DEP_1)
	s_and_b32 vcc_lo, exec_lo, s2
	s_cbranch_vccnz .LBB124_20
; %bb.2:
	s_load_b32 s2, s[0:1], 0xd3c
	v_cmp_gt_u64_e64 s3, 0x10000, s[6:7]
	v_lshlrev_b32_e32 v1, 3, v0
	s_mov_b32 s14, 0xfefa39ef
	s_mov_b32 s16, 0x3b39803f
	;; [unrolled: 1-line block ×17, first 2 shown]
	s_waitcnt lgkmcnt(0)
	s_and_b32 s2, s2, 0xffff
	s_and_b32 s3, s3, exec_lo
	v_add_co_u32 v13, s5, v0, s2
	s_cselect_b32 s13, s7, 0
	s_cselect_b32 s12, s6, 0x10000
	s_lshl_b32 s3, s2, 1
	s_lshl_b32 s33, s2, 2
	s_add_u32 s48, s8, s10
	v_lshlrev_b32_e32 v3, 3, v13
	s_mul_i32 s4, s2, 3
	s_mul_i32 s54, s2, 24
	s_addc_u32 s49, s9, s11
	s_lshl_b32 s55, s2, 5
	s_lshl_b32 s56, s2, 4
	v_add_co_u32 v1, s2, s48, v1
	s_delay_alu instid0(VALU_DEP_1)
	v_add_co_ci_u32_e64 v2, null, s49, 0, s2
	v_add_co_u32 v16, s2, s3, v0
	v_add_co_u32 v14, s4, s4, v0
	v_add_co_ci_u32_e64 v17, null, 0, 0, s2
	v_add_co_u32 v3, s2, s48, v3
	v_add_co_ci_u32_e64 v15, null, 0, 0, s4
	v_add_co_ci_u32_e64 v18, null, 0, 0, s5
	;; [unrolled: 1-line block ×3, first 2 shown]
	s_mov_b32 s17, 0xbc7abc9e
	s_mov_b32 s19, 0x3ff71547
	;; [unrolled: 1-line block ×15, first 2 shown]
	s_mov_b64 s[48:49], 0
	s_mov_b32 s51, 0x3fe62e42
	s_mov_b32 s52, 0xfefa3000
	s_branch .LBB124_4
.LBB124_3:                              ;   in Loop: Header=BB124_4 Depth=1
	s_or_b32 exec_lo, exec_lo, s2
	s_add_u32 s48, s48, s33
	s_addc_u32 s49, s49, 0
	v_add_co_u32 v1, vcc_lo, v1, s55
	v_cmp_lt_i64_e64 s2, s[48:49], s[6:7]
	v_cmp_gt_u64_e64 s3, 0x10000, s[48:49]
	v_add_co_ci_u32_e32 v2, vcc_lo, 0, v2, vcc_lo
	v_add_co_u32 v3, vcc_lo, v3, s55
	v_add_co_ci_u32_e32 v4, vcc_lo, 0, v4, vcc_lo
	s_delay_alu instid0(VALU_DEP_4) | instskip(NEXT) | instid1(SALU_CYCLE_1)
	s_and_b32 s2, s2, s3
	s_and_b32 vcc_lo, exec_lo, s2
	s_cbranch_vccz .LBB124_20
.LBB124_4:                              ; =>This Inner Loop Header: Depth=1
	s_waitcnt vmcnt(0)
	v_add_co_u32 v5, s2, v0, s48
	s_delay_alu instid0(VALU_DEP_1) | instskip(SKIP_2) | instid1(VALU_DEP_3)
	v_add_co_ci_u32_e64 v6, null, 0, s49, s2
	v_mov_b32_e32 v9, 0
	v_mov_b32_e32 v10, 0
	v_cmp_gt_u64_e64 s4, s[12:13], v[5:6]
	s_delay_alu instid0(VALU_DEP_2) | instskip(NEXT) | instid1(VALU_DEP_2)
	v_dual_mov_b32 v12, v10 :: v_dual_mov_b32 v11, v9
	s_and_saveexec_b32 s2, s4
	s_cbranch_execz .LBB124_6
; %bb.5:                                ;   in Loop: Header=BB124_4 Depth=1
	global_load_b64 v[11:12], v[1:2], off
.LBB124_6:                              ;   in Loop: Header=BB124_4 Depth=1
	s_or_b32 exec_lo, exec_lo, s2
	v_add_co_u32 v5, vcc_lo, v13, s48
	v_add_co_ci_u32_e32 v6, vcc_lo, s49, v18, vcc_lo
	s_delay_alu instid0(VALU_DEP_1) | instskip(NEXT) | instid1(VALU_DEP_1)
	v_cmp_gt_u64_e64 s3, s[12:13], v[5:6]
	s_and_saveexec_b32 s2, s3
	s_cbranch_execz .LBB124_8
; %bb.7:                                ;   in Loop: Header=BB124_4 Depth=1
	global_load_b64 v[9:10], v[3:4], off
.LBB124_8:                              ;   in Loop: Header=BB124_4 Depth=1
	s_or_b32 exec_lo, exec_lo, s2
	v_add_co_u32 v7, vcc_lo, v16, s48
	v_add_co_ci_u32_e32 v8, vcc_lo, s49, v17, vcc_lo
	v_mov_b32_e32 v5, 0
	v_mov_b32_e32 v6, 0
	s_delay_alu instid0(VALU_DEP_3) | instskip(NEXT) | instid1(VALU_DEP_2)
	v_cmp_gt_u64_e64 s2, s[12:13], v[7:8]
	v_dual_mov_b32 v8, v6 :: v_dual_mov_b32 v7, v5
	s_delay_alu instid0(VALU_DEP_2)
	s_and_saveexec_b32 s5, s2
	s_cbranch_execz .LBB124_10
; %bb.9:                                ;   in Loop: Header=BB124_4 Depth=1
	v_add_co_u32 v7, vcc_lo, v1, s56
	v_add_co_ci_u32_e32 v8, vcc_lo, 0, v2, vcc_lo
	global_load_b64 v[7:8], v[7:8], off
.LBB124_10:                             ;   in Loop: Header=BB124_4 Depth=1
	s_or_b32 exec_lo, exec_lo, s5
	v_add_co_u32 v19, vcc_lo, v14, s48
	v_add_co_ci_u32_e32 v20, vcc_lo, s49, v15, vcc_lo
	s_delay_alu instid0(VALU_DEP_1)
	v_cmp_gt_u64_e32 vcc_lo, s[12:13], v[19:20]
	s_and_saveexec_b32 s50, vcc_lo
	s_cbranch_execnz .LBB124_15
; %bb.11:                               ;   in Loop: Header=BB124_4 Depth=1
	s_or_b32 exec_lo, exec_lo, s50
	s_and_saveexec_b32 s5, s4
	s_cbranch_execnz .LBB124_16
.LBB124_12:                             ;   in Loop: Header=BB124_4 Depth=1
	s_or_b32 exec_lo, exec_lo, s5
	s_and_saveexec_b32 s4, s3
	s_cbranch_execnz .LBB124_17
.LBB124_13:                             ;   in Loop: Header=BB124_4 Depth=1
	s_or_b32 exec_lo, exec_lo, s4
	s_and_saveexec_b32 s3, s2
	s_cbranch_execnz .LBB124_18
.LBB124_14:                             ;   in Loop: Header=BB124_4 Depth=1
	s_or_b32 exec_lo, exec_lo, s3
	s_and_saveexec_b32 s2, vcc_lo
	s_cbranch_execz .LBB124_3
	s_branch .LBB124_19
.LBB124_15:                             ;   in Loop: Header=BB124_4 Depth=1
	v_add_co_u32 v5, s5, v1, s54
	s_delay_alu instid0(VALU_DEP_1)
	v_add_co_ci_u32_e64 v6, s5, 0, v2, s5
	global_load_b64 v[5:6], v[5:6], off
	s_or_b32 exec_lo, exec_lo, s50
	s_and_saveexec_b32 s5, s4
	s_cbranch_execz .LBB124_12
.LBB124_16:                             ;   in Loop: Header=BB124_4 Depth=1
	s_waitcnt vmcnt(0)
	v_add_f64 v[19:20], |v[11:12]|, s[14:15]
	s_mov_b32 s50, s14
	s_mov_b32 s53, s15
	v_cmp_nge_f64_e64 s4, |v[11:12]|, s[46:47]
	s_delay_alu instid0(VALU_DEP_2) | instskip(NEXT) | instid1(VALU_DEP_1)
	v_add_f64 v[21:22], v[19:20], -|v[11:12]|
	v_add_f64 v[23:24], v[21:22], -v[19:20]
	v_add_f64 v[21:22], v[21:22], s[50:51]
	s_delay_alu instid0(VALU_DEP_2) | instskip(NEXT) | instid1(VALU_DEP_1)
	v_add_f64 v[23:24], |v[11:12]|, v[23:24]
	v_add_f64 v[21:22], v[23:24], -v[21:22]
	s_delay_alu instid0(VALU_DEP_1) | instskip(NEXT) | instid1(VALU_DEP_1)
	v_add_f64 v[21:22], v[21:22], s[16:17]
	v_add_f64 v[23:24], v[19:20], v[21:22]
	s_delay_alu instid0(VALU_DEP_1) | instskip(SKIP_1) | instid1(VALU_DEP_2)
	v_mul_f64 v[25:26], v[23:24], s[18:19]
	v_add_f64 v[19:20], v[19:20], -v[23:24]
	v_rndne_f64_e32 v[25:26], v[25:26]
	s_delay_alu instid0(VALU_DEP_2) | instskip(NEXT) | instid1(VALU_DEP_2)
	v_add_f64 v[19:20], v[21:22], v[19:20]
	v_fma_f64 v[21:22], v[25:26], s[52:53], v[23:24]
	v_mul_f64 v[23:24], v[25:26], s[20:21]
	s_delay_alu instid0(VALU_DEP_2) | instskip(NEXT) | instid1(VALU_DEP_1)
	v_add_f64 v[27:28], v[19:20], v[21:22]
	v_add_f64 v[29:30], v[27:28], v[23:24]
	v_add_f64 v[21:22], v[21:22], -v[27:28]
	s_delay_alu instid0(VALU_DEP_2) | instskip(NEXT) | instid1(VALU_DEP_2)
	v_add_f64 v[27:28], v[27:28], -v[29:30]
	v_add_f64 v[19:20], v[19:20], v[21:22]
	s_delay_alu instid0(VALU_DEP_2) | instskip(NEXT) | instid1(VALU_DEP_1)
	v_add_f64 v[21:22], v[27:28], v[23:24]
	v_add_f64 v[19:20], v[19:20], v[21:22]
	v_mul_f64 v[21:22], v[25:26], s[22:23]
	s_delay_alu instid0(VALU_DEP_2) | instskip(NEXT) | instid1(VALU_DEP_1)
	v_add_f64 v[23:24], v[29:30], v[19:20]
	v_add_f64 v[27:28], v[23:24], v[21:22]
	v_add_f64 v[29:30], v[29:30], -v[23:24]
	s_delay_alu instid0(VALU_DEP_2) | instskip(NEXT) | instid1(VALU_DEP_2)
	v_add_f64 v[23:24], v[23:24], -v[27:28]
	v_add_f64 v[19:20], v[19:20], v[29:30]
	s_delay_alu instid0(VALU_DEP_2) | instskip(NEXT) | instid1(VALU_DEP_1)
	v_add_f64 v[21:22], v[23:24], v[21:22]
	v_add_f64 v[19:20], v[19:20], v[21:22]
	s_delay_alu instid0(VALU_DEP_1) | instskip(NEXT) | instid1(VALU_DEP_1)
	v_add_f64 v[21:22], v[27:28], v[19:20]
	v_fma_f64 v[23:24], v[21:22], s[26:27], s[24:25]
	v_add_f64 v[27:28], v[27:28], -v[21:22]
	v_mul_f64 v[29:30], v[21:22], v[21:22]
	s_delay_alu instid0(VALU_DEP_3) | instskip(NEXT) | instid1(VALU_DEP_3)
	v_fma_f64 v[23:24], v[21:22], v[23:24], s[28:29]
	v_add_f64 v[19:20], v[19:20], v[27:28]
	s_delay_alu instid0(VALU_DEP_3) | instskip(NEXT) | instid1(VALU_DEP_3)
	v_fma_f64 v[27:28], v[21:22], v[21:22], -v[29:30]
	v_fma_f64 v[23:24], v[21:22], v[23:24], s[30:31]
	s_delay_alu instid0(VALU_DEP_3) | instskip(NEXT) | instid1(VALU_DEP_2)
	v_add_f64 v[31:32], v[19:20], v[19:20]
	v_fma_f64 v[23:24], v[21:22], v[23:24], s[34:35]
	s_delay_alu instid0(VALU_DEP_2) | instskip(NEXT) | instid1(VALU_DEP_2)
	v_fma_f64 v[27:28], v[21:22], v[31:32], v[27:28]
	v_fma_f64 v[23:24], v[21:22], v[23:24], s[36:37]
	s_delay_alu instid0(VALU_DEP_2) | instskip(NEXT) | instid1(VALU_DEP_2)
	v_add_f64 v[31:32], v[29:30], v[27:28]
	v_fma_f64 v[23:24], v[21:22], v[23:24], s[38:39]
	s_delay_alu instid0(VALU_DEP_2) | instskip(NEXT) | instid1(VALU_DEP_2)
	v_add_f64 v[29:30], v[31:32], -v[29:30]
	v_fma_f64 v[23:24], v[21:22], v[23:24], s[40:41]
	s_delay_alu instid0(VALU_DEP_2) | instskip(NEXT) | instid1(VALU_DEP_2)
	v_add_f64 v[27:28], v[27:28], -v[29:30]
	v_fma_f64 v[23:24], v[21:22], v[23:24], s[42:43]
	s_delay_alu instid0(VALU_DEP_1) | instskip(NEXT) | instid1(VALU_DEP_1)
	v_fma_f64 v[23:24], v[21:22], v[23:24], s[44:45]
	v_mul_f64 v[33:34], v[31:32], v[23:24]
	s_delay_alu instid0(VALU_DEP_1) | instskip(NEXT) | instid1(VALU_DEP_1)
	v_fma_f64 v[29:30], v[31:32], v[23:24], -v[33:34]
	v_fma_f64 v[23:24], v[27:28], v[23:24], v[29:30]
	s_delay_alu instid0(VALU_DEP_1) | instskip(NEXT) | instid1(VALU_DEP_1)
	v_add_f64 v[27:28], v[33:34], v[23:24]
	v_add_f64 v[29:30], v[27:28], -v[33:34]
	v_add_f64 v[31:32], v[21:22], v[27:28]
	s_delay_alu instid0(VALU_DEP_2) | instskip(NEXT) | instid1(VALU_DEP_2)
	v_add_f64 v[23:24], v[23:24], -v[29:30]
	v_add_f64 v[21:22], v[31:32], -v[21:22]
	s_delay_alu instid0(VALU_DEP_2) | instskip(NEXT) | instid1(VALU_DEP_2)
	v_add_f64 v[19:20], v[19:20], v[23:24]
	v_add_f64 v[21:22], v[27:28], -v[21:22]
	s_delay_alu instid0(VALU_DEP_1) | instskip(NEXT) | instid1(VALU_DEP_1)
	v_add_f64 v[19:20], v[19:20], v[21:22]
	v_add_f64 v[21:22], v[31:32], v[19:20]
	s_delay_alu instid0(VALU_DEP_1) | instskip(SKIP_2) | instid1(VALU_DEP_3)
	v_add_f64 v[23:24], v[21:22], 1.0
	v_add_f64 v[27:28], v[21:22], -v[31:32]
	v_cvt_i32_f64_e32 v31, v[25:26]
	v_add_f64 v[29:30], v[23:24], -1.0
	s_delay_alu instid0(VALU_DEP_3) | instskip(NEXT) | instid1(VALU_DEP_2)
	v_add_f64 v[19:20], v[19:20], -v[27:28]
	v_add_f64 v[21:22], v[21:22], -v[29:30]
	s_delay_alu instid0(VALU_DEP_1) | instskip(NEXT) | instid1(VALU_DEP_1)
	v_add_f64 v[19:20], v[19:20], v[21:22]
	v_add_f64 v[21:22], v[23:24], v[19:20]
	s_delay_alu instid0(VALU_DEP_1) | instskip(SKIP_1) | instid1(VALU_DEP_2)
	v_ldexp_f64 v[25:26], v[21:22], v31
	v_add_f64 v[21:22], v[21:22], -v[23:24]
	v_rcp_f64_e32 v[27:28], v[25:26]
	s_delay_alu instid0(VALU_DEP_1) | instskip(NEXT) | instid1(VALU_DEP_1)
	v_add_f64 v[19:20], v[19:20], -v[21:22]
	v_ldexp_f64 v[19:20], v[19:20], v31
	s_waitcnt_depctr 0xfff
	v_fma_f64 v[29:30], -v[25:26], v[27:28], 1.0
	s_delay_alu instid0(VALU_DEP_1) | instskip(NEXT) | instid1(VALU_DEP_1)
	v_fma_f64 v[27:28], v[29:30], v[27:28], v[27:28]
	v_fma_f64 v[29:30], -v[25:26], v[27:28], 1.0
	s_delay_alu instid0(VALU_DEP_1) | instskip(NEXT) | instid1(VALU_DEP_1)
	v_fma_f64 v[23:24], v[29:30], v[27:28], v[27:28]
	v_mul_f64 v[21:22], v[25:26], v[23:24]
	s_delay_alu instid0(VALU_DEP_1) | instskip(NEXT) | instid1(VALU_DEP_1)
	v_fma_f64 v[27:28], v[23:24], v[25:26], -v[21:22]
	v_fma_f64 v[27:28], v[23:24], v[19:20], v[27:28]
	s_delay_alu instid0(VALU_DEP_1) | instskip(NEXT) | instid1(VALU_DEP_1)
	v_add_f64 v[29:30], v[21:22], v[27:28]
	v_add_f64 v[31:32], -v[29:30], 1.0
	v_add_f64 v[21:22], v[29:30], -v[21:22]
	s_delay_alu instid0(VALU_DEP_2) | instskip(NEXT) | instid1(VALU_DEP_2)
	v_add_f64 v[33:34], -v[31:32], 1.0
	v_add_f64 v[21:22], v[21:22], -v[27:28]
	s_delay_alu instid0(VALU_DEP_2) | instskip(NEXT) | instid1(VALU_DEP_1)
	v_add_f64 v[27:28], v[33:34], -v[29:30]
	v_add_f64 v[21:22], v[21:22], v[27:28]
	s_delay_alu instid0(VALU_DEP_1) | instskip(NEXT) | instid1(VALU_DEP_1)
	v_add_f64 v[27:28], v[31:32], v[21:22]
	v_mul_f64 v[29:30], v[23:24], v[27:28]
	v_add_f64 v[31:32], v[31:32], -v[27:28]
	s_delay_alu instid0(VALU_DEP_2) | instskip(NEXT) | instid1(VALU_DEP_2)
	v_mul_f64 v[33:34], v[25:26], v[29:30]
	v_add_f64 v[21:22], v[21:22], v[31:32]
	s_delay_alu instid0(VALU_DEP_2) | instskip(NEXT) | instid1(VALU_DEP_1)
	v_fma_f64 v[35:36], v[29:30], v[25:26], -v[33:34]
	v_fma_f64 v[35:36], v[29:30], v[19:20], v[35:36]
	s_delay_alu instid0(VALU_DEP_1) | instskip(NEXT) | instid1(VALU_DEP_1)
	v_add_f64 v[37:38], v[33:34], v[35:36]
	v_add_f64 v[39:40], v[27:28], -v[37:38]
	v_add_f64 v[31:32], v[37:38], -v[33:34]
	s_delay_alu instid0(VALU_DEP_2) | instskip(NEXT) | instid1(VALU_DEP_2)
	v_add_f64 v[27:28], v[27:28], -v[39:40]
	v_add_f64 v[31:32], v[31:32], -v[35:36]
	s_delay_alu instid0(VALU_DEP_2) | instskip(NEXT) | instid1(VALU_DEP_1)
	v_add_f64 v[27:28], v[27:28], -v[37:38]
	v_add_f64 v[21:22], v[21:22], v[27:28]
	v_add_f64 v[27:28], v[23:24], v[29:30]
	s_delay_alu instid0(VALU_DEP_2) | instskip(NEXT) | instid1(VALU_DEP_2)
	v_add_f64 v[21:22], v[31:32], v[21:22]
	v_add_f64 v[31:32], v[27:28], -v[23:24]
	s_delay_alu instid0(VALU_DEP_2) | instskip(NEXT) | instid1(VALU_DEP_2)
	v_add_f64 v[21:22], v[39:40], v[21:22]
	v_add_f64 v[29:30], v[29:30], -v[31:32]
	s_delay_alu instid0(VALU_DEP_2) | instskip(NEXT) | instid1(VALU_DEP_1)
	v_mul_f64 v[21:22], v[23:24], v[21:22]
	v_add_f64 v[21:22], v[29:30], v[21:22]
	s_delay_alu instid0(VALU_DEP_1) | instskip(NEXT) | instid1(VALU_DEP_1)
	v_add_f64 v[23:24], v[27:28], v[21:22]
	v_ldexp_f64 v[29:30], v[23:24], -2
	v_add_f64 v[23:24], v[23:24], -v[27:28]
	s_delay_alu instid0(VALU_DEP_2) | instskip(NEXT) | instid1(VALU_DEP_2)
	v_add_f64 v[31:32], v[25:26], -v[29:30]
	v_add_f64 v[21:22], v[21:22], -v[23:24]
	s_delay_alu instid0(VALU_DEP_2) | instskip(NEXT) | instid1(VALU_DEP_2)
	v_add_f64 v[25:26], v[25:26], -v[31:32]
	v_ldexp_f64 v[21:22], v[21:22], -2
	s_delay_alu instid0(VALU_DEP_2) | instskip(NEXT) | instid1(VALU_DEP_1)
	v_add_f64 v[23:24], v[25:26], -v[29:30]
	v_add_f64 v[19:20], v[19:20], v[23:24]
	s_delay_alu instid0(VALU_DEP_1) | instskip(SKIP_1) | instid1(VALU_DEP_2)
	v_add_f64 v[19:20], v[19:20], -v[21:22]
	v_and_b32_e32 v21, 0x7fffffff, v12
	v_add_f64 v[19:20], v[31:32], v[19:20]
	s_delay_alu instid0(VALU_DEP_1) | instskip(NEXT) | instid1(VALU_DEP_2)
	v_cndmask_b32_e64 v20, 0x7ff00000, v20, s4
	v_cndmask_b32_e64 v19, 0, v19, s4
	v_cmp_gt_f64_e64 s4, 0x3e400000, |v[11:12]|
	s_delay_alu instid0(VALU_DEP_1) | instskip(NEXT) | instid1(VALU_DEP_4)
	v_cndmask_b32_e64 v11, v19, v11, s4
	v_cndmask_b32_e64 v19, v20, v21, s4
	s_delay_alu instid0(VALU_DEP_1)
	v_bfi_b32 v12, 0x7fffffff, v19, v12
	global_store_b64 v[1:2], v[11:12], off
	s_or_b32 exec_lo, exec_lo, s5
	s_and_saveexec_b32 s4, s3
	s_cbranch_execz .LBB124_13
.LBB124_17:                             ;   in Loop: Header=BB124_4 Depth=1
	s_waitcnt vmcnt(0)
	v_add_f64 v[11:12], |v[9:10]|, s[14:15]
	s_mov_b32 s50, s14
	s_mov_b32 s53, s15
	v_cmp_nge_f64_e64 s3, |v[9:10]|, s[46:47]
	s_delay_alu instid0(VALU_DEP_2) | instskip(NEXT) | instid1(VALU_DEP_1)
	v_add_f64 v[19:20], v[11:12], -|v[9:10]|
	v_add_f64 v[21:22], v[19:20], -v[11:12]
	v_add_f64 v[19:20], v[19:20], s[50:51]
	s_delay_alu instid0(VALU_DEP_2) | instskip(NEXT) | instid1(VALU_DEP_1)
	v_add_f64 v[21:22], |v[9:10]|, v[21:22]
	v_add_f64 v[19:20], v[21:22], -v[19:20]
	s_delay_alu instid0(VALU_DEP_1) | instskip(NEXT) | instid1(VALU_DEP_1)
	v_add_f64 v[19:20], v[19:20], s[16:17]
	v_add_f64 v[21:22], v[11:12], v[19:20]
	s_delay_alu instid0(VALU_DEP_1) | instskip(SKIP_1) | instid1(VALU_DEP_2)
	v_mul_f64 v[23:24], v[21:22], s[18:19]
	v_add_f64 v[11:12], v[11:12], -v[21:22]
	v_rndne_f64_e32 v[23:24], v[23:24]
	s_delay_alu instid0(VALU_DEP_2) | instskip(NEXT) | instid1(VALU_DEP_2)
	v_add_f64 v[11:12], v[19:20], v[11:12]
	v_fma_f64 v[19:20], v[23:24], s[52:53], v[21:22]
	v_mul_f64 v[21:22], v[23:24], s[20:21]
	s_delay_alu instid0(VALU_DEP_2) | instskip(NEXT) | instid1(VALU_DEP_1)
	v_add_f64 v[25:26], v[11:12], v[19:20]
	v_add_f64 v[27:28], v[25:26], v[21:22]
	v_add_f64 v[19:20], v[19:20], -v[25:26]
	s_delay_alu instid0(VALU_DEP_2) | instskip(NEXT) | instid1(VALU_DEP_2)
	v_add_f64 v[25:26], v[25:26], -v[27:28]
	v_add_f64 v[11:12], v[11:12], v[19:20]
	s_delay_alu instid0(VALU_DEP_2) | instskip(NEXT) | instid1(VALU_DEP_1)
	v_add_f64 v[19:20], v[25:26], v[21:22]
	v_add_f64 v[11:12], v[11:12], v[19:20]
	v_mul_f64 v[19:20], v[23:24], s[22:23]
	s_delay_alu instid0(VALU_DEP_2) | instskip(NEXT) | instid1(VALU_DEP_1)
	v_add_f64 v[21:22], v[27:28], v[11:12]
	v_add_f64 v[25:26], v[21:22], v[19:20]
	v_add_f64 v[27:28], v[27:28], -v[21:22]
	s_delay_alu instid0(VALU_DEP_2) | instskip(NEXT) | instid1(VALU_DEP_2)
	v_add_f64 v[21:22], v[21:22], -v[25:26]
	v_add_f64 v[11:12], v[11:12], v[27:28]
	s_delay_alu instid0(VALU_DEP_2) | instskip(NEXT) | instid1(VALU_DEP_1)
	v_add_f64 v[19:20], v[21:22], v[19:20]
	v_add_f64 v[11:12], v[11:12], v[19:20]
	s_delay_alu instid0(VALU_DEP_1) | instskip(NEXT) | instid1(VALU_DEP_1)
	v_add_f64 v[19:20], v[25:26], v[11:12]
	v_fma_f64 v[21:22], v[19:20], s[26:27], s[24:25]
	v_add_f64 v[25:26], v[25:26], -v[19:20]
	v_mul_f64 v[27:28], v[19:20], v[19:20]
	s_delay_alu instid0(VALU_DEP_3) | instskip(NEXT) | instid1(VALU_DEP_3)
	v_fma_f64 v[21:22], v[19:20], v[21:22], s[28:29]
	v_add_f64 v[11:12], v[11:12], v[25:26]
	s_delay_alu instid0(VALU_DEP_3) | instskip(NEXT) | instid1(VALU_DEP_3)
	v_fma_f64 v[25:26], v[19:20], v[19:20], -v[27:28]
	v_fma_f64 v[21:22], v[19:20], v[21:22], s[30:31]
	s_delay_alu instid0(VALU_DEP_3) | instskip(NEXT) | instid1(VALU_DEP_2)
	v_add_f64 v[29:30], v[11:12], v[11:12]
	v_fma_f64 v[21:22], v[19:20], v[21:22], s[34:35]
	s_delay_alu instid0(VALU_DEP_2) | instskip(NEXT) | instid1(VALU_DEP_2)
	v_fma_f64 v[25:26], v[19:20], v[29:30], v[25:26]
	v_fma_f64 v[21:22], v[19:20], v[21:22], s[36:37]
	s_delay_alu instid0(VALU_DEP_2) | instskip(NEXT) | instid1(VALU_DEP_2)
	v_add_f64 v[29:30], v[27:28], v[25:26]
	v_fma_f64 v[21:22], v[19:20], v[21:22], s[38:39]
	s_delay_alu instid0(VALU_DEP_2) | instskip(NEXT) | instid1(VALU_DEP_2)
	v_add_f64 v[27:28], v[29:30], -v[27:28]
	v_fma_f64 v[21:22], v[19:20], v[21:22], s[40:41]
	s_delay_alu instid0(VALU_DEP_2) | instskip(NEXT) | instid1(VALU_DEP_2)
	v_add_f64 v[25:26], v[25:26], -v[27:28]
	v_fma_f64 v[21:22], v[19:20], v[21:22], s[42:43]
	s_delay_alu instid0(VALU_DEP_1) | instskip(NEXT) | instid1(VALU_DEP_1)
	v_fma_f64 v[21:22], v[19:20], v[21:22], s[44:45]
	v_mul_f64 v[31:32], v[29:30], v[21:22]
	s_delay_alu instid0(VALU_DEP_1) | instskip(NEXT) | instid1(VALU_DEP_1)
	v_fma_f64 v[27:28], v[29:30], v[21:22], -v[31:32]
	v_fma_f64 v[21:22], v[25:26], v[21:22], v[27:28]
	s_delay_alu instid0(VALU_DEP_1) | instskip(NEXT) | instid1(VALU_DEP_1)
	v_add_f64 v[25:26], v[31:32], v[21:22]
	v_add_f64 v[27:28], v[19:20], v[25:26]
	v_add_f64 v[29:30], v[25:26], -v[31:32]
	s_delay_alu instid0(VALU_DEP_2) | instskip(NEXT) | instid1(VALU_DEP_2)
	v_add_f64 v[19:20], v[27:28], -v[19:20]
	v_add_f64 v[21:22], v[21:22], -v[29:30]
	v_cvt_i32_f64_e32 v29, v[23:24]
	s_delay_alu instid0(VALU_DEP_3) | instskip(NEXT) | instid1(VALU_DEP_3)
	v_add_f64 v[19:20], v[25:26], -v[19:20]
	v_add_f64 v[11:12], v[11:12], v[21:22]
	s_delay_alu instid0(VALU_DEP_1) | instskip(NEXT) | instid1(VALU_DEP_1)
	v_add_f64 v[11:12], v[11:12], v[19:20]
	v_add_f64 v[19:20], v[27:28], v[11:12]
	s_delay_alu instid0(VALU_DEP_1) | instskip(SKIP_1) | instid1(VALU_DEP_2)
	v_add_f64 v[21:22], v[19:20], 1.0
	v_add_f64 v[25:26], v[19:20], -v[27:28]
	v_add_f64 v[27:28], v[21:22], -1.0
	s_delay_alu instid0(VALU_DEP_2) | instskip(NEXT) | instid1(VALU_DEP_2)
	v_add_f64 v[11:12], v[11:12], -v[25:26]
	v_add_f64 v[19:20], v[19:20], -v[27:28]
	s_delay_alu instid0(VALU_DEP_1) | instskip(NEXT) | instid1(VALU_DEP_1)
	v_add_f64 v[11:12], v[11:12], v[19:20]
	v_add_f64 v[19:20], v[21:22], v[11:12]
	s_delay_alu instid0(VALU_DEP_1) | instskip(SKIP_1) | instid1(VALU_DEP_2)
	v_ldexp_f64 v[23:24], v[19:20], v29
	v_add_f64 v[19:20], v[19:20], -v[21:22]
	v_rcp_f64_e32 v[25:26], v[23:24]
	s_delay_alu instid0(VALU_DEP_1) | instskip(NEXT) | instid1(VALU_DEP_1)
	v_add_f64 v[11:12], v[11:12], -v[19:20]
	v_ldexp_f64 v[11:12], v[11:12], v29
	s_waitcnt_depctr 0xfff
	v_fma_f64 v[27:28], -v[23:24], v[25:26], 1.0
	s_delay_alu instid0(VALU_DEP_1) | instskip(NEXT) | instid1(VALU_DEP_1)
	v_fma_f64 v[25:26], v[27:28], v[25:26], v[25:26]
	v_fma_f64 v[27:28], -v[23:24], v[25:26], 1.0
	s_delay_alu instid0(VALU_DEP_1) | instskip(NEXT) | instid1(VALU_DEP_1)
	v_fma_f64 v[21:22], v[27:28], v[25:26], v[25:26]
	v_mul_f64 v[19:20], v[23:24], v[21:22]
	s_delay_alu instid0(VALU_DEP_1) | instskip(NEXT) | instid1(VALU_DEP_1)
	v_fma_f64 v[25:26], v[21:22], v[23:24], -v[19:20]
	v_fma_f64 v[25:26], v[21:22], v[11:12], v[25:26]
	s_delay_alu instid0(VALU_DEP_1) | instskip(NEXT) | instid1(VALU_DEP_1)
	v_add_f64 v[27:28], v[19:20], v[25:26]
	v_add_f64 v[29:30], -v[27:28], 1.0
	v_add_f64 v[19:20], v[27:28], -v[19:20]
	s_delay_alu instid0(VALU_DEP_2) | instskip(NEXT) | instid1(VALU_DEP_2)
	v_add_f64 v[31:32], -v[29:30], 1.0
	v_add_f64 v[19:20], v[19:20], -v[25:26]
	s_delay_alu instid0(VALU_DEP_2) | instskip(NEXT) | instid1(VALU_DEP_1)
	v_add_f64 v[25:26], v[31:32], -v[27:28]
	v_add_f64 v[19:20], v[19:20], v[25:26]
	s_delay_alu instid0(VALU_DEP_1) | instskip(NEXT) | instid1(VALU_DEP_1)
	v_add_f64 v[25:26], v[29:30], v[19:20]
	v_mul_f64 v[27:28], v[21:22], v[25:26]
	v_add_f64 v[29:30], v[29:30], -v[25:26]
	s_delay_alu instid0(VALU_DEP_2) | instskip(NEXT) | instid1(VALU_DEP_2)
	v_mul_f64 v[31:32], v[23:24], v[27:28]
	v_add_f64 v[19:20], v[19:20], v[29:30]
	s_delay_alu instid0(VALU_DEP_2) | instskip(NEXT) | instid1(VALU_DEP_1)
	v_fma_f64 v[33:34], v[27:28], v[23:24], -v[31:32]
	v_fma_f64 v[33:34], v[27:28], v[11:12], v[33:34]
	s_delay_alu instid0(VALU_DEP_1) | instskip(NEXT) | instid1(VALU_DEP_1)
	v_add_f64 v[35:36], v[31:32], v[33:34]
	v_add_f64 v[37:38], v[25:26], -v[35:36]
	v_add_f64 v[29:30], v[35:36], -v[31:32]
	s_delay_alu instid0(VALU_DEP_2) | instskip(NEXT) | instid1(VALU_DEP_2)
	v_add_f64 v[25:26], v[25:26], -v[37:38]
	v_add_f64 v[29:30], v[29:30], -v[33:34]
	s_delay_alu instid0(VALU_DEP_2) | instskip(NEXT) | instid1(VALU_DEP_1)
	v_add_f64 v[25:26], v[25:26], -v[35:36]
	v_add_f64 v[19:20], v[19:20], v[25:26]
	v_add_f64 v[25:26], v[21:22], v[27:28]
	s_delay_alu instid0(VALU_DEP_2) | instskip(NEXT) | instid1(VALU_DEP_2)
	v_add_f64 v[19:20], v[29:30], v[19:20]
	v_add_f64 v[29:30], v[25:26], -v[21:22]
	s_delay_alu instid0(VALU_DEP_2) | instskip(NEXT) | instid1(VALU_DEP_2)
	v_add_f64 v[19:20], v[37:38], v[19:20]
	v_add_f64 v[27:28], v[27:28], -v[29:30]
	s_delay_alu instid0(VALU_DEP_2) | instskip(NEXT) | instid1(VALU_DEP_1)
	v_mul_f64 v[19:20], v[21:22], v[19:20]
	v_add_f64 v[19:20], v[27:28], v[19:20]
	s_delay_alu instid0(VALU_DEP_1) | instskip(NEXT) | instid1(VALU_DEP_1)
	v_add_f64 v[21:22], v[25:26], v[19:20]
	v_ldexp_f64 v[27:28], v[21:22], -2
	v_add_f64 v[21:22], v[21:22], -v[25:26]
	s_delay_alu instid0(VALU_DEP_2) | instskip(NEXT) | instid1(VALU_DEP_2)
	v_add_f64 v[29:30], v[23:24], -v[27:28]
	v_add_f64 v[19:20], v[19:20], -v[21:22]
	s_delay_alu instid0(VALU_DEP_2) | instskip(NEXT) | instid1(VALU_DEP_2)
	v_add_f64 v[23:24], v[23:24], -v[29:30]
	v_ldexp_f64 v[19:20], v[19:20], -2
	s_delay_alu instid0(VALU_DEP_2) | instskip(NEXT) | instid1(VALU_DEP_1)
	v_add_f64 v[21:22], v[23:24], -v[27:28]
	v_add_f64 v[11:12], v[11:12], v[21:22]
	s_delay_alu instid0(VALU_DEP_1) | instskip(SKIP_1) | instid1(VALU_DEP_2)
	v_add_f64 v[11:12], v[11:12], -v[19:20]
	v_and_b32_e32 v19, 0x7fffffff, v10
	v_add_f64 v[11:12], v[29:30], v[11:12]
	s_delay_alu instid0(VALU_DEP_1) | instskip(NEXT) | instid1(VALU_DEP_2)
	v_cndmask_b32_e64 v12, 0x7ff00000, v12, s3
	v_cndmask_b32_e64 v11, 0, v11, s3
	v_cmp_gt_f64_e64 s3, 0x3e400000, |v[9:10]|
	s_delay_alu instid0(VALU_DEP_1) | instskip(NEXT) | instid1(VALU_DEP_4)
	v_cndmask_b32_e64 v9, v11, v9, s3
	v_cndmask_b32_e64 v11, v12, v19, s3
	s_delay_alu instid0(VALU_DEP_1)
	v_bfi_b32 v10, 0x7fffffff, v11, v10
	global_store_b64 v[3:4], v[9:10], off
	s_or_b32 exec_lo, exec_lo, s4
	s_and_saveexec_b32 s3, s2
	s_cbranch_execz .LBB124_14
.LBB124_18:                             ;   in Loop: Header=BB124_4 Depth=1
	s_waitcnt vmcnt(0)
	v_add_f64 v[9:10], |v[7:8]|, s[14:15]
	s_mov_b32 s50, s14
	s_mov_b32 s53, s15
	v_cmp_nge_f64_e64 s2, |v[7:8]|, s[46:47]
	s_delay_alu instid0(VALU_DEP_2) | instskip(NEXT) | instid1(VALU_DEP_1)
	v_add_f64 v[11:12], v[9:10], -|v[7:8]|
	v_add_f64 v[19:20], v[11:12], -v[9:10]
	v_add_f64 v[11:12], v[11:12], s[50:51]
	s_delay_alu instid0(VALU_DEP_2) | instskip(NEXT) | instid1(VALU_DEP_1)
	v_add_f64 v[19:20], |v[7:8]|, v[19:20]
	v_add_f64 v[11:12], v[19:20], -v[11:12]
	s_delay_alu instid0(VALU_DEP_1) | instskip(NEXT) | instid1(VALU_DEP_1)
	v_add_f64 v[11:12], v[11:12], s[16:17]
	v_add_f64 v[19:20], v[9:10], v[11:12]
	s_delay_alu instid0(VALU_DEP_1) | instskip(SKIP_1) | instid1(VALU_DEP_2)
	v_mul_f64 v[21:22], v[19:20], s[18:19]
	v_add_f64 v[9:10], v[9:10], -v[19:20]
	v_rndne_f64_e32 v[21:22], v[21:22]
	s_delay_alu instid0(VALU_DEP_2) | instskip(NEXT) | instid1(VALU_DEP_2)
	v_add_f64 v[9:10], v[11:12], v[9:10]
	v_fma_f64 v[11:12], v[21:22], s[52:53], v[19:20]
	v_mul_f64 v[19:20], v[21:22], s[20:21]
	s_delay_alu instid0(VALU_DEP_2) | instskip(NEXT) | instid1(VALU_DEP_1)
	v_add_f64 v[23:24], v[9:10], v[11:12]
	v_add_f64 v[25:26], v[23:24], v[19:20]
	v_add_f64 v[11:12], v[11:12], -v[23:24]
	s_delay_alu instid0(VALU_DEP_2) | instskip(NEXT) | instid1(VALU_DEP_2)
	v_add_f64 v[23:24], v[23:24], -v[25:26]
	v_add_f64 v[9:10], v[9:10], v[11:12]
	s_delay_alu instid0(VALU_DEP_2) | instskip(NEXT) | instid1(VALU_DEP_1)
	v_add_f64 v[11:12], v[23:24], v[19:20]
	v_add_f64 v[9:10], v[9:10], v[11:12]
	v_mul_f64 v[11:12], v[21:22], s[22:23]
	s_delay_alu instid0(VALU_DEP_2) | instskip(NEXT) | instid1(VALU_DEP_1)
	v_add_f64 v[19:20], v[25:26], v[9:10]
	v_add_f64 v[23:24], v[19:20], v[11:12]
	v_add_f64 v[25:26], v[25:26], -v[19:20]
	s_delay_alu instid0(VALU_DEP_2) | instskip(NEXT) | instid1(VALU_DEP_2)
	v_add_f64 v[19:20], v[19:20], -v[23:24]
	v_add_f64 v[9:10], v[9:10], v[25:26]
	s_delay_alu instid0(VALU_DEP_2) | instskip(NEXT) | instid1(VALU_DEP_1)
	v_add_f64 v[11:12], v[19:20], v[11:12]
	v_add_f64 v[9:10], v[9:10], v[11:12]
	s_delay_alu instid0(VALU_DEP_1) | instskip(NEXT) | instid1(VALU_DEP_1)
	v_add_f64 v[11:12], v[23:24], v[9:10]
	v_fma_f64 v[19:20], v[11:12], s[26:27], s[24:25]
	v_add_f64 v[23:24], v[23:24], -v[11:12]
	v_mul_f64 v[25:26], v[11:12], v[11:12]
	s_delay_alu instid0(VALU_DEP_3) | instskip(NEXT) | instid1(VALU_DEP_3)
	v_fma_f64 v[19:20], v[11:12], v[19:20], s[28:29]
	v_add_f64 v[9:10], v[9:10], v[23:24]
	s_delay_alu instid0(VALU_DEP_3) | instskip(NEXT) | instid1(VALU_DEP_3)
	v_fma_f64 v[23:24], v[11:12], v[11:12], -v[25:26]
	v_fma_f64 v[19:20], v[11:12], v[19:20], s[30:31]
	s_delay_alu instid0(VALU_DEP_3) | instskip(NEXT) | instid1(VALU_DEP_2)
	v_add_f64 v[27:28], v[9:10], v[9:10]
	v_fma_f64 v[19:20], v[11:12], v[19:20], s[34:35]
	s_delay_alu instid0(VALU_DEP_2) | instskip(NEXT) | instid1(VALU_DEP_2)
	v_fma_f64 v[23:24], v[11:12], v[27:28], v[23:24]
	v_fma_f64 v[19:20], v[11:12], v[19:20], s[36:37]
	s_delay_alu instid0(VALU_DEP_2) | instskip(NEXT) | instid1(VALU_DEP_2)
	v_add_f64 v[27:28], v[25:26], v[23:24]
	v_fma_f64 v[19:20], v[11:12], v[19:20], s[38:39]
	s_delay_alu instid0(VALU_DEP_2) | instskip(NEXT) | instid1(VALU_DEP_2)
	v_add_f64 v[25:26], v[27:28], -v[25:26]
	v_fma_f64 v[19:20], v[11:12], v[19:20], s[40:41]
	s_delay_alu instid0(VALU_DEP_2) | instskip(NEXT) | instid1(VALU_DEP_2)
	v_add_f64 v[23:24], v[23:24], -v[25:26]
	v_fma_f64 v[19:20], v[11:12], v[19:20], s[42:43]
	s_delay_alu instid0(VALU_DEP_1) | instskip(NEXT) | instid1(VALU_DEP_1)
	v_fma_f64 v[19:20], v[11:12], v[19:20], s[44:45]
	v_mul_f64 v[29:30], v[27:28], v[19:20]
	s_delay_alu instid0(VALU_DEP_1) | instskip(NEXT) | instid1(VALU_DEP_1)
	v_fma_f64 v[25:26], v[27:28], v[19:20], -v[29:30]
	v_fma_f64 v[19:20], v[23:24], v[19:20], v[25:26]
	s_delay_alu instid0(VALU_DEP_1) | instskip(NEXT) | instid1(VALU_DEP_1)
	v_add_f64 v[23:24], v[29:30], v[19:20]
	v_add_f64 v[25:26], v[11:12], v[23:24]
	v_add_f64 v[27:28], v[23:24], -v[29:30]
	s_delay_alu instid0(VALU_DEP_2) | instskip(NEXT) | instid1(VALU_DEP_2)
	v_add_f64 v[11:12], v[25:26], -v[11:12]
	v_add_f64 v[19:20], v[19:20], -v[27:28]
	v_cvt_i32_f64_e32 v27, v[21:22]
	s_delay_alu instid0(VALU_DEP_3) | instskip(NEXT) | instid1(VALU_DEP_3)
	v_add_f64 v[11:12], v[23:24], -v[11:12]
	v_add_f64 v[9:10], v[9:10], v[19:20]
	s_delay_alu instid0(VALU_DEP_1) | instskip(NEXT) | instid1(VALU_DEP_1)
	v_add_f64 v[9:10], v[9:10], v[11:12]
	v_add_f64 v[11:12], v[25:26], v[9:10]
	s_delay_alu instid0(VALU_DEP_1) | instskip(SKIP_1) | instid1(VALU_DEP_2)
	v_add_f64 v[19:20], v[11:12], 1.0
	v_add_f64 v[23:24], v[11:12], -v[25:26]
	v_add_f64 v[25:26], v[19:20], -1.0
	s_delay_alu instid0(VALU_DEP_2) | instskip(NEXT) | instid1(VALU_DEP_2)
	v_add_f64 v[9:10], v[9:10], -v[23:24]
	v_add_f64 v[11:12], v[11:12], -v[25:26]
	s_delay_alu instid0(VALU_DEP_1) | instskip(NEXT) | instid1(VALU_DEP_1)
	v_add_f64 v[9:10], v[9:10], v[11:12]
	v_add_f64 v[11:12], v[19:20], v[9:10]
	s_delay_alu instid0(VALU_DEP_1) | instskip(SKIP_1) | instid1(VALU_DEP_2)
	v_ldexp_f64 v[21:22], v[11:12], v27
	v_add_f64 v[11:12], v[11:12], -v[19:20]
	v_rcp_f64_e32 v[23:24], v[21:22]
	s_delay_alu instid0(VALU_DEP_1) | instskip(NEXT) | instid1(VALU_DEP_1)
	v_add_f64 v[9:10], v[9:10], -v[11:12]
	v_ldexp_f64 v[9:10], v[9:10], v27
	s_waitcnt_depctr 0xfff
	v_fma_f64 v[25:26], -v[21:22], v[23:24], 1.0
	s_delay_alu instid0(VALU_DEP_1) | instskip(NEXT) | instid1(VALU_DEP_1)
	v_fma_f64 v[23:24], v[25:26], v[23:24], v[23:24]
	v_fma_f64 v[25:26], -v[21:22], v[23:24], 1.0
	s_delay_alu instid0(VALU_DEP_1) | instskip(NEXT) | instid1(VALU_DEP_1)
	v_fma_f64 v[19:20], v[25:26], v[23:24], v[23:24]
	v_mul_f64 v[11:12], v[21:22], v[19:20]
	s_delay_alu instid0(VALU_DEP_1) | instskip(NEXT) | instid1(VALU_DEP_1)
	v_fma_f64 v[23:24], v[19:20], v[21:22], -v[11:12]
	v_fma_f64 v[23:24], v[19:20], v[9:10], v[23:24]
	s_delay_alu instid0(VALU_DEP_1) | instskip(NEXT) | instid1(VALU_DEP_1)
	v_add_f64 v[25:26], v[11:12], v[23:24]
	v_add_f64 v[27:28], -v[25:26], 1.0
	v_add_f64 v[11:12], v[25:26], -v[11:12]
	s_delay_alu instid0(VALU_DEP_2) | instskip(NEXT) | instid1(VALU_DEP_2)
	v_add_f64 v[29:30], -v[27:28], 1.0
	v_add_f64 v[11:12], v[11:12], -v[23:24]
	s_delay_alu instid0(VALU_DEP_2) | instskip(NEXT) | instid1(VALU_DEP_1)
	v_add_f64 v[23:24], v[29:30], -v[25:26]
	v_add_f64 v[11:12], v[11:12], v[23:24]
	s_delay_alu instid0(VALU_DEP_1) | instskip(NEXT) | instid1(VALU_DEP_1)
	v_add_f64 v[23:24], v[27:28], v[11:12]
	v_mul_f64 v[25:26], v[19:20], v[23:24]
	v_add_f64 v[27:28], v[27:28], -v[23:24]
	s_delay_alu instid0(VALU_DEP_2) | instskip(NEXT) | instid1(VALU_DEP_2)
	v_mul_f64 v[29:30], v[21:22], v[25:26]
	v_add_f64 v[11:12], v[11:12], v[27:28]
	s_delay_alu instid0(VALU_DEP_2) | instskip(NEXT) | instid1(VALU_DEP_1)
	v_fma_f64 v[31:32], v[25:26], v[21:22], -v[29:30]
	v_fma_f64 v[31:32], v[25:26], v[9:10], v[31:32]
	s_delay_alu instid0(VALU_DEP_1) | instskip(NEXT) | instid1(VALU_DEP_1)
	v_add_f64 v[33:34], v[29:30], v[31:32]
	v_add_f64 v[35:36], v[23:24], -v[33:34]
	v_add_f64 v[27:28], v[33:34], -v[29:30]
	s_delay_alu instid0(VALU_DEP_2) | instskip(NEXT) | instid1(VALU_DEP_2)
	v_add_f64 v[23:24], v[23:24], -v[35:36]
	v_add_f64 v[27:28], v[27:28], -v[31:32]
	s_delay_alu instid0(VALU_DEP_2) | instskip(NEXT) | instid1(VALU_DEP_1)
	v_add_f64 v[23:24], v[23:24], -v[33:34]
	v_add_f64 v[11:12], v[11:12], v[23:24]
	v_add_f64 v[23:24], v[19:20], v[25:26]
	s_delay_alu instid0(VALU_DEP_2) | instskip(NEXT) | instid1(VALU_DEP_2)
	v_add_f64 v[11:12], v[27:28], v[11:12]
	v_add_f64 v[27:28], v[23:24], -v[19:20]
	s_delay_alu instid0(VALU_DEP_2) | instskip(NEXT) | instid1(VALU_DEP_2)
	v_add_f64 v[11:12], v[35:36], v[11:12]
	v_add_f64 v[25:26], v[25:26], -v[27:28]
	s_delay_alu instid0(VALU_DEP_2) | instskip(NEXT) | instid1(VALU_DEP_1)
	v_mul_f64 v[11:12], v[19:20], v[11:12]
	v_add_f64 v[11:12], v[25:26], v[11:12]
	s_delay_alu instid0(VALU_DEP_1) | instskip(NEXT) | instid1(VALU_DEP_1)
	v_add_f64 v[19:20], v[23:24], v[11:12]
	v_ldexp_f64 v[25:26], v[19:20], -2
	v_add_f64 v[19:20], v[19:20], -v[23:24]
	s_delay_alu instid0(VALU_DEP_2) | instskip(NEXT) | instid1(VALU_DEP_2)
	v_add_f64 v[27:28], v[21:22], -v[25:26]
	v_add_f64 v[11:12], v[11:12], -v[19:20]
	s_delay_alu instid0(VALU_DEP_2) | instskip(NEXT) | instid1(VALU_DEP_2)
	v_add_f64 v[21:22], v[21:22], -v[27:28]
	v_ldexp_f64 v[11:12], v[11:12], -2
	s_delay_alu instid0(VALU_DEP_2) | instskip(NEXT) | instid1(VALU_DEP_1)
	v_add_f64 v[19:20], v[21:22], -v[25:26]
	v_add_f64 v[9:10], v[9:10], v[19:20]
	s_delay_alu instid0(VALU_DEP_1) | instskip(SKIP_1) | instid1(VALU_DEP_2)
	v_add_f64 v[9:10], v[9:10], -v[11:12]
	v_and_b32_e32 v11, 0x7fffffff, v8
	v_add_f64 v[9:10], v[27:28], v[9:10]
	s_delay_alu instid0(VALU_DEP_1) | instskip(NEXT) | instid1(VALU_DEP_2)
	v_cndmask_b32_e64 v10, 0x7ff00000, v10, s2
	v_cndmask_b32_e64 v9, 0, v9, s2
	v_cmp_gt_f64_e64 s2, 0x3e400000, |v[7:8]|
	s_delay_alu instid0(VALU_DEP_1) | instskip(NEXT) | instid1(VALU_DEP_4)
	v_cndmask_b32_e64 v7, v9, v7, s2
	v_cndmask_b32_e64 v9, v10, v11, s2
	s_delay_alu instid0(VALU_DEP_1) | instskip(SKIP_1) | instid1(VALU_DEP_1)
	v_bfi_b32 v8, 0x7fffffff, v9, v8
	v_add_co_u32 v9, s2, v1, s56
	v_add_co_ci_u32_e64 v10, s2, 0, v2, s2
	global_store_b64 v[9:10], v[7:8], off
	s_or_b32 exec_lo, exec_lo, s3
	s_and_saveexec_b32 s2, vcc_lo
	s_cbranch_execz .LBB124_3
.LBB124_19:                             ;   in Loop: Header=BB124_4 Depth=1
	s_waitcnt vmcnt(0)
	v_add_f64 v[7:8], |v[5:6]|, s[14:15]
	s_mov_b32 s50, s14
	s_mov_b32 s53, s15
	v_cmp_nge_f64_e64 vcc_lo, |v[5:6]|, s[46:47]
	s_delay_alu instid0(VALU_DEP_2) | instskip(NEXT) | instid1(VALU_DEP_1)
	v_add_f64 v[9:10], v[7:8], -|v[5:6]|
	v_add_f64 v[11:12], v[9:10], -v[7:8]
	v_add_f64 v[9:10], v[9:10], s[50:51]
	s_delay_alu instid0(VALU_DEP_2) | instskip(NEXT) | instid1(VALU_DEP_1)
	v_add_f64 v[11:12], |v[5:6]|, v[11:12]
	v_add_f64 v[9:10], v[11:12], -v[9:10]
	s_delay_alu instid0(VALU_DEP_1) | instskip(NEXT) | instid1(VALU_DEP_1)
	v_add_f64 v[9:10], v[9:10], s[16:17]
	v_add_f64 v[11:12], v[7:8], v[9:10]
	s_delay_alu instid0(VALU_DEP_1) | instskip(SKIP_1) | instid1(VALU_DEP_2)
	v_mul_f64 v[19:20], v[11:12], s[18:19]
	v_add_f64 v[7:8], v[7:8], -v[11:12]
	v_rndne_f64_e32 v[19:20], v[19:20]
	s_delay_alu instid0(VALU_DEP_2) | instskip(NEXT) | instid1(VALU_DEP_2)
	v_add_f64 v[7:8], v[9:10], v[7:8]
	v_fma_f64 v[9:10], v[19:20], s[52:53], v[11:12]
	v_mul_f64 v[11:12], v[19:20], s[20:21]
	s_delay_alu instid0(VALU_DEP_2) | instskip(NEXT) | instid1(VALU_DEP_1)
	v_add_f64 v[21:22], v[7:8], v[9:10]
	v_add_f64 v[23:24], v[21:22], v[11:12]
	v_add_f64 v[9:10], v[9:10], -v[21:22]
	s_delay_alu instid0(VALU_DEP_2) | instskip(NEXT) | instid1(VALU_DEP_2)
	v_add_f64 v[21:22], v[21:22], -v[23:24]
	v_add_f64 v[7:8], v[7:8], v[9:10]
	s_delay_alu instid0(VALU_DEP_2) | instskip(NEXT) | instid1(VALU_DEP_1)
	v_add_f64 v[9:10], v[21:22], v[11:12]
	v_add_f64 v[7:8], v[7:8], v[9:10]
	v_mul_f64 v[9:10], v[19:20], s[22:23]
	s_delay_alu instid0(VALU_DEP_2) | instskip(NEXT) | instid1(VALU_DEP_1)
	v_add_f64 v[11:12], v[23:24], v[7:8]
	v_add_f64 v[21:22], v[11:12], v[9:10]
	v_add_f64 v[23:24], v[23:24], -v[11:12]
	s_delay_alu instid0(VALU_DEP_2) | instskip(NEXT) | instid1(VALU_DEP_2)
	v_add_f64 v[11:12], v[11:12], -v[21:22]
	v_add_f64 v[7:8], v[7:8], v[23:24]
	s_delay_alu instid0(VALU_DEP_2) | instskip(NEXT) | instid1(VALU_DEP_1)
	v_add_f64 v[9:10], v[11:12], v[9:10]
	v_add_f64 v[7:8], v[7:8], v[9:10]
	s_delay_alu instid0(VALU_DEP_1) | instskip(NEXT) | instid1(VALU_DEP_1)
	v_add_f64 v[9:10], v[21:22], v[7:8]
	v_fma_f64 v[11:12], v[9:10], s[26:27], s[24:25]
	v_add_f64 v[21:22], v[21:22], -v[9:10]
	v_mul_f64 v[23:24], v[9:10], v[9:10]
	s_delay_alu instid0(VALU_DEP_3) | instskip(NEXT) | instid1(VALU_DEP_3)
	v_fma_f64 v[11:12], v[9:10], v[11:12], s[28:29]
	v_add_f64 v[7:8], v[7:8], v[21:22]
	s_delay_alu instid0(VALU_DEP_3) | instskip(NEXT) | instid1(VALU_DEP_3)
	v_fma_f64 v[21:22], v[9:10], v[9:10], -v[23:24]
	v_fma_f64 v[11:12], v[9:10], v[11:12], s[30:31]
	s_delay_alu instid0(VALU_DEP_3) | instskip(NEXT) | instid1(VALU_DEP_2)
	v_add_f64 v[25:26], v[7:8], v[7:8]
	v_fma_f64 v[11:12], v[9:10], v[11:12], s[34:35]
	s_delay_alu instid0(VALU_DEP_2) | instskip(NEXT) | instid1(VALU_DEP_2)
	v_fma_f64 v[21:22], v[9:10], v[25:26], v[21:22]
	v_fma_f64 v[11:12], v[9:10], v[11:12], s[36:37]
	s_delay_alu instid0(VALU_DEP_2) | instskip(NEXT) | instid1(VALU_DEP_2)
	v_add_f64 v[25:26], v[23:24], v[21:22]
	v_fma_f64 v[11:12], v[9:10], v[11:12], s[38:39]
	s_delay_alu instid0(VALU_DEP_2) | instskip(NEXT) | instid1(VALU_DEP_2)
	v_add_f64 v[23:24], v[25:26], -v[23:24]
	v_fma_f64 v[11:12], v[9:10], v[11:12], s[40:41]
	s_delay_alu instid0(VALU_DEP_2) | instskip(NEXT) | instid1(VALU_DEP_2)
	v_add_f64 v[21:22], v[21:22], -v[23:24]
	v_fma_f64 v[11:12], v[9:10], v[11:12], s[42:43]
	s_delay_alu instid0(VALU_DEP_1) | instskip(NEXT) | instid1(VALU_DEP_1)
	v_fma_f64 v[11:12], v[9:10], v[11:12], s[44:45]
	v_mul_f64 v[27:28], v[25:26], v[11:12]
	s_delay_alu instid0(VALU_DEP_1) | instskip(NEXT) | instid1(VALU_DEP_1)
	v_fma_f64 v[23:24], v[25:26], v[11:12], -v[27:28]
	v_fma_f64 v[11:12], v[21:22], v[11:12], v[23:24]
	s_delay_alu instid0(VALU_DEP_1) | instskip(NEXT) | instid1(VALU_DEP_1)
	v_add_f64 v[21:22], v[27:28], v[11:12]
	v_add_f64 v[23:24], v[9:10], v[21:22]
	v_add_f64 v[25:26], v[21:22], -v[27:28]
	s_delay_alu instid0(VALU_DEP_2) | instskip(NEXT) | instid1(VALU_DEP_2)
	v_add_f64 v[9:10], v[23:24], -v[9:10]
	v_add_f64 v[11:12], v[11:12], -v[25:26]
	v_cvt_i32_f64_e32 v25, v[19:20]
	s_delay_alu instid0(VALU_DEP_3) | instskip(NEXT) | instid1(VALU_DEP_3)
	v_add_f64 v[9:10], v[21:22], -v[9:10]
	v_add_f64 v[7:8], v[7:8], v[11:12]
	s_delay_alu instid0(VALU_DEP_1) | instskip(NEXT) | instid1(VALU_DEP_1)
	v_add_f64 v[7:8], v[7:8], v[9:10]
	v_add_f64 v[9:10], v[23:24], v[7:8]
	s_delay_alu instid0(VALU_DEP_1) | instskip(SKIP_1) | instid1(VALU_DEP_2)
	v_add_f64 v[11:12], v[9:10], 1.0
	v_add_f64 v[21:22], v[9:10], -v[23:24]
	v_add_f64 v[23:24], v[11:12], -1.0
	s_delay_alu instid0(VALU_DEP_2) | instskip(NEXT) | instid1(VALU_DEP_2)
	v_add_f64 v[7:8], v[7:8], -v[21:22]
	v_add_f64 v[9:10], v[9:10], -v[23:24]
	s_delay_alu instid0(VALU_DEP_1) | instskip(NEXT) | instid1(VALU_DEP_1)
	v_add_f64 v[7:8], v[7:8], v[9:10]
	v_add_f64 v[9:10], v[11:12], v[7:8]
	s_delay_alu instid0(VALU_DEP_1) | instskip(SKIP_1) | instid1(VALU_DEP_2)
	v_ldexp_f64 v[19:20], v[9:10], v25
	v_add_f64 v[9:10], v[9:10], -v[11:12]
	v_rcp_f64_e32 v[21:22], v[19:20]
	s_delay_alu instid0(VALU_DEP_1) | instskip(NEXT) | instid1(VALU_DEP_1)
	v_add_f64 v[7:8], v[7:8], -v[9:10]
	v_ldexp_f64 v[7:8], v[7:8], v25
	s_waitcnt_depctr 0xfff
	v_fma_f64 v[23:24], -v[19:20], v[21:22], 1.0
	s_delay_alu instid0(VALU_DEP_1) | instskip(NEXT) | instid1(VALU_DEP_1)
	v_fma_f64 v[21:22], v[23:24], v[21:22], v[21:22]
	v_fma_f64 v[23:24], -v[19:20], v[21:22], 1.0
	s_delay_alu instid0(VALU_DEP_1) | instskip(NEXT) | instid1(VALU_DEP_1)
	v_fma_f64 v[11:12], v[23:24], v[21:22], v[21:22]
	v_mul_f64 v[9:10], v[19:20], v[11:12]
	s_delay_alu instid0(VALU_DEP_1) | instskip(NEXT) | instid1(VALU_DEP_1)
	v_fma_f64 v[21:22], v[11:12], v[19:20], -v[9:10]
	v_fma_f64 v[21:22], v[11:12], v[7:8], v[21:22]
	s_delay_alu instid0(VALU_DEP_1) | instskip(NEXT) | instid1(VALU_DEP_1)
	v_add_f64 v[23:24], v[9:10], v[21:22]
	v_add_f64 v[25:26], -v[23:24], 1.0
	v_add_f64 v[9:10], v[23:24], -v[9:10]
	s_delay_alu instid0(VALU_DEP_2) | instskip(NEXT) | instid1(VALU_DEP_2)
	v_add_f64 v[27:28], -v[25:26], 1.0
	v_add_f64 v[9:10], v[9:10], -v[21:22]
	s_delay_alu instid0(VALU_DEP_2) | instskip(NEXT) | instid1(VALU_DEP_1)
	v_add_f64 v[21:22], v[27:28], -v[23:24]
	v_add_f64 v[9:10], v[9:10], v[21:22]
	s_delay_alu instid0(VALU_DEP_1) | instskip(NEXT) | instid1(VALU_DEP_1)
	v_add_f64 v[21:22], v[25:26], v[9:10]
	v_mul_f64 v[23:24], v[11:12], v[21:22]
	v_add_f64 v[25:26], v[25:26], -v[21:22]
	s_delay_alu instid0(VALU_DEP_2) | instskip(NEXT) | instid1(VALU_DEP_2)
	v_mul_f64 v[27:28], v[19:20], v[23:24]
	v_add_f64 v[9:10], v[9:10], v[25:26]
	s_delay_alu instid0(VALU_DEP_2) | instskip(NEXT) | instid1(VALU_DEP_1)
	v_fma_f64 v[29:30], v[23:24], v[19:20], -v[27:28]
	v_fma_f64 v[29:30], v[23:24], v[7:8], v[29:30]
	s_delay_alu instid0(VALU_DEP_1) | instskip(NEXT) | instid1(VALU_DEP_1)
	v_add_f64 v[31:32], v[27:28], v[29:30]
	v_add_f64 v[33:34], v[21:22], -v[31:32]
	v_add_f64 v[25:26], v[31:32], -v[27:28]
	s_delay_alu instid0(VALU_DEP_2) | instskip(NEXT) | instid1(VALU_DEP_2)
	v_add_f64 v[21:22], v[21:22], -v[33:34]
	v_add_f64 v[25:26], v[25:26], -v[29:30]
	s_delay_alu instid0(VALU_DEP_2) | instskip(NEXT) | instid1(VALU_DEP_1)
	v_add_f64 v[21:22], v[21:22], -v[31:32]
	v_add_f64 v[9:10], v[9:10], v[21:22]
	v_add_f64 v[21:22], v[11:12], v[23:24]
	s_delay_alu instid0(VALU_DEP_2) | instskip(NEXT) | instid1(VALU_DEP_2)
	v_add_f64 v[9:10], v[25:26], v[9:10]
	v_add_f64 v[25:26], v[21:22], -v[11:12]
	s_delay_alu instid0(VALU_DEP_2) | instskip(NEXT) | instid1(VALU_DEP_2)
	v_add_f64 v[9:10], v[33:34], v[9:10]
	v_add_f64 v[23:24], v[23:24], -v[25:26]
	s_delay_alu instid0(VALU_DEP_2) | instskip(NEXT) | instid1(VALU_DEP_1)
	v_mul_f64 v[9:10], v[11:12], v[9:10]
	v_add_f64 v[9:10], v[23:24], v[9:10]
	s_delay_alu instid0(VALU_DEP_1) | instskip(NEXT) | instid1(VALU_DEP_1)
	v_add_f64 v[11:12], v[21:22], v[9:10]
	v_ldexp_f64 v[23:24], v[11:12], -2
	v_add_f64 v[11:12], v[11:12], -v[21:22]
	s_delay_alu instid0(VALU_DEP_2) | instskip(NEXT) | instid1(VALU_DEP_2)
	v_add_f64 v[25:26], v[19:20], -v[23:24]
	v_add_f64 v[9:10], v[9:10], -v[11:12]
	s_delay_alu instid0(VALU_DEP_2) | instskip(NEXT) | instid1(VALU_DEP_2)
	v_add_f64 v[19:20], v[19:20], -v[25:26]
	v_ldexp_f64 v[9:10], v[9:10], -2
	s_delay_alu instid0(VALU_DEP_2) | instskip(NEXT) | instid1(VALU_DEP_1)
	v_add_f64 v[11:12], v[19:20], -v[23:24]
	v_add_f64 v[7:8], v[7:8], v[11:12]
	s_delay_alu instid0(VALU_DEP_1) | instskip(SKIP_1) | instid1(VALU_DEP_2)
	v_add_f64 v[7:8], v[7:8], -v[9:10]
	v_and_b32_e32 v9, 0x7fffffff, v6
	v_add_f64 v[7:8], v[25:26], v[7:8]
	s_delay_alu instid0(VALU_DEP_1) | instskip(NEXT) | instid1(VALU_DEP_2)
	v_cndmask_b32_e32 v8, 0x7ff00000, v8, vcc_lo
	v_cndmask_b32_e32 v7, 0, v7, vcc_lo
	v_cmp_gt_f64_e64 vcc_lo, 0x3e400000, |v[5:6]|
	s_delay_alu instid0(VALU_DEP_2) | instskip(NEXT) | instid1(VALU_DEP_4)
	v_cndmask_b32_e32 v5, v7, v5, vcc_lo
	v_cndmask_b32_e32 v7, v8, v9, vcc_lo
	s_delay_alu instid0(VALU_DEP_1)
	v_bfi_b32 v6, 0x7fffffff, v7, v6
	v_add_co_u32 v7, vcc_lo, v1, s54
	v_add_co_ci_u32_e32 v8, vcc_lo, 0, v2, vcc_lo
	global_store_b64 v[7:8], v[5:6], off
	s_branch .LBB124_3
.LBB124_20:
	s_cbranch_execz .LBB124_22
	s_branch .LBB124_25
.LBB124_21:
.LBB124_22:
	s_waitcnt vmcnt(0)
	v_dual_mov_b32 v9, 0 :: v_dual_lshlrev_b32 v8, 2, v0
	s_mov_b32 s33, 0
	s_mov_b32 s2, exec_lo
	s_delay_alu instid0(VALU_DEP_1)
	v_cmpx_gt_i64_e64 s[6:7], v[8:9]
	s_cbranch_execz .LBB124_25
; %bb.23:
	s_load_b32 s0, s[0:1], 0xd3c
	v_lshlrev_b32_e32 v1, 5, v0
	s_mov_b32 s4, 0xfefa39ef
	s_mov_b32 s5, 0xbfe62e42
	;; [unrolled: 1-line block ×18, first 2 shown]
	s_waitcnt lgkmcnt(0)
	s_and_b32 s0, s0, 0xffff
	s_mov_b32 s19, 0x3ac9cc01
	s_lshl_b32 s44, s0, 2
	s_add_u32 s1, s8, s10
	v_add_lshl_u32 v8, v0, s0, 2
	s_addc_u32 s2, s9, s11
	v_add_co_u32 v0, s1, s1, v1
	s_delay_alu instid0(VALU_DEP_1) | instskip(SKIP_1) | instid1(VALU_DEP_2)
	v_add_co_ci_u32_e64 v1, null, s2, 0, s1
	s_mov_b32 s8, 0x7c89e6b0
	v_add_co_u32 v10, vcc_lo, v0, 16
	s_delay_alu instid0(VALU_DEP_2)
	v_add_co_ci_u32_e32 v11, vcc_lo, 0, v1, vcc_lo
	s_mov_b32 s10, 0x14761f6e
	s_mov_b32 s21, 0x3e928af3
	;; [unrolled: 1-line block ×4, first 2 shown]
	s_lshl_b32 s45, s0, 5
	s_mov_b32 s9, 0x3efa0199
	s_mov_b32 s11, 0x3f2a01a0
	;; [unrolled: 1-line block ×12, first 2 shown]
.LBB124_24:                             ; =>This Inner Loop Header: Depth=1
	s_clause 0x1
	global_load_b128 v[4:7], v[10:11], off offset:-16
	global_load_b128 v[0:3], v[10:11], off
	v_cmp_le_i64_e64 s3, s[6:7], v[8:9]
	s_waitcnt vmcnt(1)
	v_add_f64 v[12:13], |v[4:5]|, s[4:5]
	v_add_f64 v[14:15], |v[6:7]|, s[4:5]
	s_waitcnt vmcnt(0)
	v_add_f64 v[20:21], |v[0:1]|, s[4:5]
	v_add_f64 v[24:25], |v[2:3]|, s[4:5]
	v_cmp_nge_f64_e64 vcc_lo, |v[4:5]|, s[38:39]
	v_cmp_nge_f64_e64 s0, |v[6:7]|, s[38:39]
	v_cmp_nge_f64_e64 s1, |v[0:1]|, s[38:39]
	;; [unrolled: 1-line block ×3, first 2 shown]
	v_add_f64 v[16:17], v[12:13], -|v[4:5]|
	v_add_f64 v[18:19], v[14:15], -|v[6:7]|
	;; [unrolled: 1-line block ×4, first 2 shown]
	s_delay_alu instid0(VALU_DEP_4) | instskip(NEXT) | instid1(VALU_DEP_4)
	v_add_f64 v[22:23], v[16:17], -v[12:13]
	v_add_f64 v[26:27], v[18:19], -v[14:15]
	v_add_f64 v[16:17], v[16:17], s[40:41]
	v_add_f64 v[18:19], v[18:19], s[40:41]
	v_add_f64 v[32:33], v[28:29], -v[20:21]
	v_add_f64 v[22:23], |v[4:5]|, v[22:23]
	v_add_f64 v[26:27], |v[6:7]|, v[26:27]
	s_delay_alu instid0(VALU_DEP_2) | instskip(SKIP_1) | instid1(VALU_DEP_3)
	v_add_f64 v[16:17], v[22:23], -v[16:17]
	v_add_f64 v[22:23], v[30:31], -v[24:25]
	;; [unrolled: 1-line block ×3, first 2 shown]
	v_add_f64 v[26:27], v[28:29], s[40:41]
	v_add_f64 v[28:29], |v[0:1]|, v[32:33]
	v_add_f64 v[30:31], v[30:31], s[40:41]
	v_add_f64 v[16:17], v[16:17], s[12:13]
	v_add_f64 v[22:23], |v[2:3]|, v[22:23]
	v_add_f64 v[18:19], v[18:19], s[12:13]
	v_add_f64 v[26:27], v[28:29], -v[26:27]
	s_delay_alu instid0(VALU_DEP_4) | instskip(NEXT) | instid1(VALU_DEP_4)
	v_add_f64 v[28:29], v[12:13], v[16:17]
	v_add_f64 v[22:23], v[22:23], -v[30:31]
	s_delay_alu instid0(VALU_DEP_4) | instskip(NEXT) | instid1(VALU_DEP_4)
	v_add_f64 v[30:31], v[14:15], v[18:19]
	v_add_f64 v[26:27], v[26:27], s[12:13]
	s_delay_alu instid0(VALU_DEP_4) | instskip(NEXT) | instid1(VALU_DEP_4)
	v_mul_f64 v[32:33], v[28:29], s[14:15]
	v_add_f64 v[22:23], v[22:23], s[12:13]
	s_delay_alu instid0(VALU_DEP_4)
	v_mul_f64 v[34:35], v[30:31], s[14:15]
	v_add_f64 v[12:13], v[12:13], -v[28:29]
	v_add_f64 v[36:37], v[20:21], v[26:27]
	v_add_f64 v[14:15], v[14:15], -v[30:31]
	v_rndne_f64_e32 v[32:33], v[32:33]
	v_add_f64 v[38:39], v[24:25], v[22:23]
	v_rndne_f64_e32 v[34:35], v[34:35]
	v_add_f64 v[12:13], v[16:17], v[12:13]
	v_mul_f64 v[40:41], v[36:37], s[14:15]
	v_add_f64 v[14:15], v[18:19], v[14:15]
	v_add_f64 v[20:21], v[20:21], -v[36:37]
	v_fma_f64 v[16:17], v[32:33], s[42:43], v[28:29]
	v_mul_f64 v[28:29], v[38:39], s[14:15]
	v_fma_f64 v[18:19], v[34:35], s[42:43], v[30:31]
	v_add_f64 v[24:25], v[24:25], -v[38:39]
	v_rndne_f64_e32 v[30:31], v[40:41]
	v_mul_f64 v[40:41], v[32:33], s[16:17]
	v_mul_f64 v[44:45], v[34:35], s[16:17]
	v_add_f64 v[20:21], v[26:27], v[20:21]
	v_add_f64 v[42:43], v[12:13], v[16:17]
	v_rndne_f64_e32 v[28:29], v[28:29]
	v_add_f64 v[46:47], v[14:15], v[18:19]
	v_add_f64 v[22:23], v[22:23], v[24:25]
	v_fma_f64 v[26:27], v[30:31], s[42:43], v[36:37]
	v_mul_f64 v[48:49], v[30:31], s[16:17]
	v_add_f64 v[24:25], v[42:43], -v[40:41]
	v_fma_f64 v[36:37], v[28:29], s[42:43], v[38:39]
	v_add_f64 v[38:39], v[46:47], -v[44:45]
	v_add_f64 v[16:17], v[16:17], -v[42:43]
	v_add_f64 v[52:53], v[20:21], v[26:27]
	v_mul_f64 v[50:51], v[28:29], s[16:17]
	v_add_f64 v[18:19], v[18:19], -v[46:47]
	v_add_f64 v[42:43], v[42:43], -v[24:25]
	v_add_f64 v[54:55], v[22:23], v[36:37]
	v_add_f64 v[46:47], v[46:47], -v[38:39]
	v_add_f64 v[12:13], v[12:13], v[16:17]
	v_add_f64 v[56:57], v[52:53], -v[48:49]
	v_add_f64 v[26:27], v[26:27], -v[52:53]
	v_add_f64 v[14:15], v[14:15], v[18:19]
	v_add_f64 v[16:17], v[42:43], -v[40:41]
	v_add_f64 v[40:41], v[54:55], -v[50:51]
	;; [unrolled: 1-line block ×5, first 2 shown]
	v_add_f64 v[20:21], v[20:21], v[26:27]
	v_mul_f64 v[46:47], v[30:31], s[18:19]
	v_add_f64 v[12:13], v[12:13], v[16:17]
	v_add_f64 v[16:17], v[54:55], -v[40:41]
	v_add_f64 v[14:15], v[14:15], v[18:19]
	v_mul_f64 v[18:19], v[32:33], s[18:19]
	v_add_f64 v[26:27], v[42:43], -v[48:49]
	v_add_f64 v[22:23], v[22:23], v[36:37]
	v_mul_f64 v[42:43], v[34:35], s[18:19]
	v_mul_f64 v[48:49], v[28:29], s[18:19]
	v_add_f64 v[36:37], v[24:25], v[12:13]
	v_add_f64 v[16:17], v[16:17], -v[50:51]
	v_add_f64 v[44:45], v[38:39], v[14:15]
	v_add_f64 v[20:21], v[20:21], v[26:27]
	s_delay_alu instid0(VALU_DEP_4) | instskip(NEXT) | instid1(VALU_DEP_4)
	v_add_f64 v[26:27], v[36:37], -v[18:19]
	v_add_f64 v[16:17], v[22:23], v[16:17]
	s_delay_alu instid0(VALU_DEP_4)
	v_add_f64 v[22:23], v[44:45], -v[42:43]
	v_add_f64 v[24:25], v[24:25], -v[36:37]
	v_add_f64 v[50:51], v[56:57], v[20:21]
	v_add_f64 v[38:39], v[38:39], -v[44:45]
	v_add_f64 v[36:37], v[36:37], -v[26:27]
	v_add_f64 v[52:53], v[40:41], v[16:17]
	v_add_f64 v[44:45], v[44:45], -v[22:23]
	v_add_f64 v[12:13], v[12:13], v[24:25]
	;; [unrolled: 2-line block ×3, first 2 shown]
	v_add_f64 v[38:39], v[56:57], -v[50:51]
	v_add_f64 v[18:19], v[36:37], -v[18:19]
	;; [unrolled: 1-line block ×5, first 2 shown]
	v_add_f64 v[20:21], v[20:21], v[38:39]
	v_add_f64 v[12:13], v[12:13], v[18:19]
	v_add_f64 v[18:19], v[40:41], -v[52:53]
	v_add_f64 v[40:41], v[52:53], -v[24:25]
	v_add_f64 v[14:15], v[14:15], v[36:37]
	v_add_f64 v[36:37], v[42:43], -v[46:47]
	v_add_f64 v[38:39], v[26:27], v[12:13]
	v_add_f64 v[16:17], v[16:17], v[18:19]
	v_add_f64 v[18:19], v[40:41], -v[48:49]
	v_add_f64 v[40:41], v[22:23], v[14:15]
	v_add_f64 v[20:21], v[20:21], v[36:37]
	v_fma_f64 v[36:37], v[38:39], s[22:23], s[20:21]
	v_add_f64 v[26:27], v[26:27], -v[38:39]
	v_add_f64 v[16:17], v[16:17], v[18:19]
	v_fma_f64 v[18:19], v[40:41], s[22:23], s[20:21]
	v_add_f64 v[42:43], v[54:55], v[20:21]
	v_add_f64 v[22:23], v[22:23], -v[40:41]
	v_mul_f64 v[50:51], v[38:39], v[38:39]
	v_mul_f64 v[52:53], v[40:41], v[40:41]
	v_fma_f64 v[36:37], v[38:39], v[36:37], s[24:25]
	v_add_f64 v[12:13], v[12:13], v[26:27]
	v_add_f64 v[44:45], v[24:25], v[16:17]
	v_fma_f64 v[18:19], v[40:41], v[18:19], s[24:25]
	v_fma_f64 v[46:47], v[42:43], s[22:23], s[20:21]
	v_add_f64 v[14:15], v[14:15], v[22:23]
	v_mul_f64 v[60:61], v[42:43], v[42:43]
	v_fma_f64 v[36:37], v[38:39], v[36:37], s[8:9]
	v_add_f64 v[56:57], v[12:13], v[12:13]
	v_fma_f64 v[48:49], v[44:45], s[22:23], s[20:21]
	v_fma_f64 v[18:19], v[40:41], v[18:19], s[8:9]
	;; [unrolled: 1-line block ×3, first 2 shown]
	v_add_f64 v[24:25], v[24:25], -v[44:45]
	v_add_f64 v[58:59], v[14:15], v[14:15]
	v_mul_f64 v[62:63], v[44:45], v[44:45]
	v_fma_f64 v[36:37], v[38:39], v[36:37], s[10:11]
	v_fma_f64 v[48:49], v[44:45], v[48:49], s[24:25]
	;; [unrolled: 1-line block ×4, first 2 shown]
	v_add_f64 v[16:17], v[16:17], v[24:25]
	v_fma_f64 v[36:37], v[38:39], v[36:37], s[26:27]
	v_fma_f64 v[48:49], v[44:45], v[48:49], s[8:9]
	;; [unrolled: 1-line block ×4, first 2 shown]
	s_delay_alu instid0(VALU_DEP_4)
	v_fma_f64 v[26:27], v[38:39], v[36:37], s[28:29]
	v_add_f64 v[36:37], v[54:55], -v[42:43]
	v_fma_f64 v[22:23], v[44:45], v[48:49], s[10:11]
	v_fma_f64 v[18:19], v[40:41], v[18:19], s[28:29]
	v_fma_f64 v[48:49], v[38:39], v[38:39], -v[50:51]
	v_fma_f64 v[46:47], v[42:43], v[46:47], s[26:27]
	v_fma_f64 v[54:55], v[40:41], v[40:41], -v[52:53]
	v_fma_f64 v[26:27], v[38:39], v[26:27], s[30:31]
	v_add_f64 v[20:21], v[20:21], v[36:37]
	v_fma_f64 v[22:23], v[44:45], v[22:23], s[26:27]
	v_fma_f64 v[18:19], v[40:41], v[18:19], s[30:31]
	;; [unrolled: 1-line block ×5, first 2 shown]
	v_fma_f64 v[48:49], v[42:43], v[42:43], -v[60:61]
	v_fma_f64 v[54:55], v[44:45], v[44:45], -v[62:63]
	v_add_f64 v[58:59], v[16:17], v[16:17]
	v_fma_f64 v[26:27], v[38:39], v[26:27], s[34:35]
	v_add_f64 v[56:57], v[20:21], v[20:21]
	v_fma_f64 v[22:23], v[44:45], v[22:23], s[28:29]
	v_fma_f64 v[18:19], v[40:41], v[18:19], s[34:35]
	v_add_f64 v[64:65], v[50:51], v[36:37]
	v_fma_f64 v[24:25], v[42:43], v[24:25], s[30:31]
	v_add_f64 v[66:67], v[52:53], v[46:47]
	v_fma_f64 v[54:55], v[44:45], v[58:59], v[54:55]
	v_fma_f64 v[26:27], v[38:39], v[26:27], s[36:37]
	v_fma_f64 v[48:49], v[42:43], v[56:57], v[48:49]
	v_fma_f64 v[22:23], v[44:45], v[22:23], s[30:31]
	v_fma_f64 v[18:19], v[40:41], v[18:19], s[36:37]
	v_add_f64 v[50:51], v[64:65], -v[50:51]
	v_fma_f64 v[24:25], v[42:43], v[24:25], s[34:35]
	v_add_f64 v[52:53], v[66:67], -v[52:53]
	v_add_f64 v[70:71], v[62:63], v[54:55]
	v_mul_f64 v[56:57], v[64:65], v[26:27]
	v_add_f64 v[68:69], v[60:61], v[48:49]
	v_fma_f64 v[22:23], v[44:45], v[22:23], s[34:35]
	v_mul_f64 v[58:59], v[66:67], v[18:19]
	v_add_f64 v[36:37], v[36:37], -v[50:51]
	v_fma_f64 v[24:25], v[42:43], v[24:25], s[36:37]
	v_add_f64 v[46:47], v[46:47], -v[52:53]
	v_fma_f64 v[50:51], v[64:65], v[26:27], -v[56:57]
	v_add_f64 v[60:61], v[68:69], -v[60:61]
	v_fma_f64 v[22:23], v[44:45], v[22:23], s[36:37]
	v_fma_f64 v[52:53], v[66:67], v[18:19], -v[58:59]
	v_mul_f64 v[64:65], v[68:69], v[24:25]
	v_fma_f64 v[26:27], v[36:37], v[26:27], v[50:51]
	v_add_f64 v[36:37], v[70:71], -v[62:63]
	v_mul_f64 v[50:51], v[70:71], v[22:23]
	v_fma_f64 v[18:19], v[46:47], v[18:19], v[52:53]
	v_add_f64 v[46:47], v[48:49], -v[60:61]
	v_fma_f64 v[48:49], v[68:69], v[24:25], -v[64:65]
	v_cvt_i32_f64_e32 v62, v[30:31]
	v_cvt_i32_f64_e32 v63, v[28:29]
	v_add_f64 v[52:53], v[56:57], v[26:27]
	v_add_f64 v[36:37], v[54:55], -v[36:37]
	v_fma_f64 v[54:55], v[70:71], v[22:23], -v[50:51]
	v_add_f64 v[60:61], v[58:59], v[18:19]
	v_fma_f64 v[24:25], v[46:47], v[24:25], v[48:49]
	v_add_f64 v[46:47], v[38:39], v[52:53]
	v_add_f64 v[48:49], v[52:53], -v[56:57]
	v_fma_f64 v[22:23], v[36:37], v[22:23], v[54:55]
	v_add_f64 v[36:37], v[40:41], v[60:61]
	v_add_f64 v[54:55], v[60:61], -v[58:59]
	v_add_f64 v[56:57], v[64:65], v[24:25]
	v_add_f64 v[38:39], v[46:47], -v[38:39]
	v_add_f64 v[26:27], v[26:27], -v[48:49]
	v_add_f64 v[48:49], v[50:51], v[22:23]
	v_add_f64 v[40:41], v[36:37], -v[40:41]
	v_add_f64 v[18:19], v[18:19], -v[54:55]
	;; [unrolled: 1-line block ×3, first 2 shown]
	v_add_f64 v[58:59], v[42:43], v[56:57]
	v_add_f64 v[38:39], v[52:53], -v[38:39]
	v_add_f64 v[12:13], v[12:13], v[26:27]
	v_add_f64 v[26:27], v[44:45], v[48:49]
	v_add_f64 v[40:41], v[60:61], -v[40:41]
	v_add_f64 v[14:15], v[14:15], v[18:19]
	v_add_f64 v[18:19], v[48:49], -v[50:51]
	v_add_f64 v[42:43], v[58:59], -v[42:43]
	;; [unrolled: 1-line block ×3, first 2 shown]
	v_cvt_i32_f64_e32 v60, v[32:33]
	v_cvt_i32_f64_e32 v61, v[34:35]
	v_add_f64 v[12:13], v[12:13], v[38:39]
	v_add_f64 v[38:39], v[26:27], -v[44:45]
	v_add_f64 v[14:15], v[14:15], v[40:41]
	v_add_f64 v[18:19], v[22:23], -v[18:19]
	v_add_f64 v[22:23], v[56:57], -v[42:43]
	v_add_f64 v[20:21], v[20:21], v[24:25]
	v_add_f64 v[40:41], v[46:47], v[12:13]
	v_add_f64 v[24:25], v[48:49], -v[38:39]
	v_add_f64 v[38:39], v[36:37], v[14:15]
	v_add_f64 v[16:17], v[16:17], v[18:19]
	;; [unrolled: 1-line block ×3, first 2 shown]
	v_add_f64 v[18:19], v[40:41], 1.0
	s_delay_alu instid0(VALU_DEP_4) | instskip(NEXT) | instid1(VALU_DEP_4)
	v_add_f64 v[22:23], v[38:39], 1.0
	v_add_f64 v[16:17], v[16:17], v[24:25]
	v_add_f64 v[24:25], v[40:41], -v[46:47]
	v_add_f64 v[44:45], v[58:59], v[20:21]
	v_add_f64 v[36:37], v[38:39], -v[36:37]
	v_add_f64 v[42:43], v[18:19], -1.0
	v_add_f64 v[46:47], v[22:23], -1.0
	v_add_f64 v[48:49], v[26:27], v[16:17]
	v_add_f64 v[12:13], v[12:13], -v[24:25]
	v_add_f64 v[14:15], v[14:15], -v[36:37]
	;; [unrolled: 1-line block ×3, first 2 shown]
	v_add_f64 v[40:41], v[44:45], 1.0
	v_add_f64 v[42:43], v[44:45], -v[58:59]
	v_add_f64 v[36:37], v[38:39], -v[46:47]
	v_add_f64 v[38:39], v[48:49], 1.0
	v_add_f64 v[26:27], v[48:49], -v[26:27]
	v_add_f64 v[12:13], v[12:13], v[24:25]
	v_add_f64 v[24:25], v[40:41], -1.0
	v_add_f64 v[20:21], v[20:21], -v[42:43]
	v_add_f64 v[14:15], v[14:15], v[36:37]
	v_add_f64 v[36:37], v[38:39], -1.0
	v_add_f64 v[16:17], v[16:17], -v[26:27]
	v_add_f64 v[32:33], v[18:19], v[12:13]
	v_add_f64 v[24:25], v[44:45], -v[24:25]
	v_add_f64 v[26:27], v[22:23], v[14:15]
	v_add_f64 v[34:35], v[48:49], -v[36:37]
	s_delay_alu instid0(VALU_DEP_4) | instskip(NEXT) | instid1(VALU_DEP_4)
	v_ldexp_f64 v[36:37], v[32:33], v60
	v_add_f64 v[20:21], v[20:21], v[24:25]
	v_add_f64 v[18:19], v[32:33], -v[18:19]
	v_ldexp_f64 v[24:25], v[26:27], v61
	v_add_f64 v[16:17], v[16:17], v[34:35]
	v_add_f64 v[22:23], v[26:27], -v[22:23]
	v_rcp_f64_e32 v[30:31], v[36:37]
	v_add_f64 v[34:35], v[40:41], v[20:21]
	v_add_f64 v[12:13], v[12:13], -v[18:19]
	v_rcp_f64_e32 v[28:29], v[24:25]
	s_delay_alu instid0(VALU_DEP_4) | instskip(NEXT) | instid1(VALU_DEP_4)
	v_add_f64 v[42:43], v[38:39], v[16:17]
	v_add_f64 v[14:15], v[14:15], -v[22:23]
	s_delay_alu instid0(VALU_DEP_4) | instskip(NEXT) | instid1(TRANS32_DEP_2)
	v_ldexp_f64 v[44:45], v[34:35], v62
	v_fma_f64 v[46:47], -v[36:37], v[30:31], 1.0
	v_add_f64 v[34:35], v[34:35], -v[40:41]
	v_ldexp_f64 v[48:49], v[42:43], v63
	s_delay_alu instid0(TRANS32_DEP_1)
	v_fma_f64 v[50:51], -v[24:25], v[28:29], 1.0
	v_add_f64 v[38:39], v[42:43], -v[38:39]
	v_ldexp_f64 v[12:13], v[12:13], v60
	v_ldexp_f64 v[14:15], v[14:15], v61
	v_rcp_f64_e32 v[52:53], v[44:45]
	v_fma_f64 v[30:31], v[46:47], v[30:31], v[30:31]
	v_add_f64 v[20:21], v[20:21], -v[34:35]
	v_rcp_f64_e32 v[46:47], v[48:49]
	v_fma_f64 v[28:29], v[50:51], v[28:29], v[28:29]
	v_add_f64 v[16:17], v[16:17], -v[38:39]
	s_delay_alu instid0(VALU_DEP_4) | instskip(NEXT) | instid1(TRANS32_DEP_2)
	v_fma_f64 v[50:51], -v[36:37], v[30:31], 1.0
	v_fma_f64 v[54:55], -v[44:45], v[52:53], 1.0
	v_ldexp_f64 v[20:21], v[20:21], v62
	v_fma_f64 v[56:57], -v[24:25], v[28:29], 1.0
	s_delay_alu instid0(TRANS32_DEP_1)
	v_fma_f64 v[58:59], -v[48:49], v[46:47], 1.0
	v_ldexp_f64 v[16:17], v[16:17], v63
	v_fma_f64 v[30:31], v[50:51], v[30:31], v[30:31]
	v_fma_f64 v[32:33], v[54:55], v[52:53], v[52:53]
	;; [unrolled: 1-line block ×4, first 2 shown]
	s_delay_alu instid0(VALU_DEP_4) | instskip(NEXT) | instid1(VALU_DEP_4)
	v_mul_f64 v[18:19], v[36:37], v[30:31]
	v_fma_f64 v[46:47], -v[44:45], v[32:33], 1.0
	s_delay_alu instid0(VALU_DEP_4) | instskip(NEXT) | instid1(VALU_DEP_4)
	v_mul_f64 v[22:23], v[24:25], v[26:27]
	v_fma_f64 v[50:51], -v[48:49], v[28:29], 1.0
	s_delay_alu instid0(VALU_DEP_4) | instskip(NEXT) | instid1(VALU_DEP_4)
	v_fma_f64 v[40:41], v[30:31], v[36:37], -v[18:19]
	v_fma_f64 v[32:33], v[46:47], v[32:33], v[32:33]
	s_delay_alu instid0(VALU_DEP_4) | instskip(NEXT) | instid1(VALU_DEP_4)
	v_fma_f64 v[42:43], v[26:27], v[24:25], -v[22:23]
	v_fma_f64 v[28:29], v[50:51], v[28:29], v[28:29]
	s_delay_alu instid0(VALU_DEP_4) | instskip(NEXT) | instid1(VALU_DEP_4)
	v_fma_f64 v[34:35], v[30:31], v[12:13], v[40:41]
	v_mul_f64 v[40:41], v[44:45], v[32:33]
	s_delay_alu instid0(VALU_DEP_4) | instskip(NEXT) | instid1(VALU_DEP_4)
	v_fma_f64 v[38:39], v[26:27], v[14:15], v[42:43]
	v_mul_f64 v[42:43], v[48:49], v[28:29]
	s_delay_alu instid0(VALU_DEP_4) | instskip(NEXT) | instid1(VALU_DEP_4)
	v_add_f64 v[46:47], v[18:19], v[34:35]
	v_fma_f64 v[50:51], v[32:33], v[44:45], -v[40:41]
	s_delay_alu instid0(VALU_DEP_4) | instskip(NEXT) | instid1(VALU_DEP_4)
	v_add_f64 v[52:53], v[22:23], v[38:39]
	v_fma_f64 v[54:55], v[28:29], v[48:49], -v[42:43]
	s_delay_alu instid0(VALU_DEP_4) | instskip(NEXT) | instid1(VALU_DEP_4)
	v_add_f64 v[56:57], -v[46:47], 1.0
	v_fma_f64 v[50:51], v[32:33], v[20:21], v[50:51]
	v_add_f64 v[18:19], v[46:47], -v[18:19]
	v_add_f64 v[58:59], -v[52:53], 1.0
	v_fma_f64 v[54:55], v[28:29], v[16:17], v[54:55]
	v_add_f64 v[22:23], v[52:53], -v[22:23]
	v_add_f64 v[60:61], -v[56:57], 1.0
	v_add_f64 v[62:63], v[40:41], v[50:51]
	v_add_f64 v[18:19], v[18:19], -v[34:35]
	v_add_f64 v[64:65], -v[58:59], 1.0
	v_add_f64 v[66:67], v[42:43], v[54:55]
	v_add_f64 v[22:23], v[22:23], -v[38:39]
	v_add_f64 v[34:35], v[60:61], -v[46:47]
	v_add_f64 v[46:47], -v[62:63], 1.0
	v_add_f64 v[40:41], v[62:63], -v[40:41]
	v_add_f64 v[38:39], v[64:65], -v[52:53]
	v_add_f64 v[52:53], -v[66:67], 1.0
	v_add_f64 v[42:43], v[66:67], -v[42:43]
	v_add_f64 v[18:19], v[18:19], v[34:35]
	v_add_f64 v[34:35], -v[46:47], 1.0
	v_add_f64 v[40:41], v[40:41], -v[50:51]
	v_add_f64 v[22:23], v[22:23], v[38:39]
	;; [unrolled: 3-line block ×3, first 2 shown]
	v_add_f64 v[34:35], v[34:35], -v[62:63]
	v_add_f64 v[54:55], v[58:59], v[22:23]
	v_add_f64 v[38:39], v[38:39], -v[66:67]
	s_delay_alu instid0(VALU_DEP_4) | instskip(NEXT) | instid1(VALU_DEP_4)
	v_mul_f64 v[60:61], v[30:31], v[50:51]
	v_add_f64 v[34:35], v[40:41], v[34:35]
	v_add_f64 v[56:57], v[56:57], -v[50:51]
	v_mul_f64 v[40:41], v[26:27], v[54:55]
	v_add_f64 v[38:39], v[42:43], v[38:39]
	v_add_f64 v[58:59], v[58:59], -v[54:55]
	v_mul_f64 v[42:43], v[36:37], v[60:61]
	v_add_f64 v[62:63], v[46:47], v[34:35]
	v_add_f64 v[18:19], v[18:19], v[56:57]
	v_mul_f64 v[64:65], v[24:25], v[40:41]
	v_add_f64 v[66:67], v[52:53], v[38:39]
	v_add_f64 v[22:23], v[22:23], v[58:59]
	v_fma_f64 v[68:69], v[60:61], v[36:37], -v[42:43]
	v_mul_f64 v[70:71], v[32:33], v[62:63]
	v_add_f64 v[46:47], v[46:47], -v[62:63]
	v_fma_f64 v[72:73], v[40:41], v[24:25], -v[64:65]
	v_mul_f64 v[74:75], v[28:29], v[66:67]
	v_add_f64 v[52:53], v[52:53], -v[66:67]
	v_fma_f64 v[68:69], v[60:61], v[12:13], v[68:69]
	v_mul_f64 v[76:77], v[44:45], v[70:71]
	v_add_f64 v[34:35], v[34:35], v[46:47]
	v_fma_f64 v[72:73], v[40:41], v[14:15], v[72:73]
	v_mul_f64 v[78:79], v[48:49], v[74:75]
	v_add_f64 v[38:39], v[38:39], v[52:53]
	v_add_f64 v[80:81], v[42:43], v[68:69]
	v_fma_f64 v[82:83], v[70:71], v[44:45], -v[76:77]
	v_add_f64 v[84:85], v[64:65], v[72:73]
	v_fma_f64 v[86:87], v[74:75], v[48:49], -v[78:79]
	s_delay_alu instid0(VALU_DEP_4) | instskip(NEXT) | instid1(VALU_DEP_4)
	v_add_f64 v[88:89], v[50:51], -v[80:81]
	v_fma_f64 v[82:83], v[70:71], v[20:21], v[82:83]
	v_add_f64 v[42:43], v[80:81], -v[42:43]
	v_add_f64 v[90:91], v[54:55], -v[84:85]
	v_fma_f64 v[86:87], v[74:75], v[16:17], v[86:87]
	v_add_f64 v[64:65], v[84:85], -v[64:65]
	v_add_f64 v[50:51], v[50:51], -v[88:89]
	v_add_f64 v[56:57], v[76:77], v[82:83]
	v_add_f64 v[42:43], v[42:43], -v[68:69]
	v_add_f64 v[54:55], v[54:55], -v[90:91]
	v_add_f64 v[58:59], v[78:79], v[86:87]
	v_add_f64 v[50:51], v[50:51], -v[80:81]
	v_add_f64 v[80:81], v[62:63], -v[56:57]
	;; [unrolled: 1-line block ×6, first 2 shown]
	v_add_f64 v[18:19], v[18:19], v[50:51]
	v_add_f64 v[62:63], v[62:63], -v[80:81]
	v_add_f64 v[50:51], v[64:65], -v[72:73]
	v_add_f64 v[22:23], v[22:23], v[54:55]
	v_add_f64 v[66:67], v[66:67], -v[84:85]
	v_add_f64 v[46:47], v[46:47], -v[82:83]
	v_add_f64 v[52:53], v[52:53], -v[86:87]
	v_add_f64 v[54:55], v[30:31], v[60:61]
	v_add_f64 v[18:19], v[42:43], v[18:19]
	v_add_f64 v[56:57], v[62:63], -v[56:57]
	v_add_f64 v[42:43], v[26:27], v[40:41]
	v_add_f64 v[22:23], v[50:51], v[22:23]
	v_add_f64 v[58:59], v[66:67], -v[58:59]
	v_add_f64 v[50:51], v[32:33], v[70:71]
	v_add_f64 v[18:19], v[88:89], v[18:19]
	;; [unrolled: 1-line block ×3, first 2 shown]
	v_add_f64 v[56:57], v[42:43], -v[26:27]
	v_add_f64 v[22:23], v[90:91], v[22:23]
	v_add_f64 v[38:39], v[38:39], v[58:59]
	v_add_f64 v[58:59], v[50:51], -v[32:33]
	v_mul_f64 v[18:19], v[30:31], v[18:19]
	v_add_f64 v[34:35], v[46:47], v[34:35]
	v_add_f64 v[46:47], v[28:29], v[74:75]
	v_mul_f64 v[22:23], v[26:27], v[22:23]
	v_add_f64 v[38:39], v[52:53], v[38:39]
	v_add_f64 v[52:53], v[54:55], -v[30:31]
	v_add_f64 v[30:31], v[40:41], -v[56:57]
	;; [unrolled: 1-line block ×3, first 2 shown]
	v_add_f64 v[34:35], v[80:81], v[34:35]
	v_add_f64 v[62:63], v[46:47], -v[28:29]
	v_add_f64 v[38:39], v[84:85], v[38:39]
	v_add_f64 v[52:53], v[60:61], -v[52:53]
	v_add_f64 v[22:23], v[30:31], v[22:23]
	v_mul_f64 v[32:33], v[32:33], v[34:35]
	v_add_f64 v[34:35], v[74:75], -v[62:63]
	v_mul_f64 v[28:29], v[28:29], v[38:39]
	v_add_f64 v[18:19], v[52:53], v[18:19]
	s_delay_alu instid0(VALU_DEP_4) | instskip(SKIP_1) | instid1(VALU_DEP_4)
	v_add_f64 v[26:27], v[26:27], v[32:33]
	v_add_f64 v[32:33], v[42:43], v[22:23]
	;; [unrolled: 1-line block ×3, first 2 shown]
	s_delay_alu instid0(VALU_DEP_4) | instskip(NEXT) | instid1(VALU_DEP_4)
	v_add_f64 v[30:31], v[54:55], v[18:19]
	v_add_f64 v[34:35], v[50:51], v[26:27]
	s_delay_alu instid0(VALU_DEP_4)
	v_ldexp_f64 v[52:53], v[32:33], -2
	v_add_f64 v[32:33], v[32:33], -v[42:43]
	v_add_f64 v[38:39], v[46:47], v[28:29]
	v_ldexp_f64 v[40:41], v[30:31], -2
	v_add_f64 v[30:31], v[30:31], -v[54:55]
	v_ldexp_f64 v[56:57], v[34:35], -2
	v_add_f64 v[62:63], v[24:25], -v[52:53]
	v_add_f64 v[34:35], v[34:35], -v[50:51]
	v_ldexp_f64 v[58:59], v[38:39], -2
	v_add_f64 v[60:61], v[36:37], -v[40:41]
	v_add_f64 v[38:39], v[38:39], -v[46:47]
	;; [unrolled: 1-line block ×10, first 2 shown]
	v_ldexp_f64 v[18:19], v[18:19], -2
	v_ldexp_f64 v[22:23], v[22:23], -2
	v_add_f64 v[42:43], v[44:45], -v[64:65]
	v_add_f64 v[24:25], v[24:25], -v[52:53]
	;; [unrolled: 1-line block ×4, first 2 shown]
	s_delay_alu instid0(VALU_DEP_4) | instskip(NEXT) | instid1(VALU_DEP_4)
	v_add_f64 v[32:33], v[42:43], -v[56:57]
	v_add_f64 v[14:15], v[14:15], v[24:25]
	v_ldexp_f64 v[24:25], v[26:27], -2
	v_add_f64 v[34:35], v[44:45], -v[58:59]
	v_add_f64 v[12:13], v[12:13], v[30:31]
	v_ldexp_f64 v[26:27], v[28:29], -2
	v_add_f64 v[20:21], v[20:21], v[32:33]
	v_add_f64 v[14:15], v[14:15], -v[22:23]
	v_and_b32_e32 v22, 0x7fffffff, v1
	v_add_f64 v[16:17], v[16:17], v[34:35]
	v_add_f64 v[12:13], v[12:13], -v[18:19]
	v_add_f64 v[18:19], v[20:21], -v[24:25]
	v_add_f64 v[14:15], v[62:63], v[14:15]
	v_and_b32_e32 v20, 0x7fffffff, v5
	v_add_f64 v[16:17], v[16:17], -v[26:27]
	v_add_f64 v[12:13], v[60:61], v[12:13]
	v_and_b32_e32 v21, 0x7fffffff, v7
	v_add_f64 v[18:19], v[64:65], v[18:19]
	v_cndmask_b32_e64 v15, 0x7ff00000, v15, s0
	v_cndmask_b32_e64 v14, 0, v14, s0
	v_add_f64 v[16:17], v[66:67], v[16:17]
	v_cndmask_b32_e32 v13, 0x7ff00000, v13, vcc_lo
	v_cndmask_b32_e32 v12, 0, v12, vcc_lo
	v_cmp_gt_f64_e64 vcc_lo, 0x3e400000, |v[4:5]|
	v_cmp_gt_f64_e64 s0, 0x3e400000, |v[6:7]|
	v_and_b32_e32 v23, 0x7fffffff, v3
	v_cndmask_b32_e64 v19, 0x7ff00000, v19, s1
	v_cndmask_b32_e64 v18, 0, v18, s1
	v_cmp_gt_f64_e64 s1, 0x3e400000, |v[0:1]|
	v_cndmask_b32_e64 v17, 0x7ff00000, v17, s2
	v_cndmask_b32_e64 v16, 0, v16, s2
	v_cmp_gt_f64_e64 s2, 0x3e400000, |v[2:3]|
	v_cndmask_b32_e32 v4, v12, v4, vcc_lo
	v_cndmask_b32_e32 v12, v13, v20, vcc_lo
	v_cndmask_b32_e64 v13, v15, v21, s0
	v_cndmask_b32_e64 v6, v14, v6, s0
	v_cmp_lt_u64_e32 vcc_lo, 0xffff, v[8:9]
	v_add_co_u32 v8, s0, v8, s44
	v_bfi_b32 v5, 0x7fffffff, v12, v5
	v_bfi_b32 v7, 0x7fffffff, v13, v7
	v_add_co_ci_u32_e64 v9, s0, 0, v9, s0
	s_or_b32 s0, s3, vcc_lo
	s_delay_alu instid0(SALU_CYCLE_1) | instskip(NEXT) | instid1(SALU_CYCLE_1)
	s_and_b32 s0, exec_lo, s0
	s_or_b32 s33, s0, s33
	v_cndmask_b32_e64 v14, v19, v22, s1
	v_cndmask_b32_e64 v0, v18, v0, s1
	;; [unrolled: 1-line block ×4, first 2 shown]
	s_delay_alu instid0(VALU_DEP_4) | instskip(NEXT) | instid1(VALU_DEP_3)
	v_bfi_b32 v1, 0x7fffffff, v14, v1
	v_bfi_b32 v3, 0x7fffffff, v15, v3
	s_clause 0x1
	global_store_b128 v[10:11], v[4:7], off offset:-16
	global_store_b128 v[10:11], v[0:3], off
	v_add_co_u32 v10, vcc_lo, v10, s45
	v_add_co_ci_u32_e32 v11, vcc_lo, 0, v11, vcc_lo
	s_and_not1_b32 exec_lo, exec_lo, s33
	s_cbranch_execnz .LBB124_24
.LBB124_25:
	s_nop 0
	s_sendmsg sendmsg(MSG_DEALLOC_VGPRS)
	s_endpgm
	.section	.rodata,"a",@progbits
	.p2align	6, 0x0
	.amdhsa_kernel _ZN2at6native12_GLOBAL__N_125multi_tensor_apply_kernelINS1_18TensorListMetadataILi1EEENS1_14UnaryOpFunctorIdLi1ELi1ELi0EEEJNS0_4SinhIdEEEEEvT_T0_DpT1_
		.amdhsa_group_segment_fixed_size 0
		.amdhsa_private_segment_fixed_size 0
		.amdhsa_kernarg_size 3632
		.amdhsa_user_sgpr_count 15
		.amdhsa_user_sgpr_dispatch_ptr 0
		.amdhsa_user_sgpr_queue_ptr 0
		.amdhsa_user_sgpr_kernarg_segment_ptr 1
		.amdhsa_user_sgpr_dispatch_id 0
		.amdhsa_user_sgpr_private_segment_size 0
		.amdhsa_wavefront_size32 1
		.amdhsa_uses_dynamic_stack 0
		.amdhsa_enable_private_segment 0
		.amdhsa_system_sgpr_workgroup_id_x 1
		.amdhsa_system_sgpr_workgroup_id_y 0
		.amdhsa_system_sgpr_workgroup_id_z 0
		.amdhsa_system_sgpr_workgroup_info 0
		.amdhsa_system_vgpr_workitem_id 0
		.amdhsa_next_free_vgpr 92
		.amdhsa_next_free_sgpr 57
		.amdhsa_reserve_vcc 1
		.amdhsa_float_round_mode_32 0
		.amdhsa_float_round_mode_16_64 0
		.amdhsa_float_denorm_mode_32 3
		.amdhsa_float_denorm_mode_16_64 3
		.amdhsa_dx10_clamp 1
		.amdhsa_ieee_mode 1
		.amdhsa_fp16_overflow 0
		.amdhsa_workgroup_processor_mode 1
		.amdhsa_memory_ordered 1
		.amdhsa_forward_progress 0
		.amdhsa_shared_vgpr_count 0
		.amdhsa_exception_fp_ieee_invalid_op 0
		.amdhsa_exception_fp_denorm_src 0
		.amdhsa_exception_fp_ieee_div_zero 0
		.amdhsa_exception_fp_ieee_overflow 0
		.amdhsa_exception_fp_ieee_underflow 0
		.amdhsa_exception_fp_ieee_inexact 0
		.amdhsa_exception_int_div_zero 0
	.end_amdhsa_kernel
	.section	.text._ZN2at6native12_GLOBAL__N_125multi_tensor_apply_kernelINS1_18TensorListMetadataILi1EEENS1_14UnaryOpFunctorIdLi1ELi1ELi0EEEJNS0_4SinhIdEEEEEvT_T0_DpT1_,"axG",@progbits,_ZN2at6native12_GLOBAL__N_125multi_tensor_apply_kernelINS1_18TensorListMetadataILi1EEENS1_14UnaryOpFunctorIdLi1ELi1ELi0EEEJNS0_4SinhIdEEEEEvT_T0_DpT1_,comdat
.Lfunc_end124:
	.size	_ZN2at6native12_GLOBAL__N_125multi_tensor_apply_kernelINS1_18TensorListMetadataILi1EEENS1_14UnaryOpFunctorIdLi1ELi1ELi0EEEJNS0_4SinhIdEEEEEvT_T0_DpT1_, .Lfunc_end124-_ZN2at6native12_GLOBAL__N_125multi_tensor_apply_kernelINS1_18TensorListMetadataILi1EEENS1_14UnaryOpFunctorIdLi1ELi1ELi0EEEJNS0_4SinhIdEEEEEvT_T0_DpT1_
                                        ; -- End function
	.section	.AMDGPU.csdata,"",@progbits
; Kernel info:
; codeLenInByte = 10760
; NumSgprs: 59
; NumVgprs: 92
; ScratchSize: 0
; MemoryBound: 0
; FloatMode: 240
; IeeeMode: 1
; LDSByteSize: 0 bytes/workgroup (compile time only)
; SGPRBlocks: 7
; VGPRBlocks: 11
; NumSGPRsForWavesPerEU: 59
; NumVGPRsForWavesPerEU: 92
; Occupancy: 16
; WaveLimiterHint : 0
; COMPUTE_PGM_RSRC2:SCRATCH_EN: 0
; COMPUTE_PGM_RSRC2:USER_SGPR: 15
; COMPUTE_PGM_RSRC2:TRAP_HANDLER: 0
; COMPUTE_PGM_RSRC2:TGID_X_EN: 1
; COMPUTE_PGM_RSRC2:TGID_Y_EN: 0
; COMPUTE_PGM_RSRC2:TGID_Z_EN: 0
; COMPUTE_PGM_RSRC2:TIDIG_COMP_CNT: 0
	.section	.text._ZN2at6native12_GLOBAL__N_125multi_tensor_apply_kernelINS1_18TensorListMetadataILi1EEENS1_14UnaryOpFunctorIfLi1ELi1ELi0EEEJNS0_4SinhIfEEEEEvT_T0_DpT1_,"axG",@progbits,_ZN2at6native12_GLOBAL__N_125multi_tensor_apply_kernelINS1_18TensorListMetadataILi1EEENS1_14UnaryOpFunctorIfLi1ELi1ELi0EEEJNS0_4SinhIfEEEEEvT_T0_DpT1_,comdat
	.globl	_ZN2at6native12_GLOBAL__N_125multi_tensor_apply_kernelINS1_18TensorListMetadataILi1EEENS1_14UnaryOpFunctorIfLi1ELi1ELi0EEEJNS0_4SinhIfEEEEEvT_T0_DpT1_ ; -- Begin function _ZN2at6native12_GLOBAL__N_125multi_tensor_apply_kernelINS1_18TensorListMetadataILi1EEENS1_14UnaryOpFunctorIfLi1ELi1ELi0EEEJNS0_4SinhIfEEEEEvT_T0_DpT1_
	.p2align	8
	.type	_ZN2at6native12_GLOBAL__N_125multi_tensor_apply_kernelINS1_18TensorListMetadataILi1EEENS1_14UnaryOpFunctorIfLi1ELi1ELi0EEEJNS0_4SinhIfEEEEEvT_T0_DpT1_,@function
_ZN2at6native12_GLOBAL__N_125multi_tensor_apply_kernelINS1_18TensorListMetadataILi1EEENS1_14UnaryOpFunctorIfLi1ELi1ELi0EEEJNS0_4SinhIfEEEEEvT_T0_DpT1_: ; @_ZN2at6native12_GLOBAL__N_125multi_tensor_apply_kernelINS1_18TensorListMetadataILi1EEENS1_14UnaryOpFunctorIfLi1ELi1ELi0EEEJNS0_4SinhIfEEEEEvT_T0_DpT1_
; %bb.0:
	v_mov_b32_e32 v1, s15
	s_add_u32 s2, s0, s15
	s_mul_hi_u32 s3, s15, 3
	s_mul_i32 s15, s15, 3
	s_addc_u32 s4, s1, 0
	global_load_u8 v1, v1, s[0:1] offset:1760
	s_add_u32 s2, s2, s15
	s_addc_u32 s3, s4, s3
	s_mov_b32 s13, 0
	s_load_b32 s2, s[2:3], 0x820
	s_waitcnt vmcnt(0)
	v_readfirstlane_b32 s5, v1
	s_delay_alu instid0(VALU_DEP_1)
	s_lshl_b32 s3, s5, 3
	s_clause 0x1
	s_load_b64 s[8:9], s[0:1], s3 offset:0x0
	s_load_b64 s[4:5], s[0:1], s3 offset:0x370
	s_waitcnt lgkmcnt(0)
	s_ashr_i32 s3, s2, 31
	s_delay_alu instid0(SALU_CYCLE_1)
	s_lshl_b64 s[10:11], s[2:3], 18
	s_lshl_b64 s[2:3], s[2:3], 16
	s_and_b32 s12, s8, 15
	s_sub_u32 s6, s4, s2
	s_subb_u32 s7, s5, s3
	s_and_b32 s2, s4, 3
	s_mov_b32 s3, s13
	s_delay_alu instid0(SALU_CYCLE_1) | instskip(NEXT) | instid1(SALU_CYCLE_1)
	s_or_b64 s[2:3], s[12:13], s[2:3]
	s_cmp_eq_u64 s[2:3], 0
	s_cbranch_scc1 .LBB125_21
; %bb.1:
	v_cmp_lt_i64_e64 s2, s[6:7], 1
	s_delay_alu instid0(VALU_DEP_1)
	s_and_b32 vcc_lo, exec_lo, s2
	s_cbranch_vccnz .LBB125_20
; %bb.2:
	s_load_b32 s2, s[0:1], 0xd3c
	v_cmp_gt_u64_e64 s3, 0x10000, s[6:7]
	v_lshlrev_b32_e32 v1, 2, v0
	s_mov_b32 s20, 0x3ab42872
	s_waitcnt lgkmcnt(0)
	s_and_b32 s2, s2, 0xffff
	s_delay_alu instid0(VALU_DEP_2)
	s_and_b32 s3, s3, exec_lo
	v_add_co_u32 v5, s5, v0, s2
	s_cselect_b32 s13, s7, 0
	s_cselect_b32 s12, s6, 0x10000
	s_lshl_b32 s3, s2, 1
	s_lshl_b32 s16, s2, 2
	v_lshlrev_b32_e32 v3, 2, v5
	v_add_co_ci_u32_e64 v6, null, 0, 0, s5
	s_add_u32 s5, s8, s10
	v_add_co_u32 v9, s3, s3, v0
	s_mul_i32 s4, s2, 3
	s_addc_u32 s14, s9, s11
	v_add_co_ci_u32_e64 v10, null, 0, 0, s3
	v_add_co_u32 v1, s3, s5, v1
	v_add_co_u32 v7, s4, s4, v0
	v_add_co_ci_u32_e64 v2, null, s14, 0, s3
	v_add_co_u32 v3, s3, s5, v3
	v_add_co_ci_u32_e64 v8, null, 0, 0, s4
	v_add_co_ci_u32_e64 v4, null, s14, 0, s3
	s_mul_i32 s17, s2, 12
	s_lshl_b32 s18, s2, 4
	s_lshl_b32 s19, s2, 3
	s_mov_b64 s[14:15], 0
	s_branch .LBB125_4
.LBB125_3:                              ;   in Loop: Header=BB125_4 Depth=1
	s_or_b32 exec_lo, exec_lo, s2
	s_add_u32 s14, s14, s16
	s_addc_u32 s15, s15, 0
	v_add_co_u32 v1, vcc_lo, v1, s18
	v_cmp_lt_i64_e64 s2, s[14:15], s[6:7]
	v_cmp_gt_u64_e64 s3, 0x10000, s[14:15]
	v_add_co_ci_u32_e32 v2, vcc_lo, 0, v2, vcc_lo
	v_add_co_u32 v3, vcc_lo, v3, s18
	v_add_co_ci_u32_e32 v4, vcc_lo, 0, v4, vcc_lo
	s_delay_alu instid0(VALU_DEP_4) | instskip(NEXT) | instid1(SALU_CYCLE_1)
	s_and_b32 s2, s2, s3
	s_and_b32 vcc_lo, exec_lo, s2
	s_cbranch_vccz .LBB125_20
.LBB125_4:                              ; =>This Inner Loop Header: Depth=1
	s_waitcnt vmcnt(0)
	v_add_co_u32 v11, s2, v0, s14
	s_delay_alu instid0(VALU_DEP_1) | instskip(SKIP_1) | instid1(VALU_DEP_2)
	v_add_co_ci_u32_e64 v12, null, 0, s15, s2
	v_mov_b32_e32 v14, 0
	v_cmp_gt_u64_e64 s4, s[12:13], v[11:12]
	s_delay_alu instid0(VALU_DEP_1)
	s_and_saveexec_b32 s2, s4
	s_cbranch_execz .LBB125_6
; %bb.5:                                ;   in Loop: Header=BB125_4 Depth=1
	global_load_b32 v14, v[1:2], off
.LBB125_6:                              ;   in Loop: Header=BB125_4 Depth=1
	s_or_b32 exec_lo, exec_lo, s2
	v_add_co_u32 v11, vcc_lo, v5, s14
	v_add_co_ci_u32_e32 v12, vcc_lo, s15, v6, vcc_lo
	v_mov_b32_e32 v13, 0
	s_delay_alu instid0(VALU_DEP_2) | instskip(NEXT) | instid1(VALU_DEP_1)
	v_cmp_gt_u64_e64 s3, s[12:13], v[11:12]
	s_and_saveexec_b32 s2, s3
	s_cbranch_execz .LBB125_8
; %bb.7:                                ;   in Loop: Header=BB125_4 Depth=1
	global_load_b32 v13, v[3:4], off
.LBB125_8:                              ;   in Loop: Header=BB125_4 Depth=1
	s_or_b32 exec_lo, exec_lo, s2
	v_add_co_u32 v11, vcc_lo, v9, s14
	v_add_co_ci_u32_e32 v12, vcc_lo, s15, v10, vcc_lo
	s_delay_alu instid0(VALU_DEP_1) | instskip(SKIP_1) | instid1(VALU_DEP_2)
	v_cmp_gt_u64_e64 s2, s[12:13], v[11:12]
	v_dual_mov_b32 v11, 0 :: v_dual_mov_b32 v12, 0
	s_and_saveexec_b32 s5, s2
	s_cbranch_execz .LBB125_10
; %bb.9:                                ;   in Loop: Header=BB125_4 Depth=1
	v_add_co_u32 v15, vcc_lo, v1, s19
	v_add_co_ci_u32_e32 v16, vcc_lo, 0, v2, vcc_lo
	global_load_b32 v12, v[15:16], off
.LBB125_10:                             ;   in Loop: Header=BB125_4 Depth=1
	s_or_b32 exec_lo, exec_lo, s5
	v_add_co_u32 v15, vcc_lo, v7, s14
	v_add_co_ci_u32_e32 v16, vcc_lo, s15, v8, vcc_lo
	s_delay_alu instid0(VALU_DEP_1)
	v_cmp_gt_u64_e32 vcc_lo, s[12:13], v[15:16]
	s_and_saveexec_b32 s21, vcc_lo
	s_cbranch_execnz .LBB125_15
; %bb.11:                               ;   in Loop: Header=BB125_4 Depth=1
	s_or_b32 exec_lo, exec_lo, s21
	s_and_saveexec_b32 s5, s4
	s_cbranch_execnz .LBB125_16
.LBB125_12:                             ;   in Loop: Header=BB125_4 Depth=1
	s_or_b32 exec_lo, exec_lo, s5
	s_and_saveexec_b32 s4, s3
	s_cbranch_execnz .LBB125_17
.LBB125_13:                             ;   in Loop: Header=BB125_4 Depth=1
	s_or_b32 exec_lo, exec_lo, s4
	s_and_saveexec_b32 s3, s2
	s_cbranch_execnz .LBB125_18
.LBB125_14:                             ;   in Loop: Header=BB125_4 Depth=1
	s_or_b32 exec_lo, exec_lo, s3
	s_and_saveexec_b32 s2, vcc_lo
	s_cbranch_execz .LBB125_3
	s_branch .LBB125_19
.LBB125_15:                             ;   in Loop: Header=BB125_4 Depth=1
	v_add_co_u32 v15, s5, v1, s17
	s_delay_alu instid0(VALU_DEP_1)
	v_add_co_ci_u32_e64 v16, s5, 0, v2, s5
	global_load_b32 v11, v[15:16], off
	s_or_b32 exec_lo, exec_lo, s21
	s_and_saveexec_b32 s5, s4
	s_cbranch_execz .LBB125_12
.LBB125_16:                             ;   in Loop: Header=BB125_4 Depth=1
	s_waitcnt vmcnt(0)
	v_add_f32_e64 v15, 0xbf317218, |v14|
	v_cmp_nlt_f32_e64 s4, 0x42b2d4fc, |v14|
	s_delay_alu instid0(VALU_DEP_2) | instskip(NEXT) | instid1(VALU_DEP_1)
	v_sub_f32_e64 v16, v15, |v14|
	v_dual_sub_f32 v17, v16, v15 :: v_dual_add_f32 v16, 0x3f317218, v16
	s_delay_alu instid0(VALU_DEP_1) | instskip(NEXT) | instid1(VALU_DEP_1)
	v_add_f32_e64 v17, |v14|, v17
	v_sub_f32_e32 v16, v17, v16
	s_delay_alu instid0(VALU_DEP_1) | instskip(NEXT) | instid1(VALU_DEP_1)
	v_add_f32_e32 v16, 0x3102e308, v16
	v_add_f32_e32 v17, v15, v16
	s_delay_alu instid0(VALU_DEP_1) | instskip(NEXT) | instid1(VALU_DEP_1)
	v_sub_f32_e32 v15, v15, v17
	v_dual_mul_f32 v18, 0x3fb8aa3b, v17 :: v_dual_add_f32 v15, v16, v15
	s_delay_alu instid0(VALU_DEP_1) | instskip(NEXT) | instid1(VALU_DEP_1)
	v_rndne_f32_e32 v18, v18
	v_mul_f32_e32 v16, 0x35bfbc00, v18
	v_fmac_f32_e32 v17, 0xbf317200, v18
	s_delay_alu instid0(VALU_DEP_1) | instskip(NEXT) | instid1(VALU_DEP_1)
	v_add_f32_e32 v19, v15, v17
	v_dual_sub_f32 v20, v19, v16 :: v_dual_sub_f32 v17, v17, v19
	s_delay_alu instid0(VALU_DEP_1) | instskip(NEXT) | instid1(VALU_DEP_1)
	v_sub_f32_e32 v19, v19, v20
	v_sub_f32_e32 v16, v19, v16
	s_delay_alu instid0(VALU_DEP_3) | instskip(NEXT) | instid1(VALU_DEP_1)
	v_add_f32_e32 v15, v15, v17
	v_dual_add_f32 v15, v15, v16 :: v_dual_mul_f32 v16, 0x2ea39ef3, v18
	s_delay_alu instid0(VALU_DEP_1) | instskip(NEXT) | instid1(VALU_DEP_1)
	v_add_f32_e32 v17, v20, v15
	v_dual_sub_f32 v19, v17, v16 :: v_dual_sub_f32 v20, v20, v17
	s_delay_alu instid0(VALU_DEP_1) | instskip(NEXT) | instid1(VALU_DEP_2)
	v_sub_f32_e32 v17, v17, v19
	v_add_f32_e32 v15, v15, v20
	s_delay_alu instid0(VALU_DEP_2) | instskip(NEXT) | instid1(VALU_DEP_1)
	v_sub_f32_e32 v16, v17, v16
	v_add_f32_e32 v15, v15, v16
	s_delay_alu instid0(VALU_DEP_1) | instskip(NEXT) | instid1(VALU_DEP_1)
	v_add_f32_e32 v16, v19, v15
	v_sub_f32_e32 v17, v19, v16
	v_mul_f32_e32 v19, v16, v16
	s_delay_alu instid0(VALU_DEP_2) | instskip(SKIP_1) | instid1(VALU_DEP_3)
	v_add_f32_e32 v15, v15, v17
	v_fmaak_f32 v17, s20, v16, 0x3c091de6
	v_fma_f32 v20, v16, v16, -v19
	s_delay_alu instid0(VALU_DEP_3) | instskip(NEXT) | instid1(VALU_DEP_3)
	v_add_f32_e32 v21, v15, v15
	v_fmaak_f32 v17, v16, v17, 0x3d2aadcc
	s_delay_alu instid0(VALU_DEP_2) | instskip(NEXT) | instid1(VALU_DEP_2)
	v_fmac_f32_e32 v20, v16, v21
	v_fmaak_f32 v17, v16, v17, 0x3e2aaa47
	s_delay_alu instid0(VALU_DEP_2) | instskip(NEXT) | instid1(VALU_DEP_2)
	v_add_f32_e32 v21, v19, v20
	v_fmaak_f32 v17, v16, v17, 0x3efffffc
	s_delay_alu instid0(VALU_DEP_2) | instskip(NEXT) | instid1(VALU_DEP_1)
	v_sub_f32_e32 v19, v21, v19
	v_dual_mul_f32 v22, v17, v21 :: v_dual_sub_f32 v19, v20, v19
	s_delay_alu instid0(VALU_DEP_1) | instskip(NEXT) | instid1(VALU_DEP_1)
	v_fma_f32 v20, v21, v17, -v22
	v_fmac_f32_e32 v20, v19, v17
	s_delay_alu instid0(VALU_DEP_1) | instskip(NEXT) | instid1(VALU_DEP_1)
	v_add_f32_e32 v17, v22, v20
	v_sub_f32_e32 v19, v17, v22
	v_add_f32_e32 v21, v16, v17
	s_delay_alu instid0(VALU_DEP_1) | instskip(NEXT) | instid1(VALU_DEP_1)
	v_dual_sub_f32 v19, v20, v19 :: v_dual_sub_f32 v16, v21, v16
	v_dual_sub_f32 v16, v17, v16 :: v_dual_add_f32 v15, v15, v19
	s_delay_alu instid0(VALU_DEP_1) | instskip(NEXT) | instid1(VALU_DEP_1)
	v_add_f32_e32 v15, v15, v16
	v_add_f32_e32 v16, v21, v15
	s_delay_alu instid0(VALU_DEP_1) | instskip(SKIP_1) | instid1(VALU_DEP_1)
	v_add_f32_e32 v17, 1.0, v16
	v_sub_f32_e32 v19, v16, v21
	v_dual_add_f32 v20, -1.0, v17 :: v_dual_sub_f32 v15, v15, v19
	s_delay_alu instid0(VALU_DEP_1) | instskip(NEXT) | instid1(VALU_DEP_1)
	v_sub_f32_e32 v16, v16, v20
	v_add_f32_e32 v15, v15, v16
	v_cvt_i32_f32_e32 v16, v18
	s_delay_alu instid0(VALU_DEP_2) | instskip(NEXT) | instid1(VALU_DEP_1)
	v_add_f32_e32 v18, v17, v15
	v_ldexp_f32 v19, v18, v16
	s_delay_alu instid0(VALU_DEP_1) | instskip(SKIP_1) | instid1(VALU_DEP_1)
	v_rcp_f32_e32 v20, v19
	v_sub_f32_e32 v17, v18, v17
	v_sub_f32_e32 v15, v15, v17
	s_waitcnt_depctr 0xfff
	v_mul_f32_e32 v17, v19, v20
	v_ldexp_f32 v15, v15, v16
	s_delay_alu instid0(VALU_DEP_2) | instskip(NEXT) | instid1(VALU_DEP_1)
	v_fma_f32 v16, v20, v19, -v17
	v_fmac_f32_e32 v16, v20, v15
	s_delay_alu instid0(VALU_DEP_1) | instskip(NEXT) | instid1(VALU_DEP_1)
	v_add_f32_e32 v18, v17, v16
	v_sub_f32_e32 v21, 1.0, v18
	v_sub_f32_e32 v17, v18, v17
	s_delay_alu instid0(VALU_DEP_2) | instskip(NEXT) | instid1(VALU_DEP_1)
	v_sub_f32_e32 v22, 1.0, v21
	v_dual_sub_f32 v16, v17, v16 :: v_dual_sub_f32 v17, v22, v18
	s_delay_alu instid0(VALU_DEP_1) | instskip(NEXT) | instid1(VALU_DEP_1)
	v_add_f32_e32 v16, v16, v17
	v_add_f32_e32 v17, v21, v16
	s_delay_alu instid0(VALU_DEP_1) | instskip(NEXT) | instid1(VALU_DEP_1)
	v_mul_f32_e32 v18, v20, v17
	v_dual_sub_f32 v21, v21, v17 :: v_dual_mul_f32 v22, v19, v18
	s_delay_alu instid0(VALU_DEP_1) | instskip(NEXT) | instid1(VALU_DEP_2)
	v_add_f32_e32 v16, v16, v21
	v_fma_f32 v23, v18, v19, -v22
	s_delay_alu instid0(VALU_DEP_1) | instskip(NEXT) | instid1(VALU_DEP_1)
	v_fmac_f32_e32 v23, v18, v15
	v_add_f32_e32 v24, v22, v23
	s_delay_alu instid0(VALU_DEP_1) | instskip(SKIP_1) | instid1(VALU_DEP_2)
	v_sub_f32_e32 v25, v17, v24
	v_sub_f32_e32 v21, v24, v22
	;; [unrolled: 1-line block ×3, first 2 shown]
	s_delay_alu instid0(VALU_DEP_2) | instskip(NEXT) | instid1(VALU_DEP_2)
	v_sub_f32_e32 v21, v21, v23
	v_sub_f32_e32 v17, v17, v24
	s_delay_alu instid0(VALU_DEP_1) | instskip(NEXT) | instid1(VALU_DEP_1)
	v_add_f32_e32 v16, v16, v17
	v_dual_add_f32 v17, v20, v18 :: v_dual_add_f32 v16, v21, v16
	s_delay_alu instid0(VALU_DEP_1) | instskip(NEXT) | instid1(VALU_DEP_2)
	v_sub_f32_e32 v21, v17, v20
	v_add_f32_e32 v16, v25, v16
	s_delay_alu instid0(VALU_DEP_2) | instskip(NEXT) | instid1(VALU_DEP_2)
	v_sub_f32_e32 v18, v18, v21
	v_mul_f32_e32 v16, v20, v16
	s_delay_alu instid0(VALU_DEP_1) | instskip(NEXT) | instid1(VALU_DEP_1)
	v_add_f32_e32 v16, v18, v16
	v_add_f32_e32 v18, v17, v16
	s_delay_alu instid0(VALU_DEP_1) | instskip(SKIP_1) | instid1(VALU_DEP_1)
	v_ldexp_f32 v20, v18, -2
	v_sub_f32_e32 v17, v18, v17
	v_dual_sub_f32 v21, v19, v20 :: v_dual_sub_f32 v16, v16, v17
	s_delay_alu instid0(VALU_DEP_1) | instskip(NEXT) | instid1(VALU_DEP_2)
	v_sub_f32_e32 v19, v19, v21
	v_ldexp_f32 v16, v16, -2
	s_delay_alu instid0(VALU_DEP_2) | instskip(NEXT) | instid1(VALU_DEP_1)
	v_sub_f32_e32 v18, v19, v20
	v_add_f32_e32 v15, v15, v18
	s_delay_alu instid0(VALU_DEP_1) | instskip(NEXT) | instid1(VALU_DEP_1)
	v_sub_f32_e32 v15, v15, v16
	v_add_f32_e32 v15, v21, v15
	s_delay_alu instid0(VALU_DEP_1) | instskip(SKIP_1) | instid1(VALU_DEP_1)
	v_cndmask_b32_e64 v15, 0x7f800000, v15, s4
	v_cmp_gt_f32_e64 s4, 0x39800000, |v14|
	v_cndmask_b32_e64 v15, v15, |v14|, s4
	s_delay_alu instid0(VALU_DEP_1)
	v_bfi_b32 v14, 0x7fffffff, v15, v14
	global_store_b32 v[1:2], v14, off
	s_or_b32 exec_lo, exec_lo, s5
	s_and_saveexec_b32 s4, s3
	s_cbranch_execz .LBB125_13
.LBB125_17:                             ;   in Loop: Header=BB125_4 Depth=1
	s_waitcnt vmcnt(0)
	v_add_f32_e64 v14, 0xbf317218, |v13|
	v_cmp_nlt_f32_e64 s3, 0x42b2d4fc, |v13|
	s_delay_alu instid0(VALU_DEP_2) | instskip(NEXT) | instid1(VALU_DEP_1)
	v_sub_f32_e64 v15, v14, |v13|
	v_dual_sub_f32 v16, v15, v14 :: v_dual_add_f32 v15, 0x3f317218, v15
	s_delay_alu instid0(VALU_DEP_1) | instskip(NEXT) | instid1(VALU_DEP_1)
	v_add_f32_e64 v16, |v13|, v16
	v_sub_f32_e32 v15, v16, v15
	s_delay_alu instid0(VALU_DEP_1) | instskip(NEXT) | instid1(VALU_DEP_1)
	v_add_f32_e32 v15, 0x3102e308, v15
	v_add_f32_e32 v16, v14, v15
	s_delay_alu instid0(VALU_DEP_1) | instskip(NEXT) | instid1(VALU_DEP_1)
	v_sub_f32_e32 v14, v14, v16
	v_dual_mul_f32 v17, 0x3fb8aa3b, v16 :: v_dual_add_f32 v14, v15, v14
	s_delay_alu instid0(VALU_DEP_1) | instskip(NEXT) | instid1(VALU_DEP_1)
	v_rndne_f32_e32 v17, v17
	v_mul_f32_e32 v15, 0x35bfbc00, v17
	v_fmac_f32_e32 v16, 0xbf317200, v17
	s_delay_alu instid0(VALU_DEP_1) | instskip(NEXT) | instid1(VALU_DEP_1)
	v_add_f32_e32 v18, v14, v16
	v_dual_sub_f32 v19, v18, v15 :: v_dual_sub_f32 v16, v16, v18
	s_delay_alu instid0(VALU_DEP_1) | instskip(NEXT) | instid1(VALU_DEP_1)
	v_sub_f32_e32 v18, v18, v19
	v_sub_f32_e32 v15, v18, v15
	s_delay_alu instid0(VALU_DEP_3) | instskip(NEXT) | instid1(VALU_DEP_1)
	v_add_f32_e32 v14, v14, v16
	v_dual_add_f32 v14, v14, v15 :: v_dual_mul_f32 v15, 0x2ea39ef3, v17
	s_delay_alu instid0(VALU_DEP_1) | instskip(NEXT) | instid1(VALU_DEP_1)
	v_add_f32_e32 v16, v19, v14
	v_dual_sub_f32 v18, v16, v15 :: v_dual_sub_f32 v19, v19, v16
	s_delay_alu instid0(VALU_DEP_1) | instskip(NEXT) | instid1(VALU_DEP_2)
	v_sub_f32_e32 v16, v16, v18
	v_add_f32_e32 v14, v14, v19
	s_delay_alu instid0(VALU_DEP_2) | instskip(NEXT) | instid1(VALU_DEP_1)
	v_sub_f32_e32 v15, v16, v15
	v_add_f32_e32 v14, v14, v15
	s_delay_alu instid0(VALU_DEP_1) | instskip(NEXT) | instid1(VALU_DEP_1)
	v_add_f32_e32 v15, v18, v14
	v_sub_f32_e32 v16, v18, v15
	v_mul_f32_e32 v18, v15, v15
	s_delay_alu instid0(VALU_DEP_2) | instskip(SKIP_1) | instid1(VALU_DEP_3)
	v_add_f32_e32 v14, v14, v16
	v_fmaak_f32 v16, s20, v15, 0x3c091de6
	v_fma_f32 v19, v15, v15, -v18
	s_delay_alu instid0(VALU_DEP_3) | instskip(NEXT) | instid1(VALU_DEP_3)
	v_add_f32_e32 v20, v14, v14
	v_fmaak_f32 v16, v15, v16, 0x3d2aadcc
	s_delay_alu instid0(VALU_DEP_2) | instskip(NEXT) | instid1(VALU_DEP_2)
	v_fmac_f32_e32 v19, v15, v20
	v_fmaak_f32 v16, v15, v16, 0x3e2aaa47
	s_delay_alu instid0(VALU_DEP_2) | instskip(NEXT) | instid1(VALU_DEP_2)
	v_add_f32_e32 v20, v18, v19
	v_fmaak_f32 v16, v15, v16, 0x3efffffc
	s_delay_alu instid0(VALU_DEP_2) | instskip(NEXT) | instid1(VALU_DEP_1)
	v_sub_f32_e32 v18, v20, v18
	v_dual_mul_f32 v21, v16, v20 :: v_dual_sub_f32 v18, v19, v18
	s_delay_alu instid0(VALU_DEP_1) | instskip(NEXT) | instid1(VALU_DEP_1)
	v_fma_f32 v19, v20, v16, -v21
	v_fmac_f32_e32 v19, v18, v16
	s_delay_alu instid0(VALU_DEP_1) | instskip(NEXT) | instid1(VALU_DEP_1)
	v_add_f32_e32 v16, v21, v19
	v_sub_f32_e32 v20, v16, v21
	v_add_f32_e32 v18, v15, v16
	s_delay_alu instid0(VALU_DEP_2) | instskip(NEXT) | instid1(VALU_DEP_2)
	v_sub_f32_e32 v19, v19, v20
	v_sub_f32_e32 v15, v18, v15
	s_delay_alu instid0(VALU_DEP_1) | instskip(NEXT) | instid1(VALU_DEP_3)
	v_sub_f32_e32 v15, v16, v15
	v_add_f32_e32 v14, v14, v19
	s_delay_alu instid0(VALU_DEP_1) | instskip(NEXT) | instid1(VALU_DEP_1)
	v_add_f32_e32 v14, v14, v15
	v_add_f32_e32 v15, v18, v14
	s_delay_alu instid0(VALU_DEP_1) | instskip(NEXT) | instid1(VALU_DEP_1)
	v_add_f32_e32 v16, 1.0, v15
	v_dual_sub_f32 v18, v15, v18 :: v_dual_add_f32 v19, -1.0, v16
	s_delay_alu instid0(VALU_DEP_1) | instskip(NEXT) | instid1(VALU_DEP_1)
	v_dual_sub_f32 v14, v14, v18 :: v_dual_sub_f32 v15, v15, v19
	v_add_f32_e32 v14, v14, v15
	v_cvt_i32_f32_e32 v15, v17
	s_delay_alu instid0(VALU_DEP_2) | instskip(NEXT) | instid1(VALU_DEP_1)
	v_add_f32_e32 v17, v16, v14
	v_ldexp_f32 v18, v17, v15
	s_delay_alu instid0(VALU_DEP_1) | instskip(SKIP_1) | instid1(VALU_DEP_1)
	v_rcp_f32_e32 v19, v18
	v_sub_f32_e32 v16, v17, v16
	v_sub_f32_e32 v14, v14, v16
	s_waitcnt_depctr 0xfff
	v_mul_f32_e32 v16, v18, v19
	v_ldexp_f32 v14, v14, v15
	s_delay_alu instid0(VALU_DEP_2) | instskip(NEXT) | instid1(VALU_DEP_1)
	v_fma_f32 v15, v19, v18, -v16
	v_fmac_f32_e32 v15, v19, v14
	s_delay_alu instid0(VALU_DEP_1) | instskip(NEXT) | instid1(VALU_DEP_1)
	v_add_f32_e32 v17, v16, v15
	v_sub_f32_e32 v20, 1.0, v17
	v_sub_f32_e32 v16, v17, v16
	s_delay_alu instid0(VALU_DEP_2) | instskip(NEXT) | instid1(VALU_DEP_1)
	v_sub_f32_e32 v21, 1.0, v20
	v_dual_sub_f32 v15, v16, v15 :: v_dual_sub_f32 v16, v21, v17
	s_delay_alu instid0(VALU_DEP_1) | instskip(NEXT) | instid1(VALU_DEP_1)
	v_add_f32_e32 v15, v15, v16
	v_add_f32_e32 v16, v20, v15
	s_delay_alu instid0(VALU_DEP_1) | instskip(NEXT) | instid1(VALU_DEP_1)
	v_mul_f32_e32 v17, v19, v16
	v_dual_sub_f32 v20, v20, v16 :: v_dual_mul_f32 v21, v18, v17
	s_delay_alu instid0(VALU_DEP_1) | instskip(NEXT) | instid1(VALU_DEP_2)
	v_add_f32_e32 v15, v15, v20
	v_fma_f32 v22, v17, v18, -v21
	s_delay_alu instid0(VALU_DEP_1) | instskip(NEXT) | instid1(VALU_DEP_1)
	v_fmac_f32_e32 v22, v17, v14
	v_add_f32_e32 v23, v21, v22
	s_delay_alu instid0(VALU_DEP_1) | instskip(SKIP_1) | instid1(VALU_DEP_2)
	v_sub_f32_e32 v24, v16, v23
	v_sub_f32_e32 v20, v23, v21
	;; [unrolled: 1-line block ×3, first 2 shown]
	s_delay_alu instid0(VALU_DEP_2) | instskip(NEXT) | instid1(VALU_DEP_2)
	v_sub_f32_e32 v20, v20, v22
	v_sub_f32_e32 v16, v16, v23
	s_delay_alu instid0(VALU_DEP_1) | instskip(NEXT) | instid1(VALU_DEP_1)
	v_add_f32_e32 v15, v15, v16
	v_dual_add_f32 v16, v19, v17 :: v_dual_add_f32 v15, v20, v15
	s_delay_alu instid0(VALU_DEP_1) | instskip(NEXT) | instid1(VALU_DEP_2)
	v_sub_f32_e32 v20, v16, v19
	v_add_f32_e32 v15, v24, v15
	s_delay_alu instid0(VALU_DEP_2) | instskip(NEXT) | instid1(VALU_DEP_2)
	v_sub_f32_e32 v17, v17, v20
	v_mul_f32_e32 v15, v19, v15
	s_delay_alu instid0(VALU_DEP_1) | instskip(NEXT) | instid1(VALU_DEP_1)
	v_add_f32_e32 v15, v17, v15
	v_add_f32_e32 v17, v16, v15
	s_delay_alu instid0(VALU_DEP_1) | instskip(SKIP_1) | instid1(VALU_DEP_1)
	v_ldexp_f32 v19, v17, -2
	v_sub_f32_e32 v16, v17, v16
	v_dual_sub_f32 v20, v18, v19 :: v_dual_sub_f32 v15, v15, v16
	s_delay_alu instid0(VALU_DEP_1) | instskip(NEXT) | instid1(VALU_DEP_2)
	v_sub_f32_e32 v17, v18, v20
	v_ldexp_f32 v15, v15, -2
	s_delay_alu instid0(VALU_DEP_2) | instskip(NEXT) | instid1(VALU_DEP_1)
	v_sub_f32_e32 v16, v17, v19
	v_add_f32_e32 v14, v14, v16
	s_delay_alu instid0(VALU_DEP_1) | instskip(NEXT) | instid1(VALU_DEP_1)
	v_sub_f32_e32 v14, v14, v15
	v_add_f32_e32 v14, v20, v14
	s_delay_alu instid0(VALU_DEP_1) | instskip(SKIP_1) | instid1(VALU_DEP_1)
	v_cndmask_b32_e64 v14, 0x7f800000, v14, s3
	v_cmp_gt_f32_e64 s3, 0x39800000, |v13|
	v_cndmask_b32_e64 v14, v14, |v13|, s3
	s_delay_alu instid0(VALU_DEP_1)
	v_bfi_b32 v13, 0x7fffffff, v14, v13
	global_store_b32 v[3:4], v13, off
	s_or_b32 exec_lo, exec_lo, s4
	s_and_saveexec_b32 s3, s2
	s_cbranch_execz .LBB125_14
.LBB125_18:                             ;   in Loop: Header=BB125_4 Depth=1
	s_waitcnt vmcnt(0)
	v_add_f32_e64 v13, 0xbf317218, |v12|
	v_cmp_nlt_f32_e64 s2, 0x42b2d4fc, |v12|
	s_delay_alu instid0(VALU_DEP_2) | instskip(NEXT) | instid1(VALU_DEP_1)
	v_sub_f32_e64 v14, v13, |v12|
	v_dual_sub_f32 v15, v14, v13 :: v_dual_add_f32 v14, 0x3f317218, v14
	s_delay_alu instid0(VALU_DEP_1) | instskip(NEXT) | instid1(VALU_DEP_1)
	v_add_f32_e64 v15, |v12|, v15
	v_sub_f32_e32 v14, v15, v14
	s_delay_alu instid0(VALU_DEP_1) | instskip(NEXT) | instid1(VALU_DEP_1)
	v_add_f32_e32 v14, 0x3102e308, v14
	v_add_f32_e32 v15, v13, v14
	s_delay_alu instid0(VALU_DEP_1) | instskip(NEXT) | instid1(VALU_DEP_1)
	v_sub_f32_e32 v13, v13, v15
	v_dual_mul_f32 v16, 0x3fb8aa3b, v15 :: v_dual_add_f32 v13, v14, v13
	s_delay_alu instid0(VALU_DEP_1) | instskip(NEXT) | instid1(VALU_DEP_1)
	v_rndne_f32_e32 v16, v16
	v_mul_f32_e32 v14, 0x35bfbc00, v16
	v_fmac_f32_e32 v15, 0xbf317200, v16
	s_delay_alu instid0(VALU_DEP_1) | instskip(NEXT) | instid1(VALU_DEP_1)
	v_add_f32_e32 v17, v13, v15
	v_dual_sub_f32 v18, v17, v14 :: v_dual_sub_f32 v15, v15, v17
	s_delay_alu instid0(VALU_DEP_1) | instskip(NEXT) | instid1(VALU_DEP_1)
	v_sub_f32_e32 v17, v17, v18
	v_sub_f32_e32 v14, v17, v14
	s_delay_alu instid0(VALU_DEP_3) | instskip(NEXT) | instid1(VALU_DEP_1)
	v_add_f32_e32 v13, v13, v15
	v_dual_add_f32 v13, v13, v14 :: v_dual_mul_f32 v14, 0x2ea39ef3, v16
	s_delay_alu instid0(VALU_DEP_1) | instskip(NEXT) | instid1(VALU_DEP_1)
	v_add_f32_e32 v15, v18, v13
	v_dual_sub_f32 v17, v15, v14 :: v_dual_sub_f32 v18, v18, v15
	s_delay_alu instid0(VALU_DEP_1) | instskip(NEXT) | instid1(VALU_DEP_2)
	v_sub_f32_e32 v15, v15, v17
	v_add_f32_e32 v13, v13, v18
	s_delay_alu instid0(VALU_DEP_2) | instskip(NEXT) | instid1(VALU_DEP_1)
	v_sub_f32_e32 v14, v15, v14
	v_add_f32_e32 v13, v13, v14
	s_delay_alu instid0(VALU_DEP_1) | instskip(NEXT) | instid1(VALU_DEP_1)
	v_add_f32_e32 v14, v17, v13
	v_sub_f32_e32 v15, v17, v14
	v_mul_f32_e32 v17, v14, v14
	s_delay_alu instid0(VALU_DEP_2) | instskip(SKIP_1) | instid1(VALU_DEP_3)
	v_add_f32_e32 v13, v13, v15
	v_fmaak_f32 v15, s20, v14, 0x3c091de6
	v_fma_f32 v18, v14, v14, -v17
	s_delay_alu instid0(VALU_DEP_3) | instskip(NEXT) | instid1(VALU_DEP_3)
	v_add_f32_e32 v19, v13, v13
	v_fmaak_f32 v15, v14, v15, 0x3d2aadcc
	s_delay_alu instid0(VALU_DEP_2) | instskip(NEXT) | instid1(VALU_DEP_2)
	v_fmac_f32_e32 v18, v14, v19
	v_fmaak_f32 v15, v14, v15, 0x3e2aaa47
	s_delay_alu instid0(VALU_DEP_2) | instskip(NEXT) | instid1(VALU_DEP_2)
	v_add_f32_e32 v19, v17, v18
	v_fmaak_f32 v15, v14, v15, 0x3efffffc
	s_delay_alu instid0(VALU_DEP_2) | instskip(NEXT) | instid1(VALU_DEP_1)
	v_sub_f32_e32 v17, v19, v17
	v_dual_mul_f32 v20, v15, v19 :: v_dual_sub_f32 v17, v18, v17
	s_delay_alu instid0(VALU_DEP_1) | instskip(NEXT) | instid1(VALU_DEP_1)
	v_fma_f32 v18, v19, v15, -v20
	v_fmac_f32_e32 v18, v17, v15
	s_delay_alu instid0(VALU_DEP_1) | instskip(NEXT) | instid1(VALU_DEP_1)
	v_add_f32_e32 v15, v20, v18
	v_sub_f32_e32 v19, v15, v20
	v_add_f32_e32 v17, v14, v15
	s_delay_alu instid0(VALU_DEP_2) | instskip(NEXT) | instid1(VALU_DEP_2)
	v_sub_f32_e32 v18, v18, v19
	v_sub_f32_e32 v14, v17, v14
	s_delay_alu instid0(VALU_DEP_1) | instskip(NEXT) | instid1(VALU_DEP_3)
	v_sub_f32_e32 v14, v15, v14
	v_add_f32_e32 v13, v13, v18
	s_delay_alu instid0(VALU_DEP_1) | instskip(NEXT) | instid1(VALU_DEP_1)
	v_add_f32_e32 v13, v13, v14
	v_add_f32_e32 v14, v17, v13
	s_delay_alu instid0(VALU_DEP_1) | instskip(NEXT) | instid1(VALU_DEP_1)
	v_add_f32_e32 v15, 1.0, v14
	v_dual_sub_f32 v17, v14, v17 :: v_dual_add_f32 v18, -1.0, v15
	s_delay_alu instid0(VALU_DEP_1) | instskip(NEXT) | instid1(VALU_DEP_1)
	v_dual_sub_f32 v13, v13, v17 :: v_dual_sub_f32 v14, v14, v18
	v_add_f32_e32 v13, v13, v14
	v_cvt_i32_f32_e32 v14, v16
	s_delay_alu instid0(VALU_DEP_2) | instskip(NEXT) | instid1(VALU_DEP_1)
	v_add_f32_e32 v16, v15, v13
	v_ldexp_f32 v17, v16, v14
	s_delay_alu instid0(VALU_DEP_1) | instskip(SKIP_1) | instid1(VALU_DEP_1)
	v_rcp_f32_e32 v18, v17
	v_sub_f32_e32 v15, v16, v15
	v_sub_f32_e32 v13, v13, v15
	s_waitcnt_depctr 0xfff
	v_mul_f32_e32 v15, v17, v18
	v_ldexp_f32 v13, v13, v14
	s_delay_alu instid0(VALU_DEP_2) | instskip(NEXT) | instid1(VALU_DEP_1)
	v_fma_f32 v14, v18, v17, -v15
	v_fmac_f32_e32 v14, v18, v13
	s_delay_alu instid0(VALU_DEP_1) | instskip(NEXT) | instid1(VALU_DEP_1)
	v_add_f32_e32 v16, v15, v14
	v_sub_f32_e32 v19, 1.0, v16
	v_sub_f32_e32 v15, v16, v15
	s_delay_alu instid0(VALU_DEP_2) | instskip(NEXT) | instid1(VALU_DEP_1)
	v_sub_f32_e32 v20, 1.0, v19
	v_dual_sub_f32 v14, v15, v14 :: v_dual_sub_f32 v15, v20, v16
	s_delay_alu instid0(VALU_DEP_1) | instskip(NEXT) | instid1(VALU_DEP_1)
	v_add_f32_e32 v14, v14, v15
	v_add_f32_e32 v15, v19, v14
	s_delay_alu instid0(VALU_DEP_1) | instskip(NEXT) | instid1(VALU_DEP_1)
	v_mul_f32_e32 v16, v18, v15
	v_dual_sub_f32 v19, v19, v15 :: v_dual_mul_f32 v20, v17, v16
	s_delay_alu instid0(VALU_DEP_1) | instskip(NEXT) | instid1(VALU_DEP_2)
	v_add_f32_e32 v14, v14, v19
	v_fma_f32 v21, v16, v17, -v20
	s_delay_alu instid0(VALU_DEP_1) | instskip(NEXT) | instid1(VALU_DEP_1)
	v_fmac_f32_e32 v21, v16, v13
	v_add_f32_e32 v22, v20, v21
	s_delay_alu instid0(VALU_DEP_1) | instskip(SKIP_1) | instid1(VALU_DEP_2)
	v_sub_f32_e32 v23, v15, v22
	v_sub_f32_e32 v19, v22, v20
	;; [unrolled: 1-line block ×3, first 2 shown]
	s_delay_alu instid0(VALU_DEP_2) | instskip(NEXT) | instid1(VALU_DEP_2)
	v_sub_f32_e32 v19, v19, v21
	v_sub_f32_e32 v15, v15, v22
	s_delay_alu instid0(VALU_DEP_1) | instskip(NEXT) | instid1(VALU_DEP_1)
	v_add_f32_e32 v14, v14, v15
	v_dual_add_f32 v15, v18, v16 :: v_dual_add_f32 v14, v19, v14
	s_delay_alu instid0(VALU_DEP_1) | instskip(NEXT) | instid1(VALU_DEP_2)
	v_sub_f32_e32 v19, v15, v18
	v_add_f32_e32 v14, v23, v14
	s_delay_alu instid0(VALU_DEP_2) | instskip(NEXT) | instid1(VALU_DEP_2)
	v_sub_f32_e32 v16, v16, v19
	v_mul_f32_e32 v14, v18, v14
	s_delay_alu instid0(VALU_DEP_1) | instskip(NEXT) | instid1(VALU_DEP_1)
	v_add_f32_e32 v14, v16, v14
	v_add_f32_e32 v16, v15, v14
	s_delay_alu instid0(VALU_DEP_1) | instskip(SKIP_1) | instid1(VALU_DEP_1)
	v_ldexp_f32 v18, v16, -2
	v_sub_f32_e32 v15, v16, v15
	v_dual_sub_f32 v19, v17, v18 :: v_dual_sub_f32 v14, v14, v15
	s_delay_alu instid0(VALU_DEP_1) | instskip(NEXT) | instid1(VALU_DEP_2)
	v_sub_f32_e32 v16, v17, v19
	v_ldexp_f32 v14, v14, -2
	s_delay_alu instid0(VALU_DEP_2) | instskip(NEXT) | instid1(VALU_DEP_1)
	v_sub_f32_e32 v15, v16, v18
	v_add_f32_e32 v13, v13, v15
	s_delay_alu instid0(VALU_DEP_1) | instskip(NEXT) | instid1(VALU_DEP_1)
	v_sub_f32_e32 v13, v13, v14
	v_add_f32_e32 v13, v19, v13
	s_delay_alu instid0(VALU_DEP_1) | instskip(SKIP_1) | instid1(VALU_DEP_1)
	v_cndmask_b32_e64 v13, 0x7f800000, v13, s2
	v_cmp_gt_f32_e64 s2, 0x39800000, |v12|
	v_cndmask_b32_e64 v13, v13, |v12|, s2
	s_delay_alu instid0(VALU_DEP_1) | instskip(SKIP_1) | instid1(VALU_DEP_1)
	v_bfi_b32 v14, 0x7fffffff, v13, v12
	v_add_co_u32 v12, s2, v1, s19
	v_add_co_ci_u32_e64 v13, s2, 0, v2, s2
	global_store_b32 v[12:13], v14, off
	s_or_b32 exec_lo, exec_lo, s3
	s_and_saveexec_b32 s2, vcc_lo
	s_cbranch_execz .LBB125_3
.LBB125_19:                             ;   in Loop: Header=BB125_4 Depth=1
	s_waitcnt vmcnt(0)
	v_add_f32_e64 v12, 0xbf317218, |v11|
	v_cmp_nlt_f32_e64 vcc_lo, 0x42b2d4fc, |v11|
	v_cmp_gt_f32_e64 s3, 0x39800000, |v11|
	s_delay_alu instid0(VALU_DEP_3) | instskip(NEXT) | instid1(VALU_DEP_1)
	v_sub_f32_e64 v13, v12, |v11|
	v_dual_sub_f32 v14, v13, v12 :: v_dual_add_f32 v13, 0x3f317218, v13
	s_delay_alu instid0(VALU_DEP_1) | instskip(NEXT) | instid1(VALU_DEP_1)
	v_add_f32_e64 v14, |v11|, v14
	v_sub_f32_e32 v13, v14, v13
	s_delay_alu instid0(VALU_DEP_1) | instskip(NEXT) | instid1(VALU_DEP_1)
	v_add_f32_e32 v13, 0x3102e308, v13
	v_add_f32_e32 v14, v12, v13
	s_delay_alu instid0(VALU_DEP_1) | instskip(NEXT) | instid1(VALU_DEP_1)
	v_sub_f32_e32 v12, v12, v14
	v_dual_mul_f32 v15, 0x3fb8aa3b, v14 :: v_dual_add_f32 v12, v13, v12
	s_delay_alu instid0(VALU_DEP_1) | instskip(NEXT) | instid1(VALU_DEP_1)
	v_rndne_f32_e32 v15, v15
	v_mul_f32_e32 v13, 0x35bfbc00, v15
	v_fmac_f32_e32 v14, 0xbf317200, v15
	s_delay_alu instid0(VALU_DEP_1) | instskip(NEXT) | instid1(VALU_DEP_1)
	v_add_f32_e32 v16, v12, v14
	v_dual_sub_f32 v17, v16, v13 :: v_dual_sub_f32 v14, v14, v16
	s_delay_alu instid0(VALU_DEP_1) | instskip(NEXT) | instid1(VALU_DEP_1)
	v_sub_f32_e32 v16, v16, v17
	v_sub_f32_e32 v13, v16, v13
	s_delay_alu instid0(VALU_DEP_3) | instskip(NEXT) | instid1(VALU_DEP_1)
	v_add_f32_e32 v12, v12, v14
	v_dual_add_f32 v12, v12, v13 :: v_dual_mul_f32 v13, 0x2ea39ef3, v15
	s_delay_alu instid0(VALU_DEP_1) | instskip(NEXT) | instid1(VALU_DEP_1)
	v_add_f32_e32 v14, v17, v12
	v_dual_sub_f32 v16, v14, v13 :: v_dual_sub_f32 v17, v17, v14
	s_delay_alu instid0(VALU_DEP_1) | instskip(NEXT) | instid1(VALU_DEP_2)
	v_sub_f32_e32 v14, v14, v16
	v_add_f32_e32 v12, v12, v17
	s_delay_alu instid0(VALU_DEP_2) | instskip(NEXT) | instid1(VALU_DEP_1)
	v_sub_f32_e32 v13, v14, v13
	v_add_f32_e32 v12, v12, v13
	s_delay_alu instid0(VALU_DEP_1) | instskip(NEXT) | instid1(VALU_DEP_1)
	v_add_f32_e32 v13, v16, v12
	v_sub_f32_e32 v14, v16, v13
	v_mul_f32_e32 v16, v13, v13
	s_delay_alu instid0(VALU_DEP_2) | instskip(SKIP_1) | instid1(VALU_DEP_3)
	v_add_f32_e32 v12, v12, v14
	v_fmaak_f32 v14, s20, v13, 0x3c091de6
	v_fma_f32 v17, v13, v13, -v16
	s_delay_alu instid0(VALU_DEP_3) | instskip(NEXT) | instid1(VALU_DEP_3)
	v_add_f32_e32 v18, v12, v12
	v_fmaak_f32 v14, v13, v14, 0x3d2aadcc
	s_delay_alu instid0(VALU_DEP_2) | instskip(NEXT) | instid1(VALU_DEP_2)
	v_fmac_f32_e32 v17, v13, v18
	v_fmaak_f32 v14, v13, v14, 0x3e2aaa47
	s_delay_alu instid0(VALU_DEP_2) | instskip(NEXT) | instid1(VALU_DEP_2)
	v_add_f32_e32 v18, v16, v17
	v_fmaak_f32 v14, v13, v14, 0x3efffffc
	s_delay_alu instid0(VALU_DEP_2) | instskip(NEXT) | instid1(VALU_DEP_1)
	v_sub_f32_e32 v16, v18, v16
	v_dual_mul_f32 v19, v14, v18 :: v_dual_sub_f32 v16, v17, v16
	s_delay_alu instid0(VALU_DEP_1) | instskip(NEXT) | instid1(VALU_DEP_1)
	v_fma_f32 v17, v18, v14, -v19
	v_fmac_f32_e32 v17, v16, v14
	s_delay_alu instid0(VALU_DEP_1) | instskip(NEXT) | instid1(VALU_DEP_1)
	v_add_f32_e32 v14, v19, v17
	v_sub_f32_e32 v18, v14, v19
	v_add_f32_e32 v16, v13, v14
	s_delay_alu instid0(VALU_DEP_2) | instskip(NEXT) | instid1(VALU_DEP_2)
	v_sub_f32_e32 v17, v17, v18
	v_sub_f32_e32 v13, v16, v13
	s_delay_alu instid0(VALU_DEP_1) | instskip(NEXT) | instid1(VALU_DEP_3)
	v_sub_f32_e32 v13, v14, v13
	v_add_f32_e32 v12, v12, v17
	s_delay_alu instid0(VALU_DEP_1) | instskip(NEXT) | instid1(VALU_DEP_1)
	v_add_f32_e32 v12, v12, v13
	v_add_f32_e32 v13, v16, v12
	s_delay_alu instid0(VALU_DEP_1) | instskip(NEXT) | instid1(VALU_DEP_1)
	v_add_f32_e32 v14, 1.0, v13
	v_dual_sub_f32 v16, v13, v16 :: v_dual_add_f32 v17, -1.0, v14
	s_delay_alu instid0(VALU_DEP_1) | instskip(NEXT) | instid1(VALU_DEP_1)
	v_dual_sub_f32 v12, v12, v16 :: v_dual_sub_f32 v13, v13, v17
	v_add_f32_e32 v12, v12, v13
	v_cvt_i32_f32_e32 v13, v15
	s_delay_alu instid0(VALU_DEP_2) | instskip(NEXT) | instid1(VALU_DEP_1)
	v_add_f32_e32 v15, v14, v12
	v_ldexp_f32 v16, v15, v13
	s_delay_alu instid0(VALU_DEP_1) | instskip(SKIP_1) | instid1(VALU_DEP_1)
	v_rcp_f32_e32 v17, v16
	v_sub_f32_e32 v14, v15, v14
	v_sub_f32_e32 v12, v12, v14
	s_waitcnt_depctr 0xfff
	v_mul_f32_e32 v14, v16, v17
	v_ldexp_f32 v12, v12, v13
	s_delay_alu instid0(VALU_DEP_2) | instskip(NEXT) | instid1(VALU_DEP_1)
	v_fma_f32 v13, v17, v16, -v14
	v_fmac_f32_e32 v13, v17, v12
	s_delay_alu instid0(VALU_DEP_1) | instskip(NEXT) | instid1(VALU_DEP_1)
	v_add_f32_e32 v15, v14, v13
	v_sub_f32_e32 v18, 1.0, v15
	v_sub_f32_e32 v14, v15, v14
	s_delay_alu instid0(VALU_DEP_2) | instskip(NEXT) | instid1(VALU_DEP_1)
	v_sub_f32_e32 v19, 1.0, v18
	v_dual_sub_f32 v13, v14, v13 :: v_dual_sub_f32 v14, v19, v15
	s_delay_alu instid0(VALU_DEP_1) | instskip(NEXT) | instid1(VALU_DEP_1)
	v_add_f32_e32 v13, v13, v14
	v_add_f32_e32 v14, v18, v13
	s_delay_alu instid0(VALU_DEP_1) | instskip(NEXT) | instid1(VALU_DEP_1)
	v_mul_f32_e32 v15, v17, v14
	v_dual_sub_f32 v18, v18, v14 :: v_dual_mul_f32 v19, v16, v15
	s_delay_alu instid0(VALU_DEP_1) | instskip(NEXT) | instid1(VALU_DEP_2)
	v_add_f32_e32 v13, v13, v18
	v_fma_f32 v20, v15, v16, -v19
	s_delay_alu instid0(VALU_DEP_1) | instskip(NEXT) | instid1(VALU_DEP_1)
	v_fmac_f32_e32 v20, v15, v12
	v_add_f32_e32 v21, v19, v20
	s_delay_alu instid0(VALU_DEP_1) | instskip(SKIP_1) | instid1(VALU_DEP_2)
	v_sub_f32_e32 v22, v14, v21
	v_sub_f32_e32 v18, v21, v19
	;; [unrolled: 1-line block ×3, first 2 shown]
	s_delay_alu instid0(VALU_DEP_2) | instskip(NEXT) | instid1(VALU_DEP_2)
	v_sub_f32_e32 v18, v18, v20
	v_sub_f32_e32 v14, v14, v21
	s_delay_alu instid0(VALU_DEP_1) | instskip(NEXT) | instid1(VALU_DEP_1)
	v_add_f32_e32 v13, v13, v14
	v_dual_add_f32 v14, v17, v15 :: v_dual_add_f32 v13, v18, v13
	s_delay_alu instid0(VALU_DEP_1) | instskip(NEXT) | instid1(VALU_DEP_2)
	v_sub_f32_e32 v18, v14, v17
	v_add_f32_e32 v13, v22, v13
	s_delay_alu instid0(VALU_DEP_2) | instskip(NEXT) | instid1(VALU_DEP_2)
	v_sub_f32_e32 v15, v15, v18
	v_mul_f32_e32 v13, v17, v13
	s_delay_alu instid0(VALU_DEP_1) | instskip(NEXT) | instid1(VALU_DEP_1)
	v_add_f32_e32 v13, v15, v13
	v_add_f32_e32 v15, v14, v13
	s_delay_alu instid0(VALU_DEP_1) | instskip(SKIP_1) | instid1(VALU_DEP_1)
	v_ldexp_f32 v17, v15, -2
	v_sub_f32_e32 v14, v15, v14
	v_dual_sub_f32 v18, v16, v17 :: v_dual_sub_f32 v13, v13, v14
	s_delay_alu instid0(VALU_DEP_1) | instskip(NEXT) | instid1(VALU_DEP_2)
	v_sub_f32_e32 v15, v16, v18
	v_ldexp_f32 v13, v13, -2
	s_delay_alu instid0(VALU_DEP_2) | instskip(NEXT) | instid1(VALU_DEP_1)
	v_sub_f32_e32 v14, v15, v17
	v_add_f32_e32 v12, v12, v14
	s_delay_alu instid0(VALU_DEP_1) | instskip(NEXT) | instid1(VALU_DEP_1)
	v_sub_f32_e32 v12, v12, v13
	v_add_f32_e32 v12, v18, v12
	s_delay_alu instid0(VALU_DEP_1) | instskip(NEXT) | instid1(VALU_DEP_1)
	v_cndmask_b32_e32 v12, 0x7f800000, v12, vcc_lo
	v_cndmask_b32_e64 v12, v12, |v11|, s3
	s_delay_alu instid0(VALU_DEP_1)
	v_bfi_b32 v13, 0x7fffffff, v12, v11
	v_add_co_u32 v11, vcc_lo, v1, s17
	v_add_co_ci_u32_e32 v12, vcc_lo, 0, v2, vcc_lo
	global_store_b32 v[11:12], v13, off
	s_branch .LBB125_3
.LBB125_20:
	s_cbranch_execz .LBB125_22
	s_branch .LBB125_25
.LBB125_21:
.LBB125_22:
	v_dual_mov_b32 v5, 0 :: v_dual_lshlrev_b32 v4, 2, v0
	s_mov_b32 s2, 0
	s_mov_b32 s3, exec_lo
	s_delay_alu instid0(VALU_DEP_1)
	v_cmpx_gt_i64_e64 s[6:7], v[4:5]
	s_cbranch_execz .LBB125_25
; %bb.23:
	s_load_b32 s0, s[0:1], 0xd3c
	v_lshlrev_b32_e32 v1, 4, v0
	s_mov_b32 s5, 0x3ab42872
	s_waitcnt lgkmcnt(0)
	s_and_b32 s0, s0, 0xffff
	s_delay_alu instid0(SALU_CYCLE_1) | instskip(SKIP_3) | instid1(VALU_DEP_1)
	s_lshl_b32 s3, s0, 2
	s_add_u32 s1, s8, s10
	s_addc_u32 s4, s9, s11
	v_add_co_u32 v1, s1, s1, v1
	v_add_co_ci_u32_e64 v2, null, s4, 0, s1
	v_add_lshl_u32 v4, v0, s0, 2
	s_delay_alu instid0(VALU_DEP_3) | instskip(NEXT) | instid1(VALU_DEP_3)
	v_add_co_u32 v6, vcc_lo, v1, 8
	v_add_co_ci_u32_e32 v7, vcc_lo, 0, v2, vcc_lo
	s_lshl_b32 s4, s0, 4
.LBB125_24:                             ; =>This Inner Loop Header: Depth=1
	global_load_b128 v[0:3], v[6:7], off offset:-8
	v_cmp_le_i64_e32 vcc_lo, s[6:7], v[4:5]
	s_waitcnt vmcnt(0)
	v_add_f32_e64 v8, 0xbf317218, |v0|
	v_add_f32_e64 v9, 0xbf317218, |v1|
	;; [unrolled: 1-line block ×4, first 2 shown]
	v_cmp_nlt_f32_e64 s0, 0x42b2d4fc, |v0|
	v_sub_f32_e64 v12, v8, |v0|
	v_sub_f32_e64 v13, v9, |v1|
	;; [unrolled: 1-line block ×4, first 2 shown]
	s_delay_alu instid0(VALU_DEP_3) | instskip(SKIP_1) | instid1(VALU_DEP_3)
	v_dual_sub_f32 v16, v12, v8 :: v_dual_sub_f32 v17, v13, v9
	v_dual_add_f32 v12, 0x3f317218, v12 :: v_dual_add_f32 v13, 0x3f317218, v13
	v_dual_sub_f32 v18, v14, v10 :: v_dual_sub_f32 v19, v15, v11
	s_delay_alu instid0(VALU_DEP_3) | instskip(SKIP_2) | instid1(VALU_DEP_4)
	v_add_f32_e64 v16, |v0|, v16
	v_dual_add_f32 v14, 0x3f317218, v14 :: v_dual_add_f32 v15, 0x3f317218, v15
	v_add_f32_e64 v17, |v1|, v17
	v_add_f32_e64 v18, |v2|, v18
	;; [unrolled: 1-line block ×3, first 2 shown]
	s_delay_alu instid0(VALU_DEP_3) | instskip(NEXT) | instid1(VALU_DEP_2)
	v_dual_sub_f32 v12, v16, v12 :: v_dual_sub_f32 v13, v17, v13
	v_dual_sub_f32 v14, v18, v14 :: v_dual_sub_f32 v15, v19, v15
	s_delay_alu instid0(VALU_DEP_2) | instskip(NEXT) | instid1(VALU_DEP_2)
	v_dual_add_f32 v12, 0x3102e308, v12 :: v_dual_add_f32 v13, 0x3102e308, v13
	v_dual_add_f32 v14, 0x3102e308, v14 :: v_dual_add_f32 v15, 0x3102e308, v15
	s_delay_alu instid0(VALU_DEP_2) | instskip(NEXT) | instid1(VALU_DEP_2)
	v_dual_add_f32 v16, v8, v12 :: v_dual_add_f32 v17, v9, v13
	v_dual_add_f32 v18, v10, v14 :: v_dual_add_f32 v19, v11, v15
	s_delay_alu instid0(VALU_DEP_2) | instskip(NEXT) | instid1(VALU_DEP_3)
	v_sub_f32_e32 v8, v8, v16
	v_dual_mul_f32 v20, 0x3fb8aa3b, v16 :: v_dual_mul_f32 v21, 0x3fb8aa3b, v17
	s_delay_alu instid0(VALU_DEP_3) | instskip(NEXT) | instid1(VALU_DEP_4)
	v_dual_sub_f32 v9, v9, v17 :: v_dual_sub_f32 v10, v10, v18
	v_dual_sub_f32 v11, v11, v19 :: v_dual_mul_f32 v22, 0x3fb8aa3b, v18
	s_delay_alu instid0(VALU_DEP_4) | instskip(NEXT) | instid1(VALU_DEP_3)
	v_dual_mul_f32 v23, 0x3fb8aa3b, v19 :: v_dual_add_f32 v8, v12, v8
	v_add_f32_e32 v9, v13, v9
	v_rndne_f32_e32 v12, v20
	v_rndne_f32_e32 v13, v21
	v_dual_add_f32 v10, v14, v10 :: v_dual_add_f32 v11, v15, v11
	v_rndne_f32_e32 v14, v22
	v_rndne_f32_e32 v15, v23
	s_delay_alu instid0(VALU_DEP_4) | instskip(SKIP_2) | instid1(VALU_DEP_4)
	v_dual_fmac_f32 v16, 0xbf317200, v12 :: v_dual_fmac_f32 v17, 0xbf317200, v13
	v_mul_f32_e32 v20, 0x35bfbc00, v12
	v_mul_f32_e32 v22, 0x35bfbc00, v13
	v_dual_fmac_f32 v18, 0xbf317200, v14 :: v_dual_fmac_f32 v19, 0xbf317200, v15
	s_delay_alu instid0(VALU_DEP_4) | instskip(SKIP_2) | instid1(VALU_DEP_4)
	v_add_f32_e32 v25, v8, v16
	v_mul_f32_e32 v21, 0x2ea39ef3, v12
	v_dual_mul_f32 v24, 0x35bfbc00, v14 :: v_dual_add_f32 v27, v9, v17
	v_add_f32_e32 v29, v11, v19
	s_delay_alu instid0(VALU_DEP_4) | instskip(NEXT) | instid1(VALU_DEP_3)
	v_dual_mul_f32 v23, 0x2ea39ef3, v13 :: v_dual_sub_f32 v30, v25, v20
	v_dual_mul_f32 v26, 0x35bfbc00, v15 :: v_dual_sub_f32 v31, v27, v22
	v_add_f32_e32 v28, v10, v18
	v_dual_sub_f32 v16, v16, v25 :: v_dual_sub_f32 v17, v17, v27
	s_delay_alu instid0(VALU_DEP_3) | instskip(NEXT) | instid1(VALU_DEP_3)
	v_sub_f32_e32 v33, v29, v26
	v_dual_sub_f32 v19, v19, v29 :: v_dual_sub_f32 v18, v18, v28
	v_sub_f32_e32 v32, v28, v24
	s_delay_alu instid0(VALU_DEP_4) | instskip(SKIP_1) | instid1(VALU_DEP_4)
	v_dual_add_f32 v8, v8, v16 :: v_dual_add_f32 v9, v9, v17
	v_dual_sub_f32 v16, v25, v30 :: v_dual_sub_f32 v17, v27, v31
	v_dual_add_f32 v10, v10, v18 :: v_dual_sub_f32 v25, v29, v33
	s_delay_alu instid0(VALU_DEP_4) | instskip(NEXT) | instid1(VALU_DEP_3)
	v_dual_sub_f32 v18, v28, v32 :: v_dual_add_f32 v11, v11, v19
	v_dual_sub_f32 v16, v16, v20 :: v_dual_sub_f32 v17, v17, v22
	s_delay_alu instid0(VALU_DEP_2) | instskip(SKIP_1) | instid1(VALU_DEP_3)
	v_dual_sub_f32 v19, v25, v26 :: v_dual_sub_f32 v18, v18, v24
	v_cvt_i32_f32_e32 v13, v13
	v_dual_add_f32 v8, v8, v16 :: v_dual_add_f32 v9, v9, v17
	s_delay_alu instid0(VALU_DEP_3) | instskip(NEXT) | instid1(VALU_DEP_4)
	v_dual_mul_f32 v16, 0x2ea39ef3, v14 :: v_dual_add_f32 v11, v11, v19
	v_add_f32_e32 v10, v10, v18
	s_delay_alu instid0(VALU_DEP_3) | instskip(NEXT) | instid1(VALU_DEP_4)
	v_dual_add_f32 v17, v30, v8 :: v_dual_mul_f32 v18, 0x2ea39ef3, v15
	v_add_f32_e32 v19, v31, v9
	v_cvt_i32_f32_e32 v12, v12
	s_delay_alu instid0(VALU_DEP_3) | instskip(SKIP_1) | instid1(VALU_DEP_4)
	v_dual_add_f32 v20, v32, v10 :: v_dual_sub_f32 v25, v17, v21
	v_add_f32_e32 v22, v33, v11
	v_dual_sub_f32 v24, v30, v17 :: v_dual_sub_f32 v27, v19, v23
	s_delay_alu instid0(VALU_DEP_3) | instskip(NEXT) | instid1(VALU_DEP_3)
	v_dual_sub_f32 v29, v20, v16 :: v_dual_sub_f32 v26, v31, v19
	v_sub_f32_e32 v31, v22, v18
	s_delay_alu instid0(VALU_DEP_3) | instskip(SKIP_1) | instid1(VALU_DEP_2)
	v_dual_sub_f32 v30, v33, v22 :: v_dual_sub_f32 v19, v19, v27
	v_dual_sub_f32 v28, v32, v20 :: v_dual_sub_f32 v17, v17, v25
	v_dual_sub_f32 v20, v20, v29 :: v_dual_add_f32 v11, v11, v30
	s_delay_alu instid0(VALU_DEP_4) | instskip(SKIP_1) | instid1(VALU_DEP_4)
	v_sub_f32_e32 v22, v22, v31
	v_dual_add_f32 v8, v8, v24 :: v_dual_add_f32 v9, v9, v26
	v_dual_add_f32 v10, v10, v28 :: v_dual_sub_f32 v17, v17, v21
	s_delay_alu instid0(VALU_DEP_4) | instskip(NEXT) | instid1(VALU_DEP_4)
	v_dual_sub_f32 v19, v19, v23 :: v_dual_sub_f32 v16, v20, v16
	v_sub_f32_e32 v18, v22, v18
	v_cvt_i32_f32_e32 v15, v15
	v_cvt_i32_f32_e32 v14, v14
	s_delay_alu instid0(VALU_DEP_4) | instskip(NEXT) | instid1(VALU_DEP_4)
	v_dual_add_f32 v9, v9, v19 :: v_dual_add_f32 v10, v10, v16
	v_dual_add_f32 v11, v11, v18 :: v_dual_add_f32 v8, v8, v17
	s_delay_alu instid0(VALU_DEP_2) | instskip(NEXT) | instid1(VALU_DEP_2)
	v_add_f32_e32 v17, v27, v9
	v_dual_add_f32 v19, v31, v11 :: v_dual_add_f32 v16, v25, v8
	s_delay_alu instid0(VALU_DEP_2) | instskip(SKIP_1) | instid1(VALU_DEP_3)
	v_dual_add_f32 v18, v29, v10 :: v_dual_fmaak_f32 v23, s5, v17, 0x3c091de6
	v_sub_f32_e32 v24, v27, v17
	v_dual_sub_f32 v30, v31, v19 :: v_dual_sub_f32 v21, v25, v16
	v_dual_fmaak_f32 v20, s5, v16, 0x3c091de6 :: v_dual_mul_f32 v25, v17, v17
	s_delay_alu instid0(VALU_DEP_4)
	v_dual_mul_f32 v22, v16, v16 :: v_dual_sub_f32 v27, v29, v18
	v_dual_fmaak_f32 v29, s5, v19, 0x3c091de6 :: v_dual_fmaak_f32 v26, s5, v18, 0x3c091de6
	v_mul_f32_e32 v31, v19, v19
	v_dual_add_f32 v9, v9, v24 :: v_dual_add_f32 v8, v8, v21
	v_add_f32_e32 v11, v11, v30
	v_dual_mul_f32 v28, v18, v18 :: v_dual_fmaak_f32 v23, v17, v23, 0x3d2aadcc
	v_dual_fmaak_f32 v20, v16, v20, 0x3d2aadcc :: v_dual_fmaak_f32 v29, v19, v29, 0x3d2aadcc
	v_fma_f32 v21, v16, v16, -v22
	v_dual_fmaak_f32 v26, v18, v26, 0x3d2aadcc :: v_dual_add_f32 v33, v9, v9
	s_delay_alu instid0(VALU_DEP_3)
	v_dual_add_f32 v10, v10, v27 :: v_dual_fmaak_f32 v29, v19, v29, 0x3e2aaa47
	v_fma_f32 v30, v19, v19, -v31
	v_dual_add_f32 v32, v8, v8 :: v_dual_add_f32 v35, v11, v11
	v_fma_f32 v24, v17, v17, -v25
	v_fma_f32 v27, v18, v18, -v28
	v_dual_fmaak_f32 v20, v16, v20, 0x3e2aaa47 :: v_dual_fmaak_f32 v23, v17, v23, 0x3e2aaa47
	s_delay_alu instid0(VALU_DEP_4) | instskip(SKIP_2) | instid1(VALU_DEP_4)
	v_dual_fmaak_f32 v26, v18, v26, 0x3e2aaa47 :: v_dual_fmac_f32 v21, v16, v32
	v_add_f32_e32 v34, v10, v10
	v_fmac_f32_e32 v30, v19, v35
	v_dual_fmaak_f32 v23, v17, v23, 0x3efffffc :: v_dual_fmaak_f32 v20, v16, v20, 0x3efffffc
	s_delay_alu instid0(VALU_DEP_3) | instskip(NEXT) | instid1(VALU_DEP_3)
	v_dual_fmac_f32 v24, v17, v33 :: v_dual_fmac_f32 v27, v18, v34
	v_dual_add_f32 v35, v31, v30 :: v_dual_add_f32 v32, v22, v21
	v_dual_fmaak_f32 v26, v18, v26, 0x3efffffc :: v_dual_fmaak_f32 v29, v19, v29, 0x3efffffc
	s_delay_alu instid0(VALU_DEP_3) | instskip(NEXT) | instid1(VALU_DEP_3)
	v_dual_add_f32 v33, v25, v24 :: v_dual_add_f32 v34, v28, v27
	v_dual_sub_f32 v31, v35, v31 :: v_dual_sub_f32 v22, v32, v22
	s_delay_alu instid0(VALU_DEP_3) | instskip(NEXT) | instid1(VALU_DEP_3)
	v_dual_mul_f32 v36, v20, v32 :: v_dual_mul_f32 v39, v29, v35
	v_sub_f32_e32 v25, v33, v25
	s_delay_alu instid0(VALU_DEP_4) | instskip(NEXT) | instid1(VALU_DEP_4)
	v_dual_mul_f32 v37, v23, v33 :: v_dual_sub_f32 v28, v34, v28
	v_sub_f32_e32 v21, v21, v22
	v_mul_f32_e32 v38, v26, v34
	v_fma_f32 v22, v32, v20, -v36
	s_delay_alu instid0(VALU_DEP_4) | instskip(NEXT) | instid1(VALU_DEP_3)
	v_sub_f32_e32 v27, v27, v28
	v_fma_f32 v28, v34, v26, -v38
	s_delay_alu instid0(VALU_DEP_1) | instskip(SKIP_2) | instid1(VALU_DEP_1)
	v_fmac_f32_e32 v28, v27, v26
	v_sub_f32_e32 v24, v24, v25
	v_fma_f32 v25, v33, v23, -v37
	v_dual_fmac_f32 v22, v21, v20 :: v_dual_fmac_f32 v25, v24, v23
	v_sub_f32_e32 v30, v30, v31
	v_fma_f32 v31, v35, v29, -v39
	s_delay_alu instid0(VALU_DEP_3) | instskip(NEXT) | instid1(VALU_DEP_2)
	v_dual_add_f32 v21, v37, v25 :: v_dual_add_f32 v20, v36, v22
	v_fmac_f32_e32 v31, v30, v29
	v_add_f32_e32 v23, v38, v28
	s_delay_alu instid0(VALU_DEP_3) | instskip(NEXT) | instid1(VALU_DEP_3)
	v_sub_f32_e32 v29, v21, v37
	v_dual_add_f32 v27, v16, v20 :: v_dual_add_f32 v24, v39, v31
	v_add_f32_e32 v30, v17, v21
	s_delay_alu instid0(VALU_DEP_4) | instskip(NEXT) | instid1(VALU_DEP_4)
	v_dual_sub_f32 v26, v20, v36 :: v_dual_add_f32 v33, v18, v23
	v_dual_sub_f32 v32, v23, v38 :: v_dual_sub_f32 v25, v25, v29
	s_delay_alu instid0(VALU_DEP_4) | instskip(NEXT) | instid1(VALU_DEP_4)
	v_dual_add_f32 v35, v19, v24 :: v_dual_sub_f32 v34, v24, v39
	v_sub_f32_e32 v17, v30, v17
	s_delay_alu instid0(VALU_DEP_4) | instskip(SKIP_4) | instid1(VALU_DEP_2)
	v_sub_f32_e32 v22, v22, v26
	v_sub_f32_e32 v16, v27, v16
	v_dual_sub_f32 v26, v28, v32 :: v_dual_add_f32 v9, v9, v25
	v_sub_f32_e32 v19, v35, v19
	v_dual_sub_f32 v17, v21, v17 :: v_dual_sub_f32 v28, v31, v34
	v_dual_sub_f32 v18, v33, v18 :: v_dual_sub_f32 v19, v24, v19
	s_delay_alu instid0(VALU_DEP_2) | instskip(NEXT) | instid1(VALU_DEP_3)
	v_dual_add_f32 v9, v9, v17 :: v_dual_add_f32 v8, v8, v22
	v_add_f32_e32 v11, v11, v28
	v_sub_f32_e32 v16, v20, v16
	s_delay_alu instid0(VALU_DEP_3) | instskip(NEXT) | instid1(VALU_DEP_3)
	v_dual_sub_f32 v18, v23, v18 :: v_dual_add_f32 v17, v30, v9
	v_dual_add_f32 v11, v11, v19 :: v_dual_add_f32 v10, v10, v26
	s_delay_alu instid0(VALU_DEP_2) | instskip(NEXT) | instid1(VALU_DEP_2)
	v_dual_add_f32 v8, v8, v16 :: v_dual_add_f32 v23, 1.0, v17
	v_dual_add_f32 v19, v35, v11 :: v_dual_sub_f32 v22, v17, v30
	s_delay_alu instid0(VALU_DEP_2) | instskip(NEXT) | instid1(VALU_DEP_4)
	v_add_f32_e32 v16, v27, v8
	v_add_f32_e32 v10, v10, v18
	s_delay_alu instid0(VALU_DEP_2) | instskip(NEXT) | instid1(VALU_DEP_2)
	v_dual_sub_f32 v26, v19, v35 :: v_dual_add_f32 v21, 1.0, v16
	v_add_f32_e32 v18, v33, v10
	s_delay_alu instid0(VALU_DEP_1) | instskip(SKIP_1) | instid1(VALU_DEP_1)
	v_dual_add_f32 v25, 1.0, v18 :: v_dual_sub_f32 v20, v16, v27
	v_add_f32_e32 v27, 1.0, v19
	v_add_f32_e32 v28, -1.0, v27
	s_delay_alu instid0(VALU_DEP_1) | instskip(SKIP_1) | instid1(VALU_DEP_1)
	v_sub_f32_e32 v19, v19, v28
	v_dual_sub_f32 v9, v9, v22 :: v_dual_add_f32 v22, -1.0, v23
	v_dual_sub_f32 v17, v17, v22 :: v_dual_sub_f32 v24, v18, v33
	v_dual_sub_f32 v11, v11, v26 :: v_dual_sub_f32 v8, v8, v20
	v_add_f32_e32 v20, -1.0, v21
	s_delay_alu instid0(VALU_DEP_3) | instskip(NEXT) | instid1(VALU_DEP_3)
	v_add_f32_e32 v9, v9, v17
	v_dual_add_f32 v11, v11, v19 :: v_dual_sub_f32 v10, v10, v24
	s_delay_alu instid0(VALU_DEP_2) | instskip(NEXT) | instid1(VALU_DEP_2)
	v_add_f32_e32 v17, v23, v9
	v_dual_add_f32 v24, -1.0, v25 :: v_dual_add_f32 v19, v27, v11
	v_sub_f32_e32 v16, v16, v20
	s_delay_alu instid0(VALU_DEP_1) | instskip(NEXT) | instid1(VALU_DEP_1)
	v_add_f32_e32 v8, v8, v16
	v_add_f32_e32 v16, v21, v8
	s_delay_alu instid0(VALU_DEP_1) | instskip(SKIP_3) | instid1(VALU_DEP_4)
	v_dual_sub_f32 v20, v16, v21 :: v_dual_sub_f32 v21, v17, v23
	v_ldexp_f32 v17, v17, v13
	v_dual_sub_f32 v23, v19, v27 :: v_dual_sub_f32 v18, v18, v24
	v_ldexp_f32 v16, v16, v12
	v_sub_f32_e32 v9, v9, v21
	s_delay_alu instid0(VALU_DEP_4) | instskip(NEXT) | instid1(VALU_DEP_3)
	v_rcp_f32_e32 v21, v17
	v_sub_f32_e32 v11, v11, v23
	v_ldexp_f32 v19, v19, v15
	s_delay_alu instid0(VALU_DEP_3) | instskip(NEXT) | instid1(VALU_DEP_3)
	v_ldexp_f32 v9, v9, v13
	v_ldexp_f32 v11, v11, v15
	s_waitcnt_depctr 0xfff
	v_mul_f32_e32 v13, v17, v21
	s_delay_alu instid0(VALU_DEP_1) | instskip(SKIP_2) | instid1(VALU_DEP_2)
	v_fma_f32 v15, v21, v17, -v13
	v_sub_f32_e32 v8, v8, v20
	v_rcp_f32_e32 v20, v16
	v_fmac_f32_e32 v15, v21, v9
	s_delay_alu instid0(VALU_DEP_2) | instskip(SKIP_2) | instid1(VALU_DEP_1)
	v_ldexp_f32 v8, v8, v12
	s_waitcnt_depctr 0xfff
	v_dual_add_f32 v29, v13, v15 :: v_dual_mul_f32 v12, v16, v20
	v_sub_f32_e32 v33, 1.0, v29
	v_sub_f32_e32 v13, v29, v13
	s_delay_alu instid0(VALU_DEP_3) | instskip(NEXT) | instid1(VALU_DEP_2)
	v_fma_f32 v23, v20, v16, -v12
	v_dual_add_f32 v10, v10, v18 :: v_dual_sub_f32 v13, v13, v15
	s_delay_alu instid0(VALU_DEP_1) | instskip(NEXT) | instid1(VALU_DEP_1)
	v_dual_fmac_f32 v23, v20, v8 :: v_dual_add_f32 v18, v25, v10
	v_add_f32_e32 v28, v12, v23
	s_delay_alu instid0(VALU_DEP_2) | instskip(SKIP_2) | instid1(VALU_DEP_2)
	v_sub_f32_e32 v22, v18, v25
	v_rcp_f32_e32 v25, v19
	v_ldexp_f32 v18, v18, v14
	v_sub_f32_e32 v10, v10, v22
	s_delay_alu instid0(VALU_DEP_2) | instskip(NEXT) | instid1(VALU_DEP_1)
	v_rcp_f32_e32 v24, v18
	v_ldexp_f32 v10, v10, v14
	s_waitcnt_depctr 0xfff
	v_mul_f32_e32 v22, v19, v25
	s_delay_alu instid0(VALU_DEP_1) | instskip(NEXT) | instid1(VALU_DEP_1)
	v_fma_f32 v27, v25, v19, -v22
	v_dual_mul_f32 v14, v18, v24 :: v_dual_fmac_f32 v27, v25, v11
	s_delay_alu instid0(VALU_DEP_1) | instskip(NEXT) | instid1(VALU_DEP_1)
	v_add_f32_e32 v31, v22, v27
	v_dual_sub_f32 v22, v31, v22 :: v_dual_sub_f32 v35, 1.0, v31
	s_delay_alu instid0(VALU_DEP_1) | instskip(SKIP_1) | instid1(VALU_DEP_1)
	v_sub_f32_e32 v22, v22, v27
	v_sub_f32_e32 v12, v28, v12
	v_dual_sub_f32 v12, v12, v23 :: v_dual_sub_f32 v23, 1.0, v33
	v_fma_f32 v26, v24, v18, -v14
	s_delay_alu instid0(VALU_DEP_1) | instskip(NEXT) | instid1(VALU_DEP_1)
	v_dual_sub_f32 v23, v23, v29 :: v_dual_fmac_f32 v26, v24, v10
	v_dual_add_f32 v13, v13, v23 :: v_dual_add_f32 v30, v14, v26
	s_delay_alu instid0(VALU_DEP_1) | instskip(SKIP_1) | instid1(VALU_DEP_2)
	v_dual_add_f32 v23, v33, v13 :: v_dual_sub_f32 v34, 1.0, v30
	v_sub_f32_e32 v14, v30, v14
	v_sub_f32_e32 v15, 1.0, v34
	s_delay_alu instid0(VALU_DEP_2) | instskip(SKIP_1) | instid1(VALU_DEP_3)
	v_sub_f32_e32 v14, v14, v26
	v_sub_f32_e32 v26, 1.0, v35
	v_dual_sub_f32 v32, 1.0, v28 :: v_dual_sub_f32 v15, v15, v30
	v_mul_f32_e32 v30, v21, v23
	s_delay_alu instid0(VALU_DEP_3) | instskip(NEXT) | instid1(VALU_DEP_3)
	v_sub_f32_e32 v26, v26, v31
	v_dual_sub_f32 v31, v33, v23 :: v_dual_sub_f32 v36, 1.0, v32
	s_delay_alu instid0(VALU_DEP_3) | instskip(NEXT) | instid1(VALU_DEP_2)
	v_dual_add_f32 v14, v14, v15 :: v_dual_mul_f32 v37, v17, v30
	v_add_f32_e32 v13, v13, v31
	v_add_f32_e32 v31, v21, v30
	s_delay_alu instid0(VALU_DEP_4) | instskip(NEXT) | instid1(VALU_DEP_2)
	v_dual_add_f32 v15, v22, v26 :: v_dual_sub_f32 v28, v36, v28
	v_dual_add_f32 v26, v34, v14 :: v_dual_sub_f32 v43, v31, v21
	s_delay_alu instid0(VALU_DEP_2) | instskip(NEXT) | instid1(VALU_DEP_1)
	v_add_f32_e32 v27, v35, v15
	v_dual_sub_f32 v33, v34, v26 :: v_dual_mul_f32 v34, v25, v27
	s_delay_alu instid0(VALU_DEP_4) | instskip(NEXT) | instid1(VALU_DEP_1)
	v_dual_add_f32 v12, v12, v28 :: v_dual_sub_f32 v35, v35, v27
	v_dual_mul_f32 v39, v19, v34 :: v_dual_add_f32 v22, v32, v12
	s_delay_alu instid0(VALU_DEP_2) | instskip(SKIP_1) | instid1(VALU_DEP_3)
	v_add_f32_e32 v15, v15, v35
	v_add_f32_e32 v35, v25, v34
	v_mul_f32_e32 v28, v20, v22
	v_sub_f32_e32 v29, v32, v22
	s_delay_alu instid0(VALU_DEP_3) | instskip(SKIP_1) | instid1(VALU_DEP_3)
	v_sub_f32_e32 v47, v35, v25
	v_fma_f32 v42, v30, v17, -v37
	v_add_f32_e32 v12, v12, v29
	s_delay_alu instid0(VALU_DEP_2) | instskip(SKIP_1) | instid1(VALU_DEP_2)
	v_dual_add_f32 v29, v20, v28 :: v_dual_fmac_f32 v42, v30, v9
	v_mul_f32_e32 v36, v16, v28
	v_dual_sub_f32 v41, v29, v20 :: v_dual_mul_f32 v32, v24, v26
	s_delay_alu instid0(VALU_DEP_2) | instskip(NEXT) | instid1(VALU_DEP_1)
	v_fma_f32 v40, v28, v16, -v36
	v_fmac_f32_e32 v40, v28, v8
	s_delay_alu instid0(VALU_DEP_3) | instskip(NEXT) | instid1(VALU_DEP_1)
	v_dual_sub_f32 v28, v28, v41 :: v_dual_add_f32 v41, v37, v42
	v_sub_f32_e32 v52, v23, v41
	v_dual_add_f32 v14, v14, v33 :: v_dual_add_f32 v33, v24, v32
	v_sub_f32_e32 v37, v41, v37
	s_delay_alu instid0(VALU_DEP_3) | instskip(NEXT) | instid1(VALU_DEP_3)
	v_sub_f32_e32 v23, v23, v52
	v_sub_f32_e32 v45, v33, v24
	s_delay_alu instid0(VALU_DEP_2) | instskip(NEXT) | instid1(VALU_DEP_1)
	v_dual_mul_f32 v38, v18, v32 :: v_dual_sub_f32 v23, v23, v41
	v_fma_f32 v44, v32, v18, -v38
	s_delay_alu instid0(VALU_DEP_2) | instskip(NEXT) | instid1(VALU_DEP_2)
	v_add_f32_e32 v13, v13, v23
	v_dual_sub_f32 v23, v30, v43 :: v_dual_fmac_f32 v44, v32, v10
	s_delay_alu instid0(VALU_DEP_1) | instskip(SKIP_1) | instid1(VALU_DEP_2)
	v_add_f32_e32 v49, v38, v44
	v_fma_f32 v46, v34, v19, -v39
	v_sub_f32_e32 v53, v26, v49
	s_delay_alu instid0(VALU_DEP_2) | instskip(SKIP_1) | instid1(VALU_DEP_2)
	v_fmac_f32_e32 v46, v34, v11
	v_sub_f32_e32 v38, v49, v38
	v_add_f32_e32 v50, v39, v46
	s_delay_alu instid0(VALU_DEP_1) | instskip(NEXT) | instid1(VALU_DEP_1)
	v_dual_add_f32 v48, v36, v40 :: v_dual_sub_f32 v39, v50, v39
	v_dual_sub_f32 v54, v27, v50 :: v_dual_sub_f32 v51, v22, v48
	s_delay_alu instid0(VALU_DEP_1) | instskip(SKIP_1) | instid1(VALU_DEP_2)
	v_sub_f32_e32 v27, v27, v54
	v_sub_f32_e32 v37, v37, v42
	v_sub_f32_e32 v27, v27, v50
	s_delay_alu instid0(VALU_DEP_2) | instskip(NEXT) | instid1(VALU_DEP_2)
	v_dual_add_f32 v13, v37, v13 :: v_dual_sub_f32 v22, v22, v51
	v_dual_sub_f32 v36, v48, v36 :: v_dual_add_f32 v15, v15, v27
	s_delay_alu instid0(VALU_DEP_2) | instskip(NEXT) | instid1(VALU_DEP_1)
	v_dual_add_f32 v13, v52, v13 :: v_dual_sub_f32 v22, v22, v48
	v_dual_mul_f32 v13, v21, v13 :: v_dual_sub_f32 v38, v38, v44
	s_delay_alu instid0(VALU_DEP_1) | instskip(NEXT) | instid1(VALU_DEP_1)
	v_dual_add_f32 v12, v12, v22 :: v_dual_add_f32 v13, v23, v13
	v_add_f32_e32 v21, v31, v13
	v_sub_f32_e32 v22, v39, v46
	s_delay_alu instid0(VALU_DEP_1) | instskip(NEXT) | instid1(VALU_DEP_1)
	v_dual_sub_f32 v36, v36, v40 :: v_dual_add_f32 v15, v22, v15
	v_dual_add_f32 v15, v54, v15 :: v_dual_add_f32 v12, v36, v12
	s_delay_alu instid0(VALU_DEP_1) | instskip(SKIP_2) | instid1(VALU_DEP_2)
	v_dual_sub_f32 v26, v26, v53 :: v_dual_mul_f32 v15, v25, v15
	v_sub_f32_e32 v25, v21, v31
	v_ldexp_f32 v21, v21, -2
	v_dual_add_f32 v12, v51, v12 :: v_dual_sub_f32 v13, v13, v25
	s_delay_alu instid0(VALU_DEP_1) | instskip(SKIP_2) | instid1(VALU_DEP_4)
	v_dual_sub_f32 v25, v17, v21 :: v_dual_mul_f32 v12, v20, v12
	v_sub_f32_e32 v20, v34, v47
	v_sub_f32_e32 v26, v26, v49
	v_ldexp_f32 v13, v13, -2
	s_delay_alu instid0(VALU_DEP_4) | instskip(NEXT) | instid1(VALU_DEP_3)
	v_sub_f32_e32 v17, v17, v25
	v_dual_add_f32 v15, v20, v15 :: v_dual_add_f32 v14, v14, v26
	s_delay_alu instid0(VALU_DEP_2) | instskip(NEXT) | instid1(VALU_DEP_2)
	v_sub_f32_e32 v17, v17, v21
	v_dual_add_f32 v23, v35, v15 :: v_dual_add_f32 v14, v38, v14
	s_delay_alu instid0(VALU_DEP_2) | instskip(NEXT) | instid1(VALU_DEP_2)
	v_add_f32_e32 v9, v9, v17
	v_sub_f32_e32 v27, v23, v35
	v_ldexp_f32 v23, v23, -2
	v_sub_f32_e32 v22, v32, v45
	v_add_f32_e32 v14, v53, v14
	v_sub_f32_e32 v9, v9, v13
	v_sub_f32_e32 v15, v15, v27
	s_delay_alu instid0(VALU_DEP_3) | instskip(NEXT) | instid1(VALU_DEP_3)
	v_dual_sub_f32 v27, v19, v23 :: v_dual_mul_f32 v14, v24, v14
	v_add_f32_e32 v9, v25, v9
	s_delay_alu instid0(VALU_DEP_3) | instskip(NEXT) | instid1(VALU_DEP_3)
	v_ldexp_f32 v15, v15, -2
	v_dual_sub_f32 v19, v19, v27 :: v_dual_add_f32 v12, v28, v12
	s_delay_alu instid0(VALU_DEP_1) | instskip(NEXT) | instid1(VALU_DEP_2)
	v_dual_add_f32 v14, v22, v14 :: v_dual_sub_f32 v19, v19, v23
	v_add_f32_e32 v20, v29, v12
	s_delay_alu instid0(VALU_DEP_2) | instskip(NEXT) | instid1(VALU_DEP_2)
	v_dual_add_f32 v22, v33, v14 :: v_dual_add_f32 v11, v11, v19
	v_sub_f32_e32 v24, v20, v29
	v_ldexp_f32 v20, v20, -2
	s_delay_alu instid0(VALU_DEP_2) | instskip(NEXT) | instid1(VALU_DEP_2)
	v_dual_sub_f32 v11, v11, v15 :: v_dual_sub_f32 v12, v12, v24
	v_sub_f32_e32 v24, v16, v20
	v_sub_f32_e32 v26, v22, v33
	v_ldexp_f32 v22, v22, -2
	s_delay_alu instid0(VALU_DEP_4) | instskip(SKIP_4) | instid1(VALU_DEP_3)
	v_add_f32_e32 v11, v27, v11
	v_ldexp_f32 v12, v12, -2
	v_sub_f32_e32 v16, v16, v24
	v_sub_f32_e32 v14, v14, v26
	;; [unrolled: 1-line block ×4, first 2 shown]
	s_delay_alu instid0(VALU_DEP_3) | instskip(NEXT) | instid1(VALU_DEP_3)
	v_ldexp_f32 v14, v14, -2
	v_sub_f32_e32 v18, v18, v26
	s_delay_alu instid0(VALU_DEP_3) | instskip(NEXT) | instid1(VALU_DEP_2)
	v_add_f32_e32 v8, v8, v16
	v_sub_f32_e32 v18, v18, v22
	s_delay_alu instid0(VALU_DEP_2) | instskip(NEXT) | instid1(VALU_DEP_2)
	v_sub_f32_e32 v8, v8, v12
	v_add_f32_e32 v10, v10, v18
	s_delay_alu instid0(VALU_DEP_2) | instskip(NEXT) | instid1(VALU_DEP_2)
	v_add_f32_e32 v8, v24, v8
	v_sub_f32_e32 v10, v10, v14
	s_delay_alu instid0(VALU_DEP_2) | instskip(SKIP_1) | instid1(VALU_DEP_3)
	v_cndmask_b32_e64 v8, 0x7f800000, v8, s0
	v_cmp_nlt_f32_e64 s0, 0x42b2d4fc, |v1|
	v_add_f32_e32 v10, v26, v10
	s_delay_alu instid0(VALU_DEP_2) | instskip(SKIP_1) | instid1(VALU_DEP_1)
	v_cndmask_b32_e64 v9, 0x7f800000, v9, s0
	v_cmp_nlt_f32_e64 s0, 0x42b2d4fc, |v2|
	v_cndmask_b32_e64 v10, 0x7f800000, v10, s0
	v_cmp_nlt_f32_e64 s0, 0x42b2d4fc, |v3|
	s_delay_alu instid0(VALU_DEP_1) | instskip(SKIP_1) | instid1(VALU_DEP_1)
	v_cndmask_b32_e64 v11, 0x7f800000, v11, s0
	v_cmp_gt_f32_e64 s0, 0x39800000, |v0|
	v_cndmask_b32_e64 v8, v8, |v0|, s0
	v_cmp_gt_f32_e64 s0, 0x39800000, |v1|
	s_delay_alu instid0(VALU_DEP_2) | instskip(NEXT) | instid1(VALU_DEP_2)
	v_bfi_b32 v0, 0x7fffffff, v8, v0
	v_cndmask_b32_e64 v9, v9, |v1|, s0
	v_cmp_gt_f32_e64 s0, 0x39800000, |v2|
	s_delay_alu instid0(VALU_DEP_2) | instskip(NEXT) | instid1(VALU_DEP_2)
	v_bfi_b32 v1, 0x7fffffff, v9, v1
	;; [unrolled: 4-line block ×3, first 2 shown]
	v_cndmask_b32_e64 v11, v11, |v3|, s0
	v_cmp_lt_u64_e64 s0, 0xffff, v[4:5]
	v_add_co_u32 v4, s1, v4, s3
	s_delay_alu instid0(VALU_DEP_1) | instskip(NEXT) | instid1(VALU_DEP_4)
	v_add_co_ci_u32_e64 v5, s1, 0, v5, s1
	v_bfi_b32 v3, 0x7fffffff, v11, v3
	s_delay_alu instid0(VALU_DEP_4) | instskip(NEXT) | instid1(SALU_CYCLE_1)
	s_or_b32 s0, vcc_lo, s0
	s_and_b32 s0, exec_lo, s0
	global_store_b128 v[6:7], v[0:3], off offset:-8
	v_add_co_u32 v6, vcc_lo, v6, s4
	v_add_co_ci_u32_e32 v7, vcc_lo, 0, v7, vcc_lo
	s_or_b32 s2, s0, s2
	s_delay_alu instid0(SALU_CYCLE_1)
	s_and_not1_b32 exec_lo, exec_lo, s2
	s_cbranch_execnz .LBB125_24
.LBB125_25:
	s_nop 0
	s_sendmsg sendmsg(MSG_DEALLOC_VGPRS)
	s_endpgm
	.section	.rodata,"a",@progbits
	.p2align	6, 0x0
	.amdhsa_kernel _ZN2at6native12_GLOBAL__N_125multi_tensor_apply_kernelINS1_18TensorListMetadataILi1EEENS1_14UnaryOpFunctorIfLi1ELi1ELi0EEEJNS0_4SinhIfEEEEEvT_T0_DpT1_
		.amdhsa_group_segment_fixed_size 0
		.amdhsa_private_segment_fixed_size 0
		.amdhsa_kernarg_size 3632
		.amdhsa_user_sgpr_count 15
		.amdhsa_user_sgpr_dispatch_ptr 0
		.amdhsa_user_sgpr_queue_ptr 0
		.amdhsa_user_sgpr_kernarg_segment_ptr 1
		.amdhsa_user_sgpr_dispatch_id 0
		.amdhsa_user_sgpr_private_segment_size 0
		.amdhsa_wavefront_size32 1
		.amdhsa_uses_dynamic_stack 0
		.amdhsa_enable_private_segment 0
		.amdhsa_system_sgpr_workgroup_id_x 1
		.amdhsa_system_sgpr_workgroup_id_y 0
		.amdhsa_system_sgpr_workgroup_id_z 0
		.amdhsa_system_sgpr_workgroup_info 0
		.amdhsa_system_vgpr_workitem_id 0
		.amdhsa_next_free_vgpr 55
		.amdhsa_next_free_sgpr 22
		.amdhsa_reserve_vcc 1
		.amdhsa_float_round_mode_32 0
		.amdhsa_float_round_mode_16_64 0
		.amdhsa_float_denorm_mode_32 3
		.amdhsa_float_denorm_mode_16_64 3
		.amdhsa_dx10_clamp 1
		.amdhsa_ieee_mode 1
		.amdhsa_fp16_overflow 0
		.amdhsa_workgroup_processor_mode 1
		.amdhsa_memory_ordered 1
		.amdhsa_forward_progress 0
		.amdhsa_shared_vgpr_count 0
		.amdhsa_exception_fp_ieee_invalid_op 0
		.amdhsa_exception_fp_denorm_src 0
		.amdhsa_exception_fp_ieee_div_zero 0
		.amdhsa_exception_fp_ieee_overflow 0
		.amdhsa_exception_fp_ieee_underflow 0
		.amdhsa_exception_fp_ieee_inexact 0
		.amdhsa_exception_int_div_zero 0
	.end_amdhsa_kernel
	.section	.text._ZN2at6native12_GLOBAL__N_125multi_tensor_apply_kernelINS1_18TensorListMetadataILi1EEENS1_14UnaryOpFunctorIfLi1ELi1ELi0EEEJNS0_4SinhIfEEEEEvT_T0_DpT1_,"axG",@progbits,_ZN2at6native12_GLOBAL__N_125multi_tensor_apply_kernelINS1_18TensorListMetadataILi1EEENS1_14UnaryOpFunctorIfLi1ELi1ELi0EEEJNS0_4SinhIfEEEEEvT_T0_DpT1_,comdat
.Lfunc_end125:
	.size	_ZN2at6native12_GLOBAL__N_125multi_tensor_apply_kernelINS1_18TensorListMetadataILi1EEENS1_14UnaryOpFunctorIfLi1ELi1ELi0EEEJNS0_4SinhIfEEEEEvT_T0_DpT1_, .Lfunc_end125-_ZN2at6native12_GLOBAL__N_125multi_tensor_apply_kernelINS1_18TensorListMetadataILi1EEENS1_14UnaryOpFunctorIfLi1ELi1ELi0EEEJNS0_4SinhIfEEEEEvT_T0_DpT1_
                                        ; -- End function
	.section	.AMDGPU.csdata,"",@progbits
; Kernel info:
; codeLenInByte = 6856
; NumSgprs: 24
; NumVgprs: 55
; ScratchSize: 0
; MemoryBound: 0
; FloatMode: 240
; IeeeMode: 1
; LDSByteSize: 0 bytes/workgroup (compile time only)
; SGPRBlocks: 2
; VGPRBlocks: 6
; NumSGPRsForWavesPerEU: 24
; NumVGPRsForWavesPerEU: 55
; Occupancy: 16
; WaveLimiterHint : 0
; COMPUTE_PGM_RSRC2:SCRATCH_EN: 0
; COMPUTE_PGM_RSRC2:USER_SGPR: 15
; COMPUTE_PGM_RSRC2:TRAP_HANDLER: 0
; COMPUTE_PGM_RSRC2:TGID_X_EN: 1
; COMPUTE_PGM_RSRC2:TGID_Y_EN: 0
; COMPUTE_PGM_RSRC2:TGID_Z_EN: 0
; COMPUTE_PGM_RSRC2:TIDIG_COMP_CNT: 0
	.section	.text._ZN2at6native12_GLOBAL__N_125multi_tensor_apply_kernelINS1_18TensorListMetadataILi1EEENS1_14UnaryOpFunctorIN3c107complexIdEELi1ELi1ELi0EEEJNS0_4SinhIS8_EEEEEvT_T0_DpT1_,"axG",@progbits,_ZN2at6native12_GLOBAL__N_125multi_tensor_apply_kernelINS1_18TensorListMetadataILi1EEENS1_14UnaryOpFunctorIN3c107complexIdEELi1ELi1ELi0EEEJNS0_4SinhIS8_EEEEEvT_T0_DpT1_,comdat
	.globl	_ZN2at6native12_GLOBAL__N_125multi_tensor_apply_kernelINS1_18TensorListMetadataILi1EEENS1_14UnaryOpFunctorIN3c107complexIdEELi1ELi1ELi0EEEJNS0_4SinhIS8_EEEEEvT_T0_DpT1_ ; -- Begin function _ZN2at6native12_GLOBAL__N_125multi_tensor_apply_kernelINS1_18TensorListMetadataILi1EEENS1_14UnaryOpFunctorIN3c107complexIdEELi1ELi1ELi0EEEJNS0_4SinhIS8_EEEEEvT_T0_DpT1_
	.p2align	8
	.type	_ZN2at6native12_GLOBAL__N_125multi_tensor_apply_kernelINS1_18TensorListMetadataILi1EEENS1_14UnaryOpFunctorIN3c107complexIdEELi1ELi1ELi0EEEJNS0_4SinhIS8_EEEEEvT_T0_DpT1_,@function
_ZN2at6native12_GLOBAL__N_125multi_tensor_apply_kernelINS1_18TensorListMetadataILi1EEENS1_14UnaryOpFunctorIN3c107complexIdEELi1ELi1ELi0EEEJNS0_4SinhIS8_EEEEEvT_T0_DpT1_: ; @_ZN2at6native12_GLOBAL__N_125multi_tensor_apply_kernelINS1_18TensorListMetadataILi1EEENS1_14UnaryOpFunctorIN3c107complexIdEELi1ELi1ELi0EEEJNS0_4SinhIS8_EEEEEvT_T0_DpT1_
; %bb.0:
	v_mov_b32_e32 v60, v0
	v_mov_b32_e32 v0, s15
	s_mov_b64 s[22:23], s[0:1]
	s_mov_b32 s5, 0
	s_mov_b32 s32, 0
	global_load_u8 v0, v0, s[0:1] offset:1760
	s_add_u32 s0, s22, s15
	s_mul_hi_u32 s1, s15, 3
	s_mul_i32 s15, s15, 3
	s_addc_u32 s2, s23, 0
	s_add_u32 s0, s0, s15
	s_addc_u32 s1, s2, s1
	s_load_b32 s0, s[0:1], 0x820
	s_waitcnt vmcnt(0)
	v_readfirstlane_b32 s3, v0
	s_delay_alu instid0(VALU_DEP_1)
	s_lshl_b32 s1, s3, 3
	s_clause 0x1
	s_load_b64 s[34:35], s[22:23], s1 offset:0x0
	s_load_b64 s[2:3], s[22:23], s1 offset:0x370
	s_waitcnt lgkmcnt(0)
	s_ashr_i32 s1, s0, 31
	s_delay_alu instid0(SALU_CYCLE_1) | instskip(NEXT) | instid1(SALU_CYCLE_1)
	s_lshl_b64 s[36:37], s[0:1], 20
	s_add_u32 s27, s34, s36
	s_addc_u32 s33, s35, s37
	s_lshl_b64 s[0:1], s[0:1], 16
	s_and_b32 s4, s27, 63
	s_sub_u32 s28, s2, s0
	s_subb_u32 s29, s3, s1
	s_and_b32 s0, s2, 3
	s_mov_b32 s1, s5
	s_delay_alu instid0(SALU_CYCLE_1) | instskip(NEXT) | instid1(SALU_CYCLE_1)
	s_or_b64 s[0:1], s[4:5], s[0:1]
	s_cmp_eq_u64 s[0:1], 0
	s_cbranch_scc1 .LBB126_21
; %bb.1:
	v_cmp_lt_i64_e64 s0, s[28:29], 1
	s_delay_alu instid0(VALU_DEP_1)
	s_and_b32 vcc_lo, exec_lo, s0
	s_cbranch_vccnz .LBB126_20
; %bb.2:
	s_load_b32 s0, s[22:23], 0xd3c
	v_cmp_gt_u64_e64 s1, 0x10000, s[28:29]
	v_dual_mov_b32 v62, 0 :: v_dual_lshlrev_b32 v61, 4, v60
	s_mov_b64 s[40:41], 0
	s_waitcnt lgkmcnt(0)
	s_and_b32 s0, s0, 0xffff
	s_delay_alu instid0(VALU_DEP_2)
	s_and_b32 s1, s1, exec_lo
	v_add_co_u32 v63, s3, v60, s0
	v_mad_u64_u32 v[72:73], null, s0, 48, v[61:62]
	s_cselect_b32 s39, s29, 0
	s_cselect_b32 s38, s28, 0x10000
	v_add_co_ci_u32_e64 v74, null, 0, 0, s3
	s_lshl_b32 s3, s0, 5
	s_lshl_b32 s1, s0, 1
	v_add_co_u32 v0, s3, s3, v61
	s_mul_i32 s2, s0, 3
	v_add_co_u32 v79, s1, s1, v60
	v_add_co_u32 v62, s2, s2, v60
	s_delay_alu instid0(VALU_DEP_1)
	v_add_co_ci_u32_e64 v75, null, 0, 0, s2
	v_add_co_ci_u32_e64 v76, null, 0, 0, s3
	v_lshlrev_b32_e32 v77, 4, v63
	v_or_b32_e32 v78, 8, v0
	v_or_b32_e32 v72, 8, v72
	v_add_co_ci_u32_e64 v84, null, 0, 0, s1
	s_lshl_b32 s42, s0, 2
	s_lshl_b32 s43, s0, 6
	s_branch .LBB126_4
.LBB126_3:                              ;   in Loop: Header=BB126_4 Depth=1
	s_or_b32 exec_lo, exec_lo, s25
	s_add_u32 s40, s40, s42
	s_addc_u32 s41, s41, 0
	s_delay_alu instid0(SALU_CYCLE_1) | instskip(SKIP_1) | instid1(VALU_DEP_1)
	v_cmp_lt_i64_e64 s0, s[40:41], s[28:29]
	v_cmp_gt_u64_e64 s1, 0x10000, s[40:41]
	s_and_b32 s0, s0, s1
	s_add_u32 s27, s27, s43
	s_addc_u32 s33, s33, 0
	s_and_b32 vcc_lo, exec_lo, s0
	s_cbranch_vccz .LBB126_20
.LBB126_4:                              ; =>This Inner Loop Header: Depth=1
	s_waitcnt vmcnt(0)
	v_add_co_u32 v0, s0, v60, s40
	s_delay_alu instid0(VALU_DEP_1) | instskip(SKIP_2) | instid1(VALU_DEP_2)
	v_add_co_ci_u32_e64 v1, null, 0, s41, s0
	v_mov_b32_e32 v46, 0
	v_mov_b32_e32 v47, 0
	;; [unrolled: 1-line block ×3, first 2 shown]
	s_delay_alu instid0(VALU_DEP_4) | instskip(NEXT) | instid1(VALU_DEP_3)
	v_cmp_gt_u64_e32 vcc_lo, s[38:39], v[0:1]
	v_dual_mov_b32 v0, v46 :: v_dual_mov_b32 v1, v47
	v_mov_b32_e32 v3, v47
	s_and_saveexec_b32 s0, vcc_lo
	s_cbranch_execz .LBB126_6
; %bb.5:                                ;   in Loop: Header=BB126_4 Depth=1
	v_add_co_u32 v0, s1, s27, v61
	s_delay_alu instid0(VALU_DEP_1)
	v_add_co_ci_u32_e64 v1, null, s33, 0, s1
	global_load_b128 v[0:3], v[0:1], off
.LBB126_6:                              ;   in Loop: Header=BB126_4 Depth=1
	s_or_b32 exec_lo, exec_lo, s0
	v_add_co_u32 v4, s0, v63, s40
	s_delay_alu instid0(VALU_DEP_1) | instskip(SKIP_1) | instid1(VALU_DEP_2)
	v_add_co_ci_u32_e64 v5, s0, s41, v74, s0
	v_dual_mov_b32 v44, v46 :: v_dual_mov_b32 v45, v47
	v_cmp_gt_u64_e64 s26, s[38:39], v[4:5]
	s_delay_alu instid0(VALU_DEP_1)
	s_and_saveexec_b32 s0, s26
	s_cbranch_execz .LBB126_8
; %bb.7:                                ;   in Loop: Header=BB126_4 Depth=1
	v_add_co_u32 v4, s1, s27, v77
	s_delay_alu instid0(VALU_DEP_1)
	v_add_co_ci_u32_e64 v5, null, s33, 0, s1
	global_load_b128 v[44:47], v[4:5], off
.LBB126_8:                              ;   in Loop: Header=BB126_4 Depth=1
	s_or_b32 exec_lo, exec_lo, s0
	v_add_co_u32 v4, s0, v79, s40
	s_delay_alu instid0(VALU_DEP_1) | instskip(SKIP_2) | instid1(VALU_DEP_3)
	v_add_co_ci_u32_e64 v5, s0, s41, v84, s0
	v_mov_b32_e32 v42, 0
	v_mov_b32_e32 v43, 0
	v_cmp_gt_u64_e64 s25, s[38:39], v[4:5]
	s_delay_alu instid0(VALU_DEP_2) | instskip(SKIP_1) | instid1(VALU_DEP_3)
	v_dual_mov_b32 v59, v43 :: v_dual_mov_b32 v58, v42
	v_dual_mov_b32 v57, v43 :: v_dual_mov_b32 v56, v42
	s_and_saveexec_b32 s1, s25
	s_cbranch_execz .LBB126_10
; %bb.9:                                ;   in Loop: Header=BB126_4 Depth=1
	v_add_co_u32 v4, s0, s27, v78
	s_delay_alu instid0(VALU_DEP_1)
	v_add_co_ci_u32_e64 v5, s0, s33, v76, s0
	global_load_b128 v[56:59], v[4:5], off offset:-8
.LBB126_10:                             ;   in Loop: Header=BB126_4 Depth=1
	s_or_b32 exec_lo, exec_lo, s1
	v_add_co_u32 v4, s0, v62, s40
	s_delay_alu instid0(VALU_DEP_1) | instskip(SKIP_1) | instid1(VALU_DEP_2)
	v_add_co_ci_u32_e64 v5, s0, s41, v75, s0
	v_dual_mov_b32 v40, v42 :: v_dual_mov_b32 v41, v43
	v_cmp_gt_u64_e64 s24, s[38:39], v[4:5]
	s_delay_alu instid0(VALU_DEP_1)
	s_and_saveexec_b32 s1, s24
	s_cbranch_execnz .LBB126_15
; %bb.11:                               ;   in Loop: Header=BB126_4 Depth=1
	s_or_b32 exec_lo, exec_lo, s1
	s_and_saveexec_b32 s44, vcc_lo
	s_cbranch_execnz .LBB126_16
.LBB126_12:                             ;   in Loop: Header=BB126_4 Depth=1
	s_or_b32 exec_lo, exec_lo, s44
	s_and_saveexec_b32 s44, s26
	s_cbranch_execnz .LBB126_17
.LBB126_13:                             ;   in Loop: Header=BB126_4 Depth=1
	s_or_b32 exec_lo, exec_lo, s44
	s_and_saveexec_b32 s26, s25
	s_cbranch_execnz .LBB126_18
.LBB126_14:                             ;   in Loop: Header=BB126_4 Depth=1
	s_or_b32 exec_lo, exec_lo, s26
	s_and_saveexec_b32 s25, s24
	s_cbranch_execz .LBB126_3
	s_branch .LBB126_19
.LBB126_15:                             ;   in Loop: Header=BB126_4 Depth=1
	v_add_co_u32 v4, s0, s27, v72
	s_delay_alu instid0(VALU_DEP_1)
	v_add_co_ci_u32_e64 v5, s0, s33, v73, s0
	global_load_b128 v[40:43], v[4:5], off offset:-8
	s_or_b32 exec_lo, exec_lo, s1
	s_and_saveexec_b32 s44, vcc_lo
	s_cbranch_execz .LBB126_12
.LBB126_16:                             ;   in Loop: Header=BB126_4 Depth=1
	s_getpc_b64 s[0:1]
	s_add_u32 s0, s0, _ZN6thrust23THRUST_200600_302600_NS6detail7complex5csinhERKNS0_7complexIdEE@rel32@lo+4
	s_addc_u32 s1, s1, _ZN6thrust23THRUST_200600_302600_NS6detail7complex5csinhERKNS0_7complexIdEE@rel32@hi+12
	s_delay_alu instid0(SALU_CYCLE_1) | instskip(SKIP_1) | instid1(VALU_DEP_1)
	s_swappc_b64 s[30:31], s[0:1]
	v_add_co_u32 v4, s0, s27, v61
	v_add_co_ci_u32_e64 v5, null, s33, 0, s0
	global_store_b128 v[4:5], v[0:3], off
	s_or_b32 exec_lo, exec_lo, s44
	s_and_saveexec_b32 s44, s26
	s_cbranch_execz .LBB126_13
.LBB126_17:                             ;   in Loop: Header=BB126_4 Depth=1
	s_waitcnt vmcnt(0)
	v_dual_mov_b32 v0, v44 :: v_dual_mov_b32 v1, v45
	v_dual_mov_b32 v2, v46 :: v_dual_mov_b32 v3, v47
	s_getpc_b64 s[0:1]
	s_add_u32 s0, s0, _ZN6thrust23THRUST_200600_302600_NS6detail7complex5csinhERKNS0_7complexIdEE@rel32@lo+4
	s_addc_u32 s1, s1, _ZN6thrust23THRUST_200600_302600_NS6detail7complex5csinhERKNS0_7complexIdEE@rel32@hi+12
	s_delay_alu instid0(SALU_CYCLE_1) | instskip(SKIP_1) | instid1(VALU_DEP_1)
	s_swappc_b64 s[30:31], s[0:1]
	v_add_co_u32 v4, s0, s27, v77
	v_add_co_ci_u32_e64 v5, null, s33, 0, s0
	global_store_b128 v[4:5], v[0:3], off
	s_or_b32 exec_lo, exec_lo, s44
	s_and_saveexec_b32 s26, s25
	s_cbranch_execz .LBB126_14
.LBB126_18:                             ;   in Loop: Header=BB126_4 Depth=1
	s_waitcnt vmcnt(0)
	v_dual_mov_b32 v0, v56 :: v_dual_mov_b32 v1, v57
	v_dual_mov_b32 v2, v58 :: v_dual_mov_b32 v3, v59
	s_getpc_b64 s[0:1]
	s_add_u32 s0, s0, _ZN6thrust23THRUST_200600_302600_NS6detail7complex5csinhERKNS0_7complexIdEE@rel32@lo+4
	s_addc_u32 s1, s1, _ZN6thrust23THRUST_200600_302600_NS6detail7complex5csinhERKNS0_7complexIdEE@rel32@hi+12
	s_delay_alu instid0(SALU_CYCLE_1)
	s_swappc_b64 s[30:31], s[0:1]
	v_add_co_u32 v4, vcc_lo, s27, v78
	v_add_co_ci_u32_e32 v5, vcc_lo, s33, v76, vcc_lo
	global_store_b128 v[4:5], v[0:3], off offset:-8
	s_or_b32 exec_lo, exec_lo, s26
	s_and_saveexec_b32 s25, s24
	s_cbranch_execz .LBB126_3
.LBB126_19:                             ;   in Loop: Header=BB126_4 Depth=1
	s_waitcnt vmcnt(0)
	v_dual_mov_b32 v0, v40 :: v_dual_mov_b32 v1, v41
	v_dual_mov_b32 v2, v42 :: v_dual_mov_b32 v3, v43
	s_getpc_b64 s[0:1]
	s_add_u32 s0, s0, _ZN6thrust23THRUST_200600_302600_NS6detail7complex5csinhERKNS0_7complexIdEE@rel32@lo+4
	s_addc_u32 s1, s1, _ZN6thrust23THRUST_200600_302600_NS6detail7complex5csinhERKNS0_7complexIdEE@rel32@hi+12
	s_delay_alu instid0(SALU_CYCLE_1)
	s_swappc_b64 s[30:31], s[0:1]
	v_add_co_u32 v4, vcc_lo, s27, v72
	v_add_co_ci_u32_e32 v5, vcc_lo, s33, v73, vcc_lo
	global_store_b128 v[4:5], v[0:3], off offset:-8
	s_branch .LBB126_3
.LBB126_20:
	s_cbranch_execz .LBB126_22
	s_branch .LBB126_25
.LBB126_21:
.LBB126_22:
	v_dual_mov_b32 v73, 0 :: v_dual_lshlrev_b32 v72, 2, v60
	s_mov_b32 s24, 0
	s_mov_b32 s0, exec_lo
	s_delay_alu instid0(VALU_DEP_1)
	v_cmpx_gt_i64_e64 s[28:29], v[72:73]
	s_cbranch_execz .LBB126_25
; %bb.23:
	s_load_b32 s0, s[22:23], 0xd3c
	s_waitcnt vmcnt(0)
	v_lshlrev_b32_e32 v0, 6, v60
	s_waitcnt lgkmcnt(0)
	s_and_b32 s0, s0, 0xffff
	s_delay_alu instid0(SALU_CYCLE_1)
	s_lshl_b32 s22, s0, 2
	s_add_u32 s1, s34, s36
	s_addc_u32 s2, s35, s37
	v_add_co_u32 v74, s1, s1, v0
	v_add_lshl_u32 v72, v60, s0, 2
	v_add_co_ci_u32_e64 v75, null, s2, 0, s1
	s_lshl_b32 s23, s0, 6
.LBB126_24:                             ; =>This Inner Loop Header: Depth=1
	s_clause 0x3
	global_load_b128 v[0:3], v[74:75], off
	global_load_b128 v[40:43], v[74:75], off offset:16
	global_load_b128 v[44:47], v[74:75], off offset:48
	;; [unrolled: 1-line block ×3, first 2 shown]
	s_getpc_b64 s[26:27]
	s_add_u32 s26, s26, _ZN6thrust23THRUST_200600_302600_NS6detail7complex5csinhERKNS0_7complexIdEE@rel32@lo+4
	s_addc_u32 s27, s27, _ZN6thrust23THRUST_200600_302600_NS6detail7complex5csinhERKNS0_7complexIdEE@rel32@hi+12
	s_delay_alu instid0(SALU_CYCLE_1)
	s_swappc_b64 s[30:31], s[26:27]
	v_dual_mov_b32 v60, v0 :: v_dual_mov_b32 v61, v1
	v_dual_mov_b32 v62, v2 :: v_dual_mov_b32 v63, v3
	;; [unrolled: 1-line block ×4, first 2 shown]
	s_swappc_b64 s[30:31], s[26:27]
	s_delay_alu instid0(VALU_DEP_2) | instskip(NEXT) | instid1(VALU_DEP_2)
	v_dual_mov_b32 v40, v0 :: v_dual_mov_b32 v41, v1
	v_dual_mov_b32 v42, v2 :: v_dual_mov_b32 v43, v3
	;; [unrolled: 1-line block ×4, first 2 shown]
	s_swappc_b64 s[30:31], s[26:27]
	s_delay_alu instid0(VALU_DEP_2) | instskip(NEXT) | instid1(VALU_DEP_2)
	v_dual_mov_b32 v56, v0 :: v_dual_mov_b32 v57, v1
	v_dual_mov_b32 v58, v2 :: v_dual_mov_b32 v59, v3
	;; [unrolled: 1-line block ×4, first 2 shown]
	s_swappc_b64 s[30:31], s[26:27]
	v_cmp_le_i64_e32 vcc_lo, s[28:29], v[72:73]
	v_cmp_lt_u64_e64 s0, 0xffff, v[72:73]
	v_add_co_u32 v72, s1, v72, s22
	s_delay_alu instid0(VALU_DEP_1)
	v_add_co_ci_u32_e64 v73, s1, 0, v73, s1
	s_clause 0x3
	global_store_b128 v[74:75], v[60:63], off
	global_store_b128 v[74:75], v[40:43], off offset:16
	global_store_b128 v[74:75], v[56:59], off offset:32
	;; [unrolled: 1-line block ×3, first 2 shown]
	v_add_co_u32 v74, s1, v74, s23
	s_or_b32 s0, vcc_lo, s0
	v_add_co_ci_u32_e64 v75, vcc_lo, 0, v75, s1
	s_and_b32 s0, exec_lo, s0
	s_delay_alu instid0(SALU_CYCLE_1) | instskip(NEXT) | instid1(SALU_CYCLE_1)
	s_or_b32 s24, s0, s24
	s_and_not1_b32 exec_lo, exec_lo, s24
	s_cbranch_execnz .LBB126_24
.LBB126_25:
	s_endpgm
	.section	.rodata,"a",@progbits
	.p2align	6, 0x0
	.amdhsa_kernel _ZN2at6native12_GLOBAL__N_125multi_tensor_apply_kernelINS1_18TensorListMetadataILi1EEENS1_14UnaryOpFunctorIN3c107complexIdEELi1ELi1ELi0EEEJNS0_4SinhIS8_EEEEEvT_T0_DpT1_
		.amdhsa_group_segment_fixed_size 0
		.amdhsa_private_segment_fixed_size 0
		.amdhsa_kernarg_size 3632
		.amdhsa_user_sgpr_count 15
		.amdhsa_user_sgpr_dispatch_ptr 0
		.amdhsa_user_sgpr_queue_ptr 0
		.amdhsa_user_sgpr_kernarg_segment_ptr 1
		.amdhsa_user_sgpr_dispatch_id 0
		.amdhsa_user_sgpr_private_segment_size 0
		.amdhsa_wavefront_size32 1
		.amdhsa_uses_dynamic_stack 0
		.amdhsa_enable_private_segment 0
		.amdhsa_system_sgpr_workgroup_id_x 1
		.amdhsa_system_sgpr_workgroup_id_y 0
		.amdhsa_system_sgpr_workgroup_id_z 0
		.amdhsa_system_sgpr_workgroup_info 0
		.amdhsa_system_vgpr_workitem_id 0
		.amdhsa_next_free_vgpr 85
		.amdhsa_next_free_sgpr 45
		.amdhsa_reserve_vcc 1
		.amdhsa_float_round_mode_32 0
		.amdhsa_float_round_mode_16_64 0
		.amdhsa_float_denorm_mode_32 3
		.amdhsa_float_denorm_mode_16_64 3
		.amdhsa_dx10_clamp 1
		.amdhsa_ieee_mode 1
		.amdhsa_fp16_overflow 0
		.amdhsa_workgroup_processor_mode 1
		.amdhsa_memory_ordered 1
		.amdhsa_forward_progress 0
		.amdhsa_shared_vgpr_count 0
		.amdhsa_exception_fp_ieee_invalid_op 0
		.amdhsa_exception_fp_denorm_src 0
		.amdhsa_exception_fp_ieee_div_zero 0
		.amdhsa_exception_fp_ieee_overflow 0
		.amdhsa_exception_fp_ieee_underflow 0
		.amdhsa_exception_fp_ieee_inexact 0
		.amdhsa_exception_int_div_zero 0
	.end_amdhsa_kernel
	.section	.text._ZN2at6native12_GLOBAL__N_125multi_tensor_apply_kernelINS1_18TensorListMetadataILi1EEENS1_14UnaryOpFunctorIN3c107complexIdEELi1ELi1ELi0EEEJNS0_4SinhIS8_EEEEEvT_T0_DpT1_,"axG",@progbits,_ZN2at6native12_GLOBAL__N_125multi_tensor_apply_kernelINS1_18TensorListMetadataILi1EEENS1_14UnaryOpFunctorIN3c107complexIdEELi1ELi1ELi0EEEJNS0_4SinhIS8_EEEEEvT_T0_DpT1_,comdat
.Lfunc_end126:
	.size	_ZN2at6native12_GLOBAL__N_125multi_tensor_apply_kernelINS1_18TensorListMetadataILi1EEENS1_14UnaryOpFunctorIN3c107complexIdEELi1ELi1ELi0EEEJNS0_4SinhIS8_EEEEEvT_T0_DpT1_, .Lfunc_end126-_ZN2at6native12_GLOBAL__N_125multi_tensor_apply_kernelINS1_18TensorListMetadataILi1EEENS1_14UnaryOpFunctorIN3c107complexIdEELi1ELi1ELi0EEEJNS0_4SinhIS8_EEEEEvT_T0_DpT1_
                                        ; -- End function
	.section	.AMDGPU.csdata,"",@progbits
; Kernel info:
; codeLenInByte = 1532
; NumSgprs: 47
; NumVgprs: 85
; ScratchSize: 0
; MemoryBound: 1
; FloatMode: 240
; IeeeMode: 1
; LDSByteSize: 0 bytes/workgroup (compile time only)
; SGPRBlocks: 5
; VGPRBlocks: 10
; NumSGPRsForWavesPerEU: 47
; NumVGPRsForWavesPerEU: 85
; Occupancy: 16
; WaveLimiterHint : 0
; COMPUTE_PGM_RSRC2:SCRATCH_EN: 0
; COMPUTE_PGM_RSRC2:USER_SGPR: 15
; COMPUTE_PGM_RSRC2:TRAP_HANDLER: 0
; COMPUTE_PGM_RSRC2:TGID_X_EN: 1
; COMPUTE_PGM_RSRC2:TGID_Y_EN: 0
; COMPUTE_PGM_RSRC2:TGID_Z_EN: 0
; COMPUTE_PGM_RSRC2:TIDIG_COMP_CNT: 0
	.section	.text._ZN2at6native12_GLOBAL__N_125multi_tensor_apply_kernelINS1_18TensorListMetadataILi1EEENS1_14UnaryOpFunctorIN3c107complexIfEELi1ELi1ELi0EEEJNS0_4SinhIS8_EEEEEvT_T0_DpT1_,"axG",@progbits,_ZN2at6native12_GLOBAL__N_125multi_tensor_apply_kernelINS1_18TensorListMetadataILi1EEENS1_14UnaryOpFunctorIN3c107complexIfEELi1ELi1ELi0EEEJNS0_4SinhIS8_EEEEEvT_T0_DpT1_,comdat
	.globl	_ZN2at6native12_GLOBAL__N_125multi_tensor_apply_kernelINS1_18TensorListMetadataILi1EEENS1_14UnaryOpFunctorIN3c107complexIfEELi1ELi1ELi0EEEJNS0_4SinhIS8_EEEEEvT_T0_DpT1_ ; -- Begin function _ZN2at6native12_GLOBAL__N_125multi_tensor_apply_kernelINS1_18TensorListMetadataILi1EEENS1_14UnaryOpFunctorIN3c107complexIfEELi1ELi1ELi0EEEJNS0_4SinhIS8_EEEEEvT_T0_DpT1_
	.p2align	8
	.type	_ZN2at6native12_GLOBAL__N_125multi_tensor_apply_kernelINS1_18TensorListMetadataILi1EEENS1_14UnaryOpFunctorIN3c107complexIfEELi1ELi1ELi0EEEJNS0_4SinhIS8_EEEEEvT_T0_DpT1_,@function
_ZN2at6native12_GLOBAL__N_125multi_tensor_apply_kernelINS1_18TensorListMetadataILi1EEENS1_14UnaryOpFunctorIN3c107complexIfEELi1ELi1ELi0EEEJNS0_4SinhIS8_EEEEEvT_T0_DpT1_: ; @_ZN2at6native12_GLOBAL__N_125multi_tensor_apply_kernelINS1_18TensorListMetadataILi1EEENS1_14UnaryOpFunctorIN3c107complexIfEELi1ELi1ELi0EEEJNS0_4SinhIS8_EEEEEvT_T0_DpT1_
; %bb.0:
	v_dual_mov_b32 v27, v0 :: v_dual_mov_b32 v0, s15
	s_mov_b64 s[12:13], s[0:1]
	s_mov_b32 s5, 0
	s_mov_b32 s32, 0
	global_load_u8 v0, v0, s[0:1] offset:1760
	s_add_u32 s0, s12, s15
	s_mul_hi_u32 s1, s15, 3
	s_mul_i32 s15, s15, 3
	s_addc_u32 s2, s13, 0
	s_add_u32 s0, s0, s15
	s_addc_u32 s1, s2, s1
	s_load_b32 s0, s[0:1], 0x820
	s_waitcnt vmcnt(0)
	v_readfirstlane_b32 s3, v0
	s_delay_alu instid0(VALU_DEP_1)
	s_lshl_b32 s1, s3, 3
	s_clause 0x1
	s_load_b64 s[18:19], s[12:13], s1 offset:0x0
	s_load_b64 s[2:3], s[12:13], s1 offset:0x370
	s_waitcnt lgkmcnt(0)
	s_ashr_i32 s1, s0, 31
	s_delay_alu instid0(SALU_CYCLE_1) | instskip(NEXT) | instid1(SALU_CYCLE_1)
	s_lshl_b64 s[20:21], s[0:1], 19
	s_add_u32 s26, s18, s20
	s_addc_u32 s27, s19, s21
	s_lshl_b64 s[0:1], s[0:1], 16
	s_and_b32 s4, s26, 31
	s_sub_u32 s16, s2, s0
	s_subb_u32 s17, s3, s1
	s_and_b32 s0, s2, 3
	s_mov_b32 s1, s5
	s_delay_alu instid0(SALU_CYCLE_1) | instskip(NEXT) | instid1(SALU_CYCLE_1)
	s_or_b64 s[0:1], s[4:5], s[0:1]
	s_cmp_eq_u64 s[0:1], 0
	s_cbranch_scc1 .LBB127_21
; %bb.1:
	v_cmp_lt_i64_e64 s0, s[16:17], 1
	s_delay_alu instid0(VALU_DEP_1)
	s_and_b32 vcc_lo, exec_lo, s0
	s_cbranch_vccnz .LBB127_20
; %bb.2:
	s_load_b32 s0, s[12:13], 0xd3c
	v_cmp_gt_u64_e64 s1, 0x10000, s[16:17]
	v_dual_mov_b32 v29, 0 :: v_dual_lshlrev_b32 v28, 3, v27
	s_mov_b64 s[24:25], 0
	s_waitcnt lgkmcnt(0)
	s_and_b32 s0, s0, 0xffff
	s_delay_alu instid0(VALU_DEP_2)
	s_and_b32 s1, s1, exec_lo
	v_add_co_u32 v32, s3, v27, s0
	v_mad_u64_u32 v[30:31], null, s0, 24, v[28:29]
	s_cselect_b32 s23, s17, 0
	s_cselect_b32 s22, s16, 0x10000
	v_add_co_ci_u32_e64 v33, null, 0, 0, s3
	s_lshl_b32 s3, s0, 4
	s_lshl_b32 s1, s0, 1
	v_add_co_u32 v0, s3, s3, v28
	s_mul_i32 s2, s0, 3
	v_add_co_u32 v38, s1, s1, v27
	v_add_co_u32 v29, s2, s2, v27
	s_delay_alu instid0(VALU_DEP_1)
	v_add_co_ci_u32_e64 v34, null, 0, 0, s2
	v_add_co_ci_u32_e64 v35, null, 0, 0, s3
	v_lshlrev_b32_e32 v36, 3, v32
	v_or_b32_e32 v37, 4, v0
	v_or_b32_e32 v30, 4, v30
	v_add_co_ci_u32_e64 v39, null, 0, 0, s1
	s_lshl_b32 s28, s0, 2
	s_lshl_b32 s29, s0, 5
	s_branch .LBB127_4
.LBB127_3:                              ;   in Loop: Header=BB127_4 Depth=1
	s_or_b32 exec_lo, exec_lo, s11
	s_add_u32 s24, s24, s28
	s_addc_u32 s25, s25, 0
	s_delay_alu instid0(SALU_CYCLE_1) | instskip(SKIP_1) | instid1(VALU_DEP_1)
	v_cmp_lt_i64_e64 s0, s[24:25], s[16:17]
	v_cmp_gt_u64_e64 s1, 0x10000, s[24:25]
	s_and_b32 s0, s0, s1
	s_add_u32 s26, s26, s29
	s_addc_u32 s27, s27, 0
	s_and_b32 vcc_lo, exec_lo, s0
	s_cbranch_vccz .LBB127_20
.LBB127_4:                              ; =>This Inner Loop Header: Depth=1
	s_waitcnt vmcnt(0)
	v_add_co_u32 v0, s0, v27, s24
	s_delay_alu instid0(VALU_DEP_1) | instskip(NEXT) | instid1(VALU_DEP_1)
	v_add_co_ci_u32_e64 v1, null, 0, s25, s0
	v_cmp_gt_u64_e32 vcc_lo, s[22:23], v[0:1]
	v_dual_mov_b32 v1, 0 :: v_dual_mov_b32 v0, 0
	s_and_saveexec_b32 s0, vcc_lo
	s_cbranch_execz .LBB127_6
; %bb.5:                                ;   in Loop: Header=BB127_4 Depth=1
	v_add_co_u32 v0, s1, s26, v28
	s_delay_alu instid0(VALU_DEP_1)
	v_add_co_ci_u32_e64 v1, null, s27, 0, s1
	global_load_b64 v[0:1], v[0:1], off
.LBB127_6:                              ;   in Loop: Header=BB127_4 Depth=1
	s_or_b32 exec_lo, exec_lo, s0
	v_add_co_u32 v2, s0, v32, s24
	s_delay_alu instid0(VALU_DEP_1) | instskip(SKIP_2) | instid1(VALU_DEP_3)
	v_add_co_ci_u32_e64 v3, s0, s25, v33, s0
	v_dual_mov_b32 v22, 0 :: v_dual_mov_b32 v23, 0
	v_mov_b32_e32 v24, 0
	v_cmp_gt_u64_e64 s11, s[22:23], v[2:3]
	s_delay_alu instid0(VALU_DEP_1)
	s_and_saveexec_b32 s0, s11
	s_cbranch_execz .LBB127_8
; %bb.7:                                ;   in Loop: Header=BB127_4 Depth=1
	v_add_co_u32 v2, s1, s26, v36
	s_delay_alu instid0(VALU_DEP_1)
	v_add_co_ci_u32_e64 v3, null, s27, 0, s1
	global_load_b64 v[23:24], v[2:3], off
.LBB127_8:                              ;   in Loop: Header=BB127_4 Depth=1
	s_or_b32 exec_lo, exec_lo, s0
	v_add_co_u32 v2, s0, v38, s24
	s_delay_alu instid0(VALU_DEP_1) | instskip(SKIP_1) | instid1(VALU_DEP_2)
	v_add_co_ci_u32_e64 v3, s0, s25, v39, s0
	v_mov_b32_e32 v21, 0
	v_cmp_gt_u64_e64 s14, s[22:23], v[2:3]
	s_delay_alu instid0(VALU_DEP_1)
	s_and_saveexec_b32 s1, s14
	s_cbranch_execz .LBB127_10
; %bb.9:                                ;   in Loop: Header=BB127_4 Depth=1
	v_add_co_u32 v2, s0, s26, v37
	s_delay_alu instid0(VALU_DEP_1)
	v_add_co_ci_u32_e64 v3, s0, s27, v35, s0
	global_load_b64 v[21:22], v[2:3], off offset:-4
.LBB127_10:                             ;   in Loop: Header=BB127_4 Depth=1
	s_or_b32 exec_lo, exec_lo, s1
	v_add_co_u32 v2, s0, v29, s24
	s_delay_alu instid0(VALU_DEP_1) | instskip(SKIP_1) | instid1(VALU_DEP_2)
	v_add_co_ci_u32_e64 v3, s0, s25, v34, s0
	v_dual_mov_b32 v26, 0 :: v_dual_mov_b32 v25, 0
	v_cmp_gt_u64_e64 s15, s[22:23], v[2:3]
	s_delay_alu instid0(VALU_DEP_1)
	s_and_saveexec_b32 s1, s15
	s_cbranch_execnz .LBB127_15
; %bb.11:                               ;   in Loop: Header=BB127_4 Depth=1
	s_or_b32 exec_lo, exec_lo, s1
	s_and_saveexec_b32 s33, vcc_lo
	s_cbranch_execnz .LBB127_16
.LBB127_12:                             ;   in Loop: Header=BB127_4 Depth=1
	s_or_b32 exec_lo, exec_lo, s33
	s_and_saveexec_b32 s33, s11
	s_cbranch_execnz .LBB127_17
.LBB127_13:                             ;   in Loop: Header=BB127_4 Depth=1
	s_or_b32 exec_lo, exec_lo, s33
	s_and_saveexec_b32 s11, s14
	s_cbranch_execnz .LBB127_18
.LBB127_14:                             ;   in Loop: Header=BB127_4 Depth=1
	s_or_b32 exec_lo, exec_lo, s11
	s_and_saveexec_b32 s11, s15
	s_cbranch_execz .LBB127_3
	s_branch .LBB127_19
.LBB127_15:                             ;   in Loop: Header=BB127_4 Depth=1
	v_add_co_u32 v2, s0, s26, v30
	s_delay_alu instid0(VALU_DEP_1)
	v_add_co_ci_u32_e64 v3, s0, s27, v31, s0
	global_load_b64 v[25:26], v[2:3], off offset:-4
	s_or_b32 exec_lo, exec_lo, s1
	s_and_saveexec_b32 s33, vcc_lo
	s_cbranch_execz .LBB127_12
.LBB127_16:                             ;   in Loop: Header=BB127_4 Depth=1
	s_getpc_b64 s[0:1]
	s_add_u32 s0, s0, _ZN6thrust23THRUST_200600_302600_NS6detail7complex6csinhfERKNS0_7complexIfEE@rel32@lo+4
	s_addc_u32 s1, s1, _ZN6thrust23THRUST_200600_302600_NS6detail7complex6csinhfERKNS0_7complexIfEE@rel32@hi+12
	s_delay_alu instid0(SALU_CYCLE_1) | instskip(SKIP_1) | instid1(VALU_DEP_1)
	s_swappc_b64 s[30:31], s[0:1]
	v_add_co_u32 v2, s0, s26, v28
	v_add_co_ci_u32_e64 v3, null, s27, 0, s0
	global_store_b64 v[2:3], v[0:1], off
	s_or_b32 exec_lo, exec_lo, s33
	s_and_saveexec_b32 s33, s11
	s_cbranch_execz .LBB127_13
.LBB127_17:                             ;   in Loop: Header=BB127_4 Depth=1
	s_waitcnt vmcnt(0)
	v_dual_mov_b32 v0, v23 :: v_dual_mov_b32 v1, v24
	s_getpc_b64 s[0:1]
	s_add_u32 s0, s0, _ZN6thrust23THRUST_200600_302600_NS6detail7complex6csinhfERKNS0_7complexIfEE@rel32@lo+4
	s_addc_u32 s1, s1, _ZN6thrust23THRUST_200600_302600_NS6detail7complex6csinhfERKNS0_7complexIfEE@rel32@hi+12
	s_delay_alu instid0(SALU_CYCLE_1) | instskip(SKIP_1) | instid1(VALU_DEP_1)
	s_swappc_b64 s[30:31], s[0:1]
	v_add_co_u32 v2, s0, s26, v36
	v_add_co_ci_u32_e64 v3, null, s27, 0, s0
	global_store_b64 v[2:3], v[0:1], off
	s_or_b32 exec_lo, exec_lo, s33
	s_and_saveexec_b32 s11, s14
	s_cbranch_execz .LBB127_14
.LBB127_18:                             ;   in Loop: Header=BB127_4 Depth=1
	s_waitcnt vmcnt(0)
	v_dual_mov_b32 v0, v21 :: v_dual_mov_b32 v1, v22
	s_getpc_b64 s[0:1]
	s_add_u32 s0, s0, _ZN6thrust23THRUST_200600_302600_NS6detail7complex6csinhfERKNS0_7complexIfEE@rel32@lo+4
	s_addc_u32 s1, s1, _ZN6thrust23THRUST_200600_302600_NS6detail7complex6csinhfERKNS0_7complexIfEE@rel32@hi+12
	s_delay_alu instid0(SALU_CYCLE_1)
	s_swappc_b64 s[30:31], s[0:1]
	v_add_co_u32 v2, vcc_lo, s26, v37
	v_add_co_ci_u32_e32 v3, vcc_lo, s27, v35, vcc_lo
	global_store_b64 v[2:3], v[0:1], off offset:-4
	s_or_b32 exec_lo, exec_lo, s11
	s_and_saveexec_b32 s11, s15
	s_cbranch_execz .LBB127_3
.LBB127_19:                             ;   in Loop: Header=BB127_4 Depth=1
	s_waitcnt vmcnt(0)
	v_dual_mov_b32 v0, v25 :: v_dual_mov_b32 v1, v26
	s_getpc_b64 s[0:1]
	s_add_u32 s0, s0, _ZN6thrust23THRUST_200600_302600_NS6detail7complex6csinhfERKNS0_7complexIfEE@rel32@lo+4
	s_addc_u32 s1, s1, _ZN6thrust23THRUST_200600_302600_NS6detail7complex6csinhfERKNS0_7complexIfEE@rel32@hi+12
	s_delay_alu instid0(SALU_CYCLE_1)
	s_swappc_b64 s[30:31], s[0:1]
	v_add_co_u32 v2, vcc_lo, s26, v30
	v_add_co_ci_u32_e32 v3, vcc_lo, s27, v31, vcc_lo
	global_store_b64 v[2:3], v[0:1], off offset:-4
	s_branch .LBB127_3
.LBB127_20:
	s_cbranch_execz .LBB127_22
	s_branch .LBB127_25
.LBB127_21:
.LBB127_22:
	v_dual_mov_b32 v30, 0 :: v_dual_lshlrev_b32 v29, 2, v27
	s_mov_b32 s11, 0
	s_mov_b32 s0, exec_lo
	s_delay_alu instid0(VALU_DEP_1)
	v_cmpx_gt_i64_e64 s[16:17], v[29:30]
	s_cbranch_execz .LBB127_25
; %bb.23:
	s_load_b32 s0, s[12:13], 0xd3c
	s_waitcnt vmcnt(0)
	v_lshlrev_b32_e32 v0, 5, v27
	s_waitcnt lgkmcnt(0)
	s_and_b32 s0, s0, 0xffff
	s_delay_alu instid0(SALU_CYCLE_1)
	s_lshl_b32 s12, s0, 2
	s_add_u32 s1, s18, s20
	s_addc_u32 s2, s19, s21
	v_add_co_u32 v31, s1, s1, v0
	v_add_lshl_u32 v29, v27, s0, 2
	v_add_co_ci_u32_e64 v32, null, s2, 0, s1
	s_lshl_b32 s13, s0, 5
.LBB127_24:                             ; =>This Inner Loop Header: Depth=1
	s_clause 0x1
	global_load_b128 v[21:24], v[31:32], off
	global_load_b128 v[25:28], v[31:32], off offset:16
	s_getpc_b64 s[14:15]
	s_add_u32 s14, s14, _ZN6thrust23THRUST_200600_302600_NS6detail7complex6csinhfERKNS0_7complexIfEE@rel32@lo+4
	s_addc_u32 s15, s15, _ZN6thrust23THRUST_200600_302600_NS6detail7complex6csinhfERKNS0_7complexIfEE@rel32@hi+12
	s_waitcnt vmcnt(1)
	v_dual_mov_b32 v0, v21 :: v_dual_mov_b32 v1, v22
	s_swappc_b64 s[30:31], s[14:15]
	s_delay_alu instid0(VALU_DEP_1) | instskip(SKIP_2) | instid1(VALU_DEP_1)
	v_dual_mov_b32 v21, v0 :: v_dual_mov_b32 v22, v1
	v_dual_mov_b32 v0, v23 :: v_dual_mov_b32 v1, v24
	s_swappc_b64 s[30:31], s[14:15]
	v_dual_mov_b32 v23, v0 :: v_dual_mov_b32 v24, v1
	v_dual_mov_b32 v0, v25 :: v_dual_mov_b32 v1, v26
	s_swappc_b64 s[30:31], s[14:15]
	s_delay_alu instid0(VALU_DEP_1) | instskip(SKIP_4) | instid1(VALU_DEP_3)
	v_dual_mov_b32 v25, v0 :: v_dual_mov_b32 v26, v1
	v_dual_mov_b32 v0, v27 :: v_dual_mov_b32 v1, v28
	s_swappc_b64 s[30:31], s[14:15]
	v_cmp_le_i64_e32 vcc_lo, s[16:17], v[29:30]
	v_cmp_lt_u64_e64 s0, 0xffff, v[29:30]
	v_dual_mov_b32 v27, v0 :: v_dual_mov_b32 v28, v1
	v_add_co_u32 v29, s1, v29, s12
	s_delay_alu instid0(VALU_DEP_1)
	v_add_co_ci_u32_e64 v30, s1, 0, v30, s1
	s_clause 0x1
	global_store_b128 v[31:32], v[21:24], off
	global_store_b128 v[31:32], v[25:28], off offset:16
	v_add_co_u32 v31, s1, v31, s13
	s_or_b32 s0, vcc_lo, s0
	v_add_co_ci_u32_e64 v32, vcc_lo, 0, v32, s1
	s_and_b32 s0, exec_lo, s0
	s_delay_alu instid0(SALU_CYCLE_1) | instskip(NEXT) | instid1(SALU_CYCLE_1)
	s_or_b32 s11, s0, s11
	s_and_not1_b32 exec_lo, exec_lo, s11
	s_cbranch_execnz .LBB127_24
.LBB127_25:
	s_endpgm
	.section	.rodata,"a",@progbits
	.p2align	6, 0x0
	.amdhsa_kernel _ZN2at6native12_GLOBAL__N_125multi_tensor_apply_kernelINS1_18TensorListMetadataILi1EEENS1_14UnaryOpFunctorIN3c107complexIfEELi1ELi1ELi0EEEJNS0_4SinhIS8_EEEEEvT_T0_DpT1_
		.amdhsa_group_segment_fixed_size 0
		.amdhsa_private_segment_fixed_size 0
		.amdhsa_kernarg_size 3632
		.amdhsa_user_sgpr_count 15
		.amdhsa_user_sgpr_dispatch_ptr 0
		.amdhsa_user_sgpr_queue_ptr 0
		.amdhsa_user_sgpr_kernarg_segment_ptr 1
		.amdhsa_user_sgpr_dispatch_id 0
		.amdhsa_user_sgpr_private_segment_size 0
		.amdhsa_wavefront_size32 1
		.amdhsa_uses_dynamic_stack 0
		.amdhsa_enable_private_segment 0
		.amdhsa_system_sgpr_workgroup_id_x 1
		.amdhsa_system_sgpr_workgroup_id_y 0
		.amdhsa_system_sgpr_workgroup_id_z 0
		.amdhsa_system_sgpr_workgroup_info 0
		.amdhsa_system_vgpr_workitem_id 0
		.amdhsa_next_free_vgpr 40
		.amdhsa_next_free_sgpr 34
		.amdhsa_reserve_vcc 1
		.amdhsa_float_round_mode_32 0
		.amdhsa_float_round_mode_16_64 0
		.amdhsa_float_denorm_mode_32 3
		.amdhsa_float_denorm_mode_16_64 3
		.amdhsa_dx10_clamp 1
		.amdhsa_ieee_mode 1
		.amdhsa_fp16_overflow 0
		.amdhsa_workgroup_processor_mode 1
		.amdhsa_memory_ordered 1
		.amdhsa_forward_progress 0
		.amdhsa_shared_vgpr_count 0
		.amdhsa_exception_fp_ieee_invalid_op 0
		.amdhsa_exception_fp_denorm_src 0
		.amdhsa_exception_fp_ieee_div_zero 0
		.amdhsa_exception_fp_ieee_overflow 0
		.amdhsa_exception_fp_ieee_underflow 0
		.amdhsa_exception_fp_ieee_inexact 0
		.amdhsa_exception_int_div_zero 0
	.end_amdhsa_kernel
	.section	.text._ZN2at6native12_GLOBAL__N_125multi_tensor_apply_kernelINS1_18TensorListMetadataILi1EEENS1_14UnaryOpFunctorIN3c107complexIfEELi1ELi1ELi0EEEJNS0_4SinhIS8_EEEEEvT_T0_DpT1_,"axG",@progbits,_ZN2at6native12_GLOBAL__N_125multi_tensor_apply_kernelINS1_18TensorListMetadataILi1EEENS1_14UnaryOpFunctorIN3c107complexIfEELi1ELi1ELi0EEEJNS0_4SinhIS8_EEEEEvT_T0_DpT1_,comdat
.Lfunc_end127:
	.size	_ZN2at6native12_GLOBAL__N_125multi_tensor_apply_kernelINS1_18TensorListMetadataILi1EEENS1_14UnaryOpFunctorIN3c107complexIfEELi1ELi1ELi0EEEJNS0_4SinhIS8_EEEEEvT_T0_DpT1_, .Lfunc_end127-_ZN2at6native12_GLOBAL__N_125multi_tensor_apply_kernelINS1_18TensorListMetadataILi1EEENS1_14UnaryOpFunctorIN3c107complexIfEELi1ELi1ELi0EEEJNS0_4SinhIS8_EEEEEvT_T0_DpT1_
                                        ; -- End function
	.section	.AMDGPU.csdata,"",@progbits
; Kernel info:
; codeLenInByte = 1408
; NumSgprs: 36
; NumVgprs: 40
; ScratchSize: 0
; MemoryBound: 0
; FloatMode: 240
; IeeeMode: 1
; LDSByteSize: 0 bytes/workgroup (compile time only)
; SGPRBlocks: 4
; VGPRBlocks: 4
; NumSGPRsForWavesPerEU: 36
; NumVGPRsForWavesPerEU: 40
; Occupancy: 16
; WaveLimiterHint : 0
; COMPUTE_PGM_RSRC2:SCRATCH_EN: 0
; COMPUTE_PGM_RSRC2:USER_SGPR: 15
; COMPUTE_PGM_RSRC2:TRAP_HANDLER: 0
; COMPUTE_PGM_RSRC2:TGID_X_EN: 1
; COMPUTE_PGM_RSRC2:TGID_Y_EN: 0
; COMPUTE_PGM_RSRC2:TGID_Z_EN: 0
; COMPUTE_PGM_RSRC2:TIDIG_COMP_CNT: 0
	.section	.text._ZN2at6native12_GLOBAL__N_125multi_tensor_apply_kernelINS1_18TensorListMetadataILi1EEENS1_14UnaryOpFunctorIN3c104HalfELi1ELi1ELi0EEEJNS0_4SinhIfEEEEEvT_T0_DpT1_,"axG",@progbits,_ZN2at6native12_GLOBAL__N_125multi_tensor_apply_kernelINS1_18TensorListMetadataILi1EEENS1_14UnaryOpFunctorIN3c104HalfELi1ELi1ELi0EEEJNS0_4SinhIfEEEEEvT_T0_DpT1_,comdat
	.globl	_ZN2at6native12_GLOBAL__N_125multi_tensor_apply_kernelINS1_18TensorListMetadataILi1EEENS1_14UnaryOpFunctorIN3c104HalfELi1ELi1ELi0EEEJNS0_4SinhIfEEEEEvT_T0_DpT1_ ; -- Begin function _ZN2at6native12_GLOBAL__N_125multi_tensor_apply_kernelINS1_18TensorListMetadataILi1EEENS1_14UnaryOpFunctorIN3c104HalfELi1ELi1ELi0EEEJNS0_4SinhIfEEEEEvT_T0_DpT1_
	.p2align	8
	.type	_ZN2at6native12_GLOBAL__N_125multi_tensor_apply_kernelINS1_18TensorListMetadataILi1EEENS1_14UnaryOpFunctorIN3c104HalfELi1ELi1ELi0EEEJNS0_4SinhIfEEEEEvT_T0_DpT1_,@function
_ZN2at6native12_GLOBAL__N_125multi_tensor_apply_kernelINS1_18TensorListMetadataILi1EEENS1_14UnaryOpFunctorIN3c104HalfELi1ELi1ELi0EEEJNS0_4SinhIfEEEEEvT_T0_DpT1_: ; @_ZN2at6native12_GLOBAL__N_125multi_tensor_apply_kernelINS1_18TensorListMetadataILi1EEENS1_14UnaryOpFunctorIN3c104HalfELi1ELi1ELi0EEEJNS0_4SinhIfEEEEEvT_T0_DpT1_
; %bb.0:
	v_mov_b32_e32 v1, s15
	s_add_u32 s2, s0, s15
	s_mul_hi_u32 s3, s15, 3
	s_mul_i32 s15, s15, 3
	s_addc_u32 s4, s1, 0
	global_load_u8 v1, v1, s[0:1] offset:1760
	s_add_u32 s2, s2, s15
	s_addc_u32 s3, s4, s3
	s_mov_b32 s13, 0
	s_load_b32 s2, s[2:3], 0x820
	s_waitcnt vmcnt(0)
	v_readfirstlane_b32 s5, v1
	s_delay_alu instid0(VALU_DEP_1)
	s_lshl_b32 s3, s5, 3
	s_clause 0x1
	s_load_b64 s[8:9], s[0:1], s3 offset:0x0
	s_load_b64 s[4:5], s[0:1], s3 offset:0x370
	s_waitcnt lgkmcnt(0)
	s_ashr_i32 s3, s2, 31
	s_delay_alu instid0(SALU_CYCLE_1)
	s_lshl_b64 s[10:11], s[2:3], 17
	s_lshl_b64 s[2:3], s[2:3], 16
	s_and_b32 s12, s8, 7
	s_sub_u32 s6, s4, s2
	s_subb_u32 s7, s5, s3
	s_and_b32 s2, s4, 3
	s_mov_b32 s3, s13
	s_delay_alu instid0(SALU_CYCLE_1) | instskip(NEXT) | instid1(SALU_CYCLE_1)
	s_or_b64 s[2:3], s[12:13], s[2:3]
	s_cmp_eq_u64 s[2:3], 0
	s_cbranch_scc1 .LBB128_21
; %bb.1:
	v_cmp_lt_i64_e64 s2, s[6:7], 1
	s_delay_alu instid0(VALU_DEP_1)
	s_and_b32 vcc_lo, exec_lo, s2
	s_cbranch_vccnz .LBB128_20
; %bb.2:
	s_load_b32 s2, s[0:1], 0xd3c
	v_cmp_gt_u64_e64 s3, 0x10000, s[6:7]
	v_lshlrev_b32_e32 v1, 1, v0
	s_mov_b32 s19, 0x3ab42872
	s_waitcnt lgkmcnt(0)
	s_and_b32 s2, s2, 0xffff
	s_delay_alu instid0(VALU_DEP_2)
	s_and_b32 s3, s3, exec_lo
	v_add_co_u32 v5, s5, v0, s2
	s_cselect_b32 s13, s7, 0
	s_cselect_b32 s12, s6, 0x10000
	s_lshl_b32 s3, s2, 1
	s_lshl_b32 s16, s2, 2
	v_lshlrev_b32_e32 v3, 1, v5
	v_add_co_ci_u32_e64 v6, null, 0, 0, s5
	s_add_u32 s5, s8, s10
	v_add_co_u32 v9, s3, s3, v0
	s_mul_i32 s4, s2, 3
	s_addc_u32 s14, s9, s11
	v_add_co_ci_u32_e64 v10, null, 0, 0, s3
	v_add_co_u32 v1, s3, s5, v1
	v_add_co_u32 v7, s4, s4, v0
	v_add_co_ci_u32_e64 v2, null, s14, 0, s3
	v_add_co_u32 v3, s3, s5, v3
	v_add_co_ci_u32_e64 v8, null, 0, 0, s4
	v_add_co_ci_u32_e64 v4, null, s14, 0, s3
	s_lshl_b32 s17, s2, 3
	s_mul_i32 s18, s2, 6
	s_mov_b64 s[14:15], 0
	s_branch .LBB128_4
.LBB128_3:                              ;   in Loop: Header=BB128_4 Depth=1
	s_or_b32 exec_lo, exec_lo, s2
	s_add_u32 s14, s14, s16
	s_addc_u32 s15, s15, 0
	v_add_co_u32 v1, vcc_lo, v1, s17
	v_cmp_lt_i64_e64 s2, s[14:15], s[6:7]
	v_cmp_gt_u64_e64 s3, 0x10000, s[14:15]
	v_add_co_ci_u32_e32 v2, vcc_lo, 0, v2, vcc_lo
	v_add_co_u32 v3, vcc_lo, v3, s17
	v_add_co_ci_u32_e32 v4, vcc_lo, 0, v4, vcc_lo
	s_delay_alu instid0(VALU_DEP_4) | instskip(NEXT) | instid1(SALU_CYCLE_1)
	s_and_b32 s2, s2, s3
	s_and_b32 vcc_lo, exec_lo, s2
	s_cbranch_vccz .LBB128_20
.LBB128_4:                              ; =>This Inner Loop Header: Depth=1
	s_waitcnt vmcnt(0)
	v_add_co_u32 v11, s2, v0, s14
	s_delay_alu instid0(VALU_DEP_1) | instskip(SKIP_1) | instid1(VALU_DEP_2)
	v_add_co_ci_u32_e64 v12, null, 0, s15, s2
	v_mov_b32_e32 v14, 0
	v_cmp_gt_u64_e64 s4, s[12:13], v[11:12]
	s_delay_alu instid0(VALU_DEP_1)
	s_and_saveexec_b32 s2, s4
	s_cbranch_execz .LBB128_6
; %bb.5:                                ;   in Loop: Header=BB128_4 Depth=1
	global_load_u16 v14, v[1:2], off
.LBB128_6:                              ;   in Loop: Header=BB128_4 Depth=1
	s_or_b32 exec_lo, exec_lo, s2
	v_add_co_u32 v11, vcc_lo, v5, s14
	v_add_co_ci_u32_e32 v12, vcc_lo, s15, v6, vcc_lo
	v_mov_b32_e32 v13, 0
	s_delay_alu instid0(VALU_DEP_2) | instskip(NEXT) | instid1(VALU_DEP_1)
	v_cmp_gt_u64_e64 s3, s[12:13], v[11:12]
	s_and_saveexec_b32 s2, s3
	s_cbranch_execz .LBB128_8
; %bb.7:                                ;   in Loop: Header=BB128_4 Depth=1
	global_load_u16 v13, v[3:4], off
.LBB128_8:                              ;   in Loop: Header=BB128_4 Depth=1
	s_or_b32 exec_lo, exec_lo, s2
	v_add_co_u32 v11, vcc_lo, v9, s14
	v_add_co_ci_u32_e32 v12, vcc_lo, s15, v10, vcc_lo
	s_delay_alu instid0(VALU_DEP_1) | instskip(SKIP_1) | instid1(VALU_DEP_2)
	v_cmp_gt_u64_e64 s2, s[12:13], v[11:12]
	v_dual_mov_b32 v11, 0 :: v_dual_mov_b32 v12, 0
	s_and_saveexec_b32 s5, s2
	s_cbranch_execz .LBB128_10
; %bb.9:                                ;   in Loop: Header=BB128_4 Depth=1
	v_add_co_u32 v15, vcc_lo, v1, s16
	v_add_co_ci_u32_e32 v16, vcc_lo, 0, v2, vcc_lo
	global_load_u16 v12, v[15:16], off
.LBB128_10:                             ;   in Loop: Header=BB128_4 Depth=1
	s_or_b32 exec_lo, exec_lo, s5
	v_add_co_u32 v15, vcc_lo, v7, s14
	v_add_co_ci_u32_e32 v16, vcc_lo, s15, v8, vcc_lo
	s_delay_alu instid0(VALU_DEP_1)
	v_cmp_gt_u64_e32 vcc_lo, s[12:13], v[15:16]
	s_and_saveexec_b32 s20, vcc_lo
	s_cbranch_execnz .LBB128_15
; %bb.11:                               ;   in Loop: Header=BB128_4 Depth=1
	s_or_b32 exec_lo, exec_lo, s20
	s_and_saveexec_b32 s5, s4
	s_cbranch_execnz .LBB128_16
.LBB128_12:                             ;   in Loop: Header=BB128_4 Depth=1
	s_or_b32 exec_lo, exec_lo, s5
	s_and_saveexec_b32 s4, s3
	s_cbranch_execnz .LBB128_17
.LBB128_13:                             ;   in Loop: Header=BB128_4 Depth=1
	s_or_b32 exec_lo, exec_lo, s4
	s_and_saveexec_b32 s3, s2
	s_cbranch_execnz .LBB128_18
.LBB128_14:                             ;   in Loop: Header=BB128_4 Depth=1
	s_or_b32 exec_lo, exec_lo, s3
	s_and_saveexec_b32 s2, vcc_lo
	s_cbranch_execz .LBB128_3
	s_branch .LBB128_19
.LBB128_15:                             ;   in Loop: Header=BB128_4 Depth=1
	v_add_co_u32 v15, s5, v1, s18
	s_delay_alu instid0(VALU_DEP_1)
	v_add_co_ci_u32_e64 v16, s5, 0, v2, s5
	global_load_u16 v11, v[15:16], off
	s_or_b32 exec_lo, exec_lo, s20
	s_and_saveexec_b32 s5, s4
	s_cbranch_execz .LBB128_12
.LBB128_16:                             ;   in Loop: Header=BB128_4 Depth=1
	s_waitcnt vmcnt(0)
	v_cvt_f32_f16_e32 v15, v14
	s_delay_alu instid0(VALU_DEP_1) | instskip(SKIP_1) | instid1(VALU_DEP_2)
	v_add_f32_e64 v16, 0xbf317218, |v15|
	v_cmp_nlt_f32_e64 s4, 0x42b2d4fc, |v15|
	v_sub_f32_e64 v17, v16, |v15|
	s_delay_alu instid0(VALU_DEP_1) | instskip(NEXT) | instid1(VALU_DEP_1)
	v_dual_sub_f32 v18, v17, v16 :: v_dual_add_f32 v17, 0x3f317218, v17
	v_add_f32_e64 v18, |v15|, v18
	s_delay_alu instid0(VALU_DEP_1) | instskip(NEXT) | instid1(VALU_DEP_1)
	v_sub_f32_e32 v17, v18, v17
	v_add_f32_e32 v17, 0x3102e308, v17
	s_delay_alu instid0(VALU_DEP_1) | instskip(NEXT) | instid1(VALU_DEP_1)
	v_add_f32_e32 v18, v16, v17
	v_sub_f32_e32 v16, v16, v18
	s_delay_alu instid0(VALU_DEP_1) | instskip(NEXT) | instid1(VALU_DEP_1)
	v_dual_mul_f32 v19, 0x3fb8aa3b, v18 :: v_dual_add_f32 v16, v17, v16
	v_rndne_f32_e32 v19, v19
	s_delay_alu instid0(VALU_DEP_1) | instskip(SKIP_1) | instid1(VALU_DEP_1)
	v_mul_f32_e32 v17, 0x35bfbc00, v19
	v_fmac_f32_e32 v18, 0xbf317200, v19
	v_add_f32_e32 v20, v16, v18
	s_delay_alu instid0(VALU_DEP_1) | instskip(NEXT) | instid1(VALU_DEP_1)
	v_dual_sub_f32 v21, v20, v17 :: v_dual_sub_f32 v18, v18, v20
	v_sub_f32_e32 v20, v20, v21
	s_delay_alu instid0(VALU_DEP_1) | instskip(NEXT) | instid1(VALU_DEP_3)
	v_sub_f32_e32 v17, v20, v17
	v_add_f32_e32 v16, v16, v18
	s_delay_alu instid0(VALU_DEP_1) | instskip(NEXT) | instid1(VALU_DEP_1)
	v_dual_add_f32 v16, v16, v17 :: v_dual_mul_f32 v17, 0x2ea39ef3, v19
	v_add_f32_e32 v18, v21, v16
	s_delay_alu instid0(VALU_DEP_1) | instskip(NEXT) | instid1(VALU_DEP_1)
	v_dual_sub_f32 v20, v18, v17 :: v_dual_sub_f32 v21, v21, v18
	v_sub_f32_e32 v18, v18, v20
	s_delay_alu instid0(VALU_DEP_2) | instskip(NEXT) | instid1(VALU_DEP_2)
	v_add_f32_e32 v16, v16, v21
	v_sub_f32_e32 v17, v18, v17
	s_delay_alu instid0(VALU_DEP_1) | instskip(NEXT) | instid1(VALU_DEP_1)
	v_add_f32_e32 v16, v16, v17
	v_add_f32_e32 v17, v20, v16
	s_delay_alu instid0(VALU_DEP_1) | instskip(SKIP_1) | instid1(VALU_DEP_2)
	v_sub_f32_e32 v18, v20, v17
	v_mul_f32_e32 v20, v17, v17
	v_add_f32_e32 v16, v16, v18
	v_fmaak_f32 v18, s19, v17, 0x3c091de6
	s_delay_alu instid0(VALU_DEP_3) | instskip(NEXT) | instid1(VALU_DEP_3)
	v_fma_f32 v21, v17, v17, -v20
	v_add_f32_e32 v22, v16, v16
	s_delay_alu instid0(VALU_DEP_3) | instskip(NEXT) | instid1(VALU_DEP_2)
	v_fmaak_f32 v18, v17, v18, 0x3d2aadcc
	v_fmac_f32_e32 v21, v17, v22
	s_delay_alu instid0(VALU_DEP_2) | instskip(NEXT) | instid1(VALU_DEP_2)
	v_fmaak_f32 v18, v17, v18, 0x3e2aaa47
	v_add_f32_e32 v22, v20, v21
	s_delay_alu instid0(VALU_DEP_2) | instskip(NEXT) | instid1(VALU_DEP_2)
	v_fmaak_f32 v18, v17, v18, 0x3efffffc
	v_sub_f32_e32 v20, v22, v20
	s_delay_alu instid0(VALU_DEP_1) | instskip(NEXT) | instid1(VALU_DEP_1)
	v_dual_mul_f32 v23, v18, v22 :: v_dual_sub_f32 v20, v21, v20
	v_fma_f32 v21, v22, v18, -v23
	s_delay_alu instid0(VALU_DEP_1) | instskip(NEXT) | instid1(VALU_DEP_1)
	v_fmac_f32_e32 v21, v20, v18
	v_add_f32_e32 v18, v23, v21
	s_delay_alu instid0(VALU_DEP_1) | instskip(SKIP_1) | instid1(VALU_DEP_1)
	v_sub_f32_e32 v20, v18, v23
	v_add_f32_e32 v22, v17, v18
	v_dual_sub_f32 v20, v21, v20 :: v_dual_sub_f32 v17, v22, v17
	s_delay_alu instid0(VALU_DEP_1) | instskip(NEXT) | instid1(VALU_DEP_1)
	v_dual_sub_f32 v17, v18, v17 :: v_dual_add_f32 v16, v16, v20
	v_add_f32_e32 v16, v16, v17
	s_delay_alu instid0(VALU_DEP_1) | instskip(NEXT) | instid1(VALU_DEP_1)
	v_add_f32_e32 v17, v22, v16
	v_add_f32_e32 v18, 1.0, v17
	v_sub_f32_e32 v20, v17, v22
	s_delay_alu instid0(VALU_DEP_1) | instskip(NEXT) | instid1(VALU_DEP_1)
	v_dual_add_f32 v21, -1.0, v18 :: v_dual_sub_f32 v16, v16, v20
	v_sub_f32_e32 v17, v17, v21
	s_delay_alu instid0(VALU_DEP_1) | instskip(SKIP_1) | instid1(VALU_DEP_2)
	v_add_f32_e32 v16, v16, v17
	v_cvt_i32_f32_e32 v17, v19
	v_add_f32_e32 v19, v18, v16
	s_delay_alu instid0(VALU_DEP_1) | instskip(NEXT) | instid1(VALU_DEP_1)
	v_ldexp_f32 v20, v19, v17
	v_rcp_f32_e32 v21, v20
	v_sub_f32_e32 v18, v19, v18
	s_delay_alu instid0(VALU_DEP_1) | instskip(SKIP_3) | instid1(VALU_DEP_2)
	v_sub_f32_e32 v16, v16, v18
	s_waitcnt_depctr 0xfff
	v_mul_f32_e32 v18, v20, v21
	v_ldexp_f32 v16, v16, v17
	v_fma_f32 v17, v21, v20, -v18
	s_delay_alu instid0(VALU_DEP_1) | instskip(NEXT) | instid1(VALU_DEP_1)
	v_fmac_f32_e32 v17, v21, v16
	v_add_f32_e32 v19, v18, v17
	s_delay_alu instid0(VALU_DEP_1) | instskip(SKIP_1) | instid1(VALU_DEP_2)
	v_sub_f32_e32 v22, 1.0, v19
	v_sub_f32_e32 v18, v19, v18
	v_sub_f32_e32 v23, 1.0, v22
	s_delay_alu instid0(VALU_DEP_1) | instskip(NEXT) | instid1(VALU_DEP_1)
	v_dual_sub_f32 v17, v18, v17 :: v_dual_sub_f32 v18, v23, v19
	v_add_f32_e32 v17, v17, v18
	s_delay_alu instid0(VALU_DEP_1) | instskip(NEXT) | instid1(VALU_DEP_1)
	v_add_f32_e32 v18, v22, v17
	v_mul_f32_e32 v19, v21, v18
	s_delay_alu instid0(VALU_DEP_1) | instskip(NEXT) | instid1(VALU_DEP_1)
	v_dual_sub_f32 v22, v22, v18 :: v_dual_mul_f32 v23, v20, v19
	v_add_f32_e32 v17, v17, v22
	s_delay_alu instid0(VALU_DEP_2) | instskip(NEXT) | instid1(VALU_DEP_1)
	v_fma_f32 v24, v19, v20, -v23
	v_fmac_f32_e32 v24, v19, v16
	s_delay_alu instid0(VALU_DEP_1) | instskip(NEXT) | instid1(VALU_DEP_1)
	v_add_f32_e32 v25, v23, v24
	v_sub_f32_e32 v26, v18, v25
	v_sub_f32_e32 v22, v25, v23
	s_delay_alu instid0(VALU_DEP_2) | instskip(NEXT) | instid1(VALU_DEP_2)
	v_sub_f32_e32 v18, v18, v26
	v_sub_f32_e32 v22, v22, v24
	s_delay_alu instid0(VALU_DEP_2) | instskip(NEXT) | instid1(VALU_DEP_1)
	v_sub_f32_e32 v18, v18, v25
	v_add_f32_e32 v17, v17, v18
	s_delay_alu instid0(VALU_DEP_1) | instskip(NEXT) | instid1(VALU_DEP_1)
	v_dual_add_f32 v18, v21, v19 :: v_dual_add_f32 v17, v22, v17
	v_sub_f32_e32 v22, v18, v21
	s_delay_alu instid0(VALU_DEP_2) | instskip(NEXT) | instid1(VALU_DEP_2)
	v_add_f32_e32 v17, v26, v17
	v_sub_f32_e32 v19, v19, v22
	s_delay_alu instid0(VALU_DEP_2) | instskip(NEXT) | instid1(VALU_DEP_1)
	v_mul_f32_e32 v17, v21, v17
	v_add_f32_e32 v17, v19, v17
	s_delay_alu instid0(VALU_DEP_1) | instskip(NEXT) | instid1(VALU_DEP_1)
	v_add_f32_e32 v19, v18, v17
	v_ldexp_f32 v21, v19, -2
	v_sub_f32_e32 v18, v19, v18
	s_delay_alu instid0(VALU_DEP_1) | instskip(NEXT) | instid1(VALU_DEP_1)
	v_dual_sub_f32 v22, v20, v21 :: v_dual_sub_f32 v17, v17, v18
	v_sub_f32_e32 v20, v20, v22
	s_delay_alu instid0(VALU_DEP_2) | instskip(NEXT) | instid1(VALU_DEP_2)
	v_ldexp_f32 v17, v17, -2
	v_sub_f32_e32 v19, v20, v21
	s_delay_alu instid0(VALU_DEP_1) | instskip(NEXT) | instid1(VALU_DEP_1)
	v_add_f32_e32 v16, v16, v19
	v_sub_f32_e32 v16, v16, v17
	s_delay_alu instid0(VALU_DEP_1) | instskip(NEXT) | instid1(VALU_DEP_1)
	v_add_f32_e32 v16, v22, v16
	v_cndmask_b32_e64 v16, 0x7f800000, v16, s4
	v_cmp_gt_f32_e64 s4, 0x39800000, |v15|
	s_delay_alu instid0(VALU_DEP_1) | instskip(NEXT) | instid1(VALU_DEP_1)
	v_cndmask_b32_e64 v15, v16, |v15|, s4
	v_cvt_f16_f32_e32 v15, v15
	s_delay_alu instid0(VALU_DEP_1)
	v_bfi_b32 v14, 0x7fff, v15, v14
	global_store_b16 v[1:2], v14, off
	s_or_b32 exec_lo, exec_lo, s5
	s_and_saveexec_b32 s4, s3
	s_cbranch_execz .LBB128_13
.LBB128_17:                             ;   in Loop: Header=BB128_4 Depth=1
	s_waitcnt vmcnt(0)
	v_cvt_f32_f16_e32 v14, v13
	s_delay_alu instid0(VALU_DEP_1) | instskip(SKIP_1) | instid1(VALU_DEP_2)
	v_add_f32_e64 v15, 0xbf317218, |v14|
	v_cmp_nlt_f32_e64 s3, 0x42b2d4fc, |v14|
	v_sub_f32_e64 v16, v15, |v14|
	s_delay_alu instid0(VALU_DEP_1) | instskip(NEXT) | instid1(VALU_DEP_1)
	v_dual_sub_f32 v17, v16, v15 :: v_dual_add_f32 v16, 0x3f317218, v16
	v_add_f32_e64 v17, |v14|, v17
	s_delay_alu instid0(VALU_DEP_1) | instskip(NEXT) | instid1(VALU_DEP_1)
	v_sub_f32_e32 v16, v17, v16
	v_add_f32_e32 v16, 0x3102e308, v16
	s_delay_alu instid0(VALU_DEP_1) | instskip(NEXT) | instid1(VALU_DEP_1)
	v_add_f32_e32 v17, v15, v16
	v_sub_f32_e32 v15, v15, v17
	s_delay_alu instid0(VALU_DEP_1) | instskip(NEXT) | instid1(VALU_DEP_1)
	v_dual_mul_f32 v18, 0x3fb8aa3b, v17 :: v_dual_add_f32 v15, v16, v15
	v_rndne_f32_e32 v18, v18
	s_delay_alu instid0(VALU_DEP_1) | instskip(SKIP_1) | instid1(VALU_DEP_1)
	v_mul_f32_e32 v16, 0x35bfbc00, v18
	v_fmac_f32_e32 v17, 0xbf317200, v18
	v_add_f32_e32 v19, v15, v17
	s_delay_alu instid0(VALU_DEP_1) | instskip(NEXT) | instid1(VALU_DEP_1)
	v_dual_sub_f32 v20, v19, v16 :: v_dual_sub_f32 v17, v17, v19
	v_sub_f32_e32 v19, v19, v20
	s_delay_alu instid0(VALU_DEP_1) | instskip(NEXT) | instid1(VALU_DEP_3)
	v_sub_f32_e32 v16, v19, v16
	v_add_f32_e32 v15, v15, v17
	s_delay_alu instid0(VALU_DEP_1) | instskip(NEXT) | instid1(VALU_DEP_1)
	v_dual_add_f32 v15, v15, v16 :: v_dual_mul_f32 v16, 0x2ea39ef3, v18
	v_add_f32_e32 v17, v20, v15
	s_delay_alu instid0(VALU_DEP_1) | instskip(NEXT) | instid1(VALU_DEP_1)
	v_dual_sub_f32 v19, v17, v16 :: v_dual_sub_f32 v20, v20, v17
	v_sub_f32_e32 v17, v17, v19
	s_delay_alu instid0(VALU_DEP_2) | instskip(NEXT) | instid1(VALU_DEP_2)
	v_add_f32_e32 v15, v15, v20
	v_sub_f32_e32 v16, v17, v16
	s_delay_alu instid0(VALU_DEP_1) | instskip(NEXT) | instid1(VALU_DEP_1)
	v_add_f32_e32 v15, v15, v16
	v_add_f32_e32 v16, v19, v15
	s_delay_alu instid0(VALU_DEP_1) | instskip(SKIP_1) | instid1(VALU_DEP_2)
	v_sub_f32_e32 v17, v19, v16
	v_mul_f32_e32 v19, v16, v16
	v_add_f32_e32 v15, v15, v17
	v_fmaak_f32 v17, s19, v16, 0x3c091de6
	s_delay_alu instid0(VALU_DEP_3) | instskip(NEXT) | instid1(VALU_DEP_3)
	v_fma_f32 v20, v16, v16, -v19
	v_add_f32_e32 v21, v15, v15
	s_delay_alu instid0(VALU_DEP_3) | instskip(NEXT) | instid1(VALU_DEP_2)
	v_fmaak_f32 v17, v16, v17, 0x3d2aadcc
	v_fmac_f32_e32 v20, v16, v21
	s_delay_alu instid0(VALU_DEP_2) | instskip(NEXT) | instid1(VALU_DEP_2)
	v_fmaak_f32 v17, v16, v17, 0x3e2aaa47
	v_add_f32_e32 v21, v19, v20
	s_delay_alu instid0(VALU_DEP_2) | instskip(NEXT) | instid1(VALU_DEP_2)
	v_fmaak_f32 v17, v16, v17, 0x3efffffc
	v_sub_f32_e32 v19, v21, v19
	s_delay_alu instid0(VALU_DEP_1) | instskip(NEXT) | instid1(VALU_DEP_1)
	v_dual_mul_f32 v22, v17, v21 :: v_dual_sub_f32 v19, v20, v19
	v_fma_f32 v20, v21, v17, -v22
	s_delay_alu instid0(VALU_DEP_1) | instskip(NEXT) | instid1(VALU_DEP_1)
	v_fmac_f32_e32 v20, v19, v17
	v_add_f32_e32 v17, v22, v20
	s_delay_alu instid0(VALU_DEP_1) | instskip(SKIP_1) | instid1(VALU_DEP_2)
	v_sub_f32_e32 v21, v17, v22
	v_add_f32_e32 v19, v16, v17
	v_sub_f32_e32 v20, v20, v21
	s_delay_alu instid0(VALU_DEP_2) | instskip(NEXT) | instid1(VALU_DEP_1)
	v_sub_f32_e32 v16, v19, v16
	v_sub_f32_e32 v16, v17, v16
	s_delay_alu instid0(VALU_DEP_3) | instskip(NEXT) | instid1(VALU_DEP_1)
	v_add_f32_e32 v15, v15, v20
	v_add_f32_e32 v15, v15, v16
	s_delay_alu instid0(VALU_DEP_1) | instskip(NEXT) | instid1(VALU_DEP_1)
	v_add_f32_e32 v16, v19, v15
	v_add_f32_e32 v17, 1.0, v16
	s_delay_alu instid0(VALU_DEP_1) | instskip(NEXT) | instid1(VALU_DEP_1)
	v_dual_sub_f32 v19, v16, v19 :: v_dual_add_f32 v20, -1.0, v17
	v_dual_sub_f32 v15, v15, v19 :: v_dual_sub_f32 v16, v16, v20
	s_delay_alu instid0(VALU_DEP_1) | instskip(SKIP_1) | instid1(VALU_DEP_2)
	v_add_f32_e32 v15, v15, v16
	v_cvt_i32_f32_e32 v16, v18
	v_add_f32_e32 v18, v17, v15
	s_delay_alu instid0(VALU_DEP_1) | instskip(NEXT) | instid1(VALU_DEP_1)
	v_ldexp_f32 v19, v18, v16
	v_rcp_f32_e32 v20, v19
	v_sub_f32_e32 v17, v18, v17
	s_delay_alu instid0(VALU_DEP_1) | instskip(SKIP_3) | instid1(VALU_DEP_2)
	v_sub_f32_e32 v15, v15, v17
	s_waitcnt_depctr 0xfff
	v_mul_f32_e32 v17, v19, v20
	v_ldexp_f32 v15, v15, v16
	v_fma_f32 v16, v20, v19, -v17
	s_delay_alu instid0(VALU_DEP_1) | instskip(NEXT) | instid1(VALU_DEP_1)
	v_fmac_f32_e32 v16, v20, v15
	v_add_f32_e32 v18, v17, v16
	s_delay_alu instid0(VALU_DEP_1) | instskip(SKIP_1) | instid1(VALU_DEP_2)
	v_sub_f32_e32 v21, 1.0, v18
	v_sub_f32_e32 v17, v18, v17
	v_sub_f32_e32 v22, 1.0, v21
	s_delay_alu instid0(VALU_DEP_1) | instskip(NEXT) | instid1(VALU_DEP_1)
	v_dual_sub_f32 v16, v17, v16 :: v_dual_sub_f32 v17, v22, v18
	v_add_f32_e32 v16, v16, v17
	s_delay_alu instid0(VALU_DEP_1) | instskip(NEXT) | instid1(VALU_DEP_1)
	v_add_f32_e32 v17, v21, v16
	v_mul_f32_e32 v18, v20, v17
	s_delay_alu instid0(VALU_DEP_1) | instskip(NEXT) | instid1(VALU_DEP_1)
	v_dual_sub_f32 v21, v21, v17 :: v_dual_mul_f32 v22, v19, v18
	v_add_f32_e32 v16, v16, v21
	s_delay_alu instid0(VALU_DEP_2) | instskip(NEXT) | instid1(VALU_DEP_1)
	v_fma_f32 v23, v18, v19, -v22
	v_fmac_f32_e32 v23, v18, v15
	s_delay_alu instid0(VALU_DEP_1) | instskip(NEXT) | instid1(VALU_DEP_1)
	v_add_f32_e32 v24, v22, v23
	v_sub_f32_e32 v25, v17, v24
	v_sub_f32_e32 v21, v24, v22
	s_delay_alu instid0(VALU_DEP_2) | instskip(NEXT) | instid1(VALU_DEP_2)
	v_sub_f32_e32 v17, v17, v25
	v_sub_f32_e32 v21, v21, v23
	s_delay_alu instid0(VALU_DEP_2) | instskip(NEXT) | instid1(VALU_DEP_1)
	v_sub_f32_e32 v17, v17, v24
	v_add_f32_e32 v16, v16, v17
	s_delay_alu instid0(VALU_DEP_1) | instskip(NEXT) | instid1(VALU_DEP_1)
	v_dual_add_f32 v17, v20, v18 :: v_dual_add_f32 v16, v21, v16
	v_sub_f32_e32 v21, v17, v20
	s_delay_alu instid0(VALU_DEP_2) | instskip(NEXT) | instid1(VALU_DEP_2)
	v_add_f32_e32 v16, v25, v16
	v_sub_f32_e32 v18, v18, v21
	s_delay_alu instid0(VALU_DEP_2) | instskip(NEXT) | instid1(VALU_DEP_1)
	v_mul_f32_e32 v16, v20, v16
	v_add_f32_e32 v16, v18, v16
	s_delay_alu instid0(VALU_DEP_1) | instskip(NEXT) | instid1(VALU_DEP_1)
	v_add_f32_e32 v18, v17, v16
	v_ldexp_f32 v20, v18, -2
	v_sub_f32_e32 v17, v18, v17
	s_delay_alu instid0(VALU_DEP_1) | instskip(NEXT) | instid1(VALU_DEP_1)
	v_dual_sub_f32 v21, v19, v20 :: v_dual_sub_f32 v16, v16, v17
	v_sub_f32_e32 v18, v19, v21
	s_delay_alu instid0(VALU_DEP_2) | instskip(NEXT) | instid1(VALU_DEP_2)
	v_ldexp_f32 v16, v16, -2
	v_sub_f32_e32 v17, v18, v20
	s_delay_alu instid0(VALU_DEP_1) | instskip(NEXT) | instid1(VALU_DEP_1)
	v_add_f32_e32 v15, v15, v17
	v_sub_f32_e32 v15, v15, v16
	s_delay_alu instid0(VALU_DEP_1) | instskip(NEXT) | instid1(VALU_DEP_1)
	v_add_f32_e32 v15, v21, v15
	v_cndmask_b32_e64 v15, 0x7f800000, v15, s3
	v_cmp_gt_f32_e64 s3, 0x39800000, |v14|
	s_delay_alu instid0(VALU_DEP_1) | instskip(NEXT) | instid1(VALU_DEP_1)
	v_cndmask_b32_e64 v14, v15, |v14|, s3
	v_cvt_f16_f32_e32 v14, v14
	s_delay_alu instid0(VALU_DEP_1)
	v_bfi_b32 v13, 0x7fff, v14, v13
	global_store_b16 v[3:4], v13, off
	s_or_b32 exec_lo, exec_lo, s4
	s_and_saveexec_b32 s3, s2
	s_cbranch_execz .LBB128_14
.LBB128_18:                             ;   in Loop: Header=BB128_4 Depth=1
	s_waitcnt vmcnt(0)
	v_cvt_f32_f16_e32 v13, v12
	s_delay_alu instid0(VALU_DEP_1) | instskip(SKIP_1) | instid1(VALU_DEP_2)
	v_add_f32_e64 v14, 0xbf317218, |v13|
	v_cmp_nlt_f32_e64 s2, 0x42b2d4fc, |v13|
	v_sub_f32_e64 v15, v14, |v13|
	s_delay_alu instid0(VALU_DEP_1) | instskip(NEXT) | instid1(VALU_DEP_1)
	v_dual_sub_f32 v16, v15, v14 :: v_dual_add_f32 v15, 0x3f317218, v15
	v_add_f32_e64 v16, |v13|, v16
	s_delay_alu instid0(VALU_DEP_1) | instskip(NEXT) | instid1(VALU_DEP_1)
	v_sub_f32_e32 v15, v16, v15
	v_add_f32_e32 v15, 0x3102e308, v15
	s_delay_alu instid0(VALU_DEP_1) | instskip(NEXT) | instid1(VALU_DEP_1)
	v_add_f32_e32 v16, v14, v15
	v_sub_f32_e32 v14, v14, v16
	s_delay_alu instid0(VALU_DEP_1) | instskip(NEXT) | instid1(VALU_DEP_1)
	v_dual_mul_f32 v17, 0x3fb8aa3b, v16 :: v_dual_add_f32 v14, v15, v14
	v_rndne_f32_e32 v17, v17
	s_delay_alu instid0(VALU_DEP_1) | instskip(SKIP_1) | instid1(VALU_DEP_1)
	v_mul_f32_e32 v15, 0x35bfbc00, v17
	v_fmac_f32_e32 v16, 0xbf317200, v17
	v_add_f32_e32 v18, v14, v16
	s_delay_alu instid0(VALU_DEP_1) | instskip(NEXT) | instid1(VALU_DEP_1)
	v_dual_sub_f32 v19, v18, v15 :: v_dual_sub_f32 v16, v16, v18
	v_sub_f32_e32 v18, v18, v19
	s_delay_alu instid0(VALU_DEP_1) | instskip(NEXT) | instid1(VALU_DEP_3)
	v_sub_f32_e32 v15, v18, v15
	v_add_f32_e32 v14, v14, v16
	s_delay_alu instid0(VALU_DEP_1) | instskip(NEXT) | instid1(VALU_DEP_1)
	v_dual_add_f32 v14, v14, v15 :: v_dual_mul_f32 v15, 0x2ea39ef3, v17
	v_add_f32_e32 v16, v19, v14
	s_delay_alu instid0(VALU_DEP_1) | instskip(NEXT) | instid1(VALU_DEP_1)
	v_dual_sub_f32 v18, v16, v15 :: v_dual_sub_f32 v19, v19, v16
	v_sub_f32_e32 v16, v16, v18
	s_delay_alu instid0(VALU_DEP_2) | instskip(NEXT) | instid1(VALU_DEP_2)
	v_add_f32_e32 v14, v14, v19
	v_sub_f32_e32 v15, v16, v15
	s_delay_alu instid0(VALU_DEP_1) | instskip(NEXT) | instid1(VALU_DEP_1)
	v_add_f32_e32 v14, v14, v15
	v_add_f32_e32 v15, v18, v14
	s_delay_alu instid0(VALU_DEP_1) | instskip(SKIP_1) | instid1(VALU_DEP_2)
	v_sub_f32_e32 v16, v18, v15
	v_mul_f32_e32 v18, v15, v15
	v_add_f32_e32 v14, v14, v16
	v_fmaak_f32 v16, s19, v15, 0x3c091de6
	s_delay_alu instid0(VALU_DEP_3) | instskip(NEXT) | instid1(VALU_DEP_3)
	v_fma_f32 v19, v15, v15, -v18
	v_add_f32_e32 v20, v14, v14
	s_delay_alu instid0(VALU_DEP_3) | instskip(NEXT) | instid1(VALU_DEP_2)
	v_fmaak_f32 v16, v15, v16, 0x3d2aadcc
	v_fmac_f32_e32 v19, v15, v20
	s_delay_alu instid0(VALU_DEP_2) | instskip(NEXT) | instid1(VALU_DEP_2)
	v_fmaak_f32 v16, v15, v16, 0x3e2aaa47
	v_add_f32_e32 v20, v18, v19
	s_delay_alu instid0(VALU_DEP_2) | instskip(NEXT) | instid1(VALU_DEP_2)
	v_fmaak_f32 v16, v15, v16, 0x3efffffc
	v_sub_f32_e32 v18, v20, v18
	s_delay_alu instid0(VALU_DEP_1) | instskip(NEXT) | instid1(VALU_DEP_1)
	v_dual_mul_f32 v21, v16, v20 :: v_dual_sub_f32 v18, v19, v18
	v_fma_f32 v19, v20, v16, -v21
	s_delay_alu instid0(VALU_DEP_1) | instskip(NEXT) | instid1(VALU_DEP_1)
	v_fmac_f32_e32 v19, v18, v16
	v_add_f32_e32 v16, v21, v19
	s_delay_alu instid0(VALU_DEP_1) | instskip(SKIP_1) | instid1(VALU_DEP_2)
	v_sub_f32_e32 v20, v16, v21
	v_add_f32_e32 v18, v15, v16
	v_sub_f32_e32 v19, v19, v20
	s_delay_alu instid0(VALU_DEP_2) | instskip(NEXT) | instid1(VALU_DEP_1)
	v_sub_f32_e32 v15, v18, v15
	v_sub_f32_e32 v15, v16, v15
	s_delay_alu instid0(VALU_DEP_3) | instskip(NEXT) | instid1(VALU_DEP_1)
	v_add_f32_e32 v14, v14, v19
	v_add_f32_e32 v14, v14, v15
	s_delay_alu instid0(VALU_DEP_1) | instskip(NEXT) | instid1(VALU_DEP_1)
	v_add_f32_e32 v15, v18, v14
	v_add_f32_e32 v16, 1.0, v15
	s_delay_alu instid0(VALU_DEP_1) | instskip(NEXT) | instid1(VALU_DEP_1)
	v_dual_sub_f32 v18, v15, v18 :: v_dual_add_f32 v19, -1.0, v16
	v_dual_sub_f32 v14, v14, v18 :: v_dual_sub_f32 v15, v15, v19
	s_delay_alu instid0(VALU_DEP_1) | instskip(SKIP_1) | instid1(VALU_DEP_2)
	v_add_f32_e32 v14, v14, v15
	v_cvt_i32_f32_e32 v15, v17
	v_add_f32_e32 v17, v16, v14
	s_delay_alu instid0(VALU_DEP_1) | instskip(NEXT) | instid1(VALU_DEP_1)
	v_ldexp_f32 v18, v17, v15
	v_rcp_f32_e32 v19, v18
	v_sub_f32_e32 v16, v17, v16
	s_delay_alu instid0(VALU_DEP_1) | instskip(SKIP_3) | instid1(VALU_DEP_2)
	v_sub_f32_e32 v14, v14, v16
	s_waitcnt_depctr 0xfff
	v_mul_f32_e32 v16, v18, v19
	v_ldexp_f32 v14, v14, v15
	v_fma_f32 v15, v19, v18, -v16
	s_delay_alu instid0(VALU_DEP_1) | instskip(NEXT) | instid1(VALU_DEP_1)
	v_fmac_f32_e32 v15, v19, v14
	v_add_f32_e32 v17, v16, v15
	s_delay_alu instid0(VALU_DEP_1) | instskip(SKIP_1) | instid1(VALU_DEP_2)
	v_sub_f32_e32 v20, 1.0, v17
	v_sub_f32_e32 v16, v17, v16
	v_sub_f32_e32 v21, 1.0, v20
	s_delay_alu instid0(VALU_DEP_1) | instskip(NEXT) | instid1(VALU_DEP_1)
	v_dual_sub_f32 v15, v16, v15 :: v_dual_sub_f32 v16, v21, v17
	v_add_f32_e32 v15, v15, v16
	s_delay_alu instid0(VALU_DEP_1) | instskip(NEXT) | instid1(VALU_DEP_1)
	v_add_f32_e32 v16, v20, v15
	v_mul_f32_e32 v17, v19, v16
	s_delay_alu instid0(VALU_DEP_1) | instskip(NEXT) | instid1(VALU_DEP_1)
	v_dual_sub_f32 v20, v20, v16 :: v_dual_mul_f32 v21, v18, v17
	v_add_f32_e32 v15, v15, v20
	s_delay_alu instid0(VALU_DEP_2) | instskip(NEXT) | instid1(VALU_DEP_1)
	v_fma_f32 v22, v17, v18, -v21
	v_fmac_f32_e32 v22, v17, v14
	s_delay_alu instid0(VALU_DEP_1) | instskip(NEXT) | instid1(VALU_DEP_1)
	v_add_f32_e32 v23, v21, v22
	v_sub_f32_e32 v24, v16, v23
	v_sub_f32_e32 v20, v23, v21
	s_delay_alu instid0(VALU_DEP_2) | instskip(NEXT) | instid1(VALU_DEP_2)
	v_sub_f32_e32 v16, v16, v24
	v_sub_f32_e32 v20, v20, v22
	s_delay_alu instid0(VALU_DEP_2) | instskip(NEXT) | instid1(VALU_DEP_1)
	v_sub_f32_e32 v16, v16, v23
	v_add_f32_e32 v15, v15, v16
	s_delay_alu instid0(VALU_DEP_1) | instskip(NEXT) | instid1(VALU_DEP_1)
	v_dual_add_f32 v16, v19, v17 :: v_dual_add_f32 v15, v20, v15
	v_sub_f32_e32 v20, v16, v19
	s_delay_alu instid0(VALU_DEP_2) | instskip(NEXT) | instid1(VALU_DEP_2)
	v_add_f32_e32 v15, v24, v15
	v_sub_f32_e32 v17, v17, v20
	s_delay_alu instid0(VALU_DEP_2) | instskip(NEXT) | instid1(VALU_DEP_1)
	v_mul_f32_e32 v15, v19, v15
	v_add_f32_e32 v15, v17, v15
	s_delay_alu instid0(VALU_DEP_1) | instskip(NEXT) | instid1(VALU_DEP_1)
	v_add_f32_e32 v17, v16, v15
	v_ldexp_f32 v19, v17, -2
	v_sub_f32_e32 v16, v17, v16
	s_delay_alu instid0(VALU_DEP_1) | instskip(NEXT) | instid1(VALU_DEP_1)
	v_dual_sub_f32 v20, v18, v19 :: v_dual_sub_f32 v15, v15, v16
	v_sub_f32_e32 v17, v18, v20
	s_delay_alu instid0(VALU_DEP_2) | instskip(NEXT) | instid1(VALU_DEP_2)
	v_ldexp_f32 v15, v15, -2
	v_sub_f32_e32 v16, v17, v19
	s_delay_alu instid0(VALU_DEP_1) | instskip(NEXT) | instid1(VALU_DEP_1)
	v_add_f32_e32 v14, v14, v16
	v_sub_f32_e32 v14, v14, v15
	s_delay_alu instid0(VALU_DEP_1) | instskip(NEXT) | instid1(VALU_DEP_1)
	v_add_f32_e32 v14, v20, v14
	v_cndmask_b32_e64 v14, 0x7f800000, v14, s2
	v_cmp_gt_f32_e64 s2, 0x39800000, |v13|
	s_delay_alu instid0(VALU_DEP_1) | instskip(NEXT) | instid1(VALU_DEP_1)
	v_cndmask_b32_e64 v13, v14, |v13|, s2
	v_cvt_f16_f32_e32 v13, v13
	s_delay_alu instid0(VALU_DEP_1) | instskip(SKIP_1) | instid1(VALU_DEP_1)
	v_bfi_b32 v14, 0x7fff, v13, v12
	v_add_co_u32 v12, s2, v1, s16
	v_add_co_ci_u32_e64 v13, s2, 0, v2, s2
	global_store_b16 v[12:13], v14, off
	s_or_b32 exec_lo, exec_lo, s3
	s_and_saveexec_b32 s2, vcc_lo
	s_cbranch_execz .LBB128_3
.LBB128_19:                             ;   in Loop: Header=BB128_4 Depth=1
	s_waitcnt vmcnt(0)
	v_cvt_f32_f16_e32 v12, v11
	s_delay_alu instid0(VALU_DEP_1) | instskip(SKIP_2) | instid1(VALU_DEP_3)
	v_add_f32_e64 v13, 0xbf317218, |v12|
	v_cmp_nlt_f32_e64 vcc_lo, 0x42b2d4fc, |v12|
	v_cmp_gt_f32_e64 s3, 0x39800000, |v12|
	v_sub_f32_e64 v14, v13, |v12|
	s_delay_alu instid0(VALU_DEP_1) | instskip(NEXT) | instid1(VALU_DEP_1)
	v_dual_sub_f32 v15, v14, v13 :: v_dual_add_f32 v14, 0x3f317218, v14
	v_add_f32_e64 v15, |v12|, v15
	s_delay_alu instid0(VALU_DEP_1) | instskip(NEXT) | instid1(VALU_DEP_1)
	v_sub_f32_e32 v14, v15, v14
	v_add_f32_e32 v14, 0x3102e308, v14
	s_delay_alu instid0(VALU_DEP_1) | instskip(NEXT) | instid1(VALU_DEP_1)
	v_add_f32_e32 v15, v13, v14
	v_sub_f32_e32 v13, v13, v15
	s_delay_alu instid0(VALU_DEP_1) | instskip(NEXT) | instid1(VALU_DEP_1)
	v_dual_mul_f32 v16, 0x3fb8aa3b, v15 :: v_dual_add_f32 v13, v14, v13
	v_rndne_f32_e32 v16, v16
	s_delay_alu instid0(VALU_DEP_1) | instskip(SKIP_1) | instid1(VALU_DEP_1)
	v_mul_f32_e32 v14, 0x35bfbc00, v16
	v_fmac_f32_e32 v15, 0xbf317200, v16
	v_add_f32_e32 v17, v13, v15
	s_delay_alu instid0(VALU_DEP_1) | instskip(NEXT) | instid1(VALU_DEP_1)
	v_dual_sub_f32 v18, v17, v14 :: v_dual_sub_f32 v15, v15, v17
	v_sub_f32_e32 v17, v17, v18
	s_delay_alu instid0(VALU_DEP_1) | instskip(NEXT) | instid1(VALU_DEP_3)
	v_sub_f32_e32 v14, v17, v14
	v_add_f32_e32 v13, v13, v15
	s_delay_alu instid0(VALU_DEP_1) | instskip(NEXT) | instid1(VALU_DEP_1)
	v_dual_add_f32 v13, v13, v14 :: v_dual_mul_f32 v14, 0x2ea39ef3, v16
	v_add_f32_e32 v15, v18, v13
	s_delay_alu instid0(VALU_DEP_1) | instskip(NEXT) | instid1(VALU_DEP_1)
	v_dual_sub_f32 v17, v15, v14 :: v_dual_sub_f32 v18, v18, v15
	v_sub_f32_e32 v15, v15, v17
	s_delay_alu instid0(VALU_DEP_2) | instskip(NEXT) | instid1(VALU_DEP_2)
	v_add_f32_e32 v13, v13, v18
	v_sub_f32_e32 v14, v15, v14
	s_delay_alu instid0(VALU_DEP_1) | instskip(NEXT) | instid1(VALU_DEP_1)
	v_add_f32_e32 v13, v13, v14
	v_add_f32_e32 v14, v17, v13
	s_delay_alu instid0(VALU_DEP_1) | instskip(SKIP_1) | instid1(VALU_DEP_2)
	v_sub_f32_e32 v15, v17, v14
	v_mul_f32_e32 v17, v14, v14
	v_add_f32_e32 v13, v13, v15
	v_fmaak_f32 v15, s19, v14, 0x3c091de6
	s_delay_alu instid0(VALU_DEP_3) | instskip(NEXT) | instid1(VALU_DEP_3)
	v_fma_f32 v18, v14, v14, -v17
	v_add_f32_e32 v19, v13, v13
	s_delay_alu instid0(VALU_DEP_3) | instskip(NEXT) | instid1(VALU_DEP_2)
	v_fmaak_f32 v15, v14, v15, 0x3d2aadcc
	v_fmac_f32_e32 v18, v14, v19
	s_delay_alu instid0(VALU_DEP_2) | instskip(NEXT) | instid1(VALU_DEP_2)
	v_fmaak_f32 v15, v14, v15, 0x3e2aaa47
	v_add_f32_e32 v19, v17, v18
	s_delay_alu instid0(VALU_DEP_2) | instskip(NEXT) | instid1(VALU_DEP_2)
	v_fmaak_f32 v15, v14, v15, 0x3efffffc
	v_sub_f32_e32 v17, v19, v17
	s_delay_alu instid0(VALU_DEP_1) | instskip(NEXT) | instid1(VALU_DEP_1)
	v_dual_mul_f32 v20, v15, v19 :: v_dual_sub_f32 v17, v18, v17
	v_fma_f32 v18, v19, v15, -v20
	s_delay_alu instid0(VALU_DEP_1) | instskip(NEXT) | instid1(VALU_DEP_1)
	v_fmac_f32_e32 v18, v17, v15
	v_add_f32_e32 v15, v20, v18
	s_delay_alu instid0(VALU_DEP_1) | instskip(SKIP_1) | instid1(VALU_DEP_2)
	v_sub_f32_e32 v19, v15, v20
	v_add_f32_e32 v17, v14, v15
	v_sub_f32_e32 v18, v18, v19
	s_delay_alu instid0(VALU_DEP_2) | instskip(NEXT) | instid1(VALU_DEP_1)
	v_sub_f32_e32 v14, v17, v14
	v_sub_f32_e32 v14, v15, v14
	s_delay_alu instid0(VALU_DEP_3) | instskip(NEXT) | instid1(VALU_DEP_1)
	v_add_f32_e32 v13, v13, v18
	v_add_f32_e32 v13, v13, v14
	s_delay_alu instid0(VALU_DEP_1) | instskip(NEXT) | instid1(VALU_DEP_1)
	v_add_f32_e32 v14, v17, v13
	v_add_f32_e32 v15, 1.0, v14
	s_delay_alu instid0(VALU_DEP_1) | instskip(NEXT) | instid1(VALU_DEP_1)
	v_dual_sub_f32 v17, v14, v17 :: v_dual_add_f32 v18, -1.0, v15
	v_dual_sub_f32 v13, v13, v17 :: v_dual_sub_f32 v14, v14, v18
	s_delay_alu instid0(VALU_DEP_1) | instskip(SKIP_1) | instid1(VALU_DEP_2)
	v_add_f32_e32 v13, v13, v14
	v_cvt_i32_f32_e32 v14, v16
	v_add_f32_e32 v16, v15, v13
	s_delay_alu instid0(VALU_DEP_1) | instskip(NEXT) | instid1(VALU_DEP_1)
	v_ldexp_f32 v17, v16, v14
	v_rcp_f32_e32 v18, v17
	v_sub_f32_e32 v15, v16, v15
	s_delay_alu instid0(VALU_DEP_1) | instskip(SKIP_3) | instid1(VALU_DEP_2)
	v_sub_f32_e32 v13, v13, v15
	s_waitcnt_depctr 0xfff
	v_mul_f32_e32 v15, v17, v18
	v_ldexp_f32 v13, v13, v14
	v_fma_f32 v14, v18, v17, -v15
	s_delay_alu instid0(VALU_DEP_1) | instskip(NEXT) | instid1(VALU_DEP_1)
	v_fmac_f32_e32 v14, v18, v13
	v_add_f32_e32 v16, v15, v14
	s_delay_alu instid0(VALU_DEP_1) | instskip(SKIP_1) | instid1(VALU_DEP_2)
	v_sub_f32_e32 v19, 1.0, v16
	v_sub_f32_e32 v15, v16, v15
	v_sub_f32_e32 v20, 1.0, v19
	s_delay_alu instid0(VALU_DEP_1) | instskip(NEXT) | instid1(VALU_DEP_1)
	v_dual_sub_f32 v14, v15, v14 :: v_dual_sub_f32 v15, v20, v16
	v_add_f32_e32 v14, v14, v15
	s_delay_alu instid0(VALU_DEP_1) | instskip(NEXT) | instid1(VALU_DEP_1)
	v_add_f32_e32 v15, v19, v14
	v_mul_f32_e32 v16, v18, v15
	s_delay_alu instid0(VALU_DEP_1) | instskip(NEXT) | instid1(VALU_DEP_1)
	v_dual_sub_f32 v19, v19, v15 :: v_dual_mul_f32 v20, v17, v16
	v_add_f32_e32 v14, v14, v19
	s_delay_alu instid0(VALU_DEP_2) | instskip(NEXT) | instid1(VALU_DEP_1)
	v_fma_f32 v21, v16, v17, -v20
	v_fmac_f32_e32 v21, v16, v13
	s_delay_alu instid0(VALU_DEP_1) | instskip(NEXT) | instid1(VALU_DEP_1)
	v_add_f32_e32 v22, v20, v21
	v_sub_f32_e32 v23, v15, v22
	v_sub_f32_e32 v19, v22, v20
	s_delay_alu instid0(VALU_DEP_2) | instskip(NEXT) | instid1(VALU_DEP_2)
	v_sub_f32_e32 v15, v15, v23
	v_sub_f32_e32 v19, v19, v21
	s_delay_alu instid0(VALU_DEP_2) | instskip(NEXT) | instid1(VALU_DEP_1)
	v_sub_f32_e32 v15, v15, v22
	v_add_f32_e32 v14, v14, v15
	s_delay_alu instid0(VALU_DEP_1) | instskip(NEXT) | instid1(VALU_DEP_1)
	v_dual_add_f32 v15, v18, v16 :: v_dual_add_f32 v14, v19, v14
	v_sub_f32_e32 v19, v15, v18
	s_delay_alu instid0(VALU_DEP_2) | instskip(NEXT) | instid1(VALU_DEP_2)
	v_add_f32_e32 v14, v23, v14
	v_sub_f32_e32 v16, v16, v19
	s_delay_alu instid0(VALU_DEP_2) | instskip(NEXT) | instid1(VALU_DEP_1)
	v_mul_f32_e32 v14, v18, v14
	v_add_f32_e32 v14, v16, v14
	s_delay_alu instid0(VALU_DEP_1) | instskip(NEXT) | instid1(VALU_DEP_1)
	v_add_f32_e32 v16, v15, v14
	v_ldexp_f32 v18, v16, -2
	v_sub_f32_e32 v15, v16, v15
	s_delay_alu instid0(VALU_DEP_1) | instskip(NEXT) | instid1(VALU_DEP_1)
	v_dual_sub_f32 v19, v17, v18 :: v_dual_sub_f32 v14, v14, v15
	v_sub_f32_e32 v16, v17, v19
	s_delay_alu instid0(VALU_DEP_2) | instskip(NEXT) | instid1(VALU_DEP_2)
	v_ldexp_f32 v14, v14, -2
	v_sub_f32_e32 v15, v16, v18
	s_delay_alu instid0(VALU_DEP_1) | instskip(NEXT) | instid1(VALU_DEP_1)
	v_add_f32_e32 v13, v13, v15
	v_sub_f32_e32 v13, v13, v14
	s_delay_alu instid0(VALU_DEP_1) | instskip(NEXT) | instid1(VALU_DEP_1)
	v_add_f32_e32 v13, v19, v13
	v_cndmask_b32_e32 v13, 0x7f800000, v13, vcc_lo
	s_delay_alu instid0(VALU_DEP_1) | instskip(NEXT) | instid1(VALU_DEP_1)
	v_cndmask_b32_e64 v12, v13, |v12|, s3
	v_cvt_f16_f32_e32 v12, v12
	s_delay_alu instid0(VALU_DEP_1)
	v_bfi_b32 v13, 0x7fff, v12, v11
	v_add_co_u32 v11, vcc_lo, v1, s18
	v_add_co_ci_u32_e32 v12, vcc_lo, 0, v2, vcc_lo
	global_store_b16 v[11:12], v13, off
	s_branch .LBB128_3
.LBB128_20:
	s_cbranch_execz .LBB128_22
	s_branch .LBB128_25
.LBB128_21:
.LBB128_22:
	v_dual_mov_b32 v2, 0 :: v_dual_lshlrev_b32 v1, 2, v0
	s_mov_b32 s2, 0
	s_mov_b32 s3, exec_lo
	s_delay_alu instid0(VALU_DEP_1)
	v_cmpx_gt_i64_e64 s[6:7], v[1:2]
	s_cbranch_execz .LBB128_25
; %bb.23:
	s_load_b32 s0, s[0:1], 0xd3c
	v_lshlrev_b32_e32 v1, 3, v0
	s_mov_b32 s5, 0x3ab42872
	s_waitcnt lgkmcnt(0)
	s_and_b32 s0, s0, 0xffff
	s_delay_alu instid0(SALU_CYCLE_1) | instskip(SKIP_3) | instid1(VALU_DEP_1)
	s_lshl_b32 s3, s0, 2
	s_add_u32 s1, s8, s10
	s_addc_u32 s4, s9, s11
	v_add_co_u32 v3, s1, s1, v1
	v_add_co_ci_u32_e64 v4, null, s4, 0, s1
	v_add_lshl_u32 v1, v0, s0, 2
	s_delay_alu instid0(VALU_DEP_3) | instskip(NEXT) | instid1(VALU_DEP_3)
	v_add_co_u32 v3, vcc_lo, v3, 4
	v_add_co_ci_u32_e32 v4, vcc_lo, 0, v4, vcc_lo
	s_lshl_b32 s4, s0, 3
.LBB128_24:                             ; =>This Inner Loop Header: Depth=1
	global_load_b64 v[5:6], v[3:4], off offset:-4
	s_waitcnt vmcnt(0)
	v_cvt_f32_f16_e32 v7, v5
	v_lshrrev_b32_e32 v0, 16, v5
	v_lshrrev_b32_e32 v8, 16, v6
	v_cvt_f32_f16_e32 v10, v6
	s_delay_alu instid0(VALU_DEP_4) | instskip(NEXT) | instid1(VALU_DEP_4)
	v_add_f32_e64 v11, 0xbf317218, |v7|
	v_cvt_f32_f16_e32 v9, v0
	s_delay_alu instid0(VALU_DEP_4) | instskip(NEXT) | instid1(VALU_DEP_4)
	v_cvt_f32_f16_e32 v13, v8
	v_add_f32_e64 v12, 0xbf317218, |v10|
	v_cmp_nlt_f32_e64 vcc_lo, 0x42b2d4fc, |v7|
	v_sub_f32_e64 v14, v11, |v7|
	v_add_f32_e64 v15, 0xbf317218, |v9|
	v_add_f32_e64 v17, 0xbf317218, |v13|
	v_sub_f32_e64 v16, v12, |v10|
	v_cmp_gt_f32_e64 s0, 0x39800000, |v7|
	s_delay_alu instid0(VALU_DEP_4) | instskip(NEXT) | instid1(VALU_DEP_4)
	v_sub_f32_e64 v19, v15, |v9|
	v_sub_f32_e64 v21, v17, |v13|
	v_sub_f32_e32 v18, v14, v11
	v_add_f32_e32 v14, 0x3f317218, v14
	s_delay_alu instid0(VALU_DEP_3) | instskip(NEXT) | instid1(VALU_DEP_3)
	v_dual_sub_f32 v22, v19, v15 :: v_dual_sub_f32 v23, v21, v17
	v_add_f32_e64 v18, |v7|, v18
	s_delay_alu instid0(VALU_DEP_1) | instskip(SKIP_1) | instid1(VALU_DEP_4)
	v_dual_add_f32 v19, 0x3f317218, v19 :: v_dual_sub_f32 v14, v18, v14
	v_add_f32_e32 v18, 0x3f317218, v21
	v_add_f32_e64 v21, |v9|, v22
	s_delay_alu instid0(VALU_DEP_1) | instskip(NEXT) | instid1(VALU_DEP_1)
	v_dual_sub_f32 v20, v16, v12 :: v_dual_sub_f32 v19, v21, v19
	v_add_f32_e64 v20, |v10|, v20
	s_delay_alu instid0(VALU_DEP_2) | instskip(SKIP_1) | instid1(VALU_DEP_1)
	v_add_f32_e32 v19, 0x3102e308, v19
	v_add_f32_e32 v16, 0x3f317218, v16
	v_sub_f32_e32 v16, v20, v16
	v_add_f32_e64 v20, |v13|, v23
	s_delay_alu instid0(VALU_DEP_4) | instskip(NEXT) | instid1(VALU_DEP_1)
	v_dual_add_f32 v23, v15, v19 :: v_dual_add_f32 v14, 0x3102e308, v14
	v_dual_sub_f32 v18, v20, v18 :: v_dual_sub_f32 v15, v15, v23
	s_delay_alu instid0(VALU_DEP_2) | instskip(NEXT) | instid1(VALU_DEP_2)
	v_add_f32_e32 v20, v11, v14
	v_dual_add_f32 v18, 0x3102e308, v18 :: v_dual_add_f32 v15, v19, v15
	s_delay_alu instid0(VALU_DEP_2) | instskip(NEXT) | instid1(VALU_DEP_2)
	v_sub_f32_e32 v11, v11, v20
	v_dual_add_f32 v25, v17, v18 :: v_dual_add_f32 v16, 0x3102e308, v16
	s_delay_alu instid0(VALU_DEP_2) | instskip(NEXT) | instid1(VALU_DEP_2)
	v_add_f32_e32 v11, v14, v11
	v_sub_f32_e32 v17, v17, v25
	s_delay_alu instid0(VALU_DEP_3) | instskip(NEXT) | instid1(VALU_DEP_2)
	v_add_f32_e32 v21, v12, v16
	v_add_f32_e32 v17, v18, v17
	s_delay_alu instid0(VALU_DEP_2) | instskip(SKIP_1) | instid1(VALU_DEP_2)
	v_sub_f32_e32 v12, v12, v21
	v_mul_f32_e32 v24, 0x3fb8aa3b, v21
	v_add_f32_e32 v12, v16, v12
	s_delay_alu instid0(VALU_DEP_2) | instskip(NEXT) | instid1(VALU_DEP_1)
	v_rndne_f32_e32 v16, v24
	v_fmac_f32_e32 v21, 0xbf317200, v16
	s_delay_alu instid0(VALU_DEP_1) | instskip(NEXT) | instid1(VALU_DEP_1)
	v_dual_mul_f32 v22, 0x3fb8aa3b, v20 :: v_dual_add_f32 v31, v12, v21
	v_rndne_f32_e32 v14, v22
	v_mul_f32_e32 v22, 0x3fb8aa3b, v23
	s_delay_alu instid0(VALU_DEP_3) | instskip(NEXT) | instid1(VALU_DEP_3)
	v_sub_f32_e32 v21, v21, v31
	v_mul_f32_e32 v27, 0x2ea39ef3, v14
	s_delay_alu instid0(VALU_DEP_3) | instskip(NEXT) | instid1(VALU_DEP_1)
	v_rndne_f32_e32 v19, v22
	v_dual_mul_f32 v26, 0x35bfbc00, v14 :: v_dual_mul_f32 v29, 0x35bfbc00, v19
	v_mul_f32_e32 v22, 0x35bfbc00, v16
	v_mul_f32_e32 v24, 0x3fb8aa3b, v25
	v_dual_fmac_f32 v23, 0xbf317200, v19 :: v_dual_add_f32 v12, v12, v21
	s_delay_alu instid0(VALU_DEP_3) | instskip(SKIP_1) | instid1(VALU_DEP_4)
	v_sub_f32_e32 v35, v31, v22
	v_fmac_f32_e32 v20, 0xbf317200, v14
	v_rndne_f32_e32 v18, v24
	v_cvt_i32_f32_e32 v14, v14
	s_delay_alu instid0(VALU_DEP_4) | instskip(NEXT) | instid1(VALU_DEP_3)
	v_sub_f32_e32 v21, v31, v35
	v_dual_add_f32 v24, v11, v20 :: v_dual_fmac_f32 v25, 0xbf317200, v18
	s_delay_alu instid0(VALU_DEP_1) | instskip(SKIP_1) | instid1(VALU_DEP_4)
	v_dual_sub_f32 v33, v24, v26 :: v_dual_add_f32 v36, v17, v25
	v_mul_f32_e32 v32, 0x35bfbc00, v18
	v_sub_f32_e32 v21, v21, v22
	s_delay_alu instid0(VALU_DEP_3) | instskip(NEXT) | instid1(VALU_DEP_3)
	v_dual_sub_f32 v25, v25, v36 :: v_dual_add_f32 v34, v15, v23
	v_sub_f32_e32 v31, v36, v32
	v_mul_f32_e32 v28, 0x2ea39ef3, v16
	v_cvt_i32_f32_e32 v16, v16
	s_delay_alu instid0(VALU_DEP_4) | instskip(SKIP_1) | instid1(VALU_DEP_1)
	v_add_f32_e32 v17, v17, v25
	v_dual_sub_f32 v23, v23, v34 :: v_dual_sub_f32 v20, v20, v24
	v_add_f32_e32 v15, v15, v23
	s_delay_alu instid0(VALU_DEP_2) | instskip(SKIP_2) | instid1(VALU_DEP_2)
	v_dual_mul_f32 v30, 0x2ea39ef3, v19 :: v_dual_add_f32 v11, v11, v20
	v_sub_f32_e32 v20, v24, v33
	v_cvt_i32_f32_e32 v19, v19
	v_sub_f32_e32 v20, v20, v26
	s_delay_alu instid0(VALU_DEP_1) | instskip(NEXT) | instid1(VALU_DEP_1)
	v_dual_sub_f32 v24, v34, v29 :: v_dual_add_f32 v11, v11, v20
	v_dual_sub_f32 v23, v34, v24 :: v_dual_sub_f32 v22, v36, v31
	s_delay_alu instid0(VALU_DEP_1) | instskip(SKIP_1) | instid1(VALU_DEP_3)
	v_sub_f32_e32 v20, v23, v29
	v_dual_add_f32 v12, v12, v21 :: v_dual_mul_f32 v23, 0x2ea39ef3, v18
	v_dual_sub_f32 v21, v22, v32 :: v_dual_add_f32 v22, v33, v11
	v_cvt_i32_f32_e32 v18, v18
	s_delay_alu instid0(VALU_DEP_2) | instskip(NEXT) | instid1(VALU_DEP_3)
	v_add_f32_e32 v17, v17, v21
	v_sub_f32_e32 v21, v33, v22
	v_add_f32_e32 v15, v15, v20
	v_add_f32_e32 v20, v35, v12
	s_delay_alu instid0(VALU_DEP_1) | instskip(SKIP_3) | instid1(VALU_DEP_4)
	v_dual_add_f32 v26, v24, v15 :: v_dual_sub_f32 v29, v35, v20
	v_dual_sub_f32 v25, v22, v27 :: v_dual_sub_f32 v32, v20, v28
	v_add_f32_e32 v33, v31, v17
	v_add_f32_e32 v11, v11, v21
	v_add_f32_e32 v12, v12, v29
	s_delay_alu instid0(VALU_DEP_4) | instskip(SKIP_3) | instid1(VALU_DEP_4)
	v_dual_sub_f32 v21, v22, v25 :: v_dual_sub_f32 v20, v20, v32
	v_sub_f32_e32 v22, v24, v26
	v_dual_sub_f32 v24, v26, v30 :: v_dual_sub_f32 v29, v31, v33
	v_sub_f32_e32 v31, v33, v23
	v_sub_f32_e32 v21, v21, v27
	s_delay_alu instid0(VALU_DEP_4) | instskip(NEXT) | instid1(VALU_DEP_4)
	v_dual_add_f32 v15, v15, v22 :: v_dual_sub_f32 v20, v20, v28
	v_sub_f32_e32 v22, v26, v24
	s_delay_alu instid0(VALU_DEP_3) | instskip(NEXT) | instid1(VALU_DEP_3)
	v_dual_sub_f32 v26, v33, v31 :: v_dual_add_f32 v11, v11, v21
	v_dual_add_f32 v17, v17, v29 :: v_dual_add_f32 v12, v12, v20
	s_delay_alu instid0(VALU_DEP_2) | instskip(NEXT) | instid1(VALU_DEP_1)
	v_dual_sub_f32 v21, v22, v30 :: v_dual_add_f32 v22, v25, v11
	v_dual_sub_f32 v20, v26, v23 :: v_dual_add_f32 v15, v15, v21
	s_delay_alu instid0(VALU_DEP_3) | instskip(NEXT) | instid1(VALU_DEP_2)
	v_add_f32_e32 v21, v32, v12
	v_dual_add_f32 v17, v17, v20 :: v_dual_fmaak_f32 v20, s5, v22, 0x3c091de6
	s_delay_alu instid0(VALU_DEP_3) | instskip(NEXT) | instid1(VALU_DEP_3)
	v_dual_add_f32 v26, v24, v15 :: v_dual_sub_f32 v23, v25, v22
	v_dual_sub_f32 v28, v32, v21 :: v_dual_mul_f32 v25, v22, v22
	s_delay_alu instid0(VALU_DEP_3) | instskip(NEXT) | instid1(VALU_DEP_4)
	v_add_f32_e32 v30, v31, v17
	v_dual_mul_f32 v29, v21, v21 :: v_dual_fmaak_f32 v20, v22, v20, 0x3d2aadcc
	s_delay_alu instid0(VALU_DEP_4) | instskip(NEXT) | instid1(VALU_DEP_4)
	v_dual_add_f32 v11, v11, v23 :: v_dual_sub_f32 v24, v24, v26
	v_fma_f32 v23, v22, v22, -v25
	v_dual_mul_f32 v33, v26, v26 :: v_dual_add_f32 v12, v12, v28
	s_delay_alu instid0(VALU_DEP_3)
	v_dual_fmaak_f32 v34, s5, v30, 0x3c091de6 :: v_dual_add_f32 v15, v15, v24
	v_dual_sub_f32 v31, v31, v30 :: v_dual_fmaak_f32 v20, v22, v20, 0x3e2aaa47
	v_dual_mul_f32 v35, v30, v30 :: v_dual_add_f32 v36, v11, v11
	v_dual_fmaak_f32 v27, s5, v21, 0x3c091de6 :: v_dual_fmaak_f32 v32, s5, v26, 0x3c091de6
	v_fma_f32 v28, v21, v21, -v29
	v_dual_add_f32 v37, v12, v12 :: v_dual_fmaak_f32 v34, v30, v34, 0x3d2aadcc
	v_dual_add_f32 v17, v17, v31 :: v_dual_fmaak_f32 v20, v22, v20, 0x3efffffc
	v_dual_fmac_f32 v23, v22, v36 :: v_dual_add_f32 v36, v15, v15
	v_dual_fmaak_f32 v27, v21, v27, 0x3d2aadcc :: v_dual_fmaak_f32 v32, v26, v32, 0x3d2aadcc
	v_fma_f32 v24, v26, v26, -v33
	v_fma_f32 v31, v30, v30, -v35
	v_fmaak_f32 v34, v30, v34, 0x3e2aaa47
	v_add_f32_e32 v38, v25, v23
	v_fmac_f32_e32 v28, v21, v37
	v_add_f32_e32 v37, v17, v17
	v_dual_fmaak_f32 v27, v21, v27, 0x3e2aaa47 :: v_dual_fmaak_f32 v32, v26, v32, 0x3e2aaa47
	v_fmac_f32_e32 v24, v26, v36
	s_delay_alu instid0(VALU_DEP_3) | instskip(SKIP_3) | instid1(VALU_DEP_3)
	v_fmac_f32_e32 v31, v30, v37
	v_dual_mul_f32 v37, v20, v38 :: v_dual_add_f32 v36, v29, v28
	v_sub_f32_e32 v25, v38, v25
	v_dual_fmaak_f32 v27, v21, v27, 0x3efffffc :: v_dual_fmaak_f32 v32, v26, v32, 0x3efffffc
	v_dual_sub_f32 v29, v36, v29 :: v_dual_fmaak_f32 v34, v30, v34, 0x3efffffc
	v_add_f32_e32 v39, v33, v24
	v_add_f32_e32 v41, v35, v31
	v_sub_f32_e32 v23, v23, v25
	v_fma_f32 v25, v38, v20, -v37
	v_sub_f32_e32 v28, v28, v29
	v_mul_f32_e32 v38, v32, v39
	v_dual_mul_f32 v40, v27, v36 :: v_dual_sub_f32 v35, v41, v35
	v_sub_f32_e32 v33, v39, v33
	v_fmac_f32_e32 v25, v23, v20
	s_delay_alu instid0(VALU_DEP_4) | instskip(NEXT) | instid1(VALU_DEP_4)
	v_fma_f32 v23, v39, v32, -v38
	v_fma_f32 v29, v36, v27, -v40
	s_delay_alu instid0(VALU_DEP_1) | instskip(NEXT) | instid1(VALU_DEP_4)
	v_dual_mul_f32 v36, v34, v41 :: v_dual_fmac_f32 v29, v28, v27
	v_add_f32_e32 v28, v37, v25
	v_sub_f32_e32 v20, v24, v33
	v_sub_f32_e32 v24, v31, v35
	s_delay_alu instid0(VALU_DEP_4) | instskip(NEXT) | instid1(VALU_DEP_4)
	v_fma_f32 v27, v41, v34, -v36
	v_add_f32_e32 v31, v22, v28
	s_delay_alu instid0(VALU_DEP_1) | instskip(NEXT) | instid1(VALU_DEP_1)
	v_dual_fmac_f32 v23, v20, v32 :: v_dual_sub_f32 v22, v31, v22
	v_add_f32_e32 v32, v38, v23
	v_add_f32_e32 v20, v40, v29
	v_fmac_f32_e32 v27, v24, v34
	v_sub_f32_e32 v24, v28, v37
	s_delay_alu instid0(VALU_DEP_4) | instskip(NEXT) | instid1(VALU_DEP_4)
	v_dual_sub_f32 v22, v28, v22 :: v_dual_add_f32 v37, v26, v32
	v_sub_f32_e32 v33, v20, v40
	s_delay_alu instid0(VALU_DEP_4) | instskip(NEXT) | instid1(VALU_DEP_2)
	v_dual_add_f32 v34, v21, v20 :: v_dual_add_f32 v35, v36, v27
	v_sub_f32_e32 v29, v29, v33
	s_delay_alu instid0(VALU_DEP_2) | instskip(NEXT) | instid1(VALU_DEP_3)
	v_sub_f32_e32 v21, v34, v21
	v_sub_f32_e32 v33, v35, v36
	v_dual_sub_f32 v24, v25, v24 :: v_dual_sub_f32 v25, v32, v38
	s_delay_alu instid0(VALU_DEP_1) | instskip(SKIP_2) | instid1(VALU_DEP_4)
	v_dual_add_f32 v36, v30, v35 :: v_dual_add_f32 v11, v11, v24
	v_sub_f32_e32 v24, v37, v26
	v_sub_f32_e32 v20, v20, v21
	;; [unrolled: 1-line block ×3, first 2 shown]
	s_delay_alu instid0(VALU_DEP_4) | instskip(NEXT) | instid1(VALU_DEP_4)
	v_dual_add_f32 v12, v12, v29 :: v_dual_add_f32 v11, v11, v22
	v_dual_sub_f32 v21, v27, v33 :: v_dual_sub_f32 v22, v32, v24
	s_delay_alu instid0(VALU_DEP_2) | instskip(SKIP_1) | instid1(VALU_DEP_3)
	v_dual_add_f32 v15, v15, v23 :: v_dual_add_f32 v12, v12, v20
	v_sub_f32_e32 v25, v36, v30
	v_add_f32_e32 v17, v17, v21
	s_delay_alu instid0(VALU_DEP_3) | instskip(NEXT) | instid1(VALU_DEP_1)
	v_dual_add_f32 v15, v15, v22 :: v_dual_add_f32 v22, v34, v12
	v_dual_sub_f32 v20, v35, v25 :: v_dual_sub_f32 v25, v22, v34
	s_delay_alu instid0(VALU_DEP_1) | instskip(NEXT) | instid1(VALU_DEP_2)
	v_dual_add_f32 v17, v17, v20 :: v_dual_add_f32 v26, 1.0, v22
	v_sub_f32_e32 v12, v12, v25
	s_delay_alu instid0(VALU_DEP_2) | instskip(NEXT) | instid1(VALU_DEP_1)
	v_dual_add_f32 v24, v37, v15 :: v_dual_add_f32 v27, v36, v17
	v_dual_add_f32 v21, v31, v11 :: v_dual_sub_f32 v28, v24, v37
	s_delay_alu instid0(VALU_DEP_1) | instskip(NEXT) | instid1(VALU_DEP_3)
	v_dual_add_f32 v25, -1.0, v26 :: v_dual_sub_f32 v20, v21, v31
	v_dual_add_f32 v23, 1.0, v21 :: v_dual_sub_f32 v30, v27, v36
	v_add_f32_e32 v29, 1.0, v24
	s_delay_alu instid0(VALU_DEP_4) | instskip(NEXT) | instid1(VALU_DEP_3)
	v_sub_f32_e32 v15, v15, v28
	v_dual_sub_f32 v11, v11, v20 :: v_dual_add_f32 v20, -1.0, v23
	s_delay_alu instid0(VALU_DEP_1) | instskip(SKIP_1) | instid1(VALU_DEP_1)
	v_sub_f32_e32 v20, v21, v20
	v_dual_sub_f32 v22, v22, v25 :: v_dual_add_f32 v31, 1.0, v27
	v_dual_add_f32 v12, v12, v22 :: v_dual_add_f32 v11, v11, v20
	v_add_f32_e32 v21, -1.0, v29
	s_delay_alu instid0(VALU_DEP_3) | instskip(NEXT) | instid1(VALU_DEP_3)
	v_add_f32_e32 v25, -1.0, v31
	v_add_f32_e32 v22, v23, v11
	s_delay_alu instid0(VALU_DEP_3) | instskip(NEXT) | instid1(VALU_DEP_1)
	v_dual_sub_f32 v20, v24, v21 :: v_dual_sub_f32 v17, v17, v30
	v_add_f32_e32 v15, v15, v20
	v_add_f32_e32 v20, v26, v12
	s_delay_alu instid0(VALU_DEP_1) | instskip(SKIP_1) | instid1(VALU_DEP_2)
	v_sub_f32_e32 v24, v20, v26
	v_ldexp_f32 v20, v20, v16
	v_dual_sub_f32 v21, v27, v25 :: v_dual_sub_f32 v12, v12, v24
	s_delay_alu instid0(VALU_DEP_2) | instskip(NEXT) | instid1(VALU_DEP_1)
	v_rcp_f32_e32 v27, v20
	v_add_f32_e32 v17, v17, v21
	s_delay_alu instid0(VALU_DEP_2)
	v_ldexp_f32 v12, v12, v16
	v_sub_f32_e32 v21, v22, v23
	v_ldexp_f32 v22, v22, v14
	s_waitcnt_depctr 0xfff
	v_dual_add_f32 v25, v31, v17 :: v_dual_mul_f32 v16, v20, v27
	v_add_f32_e32 v23, v29, v15
	s_delay_alu instid0(VALU_DEP_2) | instskip(SKIP_1) | instid1(VALU_DEP_3)
	v_ldexp_f32 v28, v25, v18
	v_sub_f32_e32 v24, v25, v31
	v_sub_f32_e32 v26, v23, v29
	s_delay_alu instid0(VALU_DEP_1) | instskip(SKIP_1) | instid1(VALU_DEP_1)
	v_sub_f32_e32 v15, v15, v26
	v_fma_f32 v26, v27, v20, -v16
	v_fmac_f32_e32 v26, v27, v12
	v_sub_f32_e32 v11, v11, v21
	v_rcp_f32_e32 v21, v22
	s_delay_alu instid0(VALU_DEP_2) | instskip(NEXT) | instid1(VALU_DEP_2)
	v_add_f32_e32 v33, v16, v26
	v_ldexp_f32 v11, v11, v14
	v_rcp_f32_e32 v14, v28
	s_delay_alu instid0(VALU_DEP_2) | instskip(SKIP_4) | instid1(VALU_DEP_2)
	v_sub_f32_e32 v36, 1.0, v33
	v_ldexp_f32 v15, v15, v19
	s_waitcnt_depctr 0xfff
	v_dual_mul_f32 v29, v22, v21 :: v_dual_sub_f32 v16, v33, v16
	v_dual_mul_f32 v30, v28, v14 :: v_dual_sub_f32 v17, v17, v24
	v_fma_f32 v24, v21, v22, -v29
	s_delay_alu instid0(VALU_DEP_3) | instskip(NEXT) | instid1(VALU_DEP_3)
	v_sub_f32_e32 v16, v16, v26
	v_fma_f32 v31, v14, v28, -v30
	s_delay_alu instid0(VALU_DEP_3) | instskip(NEXT) | instid1(VALU_DEP_1)
	v_fmac_f32_e32 v24, v21, v11
	v_add_f32_e32 v32, v29, v24
	s_delay_alu instid0(VALU_DEP_1) | instskip(SKIP_1) | instid1(VALU_DEP_2)
	v_sub_f32_e32 v34, 1.0, v32
	v_ldexp_f32 v23, v23, v19
	v_sub_f32_e32 v38, 1.0, v34
	s_delay_alu instid0(VALU_DEP_2) | instskip(SKIP_1) | instid1(VALU_DEP_1)
	v_rcp_f32_e32 v25, v23
	v_ldexp_f32 v17, v17, v18
	v_fmac_f32_e32 v31, v14, v17
	s_waitcnt_depctr 0xfff
	v_mul_f32_e32 v19, v23, v25
	v_add_f32_e32 v37, v30, v31
	s_delay_alu instid0(VALU_DEP_2) | instskip(NEXT) | instid1(VALU_DEP_2)
	v_fma_f32 v18, v25, v23, -v19
	v_sub_f32_e32 v26, 1.0, v37
	v_sub_f32_e32 v30, v37, v30
	s_delay_alu instid0(VALU_DEP_3) | instskip(SKIP_1) | instid1(VALU_DEP_2)
	v_dual_fmac_f32 v18, v25, v15 :: v_dual_sub_f32 v29, v32, v29
	v_sub_f32_e32 v32, v38, v32
	v_dual_sub_f32 v30, v30, v31 :: v_dual_add_f32 v35, v19, v18
	s_delay_alu instid0(VALU_DEP_1) | instskip(NEXT) | instid1(VALU_DEP_1)
	v_dual_sub_f32 v24, v29, v24 :: v_dual_sub_f32 v29, 1.0, v35
	v_dual_sub_f32 v19, v35, v19 :: v_dual_add_f32 v24, v24, v32
	s_delay_alu instid0(VALU_DEP_2) | instskip(NEXT) | instid1(VALU_DEP_2)
	v_dual_sub_f32 v39, 1.0, v36 :: v_dual_sub_f32 v38, 1.0, v29
	v_sub_f32_e32 v18, v19, v18
	s_delay_alu instid0(VALU_DEP_2) | instskip(SKIP_1) | instid1(VALU_DEP_4)
	v_dual_add_f32 v32, v34, v24 :: v_dual_sub_f32 v19, v39, v33
	v_sub_f32_e32 v33, 1.0, v26
	v_sub_f32_e32 v31, v38, v35
	s_delay_alu instid0(VALU_DEP_2) | instskip(NEXT) | instid1(VALU_DEP_1)
	v_dual_add_f32 v16, v16, v19 :: v_dual_sub_f32 v19, v33, v37
	v_dual_add_f32 v19, v30, v19 :: v_dual_mul_f32 v30, v21, v32
	s_delay_alu instid0(VALU_DEP_2) | instskip(SKIP_1) | instid1(VALU_DEP_3)
	v_dual_add_f32 v18, v18, v31 :: v_dual_add_f32 v31, v36, v16
	v_sub_f32_e32 v33, v34, v32
	v_mul_f32_e32 v38, v22, v30
	s_delay_alu instid0(VALU_DEP_3) | instskip(NEXT) | instid1(VALU_DEP_4)
	v_add_f32_e32 v34, v29, v18
	v_sub_f32_e32 v36, v36, v31
	s_delay_alu instid0(VALU_DEP_4) | instskip(SKIP_1) | instid1(VALU_DEP_3)
	v_dual_add_f32 v37, v26, v19 :: v_dual_add_f32 v24, v24, v33
	v_mul_f32_e32 v35, v27, v31
	v_dual_mul_f32 v39, v25, v34 :: v_dual_add_f32 v16, v16, v36
	s_delay_alu instid0(VALU_DEP_3) | instskip(NEXT) | instid1(VALU_DEP_3)
	v_mul_f32_e32 v41, v14, v37
	v_dual_add_f32 v33, v21, v30 :: v_dual_mul_f32 v40, v20, v35
	v_fma_f32 v42, v30, v22, -v38
	s_delay_alu instid0(VALU_DEP_3)
	v_dual_mul_f32 v44, v23, v39 :: v_dual_mul_f32 v47, v28, v41
	v_dual_sub_f32 v29, v29, v34 :: v_dual_add_f32 v36, v27, v35
	v_sub_f32_e32 v26, v26, v37
	v_fma_f32 v45, v35, v20, -v40
	v_fmac_f32_e32 v42, v30, v11
	v_fma_f32 v49, v41, v28, -v47
	v_dual_sub_f32 v43, v33, v21 :: v_dual_sub_f32 v46, v36, v27
	v_dual_add_f32 v18, v18, v29 :: v_dual_add_f32 v29, v25, v39
	v_dual_add_f32 v19, v19, v26 :: v_dual_add_f32 v26, v14, v41
	v_dual_fmac_f32 v45, v35, v12 :: v_dual_add_f32 v50, v38, v42
	s_delay_alu instid0(VALU_DEP_4) | instskip(SKIP_3) | instid1(VALU_DEP_4)
	v_dual_fmac_f32 v49, v41, v17 :: v_dual_sub_f32 v30, v30, v43
	v_sub_f32_e32 v35, v35, v46
	v_fma_f32 v43, v39, v23, -v44
	v_sub_f32_e32 v48, v29, v25
	v_add_f32_e32 v54, v47, v49
	v_add_f32_e32 v46, v40, v45
	v_sub_f32_e32 v51, v32, v50
	s_delay_alu instid0(VALU_DEP_2) | instskip(NEXT) | instid1(VALU_DEP_1)
	v_dual_fmac_f32 v43, v39, v15 :: v_dual_sub_f32 v40, v46, v40
	v_dual_sub_f32 v40, v40, v45 :: v_dual_sub_f32 v45, v37, v54
	s_delay_alu instid0(VALU_DEP_2) | instskip(NEXT) | instid1(VALU_DEP_2)
	v_dual_add_f32 v52, v44, v43 :: v_dual_sub_f32 v53, v31, v46
	v_dual_sub_f32 v38, v50, v38 :: v_dual_sub_f32 v37, v37, v45
	s_delay_alu instid0(VALU_DEP_2) | instskip(NEXT) | instid1(VALU_DEP_2)
	v_dual_sub_f32 v31, v31, v53 :: v_dual_sub_f32 v32, v32, v51
	v_sub_f32_e32 v38, v38, v42
	s_delay_alu instid0(VALU_DEP_2) | instskip(NEXT) | instid1(VALU_DEP_1)
	v_sub_f32_e32 v31, v31, v46
	v_dual_add_f32 v16, v16, v31 :: v_dual_sub_f32 v31, v37, v54
	s_delay_alu instid0(VALU_DEP_1) | instskip(SKIP_2) | instid1(VALU_DEP_1)
	v_dual_sub_f32 v32, v32, v50 :: v_dual_add_f32 v19, v19, v31
	v_dual_sub_f32 v31, v26, v14 :: v_dual_sub_f32 v42, v52, v44
	v_sub_f32_e32 v47, v54, v47
	v_dual_sub_f32 v44, v34, v52 :: v_dual_sub_f32 v37, v47, v49
	s_delay_alu instid0(VALU_DEP_1) | instskip(SKIP_1) | instid1(VALU_DEP_2)
	v_dual_sub_f32 v34, v34, v44 :: v_dual_add_f32 v19, v37, v19
	v_add_f32_e32 v24, v24, v32
	v_dual_sub_f32 v34, v34, v52 :: v_dual_add_f32 v19, v45, v19
	s_delay_alu instid0(VALU_DEP_2) | instskip(NEXT) | instid1(VALU_DEP_2)
	v_add_f32_e32 v24, v38, v24
	v_mul_f32_e32 v14, v14, v19
	s_delay_alu instid0(VALU_DEP_2) | instskip(NEXT) | instid1(VALU_DEP_1)
	v_add_f32_e32 v24, v51, v24
	v_dual_sub_f32 v32, v42, v43 :: v_dual_mul_f32 v21, v21, v24
	s_delay_alu instid0(VALU_DEP_1) | instskip(NEXT) | instid1(VALU_DEP_1)
	v_dual_add_f32 v21, v30, v21 :: v_dual_add_f32 v16, v40, v16
	v_add_f32_e32 v19, v33, v21
	s_delay_alu instid0(VALU_DEP_2) | instskip(NEXT) | instid1(VALU_DEP_1)
	v_add_f32_e32 v16, v53, v16
	v_dual_mul_f32 v16, v27, v16 :: v_dual_sub_f32 v27, v41, v31
	v_add_f32_e32 v18, v18, v34
	s_delay_alu instid0(VALU_DEP_1) | instskip(NEXT) | instid1(VALU_DEP_1)
	v_add_f32_e32 v18, v32, v18
	v_add_f32_e32 v18, v44, v18
	s_delay_alu instid0(VALU_DEP_1) | instskip(SKIP_1) | instid1(VALU_DEP_2)
	v_dual_mul_f32 v18, v25, v18 :: v_dual_sub_f32 v25, v19, v33
	v_ldexp_f32 v19, v19, -2
	v_sub_f32_e32 v21, v21, v25
	s_delay_alu instid0(VALU_DEP_2) | instskip(NEXT) | instid1(VALU_DEP_2)
	v_dual_sub_f32 v25, v22, v19 :: v_dual_add_f32 v14, v27, v14
	v_ldexp_f32 v21, v21, -2
	s_delay_alu instid0(VALU_DEP_2) | instskip(NEXT) | instid1(VALU_DEP_3)
	v_sub_f32_e32 v22, v22, v25
	v_dual_sub_f32 v24, v39, v48 :: v_dual_add_f32 v31, v26, v14
	s_delay_alu instid0(VALU_DEP_1) | instskip(NEXT) | instid1(VALU_DEP_1)
	v_dual_sub_f32 v19, v22, v19 :: v_dual_add_f32 v18, v24, v18
	v_add_f32_e32 v11, v11, v19
	s_delay_alu instid0(VALU_DEP_2) | instskip(NEXT) | instid1(VALU_DEP_2)
	v_add_f32_e32 v27, v29, v18
	v_sub_f32_e32 v11, v11, v21
	s_delay_alu instid0(VALU_DEP_2) | instskip(SKIP_1) | instid1(VALU_DEP_2)
	v_sub_f32_e32 v29, v27, v29
	v_ldexp_f32 v27, v27, -2
	v_dual_add_f32 v11, v25, v11 :: v_dual_sub_f32 v18, v18, v29
	s_delay_alu instid0(VALU_DEP_2) | instskip(SKIP_2) | instid1(VALU_DEP_4)
	v_sub_f32_e32 v29, v23, v27
	v_sub_f32_e32 v26, v31, v26
	v_ldexp_f32 v31, v31, -2
	v_cndmask_b32_e32 v11, 0x7f800000, v11, vcc_lo
	v_ldexp_f32 v18, v18, -2
	v_sub_f32_e32 v22, v23, v29
	v_cmp_nlt_f32_e64 vcc_lo, 0x42b2d4fc, |v10|
	v_sub_f32_e32 v32, v28, v31
	v_cndmask_b32_e64 v7, v11, |v7|, s0
	v_cmp_gt_f32_e64 s0, 0x39800000, |v10|
	v_sub_f32_e32 v19, v22, v27
	s_delay_alu instid0(VALU_DEP_4) | instskip(NEXT) | instid1(VALU_DEP_4)
	v_sub_f32_e32 v23, v28, v32
	v_cvt_f16_f32_e32 v7, v7
	s_delay_alu instid0(VALU_DEP_3) | instskip(NEXT) | instid1(VALU_DEP_3)
	v_add_f32_e32 v15, v15, v19
	v_sub_f32_e32 v22, v23, v31
	v_add_f32_e32 v16, v35, v16
	s_delay_alu instid0(VALU_DEP_4) | instskip(NEXT) | instid1(VALU_DEP_4)
	v_bfi_b32 v5, 0x7fff, v7, v5
	v_sub_f32_e32 v15, v15, v18
	s_delay_alu instid0(VALU_DEP_3) | instskip(NEXT) | instid1(VALU_DEP_2)
	v_dual_add_f32 v17, v17, v22 :: v_dual_add_f32 v24, v36, v16
	v_dual_add_f32 v15, v29, v15 :: v_dual_sub_f32 v14, v14, v26
	s_delay_alu instid0(VALU_DEP_2) | instskip(SKIP_1) | instid1(VALU_DEP_3)
	v_sub_f32_e32 v30, v24, v36
	v_ldexp_f32 v24, v24, -2
	v_ldexp_f32 v14, v14, -2
	s_delay_alu instid0(VALU_DEP_3) | instskip(NEXT) | instid1(VALU_DEP_3)
	v_sub_f32_e32 v16, v16, v30
	v_sub_f32_e32 v30, v20, v24
	s_delay_alu instid0(VALU_DEP_3) | instskip(NEXT) | instid1(VALU_DEP_3)
	v_sub_f32_e32 v14, v17, v14
	v_ldexp_f32 v16, v16, -2
	s_delay_alu instid0(VALU_DEP_3) | instskip(NEXT) | instid1(VALU_DEP_3)
	v_sub_f32_e32 v20, v20, v30
	v_add_f32_e32 v14, v32, v14
	s_delay_alu instid0(VALU_DEP_2) | instskip(NEXT) | instid1(VALU_DEP_1)
	v_sub_f32_e32 v20, v20, v24
	v_add_f32_e32 v12, v12, v20
	s_delay_alu instid0(VALU_DEP_1) | instskip(NEXT) | instid1(VALU_DEP_1)
	v_sub_f32_e32 v12, v12, v16
	v_add_f32_e32 v12, v30, v12
	s_delay_alu instid0(VALU_DEP_1) | instskip(SKIP_1) | instid1(VALU_DEP_2)
	v_cndmask_b32_e32 v12, 0x7f800000, v12, vcc_lo
	v_cmp_nlt_f32_e64 vcc_lo, 0x42b2d4fc, |v13|
	v_cndmask_b32_e64 v10, v12, |v10|, s0
	v_cndmask_b32_e32 v11, 0x7f800000, v14, vcc_lo
	v_cmp_nlt_f32_e64 vcc_lo, 0x42b2d4fc, |v9|
	v_cmp_gt_f32_e64 s0, 0x39800000, |v13|
	s_delay_alu instid0(VALU_DEP_4) | instskip(SKIP_1) | instid1(VALU_DEP_3)
	v_cvt_f16_f32_e32 v10, v10
	v_cndmask_b32_e32 v14, 0x7f800000, v15, vcc_lo
	v_cndmask_b32_e64 v11, v11, |v13|, s0
	v_cmp_gt_f32_e64 s0, 0x39800000, |v9|
	s_delay_alu instid0(VALU_DEP_4) | instskip(SKIP_1) | instid1(VALU_DEP_4)
	v_bfi_b32 v6, 0x7fff, v10, v6
	v_cmp_le_i64_e32 vcc_lo, s[6:7], v[1:2]
	v_cvt_f16_f32_e32 v11, v11
	s_delay_alu instid0(VALU_DEP_4) | instskip(SKIP_2) | instid1(VALU_DEP_4)
	v_cndmask_b32_e64 v9, v14, |v9|, s0
	v_cmp_lt_u64_e64 s0, 0xffff, v[1:2]
	v_add_co_u32 v1, s1, v1, s3
	v_bfi_b32 v7, 0x7fff, v11, v8
	s_delay_alu instid0(VALU_DEP_4) | instskip(SKIP_2) | instid1(VALU_DEP_3)
	v_cvt_f16_f32_e32 v9, v9
	v_add_co_ci_u32_e64 v2, s1, 0, v2, s1
	s_or_b32 s0, vcc_lo, s0
	v_pack_b32_f16 v6, v6, v7
	s_delay_alu instid0(VALU_DEP_3) | instskip(SKIP_1) | instid1(SALU_CYCLE_1)
	v_bfi_b32 v0, 0x7fff, v9, v0
	s_and_b32 s0, exec_lo, s0
	s_or_b32 s2, s0, s2
	s_delay_alu instid0(VALU_DEP_1)
	v_pack_b32_f16 v5, v5, v0
	global_store_b64 v[3:4], v[5:6], off offset:-4
	v_add_co_u32 v3, vcc_lo, v3, s4
	v_add_co_ci_u32_e32 v4, vcc_lo, 0, v4, vcc_lo
	s_and_not1_b32 exec_lo, exec_lo, s2
	s_cbranch_execnz .LBB128_24
.LBB128_25:
	s_nop 0
	s_sendmsg sendmsg(MSG_DEALLOC_VGPRS)
	s_endpgm
	.section	.rodata,"a",@progbits
	.p2align	6, 0x0
	.amdhsa_kernel _ZN2at6native12_GLOBAL__N_125multi_tensor_apply_kernelINS1_18TensorListMetadataILi1EEENS1_14UnaryOpFunctorIN3c104HalfELi1ELi1ELi0EEEJNS0_4SinhIfEEEEEvT_T0_DpT1_
		.amdhsa_group_segment_fixed_size 0
		.amdhsa_private_segment_fixed_size 0
		.amdhsa_kernarg_size 3632
		.amdhsa_user_sgpr_count 15
		.amdhsa_user_sgpr_dispatch_ptr 0
		.amdhsa_user_sgpr_queue_ptr 0
		.amdhsa_user_sgpr_kernarg_segment_ptr 1
		.amdhsa_user_sgpr_dispatch_id 0
		.amdhsa_user_sgpr_private_segment_size 0
		.amdhsa_wavefront_size32 1
		.amdhsa_uses_dynamic_stack 0
		.amdhsa_enable_private_segment 0
		.amdhsa_system_sgpr_workgroup_id_x 1
		.amdhsa_system_sgpr_workgroup_id_y 0
		.amdhsa_system_sgpr_workgroup_id_z 0
		.amdhsa_system_sgpr_workgroup_info 0
		.amdhsa_system_vgpr_workitem_id 0
		.amdhsa_next_free_vgpr 55
		.amdhsa_next_free_sgpr 21
		.amdhsa_reserve_vcc 1
		.amdhsa_float_round_mode_32 0
		.amdhsa_float_round_mode_16_64 0
		.amdhsa_float_denorm_mode_32 3
		.amdhsa_float_denorm_mode_16_64 3
		.amdhsa_dx10_clamp 1
		.amdhsa_ieee_mode 1
		.amdhsa_fp16_overflow 0
		.amdhsa_workgroup_processor_mode 1
		.amdhsa_memory_ordered 1
		.amdhsa_forward_progress 0
		.amdhsa_shared_vgpr_count 0
		.amdhsa_exception_fp_ieee_invalid_op 0
		.amdhsa_exception_fp_denorm_src 0
		.amdhsa_exception_fp_ieee_div_zero 0
		.amdhsa_exception_fp_ieee_overflow 0
		.amdhsa_exception_fp_ieee_underflow 0
		.amdhsa_exception_fp_ieee_inexact 0
		.amdhsa_exception_int_div_zero 0
	.end_amdhsa_kernel
	.section	.text._ZN2at6native12_GLOBAL__N_125multi_tensor_apply_kernelINS1_18TensorListMetadataILi1EEENS1_14UnaryOpFunctorIN3c104HalfELi1ELi1ELi0EEEJNS0_4SinhIfEEEEEvT_T0_DpT1_,"axG",@progbits,_ZN2at6native12_GLOBAL__N_125multi_tensor_apply_kernelINS1_18TensorListMetadataILi1EEENS1_14UnaryOpFunctorIN3c104HalfELi1ELi1ELi0EEEJNS0_4SinhIfEEEEEvT_T0_DpT1_,comdat
.Lfunc_end128:
	.size	_ZN2at6native12_GLOBAL__N_125multi_tensor_apply_kernelINS1_18TensorListMetadataILi1EEENS1_14UnaryOpFunctorIN3c104HalfELi1ELi1ELi0EEEJNS0_4SinhIfEEEEEvT_T0_DpT1_, .Lfunc_end128-_ZN2at6native12_GLOBAL__N_125multi_tensor_apply_kernelINS1_18TensorListMetadataILi1EEENS1_14UnaryOpFunctorIN3c104HalfELi1ELi1ELi0EEEJNS0_4SinhIfEEEEEvT_T0_DpT1_
                                        ; -- End function
	.section	.AMDGPU.csdata,"",@progbits
; Kernel info:
; codeLenInByte = 6984
; NumSgprs: 23
; NumVgprs: 55
; ScratchSize: 0
; MemoryBound: 0
; FloatMode: 240
; IeeeMode: 1
; LDSByteSize: 0 bytes/workgroup (compile time only)
; SGPRBlocks: 2
; VGPRBlocks: 6
; NumSGPRsForWavesPerEU: 23
; NumVGPRsForWavesPerEU: 55
; Occupancy: 16
; WaveLimiterHint : 0
; COMPUTE_PGM_RSRC2:SCRATCH_EN: 0
; COMPUTE_PGM_RSRC2:USER_SGPR: 15
; COMPUTE_PGM_RSRC2:TRAP_HANDLER: 0
; COMPUTE_PGM_RSRC2:TGID_X_EN: 1
; COMPUTE_PGM_RSRC2:TGID_Y_EN: 0
; COMPUTE_PGM_RSRC2:TGID_Z_EN: 0
; COMPUTE_PGM_RSRC2:TIDIG_COMP_CNT: 0
	.section	.text._ZN2at6native12_GLOBAL__N_125multi_tensor_apply_kernelINS1_18TensorListMetadataILi1EEENS1_14UnaryOpFunctorIN3c108BFloat16ELi1ELi1ELi0EEEJNS0_4SinhIfEEEEEvT_T0_DpT1_,"axG",@progbits,_ZN2at6native12_GLOBAL__N_125multi_tensor_apply_kernelINS1_18TensorListMetadataILi1EEENS1_14UnaryOpFunctorIN3c108BFloat16ELi1ELi1ELi0EEEJNS0_4SinhIfEEEEEvT_T0_DpT1_,comdat
	.globl	_ZN2at6native12_GLOBAL__N_125multi_tensor_apply_kernelINS1_18TensorListMetadataILi1EEENS1_14UnaryOpFunctorIN3c108BFloat16ELi1ELi1ELi0EEEJNS0_4SinhIfEEEEEvT_T0_DpT1_ ; -- Begin function _ZN2at6native12_GLOBAL__N_125multi_tensor_apply_kernelINS1_18TensorListMetadataILi1EEENS1_14UnaryOpFunctorIN3c108BFloat16ELi1ELi1ELi0EEEJNS0_4SinhIfEEEEEvT_T0_DpT1_
	.p2align	8
	.type	_ZN2at6native12_GLOBAL__N_125multi_tensor_apply_kernelINS1_18TensorListMetadataILi1EEENS1_14UnaryOpFunctorIN3c108BFloat16ELi1ELi1ELi0EEEJNS0_4SinhIfEEEEEvT_T0_DpT1_,@function
_ZN2at6native12_GLOBAL__N_125multi_tensor_apply_kernelINS1_18TensorListMetadataILi1EEENS1_14UnaryOpFunctorIN3c108BFloat16ELi1ELi1ELi0EEEJNS0_4SinhIfEEEEEvT_T0_DpT1_: ; @_ZN2at6native12_GLOBAL__N_125multi_tensor_apply_kernelINS1_18TensorListMetadataILi1EEENS1_14UnaryOpFunctorIN3c108BFloat16ELi1ELi1ELi0EEEJNS0_4SinhIfEEEEEvT_T0_DpT1_
; %bb.0:
	v_mov_b32_e32 v1, s15
	s_add_u32 s2, s0, s15
	s_mul_hi_u32 s3, s15, 3
	s_mul_i32 s15, s15, 3
	s_addc_u32 s4, s1, 0
	global_load_u8 v1, v1, s[0:1] offset:1760
	s_add_u32 s2, s2, s15
	s_addc_u32 s3, s4, s3
	s_mov_b32 s13, 0
	s_load_b32 s2, s[2:3], 0x820
	s_waitcnt vmcnt(0)
	v_readfirstlane_b32 s5, v1
	s_delay_alu instid0(VALU_DEP_1)
	s_lshl_b32 s3, s5, 3
	s_clause 0x1
	s_load_b64 s[8:9], s[0:1], s3 offset:0x0
	s_load_b64 s[4:5], s[0:1], s3 offset:0x370
	s_waitcnt lgkmcnt(0)
	s_ashr_i32 s3, s2, 31
	s_delay_alu instid0(SALU_CYCLE_1)
	s_lshl_b64 s[10:11], s[2:3], 17
	s_lshl_b64 s[2:3], s[2:3], 16
	s_and_b32 s12, s8, 7
	s_sub_u32 s6, s4, s2
	s_subb_u32 s7, s5, s3
	s_and_b32 s2, s4, 3
	s_mov_b32 s3, s13
	s_delay_alu instid0(SALU_CYCLE_1) | instskip(NEXT) | instid1(SALU_CYCLE_1)
	s_or_b64 s[2:3], s[12:13], s[2:3]
	s_cmp_eq_u64 s[2:3], 0
	s_cbranch_scc1 .LBB129_21
; %bb.1:
	v_cmp_lt_i64_e64 s2, s[6:7], 1
	s_delay_alu instid0(VALU_DEP_1)
	s_and_b32 vcc_lo, exec_lo, s2
	s_cbranch_vccnz .LBB129_20
; %bb.2:
	s_load_b32 s2, s[0:1], 0xd3c
	v_cmp_gt_u64_e64 s3, 0x10000, s[6:7]
	v_lshlrev_b32_e32 v1, 1, v0
	s_mov_b32 s19, 0x3ab42872
	s_waitcnt lgkmcnt(0)
	s_and_b32 s2, s2, 0xffff
	s_delay_alu instid0(VALU_DEP_2)
	s_and_b32 s3, s3, exec_lo
	v_add_co_u32 v5, s5, v0, s2
	s_cselect_b32 s13, s7, 0
	s_cselect_b32 s12, s6, 0x10000
	s_lshl_b32 s3, s2, 1
	s_lshl_b32 s16, s2, 2
	v_lshlrev_b32_e32 v3, 1, v5
	v_add_co_ci_u32_e64 v6, null, 0, 0, s5
	s_add_u32 s5, s8, s10
	v_add_co_u32 v9, s3, s3, v0
	s_mul_i32 s4, s2, 3
	s_addc_u32 s14, s9, s11
	v_add_co_ci_u32_e64 v10, null, 0, 0, s3
	v_add_co_u32 v1, s3, s5, v1
	v_add_co_u32 v7, s4, s4, v0
	v_add_co_ci_u32_e64 v2, null, s14, 0, s3
	v_add_co_u32 v3, s3, s5, v3
	v_add_co_ci_u32_e64 v8, null, 0, 0, s4
	v_add_co_ci_u32_e64 v4, null, s14, 0, s3
	s_lshl_b32 s17, s2, 3
	s_mul_i32 s18, s2, 6
	s_mov_b64 s[14:15], 0
	s_branch .LBB129_4
.LBB129_3:                              ;   in Loop: Header=BB129_4 Depth=1
	s_or_b32 exec_lo, exec_lo, s2
	s_add_u32 s14, s14, s16
	s_addc_u32 s15, s15, 0
	v_add_co_u32 v1, vcc_lo, v1, s17
	v_cmp_lt_i64_e64 s2, s[14:15], s[6:7]
	v_cmp_gt_u64_e64 s3, 0x10000, s[14:15]
	v_add_co_ci_u32_e32 v2, vcc_lo, 0, v2, vcc_lo
	v_add_co_u32 v3, vcc_lo, v3, s17
	v_add_co_ci_u32_e32 v4, vcc_lo, 0, v4, vcc_lo
	s_delay_alu instid0(VALU_DEP_4) | instskip(NEXT) | instid1(SALU_CYCLE_1)
	s_and_b32 s2, s2, s3
	s_and_b32 vcc_lo, exec_lo, s2
	s_cbranch_vccz .LBB129_20
.LBB129_4:                              ; =>This Inner Loop Header: Depth=1
	s_waitcnt vmcnt(0)
	v_add_co_u32 v11, s2, v0, s14
	s_delay_alu instid0(VALU_DEP_1) | instskip(SKIP_1) | instid1(VALU_DEP_2)
	v_add_co_ci_u32_e64 v12, null, 0, s15, s2
	v_mov_b32_e32 v14, 0
	v_cmp_gt_u64_e64 s4, s[12:13], v[11:12]
	s_delay_alu instid0(VALU_DEP_1)
	s_and_saveexec_b32 s2, s4
	s_cbranch_execz .LBB129_6
; %bb.5:                                ;   in Loop: Header=BB129_4 Depth=1
	global_load_u16 v14, v[1:2], off
.LBB129_6:                              ;   in Loop: Header=BB129_4 Depth=1
	s_or_b32 exec_lo, exec_lo, s2
	v_add_co_u32 v11, vcc_lo, v5, s14
	v_add_co_ci_u32_e32 v12, vcc_lo, s15, v6, vcc_lo
	v_mov_b32_e32 v13, 0
	s_delay_alu instid0(VALU_DEP_2) | instskip(NEXT) | instid1(VALU_DEP_1)
	v_cmp_gt_u64_e64 s3, s[12:13], v[11:12]
	s_and_saveexec_b32 s2, s3
	s_cbranch_execz .LBB129_8
; %bb.7:                                ;   in Loop: Header=BB129_4 Depth=1
	global_load_u16 v13, v[3:4], off
.LBB129_8:                              ;   in Loop: Header=BB129_4 Depth=1
	s_or_b32 exec_lo, exec_lo, s2
	v_add_co_u32 v11, vcc_lo, v9, s14
	v_add_co_ci_u32_e32 v12, vcc_lo, s15, v10, vcc_lo
	s_delay_alu instid0(VALU_DEP_1) | instskip(SKIP_1) | instid1(VALU_DEP_2)
	v_cmp_gt_u64_e64 s2, s[12:13], v[11:12]
	v_dual_mov_b32 v11, 0 :: v_dual_mov_b32 v12, 0
	s_and_saveexec_b32 s5, s2
	s_cbranch_execz .LBB129_10
; %bb.9:                                ;   in Loop: Header=BB129_4 Depth=1
	v_add_co_u32 v15, vcc_lo, v1, s16
	v_add_co_ci_u32_e32 v16, vcc_lo, 0, v2, vcc_lo
	global_load_u16 v12, v[15:16], off
.LBB129_10:                             ;   in Loop: Header=BB129_4 Depth=1
	s_or_b32 exec_lo, exec_lo, s5
	v_add_co_u32 v15, vcc_lo, v7, s14
	v_add_co_ci_u32_e32 v16, vcc_lo, s15, v8, vcc_lo
	s_delay_alu instid0(VALU_DEP_1)
	v_cmp_gt_u64_e32 vcc_lo, s[12:13], v[15:16]
	s_and_saveexec_b32 s20, vcc_lo
	s_cbranch_execnz .LBB129_15
; %bb.11:                               ;   in Loop: Header=BB129_4 Depth=1
	s_or_b32 exec_lo, exec_lo, s20
	s_and_saveexec_b32 s5, s4
	s_cbranch_execnz .LBB129_16
.LBB129_12:                             ;   in Loop: Header=BB129_4 Depth=1
	s_or_b32 exec_lo, exec_lo, s5
	s_and_saveexec_b32 s4, s3
	s_cbranch_execnz .LBB129_17
.LBB129_13:                             ;   in Loop: Header=BB129_4 Depth=1
	s_or_b32 exec_lo, exec_lo, s4
	s_and_saveexec_b32 s3, s2
	s_cbranch_execnz .LBB129_18
.LBB129_14:                             ;   in Loop: Header=BB129_4 Depth=1
	s_or_b32 exec_lo, exec_lo, s3
	s_and_saveexec_b32 s2, vcc_lo
	s_cbranch_execz .LBB129_3
	s_branch .LBB129_19
.LBB129_15:                             ;   in Loop: Header=BB129_4 Depth=1
	v_add_co_u32 v15, s5, v1, s18
	s_delay_alu instid0(VALU_DEP_1)
	v_add_co_ci_u32_e64 v16, s5, 0, v2, s5
	global_load_u16 v11, v[15:16], off
	s_or_b32 exec_lo, exec_lo, s20
	s_and_saveexec_b32 s5, s4
	s_cbranch_execz .LBB129_12
.LBB129_16:                             ;   in Loop: Header=BB129_4 Depth=1
	s_waitcnt vmcnt(0)
	v_lshlrev_b32_e32 v14, 16, v14
	s_delay_alu instid0(VALU_DEP_1) | instskip(NEXT) | instid1(VALU_DEP_1)
	v_add_f32_e64 v15, 0xbf317218, |v14|
	v_sub_f32_e64 v16, v15, |v14|
	s_delay_alu instid0(VALU_DEP_1) | instskip(SKIP_1) | instid1(VALU_DEP_2)
	v_dual_sub_f32 v17, v16, v15 :: v_dual_add_f32 v16, 0x3f317218, v16
	v_cmp_nlt_f32_e64 s4, 0x42b2d4fc, |v14|
	v_add_f32_e64 v17, |v14|, v17
	s_delay_alu instid0(VALU_DEP_1) | instskip(NEXT) | instid1(VALU_DEP_1)
	v_sub_f32_e32 v16, v17, v16
	v_add_f32_e32 v16, 0x3102e308, v16
	s_delay_alu instid0(VALU_DEP_1) | instskip(NEXT) | instid1(VALU_DEP_1)
	v_add_f32_e32 v17, v15, v16
	v_sub_f32_e32 v15, v15, v17
	s_delay_alu instid0(VALU_DEP_1) | instskip(NEXT) | instid1(VALU_DEP_1)
	v_dual_mul_f32 v18, 0x3fb8aa3b, v17 :: v_dual_add_f32 v15, v16, v15
	v_rndne_f32_e32 v18, v18
	s_delay_alu instid0(VALU_DEP_1) | instskip(SKIP_1) | instid1(VALU_DEP_1)
	v_mul_f32_e32 v16, 0x35bfbc00, v18
	v_fmac_f32_e32 v17, 0xbf317200, v18
	v_add_f32_e32 v19, v15, v17
	s_delay_alu instid0(VALU_DEP_1) | instskip(NEXT) | instid1(VALU_DEP_1)
	v_dual_sub_f32 v20, v19, v16 :: v_dual_sub_f32 v17, v17, v19
	v_sub_f32_e32 v19, v19, v20
	s_delay_alu instid0(VALU_DEP_2) | instskip(NEXT) | instid1(VALU_DEP_2)
	v_add_f32_e32 v15, v15, v17
	v_sub_f32_e32 v16, v19, v16
	s_delay_alu instid0(VALU_DEP_1) | instskip(NEXT) | instid1(VALU_DEP_1)
	v_dual_add_f32 v15, v15, v16 :: v_dual_mul_f32 v16, 0x2ea39ef3, v18
	v_add_f32_e32 v17, v20, v15
	s_delay_alu instid0(VALU_DEP_1) | instskip(NEXT) | instid1(VALU_DEP_1)
	v_dual_sub_f32 v20, v20, v17 :: v_dual_sub_f32 v19, v17, v16
	v_add_f32_e32 v15, v15, v20
	s_delay_alu instid0(VALU_DEP_2) | instskip(NEXT) | instid1(VALU_DEP_1)
	v_sub_f32_e32 v17, v17, v19
	v_sub_f32_e32 v16, v17, v16
	s_delay_alu instid0(VALU_DEP_1) | instskip(NEXT) | instid1(VALU_DEP_1)
	v_add_f32_e32 v15, v15, v16
	v_add_f32_e32 v16, v19, v15
	s_delay_alu instid0(VALU_DEP_1) | instskip(SKIP_1) | instid1(VALU_DEP_2)
	v_sub_f32_e32 v17, v19, v16
	v_mul_f32_e32 v19, v16, v16
	v_add_f32_e32 v15, v15, v17
	v_fmaak_f32 v17, s19, v16, 0x3c091de6
	s_delay_alu instid0(VALU_DEP_3) | instskip(NEXT) | instid1(VALU_DEP_3)
	v_fma_f32 v20, v16, v16, -v19
	v_add_f32_e32 v21, v15, v15
	s_delay_alu instid0(VALU_DEP_3) | instskip(NEXT) | instid1(VALU_DEP_2)
	v_fmaak_f32 v17, v16, v17, 0x3d2aadcc
	v_fmac_f32_e32 v20, v16, v21
	s_delay_alu instid0(VALU_DEP_2) | instskip(NEXT) | instid1(VALU_DEP_2)
	v_fmaak_f32 v17, v16, v17, 0x3e2aaa47
	v_add_f32_e32 v21, v19, v20
	s_delay_alu instid0(VALU_DEP_2) | instskip(NEXT) | instid1(VALU_DEP_2)
	v_fmaak_f32 v17, v16, v17, 0x3efffffc
	v_sub_f32_e32 v19, v21, v19
	s_delay_alu instid0(VALU_DEP_1) | instskip(NEXT) | instid1(VALU_DEP_1)
	v_dual_mul_f32 v22, v17, v21 :: v_dual_sub_f32 v19, v20, v19
	v_fma_f32 v20, v21, v17, -v22
	s_delay_alu instid0(VALU_DEP_1) | instskip(NEXT) | instid1(VALU_DEP_1)
	v_fmac_f32_e32 v20, v19, v17
	v_add_f32_e32 v17, v22, v20
	s_delay_alu instid0(VALU_DEP_1) | instskip(SKIP_1) | instid1(VALU_DEP_1)
	v_sub_f32_e32 v19, v17, v22
	v_add_f32_e32 v21, v16, v17
	v_dual_sub_f32 v19, v20, v19 :: v_dual_sub_f32 v16, v21, v16
	s_delay_alu instid0(VALU_DEP_1) | instskip(NEXT) | instid1(VALU_DEP_1)
	v_dual_add_f32 v15, v15, v19 :: v_dual_sub_f32 v16, v17, v16
	v_add_f32_e32 v15, v15, v16
	s_delay_alu instid0(VALU_DEP_1) | instskip(NEXT) | instid1(VALU_DEP_1)
	v_add_f32_e32 v16, v21, v15
	v_add_f32_e32 v17, 1.0, v16
	v_sub_f32_e32 v19, v16, v21
	s_delay_alu instid0(VALU_DEP_1) | instskip(NEXT) | instid1(VALU_DEP_1)
	v_dual_add_f32 v20, -1.0, v17 :: v_dual_sub_f32 v15, v15, v19
	v_sub_f32_e32 v16, v16, v20
	s_delay_alu instid0(VALU_DEP_1) | instskip(SKIP_1) | instid1(VALU_DEP_2)
	v_add_f32_e32 v15, v15, v16
	v_cvt_i32_f32_e32 v16, v18
	v_add_f32_e32 v18, v17, v15
	s_delay_alu instid0(VALU_DEP_1) | instskip(NEXT) | instid1(VALU_DEP_1)
	v_ldexp_f32 v19, v18, v16
	v_rcp_f32_e32 v20, v19
	v_sub_f32_e32 v17, v18, v17
	s_delay_alu instid0(VALU_DEP_1) | instskip(SKIP_3) | instid1(VALU_DEP_2)
	v_sub_f32_e32 v15, v15, v17
	s_waitcnt_depctr 0xfff
	v_mul_f32_e32 v17, v19, v20
	v_ldexp_f32 v15, v15, v16
	v_fma_f32 v16, v20, v19, -v17
	s_delay_alu instid0(VALU_DEP_1) | instskip(NEXT) | instid1(VALU_DEP_1)
	v_fmac_f32_e32 v16, v20, v15
	v_add_f32_e32 v18, v17, v16
	s_delay_alu instid0(VALU_DEP_1) | instskip(SKIP_1) | instid1(VALU_DEP_2)
	v_sub_f32_e32 v21, 1.0, v18
	v_sub_f32_e32 v17, v18, v17
	v_sub_f32_e32 v22, 1.0, v21
	s_delay_alu instid0(VALU_DEP_1) | instskip(NEXT) | instid1(VALU_DEP_1)
	v_dual_sub_f32 v16, v17, v16 :: v_dual_sub_f32 v17, v22, v18
	v_add_f32_e32 v16, v16, v17
	s_delay_alu instid0(VALU_DEP_1) | instskip(NEXT) | instid1(VALU_DEP_1)
	v_add_f32_e32 v17, v21, v16
	v_mul_f32_e32 v18, v20, v17
	s_delay_alu instid0(VALU_DEP_1) | instskip(NEXT) | instid1(VALU_DEP_1)
	v_dual_sub_f32 v21, v21, v17 :: v_dual_mul_f32 v22, v19, v18
	v_add_f32_e32 v16, v16, v21
	s_delay_alu instid0(VALU_DEP_2) | instskip(NEXT) | instid1(VALU_DEP_1)
	v_fma_f32 v23, v18, v19, -v22
	v_fmac_f32_e32 v23, v18, v15
	s_delay_alu instid0(VALU_DEP_1) | instskip(NEXT) | instid1(VALU_DEP_1)
	v_add_f32_e32 v24, v22, v23
	v_sub_f32_e32 v25, v17, v24
	v_sub_f32_e32 v21, v24, v22
	s_delay_alu instid0(VALU_DEP_2) | instskip(NEXT) | instid1(VALU_DEP_2)
	v_sub_f32_e32 v17, v17, v25
	v_sub_f32_e32 v21, v21, v23
	s_delay_alu instid0(VALU_DEP_2) | instskip(NEXT) | instid1(VALU_DEP_1)
	v_sub_f32_e32 v17, v17, v24
	v_add_f32_e32 v16, v16, v17
	s_delay_alu instid0(VALU_DEP_1) | instskip(NEXT) | instid1(VALU_DEP_1)
	v_dual_add_f32 v17, v20, v18 :: v_dual_add_f32 v16, v21, v16
	v_sub_f32_e32 v21, v17, v20
	s_delay_alu instid0(VALU_DEP_2) | instskip(NEXT) | instid1(VALU_DEP_2)
	v_add_f32_e32 v16, v25, v16
	v_sub_f32_e32 v18, v18, v21
	s_delay_alu instid0(VALU_DEP_2) | instskip(NEXT) | instid1(VALU_DEP_1)
	v_mul_f32_e32 v16, v20, v16
	v_add_f32_e32 v16, v18, v16
	s_delay_alu instid0(VALU_DEP_1) | instskip(NEXT) | instid1(VALU_DEP_1)
	v_add_f32_e32 v18, v17, v16
	v_ldexp_f32 v20, v18, -2
	v_sub_f32_e32 v17, v18, v17
	s_delay_alu instid0(VALU_DEP_1) | instskip(NEXT) | instid1(VALU_DEP_1)
	v_dual_sub_f32 v21, v19, v20 :: v_dual_sub_f32 v16, v16, v17
	v_sub_f32_e32 v19, v19, v21
	s_delay_alu instid0(VALU_DEP_2) | instskip(NEXT) | instid1(VALU_DEP_2)
	v_ldexp_f32 v16, v16, -2
	v_sub_f32_e32 v18, v19, v20
	s_delay_alu instid0(VALU_DEP_1) | instskip(NEXT) | instid1(VALU_DEP_1)
	v_add_f32_e32 v15, v15, v18
	v_sub_f32_e32 v15, v15, v16
	s_delay_alu instid0(VALU_DEP_1) | instskip(NEXT) | instid1(VALU_DEP_1)
	v_add_f32_e32 v15, v21, v15
	v_cndmask_b32_e64 v15, 0x7f800000, v15, s4
	v_cmp_gt_f32_e64 s4, 0x39800000, |v14|
	s_delay_alu instid0(VALU_DEP_1) | instskip(NEXT) | instid1(VALU_DEP_1)
	v_cndmask_b32_e64 v15, v15, |v14|, s4
	v_bfi_b32 v14, 0x7fffffff, v15, v14
	s_delay_alu instid0(VALU_DEP_1) | instskip(SKIP_1) | instid1(VALU_DEP_2)
	v_bfe_u32 v15, v14, 16, 1
	v_cmp_o_f32_e64 s4, v14, v14
	v_add3_u32 v15, v14, v15, 0x7fff
	s_delay_alu instid0(VALU_DEP_1) | instskip(NEXT) | instid1(VALU_DEP_1)
	v_lshrrev_b32_e32 v15, 16, v15
	v_cndmask_b32_e64 v14, 0x7fc0, v15, s4
	global_store_b16 v[1:2], v14, off
	s_or_b32 exec_lo, exec_lo, s5
	s_and_saveexec_b32 s4, s3
	s_cbranch_execz .LBB129_13
.LBB129_17:                             ;   in Loop: Header=BB129_4 Depth=1
	s_waitcnt vmcnt(0)
	v_lshlrev_b32_e32 v13, 16, v13
	s_delay_alu instid0(VALU_DEP_1) | instskip(NEXT) | instid1(VALU_DEP_1)
	v_add_f32_e64 v14, 0xbf317218, |v13|
	v_sub_f32_e64 v15, v14, |v13|
	s_delay_alu instid0(VALU_DEP_1) | instskip(SKIP_1) | instid1(VALU_DEP_2)
	v_dual_sub_f32 v16, v15, v14 :: v_dual_add_f32 v15, 0x3f317218, v15
	v_cmp_nlt_f32_e64 s3, 0x42b2d4fc, |v13|
	v_add_f32_e64 v16, |v13|, v16
	s_delay_alu instid0(VALU_DEP_1) | instskip(NEXT) | instid1(VALU_DEP_1)
	v_sub_f32_e32 v15, v16, v15
	v_add_f32_e32 v15, 0x3102e308, v15
	s_delay_alu instid0(VALU_DEP_1) | instskip(NEXT) | instid1(VALU_DEP_1)
	v_add_f32_e32 v16, v14, v15
	v_sub_f32_e32 v14, v14, v16
	s_delay_alu instid0(VALU_DEP_1) | instskip(NEXT) | instid1(VALU_DEP_1)
	v_dual_mul_f32 v17, 0x3fb8aa3b, v16 :: v_dual_add_f32 v14, v15, v14
	v_rndne_f32_e32 v17, v17
	s_delay_alu instid0(VALU_DEP_1) | instskip(SKIP_1) | instid1(VALU_DEP_1)
	v_mul_f32_e32 v15, 0x35bfbc00, v17
	v_fmac_f32_e32 v16, 0xbf317200, v17
	v_add_f32_e32 v18, v14, v16
	s_delay_alu instid0(VALU_DEP_1) | instskip(NEXT) | instid1(VALU_DEP_1)
	v_dual_sub_f32 v19, v18, v15 :: v_dual_sub_f32 v16, v16, v18
	v_sub_f32_e32 v18, v18, v19
	s_delay_alu instid0(VALU_DEP_2) | instskip(NEXT) | instid1(VALU_DEP_2)
	v_add_f32_e32 v14, v14, v16
	v_sub_f32_e32 v15, v18, v15
	s_delay_alu instid0(VALU_DEP_1) | instskip(NEXT) | instid1(VALU_DEP_1)
	v_dual_add_f32 v14, v14, v15 :: v_dual_mul_f32 v15, 0x2ea39ef3, v17
	v_add_f32_e32 v16, v19, v14
	s_delay_alu instid0(VALU_DEP_1) | instskip(NEXT) | instid1(VALU_DEP_1)
	v_dual_sub_f32 v19, v19, v16 :: v_dual_sub_f32 v18, v16, v15
	v_add_f32_e32 v14, v14, v19
	s_delay_alu instid0(VALU_DEP_2) | instskip(NEXT) | instid1(VALU_DEP_1)
	v_sub_f32_e32 v16, v16, v18
	v_sub_f32_e32 v15, v16, v15
	s_delay_alu instid0(VALU_DEP_1) | instskip(NEXT) | instid1(VALU_DEP_1)
	v_add_f32_e32 v14, v14, v15
	v_add_f32_e32 v15, v18, v14
	s_delay_alu instid0(VALU_DEP_1) | instskip(SKIP_1) | instid1(VALU_DEP_2)
	v_sub_f32_e32 v16, v18, v15
	v_mul_f32_e32 v18, v15, v15
	v_add_f32_e32 v14, v14, v16
	v_fmaak_f32 v16, s19, v15, 0x3c091de6
	s_delay_alu instid0(VALU_DEP_3) | instskip(NEXT) | instid1(VALU_DEP_3)
	v_fma_f32 v19, v15, v15, -v18
	v_add_f32_e32 v20, v14, v14
	s_delay_alu instid0(VALU_DEP_3) | instskip(NEXT) | instid1(VALU_DEP_2)
	v_fmaak_f32 v16, v15, v16, 0x3d2aadcc
	v_fmac_f32_e32 v19, v15, v20
	s_delay_alu instid0(VALU_DEP_2) | instskip(NEXT) | instid1(VALU_DEP_2)
	v_fmaak_f32 v16, v15, v16, 0x3e2aaa47
	v_add_f32_e32 v20, v18, v19
	s_delay_alu instid0(VALU_DEP_2) | instskip(NEXT) | instid1(VALU_DEP_2)
	v_fmaak_f32 v16, v15, v16, 0x3efffffc
	v_sub_f32_e32 v18, v20, v18
	s_delay_alu instid0(VALU_DEP_1) | instskip(NEXT) | instid1(VALU_DEP_1)
	v_dual_mul_f32 v21, v16, v20 :: v_dual_sub_f32 v18, v19, v18
	v_fma_f32 v19, v20, v16, -v21
	s_delay_alu instid0(VALU_DEP_1) | instskip(NEXT) | instid1(VALU_DEP_1)
	v_fmac_f32_e32 v19, v18, v16
	v_add_f32_e32 v16, v21, v19
	s_delay_alu instid0(VALU_DEP_1) | instskip(SKIP_1) | instid1(VALU_DEP_2)
	v_sub_f32_e32 v20, v16, v21
	v_add_f32_e32 v18, v15, v16
	v_sub_f32_e32 v19, v19, v20
	s_delay_alu instid0(VALU_DEP_2) | instskip(NEXT) | instid1(VALU_DEP_1)
	v_sub_f32_e32 v15, v18, v15
	v_sub_f32_e32 v15, v16, v15
	s_delay_alu instid0(VALU_DEP_3) | instskip(NEXT) | instid1(VALU_DEP_1)
	v_add_f32_e32 v14, v14, v19
	v_add_f32_e32 v14, v14, v15
	s_delay_alu instid0(VALU_DEP_1) | instskip(NEXT) | instid1(VALU_DEP_1)
	v_add_f32_e32 v15, v18, v14
	v_add_f32_e32 v16, 1.0, v15
	s_delay_alu instid0(VALU_DEP_1) | instskip(NEXT) | instid1(VALU_DEP_1)
	v_dual_sub_f32 v18, v15, v18 :: v_dual_add_f32 v19, -1.0, v16
	v_dual_sub_f32 v14, v14, v18 :: v_dual_sub_f32 v15, v15, v19
	s_delay_alu instid0(VALU_DEP_1) | instskip(SKIP_1) | instid1(VALU_DEP_2)
	v_add_f32_e32 v14, v14, v15
	v_cvt_i32_f32_e32 v15, v17
	v_add_f32_e32 v17, v16, v14
	s_delay_alu instid0(VALU_DEP_1) | instskip(NEXT) | instid1(VALU_DEP_1)
	v_ldexp_f32 v18, v17, v15
	v_rcp_f32_e32 v19, v18
	v_sub_f32_e32 v16, v17, v16
	s_delay_alu instid0(VALU_DEP_1) | instskip(SKIP_3) | instid1(VALU_DEP_2)
	v_sub_f32_e32 v14, v14, v16
	s_waitcnt_depctr 0xfff
	v_mul_f32_e32 v16, v18, v19
	v_ldexp_f32 v14, v14, v15
	v_fma_f32 v15, v19, v18, -v16
	s_delay_alu instid0(VALU_DEP_1) | instskip(NEXT) | instid1(VALU_DEP_1)
	v_fmac_f32_e32 v15, v19, v14
	v_add_f32_e32 v17, v16, v15
	s_delay_alu instid0(VALU_DEP_1) | instskip(SKIP_1) | instid1(VALU_DEP_2)
	v_sub_f32_e32 v20, 1.0, v17
	v_sub_f32_e32 v16, v17, v16
	v_sub_f32_e32 v21, 1.0, v20
	s_delay_alu instid0(VALU_DEP_1) | instskip(NEXT) | instid1(VALU_DEP_1)
	v_dual_sub_f32 v15, v16, v15 :: v_dual_sub_f32 v16, v21, v17
	v_add_f32_e32 v15, v15, v16
	s_delay_alu instid0(VALU_DEP_1) | instskip(NEXT) | instid1(VALU_DEP_1)
	v_add_f32_e32 v16, v20, v15
	v_mul_f32_e32 v17, v19, v16
	s_delay_alu instid0(VALU_DEP_1) | instskip(NEXT) | instid1(VALU_DEP_1)
	v_dual_sub_f32 v20, v20, v16 :: v_dual_mul_f32 v21, v18, v17
	v_add_f32_e32 v15, v15, v20
	s_delay_alu instid0(VALU_DEP_2) | instskip(NEXT) | instid1(VALU_DEP_1)
	v_fma_f32 v22, v17, v18, -v21
	v_fmac_f32_e32 v22, v17, v14
	s_delay_alu instid0(VALU_DEP_1) | instskip(NEXT) | instid1(VALU_DEP_1)
	v_add_f32_e32 v23, v21, v22
	v_sub_f32_e32 v24, v16, v23
	v_sub_f32_e32 v20, v23, v21
	s_delay_alu instid0(VALU_DEP_2) | instskip(NEXT) | instid1(VALU_DEP_2)
	v_sub_f32_e32 v16, v16, v24
	v_sub_f32_e32 v20, v20, v22
	s_delay_alu instid0(VALU_DEP_2) | instskip(NEXT) | instid1(VALU_DEP_1)
	v_sub_f32_e32 v16, v16, v23
	v_add_f32_e32 v15, v15, v16
	s_delay_alu instid0(VALU_DEP_1) | instskip(NEXT) | instid1(VALU_DEP_1)
	v_dual_add_f32 v16, v19, v17 :: v_dual_add_f32 v15, v20, v15
	v_sub_f32_e32 v20, v16, v19
	s_delay_alu instid0(VALU_DEP_2) | instskip(NEXT) | instid1(VALU_DEP_2)
	v_add_f32_e32 v15, v24, v15
	v_sub_f32_e32 v17, v17, v20
	s_delay_alu instid0(VALU_DEP_2) | instskip(NEXT) | instid1(VALU_DEP_1)
	v_mul_f32_e32 v15, v19, v15
	v_add_f32_e32 v15, v17, v15
	s_delay_alu instid0(VALU_DEP_1) | instskip(NEXT) | instid1(VALU_DEP_1)
	v_add_f32_e32 v17, v16, v15
	v_ldexp_f32 v19, v17, -2
	v_sub_f32_e32 v16, v17, v16
	s_delay_alu instid0(VALU_DEP_1) | instskip(NEXT) | instid1(VALU_DEP_1)
	v_dual_sub_f32 v20, v18, v19 :: v_dual_sub_f32 v15, v15, v16
	v_sub_f32_e32 v17, v18, v20
	s_delay_alu instid0(VALU_DEP_2) | instskip(NEXT) | instid1(VALU_DEP_2)
	v_ldexp_f32 v15, v15, -2
	v_sub_f32_e32 v16, v17, v19
	s_delay_alu instid0(VALU_DEP_1) | instskip(NEXT) | instid1(VALU_DEP_1)
	v_add_f32_e32 v14, v14, v16
	v_sub_f32_e32 v14, v14, v15
	s_delay_alu instid0(VALU_DEP_1) | instskip(NEXT) | instid1(VALU_DEP_1)
	v_add_f32_e32 v14, v20, v14
	v_cndmask_b32_e64 v14, 0x7f800000, v14, s3
	v_cmp_gt_f32_e64 s3, 0x39800000, |v13|
	s_delay_alu instid0(VALU_DEP_1) | instskip(NEXT) | instid1(VALU_DEP_1)
	v_cndmask_b32_e64 v14, v14, |v13|, s3
	v_bfi_b32 v13, 0x7fffffff, v14, v13
	s_delay_alu instid0(VALU_DEP_1) | instskip(SKIP_1) | instid1(VALU_DEP_2)
	v_bfe_u32 v14, v13, 16, 1
	v_cmp_o_f32_e64 s3, v13, v13
	v_add3_u32 v14, v13, v14, 0x7fff
	s_delay_alu instid0(VALU_DEP_1) | instskip(NEXT) | instid1(VALU_DEP_1)
	v_lshrrev_b32_e32 v14, 16, v14
	v_cndmask_b32_e64 v13, 0x7fc0, v14, s3
	global_store_b16 v[3:4], v13, off
	s_or_b32 exec_lo, exec_lo, s4
	s_and_saveexec_b32 s3, s2
	s_cbranch_execz .LBB129_14
.LBB129_18:                             ;   in Loop: Header=BB129_4 Depth=1
	s_waitcnt vmcnt(0)
	v_lshlrev_b32_e32 v12, 16, v12
	s_delay_alu instid0(VALU_DEP_1) | instskip(NEXT) | instid1(VALU_DEP_1)
	v_add_f32_e64 v13, 0xbf317218, |v12|
	v_sub_f32_e64 v14, v13, |v12|
	s_delay_alu instid0(VALU_DEP_1) | instskip(SKIP_1) | instid1(VALU_DEP_2)
	v_dual_sub_f32 v15, v14, v13 :: v_dual_add_f32 v14, 0x3f317218, v14
	v_cmp_nlt_f32_e64 s2, 0x42b2d4fc, |v12|
	v_add_f32_e64 v15, |v12|, v15
	s_delay_alu instid0(VALU_DEP_1) | instskip(NEXT) | instid1(VALU_DEP_1)
	v_sub_f32_e32 v14, v15, v14
	v_add_f32_e32 v14, 0x3102e308, v14
	s_delay_alu instid0(VALU_DEP_1) | instskip(NEXT) | instid1(VALU_DEP_1)
	v_add_f32_e32 v15, v13, v14
	v_sub_f32_e32 v13, v13, v15
	s_delay_alu instid0(VALU_DEP_1) | instskip(NEXT) | instid1(VALU_DEP_1)
	v_dual_mul_f32 v16, 0x3fb8aa3b, v15 :: v_dual_add_f32 v13, v14, v13
	v_rndne_f32_e32 v16, v16
	s_delay_alu instid0(VALU_DEP_1) | instskip(SKIP_1) | instid1(VALU_DEP_1)
	v_mul_f32_e32 v14, 0x35bfbc00, v16
	v_fmac_f32_e32 v15, 0xbf317200, v16
	v_add_f32_e32 v17, v13, v15
	s_delay_alu instid0(VALU_DEP_1) | instskip(NEXT) | instid1(VALU_DEP_1)
	v_dual_sub_f32 v18, v17, v14 :: v_dual_sub_f32 v15, v15, v17
	v_sub_f32_e32 v17, v17, v18
	s_delay_alu instid0(VALU_DEP_2) | instskip(NEXT) | instid1(VALU_DEP_2)
	v_add_f32_e32 v13, v13, v15
	v_sub_f32_e32 v14, v17, v14
	s_delay_alu instid0(VALU_DEP_1) | instskip(NEXT) | instid1(VALU_DEP_1)
	v_dual_add_f32 v13, v13, v14 :: v_dual_mul_f32 v14, 0x2ea39ef3, v16
	v_add_f32_e32 v15, v18, v13
	s_delay_alu instid0(VALU_DEP_1) | instskip(NEXT) | instid1(VALU_DEP_1)
	v_dual_sub_f32 v18, v18, v15 :: v_dual_sub_f32 v17, v15, v14
	v_add_f32_e32 v13, v13, v18
	s_delay_alu instid0(VALU_DEP_2) | instskip(NEXT) | instid1(VALU_DEP_1)
	v_sub_f32_e32 v15, v15, v17
	v_sub_f32_e32 v14, v15, v14
	s_delay_alu instid0(VALU_DEP_1) | instskip(NEXT) | instid1(VALU_DEP_1)
	v_add_f32_e32 v13, v13, v14
	v_add_f32_e32 v14, v17, v13
	s_delay_alu instid0(VALU_DEP_1) | instskip(SKIP_1) | instid1(VALU_DEP_2)
	v_sub_f32_e32 v15, v17, v14
	v_mul_f32_e32 v17, v14, v14
	v_add_f32_e32 v13, v13, v15
	v_fmaak_f32 v15, s19, v14, 0x3c091de6
	s_delay_alu instid0(VALU_DEP_3) | instskip(NEXT) | instid1(VALU_DEP_3)
	v_fma_f32 v18, v14, v14, -v17
	v_add_f32_e32 v19, v13, v13
	s_delay_alu instid0(VALU_DEP_3) | instskip(NEXT) | instid1(VALU_DEP_2)
	v_fmaak_f32 v15, v14, v15, 0x3d2aadcc
	v_fmac_f32_e32 v18, v14, v19
	s_delay_alu instid0(VALU_DEP_2) | instskip(NEXT) | instid1(VALU_DEP_2)
	v_fmaak_f32 v15, v14, v15, 0x3e2aaa47
	v_add_f32_e32 v19, v17, v18
	s_delay_alu instid0(VALU_DEP_2) | instskip(NEXT) | instid1(VALU_DEP_2)
	v_fmaak_f32 v15, v14, v15, 0x3efffffc
	v_sub_f32_e32 v17, v19, v17
	s_delay_alu instid0(VALU_DEP_1) | instskip(NEXT) | instid1(VALU_DEP_1)
	v_dual_mul_f32 v20, v15, v19 :: v_dual_sub_f32 v17, v18, v17
	v_fma_f32 v18, v19, v15, -v20
	s_delay_alu instid0(VALU_DEP_1) | instskip(NEXT) | instid1(VALU_DEP_1)
	v_fmac_f32_e32 v18, v17, v15
	v_add_f32_e32 v15, v20, v18
	s_delay_alu instid0(VALU_DEP_1) | instskip(SKIP_1) | instid1(VALU_DEP_2)
	v_sub_f32_e32 v19, v15, v20
	v_add_f32_e32 v17, v14, v15
	v_sub_f32_e32 v18, v18, v19
	s_delay_alu instid0(VALU_DEP_2) | instskip(NEXT) | instid1(VALU_DEP_1)
	v_sub_f32_e32 v14, v17, v14
	v_sub_f32_e32 v14, v15, v14
	s_delay_alu instid0(VALU_DEP_3) | instskip(NEXT) | instid1(VALU_DEP_1)
	v_add_f32_e32 v13, v13, v18
	v_add_f32_e32 v13, v13, v14
	s_delay_alu instid0(VALU_DEP_1) | instskip(NEXT) | instid1(VALU_DEP_1)
	v_add_f32_e32 v14, v17, v13
	v_add_f32_e32 v15, 1.0, v14
	s_delay_alu instid0(VALU_DEP_1) | instskip(NEXT) | instid1(VALU_DEP_1)
	v_dual_sub_f32 v17, v14, v17 :: v_dual_add_f32 v18, -1.0, v15
	v_dual_sub_f32 v13, v13, v17 :: v_dual_sub_f32 v14, v14, v18
	s_delay_alu instid0(VALU_DEP_1) | instskip(SKIP_1) | instid1(VALU_DEP_2)
	v_add_f32_e32 v13, v13, v14
	v_cvt_i32_f32_e32 v14, v16
	v_add_f32_e32 v16, v15, v13
	s_delay_alu instid0(VALU_DEP_1) | instskip(NEXT) | instid1(VALU_DEP_1)
	v_ldexp_f32 v17, v16, v14
	v_rcp_f32_e32 v18, v17
	v_sub_f32_e32 v15, v16, v15
	s_delay_alu instid0(VALU_DEP_1) | instskip(SKIP_3) | instid1(VALU_DEP_2)
	v_sub_f32_e32 v13, v13, v15
	s_waitcnt_depctr 0xfff
	v_mul_f32_e32 v15, v17, v18
	v_ldexp_f32 v13, v13, v14
	v_fma_f32 v14, v18, v17, -v15
	s_delay_alu instid0(VALU_DEP_1) | instskip(NEXT) | instid1(VALU_DEP_1)
	v_fmac_f32_e32 v14, v18, v13
	v_add_f32_e32 v16, v15, v14
	s_delay_alu instid0(VALU_DEP_1) | instskip(SKIP_1) | instid1(VALU_DEP_2)
	v_sub_f32_e32 v19, 1.0, v16
	v_sub_f32_e32 v15, v16, v15
	v_sub_f32_e32 v20, 1.0, v19
	s_delay_alu instid0(VALU_DEP_1) | instskip(NEXT) | instid1(VALU_DEP_1)
	v_dual_sub_f32 v14, v15, v14 :: v_dual_sub_f32 v15, v20, v16
	v_add_f32_e32 v14, v14, v15
	s_delay_alu instid0(VALU_DEP_1) | instskip(NEXT) | instid1(VALU_DEP_1)
	v_add_f32_e32 v15, v19, v14
	v_mul_f32_e32 v16, v18, v15
	s_delay_alu instid0(VALU_DEP_1) | instskip(NEXT) | instid1(VALU_DEP_1)
	v_dual_sub_f32 v19, v19, v15 :: v_dual_mul_f32 v20, v17, v16
	v_add_f32_e32 v14, v14, v19
	s_delay_alu instid0(VALU_DEP_2) | instskip(NEXT) | instid1(VALU_DEP_1)
	v_fma_f32 v21, v16, v17, -v20
	v_fmac_f32_e32 v21, v16, v13
	s_delay_alu instid0(VALU_DEP_1) | instskip(NEXT) | instid1(VALU_DEP_1)
	v_add_f32_e32 v22, v20, v21
	v_sub_f32_e32 v23, v15, v22
	v_sub_f32_e32 v19, v22, v20
	s_delay_alu instid0(VALU_DEP_2) | instskip(NEXT) | instid1(VALU_DEP_2)
	v_sub_f32_e32 v15, v15, v23
	v_sub_f32_e32 v19, v19, v21
	s_delay_alu instid0(VALU_DEP_2) | instskip(NEXT) | instid1(VALU_DEP_1)
	v_sub_f32_e32 v15, v15, v22
	v_add_f32_e32 v14, v14, v15
	s_delay_alu instid0(VALU_DEP_1) | instskip(NEXT) | instid1(VALU_DEP_1)
	v_dual_add_f32 v15, v18, v16 :: v_dual_add_f32 v14, v19, v14
	v_sub_f32_e32 v19, v15, v18
	s_delay_alu instid0(VALU_DEP_2) | instskip(NEXT) | instid1(VALU_DEP_2)
	v_add_f32_e32 v14, v23, v14
	v_sub_f32_e32 v16, v16, v19
	s_delay_alu instid0(VALU_DEP_2) | instskip(NEXT) | instid1(VALU_DEP_1)
	v_mul_f32_e32 v14, v18, v14
	v_add_f32_e32 v14, v16, v14
	s_delay_alu instid0(VALU_DEP_1) | instskip(NEXT) | instid1(VALU_DEP_1)
	v_add_f32_e32 v16, v15, v14
	v_ldexp_f32 v18, v16, -2
	v_sub_f32_e32 v15, v16, v15
	s_delay_alu instid0(VALU_DEP_1) | instskip(NEXT) | instid1(VALU_DEP_1)
	v_dual_sub_f32 v19, v17, v18 :: v_dual_sub_f32 v14, v14, v15
	v_sub_f32_e32 v16, v17, v19
	s_delay_alu instid0(VALU_DEP_2) | instskip(NEXT) | instid1(VALU_DEP_2)
	v_ldexp_f32 v14, v14, -2
	v_sub_f32_e32 v15, v16, v18
	s_delay_alu instid0(VALU_DEP_1) | instskip(NEXT) | instid1(VALU_DEP_1)
	v_add_f32_e32 v13, v13, v15
	v_sub_f32_e32 v13, v13, v14
	s_delay_alu instid0(VALU_DEP_1) | instskip(NEXT) | instid1(VALU_DEP_1)
	v_add_f32_e32 v13, v19, v13
	v_cndmask_b32_e64 v13, 0x7f800000, v13, s2
	v_cmp_gt_f32_e64 s2, 0x39800000, |v12|
	s_delay_alu instid0(VALU_DEP_1) | instskip(NEXT) | instid1(VALU_DEP_1)
	v_cndmask_b32_e64 v13, v13, |v12|, s2
	v_bfi_b32 v12, 0x7fffffff, v13, v12
	s_delay_alu instid0(VALU_DEP_1) | instskip(SKIP_1) | instid1(VALU_DEP_2)
	v_bfe_u32 v13, v12, 16, 1
	v_cmp_o_f32_e64 s2, v12, v12
	v_add3_u32 v13, v12, v13, 0x7fff
	s_delay_alu instid0(VALU_DEP_1) | instskip(NEXT) | instid1(VALU_DEP_1)
	v_lshrrev_b32_e32 v13, 16, v13
	v_cndmask_b32_e64 v14, 0x7fc0, v13, s2
	v_add_co_u32 v12, s2, v1, s16
	s_delay_alu instid0(VALU_DEP_1)
	v_add_co_ci_u32_e64 v13, s2, 0, v2, s2
	global_store_b16 v[12:13], v14, off
	s_or_b32 exec_lo, exec_lo, s3
	s_and_saveexec_b32 s2, vcc_lo
	s_cbranch_execz .LBB129_3
.LBB129_19:                             ;   in Loop: Header=BB129_4 Depth=1
	s_waitcnt vmcnt(0)
	v_lshlrev_b32_e32 v11, 16, v11
	s_delay_alu instid0(VALU_DEP_1) | instskip(NEXT) | instid1(VALU_DEP_1)
	v_add_f32_e64 v12, 0xbf317218, |v11|
	v_sub_f32_e64 v13, v12, |v11|
	s_delay_alu instid0(VALU_DEP_1) | instskip(SKIP_2) | instid1(VALU_DEP_3)
	v_dual_sub_f32 v14, v13, v12 :: v_dual_add_f32 v13, 0x3f317218, v13
	v_cmp_nlt_f32_e64 vcc_lo, 0x42b2d4fc, |v11|
	v_cmp_gt_f32_e64 s3, 0x39800000, |v11|
	v_add_f32_e64 v14, |v11|, v14
	s_delay_alu instid0(VALU_DEP_1) | instskip(NEXT) | instid1(VALU_DEP_1)
	v_sub_f32_e32 v13, v14, v13
	v_add_f32_e32 v13, 0x3102e308, v13
	s_delay_alu instid0(VALU_DEP_1) | instskip(NEXT) | instid1(VALU_DEP_1)
	v_add_f32_e32 v14, v12, v13
	v_sub_f32_e32 v12, v12, v14
	s_delay_alu instid0(VALU_DEP_1) | instskip(NEXT) | instid1(VALU_DEP_1)
	v_dual_mul_f32 v15, 0x3fb8aa3b, v14 :: v_dual_add_f32 v12, v13, v12
	v_rndne_f32_e32 v15, v15
	s_delay_alu instid0(VALU_DEP_1) | instskip(SKIP_1) | instid1(VALU_DEP_1)
	v_mul_f32_e32 v13, 0x35bfbc00, v15
	v_fmac_f32_e32 v14, 0xbf317200, v15
	v_add_f32_e32 v16, v12, v14
	s_delay_alu instid0(VALU_DEP_1) | instskip(NEXT) | instid1(VALU_DEP_1)
	v_dual_sub_f32 v17, v16, v13 :: v_dual_sub_f32 v14, v14, v16
	v_sub_f32_e32 v16, v16, v17
	s_delay_alu instid0(VALU_DEP_2) | instskip(NEXT) | instid1(VALU_DEP_2)
	v_add_f32_e32 v12, v12, v14
	v_sub_f32_e32 v13, v16, v13
	s_delay_alu instid0(VALU_DEP_1) | instskip(NEXT) | instid1(VALU_DEP_1)
	v_dual_add_f32 v12, v12, v13 :: v_dual_mul_f32 v13, 0x2ea39ef3, v15
	v_add_f32_e32 v14, v17, v12
	s_delay_alu instid0(VALU_DEP_1) | instskip(NEXT) | instid1(VALU_DEP_1)
	v_dual_sub_f32 v17, v17, v14 :: v_dual_sub_f32 v16, v14, v13
	v_add_f32_e32 v12, v12, v17
	s_delay_alu instid0(VALU_DEP_2) | instskip(NEXT) | instid1(VALU_DEP_1)
	v_sub_f32_e32 v14, v14, v16
	v_sub_f32_e32 v13, v14, v13
	s_delay_alu instid0(VALU_DEP_1) | instskip(NEXT) | instid1(VALU_DEP_1)
	v_add_f32_e32 v12, v12, v13
	v_add_f32_e32 v13, v16, v12
	s_delay_alu instid0(VALU_DEP_1) | instskip(SKIP_1) | instid1(VALU_DEP_2)
	v_sub_f32_e32 v14, v16, v13
	v_mul_f32_e32 v16, v13, v13
	v_add_f32_e32 v12, v12, v14
	v_fmaak_f32 v14, s19, v13, 0x3c091de6
	s_delay_alu instid0(VALU_DEP_3) | instskip(NEXT) | instid1(VALU_DEP_3)
	v_fma_f32 v17, v13, v13, -v16
	v_add_f32_e32 v18, v12, v12
	s_delay_alu instid0(VALU_DEP_3) | instskip(NEXT) | instid1(VALU_DEP_2)
	v_fmaak_f32 v14, v13, v14, 0x3d2aadcc
	v_fmac_f32_e32 v17, v13, v18
	s_delay_alu instid0(VALU_DEP_2) | instskip(NEXT) | instid1(VALU_DEP_2)
	v_fmaak_f32 v14, v13, v14, 0x3e2aaa47
	v_add_f32_e32 v18, v16, v17
	s_delay_alu instid0(VALU_DEP_2) | instskip(NEXT) | instid1(VALU_DEP_2)
	v_fmaak_f32 v14, v13, v14, 0x3efffffc
	v_sub_f32_e32 v16, v18, v16
	s_delay_alu instid0(VALU_DEP_1) | instskip(NEXT) | instid1(VALU_DEP_1)
	v_dual_mul_f32 v19, v14, v18 :: v_dual_sub_f32 v16, v17, v16
	v_fma_f32 v17, v18, v14, -v19
	s_delay_alu instid0(VALU_DEP_1) | instskip(NEXT) | instid1(VALU_DEP_1)
	v_fmac_f32_e32 v17, v16, v14
	v_add_f32_e32 v14, v19, v17
	s_delay_alu instid0(VALU_DEP_1) | instskip(SKIP_1) | instid1(VALU_DEP_2)
	v_sub_f32_e32 v18, v14, v19
	v_add_f32_e32 v16, v13, v14
	v_sub_f32_e32 v17, v17, v18
	s_delay_alu instid0(VALU_DEP_2) | instskip(NEXT) | instid1(VALU_DEP_1)
	v_sub_f32_e32 v13, v16, v13
	v_sub_f32_e32 v13, v14, v13
	s_delay_alu instid0(VALU_DEP_3) | instskip(NEXT) | instid1(VALU_DEP_1)
	v_add_f32_e32 v12, v12, v17
	v_add_f32_e32 v12, v12, v13
	s_delay_alu instid0(VALU_DEP_1) | instskip(NEXT) | instid1(VALU_DEP_1)
	v_add_f32_e32 v13, v16, v12
	v_add_f32_e32 v14, 1.0, v13
	s_delay_alu instid0(VALU_DEP_1) | instskip(NEXT) | instid1(VALU_DEP_1)
	v_dual_sub_f32 v16, v13, v16 :: v_dual_add_f32 v17, -1.0, v14
	v_dual_sub_f32 v12, v12, v16 :: v_dual_sub_f32 v13, v13, v17
	s_delay_alu instid0(VALU_DEP_1) | instskip(SKIP_1) | instid1(VALU_DEP_2)
	v_add_f32_e32 v12, v12, v13
	v_cvt_i32_f32_e32 v13, v15
	v_add_f32_e32 v15, v14, v12
	s_delay_alu instid0(VALU_DEP_1) | instskip(NEXT) | instid1(VALU_DEP_1)
	v_ldexp_f32 v16, v15, v13
	v_rcp_f32_e32 v17, v16
	v_sub_f32_e32 v14, v15, v14
	s_delay_alu instid0(VALU_DEP_1) | instskip(SKIP_3) | instid1(VALU_DEP_2)
	v_sub_f32_e32 v12, v12, v14
	s_waitcnt_depctr 0xfff
	v_mul_f32_e32 v14, v16, v17
	v_ldexp_f32 v12, v12, v13
	v_fma_f32 v13, v17, v16, -v14
	s_delay_alu instid0(VALU_DEP_1) | instskip(NEXT) | instid1(VALU_DEP_1)
	v_fmac_f32_e32 v13, v17, v12
	v_add_f32_e32 v15, v14, v13
	s_delay_alu instid0(VALU_DEP_1) | instskip(SKIP_1) | instid1(VALU_DEP_2)
	v_sub_f32_e32 v18, 1.0, v15
	v_sub_f32_e32 v14, v15, v14
	v_sub_f32_e32 v19, 1.0, v18
	s_delay_alu instid0(VALU_DEP_1) | instskip(NEXT) | instid1(VALU_DEP_1)
	v_dual_sub_f32 v13, v14, v13 :: v_dual_sub_f32 v14, v19, v15
	v_add_f32_e32 v13, v13, v14
	s_delay_alu instid0(VALU_DEP_1) | instskip(NEXT) | instid1(VALU_DEP_1)
	v_add_f32_e32 v14, v18, v13
	v_mul_f32_e32 v15, v17, v14
	s_delay_alu instid0(VALU_DEP_1) | instskip(NEXT) | instid1(VALU_DEP_1)
	v_dual_sub_f32 v18, v18, v14 :: v_dual_mul_f32 v19, v16, v15
	v_add_f32_e32 v13, v13, v18
	s_delay_alu instid0(VALU_DEP_2) | instskip(NEXT) | instid1(VALU_DEP_1)
	v_fma_f32 v20, v15, v16, -v19
	v_fmac_f32_e32 v20, v15, v12
	s_delay_alu instid0(VALU_DEP_1) | instskip(NEXT) | instid1(VALU_DEP_1)
	v_add_f32_e32 v21, v19, v20
	v_sub_f32_e32 v22, v14, v21
	v_sub_f32_e32 v18, v21, v19
	s_delay_alu instid0(VALU_DEP_2) | instskip(NEXT) | instid1(VALU_DEP_2)
	v_sub_f32_e32 v14, v14, v22
	v_sub_f32_e32 v18, v18, v20
	s_delay_alu instid0(VALU_DEP_2) | instskip(NEXT) | instid1(VALU_DEP_1)
	v_sub_f32_e32 v14, v14, v21
	v_add_f32_e32 v13, v13, v14
	s_delay_alu instid0(VALU_DEP_1) | instskip(NEXT) | instid1(VALU_DEP_1)
	v_dual_add_f32 v14, v17, v15 :: v_dual_add_f32 v13, v18, v13
	v_sub_f32_e32 v18, v14, v17
	s_delay_alu instid0(VALU_DEP_2) | instskip(NEXT) | instid1(VALU_DEP_2)
	v_add_f32_e32 v13, v22, v13
	v_sub_f32_e32 v15, v15, v18
	s_delay_alu instid0(VALU_DEP_2) | instskip(NEXT) | instid1(VALU_DEP_1)
	v_mul_f32_e32 v13, v17, v13
	v_add_f32_e32 v13, v15, v13
	s_delay_alu instid0(VALU_DEP_1) | instskip(NEXT) | instid1(VALU_DEP_1)
	v_add_f32_e32 v15, v14, v13
	v_ldexp_f32 v17, v15, -2
	v_sub_f32_e32 v14, v15, v14
	s_delay_alu instid0(VALU_DEP_1) | instskip(NEXT) | instid1(VALU_DEP_1)
	v_dual_sub_f32 v18, v16, v17 :: v_dual_sub_f32 v13, v13, v14
	v_sub_f32_e32 v15, v16, v18
	s_delay_alu instid0(VALU_DEP_2) | instskip(NEXT) | instid1(VALU_DEP_2)
	v_ldexp_f32 v13, v13, -2
	v_sub_f32_e32 v14, v15, v17
	s_delay_alu instid0(VALU_DEP_1) | instskip(NEXT) | instid1(VALU_DEP_1)
	v_add_f32_e32 v12, v12, v14
	v_sub_f32_e32 v12, v12, v13
	s_delay_alu instid0(VALU_DEP_1) | instskip(NEXT) | instid1(VALU_DEP_1)
	v_add_f32_e32 v12, v18, v12
	v_cndmask_b32_e32 v12, 0x7f800000, v12, vcc_lo
	s_delay_alu instid0(VALU_DEP_1) | instskip(NEXT) | instid1(VALU_DEP_1)
	v_cndmask_b32_e64 v12, v12, |v11|, s3
	v_bfi_b32 v11, 0x7fffffff, v12, v11
	s_delay_alu instid0(VALU_DEP_1) | instskip(SKIP_1) | instid1(VALU_DEP_2)
	v_bfe_u32 v12, v11, 16, 1
	v_cmp_o_f32_e32 vcc_lo, v11, v11
	v_add3_u32 v12, v11, v12, 0x7fff
	s_delay_alu instid0(VALU_DEP_1) | instskip(NEXT) | instid1(VALU_DEP_1)
	v_lshrrev_b32_e32 v12, 16, v12
	v_cndmask_b32_e32 v13, 0x7fc0, v12, vcc_lo
	v_add_co_u32 v11, vcc_lo, v1, s18
	v_add_co_ci_u32_e32 v12, vcc_lo, 0, v2, vcc_lo
	global_store_b16 v[11:12], v13, off
	s_branch .LBB129_3
.LBB129_20:
	s_cbranch_execz .LBB129_22
	s_branch .LBB129_25
.LBB129_21:
.LBB129_22:
	v_dual_mov_b32 v2, 0 :: v_dual_lshlrev_b32 v1, 2, v0
	s_mov_b32 s2, 0
	s_mov_b32 s3, exec_lo
	s_delay_alu instid0(VALU_DEP_1)
	v_cmpx_gt_i64_e64 s[6:7], v[1:2]
	s_cbranch_execz .LBB129_25
; %bb.23:
	s_load_b32 s0, s[0:1], 0xd3c
	v_lshlrev_b32_e32 v1, 3, v0
	s_mov_b32 s5, 0x3ab42872
	s_waitcnt lgkmcnt(0)
	s_and_b32 s0, s0, 0xffff
	s_add_u32 s1, s8, s10
	s_addc_u32 s3, s9, s11
	v_add_co_u32 v3, s1, s1, v1
	s_delay_alu instid0(VALU_DEP_1)
	v_add_co_ci_u32_e64 v4, null, s3, 0, s1
	v_add_lshl_u32 v1, v0, s0, 2
	s_lshl_b32 s3, s0, 3
	s_lshl_b32 s4, s0, 2
.LBB129_24:                             ; =>This Inner Loop Header: Depth=1
	global_load_b64 v[6:7], v[3:4], off
	s_waitcnt vmcnt(0)
	v_lshlrev_b32_e32 v0, 16, v6
	v_and_b32_e32 v5, 0xffff0000, v6
	v_alignbit_b32 v6, v7, v6, 16
	v_and_b32_e32 v7, 0xffff0000, v7
	s_delay_alu instid0(VALU_DEP_4) | instskip(NEXT) | instid1(VALU_DEP_4)
	v_add_f32_e64 v8, 0xbf317218, |v0|
	v_add_f32_e64 v9, 0xbf317218, |v5|
	s_delay_alu instid0(VALU_DEP_4) | instskip(NEXT) | instid1(VALU_DEP_4)
	v_and_b32_e32 v6, 0xffff0000, v6
	v_add_f32_e64 v10, 0xbf317218, |v7|
	s_delay_alu instid0(VALU_DEP_4) | instskip(NEXT) | instid1(VALU_DEP_4)
	v_sub_f32_e64 v11, v8, |v0|
	v_sub_f32_e64 v12, v9, |v5|
	s_delay_alu instid0(VALU_DEP_4) | instskip(NEXT) | instid1(VALU_DEP_4)
	v_add_f32_e64 v13, 0xbf317218, |v6|
	v_sub_f32_e64 v14, v10, |v7|
	s_delay_alu instid0(VALU_DEP_3) | instskip(NEXT) | instid1(VALU_DEP_3)
	v_dual_sub_f32 v15, v11, v8 :: v_dual_sub_f32 v16, v12, v9
	v_sub_f32_e64 v17, v13, |v6|
	v_dual_add_f32 v11, 0x3f317218, v11 :: v_dual_add_f32 v12, 0x3f317218, v12
	s_delay_alu instid0(VALU_DEP_4) | instskip(NEXT) | instid1(VALU_DEP_4)
	v_sub_f32_e32 v18, v14, v10
	v_add_f32_e64 v15, |v0|, v15
	v_add_f32_e64 v16, |v5|, v16
	v_dual_sub_f32 v19, v17, v13 :: v_dual_add_f32 v14, 0x3f317218, v14
	s_delay_alu instid0(VALU_DEP_4) | instskip(NEXT) | instid1(VALU_DEP_4)
	v_add_f32_e64 v18, |v7|, v18
	v_sub_f32_e32 v11, v15, v11
	s_delay_alu instid0(VALU_DEP_4) | instskip(NEXT) | instid1(VALU_DEP_4)
	v_dual_add_f32 v15, 0x3f317218, v17 :: v_dual_sub_f32 v12, v16, v12
	v_add_f32_e64 v16, |v6|, v19
	s_delay_alu instid0(VALU_DEP_3) | instskip(SKIP_1) | instid1(VALU_DEP_3)
	v_dual_sub_f32 v14, v18, v14 :: v_dual_add_f32 v11, 0x3102e308, v11
	v_cmp_nlt_f32_e64 vcc_lo, 0x42b2d4fc, |v0|
	v_dual_add_f32 v12, 0x3102e308, v12 :: v_dual_sub_f32 v15, v16, v15
	s_delay_alu instid0(VALU_DEP_3) | instskip(SKIP_1) | instid1(VALU_DEP_3)
	v_add_f32_e32 v14, 0x3102e308, v14
	v_cmp_gt_f32_e64 s0, 0x39800000, |v0|
	v_dual_add_f32 v17, v9, v12 :: v_dual_add_f32 v16, v8, v11
	s_delay_alu instid0(VALU_DEP_3) | instskip(NEXT) | instid1(VALU_DEP_2)
	v_dual_add_f32 v15, 0x3102e308, v15 :: v_dual_add_f32 v18, v10, v14
	v_dual_sub_f32 v9, v9, v17 :: v_dual_sub_f32 v8, v8, v16
	s_delay_alu instid0(VALU_DEP_2) | instskip(SKIP_1) | instid1(VALU_DEP_3)
	v_add_f32_e32 v21, v13, v15
	v_dual_mul_f32 v19, 0x3fb8aa3b, v16 :: v_dual_mul_f32 v20, 0x3fb8aa3b, v17
	v_dual_sub_f32 v10, v10, v18 :: v_dual_add_f32 v9, v12, v9
	s_delay_alu instid0(VALU_DEP_3) | instskip(SKIP_1) | instid1(VALU_DEP_4)
	v_dual_mul_f32 v22, 0x3fb8aa3b, v18 :: v_dual_sub_f32 v13, v13, v21
	v_add_f32_e32 v8, v11, v8
	v_rndne_f32_e32 v11, v19
	v_mul_f32_e32 v19, 0x3fb8aa3b, v21
	v_rndne_f32_e32 v12, v20
	v_add_f32_e32 v10, v14, v10
	v_rndne_f32_e32 v14, v22
	v_dual_fmac_f32 v16, 0xbf317200, v11 :: v_dual_add_f32 v13, v15, v13
	s_delay_alu instid0(VALU_DEP_4) | instskip(SKIP_2) | instid1(VALU_DEP_3)
	v_fmac_f32_e32 v17, 0xbf317200, v12
	v_rndne_f32_e32 v15, v19
	v_dual_mul_f32 v20, 0x35bfbc00, v11 :: v_dual_mul_f32 v23, 0x35bfbc00, v12
	v_dual_mul_f32 v24, 0x2ea39ef3, v12 :: v_dual_add_f32 v27, v9, v17
	s_delay_alu instid0(VALU_DEP_3) | instskip(SKIP_1) | instid1(VALU_DEP_2)
	v_dual_fmac_f32 v18, 0xbf317200, v14 :: v_dual_fmac_f32 v21, 0xbf317200, v15
	v_dual_mul_f32 v19, 0x35bfbc00, v14 :: v_dual_add_f32 v26, v8, v16
	v_dual_mul_f32 v28, 0x35bfbc00, v15 :: v_dual_add_f32 v29, v10, v18
	s_delay_alu instid0(VALU_DEP_4) | instskip(NEXT) | instid1(VALU_DEP_3)
	v_sub_f32_e32 v17, v17, v27
	v_dual_sub_f32 v31, v27, v23 :: v_dual_sub_f32 v16, v16, v26
	v_sub_f32_e32 v30, v26, v20
	v_add_f32_e32 v32, v13, v21
	v_dual_sub_f32 v18, v18, v29 :: v_dual_sub_f32 v33, v29, v19
	s_delay_alu instid0(VALU_DEP_4) | instskip(NEXT) | instid1(VALU_DEP_4)
	v_dual_add_f32 v8, v8, v16 :: v_dual_add_f32 v9, v9, v17
	v_dual_sub_f32 v17, v27, v31 :: v_dual_sub_f32 v16, v26, v30
	s_delay_alu instid0(VALU_DEP_4) | instskip(NEXT) | instid1(VALU_DEP_4)
	v_sub_f32_e32 v21, v21, v32
	v_dual_sub_f32 v26, v32, v28 :: v_dual_sub_f32 v27, v29, v33
	v_add_f32_e32 v10, v10, v18
	s_delay_alu instid0(VALU_DEP_4) | instskip(NEXT) | instid1(VALU_DEP_3)
	v_dual_sub_f32 v16, v16, v20 :: v_dual_sub_f32 v17, v17, v23
	v_dual_sub_f32 v18, v32, v26 :: v_dual_add_f32 v13, v13, v21
	s_delay_alu instid0(VALU_DEP_2) | instskip(NEXT) | instid1(VALU_DEP_2)
	v_dual_sub_f32 v19, v27, v19 :: v_dual_add_f32 v8, v8, v16
	v_dual_add_f32 v9, v9, v17 :: v_dual_sub_f32 v16, v18, v28
	v_dual_mul_f32 v22, 0x2ea39ef3, v11 :: v_dual_mul_f32 v25, 0x2ea39ef3, v14
	s_delay_alu instid0(VALU_DEP_3) | instskip(NEXT) | instid1(VALU_DEP_4)
	v_add_f32_e32 v10, v10, v19
	v_dual_add_f32 v17, v30, v8 :: v_dual_mul_f32 v18, 0x2ea39ef3, v15
	s_delay_alu instid0(VALU_DEP_4) | instskip(SKIP_1) | instid1(VALU_DEP_4)
	v_add_f32_e32 v19, v31, v9
	v_add_f32_e32 v13, v13, v16
	;; [unrolled: 1-line block ×3, first 2 shown]
	s_delay_alu instid0(VALU_DEP_4) | instskip(NEXT) | instid1(VALU_DEP_4)
	v_dual_sub_f32 v20, v30, v17 :: v_dual_sub_f32 v21, v17, v22
	v_sub_f32_e32 v23, v31, v19
	s_delay_alu instid0(VALU_DEP_4) | instskip(NEXT) | instid1(VALU_DEP_4)
	v_dual_sub_f32 v27, v19, v24 :: v_dual_add_f32 v28, v26, v13
	v_dual_sub_f32 v29, v33, v16 :: v_dual_sub_f32 v30, v16, v25
	s_delay_alu instid0(VALU_DEP_4) | instskip(NEXT) | instid1(VALU_DEP_3)
	v_dual_add_f32 v8, v8, v20 :: v_dual_sub_f32 v17, v17, v21
	v_dual_add_f32 v9, v9, v23 :: v_dual_sub_f32 v20, v26, v28
	s_delay_alu instid0(VALU_DEP_3) | instskip(NEXT) | instid1(VALU_DEP_4)
	v_dual_sub_f32 v19, v19, v27 :: v_dual_sub_f32 v16, v16, v30
	v_dual_sub_f32 v23, v28, v18 :: v_dual_add_f32 v10, v10, v29
	s_delay_alu instid0(VALU_DEP_4) | instskip(NEXT) | instid1(VALU_DEP_3)
	v_sub_f32_e32 v17, v17, v22
	v_dual_sub_f32 v19, v19, v24 :: v_dual_sub_f32 v16, v16, v25
	s_delay_alu instid0(VALU_DEP_3) | instskip(NEXT) | instid1(VALU_DEP_2)
	v_dual_sub_f32 v22, v28, v23 :: v_dual_add_f32 v13, v13, v20
	v_dual_add_f32 v8, v8, v17 :: v_dual_add_f32 v9, v9, v19
	s_delay_alu instid0(VALU_DEP_3) | instskip(NEXT) | instid1(VALU_DEP_3)
	v_add_f32_e32 v10, v10, v16
	v_sub_f32_e32 v17, v22, v18
	v_cvt_i32_f32_e32 v11, v11
	s_delay_alu instid0(VALU_DEP_4) | instskip(SKIP_4) | instid1(VALU_DEP_4)
	v_add_f32_e32 v16, v21, v8
	v_add_f32_e32 v18, v27, v9
	v_cvt_i32_f32_e32 v12, v12
	v_add_f32_e32 v13, v13, v17
	v_add_f32_e32 v17, v30, v10
	v_dual_fmaak_f32 v19, s5, v16, 0x3c091de6 :: v_dual_sub_f32 v24, v27, v18
	v_dual_sub_f32 v20, v21, v16 :: v_dual_mul_f32 v25, v18, v18
	v_dual_fmaak_f32 v22, s5, v18, 0x3c091de6 :: v_dual_mul_f32 v21, v16, v16
	v_add_f32_e32 v26, v23, v13
	s_delay_alu instid0(VALU_DEP_3) | instskip(SKIP_1) | instid1(VALU_DEP_3)
	v_dual_fmaak_f32 v27, s5, v17, 0x3c091de6 :: v_dual_add_f32 v8, v8, v20
	v_dual_sub_f32 v28, v30, v17 :: v_dual_fmaak_f32 v19, v16, v19, 0x3d2aadcc
	v_sub_f32_e32 v23, v23, v26
	v_dual_mul_f32 v29, v17, v17 :: v_dual_fmaak_f32 v22, v18, v22, 0x3d2aadcc
	v_fma_f32 v20, v16, v16, -v21
	v_dual_add_f32 v9, v9, v24 :: v_dual_fmaak_f32 v30, s5, v26, 0x3c091de6
	v_dual_mul_f32 v31, v26, v26 :: v_dual_add_f32 v32, v8, v8
	v_dual_add_f32 v10, v10, v28 :: v_dual_add_f32 v13, v13, v23
	v_fma_f32 v24, v18, v18, -v25
	s_delay_alu instid0(VALU_DEP_4)
	v_dual_fmaak_f32 v27, v17, v27, 0x3d2aadcc :: v_dual_fmaak_f32 v30, v26, v30, 0x3d2aadcc
	v_fma_f32 v28, v17, v17, -v29
	v_dual_fmaak_f32 v19, v16, v19, 0x3e2aaa47 :: v_dual_fmaak_f32 v22, v18, v22, 0x3e2aaa47
	v_dual_add_f32 v33, v9, v9 :: v_dual_add_f32 v34, v10, v10
	v_fma_f32 v23, v26, v26, -v31
	v_fmac_f32_e32 v20, v16, v32
	v_add_f32_e32 v32, v13, v13
	s_delay_alu instid0(VALU_DEP_4) | instskip(SKIP_1) | instid1(VALU_DEP_4)
	v_dual_fmaak_f32 v27, v17, v27, 0x3e2aaa47 :: v_dual_fmac_f32 v24, v18, v33
	v_dual_fmaak_f32 v19, v16, v19, 0x3efffffc :: v_dual_fmaak_f32 v22, v18, v22, 0x3efffffc
	v_dual_fmaak_f32 v30, v26, v30, 0x3e2aaa47 :: v_dual_add_f32 v33, v21, v20
	s_delay_alu instid0(VALU_DEP_4) | instskip(NEXT) | instid1(VALU_DEP_4)
	v_dual_fmac_f32 v28, v17, v34 :: v_dual_fmac_f32 v23, v26, v32
	v_add_f32_e32 v34, v25, v24
	s_delay_alu instid0(VALU_DEP_3) | instskip(NEXT) | instid1(VALU_DEP_4)
	v_dual_fmaak_f32 v27, v17, v27, 0x3efffffc :: v_dual_fmaak_f32 v30, v26, v30, 0x3efffffc
	v_mul_f32_e32 v35, v19, v33
	s_delay_alu instid0(VALU_DEP_3) | instskip(SKIP_2) | instid1(VALU_DEP_3)
	v_dual_sub_f32 v21, v33, v21 :: v_dual_mul_f32 v36, v22, v34
	v_dual_add_f32 v37, v31, v23 :: v_dual_add_f32 v32, v29, v28
	v_sub_f32_e32 v25, v34, v25
	v_sub_f32_e32 v20, v20, v21
	v_fma_f32 v21, v33, v19, -v35
	s_delay_alu instid0(VALU_DEP_4)
	v_sub_f32_e32 v31, v37, v31
	v_dual_sub_f32 v29, v32, v29 :: v_dual_mul_f32 v38, v27, v32
	v_sub_f32_e32 v24, v24, v25
	v_fma_f32 v25, v34, v22, -v36
	v_fmac_f32_e32 v21, v20, v19
	v_sub_f32_e32 v19, v23, v31
	v_mul_f32_e32 v33, v30, v37
	v_cvt_i32_f32_e32 v14, v14
	v_fmac_f32_e32 v25, v24, v22
	v_cvt_i32_f32_e32 v15, v15
	s_delay_alu instid0(VALU_DEP_4) | instskip(NEXT) | instid1(VALU_DEP_1)
	v_fma_f32 v20, v37, v30, -v33
	v_dual_add_f32 v23, v36, v25 :: v_dual_fmac_f32 v20, v19, v30
	v_sub_f32_e32 v28, v28, v29
	v_fma_f32 v29, v32, v27, -v38
	s_delay_alu instid0(VALU_DEP_3) | instskip(NEXT) | instid1(VALU_DEP_2)
	v_add_f32_e32 v31, v33, v20
	v_dual_fmac_f32 v29, v28, v27 :: v_dual_sub_f32 v28, v23, v36
	v_add_f32_e32 v22, v35, v21
	s_delay_alu instid0(VALU_DEP_1) | instskip(SKIP_1) | instid1(VALU_DEP_4)
	v_dual_sub_f32 v24, v22, v35 :: v_dual_add_f32 v27, v16, v22
	v_add_f32_e32 v30, v18, v23
	v_add_f32_e32 v19, v38, v29
	s_delay_alu instid0(VALU_DEP_3) | instskip(NEXT) | instid1(VALU_DEP_4)
	v_sub_f32_e32 v21, v21, v24
	v_sub_f32_e32 v16, v27, v16
	s_delay_alu instid0(VALU_DEP_4) | instskip(NEXT) | instid1(VALU_DEP_4)
	v_sub_f32_e32 v18, v30, v18
	v_sub_f32_e32 v32, v19, v38
	v_add_f32_e32 v34, v17, v19
	v_dual_sub_f32 v24, v25, v28 :: v_dual_sub_f32 v25, v31, v33
	s_delay_alu instid0(VALU_DEP_3) | instskip(NEXT) | instid1(VALU_DEP_3)
	v_dual_add_f32 v28, v26, v31 :: v_dual_sub_f32 v29, v29, v32
	v_sub_f32_e32 v17, v34, v17
	v_sub_f32_e32 v16, v22, v16
	s_delay_alu instid0(VALU_DEP_4) | instskip(SKIP_2) | instid1(VALU_DEP_3)
	v_dual_add_f32 v8, v8, v21 :: v_dual_add_f32 v9, v9, v24
	v_sub_f32_e32 v20, v20, v25
	v_sub_f32_e32 v21, v28, v26
	v_dual_sub_f32 v17, v19, v17 :: v_dual_add_f32 v8, v8, v16
	v_add_f32_e32 v10, v10, v29
	s_delay_alu instid0(VALU_DEP_4) | instskip(NEXT) | instid1(VALU_DEP_2)
	v_dual_sub_f32 v18, v23, v18 :: v_dual_add_f32 v13, v13, v20
	v_dual_add_f32 v10, v10, v17 :: v_dual_add_f32 v17, v27, v8
	s_delay_alu instid0(VALU_DEP_2) | instskip(NEXT) | instid1(VALU_DEP_2)
	v_dual_sub_f32 v16, v31, v21 :: v_dual_add_f32 v9, v9, v18
	v_sub_f32_e32 v19, v17, v27
	s_delay_alu instid0(VALU_DEP_2) | instskip(NEXT) | instid1(VALU_DEP_1)
	v_dual_add_f32 v13, v13, v16 :: v_dual_add_f32 v16, v34, v10
	v_add_f32_e32 v23, v28, v13
	s_delay_alu instid0(VALU_DEP_2) | instskip(SKIP_1) | instid1(VALU_DEP_3)
	v_dual_add_f32 v18, v30, v9 :: v_dual_add_f32 v25, 1.0, v16
	v_add_f32_e32 v20, 1.0, v17
	v_dual_sub_f32 v26, v23, v28 :: v_dual_add_f32 v27, 1.0, v23
	s_delay_alu instid0(VALU_DEP_3) | instskip(SKIP_1) | instid1(VALU_DEP_4)
	v_sub_f32_e32 v21, v18, v30
	v_add_f32_e32 v22, 1.0, v18
	v_dual_sub_f32 v8, v8, v19 :: v_dual_add_f32 v19, -1.0, v20
	s_delay_alu instid0(VALU_DEP_3) | instskip(NEXT) | instid1(VALU_DEP_3)
	v_dual_sub_f32 v24, v16, v34 :: v_dual_sub_f32 v9, v9, v21
	v_dual_add_f32 v21, -1.0, v22 :: v_dual_add_f32 v28, -1.0, v25
	s_delay_alu instid0(VALU_DEP_2) | instskip(NEXT) | instid1(VALU_DEP_2)
	v_dual_sub_f32 v17, v17, v19 :: v_dual_sub_f32 v10, v10, v24
	v_dual_add_f32 v19, -1.0, v27 :: v_dual_sub_f32 v18, v18, v21
	s_delay_alu instid0(VALU_DEP_3) | instskip(NEXT) | instid1(VALU_DEP_2)
	v_dual_sub_f32 v13, v13, v26 :: v_dual_sub_f32 v16, v16, v28
	v_dual_add_f32 v8, v8, v17 :: v_dual_sub_f32 v17, v23, v19
	s_delay_alu instid0(VALU_DEP_2) | instskip(NEXT) | instid1(VALU_DEP_2)
	v_dual_add_f32 v9, v9, v18 :: v_dual_add_f32 v10, v10, v16
	v_dual_add_f32 v16, v20, v8 :: v_dual_add_f32 v13, v13, v17
	s_delay_alu instid0(VALU_DEP_2) | instskip(NEXT) | instid1(VALU_DEP_2)
	v_dual_add_f32 v17, v25, v10 :: v_dual_add_f32 v18, v22, v9
	v_sub_f32_e32 v19, v16, v20
	v_ldexp_f32 v16, v16, v11
	s_delay_alu instid0(VALU_DEP_3) | instskip(SKIP_1) | instid1(VALU_DEP_3)
	v_dual_add_f32 v21, v27, v13 :: v_dual_sub_f32 v20, v18, v22
	v_ldexp_f32 v18, v18, v12
	v_rcp_f32_e32 v23, v16
	v_sub_f32_e32 v22, v17, v25
	s_delay_alu instid0(VALU_DEP_3) | instskip(NEXT) | instid1(VALU_DEP_3)
	v_dual_sub_f32 v8, v8, v19 :: v_dual_sub_f32 v9, v9, v20
	v_rcp_f32_e32 v19, v18
	v_ldexp_f32 v17, v17, v14
	v_ldexp_f32 v24, v21, v15
	s_delay_alu instid0(VALU_DEP_3) | instskip(SKIP_1) | instid1(TRANS32_DEP_2)
	v_ldexp_f32 v8, v8, v11
	v_ldexp_f32 v9, v9, v12
	v_dual_mul_f32 v11, v16, v23 :: v_dual_sub_f32 v10, v10, v22
	v_rcp_f32_e32 v25, v17
	s_delay_alu instid0(VALU_DEP_1) | instskip(NEXT) | instid1(VALU_DEP_2)
	v_fma_f32 v22, v23, v16, -v11
	v_ldexp_f32 v10, v10, v14
	s_delay_alu instid0(TRANS32_DEP_2) | instskip(NEXT) | instid1(VALU_DEP_1)
	v_mul_f32_e32 v12, v18, v19
	v_fma_f32 v14, v19, v18, -v12
	s_delay_alu instid0(VALU_DEP_1) | instskip(SKIP_2) | instid1(VALU_DEP_2)
	v_fmac_f32_e32 v14, v19, v9
	v_sub_f32_e32 v20, v21, v27
	v_rcp_f32_e32 v21, v24
	v_add_f32_e32 v29, v12, v14
	s_delay_alu instid0(VALU_DEP_2) | instskip(NEXT) | instid1(VALU_DEP_1)
	v_sub_f32_e32 v13, v13, v20
	v_ldexp_f32 v13, v13, v15
	v_fmac_f32_e32 v22, v23, v8
	s_delay_alu instid0(VALU_DEP_1) | instskip(NEXT) | instid1(VALU_DEP_1)
	v_add_f32_e32 v28, v11, v22
	v_dual_mul_f32 v20, v17, v25 :: v_dual_sub_f32 v31, 1.0, v28
	s_delay_alu instid0(TRANS32_DEP_1) | instskip(NEXT) | instid1(VALU_DEP_2)
	v_mul_f32_e32 v26, v24, v21
	v_fma_f32 v27, v25, v17, -v20
	s_delay_alu instid0(VALU_DEP_3) | instskip(NEXT) | instid1(VALU_DEP_3)
	v_sub_f32_e32 v35, 1.0, v31
	v_fma_f32 v15, v21, v24, -v26
	s_delay_alu instid0(VALU_DEP_3) | instskip(NEXT) | instid1(VALU_DEP_2)
	v_fmac_f32_e32 v27, v25, v10
	v_fmac_f32_e32 v15, v21, v13
	s_delay_alu instid0(VALU_DEP_1) | instskip(SKIP_1) | instid1(VALU_DEP_4)
	v_add_f32_e32 v33, v26, v15
	v_sub_f32_e32 v11, v28, v11
	v_add_f32_e32 v30, v20, v27
	v_sub_f32_e32 v28, v35, v28
	s_delay_alu instid0(VALU_DEP_4) | instskip(NEXT) | instid1(VALU_DEP_4)
	v_sub_f32_e32 v26, v33, v26
	v_sub_f32_e32 v11, v11, v22
	s_delay_alu instid0(VALU_DEP_2) | instskip(NEXT) | instid1(VALU_DEP_1)
	v_dual_sub_f32 v34, 1.0, v30 :: v_dual_sub_f32 v15, v26, v15
	v_dual_add_f32 v11, v11, v28 :: v_dual_sub_f32 v36, 1.0, v34
	v_sub_f32_e32 v12, v29, v12
	v_sub_f32_e32 v20, v30, v20
	s_delay_alu instid0(VALU_DEP_3) | instskip(NEXT) | instid1(VALU_DEP_3)
	v_add_f32_e32 v26, v31, v11
	v_sub_f32_e32 v12, v12, v14
	v_sub_f32_e32 v14, 1.0, v33
	v_sub_f32_e32 v32, 1.0, v29
	v_sub_f32_e32 v20, v20, v27
	v_mul_f32_e32 v28, v23, v26
	s_delay_alu instid0(VALU_DEP_3) | instskip(NEXT) | instid1(VALU_DEP_1)
	v_dual_sub_f32 v27, 1.0, v14 :: v_dual_sub_f32 v22, 1.0, v32
	v_dual_mul_f32 v35, v16, v28 :: v_dual_sub_f32 v22, v22, v29
	v_sub_f32_e32 v29, v36, v30
	s_delay_alu instid0(VALU_DEP_2) | instskip(NEXT) | instid1(VALU_DEP_2)
	v_fma_f32 v39, v28, v16, -v35
	v_dual_add_f32 v20, v20, v29 :: v_dual_sub_f32 v29, v31, v26
	s_delay_alu instid0(VALU_DEP_2) | instskip(NEXT) | instid1(VALU_DEP_2)
	v_fmac_f32_e32 v39, v28, v8
	v_add_f32_e32 v11, v11, v29
	v_dual_add_f32 v29, v23, v28 :: v_dual_add_f32 v12, v12, v22
	v_sub_f32_e32 v22, v27, v33
	s_delay_alu instid0(VALU_DEP_2) | instskip(NEXT) | instid1(VALU_DEP_2)
	v_dual_add_f32 v46, v35, v39 :: v_dual_add_f32 v27, v32, v12
	v_add_f32_e32 v15, v15, v22
	s_delay_alu instid0(VALU_DEP_2) | instskip(NEXT) | instid1(VALU_DEP_3)
	v_sub_f32_e32 v35, v46, v35
	v_mul_f32_e32 v30, v19, v27
	v_sub_f32_e32 v31, v32, v27
	s_delay_alu instid0(VALU_DEP_4) | instskip(NEXT) | instid1(VALU_DEP_4)
	v_add_f32_e32 v32, v14, v15
	v_sub_f32_e32 v35, v35, v39
	s_delay_alu instid0(VALU_DEP_2) | instskip(SKIP_1) | instid1(VALU_DEP_2)
	v_dual_mul_f32 v37, v21, v32 :: v_dual_add_f32 v12, v12, v31
	v_dual_add_f32 v31, v19, v30 :: v_dual_add_f32 v22, v34, v20
	v_dual_sub_f32 v14, v14, v32 :: v_dual_mul_f32 v43, v24, v37
	v_sub_f32_e32 v48, v26, v46
	s_delay_alu instid0(VALU_DEP_3) | instskip(NEXT) | instid1(VALU_DEP_3)
	v_sub_f32_e32 v42, v31, v19
	v_dual_add_f32 v14, v15, v14 :: v_dual_add_f32 v15, v21, v37
	v_mul_f32_e32 v33, v25, v22
	v_sub_f32_e32 v34, v34, v22
	s_delay_alu instid0(VALU_DEP_2) | instskip(NEXT) | instid1(VALU_DEP_1)
	v_mul_f32_e32 v38, v17, v33
	v_fma_f32 v44, v33, v17, -v38
	s_delay_alu instid0(VALU_DEP_1) | instskip(NEXT) | instid1(VALU_DEP_1)
	v_fmac_f32_e32 v44, v33, v10
	v_add_f32_e32 v47, v38, v44
	v_mul_f32_e32 v36, v18, v30
	v_add_f32_e32 v20, v20, v34
	v_add_f32_e32 v34, v25, v33
	v_sub_f32_e32 v26, v26, v48
	v_sub_f32_e32 v51, v22, v47
	v_fma_f32 v41, v30, v18, -v36
	s_delay_alu instid0(VALU_DEP_4) | instskip(NEXT) | instid1(VALU_DEP_4)
	v_dual_sub_f32 v38, v47, v38 :: v_dual_sub_f32 v45, v34, v25
	v_sub_f32_e32 v26, v26, v46
	s_delay_alu instid0(VALU_DEP_4) | instskip(NEXT) | instid1(VALU_DEP_4)
	v_sub_f32_e32 v22, v22, v51
	v_fmac_f32_e32 v41, v30, v9
	v_sub_f32_e32 v30, v30, v42
	s_delay_alu instid0(VALU_DEP_3) | instskip(NEXT) | instid1(VALU_DEP_1)
	v_dual_add_f32 v11, v11, v26 :: v_dual_sub_f32 v22, v22, v47
	v_dual_add_f32 v42, v36, v41 :: v_dual_add_f32 v11, v35, v11
	s_delay_alu instid0(VALU_DEP_2) | instskip(NEXT) | instid1(VALU_DEP_2)
	v_add_f32_e32 v20, v20, v22
	v_dual_sub_f32 v49, v27, v42 :: v_dual_sub_f32 v26, v38, v44
	s_delay_alu instid0(VALU_DEP_3) | instskip(NEXT) | instid1(VALU_DEP_2)
	v_add_f32_e32 v11, v48, v11
	v_dual_sub_f32 v27, v27, v49 :: v_dual_sub_f32 v40, v29, v23
	s_delay_alu instid0(VALU_DEP_2) | instskip(NEXT) | instid1(VALU_DEP_2)
	v_dual_sub_f32 v36, v42, v36 :: v_dual_mul_f32 v11, v23, v11
	v_dual_add_f32 v20, v26, v20 :: v_dual_sub_f32 v27, v27, v42
	s_delay_alu instid0(VALU_DEP_3) | instskip(SKIP_2) | instid1(VALU_DEP_4)
	v_sub_f32_e32 v28, v28, v40
	v_fma_f32 v40, v37, v24, -v43
	v_sub_f32_e32 v26, v15, v21
	v_add_f32_e32 v20, v51, v20
	v_add_f32_e32 v12, v12, v27
	s_delay_alu instid0(VALU_DEP_4) | instskip(SKIP_1) | instid1(VALU_DEP_2)
	v_dual_add_f32 v11, v28, v11 :: v_dual_fmac_f32 v40, v37, v13
	v_sub_f32_e32 v36, v36, v41
	v_add_f32_e32 v50, v43, v40
	s_delay_alu instid0(VALU_DEP_1) | instskip(SKIP_1) | instid1(VALU_DEP_2)
	v_sub_f32_e32 v39, v32, v50
	v_sub_f32_e32 v41, v50, v43
	;; [unrolled: 1-line block ×3, first 2 shown]
	s_delay_alu instid0(VALU_DEP_1) | instskip(NEXT) | instid1(VALU_DEP_1)
	v_dual_sub_f32 v22, v41, v40 :: v_dual_sub_f32 v27, v32, v50
	v_add_f32_e32 v14, v14, v27
	s_delay_alu instid0(VALU_DEP_1) | instskip(SKIP_1) | instid1(VALU_DEP_2)
	v_add_f32_e32 v14, v22, v14
	v_sub_f32_e32 v22, v33, v45
	v_add_f32_e32 v14, v39, v14
	s_delay_alu instid0(VALU_DEP_1) | instskip(SKIP_1) | instid1(VALU_DEP_1)
	v_mul_f32_e32 v14, v21, v14
	v_add_f32_e32 v21, v29, v11
	v_sub_f32_e32 v23, v21, v29
	v_ldexp_f32 v21, v21, -2
	s_delay_alu instid0(VALU_DEP_2) | instskip(NEXT) | instid1(VALU_DEP_2)
	v_dual_sub_f32 v11, v11, v23 :: v_dual_add_f32 v12, v36, v12
	v_sub_f32_e32 v23, v16, v21
	s_delay_alu instid0(VALU_DEP_2) | instskip(NEXT) | instid1(VALU_DEP_3)
	v_ldexp_f32 v11, v11, -2
	v_add_f32_e32 v12, v49, v12
	s_delay_alu instid0(VALU_DEP_3) | instskip(NEXT) | instid1(VALU_DEP_2)
	v_sub_f32_e32 v16, v16, v23
	v_mul_f32_e32 v12, v19, v12
	v_mul_f32_e32 v19, v25, v20
	v_sub_f32_e32 v20, v37, v26
	s_delay_alu instid0(VALU_DEP_3) | instskip(NEXT) | instid1(VALU_DEP_2)
	v_add_f32_e32 v12, v30, v12
	v_dual_add_f32 v19, v22, v19 :: v_dual_add_f32 v14, v20, v14
	s_delay_alu instid0(VALU_DEP_2) | instskip(NEXT) | instid1(VALU_DEP_2)
	v_add_f32_e32 v22, v31, v12
	v_add_f32_e32 v20, v34, v19
	s_delay_alu instid0(VALU_DEP_2) | instskip(SKIP_1) | instid1(VALU_DEP_2)
	v_dual_add_f32 v26, v15, v14 :: v_dual_sub_f32 v25, v22, v31
	v_ldexp_f32 v22, v22, -2
	v_sub_f32_e32 v15, v26, v15
	s_delay_alu instid0(VALU_DEP_4) | instskip(SKIP_1) | instid1(VALU_DEP_4)
	v_sub_f32_e32 v27, v20, v34
	v_ldexp_f32 v20, v20, -2
	v_dual_sub_f32 v12, v12, v25 :: v_dual_sub_f32 v25, v18, v22
	s_delay_alu instid0(VALU_DEP_4) | instskip(SKIP_1) | instid1(VALU_DEP_3)
	v_dual_sub_f32 v14, v14, v15 :: v_dual_sub_f32 v15, v16, v21
	v_ldexp_f32 v26, v26, -2
	v_dual_sub_f32 v19, v19, v27 :: v_dual_sub_f32 v18, v18, v25
	s_delay_alu instid0(VALU_DEP_3) | instskip(SKIP_1) | instid1(VALU_DEP_4)
	v_dual_sub_f32 v27, v17, v20 :: v_dual_add_f32 v8, v8, v15
	v_ldexp_f32 v12, v12, -2
	v_sub_f32_e32 v28, v24, v26
	s_delay_alu instid0(VALU_DEP_3) | instskip(NEXT) | instid1(VALU_DEP_4)
	v_dual_sub_f32 v16, v18, v22 :: v_dual_sub_f32 v17, v17, v27
	v_sub_f32_e32 v8, v8, v11
	v_ldexp_f32 v19, v19, -2
	s_delay_alu instid0(VALU_DEP_4) | instskip(NEXT) | instid1(VALU_DEP_4)
	v_sub_f32_e32 v18, v24, v28
	v_add_f32_e32 v9, v9, v16
	v_sub_f32_e32 v17, v17, v20
	v_add_f32_e32 v8, v23, v8
	v_ldexp_f32 v14, v14, -2
	v_sub_f32_e32 v15, v18, v26
	s_delay_alu instid0(VALU_DEP_4) | instskip(NEXT) | instid1(VALU_DEP_4)
	v_dual_sub_f32 v9, v9, v12 :: v_dual_add_f32 v10, v10, v17
	v_cndmask_b32_e32 v8, 0x7f800000, v8, vcc_lo
	v_cmp_nlt_f32_e64 vcc_lo, 0x42b2d4fc, |v5|
	s_delay_alu instid0(VALU_DEP_4) | instskip(NEXT) | instid1(VALU_DEP_4)
	v_add_f32_e32 v11, v13, v15
	v_dual_add_f32 v9, v25, v9 :: v_dual_sub_f32 v10, v10, v19
	s_delay_alu instid0(VALU_DEP_4) | instskip(SKIP_1) | instid1(VALU_DEP_4)
	v_cndmask_b32_e64 v8, v8, |v0|, s0
	v_cmp_gt_f32_e64 s0, 0x39800000, |v5|
	v_sub_f32_e32 v11, v11, v14
	s_delay_alu instid0(VALU_DEP_4) | instskip(SKIP_2) | instid1(VALU_DEP_4)
	v_dual_cndmask_b32 v9, 0x7f800000, v9 :: v_dual_add_f32 v10, v27, v10
	v_cmp_nlt_f32_e64 vcc_lo, 0x42b2d4fc, |v7|
	v_bfi_b32 v0, 0x7fffffff, v8, v0
	v_add_f32_e32 v11, v28, v11
	s_delay_alu instid0(VALU_DEP_4) | instskip(SKIP_3) | instid1(VALU_DEP_4)
	v_cndmask_b32_e64 v9, v9, |v5|, s0
	v_cmp_gt_f32_e64 s0, 0x39800000, |v7|
	v_cndmask_b32_e32 v10, 0x7f800000, v10, vcc_lo
	v_cmp_nlt_f32_e64 vcc_lo, 0x42b2d4fc, |v6|
	v_bfi_b32 v5, 0x7fffffff, v9, v5
	v_bfe_u32 v9, v0, 16, 1
	s_delay_alu instid0(VALU_DEP_4)
	v_cndmask_b32_e64 v10, v10, |v7|, s0
	v_cndmask_b32_e32 v11, 0x7f800000, v11, vcc_lo
	v_cmp_gt_f32_e64 s0, 0x39800000, |v6|
	v_bfe_u32 v8, v5, 16, 1
	v_add3_u32 v9, v0, v9, 0x7fff
	v_bfi_b32 v7, 0x7fffffff, v10, v7
	v_cmp_o_f32_e32 vcc_lo, v5, v5
	v_cndmask_b32_e64 v11, v11, |v6|, s0
	v_add3_u32 v8, v5, v8, 0x7fff
	v_lshrrev_b32_e32 v9, 16, v9
	v_bfe_u32 v10, v7, 16, 1
	v_cmp_lt_u64_e64 s0, 0xffff, v[1:2]
	v_bfi_b32 v6, 0x7fffffff, v11, v6
	v_and_b32_e32 v8, 0xffff0000, v8
	s_delay_alu instid0(VALU_DEP_4) | instskip(NEXT) | instid1(VALU_DEP_3)
	v_add3_u32 v10, v7, v10, 0x7fff
	v_bfe_u32 v11, v6, 16, 1
	s_delay_alu instid0(VALU_DEP_3) | instskip(SKIP_1) | instid1(VALU_DEP_4)
	v_cndmask_b32_e32 v5, 0x7fc00000, v8, vcc_lo
	v_cmp_o_f32_e32 vcc_lo, v0, v0
	v_and_b32_e32 v10, 0xffff0000, v10
	s_delay_alu instid0(VALU_DEP_4) | instskip(SKIP_2) | instid1(VALU_DEP_3)
	v_add3_u32 v11, v6, v11, 0x7fff
	v_cndmask_b32_e32 v0, 0x7fc0, v9, vcc_lo
	v_cmp_o_f32_e32 vcc_lo, v7, v7
	v_lshrrev_b32_e32 v11, 16, v11
	s_delay_alu instid0(VALU_DEP_3) | instskip(SKIP_2) | instid1(VALU_DEP_3)
	v_or_b32_e32 v0, v0, v5
	v_cndmask_b32_e32 v7, 0x7fc00000, v10, vcc_lo
	v_cmp_o_f32_e32 vcc_lo, v6, v6
	v_or3_b32 v5, v0, 0, 0
	v_cndmask_b32_e32 v6, 0x7fc0, v11, vcc_lo
	v_cmp_le_i64_e32 vcc_lo, s[6:7], v[1:2]
	v_add_co_u32 v1, s1, v1, s4
	s_delay_alu instid0(VALU_DEP_1) | instskip(NEXT) | instid1(VALU_DEP_4)
	v_add_co_ci_u32_e64 v2, s1, 0, v2, s1
	v_or3_b32 v6, 0, v6, v7
	s_or_b32 s0, vcc_lo, s0
	s_delay_alu instid0(SALU_CYCLE_1) | instskip(SKIP_4) | instid1(SALU_CYCLE_1)
	s_and_b32 s0, exec_lo, s0
	global_store_b64 v[3:4], v[5:6], off
	v_add_co_u32 v3, vcc_lo, v3, s3
	v_add_co_ci_u32_e32 v4, vcc_lo, 0, v4, vcc_lo
	s_or_b32 s2, s0, s2
	s_and_not1_b32 exec_lo, exec_lo, s2
	s_cbranch_execnz .LBB129_24
.LBB129_25:
	s_nop 0
	s_sendmsg sendmsg(MSG_DEALLOC_VGPRS)
	s_endpgm
	.section	.rodata,"a",@progbits
	.p2align	6, 0x0
	.amdhsa_kernel _ZN2at6native12_GLOBAL__N_125multi_tensor_apply_kernelINS1_18TensorListMetadataILi1EEENS1_14UnaryOpFunctorIN3c108BFloat16ELi1ELi1ELi0EEEJNS0_4SinhIfEEEEEvT_T0_DpT1_
		.amdhsa_group_segment_fixed_size 0
		.amdhsa_private_segment_fixed_size 0
		.amdhsa_kernarg_size 3632
		.amdhsa_user_sgpr_count 15
		.amdhsa_user_sgpr_dispatch_ptr 0
		.amdhsa_user_sgpr_queue_ptr 0
		.amdhsa_user_sgpr_kernarg_segment_ptr 1
		.amdhsa_user_sgpr_dispatch_id 0
		.amdhsa_user_sgpr_private_segment_size 0
		.amdhsa_wavefront_size32 1
		.amdhsa_uses_dynamic_stack 0
		.amdhsa_enable_private_segment 0
		.amdhsa_system_sgpr_workgroup_id_x 1
		.amdhsa_system_sgpr_workgroup_id_y 0
		.amdhsa_system_sgpr_workgroup_id_z 0
		.amdhsa_system_sgpr_workgroup_info 0
		.amdhsa_system_vgpr_workitem_id 0
		.amdhsa_next_free_vgpr 52
		.amdhsa_next_free_sgpr 21
		.amdhsa_reserve_vcc 1
		.amdhsa_float_round_mode_32 0
		.amdhsa_float_round_mode_16_64 0
		.amdhsa_float_denorm_mode_32 3
		.amdhsa_float_denorm_mode_16_64 3
		.amdhsa_dx10_clamp 1
		.amdhsa_ieee_mode 1
		.amdhsa_fp16_overflow 0
		.amdhsa_workgroup_processor_mode 1
		.amdhsa_memory_ordered 1
		.amdhsa_forward_progress 0
		.amdhsa_shared_vgpr_count 0
		.amdhsa_exception_fp_ieee_invalid_op 0
		.amdhsa_exception_fp_denorm_src 0
		.amdhsa_exception_fp_ieee_div_zero 0
		.amdhsa_exception_fp_ieee_overflow 0
		.amdhsa_exception_fp_ieee_underflow 0
		.amdhsa_exception_fp_ieee_inexact 0
		.amdhsa_exception_int_div_zero 0
	.end_amdhsa_kernel
	.section	.text._ZN2at6native12_GLOBAL__N_125multi_tensor_apply_kernelINS1_18TensorListMetadataILi1EEENS1_14UnaryOpFunctorIN3c108BFloat16ELi1ELi1ELi0EEEJNS0_4SinhIfEEEEEvT_T0_DpT1_,"axG",@progbits,_ZN2at6native12_GLOBAL__N_125multi_tensor_apply_kernelINS1_18TensorListMetadataILi1EEENS1_14UnaryOpFunctorIN3c108BFloat16ELi1ELi1ELi0EEEJNS0_4SinhIfEEEEEvT_T0_DpT1_,comdat
.Lfunc_end129:
	.size	_ZN2at6native12_GLOBAL__N_125multi_tensor_apply_kernelINS1_18TensorListMetadataILi1EEENS1_14UnaryOpFunctorIN3c108BFloat16ELi1ELi1ELi0EEEJNS0_4SinhIfEEEEEvT_T0_DpT1_, .Lfunc_end129-_ZN2at6native12_GLOBAL__N_125multi_tensor_apply_kernelINS1_18TensorListMetadataILi1EEENS1_14UnaryOpFunctorIN3c108BFloat16ELi1ELi1ELi0EEEJNS0_4SinhIfEEEEEvT_T0_DpT1_
                                        ; -- End function
	.section	.AMDGPU.csdata,"",@progbits
; Kernel info:
; codeLenInByte = 7268
; NumSgprs: 23
; NumVgprs: 52
; ScratchSize: 0
; MemoryBound: 0
; FloatMode: 240
; IeeeMode: 1
; LDSByteSize: 0 bytes/workgroup (compile time only)
; SGPRBlocks: 2
; VGPRBlocks: 6
; NumSGPRsForWavesPerEU: 23
; NumVGPRsForWavesPerEU: 52
; Occupancy: 16
; WaveLimiterHint : 0
; COMPUTE_PGM_RSRC2:SCRATCH_EN: 0
; COMPUTE_PGM_RSRC2:USER_SGPR: 15
; COMPUTE_PGM_RSRC2:TRAP_HANDLER: 0
; COMPUTE_PGM_RSRC2:TGID_X_EN: 1
; COMPUTE_PGM_RSRC2:TGID_Y_EN: 0
; COMPUTE_PGM_RSRC2:TGID_Z_EN: 0
; COMPUTE_PGM_RSRC2:TIDIG_COMP_CNT: 0
	.section	.text._ZN2at6native12_GLOBAL__N_125multi_tensor_apply_kernelINS1_18TensorListMetadataILi2EEENS1_14UnaryOpFunctorIdLi2ELi1ELi1EEEJNS0_3ExpIdEEEEEvT_T0_DpT1_,"axG",@progbits,_ZN2at6native12_GLOBAL__N_125multi_tensor_apply_kernelINS1_18TensorListMetadataILi2EEENS1_14UnaryOpFunctorIdLi2ELi1ELi1EEEJNS0_3ExpIdEEEEEvT_T0_DpT1_,comdat
	.globl	_ZN2at6native12_GLOBAL__N_125multi_tensor_apply_kernelINS1_18TensorListMetadataILi2EEENS1_14UnaryOpFunctorIdLi2ELi1ELi1EEEJNS0_3ExpIdEEEEEvT_T0_DpT1_ ; -- Begin function _ZN2at6native12_GLOBAL__N_125multi_tensor_apply_kernelINS1_18TensorListMetadataILi2EEENS1_14UnaryOpFunctorIdLi2ELi1ELi1EEEJNS0_3ExpIdEEEEEvT_T0_DpT1_
	.p2align	8
	.type	_ZN2at6native12_GLOBAL__N_125multi_tensor_apply_kernelINS1_18TensorListMetadataILi2EEENS1_14UnaryOpFunctorIdLi2ELi1ELi1EEEJNS0_3ExpIdEEEEEvT_T0_DpT1_,@function
_ZN2at6native12_GLOBAL__N_125multi_tensor_apply_kernelINS1_18TensorListMetadataILi2EEENS1_14UnaryOpFunctorIdLi2ELi1ELi1EEEJNS0_3ExpIdEEEEEvT_T0_DpT1_: ; @_ZN2at6native12_GLOBAL__N_125multi_tensor_apply_kernelINS1_18TensorListMetadataILi2EEENS1_14UnaryOpFunctorIdLi2ELi1ELi1EEEJNS0_3ExpIdEEEEEvT_T0_DpT1_
; %bb.0:
	v_mov_b32_e32 v1, s15
	s_add_u32 s2, s0, s15
	s_mul_hi_u32 s3, s15, 3
	s_mul_i32 s15, s15, 3
	s_addc_u32 s4, s1, 0
	global_load_u8 v1, v1, s[0:1] offset:1536
	s_add_u32 s2, s2, s15
	s_addc_u32 s3, s4, s3
	s_mov_b32 s7, 0
	s_load_b32 s2, s[2:3], 0x740
	s_mov_b32 s9, s7
	s_mov_b32 s11, s7
	s_waitcnt vmcnt(0)
	v_readfirstlane_b32 s5, v1
	s_delay_alu instid0(VALU_DEP_1)
	s_lshl_b32 s3, s5, 3
	s_clause 0x2
	s_load_b64 s[18:19], s[0:1], s3 offset:0x0
	s_load_b64 s[16:17], s[0:1], s3 offset:0x200
	;; [unrolled: 1-line block ×3, first 2 shown]
	s_waitcnt lgkmcnt(0)
	s_ashr_i32 s3, s2, 31
	s_delay_alu instid0(SALU_CYCLE_1) | instskip(NEXT) | instid1(SALU_CYCLE_1)
	s_lshl_b64 s[12:13], s[2:3], 19
	s_add_u32 s33, s18, s12
	s_addc_u32 s48, s19, s13
	s_and_b32 s6, s33, 31
	s_add_u32 s49, s16, s12
	s_addc_u32 s50, s17, s13
	s_and_b32 s8, s4, 3
	s_and_b32 s10, s49, 31
	s_or_b64 s[6:7], s[6:7], s[8:9]
	s_lshl_b64 s[2:3], s[2:3], 16
	s_or_b64 s[6:7], s[10:11], s[6:7]
	s_sub_u32 s14, s4, s2
	s_subb_u32 s15, s5, s3
	s_cmp_eq_u64 s[6:7], 0
	s_mov_b32 s2, -1
	s_cbranch_scc0 .LBB130_5
; %bb.1:
	v_dual_mov_b32 v2, 0 :: v_dual_lshlrev_b32 v1, 2, v0
	s_mov_b32 s51, exec_lo
	s_delay_alu instid0(VALU_DEP_1)
	v_cmpx_gt_i64_e64 s[14:15], v[1:2]
	s_cbranch_execz .LBB130_4
; %bb.2:
	s_load_b32 s2, s[0:1], 0xc5c
	v_lshlrev_b32_e32 v3, 5, v0
	s_mov_b32 s20, 0x652b82fe
	s_mov_b32 s22, 0xfefa39ef
	;; [unrolled: 1-line block ×18, first 2 shown]
	s_waitcnt lgkmcnt(0)
	s_and_b32 s2, s2, 0xffff
	s_mov_b32 s31, 0x3ec71dee
	v_add_lshl_u32 v1, v0, s2, 2
	s_mov_b32 s35, 0x3efa0199
	s_mov_b32 s37, 0x3f2a01a0
	s_mov_b32 s39, 0x3f56c16c
	s_mov_b32 s41, 0x3f811111
	s_mov_b32 s43, 0x3fa55555
	s_mov_b32 s45, 0x3fc55555
	s_mov_b32 s47, 0x3fe00000
	s_mov_b32 s52, 0
	s_lshl_b32 s53, s2, 2
	s_lshl_b32 s54, s2, 5
.LBB130_3:                              ; =>This Inner Loop Header: Depth=1
	v_add_co_u32 v8, s2, s33, v3
	s_delay_alu instid0(VALU_DEP_1)
	v_add_co_ci_u32_e64 v9, null, s48, 0, s2
	v_cmp_le_i64_e64 s9, s[14:15], v[1:2]
	v_cmp_lt_u64_e64 s10, 0xffff, v[1:2]
	s_clause 0x1
	global_load_b128 v[4:7], v[8:9], off
	global_load_b128 v[8:11], v[8:9], off offset:16
	s_or_b32 s9, s9, s10
	s_waitcnt vmcnt(1)
	v_mul_f64 v[14:15], v[6:7], s[20:21]
	s_waitcnt vmcnt(0)
	v_mul_f64 v[16:17], v[8:9], s[20:21]
	v_mul_f64 v[18:19], v[10:11], s[20:21]
	;; [unrolled: 1-line block ×3, first 2 shown]
	v_cmp_nlt_f64_e64 s2, 0x40900000, v[8:9]
	v_cmp_nlt_f64_e64 s3, 0x40900000, v[10:11]
	v_cmp_nlt_f64_e32 vcc_lo, 0x40900000, v[6:7]
	v_cmp_ngt_f64_e64 s6, 0xc090cc00, v[6:7]
	v_cmp_ngt_f64_e64 s7, 0xc090cc00, v[8:9]
	v_cmp_nlt_f64_e64 s4, 0x40900000, v[4:5]
	v_cmp_ngt_f64_e64 s5, 0xc090cc00, v[4:5]
	v_cmp_ngt_f64_e64 s8, 0xc090cc00, v[10:11]
	v_rndne_f64_e32 v[14:15], v[14:15]
	v_rndne_f64_e32 v[16:17], v[16:17]
	;; [unrolled: 1-line block ×4, first 2 shown]
	s_delay_alu instid0(VALU_DEP_4) | instskip(NEXT) | instid1(VALU_DEP_4)
	v_fma_f64 v[22:23], v[14:15], s[22:23], v[6:7]
	v_fma_f64 v[24:25], v[16:17], s[22:23], v[8:9]
	s_delay_alu instid0(VALU_DEP_4) | instskip(NEXT) | instid1(VALU_DEP_4)
	v_fma_f64 v[26:27], v[18:19], s[22:23], v[10:11]
	v_fma_f64 v[20:21], v[12:13], s[22:23], v[4:5]
	v_cvt_i32_f64_e32 v38, v[16:17]
	v_cvt_i32_f64_e32 v39, v[18:19]
	;; [unrolled: 1-line block ×4, first 2 shown]
	v_fma_f64 v[22:23], v[14:15], s[24:25], v[22:23]
	v_fma_f64 v[24:25], v[16:17], s[24:25], v[24:25]
	;; [unrolled: 1-line block ×4, first 2 shown]
	s_delay_alu instid0(VALU_DEP_4) | instskip(NEXT) | instid1(VALU_DEP_4)
	v_fma_f64 v[30:31], v[22:23], s[28:29], s[26:27]
	v_fma_f64 v[32:33], v[24:25], s[28:29], s[26:27]
	s_delay_alu instid0(VALU_DEP_4) | instskip(NEXT) | instid1(VALU_DEP_4)
	v_fma_f64 v[34:35], v[26:27], s[28:29], s[26:27]
	v_fma_f64 v[28:29], v[20:21], s[28:29], s[26:27]
	;; [unrolled: 3-line block ×18, first 2 shown]
	s_delay_alu instid0(VALU_DEP_4) | instskip(NEXT) | instid1(VALU_DEP_4)
	v_fma_f64 v[30:31], v[22:23], v[30:31], 1.0
	v_fma_f64 v[32:33], v[24:25], v[32:33], 1.0
	s_delay_alu instid0(VALU_DEP_4) | instskip(NEXT) | instid1(VALU_DEP_4)
	v_fma_f64 v[34:35], v[26:27], v[34:35], 1.0
	v_fma_f64 v[28:29], v[20:21], v[28:29], 1.0
	;; [unrolled: 3-line block ×4, first 2 shown]
	s_delay_alu instid0(VALU_DEP_4) | instskip(NEXT) | instid1(VALU_DEP_4)
	v_ldexp_f64 v[14:15], v[14:15], v37
	v_ldexp_f64 v[16:17], v[16:17], v38
	s_delay_alu instid0(VALU_DEP_4) | instskip(NEXT) | instid1(VALU_DEP_4)
	v_ldexp_f64 v[18:19], v[18:19], v39
	v_ldexp_f64 v[12:13], v[12:13], v36
	s_delay_alu instid0(VALU_DEP_4) | instskip(NEXT) | instid1(VALU_DEP_4)
	v_cndmask_b32_e32 v4, 0x7ff00000, v15, vcc_lo
	v_cndmask_b32_e64 v6, 0x7ff00000, v17, s2
	s_delay_alu instid0(VALU_DEP_4) | instskip(SKIP_1) | instid1(VALU_DEP_4)
	v_cndmask_b32_e64 v8, 0x7ff00000, v19, s3
	s_and_b32 vcc_lo, s6, vcc_lo
	v_cndmask_b32_e64 v13, 0x7ff00000, v13, s4
	v_add_co_u32 v19, s11, s49, v3
	v_cndmask_b32_e64 v9, 0, v6, s7
	v_cndmask_b32_e32 v6, 0, v14, vcc_lo
	s_and_b32 vcc_lo, s7, s2
	v_cndmask_b32_e64 v11, 0, v8, s8
	s_and_b32 s4, s5, s4
	v_cndmask_b32_e32 v8, 0, v16, vcc_lo
	s_and_b32 vcc_lo, s8, s3
	s_add_u32 s33, s33, s54
	v_add_co_ci_u32_e64 v20, null, s50, 0, s11
	v_add_co_u32 v1, s11, v1, s53
	s_addc_u32 s48, s48, 0
	s_add_u32 s49, s49, s54
	v_add_co_ci_u32_e64 v2, s11, 0, v2, s11
	v_cndmask_b32_e64 v5, 0, v13, s5
	v_cndmask_b32_e64 v7, 0, v4, s6
	;; [unrolled: 1-line block ×3, first 2 shown]
	s_addc_u32 s50, s50, 0
	v_cndmask_b32_e32 v10, 0, v18, vcc_lo
	s_and_b32 s2, exec_lo, s9
	s_clause 0x1
	global_store_b128 v[19:20], v[4:7], off
	global_store_b128 v[19:20], v[8:11], off offset:16
	s_or_b32 s52, s2, s52
	s_delay_alu instid0(SALU_CYCLE_1)
	s_and_not1_b32 exec_lo, exec_lo, s52
	s_cbranch_execnz .LBB130_3
.LBB130_4:
	s_or_b32 exec_lo, exec_lo, s51
	s_mov_b32 s2, 0
.LBB130_5:
	s_delay_alu instid0(SALU_CYCLE_1)
	s_and_not1_b32 vcc_lo, exec_lo, s2
	s_cbranch_vccnz .LBB130_25
; %bb.6:
	v_cmp_lt_i64_e64 s2, s[14:15], 1
	s_delay_alu instid0(VALU_DEP_1)
	s_and_b32 vcc_lo, exec_lo, s2
	s_cbranch_vccnz .LBB130_25
; %bb.7:
	s_load_b32 s0, s[0:1], 0xc5c
	v_dual_mov_b32 v2, 0 :: v_dual_lshlrev_b32 v1, 3, v0
	v_cmp_gt_u64_e64 s1, 0x10000, s[14:15]
	s_mov_b32 s6, 0x652b82fe
	s_mov_b32 s8, 0xfefa39ef
	s_delay_alu instid0(VALU_DEP_2) | instskip(NEXT) | instid1(VALU_DEP_1)
	v_add_co_u32 v9, s2, s18, v1
	v_add_co_ci_u32_e64 v10, null, s19, 0, s2
	v_add_co_u32 v11, s2, s16, v1
	s_delay_alu instid0(VALU_DEP_1)
	v_add_co_ci_u32_e64 v12, null, s17, 0, s2
	s_mov_b32 s10, 0x3b39803f
	s_mov_b32 s20, 0x6a5dcb37
	;; [unrolled: 1-line block ×6, first 2 shown]
	s_waitcnt lgkmcnt(0)
	s_and_b32 s0, s0, 0xffff
	s_and_b32 s1, s1, exec_lo
	v_mad_u64_u32 v[3:4], null, s0, 24, v[1:2]
	s_cselect_b32 s5, s15, 0
	s_cselect_b32 s4, s14, 0x10000
	s_lshl_b32 s3, s0, 4
	s_mul_i32 s2, s0, 3
	v_add_co_u32 v1, s3, s3, v1
	s_delay_alu instid0(VALU_DEP_2) | instskip(NEXT) | instid1(VALU_DEP_3)
	v_add_co_u32 v13, vcc_lo, s18, v3
	v_add_co_ci_u32_e32 v14, vcc_lo, s19, v4, vcc_lo
	v_add_co_u32 v17, s2, s2, v0
	v_add_co_u32 v15, vcc_lo, s16, v3
	v_add_co_ci_u32_e64 v2, null, 0, 0, s3
	v_add_co_ci_u32_e64 v18, null, 0, 0, s2
	v_add_co_u32 v21, s2, v0, s0
	v_add_co_ci_u32_e32 v16, vcc_lo, s17, v4, vcc_lo
	v_add_co_u32 v19, vcc_lo, s18, v1
	v_add_co_ci_u32_e32 v20, vcc_lo, s19, v2, vcc_lo
	v_add_co_u32 v22, vcc_lo, s16, v1
	v_lshlrev_b32_e32 v1, 3, v21
	s_lshl_b32 s1, s0, 1
	v_add_co_ci_u32_e32 v23, vcc_lo, s17, v2, vcc_lo
	v_add_co_u32 v25, s1, s1, v0
	s_delay_alu instid0(VALU_DEP_1) | instskip(SKIP_1) | instid1(VALU_DEP_1)
	v_add_co_ci_u32_e64 v26, null, 0, 0, s1
	v_add_co_u32 v27, s1, s18, v1
	v_add_co_ci_u32_e64 v28, null, s19, 0, s1
	v_add_co_u32 v29, s1, s16, v1
	v_add_co_ci_u32_e64 v24, null, 0, 0, s2
	v_add_co_ci_u32_e64 v30, null, s17, 0, s1
	s_mov_b32 s18, 0xfca7ab0c
	s_mov_b32 s30, 0x11122322
	;; [unrolled: 1-line block ×18, first 2 shown]
	s_lshl_b32 s33, s0, 2
	s_lshl_b32 s40, s0, 5
	s_mov_b64 s[16:17], 0
	s_branch .LBB130_9
.LBB130_8:                              ;   in Loop: Header=BB130_9 Depth=1
	s_or_b32 exec_lo, exec_lo, s1
	v_add_co_u32 v9, vcc_lo, v9, s40
	v_add_co_ci_u32_e32 v10, vcc_lo, 0, v10, vcc_lo
	v_add_co_u32 v11, vcc_lo, v11, s40
	v_add_co_ci_u32_e32 v12, vcc_lo, 0, v12, vcc_lo
	;; [unrolled: 2-line block ×5, first 2 shown]
	s_add_u32 s16, s16, s33
	v_add_co_u32 v22, vcc_lo, v22, s40
	s_addc_u32 s17, s17, 0
	v_add_co_ci_u32_e32 v23, vcc_lo, 0, v23, vcc_lo
	v_cmp_ge_i64_e64 s0, s[16:17], s[14:15]
	v_cmp_lt_u64_e64 s1, 0xffff, s[16:17]
	v_add_co_u32 v27, vcc_lo, v27, s40
	v_add_co_ci_u32_e32 v28, vcc_lo, 0, v28, vcc_lo
	v_add_co_u32 v29, vcc_lo, v29, s40
	v_add_co_ci_u32_e32 v30, vcc_lo, 0, v30, vcc_lo
	s_or_b32 s0, s0, s1
	s_delay_alu instid0(SALU_CYCLE_1)
	s_and_b32 vcc_lo, exec_lo, s0
	s_cbranch_vccnz .LBB130_25
.LBB130_9:                              ; =>This Inner Loop Header: Depth=1
	s_waitcnt vmcnt(0)
	v_add_co_u32 v1, s0, v0, s16
	s_delay_alu instid0(VALU_DEP_1) | instskip(SKIP_2) | instid1(VALU_DEP_3)
	v_add_co_ci_u32_e64 v2, null, 0, s17, s0
	v_mov_b32_e32 v5, 0
	v_mov_b32_e32 v6, 0
	v_cmp_gt_u64_e64 s2, s[4:5], v[1:2]
	s_delay_alu instid0(VALU_DEP_2) | instskip(NEXT) | instid1(VALU_DEP_2)
	v_dual_mov_b32 v8, v6 :: v_dual_mov_b32 v7, v5
	s_and_saveexec_b32 s0, s2
	s_cbranch_execz .LBB130_11
; %bb.10:                               ;   in Loop: Header=BB130_9 Depth=1
	v_add_co_u32 v1, vcc_lo, v9, s12
	v_add_co_ci_u32_e32 v2, vcc_lo, s13, v10, vcc_lo
	global_load_b64 v[7:8], v[1:2], off
.LBB130_11:                             ;   in Loop: Header=BB130_9 Depth=1
	s_or_b32 exec_lo, exec_lo, s0
	v_add_co_u32 v1, vcc_lo, v21, s16
	v_add_co_ci_u32_e32 v2, vcc_lo, s17, v24, vcc_lo
	s_delay_alu instid0(VALU_DEP_1) | instskip(NEXT) | instid1(VALU_DEP_1)
	v_cmp_gt_u64_e64 s1, s[4:5], v[1:2]
	s_and_saveexec_b32 s0, s1
	s_cbranch_execz .LBB130_13
; %bb.12:                               ;   in Loop: Header=BB130_9 Depth=1
	v_add_co_u32 v1, vcc_lo, v27, s12
	v_add_co_ci_u32_e32 v2, vcc_lo, s13, v28, vcc_lo
	global_load_b64 v[5:6], v[1:2], off
.LBB130_13:                             ;   in Loop: Header=BB130_9 Depth=1
	s_or_b32 exec_lo, exec_lo, s0
	v_add_co_u32 v3, vcc_lo, v25, s16
	v_add_co_ci_u32_e32 v4, vcc_lo, s17, v26, vcc_lo
	v_mov_b32_e32 v1, 0
	v_mov_b32_e32 v2, 0
	s_delay_alu instid0(VALU_DEP_3) | instskip(NEXT) | instid1(VALU_DEP_2)
	v_cmp_gt_u64_e64 s0, s[4:5], v[3:4]
	v_dual_mov_b32 v4, v2 :: v_dual_mov_b32 v3, v1
	s_delay_alu instid0(VALU_DEP_2)
	s_and_saveexec_b32 s3, s0
	s_cbranch_execz .LBB130_15
; %bb.14:                               ;   in Loop: Header=BB130_9 Depth=1
	v_add_co_u32 v3, vcc_lo, v19, s12
	v_add_co_ci_u32_e32 v4, vcc_lo, s13, v20, vcc_lo
	global_load_b64 v[3:4], v[3:4], off
.LBB130_15:                             ;   in Loop: Header=BB130_9 Depth=1
	s_or_b32 exec_lo, exec_lo, s3
	v_add_co_u32 v31, vcc_lo, v17, s16
	v_add_co_ci_u32_e32 v32, vcc_lo, s17, v18, vcc_lo
	s_delay_alu instid0(VALU_DEP_1)
	v_cmp_gt_u64_e32 vcc_lo, s[4:5], v[31:32]
	s_and_saveexec_b32 s41, vcc_lo
	s_cbranch_execnz .LBB130_20
; %bb.16:                               ;   in Loop: Header=BB130_9 Depth=1
	s_or_b32 exec_lo, exec_lo, s41
	s_and_saveexec_b32 s41, s2
	s_cbranch_execnz .LBB130_21
.LBB130_17:                             ;   in Loop: Header=BB130_9 Depth=1
	s_or_b32 exec_lo, exec_lo, s41
	s_and_saveexec_b32 s3, s1
	s_cbranch_execnz .LBB130_22
.LBB130_18:                             ;   in Loop: Header=BB130_9 Depth=1
	s_or_b32 exec_lo, exec_lo, s3
	s_and_saveexec_b32 s2, s0
	s_cbranch_execnz .LBB130_23
.LBB130_19:                             ;   in Loop: Header=BB130_9 Depth=1
	s_or_b32 exec_lo, exec_lo, s2
	s_and_saveexec_b32 s1, vcc_lo
	s_cbranch_execz .LBB130_8
	s_branch .LBB130_24
.LBB130_20:                             ;   in Loop: Header=BB130_9 Depth=1
	v_add_co_u32 v1, s3, v13, s12
	s_delay_alu instid0(VALU_DEP_1)
	v_add_co_ci_u32_e64 v2, s3, s13, v14, s3
	global_load_b64 v[1:2], v[1:2], off
	s_or_b32 exec_lo, exec_lo, s41
	s_and_saveexec_b32 s41, s2
	s_cbranch_execz .LBB130_17
.LBB130_21:                             ;   in Loop: Header=BB130_9 Depth=1
	s_waitcnt vmcnt(0)
	v_mul_f64 v[31:32], v[7:8], s[6:7]
	v_cmp_nlt_f64_e64 s2, 0x40900000, v[7:8]
	v_cmp_ngt_f64_e64 s3, 0xc090cc00, v[7:8]
	s_delay_alu instid0(VALU_DEP_3) | instskip(NEXT) | instid1(VALU_DEP_1)
	v_rndne_f64_e32 v[31:32], v[31:32]
	v_fma_f64 v[33:34], v[31:32], s[8:9], v[7:8]
	v_cvt_i32_f64_e32 v37, v[31:32]
	s_delay_alu instid0(VALU_DEP_2) | instskip(NEXT) | instid1(VALU_DEP_1)
	v_fma_f64 v[33:34], v[31:32], s[10:11], v[33:34]
	v_fma_f64 v[35:36], v[33:34], s[20:21], s[18:19]
	s_delay_alu instid0(VALU_DEP_1) | instskip(NEXT) | instid1(VALU_DEP_1)
	v_fma_f64 v[35:36], v[33:34], v[35:36], s[22:23]
	v_fma_f64 v[35:36], v[33:34], v[35:36], s[24:25]
	s_delay_alu instid0(VALU_DEP_1) | instskip(NEXT) | instid1(VALU_DEP_1)
	;; [unrolled: 3-line block ×5, first 2 shown]
	v_fma_f64 v[35:36], v[33:34], v[35:36], 1.0
	v_fma_f64 v[31:32], v[33:34], v[35:36], 1.0
	s_delay_alu instid0(VALU_DEP_1) | instskip(NEXT) | instid1(VALU_DEP_1)
	v_ldexp_f64 v[31:32], v[31:32], v37
	v_cndmask_b32_e64 v32, 0x7ff00000, v32, s2
	s_and_b32 s2, s3, s2
	s_delay_alu instid0(VALU_DEP_2) | instid1(SALU_CYCLE_1)
	v_cndmask_b32_e64 v7, 0, v31, s2
	v_add_co_u32 v31, s2, v11, s12
	s_delay_alu instid0(VALU_DEP_3)
	v_cndmask_b32_e64 v8, 0, v32, s3
	v_add_co_ci_u32_e64 v32, s2, s13, v12, s2
	global_store_b64 v[31:32], v[7:8], off
	s_or_b32 exec_lo, exec_lo, s41
	s_and_saveexec_b32 s3, s1
	s_cbranch_execz .LBB130_18
.LBB130_22:                             ;   in Loop: Header=BB130_9 Depth=1
	s_waitcnt vmcnt(0)
	v_mul_f64 v[7:8], v[5:6], s[6:7]
	v_cmp_nlt_f64_e64 s1, 0x40900000, v[5:6]
	v_cmp_ngt_f64_e64 s2, 0xc090cc00, v[5:6]
	s_delay_alu instid0(VALU_DEP_3) | instskip(NEXT) | instid1(VALU_DEP_1)
	v_rndne_f64_e32 v[7:8], v[7:8]
	v_fma_f64 v[31:32], v[7:8], s[8:9], v[5:6]
	v_cvt_i32_f64_e32 v35, v[7:8]
	s_delay_alu instid0(VALU_DEP_2) | instskip(NEXT) | instid1(VALU_DEP_1)
	v_fma_f64 v[31:32], v[7:8], s[10:11], v[31:32]
	v_fma_f64 v[33:34], v[31:32], s[20:21], s[18:19]
	s_delay_alu instid0(VALU_DEP_1) | instskip(NEXT) | instid1(VALU_DEP_1)
	v_fma_f64 v[33:34], v[31:32], v[33:34], s[22:23]
	v_fma_f64 v[33:34], v[31:32], v[33:34], s[24:25]
	s_delay_alu instid0(VALU_DEP_1) | instskip(NEXT) | instid1(VALU_DEP_1)
	;; [unrolled: 3-line block ×5, first 2 shown]
	v_fma_f64 v[33:34], v[31:32], v[33:34], 1.0
	v_fma_f64 v[7:8], v[31:32], v[33:34], 1.0
	s_delay_alu instid0(VALU_DEP_1) | instskip(NEXT) | instid1(VALU_DEP_1)
	v_ldexp_f64 v[7:8], v[7:8], v35
	v_cndmask_b32_e64 v8, 0x7ff00000, v8, s1
	s_and_b32 s1, s2, s1
	s_delay_alu instid0(VALU_DEP_2) | instid1(SALU_CYCLE_1)
	v_cndmask_b32_e64 v5, 0, v7, s1
	v_add_co_u32 v7, s1, v29, s12
	s_delay_alu instid0(VALU_DEP_3)
	v_cndmask_b32_e64 v6, 0, v8, s2
	v_add_co_ci_u32_e64 v8, s1, s13, v30, s1
	global_store_b64 v[7:8], v[5:6], off
	s_or_b32 exec_lo, exec_lo, s3
	s_and_saveexec_b32 s2, s0
	s_cbranch_execz .LBB130_19
.LBB130_23:                             ;   in Loop: Header=BB130_9 Depth=1
	s_waitcnt vmcnt(0)
	v_mul_f64 v[5:6], v[3:4], s[6:7]
	v_cmp_nlt_f64_e64 s0, 0x40900000, v[3:4]
	v_cmp_ngt_f64_e64 s1, 0xc090cc00, v[3:4]
	s_delay_alu instid0(VALU_DEP_3) | instskip(NEXT) | instid1(VALU_DEP_1)
	v_rndne_f64_e32 v[5:6], v[5:6]
	v_fma_f64 v[7:8], v[5:6], s[8:9], v[3:4]
	v_cvt_i32_f64_e32 v33, v[5:6]
	s_delay_alu instid0(VALU_DEP_2) | instskip(NEXT) | instid1(VALU_DEP_1)
	v_fma_f64 v[7:8], v[5:6], s[10:11], v[7:8]
	v_fma_f64 v[31:32], v[7:8], s[20:21], s[18:19]
	s_delay_alu instid0(VALU_DEP_1) | instskip(NEXT) | instid1(VALU_DEP_1)
	v_fma_f64 v[31:32], v[7:8], v[31:32], s[22:23]
	v_fma_f64 v[31:32], v[7:8], v[31:32], s[24:25]
	s_delay_alu instid0(VALU_DEP_1) | instskip(NEXT) | instid1(VALU_DEP_1)
	;; [unrolled: 3-line block ×5, first 2 shown]
	v_fma_f64 v[31:32], v[7:8], v[31:32], 1.0
	v_fma_f64 v[5:6], v[7:8], v[31:32], 1.0
	s_delay_alu instid0(VALU_DEP_1) | instskip(NEXT) | instid1(VALU_DEP_1)
	v_ldexp_f64 v[5:6], v[5:6], v33
	v_cndmask_b32_e64 v6, 0x7ff00000, v6, s0
	s_and_b32 s0, s1, s0
	s_delay_alu instid0(VALU_DEP_2) | instid1(SALU_CYCLE_1)
	v_cndmask_b32_e64 v3, 0, v5, s0
	v_add_co_u32 v5, s0, v22, s12
	s_delay_alu instid0(VALU_DEP_3)
	v_cndmask_b32_e64 v4, 0, v6, s1
	v_add_co_ci_u32_e64 v6, s0, s13, v23, s0
	global_store_b64 v[5:6], v[3:4], off
	s_or_b32 exec_lo, exec_lo, s2
	s_and_saveexec_b32 s1, vcc_lo
	s_cbranch_execz .LBB130_8
.LBB130_24:                             ;   in Loop: Header=BB130_9 Depth=1
	s_waitcnt vmcnt(0)
	v_mul_f64 v[3:4], v[1:2], s[6:7]
	v_cmp_nlt_f64_e32 vcc_lo, 0x40900000, v[1:2]
	v_cmp_ngt_f64_e64 s0, 0xc090cc00, v[1:2]
	s_delay_alu instid0(VALU_DEP_3) | instskip(NEXT) | instid1(VALU_DEP_1)
	v_rndne_f64_e32 v[3:4], v[3:4]
	v_fma_f64 v[5:6], v[3:4], s[8:9], v[1:2]
	v_cvt_i32_f64_e32 v31, v[3:4]
	s_delay_alu instid0(VALU_DEP_2) | instskip(NEXT) | instid1(VALU_DEP_1)
	v_fma_f64 v[5:6], v[3:4], s[10:11], v[5:6]
	v_fma_f64 v[7:8], v[5:6], s[20:21], s[18:19]
	s_delay_alu instid0(VALU_DEP_1) | instskip(NEXT) | instid1(VALU_DEP_1)
	v_fma_f64 v[7:8], v[5:6], v[7:8], s[22:23]
	v_fma_f64 v[7:8], v[5:6], v[7:8], s[24:25]
	s_delay_alu instid0(VALU_DEP_1) | instskip(NEXT) | instid1(VALU_DEP_1)
	;; [unrolled: 3-line block ×5, first 2 shown]
	v_fma_f64 v[7:8], v[5:6], v[7:8], 1.0
	v_fma_f64 v[3:4], v[5:6], v[7:8], 1.0
	s_delay_alu instid0(VALU_DEP_1) | instskip(NEXT) | instid1(VALU_DEP_1)
	v_ldexp_f64 v[3:4], v[3:4], v31
	v_cndmask_b32_e32 v4, 0x7ff00000, v4, vcc_lo
	s_and_b32 vcc_lo, s0, vcc_lo
	s_delay_alu instid0(VALU_DEP_2) | instskip(SKIP_1) | instid1(VALU_DEP_3)
	v_cndmask_b32_e32 v1, 0, v3, vcc_lo
	v_add_co_u32 v3, vcc_lo, v15, s12
	v_cndmask_b32_e64 v2, 0, v4, s0
	v_add_co_ci_u32_e32 v4, vcc_lo, s13, v16, vcc_lo
	global_store_b64 v[3:4], v[1:2], off
	s_branch .LBB130_8
.LBB130_25:
	s_nop 0
	s_sendmsg sendmsg(MSG_DEALLOC_VGPRS)
	s_endpgm
	.section	.rodata,"a",@progbits
	.p2align	6, 0x0
	.amdhsa_kernel _ZN2at6native12_GLOBAL__N_125multi_tensor_apply_kernelINS1_18TensorListMetadataILi2EEENS1_14UnaryOpFunctorIdLi2ELi1ELi1EEEJNS0_3ExpIdEEEEEvT_T0_DpT1_
		.amdhsa_group_segment_fixed_size 0
		.amdhsa_private_segment_fixed_size 0
		.amdhsa_kernarg_size 3408
		.amdhsa_user_sgpr_count 15
		.amdhsa_user_sgpr_dispatch_ptr 0
		.amdhsa_user_sgpr_queue_ptr 0
		.amdhsa_user_sgpr_kernarg_segment_ptr 1
		.amdhsa_user_sgpr_dispatch_id 0
		.amdhsa_user_sgpr_private_segment_size 0
		.amdhsa_wavefront_size32 1
		.amdhsa_uses_dynamic_stack 0
		.amdhsa_enable_private_segment 0
		.amdhsa_system_sgpr_workgroup_id_x 1
		.amdhsa_system_sgpr_workgroup_id_y 0
		.amdhsa_system_sgpr_workgroup_id_z 0
		.amdhsa_system_sgpr_workgroup_info 0
		.amdhsa_system_vgpr_workitem_id 0
		.amdhsa_next_free_vgpr 40
		.amdhsa_next_free_sgpr 55
		.amdhsa_reserve_vcc 1
		.amdhsa_float_round_mode_32 0
		.amdhsa_float_round_mode_16_64 0
		.amdhsa_float_denorm_mode_32 3
		.amdhsa_float_denorm_mode_16_64 3
		.amdhsa_dx10_clamp 1
		.amdhsa_ieee_mode 1
		.amdhsa_fp16_overflow 0
		.amdhsa_workgroup_processor_mode 1
		.amdhsa_memory_ordered 1
		.amdhsa_forward_progress 0
		.amdhsa_shared_vgpr_count 0
		.amdhsa_exception_fp_ieee_invalid_op 0
		.amdhsa_exception_fp_denorm_src 0
		.amdhsa_exception_fp_ieee_div_zero 0
		.amdhsa_exception_fp_ieee_overflow 0
		.amdhsa_exception_fp_ieee_underflow 0
		.amdhsa_exception_fp_ieee_inexact 0
		.amdhsa_exception_int_div_zero 0
	.end_amdhsa_kernel
	.section	.text._ZN2at6native12_GLOBAL__N_125multi_tensor_apply_kernelINS1_18TensorListMetadataILi2EEENS1_14UnaryOpFunctorIdLi2ELi1ELi1EEEJNS0_3ExpIdEEEEEvT_T0_DpT1_,"axG",@progbits,_ZN2at6native12_GLOBAL__N_125multi_tensor_apply_kernelINS1_18TensorListMetadataILi2EEENS1_14UnaryOpFunctorIdLi2ELi1ELi1EEEJNS0_3ExpIdEEEEEvT_T0_DpT1_,comdat
.Lfunc_end130:
	.size	_ZN2at6native12_GLOBAL__N_125multi_tensor_apply_kernelINS1_18TensorListMetadataILi2EEENS1_14UnaryOpFunctorIdLi2ELi1ELi1EEEJNS0_3ExpIdEEEEEvT_T0_DpT1_, .Lfunc_end130-_ZN2at6native12_GLOBAL__N_125multi_tensor_apply_kernelINS1_18TensorListMetadataILi2EEENS1_14UnaryOpFunctorIdLi2ELi1ELi1EEEJNS0_3ExpIdEEEEEvT_T0_DpT1_
                                        ; -- End function
	.section	.AMDGPU.csdata,"",@progbits
; Kernel info:
; codeLenInByte = 3492
; NumSgprs: 57
; NumVgprs: 40
; ScratchSize: 0
; MemoryBound: 0
; FloatMode: 240
; IeeeMode: 1
; LDSByteSize: 0 bytes/workgroup (compile time only)
; SGPRBlocks: 7
; VGPRBlocks: 4
; NumSGPRsForWavesPerEU: 57
; NumVGPRsForWavesPerEU: 40
; Occupancy: 16
; WaveLimiterHint : 0
; COMPUTE_PGM_RSRC2:SCRATCH_EN: 0
; COMPUTE_PGM_RSRC2:USER_SGPR: 15
; COMPUTE_PGM_RSRC2:TRAP_HANDLER: 0
; COMPUTE_PGM_RSRC2:TGID_X_EN: 1
; COMPUTE_PGM_RSRC2:TGID_Y_EN: 0
; COMPUTE_PGM_RSRC2:TGID_Z_EN: 0
; COMPUTE_PGM_RSRC2:TIDIG_COMP_CNT: 0
	.section	.text._ZN2at6native12_GLOBAL__N_125multi_tensor_apply_kernelINS1_18TensorListMetadataILi2EEENS1_14UnaryOpFunctorIfLi2ELi1ELi1EEEJNS0_3ExpIfEEEEEvT_T0_DpT1_,"axG",@progbits,_ZN2at6native12_GLOBAL__N_125multi_tensor_apply_kernelINS1_18TensorListMetadataILi2EEENS1_14UnaryOpFunctorIfLi2ELi1ELi1EEEJNS0_3ExpIfEEEEEvT_T0_DpT1_,comdat
	.globl	_ZN2at6native12_GLOBAL__N_125multi_tensor_apply_kernelINS1_18TensorListMetadataILi2EEENS1_14UnaryOpFunctorIfLi2ELi1ELi1EEEJNS0_3ExpIfEEEEEvT_T0_DpT1_ ; -- Begin function _ZN2at6native12_GLOBAL__N_125multi_tensor_apply_kernelINS1_18TensorListMetadataILi2EEENS1_14UnaryOpFunctorIfLi2ELi1ELi1EEEJNS0_3ExpIfEEEEEvT_T0_DpT1_
	.p2align	8
	.type	_ZN2at6native12_GLOBAL__N_125multi_tensor_apply_kernelINS1_18TensorListMetadataILi2EEENS1_14UnaryOpFunctorIfLi2ELi1ELi1EEEJNS0_3ExpIfEEEEEvT_T0_DpT1_,@function
_ZN2at6native12_GLOBAL__N_125multi_tensor_apply_kernelINS1_18TensorListMetadataILi2EEENS1_14UnaryOpFunctorIfLi2ELi1ELi1EEEJNS0_3ExpIfEEEEEvT_T0_DpT1_: ; @_ZN2at6native12_GLOBAL__N_125multi_tensor_apply_kernelINS1_18TensorListMetadataILi2EEENS1_14UnaryOpFunctorIfLi2ELi1ELi1EEEJNS0_3ExpIfEEEEEvT_T0_DpT1_
; %bb.0:
	v_mov_b32_e32 v1, s15
	s_add_u32 s2, s0, s15
	s_mul_hi_u32 s3, s15, 3
	s_mul_i32 s15, s15, 3
	s_addc_u32 s4, s1, 0
	global_load_u8 v1, v1, s[0:1] offset:1536
	s_add_u32 s2, s2, s15
	s_addc_u32 s3, s4, s3
	s_mov_b32 s19, 0
	s_load_b32 s2, s[2:3], 0x740
	s_mov_b32 s21, s19
	s_mov_b32 s23, s19
	s_waitcnt vmcnt(0)
	v_readfirstlane_b32 s5, v1
	s_delay_alu instid0(VALU_DEP_1)
	s_lshl_b32 s3, s5, 3
	s_clause 0x2
	s_load_b64 s[10:11], s[0:1], s3 offset:0x0
	s_load_b64 s[12:13], s[0:1], s3 offset:0x200
	;; [unrolled: 1-line block ×3, first 2 shown]
	s_waitcnt lgkmcnt(0)
	s_ashr_i32 s3, s2, 31
	s_delay_alu instid0(SALU_CYCLE_1) | instskip(NEXT) | instid1(SALU_CYCLE_1)
	s_lshl_b64 s[6:7], s[2:3], 18
	s_add_u32 s5, s10, s6
	s_addc_u32 s14, s11, s7
	s_and_b32 s18, s5, 15
	s_add_u32 s15, s12, s6
	s_addc_u32 s16, s13, s7
	s_and_b32 s20, s8, 3
	s_and_b32 s22, s15, 15
	s_or_b64 s[18:19], s[18:19], s[20:21]
	s_lshl_b64 s[2:3], s[2:3], 16
	s_or_b64 s[18:19], s[22:23], s[18:19]
	s_sub_u32 s8, s8, s2
	s_subb_u32 s9, s9, s3
	s_cmp_eq_u64 s[18:19], 0
	s_mov_b32 s2, -1
	s_cbranch_scc0 .LBB131_5
; %bb.1:
	v_dual_mov_b32 v2, 0 :: v_dual_lshlrev_b32 v1, 2, v0
	s_mov_b32 s17, exec_lo
	s_delay_alu instid0(VALU_DEP_1)
	v_cmpx_gt_i64_e64 s[8:9], v[1:2]
	s_cbranch_execz .LBB131_4
; %bb.2:
	s_load_b32 s2, s[0:1], 0xc5c
	v_lshlrev_b32_e32 v3, 4, v0
	s_mov_b32 s18, 0
	s_waitcnt lgkmcnt(0)
	s_and_b32 s2, s2, 0xffff
	s_delay_alu instid0(SALU_CYCLE_1)
	v_add_lshl_u32 v1, v0, s2, 2
	s_lshl_b32 s19, s2, 2
	s_lshl_b32 s20, s2, 4
.LBB131_3:                              ; =>This Inner Loop Header: Depth=1
	v_add_co_u32 v4, s2, s5, v3
	s_delay_alu instid0(VALU_DEP_1)
	v_add_co_ci_u32_e64 v5, null, s14, 0, s2
	v_cmp_le_i64_e32 vcc_lo, s[8:9], v[1:2]
	v_cmp_lt_u64_e64 s2, 0xffff, v[1:2]
	v_add_co_u32 v8, s3, s15, v3
	global_load_b128 v[4:7], v[4:5], off
	v_add_co_ci_u32_e64 v9, null, s16, 0, s3
	s_or_b32 s21, vcc_lo, s2
	v_add_co_u32 v1, s3, v1, s19
	s_delay_alu instid0(VALU_DEP_1)
	v_add_co_ci_u32_e64 v2, s3, 0, v2, s3
	s_add_u32 s5, s5, s20
	s_addc_u32 s14, s14, 0
	s_add_u32 s15, s15, s20
	s_addc_u32 s16, s16, 0
	s_waitcnt vmcnt(0)
	v_dual_mul_f32 v10, 0x3fb8aa3b, v4 :: v_dual_mul_f32 v11, 0x3fb8aa3b, v5
	v_dual_mul_f32 v12, 0x3fb8aa3b, v6 :: v_dual_mul_f32 v13, 0x3fb8aa3b, v7
	v_cmp_ngt_f32_e32 vcc_lo, 0xc2ce8ed0, v5
	s_delay_alu instid0(VALU_DEP_3)
	v_fma_f32 v14, 0x3fb8aa3b, v4, -v10
	v_rndne_f32_e32 v15, v10
	v_fma_f32 v16, 0x3fb8aa3b, v5, -v11
	v_rndne_f32_e32 v17, v11
	;; [unrolled: 2-line block ×3, first 2 shown]
	v_fma_f32 v18, 0x3fb8aa3b, v6, -v12
	s_delay_alu instid0(VALU_DEP_4) | instskip(NEXT) | instid1(VALU_DEP_3)
	v_dual_fmac_f32 v14, 0x32a5705f, v4 :: v_dual_sub_f32 v11, v11, v17
	v_dual_sub_f32 v10, v10, v15 :: v_dual_sub_f32 v13, v13, v21
	v_fmac_f32_e32 v20, 0x32a5705f, v7
	v_fmac_f32_e32 v16, 0x32a5705f, v5
	v_rndne_f32_e32 v19, v12
	v_cvt_i32_f32_e32 v17, v17
	v_cvt_i32_f32_e32 v15, v15
	v_dual_add_f32 v13, v13, v20 :: v_dual_fmac_f32 v18, 0x32a5705f, v6
	s_delay_alu instid0(VALU_DEP_4) | instskip(SKIP_1) | instid1(VALU_DEP_3)
	v_dual_add_f32 v11, v11, v16 :: v_dual_sub_f32 v12, v12, v19
	v_cvt_i32_f32_e32 v19, v19
	v_exp_f32_e32 v13, v13
	v_cvt_i32_f32_e32 v21, v21
	s_delay_alu instid0(VALU_DEP_3)
	v_exp_f32_e32 v11, v11
	v_cmp_ngt_f32_e64 s2, 0xc2ce8ed0, v6
	v_cmp_ngt_f32_e64 s3, 0xc2ce8ed0, v7
	;; [unrolled: 1-line block ×3, first 2 shown]
	s_waitcnt_depctr 0xfff
	v_ldexp_f32 v13, v13, v21
	v_ldexp_f32 v11, v11, v17
	v_add_f32_e32 v10, v10, v14
	s_delay_alu instid0(VALU_DEP_3) | instskip(SKIP_1) | instid1(VALU_DEP_4)
	v_cndmask_b32_e64 v13, 0, v13, s3
	v_cmp_nlt_f32_e64 s3, 0x42b17218, v7
	v_cndmask_b32_e32 v11, 0, v11, vcc_lo
	v_cmp_nlt_f32_e32 vcc_lo, 0x42b17218, v5
	v_add_f32_e32 v12, v12, v18
	v_exp_f32_e32 v10, v10
	v_cndmask_b32_e64 v7, 0x7f800000, v13, s3
	v_cndmask_b32_e32 v5, 0x7f800000, v11, vcc_lo
	s_delay_alu instid0(VALU_DEP_3) | instskip(SKIP_3) | instid1(VALU_DEP_2)
	v_exp_f32_e32 v12, v12
	s_waitcnt_depctr 0xfff
	v_ldexp_f32 v10, v10, v15
	v_ldexp_f32 v12, v12, v19
	v_cndmask_b32_e64 v10, 0, v10, s4
	v_cmp_nlt_f32_e64 s4, 0x42b17218, v4
	s_delay_alu instid0(VALU_DEP_3) | instskip(SKIP_1) | instid1(VALU_DEP_3)
	v_cndmask_b32_e64 v12, 0, v12, s2
	v_cmp_nlt_f32_e64 s2, 0x42b17218, v6
	v_cndmask_b32_e64 v4, 0x7f800000, v10, s4
	s_delay_alu instid0(VALU_DEP_2) | instskip(SKIP_1) | instid1(SALU_CYCLE_1)
	v_cndmask_b32_e64 v6, 0x7f800000, v12, s2
	s_and_b32 s2, exec_lo, s21
	s_or_b32 s18, s2, s18
	global_store_b128 v[8:9], v[4:7], off
	s_and_not1_b32 exec_lo, exec_lo, s18
	s_cbranch_execnz .LBB131_3
.LBB131_4:
	s_or_b32 exec_lo, exec_lo, s17
	s_mov_b32 s2, 0
.LBB131_5:
	s_delay_alu instid0(SALU_CYCLE_1)
	s_and_not1_b32 vcc_lo, exec_lo, s2
	s_cbranch_vccnz .LBB131_25
; %bb.6:
	v_cmp_lt_i64_e64 s2, s[8:9], 1
	s_delay_alu instid0(VALU_DEP_1)
	s_and_b32 vcc_lo, exec_lo, s2
	s_cbranch_vccnz .LBB131_25
; %bb.7:
	s_load_b32 s0, s[0:1], 0xc5c
	v_dual_mov_b32 v10, 0 :: v_dual_lshlrev_b32 v9, 2, v0
	v_cmp_gt_u64_e64 s1, 0x10000, s[8:9]
	s_delay_alu instid0(VALU_DEP_2) | instskip(NEXT) | instid1(VALU_DEP_1)
	v_add_co_u32 v1, s2, s10, v9
	v_add_co_ci_u32_e64 v2, null, s11, 0, s2
	v_add_co_u32 v3, s2, s12, v9
	s_delay_alu instid0(VALU_DEP_1)
	v_add_co_ci_u32_e64 v4, null, s13, 0, s2
	s_waitcnt lgkmcnt(0)
	s_and_b32 s0, s0, 0xffff
	s_and_b32 s1, s1, exec_lo
	v_mad_u64_u32 v[7:8], null, s0, 12, v[9:10]
	s_cselect_b32 s5, s9, 0
	s_cselect_b32 s4, s8, 0x10000
	s_mul_i32 s2, s0, 3
	s_lshl_b32 s3, s0, 3
	s_lshl_b32 s1, s0, 1
	v_add_co_u32 v14, s3, s3, v9
	v_add_co_u32 v9, s2, s2, v0
	s_delay_alu instid0(VALU_DEP_1) | instskip(SKIP_3) | instid1(VALU_DEP_3)
	v_add_co_ci_u32_e64 v10, null, 0, 0, s2
	v_add_co_u32 v13, s2, v0, s0
	v_add_co_u32 v5, vcc_lo, s10, v7
	v_add_co_ci_u32_e32 v6, vcc_lo, s11, v8, vcc_lo
	v_lshlrev_b32_e32 v21, 2, v13
	v_add_co_u32 v7, vcc_lo, s12, v7
	v_add_co_ci_u32_e64 v15, null, 0, 0, s3
	v_add_co_ci_u32_e32 v8, vcc_lo, s13, v8, vcc_lo
	v_add_co_u32 v17, s1, s1, v0
	v_add_co_u32 v11, vcc_lo, s10, v14
	v_add_co_ci_u32_e64 v18, null, 0, 0, s1
	v_add_co_u32 v19, s1, s10, v21
	v_add_co_ci_u32_e32 v12, vcc_lo, s11, v15, vcc_lo
	v_add_co_u32 v14, vcc_lo, s12, v14
	v_add_co_ci_u32_e64 v20, null, s11, 0, s1
	v_add_co_u32 v21, s1, s12, v21
	v_add_co_ci_u32_e32 v15, vcc_lo, s13, v15, vcc_lo
	v_add_co_ci_u32_e64 v16, null, 0, 0, s2
	v_add_co_ci_u32_e64 v22, null, s13, 0, s1
	s_lshl_b32 s12, s0, 2
	s_lshl_b32 s13, s0, 4
	s_mov_b64 s[10:11], 0
	s_branch .LBB131_9
.LBB131_8:                              ;   in Loop: Header=BB131_9 Depth=1
	s_or_b32 exec_lo, exec_lo, s0
	v_add_co_u32 v1, vcc_lo, v1, s13
	v_add_co_ci_u32_e32 v2, vcc_lo, 0, v2, vcc_lo
	v_add_co_u32 v3, vcc_lo, v3, s13
	v_add_co_ci_u32_e32 v4, vcc_lo, 0, v4, vcc_lo
	;; [unrolled: 2-line block ×5, first 2 shown]
	s_add_u32 s10, s10, s12
	v_add_co_u32 v14, vcc_lo, v14, s13
	s_addc_u32 s11, s11, 0
	v_add_co_ci_u32_e32 v15, vcc_lo, 0, v15, vcc_lo
	v_cmp_ge_i64_e64 s0, s[10:11], s[8:9]
	v_cmp_lt_u64_e64 s1, 0xffff, s[10:11]
	v_add_co_u32 v19, vcc_lo, v19, s13
	v_add_co_ci_u32_e32 v20, vcc_lo, 0, v20, vcc_lo
	v_add_co_u32 v21, vcc_lo, v21, s13
	v_add_co_ci_u32_e32 v22, vcc_lo, 0, v22, vcc_lo
	s_or_b32 s0, s0, s1
	s_delay_alu instid0(SALU_CYCLE_1)
	s_and_b32 vcc_lo, exec_lo, s0
	s_cbranch_vccnz .LBB131_25
.LBB131_9:                              ; =>This Inner Loop Header: Depth=1
	s_waitcnt vmcnt(0)
	v_add_co_u32 v23, s0, v0, s10
	s_delay_alu instid0(VALU_DEP_1) | instskip(SKIP_1) | instid1(VALU_DEP_2)
	v_add_co_ci_u32_e64 v24, null, 0, s11, s0
	v_mov_b32_e32 v26, 0
	v_cmp_gt_u64_e64 s2, s[4:5], v[23:24]
	s_delay_alu instid0(VALU_DEP_1)
	s_and_saveexec_b32 s0, s2
	s_cbranch_execz .LBB131_11
; %bb.10:                               ;   in Loop: Header=BB131_9 Depth=1
	v_add_co_u32 v23, vcc_lo, v1, s6
	v_add_co_ci_u32_e32 v24, vcc_lo, s7, v2, vcc_lo
	global_load_b32 v26, v[23:24], off
.LBB131_11:                             ;   in Loop: Header=BB131_9 Depth=1
	s_or_b32 exec_lo, exec_lo, s0
	v_add_co_u32 v23, vcc_lo, v13, s10
	v_add_co_ci_u32_e32 v24, vcc_lo, s11, v16, vcc_lo
	v_mov_b32_e32 v25, 0
	s_delay_alu instid0(VALU_DEP_2) | instskip(NEXT) | instid1(VALU_DEP_1)
	v_cmp_gt_u64_e64 s1, s[4:5], v[23:24]
	s_and_saveexec_b32 s0, s1
	s_cbranch_execz .LBB131_13
; %bb.12:                               ;   in Loop: Header=BB131_9 Depth=1
	v_add_co_u32 v23, vcc_lo, v19, s6
	v_add_co_ci_u32_e32 v24, vcc_lo, s7, v20, vcc_lo
	global_load_b32 v25, v[23:24], off
.LBB131_13:                             ;   in Loop: Header=BB131_9 Depth=1
	s_or_b32 exec_lo, exec_lo, s0
	v_add_co_u32 v23, vcc_lo, v17, s10
	v_add_co_ci_u32_e32 v24, vcc_lo, s11, v18, vcc_lo
	s_delay_alu instid0(VALU_DEP_1) | instskip(SKIP_1) | instid1(VALU_DEP_2)
	v_cmp_gt_u64_e64 s0, s[4:5], v[23:24]
	v_dual_mov_b32 v23, 0 :: v_dual_mov_b32 v24, 0
	s_and_saveexec_b32 s3, s0
	s_cbranch_execz .LBB131_15
; %bb.14:                               ;   in Loop: Header=BB131_9 Depth=1
	v_add_co_u32 v27, vcc_lo, v11, s6
	v_add_co_ci_u32_e32 v28, vcc_lo, s7, v12, vcc_lo
	global_load_b32 v24, v[27:28], off
.LBB131_15:                             ;   in Loop: Header=BB131_9 Depth=1
	s_or_b32 exec_lo, exec_lo, s3
	v_add_co_u32 v27, vcc_lo, v9, s10
	v_add_co_ci_u32_e32 v28, vcc_lo, s11, v10, vcc_lo
	s_delay_alu instid0(VALU_DEP_1)
	v_cmp_gt_u64_e32 vcc_lo, s[4:5], v[27:28]
	s_and_saveexec_b32 s14, vcc_lo
	s_cbranch_execnz .LBB131_20
; %bb.16:                               ;   in Loop: Header=BB131_9 Depth=1
	s_or_b32 exec_lo, exec_lo, s14
	s_and_saveexec_b32 s3, s2
	s_cbranch_execnz .LBB131_21
.LBB131_17:                             ;   in Loop: Header=BB131_9 Depth=1
	s_or_b32 exec_lo, exec_lo, s3
	s_and_saveexec_b32 s2, s1
	s_cbranch_execnz .LBB131_22
.LBB131_18:                             ;   in Loop: Header=BB131_9 Depth=1
	s_or_b32 exec_lo, exec_lo, s2
	s_and_saveexec_b32 s1, s0
	s_cbranch_execnz .LBB131_23
.LBB131_19:                             ;   in Loop: Header=BB131_9 Depth=1
	s_or_b32 exec_lo, exec_lo, s1
	s_and_saveexec_b32 s0, vcc_lo
	s_cbranch_execz .LBB131_8
	s_branch .LBB131_24
.LBB131_20:                             ;   in Loop: Header=BB131_9 Depth=1
	v_add_co_u32 v27, s3, v5, s6
	s_delay_alu instid0(VALU_DEP_1)
	v_add_co_ci_u32_e64 v28, s3, s7, v6, s3
	global_load_b32 v23, v[27:28], off
	s_or_b32 exec_lo, exec_lo, s14
	s_and_saveexec_b32 s3, s2
	s_cbranch_execz .LBB131_17
.LBB131_21:                             ;   in Loop: Header=BB131_9 Depth=1
	s_waitcnt vmcnt(0)
	v_mul_f32_e32 v27, 0x3fb8aa3b, v26
	v_cmp_ngt_f32_e64 s2, 0xc2ce8ed0, v26
	s_delay_alu instid0(VALU_DEP_2) | instskip(SKIP_1) | instid1(VALU_DEP_2)
	v_rndne_f32_e32 v28, v27
	v_fma_f32 v29, 0x3fb8aa3b, v26, -v27
	v_sub_f32_e32 v27, v27, v28
	s_delay_alu instid0(VALU_DEP_2) | instskip(SKIP_1) | instid1(VALU_DEP_2)
	v_fmac_f32_e32 v29, 0x32a5705f, v26
	v_cvt_i32_f32_e32 v28, v28
	v_add_f32_e32 v27, v27, v29
	s_delay_alu instid0(VALU_DEP_1) | instskip(SKIP_2) | instid1(VALU_DEP_1)
	v_exp_f32_e32 v27, v27
	s_waitcnt_depctr 0xfff
	v_ldexp_f32 v27, v27, v28
	v_cndmask_b32_e64 v29, 0, v27, s2
	v_add_co_u32 v27, s2, v3, s6
	s_delay_alu instid0(VALU_DEP_1) | instskip(SKIP_1) | instid1(VALU_DEP_1)
	v_add_co_ci_u32_e64 v28, s2, s7, v4, s2
	v_cmp_nlt_f32_e64 s2, 0x42b17218, v26
	v_cndmask_b32_e64 v26, 0x7f800000, v29, s2
	global_store_b32 v[27:28], v26, off
	s_or_b32 exec_lo, exec_lo, s3
	s_and_saveexec_b32 s2, s1
	s_cbranch_execz .LBB131_18
.LBB131_22:                             ;   in Loop: Header=BB131_9 Depth=1
	s_waitcnt vmcnt(0)
	v_mul_f32_e32 v26, 0x3fb8aa3b, v25
	v_cmp_ngt_f32_e64 s1, 0xc2ce8ed0, v25
	s_delay_alu instid0(VALU_DEP_2) | instskip(SKIP_1) | instid1(VALU_DEP_2)
	v_rndne_f32_e32 v27, v26
	v_fma_f32 v28, 0x3fb8aa3b, v25, -v26
	v_sub_f32_e32 v26, v26, v27
	s_delay_alu instid0(VALU_DEP_2) | instskip(SKIP_1) | instid1(VALU_DEP_2)
	v_fmac_f32_e32 v28, 0x32a5705f, v25
	v_cvt_i32_f32_e32 v27, v27
	v_add_f32_e32 v26, v26, v28
	s_delay_alu instid0(VALU_DEP_1) | instskip(SKIP_2) | instid1(VALU_DEP_1)
	v_exp_f32_e32 v26, v26
	s_waitcnt_depctr 0xfff
	v_ldexp_f32 v26, v26, v27
	v_cndmask_b32_e64 v26, 0, v26, s1
	v_cmp_nlt_f32_e64 s1, 0x42b17218, v25
	s_delay_alu instid0(VALU_DEP_1) | instskip(SKIP_1) | instid1(VALU_DEP_1)
	v_cndmask_b32_e64 v27, 0x7f800000, v26, s1
	v_add_co_u32 v25, s1, v21, s6
	v_add_co_ci_u32_e64 v26, s1, s7, v22, s1
	global_store_b32 v[25:26], v27, off
	s_or_b32 exec_lo, exec_lo, s2
	s_and_saveexec_b32 s1, s0
	s_cbranch_execz .LBB131_19
.LBB131_23:                             ;   in Loop: Header=BB131_9 Depth=1
	s_waitcnt vmcnt(0)
	v_mul_f32_e32 v25, 0x3fb8aa3b, v24
	v_cmp_ngt_f32_e64 s0, 0xc2ce8ed0, v24
	s_delay_alu instid0(VALU_DEP_2) | instskip(SKIP_1) | instid1(VALU_DEP_2)
	v_rndne_f32_e32 v26, v25
	v_fma_f32 v27, 0x3fb8aa3b, v24, -v25
	v_sub_f32_e32 v25, v25, v26
	s_delay_alu instid0(VALU_DEP_2) | instskip(SKIP_1) | instid1(VALU_DEP_2)
	v_fmac_f32_e32 v27, 0x32a5705f, v24
	v_cvt_i32_f32_e32 v26, v26
	v_add_f32_e32 v25, v25, v27
	s_delay_alu instid0(VALU_DEP_1) | instskip(SKIP_2) | instid1(VALU_DEP_1)
	v_exp_f32_e32 v25, v25
	s_waitcnt_depctr 0xfff
	v_ldexp_f32 v25, v25, v26
	v_cndmask_b32_e64 v25, 0, v25, s0
	v_cmp_nlt_f32_e64 s0, 0x42b17218, v24
	s_delay_alu instid0(VALU_DEP_1) | instskip(SKIP_1) | instid1(VALU_DEP_1)
	v_cndmask_b32_e64 v26, 0x7f800000, v25, s0
	v_add_co_u32 v24, s0, v14, s6
	v_add_co_ci_u32_e64 v25, s0, s7, v15, s0
	global_store_b32 v[24:25], v26, off
	s_or_b32 exec_lo, exec_lo, s1
	s_and_saveexec_b32 s0, vcc_lo
	s_cbranch_execz .LBB131_8
.LBB131_24:                             ;   in Loop: Header=BB131_9 Depth=1
	s_waitcnt vmcnt(0)
	v_mul_f32_e32 v24, 0x3fb8aa3b, v23
	v_cmp_ngt_f32_e32 vcc_lo, 0xc2ce8ed0, v23
	s_delay_alu instid0(VALU_DEP_2) | instskip(SKIP_1) | instid1(VALU_DEP_2)
	v_rndne_f32_e32 v25, v24
	v_fma_f32 v26, 0x3fb8aa3b, v23, -v24
	v_sub_f32_e32 v24, v24, v25
	s_delay_alu instid0(VALU_DEP_2) | instskip(SKIP_1) | instid1(VALU_DEP_2)
	v_fmac_f32_e32 v26, 0x32a5705f, v23
	v_cvt_i32_f32_e32 v25, v25
	v_add_f32_e32 v24, v24, v26
	s_delay_alu instid0(VALU_DEP_1) | instskip(SKIP_2) | instid1(VALU_DEP_1)
	v_exp_f32_e32 v24, v24
	s_waitcnt_depctr 0xfff
	v_ldexp_f32 v24, v24, v25
	v_cndmask_b32_e32 v24, 0, v24, vcc_lo
	v_cmp_nlt_f32_e32 vcc_lo, 0x42b17218, v23
	s_delay_alu instid0(VALU_DEP_2)
	v_cndmask_b32_e32 v25, 0x7f800000, v24, vcc_lo
	v_add_co_u32 v23, vcc_lo, v7, s6
	v_add_co_ci_u32_e32 v24, vcc_lo, s7, v8, vcc_lo
	global_store_b32 v[23:24], v25, off
	s_branch .LBB131_8
.LBB131_25:
	s_nop 0
	s_sendmsg sendmsg(MSG_DEALLOC_VGPRS)
	s_endpgm
	.section	.rodata,"a",@progbits
	.p2align	6, 0x0
	.amdhsa_kernel _ZN2at6native12_GLOBAL__N_125multi_tensor_apply_kernelINS1_18TensorListMetadataILi2EEENS1_14UnaryOpFunctorIfLi2ELi1ELi1EEEJNS0_3ExpIfEEEEEvT_T0_DpT1_
		.amdhsa_group_segment_fixed_size 0
		.amdhsa_private_segment_fixed_size 0
		.amdhsa_kernarg_size 3408
		.amdhsa_user_sgpr_count 15
		.amdhsa_user_sgpr_dispatch_ptr 0
		.amdhsa_user_sgpr_queue_ptr 0
		.amdhsa_user_sgpr_kernarg_segment_ptr 1
		.amdhsa_user_sgpr_dispatch_id 0
		.amdhsa_user_sgpr_private_segment_size 0
		.amdhsa_wavefront_size32 1
		.amdhsa_uses_dynamic_stack 0
		.amdhsa_enable_private_segment 0
		.amdhsa_system_sgpr_workgroup_id_x 1
		.amdhsa_system_sgpr_workgroup_id_y 0
		.amdhsa_system_sgpr_workgroup_id_z 0
		.amdhsa_system_sgpr_workgroup_info 0
		.amdhsa_system_vgpr_workitem_id 0
		.amdhsa_next_free_vgpr 30
		.amdhsa_next_free_sgpr 24
		.amdhsa_reserve_vcc 1
		.amdhsa_float_round_mode_32 0
		.amdhsa_float_round_mode_16_64 0
		.amdhsa_float_denorm_mode_32 3
		.amdhsa_float_denorm_mode_16_64 3
		.amdhsa_dx10_clamp 1
		.amdhsa_ieee_mode 1
		.amdhsa_fp16_overflow 0
		.amdhsa_workgroup_processor_mode 1
		.amdhsa_memory_ordered 1
		.amdhsa_forward_progress 0
		.amdhsa_shared_vgpr_count 0
		.amdhsa_exception_fp_ieee_invalid_op 0
		.amdhsa_exception_fp_denorm_src 0
		.amdhsa_exception_fp_ieee_div_zero 0
		.amdhsa_exception_fp_ieee_overflow 0
		.amdhsa_exception_fp_ieee_underflow 0
		.amdhsa_exception_fp_ieee_inexact 0
		.amdhsa_exception_int_div_zero 0
	.end_amdhsa_kernel
	.section	.text._ZN2at6native12_GLOBAL__N_125multi_tensor_apply_kernelINS1_18TensorListMetadataILi2EEENS1_14UnaryOpFunctorIfLi2ELi1ELi1EEEJNS0_3ExpIfEEEEEvT_T0_DpT1_,"axG",@progbits,_ZN2at6native12_GLOBAL__N_125multi_tensor_apply_kernelINS1_18TensorListMetadataILi2EEENS1_14UnaryOpFunctorIfLi2ELi1ELi1EEEJNS0_3ExpIfEEEEEvT_T0_DpT1_,comdat
.Lfunc_end131:
	.size	_ZN2at6native12_GLOBAL__N_125multi_tensor_apply_kernelINS1_18TensorListMetadataILi2EEENS1_14UnaryOpFunctorIfLi2ELi1ELi1EEEJNS0_3ExpIfEEEEEvT_T0_DpT1_, .Lfunc_end131-_ZN2at6native12_GLOBAL__N_125multi_tensor_apply_kernelINS1_18TensorListMetadataILi2EEENS1_14UnaryOpFunctorIfLi2ELi1ELi1EEEJNS0_3ExpIfEEEEEvT_T0_DpT1_
                                        ; -- End function
	.section	.AMDGPU.csdata,"",@progbits
; Kernel info:
; codeLenInByte = 2204
; NumSgprs: 26
; NumVgprs: 30
; ScratchSize: 0
; MemoryBound: 0
; FloatMode: 240
; IeeeMode: 1
; LDSByteSize: 0 bytes/workgroup (compile time only)
; SGPRBlocks: 3
; VGPRBlocks: 3
; NumSGPRsForWavesPerEU: 26
; NumVGPRsForWavesPerEU: 30
; Occupancy: 16
; WaveLimiterHint : 0
; COMPUTE_PGM_RSRC2:SCRATCH_EN: 0
; COMPUTE_PGM_RSRC2:USER_SGPR: 15
; COMPUTE_PGM_RSRC2:TRAP_HANDLER: 0
; COMPUTE_PGM_RSRC2:TGID_X_EN: 1
; COMPUTE_PGM_RSRC2:TGID_Y_EN: 0
; COMPUTE_PGM_RSRC2:TGID_Z_EN: 0
; COMPUTE_PGM_RSRC2:TIDIG_COMP_CNT: 0
	.section	.text._ZN2at6native12_GLOBAL__N_125multi_tensor_apply_kernelINS1_18TensorListMetadataILi2EEENS1_14UnaryOpFunctorIN3c107complexIdEELi2ELi1ELi1EEEJNS0_3ExpIS8_EEEEEvT_T0_DpT1_,"axG",@progbits,_ZN2at6native12_GLOBAL__N_125multi_tensor_apply_kernelINS1_18TensorListMetadataILi2EEENS1_14UnaryOpFunctorIN3c107complexIdEELi2ELi1ELi1EEEJNS0_3ExpIS8_EEEEEvT_T0_DpT1_,comdat
	.globl	_ZN2at6native12_GLOBAL__N_125multi_tensor_apply_kernelINS1_18TensorListMetadataILi2EEENS1_14UnaryOpFunctorIN3c107complexIdEELi2ELi1ELi1EEEJNS0_3ExpIS8_EEEEEvT_T0_DpT1_ ; -- Begin function _ZN2at6native12_GLOBAL__N_125multi_tensor_apply_kernelINS1_18TensorListMetadataILi2EEENS1_14UnaryOpFunctorIN3c107complexIdEELi2ELi1ELi1EEEJNS0_3ExpIS8_EEEEEvT_T0_DpT1_
	.p2align	8
	.type	_ZN2at6native12_GLOBAL__N_125multi_tensor_apply_kernelINS1_18TensorListMetadataILi2EEENS1_14UnaryOpFunctorIN3c107complexIdEELi2ELi1ELi1EEEJNS0_3ExpIS8_EEEEEvT_T0_DpT1_,@function
_ZN2at6native12_GLOBAL__N_125multi_tensor_apply_kernelINS1_18TensorListMetadataILi2EEENS1_14UnaryOpFunctorIN3c107complexIdEELi2ELi1ELi1EEEJNS0_3ExpIS8_EEEEEvT_T0_DpT1_: ; @_ZN2at6native12_GLOBAL__N_125multi_tensor_apply_kernelINS1_18TensorListMetadataILi2EEENS1_14UnaryOpFunctorIN3c107complexIdEELi2ELi1ELi1EEEJNS0_3ExpIS8_EEEEEvT_T0_DpT1_
; %bb.0:
	v_mov_b32_e32 v1, s15
	s_add_u32 s2, s0, s15
	s_mul_hi_u32 s3, s15, 3
	s_mul_i32 s15, s15, 3
	s_addc_u32 s4, s1, 0
	global_load_u8 v1, v1, s[0:1] offset:1536
	s_add_u32 s2, s2, s15
	s_addc_u32 s3, s4, s3
	s_mov_b32 s11, 0
	s_load_b32 s2, s[2:3], 0x740
	s_mov_b32 s13, s11
	s_mov_b32 s15, s11
	s_waitcnt vmcnt(0)
	v_readfirstlane_b32 s5, v1
	s_delay_alu instid0(VALU_DEP_1)
	s_lshl_b32 s3, s5, 3
	s_clause 0x2
	s_load_b64 s[6:7], s[0:1], s3 offset:0x0
	s_load_b64 s[16:17], s[0:1], s3 offset:0x200
	s_load_b64 s[4:5], s[0:1], s3 offset:0x400
	s_waitcnt lgkmcnt(0)
	s_ashr_i32 s3, s2, 31
	s_delay_alu instid0(SALU_CYCLE_1) | instskip(NEXT) | instid1(SALU_CYCLE_1)
	s_lshl_b64 s[8:9], s[2:3], 20
	s_add_u32 s33, s6, s8
	s_addc_u32 s82, s7, s9
	s_add_u32 s83, s16, s8
	s_addc_u32 s84, s17, s9
	s_and_b32 s12, s33, 63
	s_and_b32 s14, s4, 3
	;; [unrolled: 1-line block ×3, first 2 shown]
	s_or_b64 s[12:13], s[12:13], s[14:15]
	s_lshl_b64 s[2:3], s[2:3], 16
	s_or_b64 s[12:13], s[10:11], s[12:13]
	s_sub_u32 s10, s4, s2
	s_subb_u32 s11, s5, s3
	s_cmp_eq_u64 s[12:13], 0
	s_mov_b32 s2, -1
	s_cbranch_scc0 .LBB132_181
; %bb.1:
	v_mov_b32_e32 v21, 0
	v_lshlrev_b32_e32 v1, 2, v0
	s_mov_b32 s85, exec_lo
	s_delay_alu instid0(VALU_DEP_2) | instskip(NEXT) | instid1(VALU_DEP_1)
	v_mov_b32_e32 v2, v21
	v_cmpx_gt_i64_e64 s[10:11], v[1:2]
	s_cbranch_execz .LBB132_180
; %bb.2:
	s_load_b32 s2, s[0:1], 0xc5c
	v_dual_mov_b32 v24, v21 :: v_dual_lshlrev_b32 v35, 6, v0
	s_mov_b32 s14, 0x54442d18
	s_mov_b32 s22, 0x6dc9c883
	;; [unrolled: 1-line block ×17, first 2 shown]
	s_waitcnt lgkmcnt(0)
	s_and_b32 s2, s2, 0xffff
	s_mov_b32 s56, 0x9037ab78
	v_add_lshl_u32 v23, v0, s2, 2
	s_mov_b32 s58, 0x46cc5e42
	s_mov_b32 s60, 0xa17f65f6
	;; [unrolled: 1-line block ×19, first 2 shown]
	s_lshl_b32 s87, s2, 2
	s_lshl_b32 s88, s2, 6
	s_mov_b32 s35, 0xbc7abc9e
	s_mov_b32 s37, 0x3e928af3
	;; [unrolled: 1-line block ×25, first 2 shown]
	s_branch .LBB132_4
.LBB132_3:                              ;   in Loop: Header=BB132_4 Depth=1
	s_or_b32 exec_lo, exec_lo, s3
	v_cmp_le_i64_e32 vcc_lo, s[10:11], v[23:24]
	v_cmp_lt_u64_e64 s2, 0xffff, v[23:24]
	v_add_co_u32 v1, s3, s83, v35
	s_delay_alu instid0(VALU_DEP_1)
	v_add_co_ci_u32_e64 v2, null, s84, 0, s3
	s_clause 0x1
	global_store_b128 v[1:2], v[5:8], off
	global_store_b128 v[1:2], v[13:16], off offset:16
	s_or_b32 s2, vcc_lo, s2
	s_add_u32 s33, s33, s88
	v_add_co_u32 v23, vcc_lo, v23, s87
	s_addc_u32 s82, s82, 0
	s_add_u32 s83, s83, s88
	v_add_co_ci_u32_e32 v24, vcc_lo, 0, v24, vcc_lo
	s_addc_u32 s84, s84, 0
	s_and_b32 s2, exec_lo, s2
	s_clause 0x1
	global_store_b128 v[1:2], v[17:20], off offset:32
	global_store_b128 v[1:2], v[9:12], off offset:48
	s_or_b32 s86, s2, s86
	s_delay_alu instid0(SALU_CYCLE_1)
	s_and_not1_b32 exec_lo, exec_lo, s86
	s_cbranch_execz .LBB132_180
.LBB132_4:                              ; =>This Inner Loop Header: Depth=1
	v_add_co_u32 v5, s2, s33, v35
	s_delay_alu instid0(VALU_DEP_1)
	v_add_co_ci_u32_e64 v6, null, s82, 0, s2
                                        ; implicit-def: $vgpr7_vgpr8
	s_mov_b32 s2, exec_lo
	s_clause 0x3
	global_load_b128 v[13:16], v[5:6], off
	global_load_b128 v[17:20], v[5:6], off offset:16
	global_load_b128 v[1:4], v[5:6], off offset:48
	global_load_b128 v[9:12], v[5:6], off offset:32
	s_waitcnt vmcnt(3)
	v_and_b32_e32 v5, 0x7fffffff, v16
	s_delay_alu instid0(VALU_DEP_1) | instskip(NEXT) | instid1(VALU_DEP_1)
	v_or_b32_e32 v6, v5, v15
	v_cmpx_ne_u32_e32 0, v6
	s_xor_b32 s90, exec_lo, s2
	s_cbranch_execz .LBB132_46
; %bb.5:                                ;   in Loop: Header=BB132_4 Depth=1
	v_and_b32_e32 v22, 0x7fffffff, v14
                                        ; implicit-def: $vgpr7_vgpr8
	s_mov_b32 s2, exec_lo
	s_delay_alu instid0(VALU_DEP_1) | instskip(NEXT) | instid1(VALU_DEP_1)
	v_or_b32_e32 v6, v22, v13
	v_cmpx_ne_u32_e32 0, v6
	s_xor_b32 s91, exec_lo, s2
	s_cbranch_execz .LBB132_35
; %bb.6:                                ;   in Loop: Header=BB132_4 Depth=1
                                        ; implicit-def: $vgpr7_vgpr8
	s_mov_b32 s2, exec_lo
	v_cmpx_gt_u32_e32 0x7ff00000, v5
	s_xor_b32 s92, exec_lo, s2
	s_cbranch_execz .LBB132_28
; %bb.7:                                ;   in Loop: Header=BB132_4 Depth=1
	v_add_nc_u32_e32 v5, 0xbf79d1be, v14
                                        ; implicit-def: $vgpr7_vgpr8
	s_mov_b32 s2, exec_lo
	s_delay_alu instid0(VALU_DEP_1)
	v_cmpx_lt_u32_e32 0x108aa2, v5
	s_xor_b32 s93, exec_lo, s2
	s_cbranch_execz .LBB132_17
; %bb.8:                                ;   in Loop: Header=BB132_4 Depth=1
	v_cmp_ngt_f64_e64 s3, 0x41d00000, |v[15:16]|
                                        ; implicit-def: $vgpr29
                                        ; implicit-def: $vgpr5_vgpr6
                                        ; implicit-def: $vgpr7_vgpr8
	s_delay_alu instid0(VALU_DEP_1) | instskip(NEXT) | instid1(SALU_CYCLE_1)
	s_and_saveexec_b32 s2, s3
	s_xor_b32 s4, exec_lo, s2
	s_cbranch_execz .LBB132_10
; %bb.9:                                ;   in Loop: Header=BB132_4 Depth=1
	v_ldexp_f64 v[5:6], |v[15:16]|, 0xffffff80
	v_cmp_le_f64_e64 vcc_lo, 0x7b000000, |v[15:16]|
	v_trig_preop_f64 v[7:8], |v[15:16]|, 0
	v_and_b32_e32 v22, 0x7fffffff, v16
	v_trig_preop_f64 v[25:26], |v[15:16]|, 1
	v_trig_preop_f64 v[36:37], |v[15:16]|, 2
	s_mov_b32 s12, s14
	s_mov_b32 s21, s19
	v_dual_cndmask_b32 v5, v15, v5 :: v_dual_cndmask_b32 v6, v22, v6
	s_delay_alu instid0(VALU_DEP_1) | instskip(NEXT) | instid1(VALU_DEP_4)
	v_mul_f64 v[27:28], v[7:8], v[5:6]
	v_mul_f64 v[29:30], v[25:26], v[5:6]
	s_delay_alu instid0(VALU_DEP_2) | instskip(NEXT) | instid1(VALU_DEP_2)
	v_fma_f64 v[7:8], v[7:8], v[5:6], -v[27:28]
	v_fma_f64 v[25:26], v[25:26], v[5:6], -v[29:30]
	s_delay_alu instid0(VALU_DEP_2) | instskip(NEXT) | instid1(VALU_DEP_1)
	v_add_f64 v[31:32], v[29:30], v[7:8]
	v_add_f64 v[33:34], v[31:32], -v[29:30]
	v_add_f64 v[40:41], v[27:28], v[31:32]
	s_delay_alu instid0(VALU_DEP_2) | instskip(SKIP_1) | instid1(VALU_DEP_3)
	v_add_f64 v[38:39], v[31:32], -v[33:34]
	v_add_f64 v[7:8], v[7:8], -v[33:34]
	v_ldexp_f64 v[33:34], v[40:41], -2
	v_add_f64 v[27:28], v[40:41], -v[27:28]
	s_delay_alu instid0(VALU_DEP_4) | instskip(NEXT) | instid1(VALU_DEP_3)
	v_add_f64 v[29:30], v[29:30], -v[38:39]
	v_cmp_neq_f64_e64 vcc_lo, 0x7ff00000, |v[33:34]|
	s_delay_alu instid0(VALU_DEP_3) | instskip(NEXT) | instid1(VALU_DEP_3)
	v_add_f64 v[27:28], v[31:32], -v[27:28]
	v_add_f64 v[7:8], v[7:8], v[29:30]
	v_fract_f64_e32 v[29:30], v[33:34]
	s_delay_alu instid0(VALU_DEP_1) | instskip(SKIP_1) | instid1(VALU_DEP_3)
	v_cndmask_b32_e32 v29, 0, v29, vcc_lo
	v_mul_f64 v[42:43], v[36:37], v[5:6]
	v_cndmask_b32_e32 v30, 0, v30, vcc_lo
	s_delay_alu instid0(VALU_DEP_1) | instskip(NEXT) | instid1(VALU_DEP_3)
	v_ldexp_f64 v[29:30], v[29:30], 2
	v_add_f64 v[38:39], v[42:43], v[25:26]
	v_fma_f64 v[5:6], v[36:37], v[5:6], -v[42:43]
	s_delay_alu instid0(VALU_DEP_2) | instskip(NEXT) | instid1(VALU_DEP_1)
	v_add_f64 v[31:32], v[38:39], v[7:8]
	v_add_f64 v[33:34], v[27:28], v[31:32]
	v_add_f64 v[44:45], v[31:32], -v[38:39]
	s_delay_alu instid0(VALU_DEP_2) | instskip(NEXT) | instid1(VALU_DEP_2)
	v_add_f64 v[40:41], v[33:34], v[29:30]
	v_add_f64 v[50:51], v[31:32], -v[44:45]
	v_add_f64 v[7:8], v[7:8], -v[44:45]
	;; [unrolled: 1-line block ×3, first 2 shown]
	s_delay_alu instid0(VALU_DEP_4) | instskip(SKIP_1) | instid1(VALU_DEP_3)
	v_cmp_gt_f64_e32 vcc_lo, 0, v[40:41]
	v_add_f64 v[40:41], v[38:39], -v[42:43]
	v_add_f64 v[27:28], v[31:32], -v[27:28]
	v_cndmask_b32_e64 v22, 0, 0x40100000, vcc_lo
	s_delay_alu instid0(VALU_DEP_3) | instskip(SKIP_2) | instid1(VALU_DEP_4)
	v_add_f64 v[48:49], v[38:39], -v[40:41]
	v_add_f64 v[25:26], v[25:26], -v[40:41]
	;; [unrolled: 1-line block ×3, first 2 shown]
	v_add_f64 v[29:30], v[29:30], v[21:22]
	s_delay_alu instid0(VALU_DEP_4) | instskip(NEXT) | instid1(VALU_DEP_3)
	v_add_f64 v[40:41], v[42:43], -v[48:49]
	v_add_f64 v[7:8], v[7:8], v[38:39]
	s_delay_alu instid0(VALU_DEP_3) | instskip(NEXT) | instid1(VALU_DEP_3)
	v_add_f64 v[46:47], v[33:34], v[29:30]
	v_add_f64 v[25:26], v[25:26], v[40:41]
	s_delay_alu instid0(VALU_DEP_2) | instskip(NEXT) | instid1(VALU_DEP_2)
	v_cvt_i32_f64_e32 v22, v[46:47]
	v_add_f64 v[7:8], v[25:26], v[7:8]
	s_delay_alu instid0(VALU_DEP_2) | instskip(NEXT) | instid1(VALU_DEP_2)
	v_cvt_f64_i32_e32 v[44:45], v22
	v_add_f64 v[5:6], v[5:6], v[7:8]
	s_delay_alu instid0(VALU_DEP_2) | instskip(NEXT) | instid1(VALU_DEP_2)
	v_add_f64 v[29:30], v[29:30], -v[44:45]
	v_add_f64 v[5:6], v[27:28], v[5:6]
	s_delay_alu instid0(VALU_DEP_2) | instskip(NEXT) | instid1(VALU_DEP_1)
	v_add_f64 v[25:26], v[33:34], v[29:30]
	v_add_f64 v[7:8], v[25:26], -v[29:30]
	v_cmp_le_f64_e32 vcc_lo, 0.5, v[25:26]
	s_delay_alu instid0(VALU_DEP_2) | instskip(SKIP_2) | instid1(VALU_DEP_3)
	v_add_f64 v[7:8], v[33:34], -v[7:8]
	v_add_co_ci_u32_e64 v29, s2, 0, v22, vcc_lo
	v_cndmask_b32_e64 v22, 0, 0x3ff00000, vcc_lo
	v_add_f64 v[5:6], v[5:6], v[7:8]
	s_delay_alu instid0(VALU_DEP_2) | instskip(NEXT) | instid1(VALU_DEP_1)
	v_add_f64 v[7:8], v[25:26], -v[21:22]
	v_add_f64 v[25:26], v[7:8], v[5:6]
	s_delay_alu instid0(VALU_DEP_1) | instskip(SKIP_1) | instid1(VALU_DEP_2)
	v_mul_f64 v[27:28], v[25:26], s[12:13]
	v_add_f64 v[7:8], v[25:26], -v[7:8]
	v_fma_f64 v[30:31], v[25:26], s[12:13], -v[27:28]
	s_delay_alu instid0(VALU_DEP_2) | instskip(NEXT) | instid1(VALU_DEP_2)
	v_add_f64 v[5:6], v[5:6], -v[7:8]
	v_fma_f64 v[7:8], v[25:26], s[20:21], v[30:31]
	s_delay_alu instid0(VALU_DEP_1) | instskip(NEXT) | instid1(VALU_DEP_1)
	v_fma_f64 v[7:8], v[5:6], s[12:13], v[7:8]
	v_add_f64 v[5:6], v[27:28], v[7:8]
	s_delay_alu instid0(VALU_DEP_1) | instskip(NEXT) | instid1(VALU_DEP_1)
	v_add_f64 v[25:26], v[5:6], -v[27:28]
	v_add_f64 v[7:8], v[7:8], -v[25:26]
	s_and_not1_saveexec_b32 s2, s4
	s_cbranch_execz .LBB132_12
	s_branch .LBB132_11
.LBB132_10:                             ;   in Loop: Header=BB132_4 Depth=1
	s_and_not1_saveexec_b32 s2, s4
	s_cbranch_execz .LBB132_12
.LBB132_11:                             ;   in Loop: Header=BB132_4 Depth=1
	v_mul_f64 v[5:6], |v[15:16]|, s[22:23]
	s_mov_b32 s18, s24
	s_delay_alu instid0(VALU_DEP_1) | instskip(NEXT) | instid1(VALU_DEP_1)
	v_rndne_f64_e32 v[25:26], v[5:6]
	v_fma_f64 v[5:6], v[25:26], s[14:15], |v[15:16]|
	v_mul_f64 v[7:8], v[25:26], s[24:25]
	s_delay_alu instid0(VALU_DEP_2) | instskip(NEXT) | instid1(VALU_DEP_2)
	v_fma_f64 v[29:30], v[25:26], s[24:25], v[5:6]
	v_add_f64 v[27:28], v[5:6], v[7:8]
	s_delay_alu instid0(VALU_DEP_1) | instskip(NEXT) | instid1(VALU_DEP_3)
	v_add_f64 v[5:6], v[5:6], -v[27:28]
	v_add_f64 v[27:28], v[27:28], -v[29:30]
	s_delay_alu instid0(VALU_DEP_2) | instskip(SKIP_1) | instid1(VALU_DEP_2)
	v_add_f64 v[5:6], v[5:6], v[7:8]
	v_fma_f64 v[7:8], v[25:26], s[18:19], v[7:8]
	v_add_f64 v[5:6], v[27:28], v[5:6]
	s_delay_alu instid0(VALU_DEP_1) | instskip(NEXT) | instid1(VALU_DEP_1)
	v_add_f64 v[5:6], v[5:6], -v[7:8]
	v_fma_f64 v[7:8], v[25:26], s[26:27], v[5:6]
	s_delay_alu instid0(VALU_DEP_1) | instskip(NEXT) | instid1(VALU_DEP_1)
	v_add_f64 v[5:6], v[29:30], v[7:8]
	v_add_f64 v[27:28], v[5:6], -v[29:30]
	v_cvt_i32_f64_e32 v29, v[25:26]
	s_delay_alu instid0(VALU_DEP_2)
	v_add_f64 v[7:8], v[7:8], -v[27:28]
.LBB132_12:                             ;   in Loop: Header=BB132_4 Depth=1
	s_or_b32 exec_lo, exec_lo, s2
                                        ; implicit-def: $vgpr30
                                        ; implicit-def: $vgpr25_vgpr26
                                        ; implicit-def: $vgpr27_vgpr28
	s_and_saveexec_b32 s2, s3
	s_delay_alu instid0(SALU_CYCLE_1)
	s_xor_b32 s3, exec_lo, s2
	s_cbranch_execz .LBB132_14
; %bb.13:                               ;   in Loop: Header=BB132_4 Depth=1
	v_ldexp_f64 v[25:26], |v[15:16]|, 0xffffff80
	v_cmp_le_f64_e64 vcc_lo, 0x7b000000, |v[15:16]|
	v_trig_preop_f64 v[27:28], |v[15:16]|, 0
	v_and_b32_e32 v22, 0x7fffffff, v16
	v_trig_preop_f64 v[30:31], |v[15:16]|, 1
	v_trig_preop_f64 v[42:43], |v[15:16]|, 2
	s_mov_b32 s12, s14
	s_mov_b32 s21, s19
	v_dual_cndmask_b32 v25, v15, v25 :: v_dual_cndmask_b32 v26, v22, v26
	s_delay_alu instid0(VALU_DEP_1) | instskip(NEXT) | instid1(VALU_DEP_4)
	v_mul_f64 v[32:33], v[27:28], v[25:26]
	v_mul_f64 v[36:37], v[30:31], v[25:26]
	s_delay_alu instid0(VALU_DEP_2) | instskip(NEXT) | instid1(VALU_DEP_2)
	v_fma_f64 v[27:28], v[27:28], v[25:26], -v[32:33]
	v_fma_f64 v[30:31], v[30:31], v[25:26], -v[36:37]
	s_delay_alu instid0(VALU_DEP_2) | instskip(NEXT) | instid1(VALU_DEP_1)
	v_add_f64 v[38:39], v[36:37], v[27:28]
	v_add_f64 v[40:41], v[38:39], -v[36:37]
	v_add_f64 v[46:47], v[32:33], v[38:39]
	s_delay_alu instid0(VALU_DEP_2) | instskip(SKIP_1) | instid1(VALU_DEP_3)
	v_add_f64 v[44:45], v[38:39], -v[40:41]
	v_add_f64 v[27:28], v[27:28], -v[40:41]
	v_ldexp_f64 v[40:41], v[46:47], -2
	v_add_f64 v[32:33], v[46:47], -v[32:33]
	s_delay_alu instid0(VALU_DEP_4) | instskip(NEXT) | instid1(VALU_DEP_3)
	v_add_f64 v[36:37], v[36:37], -v[44:45]
	v_cmp_neq_f64_e64 vcc_lo, 0x7ff00000, |v[40:41]|
	s_delay_alu instid0(VALU_DEP_3) | instskip(NEXT) | instid1(VALU_DEP_3)
	v_add_f64 v[32:33], v[38:39], -v[32:33]
	v_add_f64 v[27:28], v[27:28], v[36:37]
	v_fract_f64_e32 v[36:37], v[40:41]
	s_delay_alu instid0(VALU_DEP_1) | instskip(SKIP_1) | instid1(VALU_DEP_3)
	v_cndmask_b32_e32 v37, 0, v37, vcc_lo
	v_mul_f64 v[48:49], v[42:43], v[25:26]
	v_cndmask_b32_e32 v36, 0, v36, vcc_lo
	s_delay_alu instid0(VALU_DEP_1) | instskip(NEXT) | instid1(VALU_DEP_3)
	v_ldexp_f64 v[36:37], v[36:37], 2
	v_add_f64 v[44:45], v[48:49], v[30:31]
	v_fma_f64 v[25:26], v[42:43], v[25:26], -v[48:49]
	s_delay_alu instid0(VALU_DEP_2) | instskip(NEXT) | instid1(VALU_DEP_1)
	v_add_f64 v[38:39], v[44:45], v[27:28]
	v_add_f64 v[40:41], v[32:33], v[38:39]
	v_add_f64 v[50:51], v[38:39], -v[44:45]
	s_delay_alu instid0(VALU_DEP_2) | instskip(NEXT) | instid1(VALU_DEP_2)
	v_add_f64 v[46:47], v[40:41], v[36:37]
	v_add_f64 v[56:57], v[38:39], -v[50:51]
	v_add_f64 v[27:28], v[27:28], -v[50:51]
	;; [unrolled: 1-line block ×3, first 2 shown]
	s_delay_alu instid0(VALU_DEP_4) | instskip(SKIP_2) | instid1(VALU_DEP_2)
	v_cmp_gt_f64_e32 vcc_lo, 0, v[46:47]
	v_add_f64 v[46:47], v[44:45], -v[48:49]
	v_cndmask_b32_e64 v22, 0, 0x40100000, vcc_lo
	v_add_f64 v[54:55], v[44:45], -v[46:47]
	v_add_f64 v[30:31], v[30:31], -v[46:47]
	;; [unrolled: 1-line block ×3, first 2 shown]
	s_delay_alu instid0(VALU_DEP_4) | instskip(NEXT) | instid1(VALU_DEP_4)
	v_add_f64 v[36:37], v[36:37], v[21:22]
	v_add_f64 v[46:47], v[48:49], -v[54:55]
	s_delay_alu instid0(VALU_DEP_3) | instskip(NEXT) | instid1(VALU_DEP_3)
	v_add_f64 v[27:28], v[27:28], v[44:45]
	v_add_f64 v[52:53], v[40:41], v[36:37]
	s_delay_alu instid0(VALU_DEP_3) | instskip(NEXT) | instid1(VALU_DEP_2)
	v_add_f64 v[30:31], v[30:31], v[46:47]
	v_cvt_i32_f64_e32 v22, v[52:53]
	s_delay_alu instid0(VALU_DEP_2) | instskip(SKIP_1) | instid1(VALU_DEP_3)
	v_add_f64 v[27:28], v[30:31], v[27:28]
	v_add_f64 v[30:31], v[38:39], -v[32:33]
	v_cvt_f64_i32_e32 v[50:51], v22
	s_delay_alu instid0(VALU_DEP_3) | instskip(NEXT) | instid1(VALU_DEP_2)
	v_add_f64 v[25:26], v[25:26], v[27:28]
	v_add_f64 v[36:37], v[36:37], -v[50:51]
	s_delay_alu instid0(VALU_DEP_2) | instskip(NEXT) | instid1(VALU_DEP_2)
	v_add_f64 v[25:26], v[30:31], v[25:26]
	v_add_f64 v[42:43], v[40:41], v[36:37]
	s_delay_alu instid0(VALU_DEP_1) | instskip(SKIP_1) | instid1(VALU_DEP_2)
	v_add_f64 v[27:28], v[42:43], -v[36:37]
	v_cmp_le_f64_e32 vcc_lo, 0.5, v[42:43]
	v_add_f64 v[27:28], v[40:41], -v[27:28]
	v_add_co_ci_u32_e64 v30, s2, 0, v22, vcc_lo
	v_cndmask_b32_e64 v22, 0, 0x3ff00000, vcc_lo
	s_delay_alu instid0(VALU_DEP_3) | instskip(NEXT) | instid1(VALU_DEP_2)
	v_add_f64 v[25:26], v[25:26], v[27:28]
	v_add_f64 v[27:28], v[42:43], -v[21:22]
	s_delay_alu instid0(VALU_DEP_1) | instskip(NEXT) | instid1(VALU_DEP_1)
	v_add_f64 v[31:32], v[27:28], v[25:26]
	v_mul_f64 v[33:34], v[31:32], s[12:13]
	v_add_f64 v[27:28], v[31:32], -v[27:28]
	s_delay_alu instid0(VALU_DEP_2) | instskip(NEXT) | instid1(VALU_DEP_2)
	v_fma_f64 v[36:37], v[31:32], s[12:13], -v[33:34]
	v_add_f64 v[25:26], v[25:26], -v[27:28]
	s_delay_alu instid0(VALU_DEP_2) | instskip(NEXT) | instid1(VALU_DEP_1)
	v_fma_f64 v[27:28], v[31:32], s[20:21], v[36:37]
	v_fma_f64 v[27:28], v[25:26], s[12:13], v[27:28]
	s_delay_alu instid0(VALU_DEP_1) | instskip(NEXT) | instid1(VALU_DEP_1)
	v_add_f64 v[25:26], v[33:34], v[27:28]
	v_add_f64 v[31:32], v[25:26], -v[33:34]
	s_delay_alu instid0(VALU_DEP_1)
	v_add_f64 v[27:28], v[27:28], -v[31:32]
	s_and_not1_saveexec_b32 s2, s3
	s_cbranch_execnz .LBB132_15
	s_branch .LBB132_16
.LBB132_14:                             ;   in Loop: Header=BB132_4 Depth=1
	s_and_not1_saveexec_b32 s2, s3
	s_cbranch_execz .LBB132_16
.LBB132_15:                             ;   in Loop: Header=BB132_4 Depth=1
	v_mul_f64 v[25:26], |v[15:16]|, s[22:23]
	s_mov_b32 s18, s24
	s_delay_alu instid0(VALU_DEP_1) | instskip(NEXT) | instid1(VALU_DEP_1)
	v_rndne_f64_e32 v[30:31], v[25:26]
	v_fma_f64 v[25:26], v[30:31], s[14:15], |v[15:16]|
	v_mul_f64 v[27:28], v[30:31], s[24:25]
	s_delay_alu instid0(VALU_DEP_2) | instskip(NEXT) | instid1(VALU_DEP_2)
	v_fma_f64 v[36:37], v[30:31], s[24:25], v[25:26]
	v_add_f64 v[32:33], v[25:26], v[27:28]
	s_delay_alu instid0(VALU_DEP_1) | instskip(NEXT) | instid1(VALU_DEP_3)
	v_add_f64 v[25:26], v[25:26], -v[32:33]
	v_add_f64 v[32:33], v[32:33], -v[36:37]
	s_delay_alu instid0(VALU_DEP_2) | instskip(SKIP_1) | instid1(VALU_DEP_2)
	v_add_f64 v[25:26], v[25:26], v[27:28]
	v_fma_f64 v[27:28], v[30:31], s[18:19], v[27:28]
	v_add_f64 v[25:26], v[32:33], v[25:26]
	s_delay_alu instid0(VALU_DEP_1) | instskip(NEXT) | instid1(VALU_DEP_1)
	v_add_f64 v[25:26], v[25:26], -v[27:28]
	v_fma_f64 v[27:28], v[30:31], s[26:27], v[25:26]
	v_cvt_i32_f64_e32 v30, v[30:31]
	s_delay_alu instid0(VALU_DEP_2) | instskip(NEXT) | instid1(VALU_DEP_1)
	v_add_f64 v[25:26], v[36:37], v[27:28]
	v_add_f64 v[32:33], v[25:26], -v[36:37]
	s_delay_alu instid0(VALU_DEP_1)
	v_add_f64 v[27:28], v[27:28], -v[32:33]
.LBB132_16:                             ;   in Loop: Header=BB132_4 Depth=1
	s_or_b32 exec_lo, exec_lo, s2
	v_mul_f64 v[31:32], v[13:14], s[28:29]
	v_mul_f64 v[38:39], v[5:6], v[5:6]
	;; [unrolled: 1-line block ×3, first 2 shown]
	s_mov_b32 s77, s49
	s_mov_b32 s79, s51
	s_delay_alu instid0(VALU_DEP_4)
	v_mul_f64 v[58:59], v[7:8], 0.5
	v_mul_f64 v[64:65], v[27:28], 0.5
	s_mov_b32 s80, s50
	v_cmp_nlt_f64_e64 s3, 0x40900000, v[13:14]
	v_cmp_ngt_f64_e64 s4, 0xc090cc00, v[13:14]
	v_cmp_class_f64_e64 s2, v[15:16], 0x1f8
	v_and_b32_e32 v15, 1, v30
	s_delay_alu instid0(VALU_DEP_1)
	v_cmp_eq_u32_e64 s5, 0, v15
	v_rndne_f64_e32 v[31:32], v[31:32]
	v_fma_f64 v[42:43], v[38:39], s[68:69], s[66:67]
	v_fma_f64 v[44:45], v[40:41], s[68:69], s[66:67]
	v_mul_f64 v[48:49], v[38:39], 0.5
	v_fma_f64 v[46:47], v[38:39], s[58:59], s[56:57]
	v_fma_f64 v[50:51], v[40:41], s[58:59], s[56:57]
	v_mul_f64 v[52:53], v[40:41], 0.5
	v_mul_f64 v[60:61], v[5:6], -v[38:39]
	v_mul_f64 v[66:67], v[25:26], -v[40:41]
	v_fma_f64 v[33:34], v[31:32], s[30:31], v[13:14]
	v_fma_f64 v[42:43], v[38:39], v[42:43], s[70:71]
	;; [unrolled: 1-line block ×3, first 2 shown]
	v_add_f64 v[54:55], -v[48:49], 1.0
	v_fma_f64 v[46:47], v[38:39], v[46:47], s[60:61]
	v_fma_f64 v[50:51], v[40:41], v[50:51], s[60:61]
	v_add_f64 v[56:57], -v[52:53], 1.0
	v_cvt_i32_f64_e32 v22, v[31:32]
	v_fma_f64 v[33:34], v[31:32], s[34:35], v[33:34]
	v_fma_f64 v[42:43], v[38:39], v[42:43], s[72:73]
	;; [unrolled: 1-line block ×3, first 2 shown]
	v_add_f64 v[62:63], -v[54:55], 1.0
	v_fma_f64 v[46:47], v[38:39], v[46:47], s[62:63]
	v_fma_f64 v[50:51], v[40:41], v[50:51], s[62:63]
	v_add_f64 v[68:69], -v[56:57], 1.0
	v_fma_f64 v[36:37], v[33:34], s[38:39], s[36:37]
	v_fma_f64 v[42:43], v[38:39], v[42:43], s[48:49]
	;; [unrolled: 1-line block ×3, first 2 shown]
	v_add_f64 v[48:49], v[62:63], -v[48:49]
	v_fma_f64 v[46:47], v[38:39], v[46:47], s[64:65]
	v_fma_f64 v[50:51], v[40:41], v[50:51], s[64:65]
	v_add_f64 v[52:53], v[68:69], -v[52:53]
	v_fma_f64 v[36:37], v[33:34], v[36:37], s[40:41]
	v_fma_f64 v[42:43], v[60:61], v[42:43], v[58:59]
	;; [unrolled: 1-line block ×3, first 2 shown]
	v_fma_f64 v[48:49], v[5:6], -v[7:8], v[48:49]
	v_mul_f64 v[58:59], v[38:39], v[38:39]
	v_fma_f64 v[46:47], v[38:39], v[46:47], s[50:51]
	v_fma_f64 v[36:37], v[33:34], v[36:37], s[42:43]
	v_fma_f64 v[7:8], v[38:39], v[42:43], -v[7:8]
	v_mul_f64 v[38:39], v[40:41], v[40:41]
	v_fma_f64 v[42:43], v[40:41], v[50:51], s[50:51]
	v_fma_f64 v[50:51], v[25:26], -v[27:28], v[52:53]
	v_fma_f64 v[27:28], v[40:41], v[44:45], -v[27:28]
	v_fma_f64 v[40:41], v[58:59], v[46:47], v[48:49]
	v_fma_f64 v[36:37], v[33:34], v[36:37], s[44:45]
	;; [unrolled: 1-line block ×3, first 2 shown]
	s_delay_alu instid0(VALU_DEP_4) | instskip(NEXT) | instid1(VALU_DEP_3)
	v_fma_f64 v[27:28], v[66:67], s[80:81], v[27:28]
	v_fma_f64 v[36:37], v[33:34], v[36:37], s[46:47]
	s_delay_alu instid0(VALU_DEP_3) | instskip(NEXT) | instid1(VALU_DEP_3)
	v_add_f64 v[5:6], v[5:6], -v[7:8]
	v_add_f64 v[25:26], v[25:26], -v[27:28]
	s_delay_alu instid0(VALU_DEP_3) | instskip(NEXT) | instid1(VALU_DEP_3)
	v_fma_f64 v[36:37], v[33:34], v[36:37], s[76:77]
	v_xor_b32_e32 v6, 0x80000000, v6
	s_delay_alu instid0(VALU_DEP_2) | instskip(NEXT) | instid1(VALU_DEP_1)
	v_fma_f64 v[36:37], v[33:34], v[36:37], s[78:79]
	v_fma_f64 v[36:37], v[33:34], v[36:37], s[52:53]
	s_delay_alu instid0(VALU_DEP_1) | instskip(NEXT) | instid1(VALU_DEP_1)
	v_fma_f64 v[36:37], v[33:34], v[36:37], s[54:55]
	v_fma_f64 v[36:37], v[33:34], v[36:37], 1.0
	s_delay_alu instid0(VALU_DEP_1) | instskip(SKIP_2) | instid1(VALU_DEP_3)
	v_fma_f64 v[31:32], v[33:34], v[36:37], 1.0
	v_fma_f64 v[33:34], v[38:39], v[42:43], v[50:51]
	v_add_f64 v[36:37], v[54:55], v[40:41]
	v_ldexp_f64 v[7:8], v[31:32], v22
	s_delay_alu instid0(VALU_DEP_3) | instskip(SKIP_1) | instid1(VALU_DEP_1)
	v_add_f64 v[31:32], v[56:57], v[33:34]
	v_and_b32_e32 v22, 1, v29
	v_cmp_eq_u32_e32 vcc_lo, 0, v22
	v_dual_cndmask_b32 v6, v6, v37 :: v_dual_lshlrev_b32 v13, 30, v30
	v_cndmask_b32_e32 v5, v5, v36, vcc_lo
	s_delay_alu instid0(VALU_DEP_2) | instskip(SKIP_2) | instid1(VALU_DEP_3)
	v_xor_b32_e32 v13, v13, v16
	s_and_b32 vcc_lo, s4, s3
	v_lshlrev_b32_e32 v14, 30, v29
	v_cndmask_b32_e64 v5, 0, v5, s2
	s_delay_alu instid0(VALU_DEP_3) | instskip(NEXT) | instid1(VALU_DEP_3)
	v_and_b32_e32 v13, 0x80000000, v13
	v_dual_cndmask_b32 v7, 0, v7 :: v_dual_and_b32 v14, 0x80000000, v14
	v_cndmask_b32_e64 v16, v32, v26, s5
	v_cndmask_b32_e64 v8, 0x7ff00000, v8, s3
	;; [unrolled: 1-line block ×3, first 2 shown]
	s_delay_alu instid0(VALU_DEP_4) | instskip(NEXT) | instid1(VALU_DEP_4)
	v_xor_b32_e32 v6, v6, v14
	v_xor_b32_e32 v14, v16, v13
	s_delay_alu instid0(VALU_DEP_4) | instskip(NEXT) | instid1(VALU_DEP_4)
	v_cndmask_b32_e64 v8, 0, v8, s4
	v_cndmask_b32_e64 v13, 0, v15, s2
                                        ; implicit-def: $vgpr15_vgpr16
	s_delay_alu instid0(VALU_DEP_4) | instskip(NEXT) | instid1(VALU_DEP_4)
	v_cndmask_b32_e64 v6, 0x7ff80000, v6, s2
	v_cndmask_b32_e64 v14, 0x7ff80000, v14, s2
	s_delay_alu instid0(VALU_DEP_2) | instskip(NEXT) | instid1(VALU_DEP_2)
	v_mul_f64 v[5:6], v[7:8], v[5:6]
	v_mul_f64 v[7:8], v[7:8], v[13:14]
.LBB132_17:                             ;   in Loop: Header=BB132_4 Depth=1
	s_and_not1_saveexec_b32 s93, s93
	s_cbranch_execz .LBB132_20
; %bb.18:                               ;   in Loop: Header=BB132_4 Depth=1
	v_cmp_ngt_f64_e64 s3, 0x41d00000, |v[15:16]|
                                        ; implicit-def: $vgpr29
                                        ; implicit-def: $vgpr5_vgpr6
                                        ; implicit-def: $vgpr7_vgpr8
	s_delay_alu instid0(VALU_DEP_1) | instskip(NEXT) | instid1(SALU_CYCLE_1)
	s_and_saveexec_b32 s2, s3
	s_xor_b32 s4, exec_lo, s2
	s_cbranch_execz .LBB132_21
; %bb.19:                               ;   in Loop: Header=BB132_4 Depth=1
	v_ldexp_f64 v[5:6], |v[15:16]|, 0xffffff80
	v_cmp_le_f64_e64 vcc_lo, 0x7b000000, |v[15:16]|
	v_trig_preop_f64 v[7:8], |v[15:16]|, 0
	v_and_b32_e32 v22, 0x7fffffff, v16
	v_trig_preop_f64 v[25:26], |v[15:16]|, 1
	v_trig_preop_f64 v[36:37], |v[15:16]|, 2
	s_mov_b32 s12, s14
	s_mov_b32 s21, s19
	v_dual_cndmask_b32 v5, v15, v5 :: v_dual_cndmask_b32 v6, v22, v6
	s_delay_alu instid0(VALU_DEP_1) | instskip(NEXT) | instid1(VALU_DEP_4)
	v_mul_f64 v[27:28], v[7:8], v[5:6]
	v_mul_f64 v[29:30], v[25:26], v[5:6]
	s_delay_alu instid0(VALU_DEP_2) | instskip(NEXT) | instid1(VALU_DEP_2)
	v_fma_f64 v[7:8], v[7:8], v[5:6], -v[27:28]
	v_fma_f64 v[25:26], v[25:26], v[5:6], -v[29:30]
	s_delay_alu instid0(VALU_DEP_2) | instskip(NEXT) | instid1(VALU_DEP_1)
	v_add_f64 v[31:32], v[29:30], v[7:8]
	v_add_f64 v[33:34], v[31:32], -v[29:30]
	v_add_f64 v[40:41], v[27:28], v[31:32]
	s_delay_alu instid0(VALU_DEP_2) | instskip(SKIP_1) | instid1(VALU_DEP_3)
	v_add_f64 v[38:39], v[31:32], -v[33:34]
	v_add_f64 v[7:8], v[7:8], -v[33:34]
	v_ldexp_f64 v[33:34], v[40:41], -2
	v_add_f64 v[27:28], v[40:41], -v[27:28]
	s_delay_alu instid0(VALU_DEP_4) | instskip(NEXT) | instid1(VALU_DEP_3)
	v_add_f64 v[29:30], v[29:30], -v[38:39]
	v_cmp_neq_f64_e64 vcc_lo, 0x7ff00000, |v[33:34]|
	s_delay_alu instid0(VALU_DEP_3) | instskip(NEXT) | instid1(VALU_DEP_3)
	v_add_f64 v[27:28], v[31:32], -v[27:28]
	v_add_f64 v[7:8], v[7:8], v[29:30]
	v_fract_f64_e32 v[29:30], v[33:34]
	s_delay_alu instid0(VALU_DEP_1) | instskip(SKIP_1) | instid1(VALU_DEP_3)
	v_cndmask_b32_e32 v29, 0, v29, vcc_lo
	v_mul_f64 v[42:43], v[36:37], v[5:6]
	v_cndmask_b32_e32 v30, 0, v30, vcc_lo
	s_delay_alu instid0(VALU_DEP_1) | instskip(NEXT) | instid1(VALU_DEP_3)
	v_ldexp_f64 v[29:30], v[29:30], 2
	v_add_f64 v[38:39], v[42:43], v[25:26]
	v_fma_f64 v[5:6], v[36:37], v[5:6], -v[42:43]
	s_delay_alu instid0(VALU_DEP_2) | instskip(NEXT) | instid1(VALU_DEP_1)
	v_add_f64 v[31:32], v[38:39], v[7:8]
	v_add_f64 v[33:34], v[27:28], v[31:32]
	v_add_f64 v[44:45], v[31:32], -v[38:39]
	s_delay_alu instid0(VALU_DEP_2) | instskip(NEXT) | instid1(VALU_DEP_2)
	v_add_f64 v[40:41], v[33:34], v[29:30]
	v_add_f64 v[50:51], v[31:32], -v[44:45]
	v_add_f64 v[7:8], v[7:8], -v[44:45]
	v_add_f64 v[27:28], v[33:34], -v[27:28]
	s_delay_alu instid0(VALU_DEP_4) | instskip(SKIP_1) | instid1(VALU_DEP_3)
	v_cmp_gt_f64_e32 vcc_lo, 0, v[40:41]
	v_add_f64 v[40:41], v[38:39], -v[42:43]
	v_add_f64 v[27:28], v[31:32], -v[27:28]
	v_cndmask_b32_e64 v22, 0, 0x40100000, vcc_lo
	s_delay_alu instid0(VALU_DEP_3) | instskip(SKIP_2) | instid1(VALU_DEP_4)
	v_add_f64 v[48:49], v[38:39], -v[40:41]
	v_add_f64 v[25:26], v[25:26], -v[40:41]
	;; [unrolled: 1-line block ×3, first 2 shown]
	v_add_f64 v[29:30], v[29:30], v[21:22]
	s_delay_alu instid0(VALU_DEP_4) | instskip(NEXT) | instid1(VALU_DEP_3)
	v_add_f64 v[40:41], v[42:43], -v[48:49]
	v_add_f64 v[7:8], v[7:8], v[38:39]
	s_delay_alu instid0(VALU_DEP_3) | instskip(NEXT) | instid1(VALU_DEP_3)
	v_add_f64 v[46:47], v[33:34], v[29:30]
	v_add_f64 v[25:26], v[25:26], v[40:41]
	s_delay_alu instid0(VALU_DEP_2) | instskip(NEXT) | instid1(VALU_DEP_2)
	v_cvt_i32_f64_e32 v22, v[46:47]
	v_add_f64 v[7:8], v[25:26], v[7:8]
	s_delay_alu instid0(VALU_DEP_2) | instskip(NEXT) | instid1(VALU_DEP_2)
	v_cvt_f64_i32_e32 v[44:45], v22
	v_add_f64 v[5:6], v[5:6], v[7:8]
	s_delay_alu instid0(VALU_DEP_2) | instskip(NEXT) | instid1(VALU_DEP_2)
	v_add_f64 v[29:30], v[29:30], -v[44:45]
	v_add_f64 v[5:6], v[27:28], v[5:6]
	s_delay_alu instid0(VALU_DEP_2) | instskip(NEXT) | instid1(VALU_DEP_1)
	v_add_f64 v[25:26], v[33:34], v[29:30]
	v_add_f64 v[7:8], v[25:26], -v[29:30]
	v_cmp_le_f64_e32 vcc_lo, 0.5, v[25:26]
	s_delay_alu instid0(VALU_DEP_2) | instskip(SKIP_2) | instid1(VALU_DEP_3)
	v_add_f64 v[7:8], v[33:34], -v[7:8]
	v_add_co_ci_u32_e64 v29, s2, 0, v22, vcc_lo
	v_cndmask_b32_e64 v22, 0, 0x3ff00000, vcc_lo
	v_add_f64 v[5:6], v[5:6], v[7:8]
	s_delay_alu instid0(VALU_DEP_2) | instskip(NEXT) | instid1(VALU_DEP_1)
	v_add_f64 v[7:8], v[25:26], -v[21:22]
	v_add_f64 v[25:26], v[7:8], v[5:6]
	s_delay_alu instid0(VALU_DEP_1) | instskip(SKIP_1) | instid1(VALU_DEP_2)
	v_mul_f64 v[27:28], v[25:26], s[12:13]
	v_add_f64 v[7:8], v[25:26], -v[7:8]
	v_fma_f64 v[30:31], v[25:26], s[12:13], -v[27:28]
	s_delay_alu instid0(VALU_DEP_2) | instskip(NEXT) | instid1(VALU_DEP_2)
	v_add_f64 v[5:6], v[5:6], -v[7:8]
	v_fma_f64 v[7:8], v[25:26], s[20:21], v[30:31]
	s_delay_alu instid0(VALU_DEP_1) | instskip(NEXT) | instid1(VALU_DEP_1)
	v_fma_f64 v[7:8], v[5:6], s[12:13], v[7:8]
	v_add_f64 v[5:6], v[27:28], v[7:8]
	s_delay_alu instid0(VALU_DEP_1) | instskip(NEXT) | instid1(VALU_DEP_1)
	v_add_f64 v[25:26], v[5:6], -v[27:28]
	v_add_f64 v[7:8], v[7:8], -v[25:26]
	s_and_not1_saveexec_b32 s2, s4
	s_cbranch_execz .LBB132_23
	s_branch .LBB132_22
.LBB132_20:                             ;   in Loop: Header=BB132_4 Depth=1
	s_or_b32 exec_lo, exec_lo, s93
                                        ; implicit-def: $vgpr13_vgpr14
                                        ; implicit-def: $vgpr22
	s_and_not1_saveexec_b32 s3, s92
	s_cbranch_execnz .LBB132_29
	s_branch .LBB132_34
.LBB132_21:                             ;   in Loop: Header=BB132_4 Depth=1
	s_and_not1_saveexec_b32 s2, s4
	s_cbranch_execz .LBB132_23
.LBB132_22:                             ;   in Loop: Header=BB132_4 Depth=1
	v_mul_f64 v[5:6], |v[15:16]|, s[22:23]
	s_mov_b32 s18, s24
	s_delay_alu instid0(VALU_DEP_1) | instskip(NEXT) | instid1(VALU_DEP_1)
	v_rndne_f64_e32 v[25:26], v[5:6]
	v_fma_f64 v[5:6], v[25:26], s[14:15], |v[15:16]|
	v_mul_f64 v[7:8], v[25:26], s[24:25]
	s_delay_alu instid0(VALU_DEP_2) | instskip(NEXT) | instid1(VALU_DEP_2)
	v_fma_f64 v[29:30], v[25:26], s[24:25], v[5:6]
	v_add_f64 v[27:28], v[5:6], v[7:8]
	s_delay_alu instid0(VALU_DEP_1) | instskip(NEXT) | instid1(VALU_DEP_3)
	v_add_f64 v[5:6], v[5:6], -v[27:28]
	v_add_f64 v[27:28], v[27:28], -v[29:30]
	s_delay_alu instid0(VALU_DEP_2) | instskip(SKIP_1) | instid1(VALU_DEP_2)
	v_add_f64 v[5:6], v[5:6], v[7:8]
	v_fma_f64 v[7:8], v[25:26], s[18:19], v[7:8]
	v_add_f64 v[5:6], v[27:28], v[5:6]
	s_delay_alu instid0(VALU_DEP_1) | instskip(NEXT) | instid1(VALU_DEP_1)
	v_add_f64 v[5:6], v[5:6], -v[7:8]
	v_fma_f64 v[7:8], v[25:26], s[26:27], v[5:6]
	s_delay_alu instid0(VALU_DEP_1) | instskip(NEXT) | instid1(VALU_DEP_1)
	v_add_f64 v[5:6], v[29:30], v[7:8]
	v_add_f64 v[27:28], v[5:6], -v[29:30]
	v_cvt_i32_f64_e32 v29, v[25:26]
	s_delay_alu instid0(VALU_DEP_2)
	v_add_f64 v[7:8], v[7:8], -v[27:28]
.LBB132_23:                             ;   in Loop: Header=BB132_4 Depth=1
	s_or_b32 exec_lo, exec_lo, s2
                                        ; implicit-def: $vgpr30
                                        ; implicit-def: $vgpr25_vgpr26
                                        ; implicit-def: $vgpr27_vgpr28
	s_and_saveexec_b32 s2, s3
	s_delay_alu instid0(SALU_CYCLE_1)
	s_xor_b32 s3, exec_lo, s2
	s_cbranch_execz .LBB132_25
; %bb.24:                               ;   in Loop: Header=BB132_4 Depth=1
	v_ldexp_f64 v[25:26], |v[15:16]|, 0xffffff80
	v_cmp_le_f64_e64 vcc_lo, 0x7b000000, |v[15:16]|
	v_trig_preop_f64 v[27:28], |v[15:16]|, 0
	v_and_b32_e32 v22, 0x7fffffff, v16
	v_trig_preop_f64 v[30:31], |v[15:16]|, 1
	v_trig_preop_f64 v[42:43], |v[15:16]|, 2
	s_mov_b32 s12, s14
	s_mov_b32 s21, s19
	v_dual_cndmask_b32 v25, v15, v25 :: v_dual_cndmask_b32 v26, v22, v26
	s_delay_alu instid0(VALU_DEP_1) | instskip(NEXT) | instid1(VALU_DEP_4)
	v_mul_f64 v[32:33], v[27:28], v[25:26]
	v_mul_f64 v[36:37], v[30:31], v[25:26]
	s_delay_alu instid0(VALU_DEP_2) | instskip(NEXT) | instid1(VALU_DEP_2)
	v_fma_f64 v[27:28], v[27:28], v[25:26], -v[32:33]
	v_fma_f64 v[30:31], v[30:31], v[25:26], -v[36:37]
	s_delay_alu instid0(VALU_DEP_2) | instskip(NEXT) | instid1(VALU_DEP_1)
	v_add_f64 v[38:39], v[36:37], v[27:28]
	v_add_f64 v[40:41], v[38:39], -v[36:37]
	v_add_f64 v[46:47], v[32:33], v[38:39]
	s_delay_alu instid0(VALU_DEP_2) | instskip(SKIP_1) | instid1(VALU_DEP_3)
	v_add_f64 v[44:45], v[38:39], -v[40:41]
	v_add_f64 v[27:28], v[27:28], -v[40:41]
	v_ldexp_f64 v[40:41], v[46:47], -2
	v_add_f64 v[32:33], v[46:47], -v[32:33]
	s_delay_alu instid0(VALU_DEP_4) | instskip(NEXT) | instid1(VALU_DEP_3)
	v_add_f64 v[36:37], v[36:37], -v[44:45]
	v_cmp_neq_f64_e64 vcc_lo, 0x7ff00000, |v[40:41]|
	s_delay_alu instid0(VALU_DEP_3) | instskip(NEXT) | instid1(VALU_DEP_3)
	v_add_f64 v[32:33], v[38:39], -v[32:33]
	v_add_f64 v[27:28], v[27:28], v[36:37]
	v_fract_f64_e32 v[36:37], v[40:41]
	s_delay_alu instid0(VALU_DEP_1) | instskip(SKIP_1) | instid1(VALU_DEP_3)
	v_cndmask_b32_e32 v37, 0, v37, vcc_lo
	v_mul_f64 v[48:49], v[42:43], v[25:26]
	v_cndmask_b32_e32 v36, 0, v36, vcc_lo
	s_delay_alu instid0(VALU_DEP_1) | instskip(NEXT) | instid1(VALU_DEP_3)
	v_ldexp_f64 v[36:37], v[36:37], 2
	v_add_f64 v[44:45], v[48:49], v[30:31]
	v_fma_f64 v[25:26], v[42:43], v[25:26], -v[48:49]
	s_delay_alu instid0(VALU_DEP_2) | instskip(NEXT) | instid1(VALU_DEP_1)
	v_add_f64 v[38:39], v[44:45], v[27:28]
	v_add_f64 v[40:41], v[32:33], v[38:39]
	v_add_f64 v[50:51], v[38:39], -v[44:45]
	s_delay_alu instid0(VALU_DEP_2) | instskip(NEXT) | instid1(VALU_DEP_2)
	v_add_f64 v[46:47], v[40:41], v[36:37]
	v_add_f64 v[56:57], v[38:39], -v[50:51]
	v_add_f64 v[27:28], v[27:28], -v[50:51]
	;; [unrolled: 1-line block ×3, first 2 shown]
	s_delay_alu instid0(VALU_DEP_4) | instskip(SKIP_2) | instid1(VALU_DEP_2)
	v_cmp_gt_f64_e32 vcc_lo, 0, v[46:47]
	v_add_f64 v[46:47], v[44:45], -v[48:49]
	v_cndmask_b32_e64 v22, 0, 0x40100000, vcc_lo
	v_add_f64 v[54:55], v[44:45], -v[46:47]
	v_add_f64 v[30:31], v[30:31], -v[46:47]
	;; [unrolled: 1-line block ×3, first 2 shown]
	s_delay_alu instid0(VALU_DEP_4) | instskip(NEXT) | instid1(VALU_DEP_4)
	v_add_f64 v[36:37], v[36:37], v[21:22]
	v_add_f64 v[46:47], v[48:49], -v[54:55]
	s_delay_alu instid0(VALU_DEP_3) | instskip(NEXT) | instid1(VALU_DEP_3)
	v_add_f64 v[27:28], v[27:28], v[44:45]
	v_add_f64 v[52:53], v[40:41], v[36:37]
	s_delay_alu instid0(VALU_DEP_3) | instskip(NEXT) | instid1(VALU_DEP_2)
	v_add_f64 v[30:31], v[30:31], v[46:47]
	v_cvt_i32_f64_e32 v22, v[52:53]
	s_delay_alu instid0(VALU_DEP_2) | instskip(SKIP_1) | instid1(VALU_DEP_3)
	v_add_f64 v[27:28], v[30:31], v[27:28]
	v_add_f64 v[30:31], v[38:39], -v[32:33]
	v_cvt_f64_i32_e32 v[50:51], v22
	s_delay_alu instid0(VALU_DEP_3) | instskip(NEXT) | instid1(VALU_DEP_2)
	v_add_f64 v[25:26], v[25:26], v[27:28]
	v_add_f64 v[36:37], v[36:37], -v[50:51]
	s_delay_alu instid0(VALU_DEP_2) | instskip(NEXT) | instid1(VALU_DEP_2)
	v_add_f64 v[25:26], v[30:31], v[25:26]
	v_add_f64 v[42:43], v[40:41], v[36:37]
	s_delay_alu instid0(VALU_DEP_1) | instskip(SKIP_1) | instid1(VALU_DEP_2)
	v_add_f64 v[27:28], v[42:43], -v[36:37]
	v_cmp_le_f64_e32 vcc_lo, 0.5, v[42:43]
	v_add_f64 v[27:28], v[40:41], -v[27:28]
	v_add_co_ci_u32_e64 v30, s2, 0, v22, vcc_lo
	v_cndmask_b32_e64 v22, 0, 0x3ff00000, vcc_lo
	s_delay_alu instid0(VALU_DEP_3) | instskip(NEXT) | instid1(VALU_DEP_2)
	v_add_f64 v[25:26], v[25:26], v[27:28]
	v_add_f64 v[27:28], v[42:43], -v[21:22]
	s_delay_alu instid0(VALU_DEP_1) | instskip(NEXT) | instid1(VALU_DEP_1)
	v_add_f64 v[31:32], v[27:28], v[25:26]
	v_mul_f64 v[33:34], v[31:32], s[12:13]
	v_add_f64 v[27:28], v[31:32], -v[27:28]
	s_delay_alu instid0(VALU_DEP_2) | instskip(NEXT) | instid1(VALU_DEP_2)
	v_fma_f64 v[36:37], v[31:32], s[12:13], -v[33:34]
	v_add_f64 v[25:26], v[25:26], -v[27:28]
	s_delay_alu instid0(VALU_DEP_2) | instskip(NEXT) | instid1(VALU_DEP_1)
	v_fma_f64 v[27:28], v[31:32], s[20:21], v[36:37]
	v_fma_f64 v[27:28], v[25:26], s[12:13], v[27:28]
	s_delay_alu instid0(VALU_DEP_1) | instskip(NEXT) | instid1(VALU_DEP_1)
	v_add_f64 v[25:26], v[33:34], v[27:28]
	v_add_f64 v[31:32], v[25:26], -v[33:34]
	s_delay_alu instid0(VALU_DEP_1)
	v_add_f64 v[27:28], v[27:28], -v[31:32]
	s_and_not1_saveexec_b32 s2, s3
	s_cbranch_execnz .LBB132_26
	s_branch .LBB132_27
.LBB132_25:                             ;   in Loop: Header=BB132_4 Depth=1
	s_and_not1_saveexec_b32 s2, s3
	s_cbranch_execz .LBB132_27
.LBB132_26:                             ;   in Loop: Header=BB132_4 Depth=1
	v_mul_f64 v[25:26], |v[15:16]|, s[22:23]
	s_mov_b32 s18, s24
	s_delay_alu instid0(VALU_DEP_1) | instskip(NEXT) | instid1(VALU_DEP_1)
	v_rndne_f64_e32 v[30:31], v[25:26]
	v_fma_f64 v[25:26], v[30:31], s[14:15], |v[15:16]|
	v_mul_f64 v[27:28], v[30:31], s[24:25]
	s_delay_alu instid0(VALU_DEP_2) | instskip(NEXT) | instid1(VALU_DEP_2)
	v_fma_f64 v[36:37], v[30:31], s[24:25], v[25:26]
	v_add_f64 v[32:33], v[25:26], v[27:28]
	s_delay_alu instid0(VALU_DEP_1) | instskip(NEXT) | instid1(VALU_DEP_3)
	v_add_f64 v[25:26], v[25:26], -v[32:33]
	v_add_f64 v[32:33], v[32:33], -v[36:37]
	s_delay_alu instid0(VALU_DEP_2) | instskip(SKIP_1) | instid1(VALU_DEP_2)
	v_add_f64 v[25:26], v[25:26], v[27:28]
	v_fma_f64 v[27:28], v[30:31], s[18:19], v[27:28]
	v_add_f64 v[25:26], v[32:33], v[25:26]
	s_delay_alu instid0(VALU_DEP_1) | instskip(NEXT) | instid1(VALU_DEP_1)
	v_add_f64 v[25:26], v[25:26], -v[27:28]
	v_fma_f64 v[27:28], v[30:31], s[26:27], v[25:26]
	v_cvt_i32_f64_e32 v30, v[30:31]
	s_delay_alu instid0(VALU_DEP_2) | instskip(NEXT) | instid1(VALU_DEP_1)
	v_add_f64 v[25:26], v[36:37], v[27:28]
	v_add_f64 v[32:33], v[25:26], -v[36:37]
	s_delay_alu instid0(VALU_DEP_1)
	v_add_f64 v[27:28], v[27:28], -v[32:33]
.LBB132_27:                             ;   in Loop: Header=BB132_4 Depth=1
	s_or_b32 exec_lo, exec_lo, s2
	v_add_f64 v[13:14], v[13:14], s[74:75]
	s_delay_alu instid0(VALU_DEP_4) | instskip(SKIP_3) | instid1(VALU_DEP_4)
	v_mul_f64 v[38:39], v[5:6], v[5:6]
	v_mul_f64 v[40:41], v[25:26], v[25:26]
	s_mov_b32 s77, s49
	s_mov_b32 s79, s51
	v_mul_f64 v[58:59], v[7:8], 0.5
	v_mul_f64 v[64:65], v[27:28], 0.5
	s_mov_b32 s80, s50
	v_cmp_class_f64_e64 s2, v[15:16], 0x1f8
	v_and_b32_e32 v15, 1, v30
	s_delay_alu instid0(VALU_DEP_1)
	v_cmp_eq_u32_e64 s5, 0, v15
	v_mul_f64 v[31:32], v[13:14], s[28:29]
	v_fma_f64 v[42:43], v[38:39], s[68:69], s[66:67]
	v_fma_f64 v[44:45], v[40:41], s[68:69], s[66:67]
	v_mul_f64 v[48:49], v[38:39], 0.5
	v_fma_f64 v[46:47], v[38:39], s[58:59], s[56:57]
	v_fma_f64 v[50:51], v[40:41], s[58:59], s[56:57]
	v_mul_f64 v[52:53], v[40:41], 0.5
	v_mul_f64 v[60:61], v[5:6], -v[38:39]
	v_mul_f64 v[66:67], v[25:26], -v[40:41]
	v_cmp_nlt_f64_e64 s3, 0x40900000, v[13:14]
	v_cmp_ngt_f64_e64 s4, 0xc090cc00, v[13:14]
	v_rndne_f64_e32 v[31:32], v[31:32]
	v_fma_f64 v[42:43], v[38:39], v[42:43], s[70:71]
	v_fma_f64 v[44:45], v[40:41], v[44:45], s[70:71]
	v_add_f64 v[54:55], -v[48:49], 1.0
	v_fma_f64 v[46:47], v[38:39], v[46:47], s[60:61]
	v_fma_f64 v[50:51], v[40:41], v[50:51], s[60:61]
	v_add_f64 v[56:57], -v[52:53], 1.0
	v_fma_f64 v[33:34], v[31:32], s[30:31], v[13:14]
	v_fma_f64 v[42:43], v[38:39], v[42:43], s[72:73]
	v_fma_f64 v[44:45], v[40:41], v[44:45], s[72:73]
	v_add_f64 v[62:63], -v[54:55], 1.0
	v_fma_f64 v[46:47], v[38:39], v[46:47], s[62:63]
	v_fma_f64 v[50:51], v[40:41], v[50:51], s[62:63]
	v_add_f64 v[68:69], -v[56:57], 1.0
	v_cvt_i32_f64_e32 v22, v[31:32]
	v_fma_f64 v[33:34], v[31:32], s[34:35], v[33:34]
	v_fma_f64 v[42:43], v[38:39], v[42:43], s[48:49]
	;; [unrolled: 1-line block ×3, first 2 shown]
	v_add_f64 v[48:49], v[62:63], -v[48:49]
	v_fma_f64 v[46:47], v[38:39], v[46:47], s[64:65]
	v_fma_f64 v[50:51], v[40:41], v[50:51], s[64:65]
	v_add_f64 v[52:53], v[68:69], -v[52:53]
	v_fma_f64 v[36:37], v[33:34], s[38:39], s[36:37]
	v_fma_f64 v[42:43], v[60:61], v[42:43], v[58:59]
	v_fma_f64 v[44:45], v[66:67], v[44:45], v[64:65]
	v_fma_f64 v[48:49], v[5:6], -v[7:8], v[48:49]
	v_mul_f64 v[58:59], v[38:39], v[38:39]
	v_fma_f64 v[46:47], v[38:39], v[46:47], s[50:51]
	v_fma_f64 v[36:37], v[33:34], v[36:37], s[40:41]
	v_fma_f64 v[7:8], v[38:39], v[42:43], -v[7:8]
	v_mul_f64 v[38:39], v[40:41], v[40:41]
	v_fma_f64 v[42:43], v[40:41], v[50:51], s[50:51]
	v_fma_f64 v[50:51], v[25:26], -v[27:28], v[52:53]
	v_fma_f64 v[27:28], v[40:41], v[44:45], -v[27:28]
	v_fma_f64 v[40:41], v[58:59], v[46:47], v[48:49]
	v_fma_f64 v[36:37], v[33:34], v[36:37], s[42:43]
	;; [unrolled: 1-line block ×3, first 2 shown]
	s_delay_alu instid0(VALU_DEP_4) | instskip(NEXT) | instid1(VALU_DEP_3)
	v_fma_f64 v[27:28], v[66:67], s[80:81], v[27:28]
	v_fma_f64 v[36:37], v[33:34], v[36:37], s[44:45]
	s_delay_alu instid0(VALU_DEP_3) | instskip(NEXT) | instid1(VALU_DEP_3)
	v_add_f64 v[5:6], v[5:6], -v[7:8]
	v_add_f64 v[25:26], v[25:26], -v[27:28]
	s_delay_alu instid0(VALU_DEP_3) | instskip(NEXT) | instid1(VALU_DEP_3)
	v_fma_f64 v[36:37], v[33:34], v[36:37], s[46:47]
	v_xor_b32_e32 v6, 0x80000000, v6
	s_delay_alu instid0(VALU_DEP_2) | instskip(NEXT) | instid1(VALU_DEP_1)
	v_fma_f64 v[36:37], v[33:34], v[36:37], s[76:77]
	v_fma_f64 v[36:37], v[33:34], v[36:37], s[78:79]
	s_delay_alu instid0(VALU_DEP_1) | instskip(NEXT) | instid1(VALU_DEP_1)
	v_fma_f64 v[36:37], v[33:34], v[36:37], s[52:53]
	v_fma_f64 v[36:37], v[33:34], v[36:37], s[54:55]
	s_delay_alu instid0(VALU_DEP_1) | instskip(NEXT) | instid1(VALU_DEP_1)
	v_fma_f64 v[36:37], v[33:34], v[36:37], 1.0
	v_fma_f64 v[31:32], v[33:34], v[36:37], 1.0
	v_fma_f64 v[33:34], v[38:39], v[42:43], v[50:51]
	v_add_f64 v[36:37], v[54:55], v[40:41]
	s_delay_alu instid0(VALU_DEP_3) | instskip(NEXT) | instid1(VALU_DEP_3)
	v_ldexp_f64 v[7:8], v[31:32], v22
	v_add_f64 v[31:32], v[56:57], v[33:34]
	v_and_b32_e32 v22, 1, v29
	s_delay_alu instid0(VALU_DEP_1) | instskip(SKIP_2) | instid1(VALU_DEP_2)
	v_cmp_eq_u32_e32 vcc_lo, 0, v22
	v_dual_cndmask_b32 v6, v6, v37 :: v_dual_lshlrev_b32 v13, 30, v30
	v_cndmask_b32_e32 v5, v5, v36, vcc_lo
	v_xor_b32_e32 v13, v13, v16
	s_and_b32 vcc_lo, s4, s3
	v_lshlrev_b32_e32 v14, 30, v29
	s_delay_alu instid0(VALU_DEP_3) | instskip(NEXT) | instid1(VALU_DEP_3)
	v_cndmask_b32_e64 v5, 0, v5, s2
	v_and_b32_e32 v13, 0x80000000, v13
	v_cndmask_b32_e32 v7, 0, v7, vcc_lo
	v_cndmask_b32_e64 v8, 0x7ff00000, v8, s3
	v_and_b32_e32 v14, 0x80000000, v14
	v_cndmask_b32_e64 v16, v32, v26, s5
	v_cndmask_b32_e64 v15, v31, v25, s5
	s_delay_alu instid0(VALU_DEP_4) | instskip(NEXT) | instid1(VALU_DEP_4)
	v_cndmask_b32_e64 v22, 0, v8, s4
	v_xor_b32_e32 v6, v6, v14
	s_delay_alu instid0(VALU_DEP_4) | instskip(NEXT) | instid1(VALU_DEP_4)
	v_xor_b32_e32 v14, v16, v13
	v_cndmask_b32_e64 v13, 0, v15, s2
	s_delay_alu instid0(VALU_DEP_4) | instskip(NEXT) | instid1(VALU_DEP_4)
	v_and_or_b32 v8, v22, s89, 0x7fe00000
	v_cndmask_b32_e64 v6, 0x7ff80000, v6, s2
	s_delay_alu instid0(VALU_DEP_4) | instskip(NEXT) | instid1(VALU_DEP_2)
	v_cndmask_b32_e64 v14, 0x7ff80000, v14, s2
	v_mul_f64 v[5:6], v[7:8], v[5:6]
	s_delay_alu instid0(VALU_DEP_2) | instskip(SKIP_1) | instid1(VALU_DEP_1)
	v_mul_f64 v[7:8], v[7:8], v[13:14]
	v_lshrrev_b32_e32 v13, 20, v22
	v_add_nc_u32_e32 v13, 0xffffff09, v13
	s_delay_alu instid0(VALU_DEP_1) | instskip(NEXT) | instid1(VALU_DEP_1)
	v_lshrrev_b16 v14, 15, v13
	v_add_nc_u16 v14, v13, v14
	s_delay_alu instid0(VALU_DEP_1) | instskip(NEXT) | instid1(VALU_DEP_1)
	v_ashrrev_i16 v14, 1, v14
	v_bfe_i32 v14, v14, 0, 16
	s_delay_alu instid0(VALU_DEP_1) | instskip(SKIP_2) | instid1(VALU_DEP_2)
	v_lshl_add_u32 v22, v14, 20, 0x3ff00000
	v_sub_nc_u32_e32 v14, v13, v14
	v_mov_b32_e32 v13, v21
	v_lshl_add_u32 v14, v14, 20, 0x3ff00000
	s_delay_alu instid0(VALU_DEP_4) | instskip(SKIP_1) | instid1(VALU_DEP_2)
	v_mul_f64 v[5:6], v[5:6], v[21:22]
	v_mul_f64 v[7:8], v[7:8], v[21:22]
	;; [unrolled: 1-line block ×3, first 2 shown]
	s_delay_alu instid0(VALU_DEP_2)
	v_mul_f64 v[7:8], v[7:8], v[13:14]
	s_or_b32 exec_lo, exec_lo, s93
                                        ; implicit-def: $vgpr13_vgpr14
                                        ; implicit-def: $vgpr22
.LBB132_28:                             ;   in Loop: Header=BB132_4 Depth=1
	s_and_not1_saveexec_b32 s3, s92
	s_cbranch_execz .LBB132_34
.LBB132_29:                             ;   in Loop: Header=BB132_4 Depth=1
	v_add_f64 v[7:8], v[15:16], -v[15:16]
	v_cmp_ne_u32_e32 vcc_lo, 0, v13
	v_cmp_ne_u32_e64 s2, 0x7ff00000, v22
	s_delay_alu instid0(VALU_DEP_1) | instskip(NEXT) | instid1(SALU_CYCLE_1)
	s_or_b32 s2, vcc_lo, s2
	s_and_saveexec_b32 s4, s2
	s_delay_alu instid0(SALU_CYCLE_1)
	s_xor_b32 s2, exec_lo, s4
; %bb.30:                               ;   in Loop: Header=BB132_4 Depth=1
                                        ; implicit-def: $vgpr13_vgpr14
; %bb.31:                               ;   in Loop: Header=BB132_4 Depth=1
	s_delay_alu instid0(SALU_CYCLE_1) | instskip(NEXT) | instid1(VALU_DEP_3)
	s_or_saveexec_b32 s2, s2
	v_dual_mov_b32 v5, v7 :: v_dual_mov_b32 v6, v8
	s_xor_b32 exec_lo, exec_lo, s2
; %bb.32:                               ;   in Loop: Header=BB132_4 Depth=1
	v_cmp_lt_i64_e32 vcc_lo, -1, v[13:14]
	v_dual_cndmask_b32 v6, 0, v14 :: v_dual_cndmask_b32 v5, 0, v13
	v_dual_cndmask_b32 v8, 0, v8 :: v_dual_cndmask_b32 v7, 0, v7
; %bb.33:                               ;   in Loop: Header=BB132_4 Depth=1
	s_or_b32 exec_lo, exec_lo, s2
.LBB132_34:                             ;   in Loop: Header=BB132_4 Depth=1
	s_delay_alu instid0(SALU_CYCLE_1)
	s_or_b32 exec_lo, exec_lo, s3
                                        ; implicit-def: $vgpr15_vgpr16
.LBB132_35:                             ;   in Loop: Header=BB132_4 Depth=1
	s_and_not1_saveexec_b32 s4, s91
	s_cbranch_execz .LBB132_45
; %bb.36:                               ;   in Loop: Header=BB132_4 Depth=1
	v_cmp_ngt_f64_e64 s3, 0x41d00000, |v[15:16]|
	v_trig_preop_f64 v[27:28], |v[15:16]|, 0
	v_trig_preop_f64 v[25:26], |v[15:16]|, 1
	v_ldexp_f64 v[29:30], |v[15:16]|, 0xffffff80
	v_trig_preop_f64 v[13:14], |v[15:16]|, 2
	v_and_b32_e32 v37, 0x7fffffff, v16
                                        ; implicit-def: $vgpr36
                                        ; implicit-def: $vgpr5_vgpr6
                                        ; implicit-def: $vgpr7_vgpr8
	s_and_saveexec_b32 s2, s3
	s_delay_alu instid0(SALU_CYCLE_1)
	s_xor_b32 s5, exec_lo, s2
	s_cbranch_execz .LBB132_38
; %bb.37:                               ;   in Loop: Header=BB132_4 Depth=1
	v_cmp_le_f64_e64 vcc_lo, 0x7b000000, |v[15:16]|
	s_mov_b32 s12, s14
	s_mov_b32 s21, s19
	s_delay_alu instid0(VALU_DEP_4) | instskip(NEXT) | instid1(VALU_DEP_1)
	v_dual_cndmask_b32 v6, v37, v30 :: v_dual_cndmask_b32 v5, v15, v29
	v_mul_f64 v[7:8], v[27:28], v[5:6]
	v_mul_f64 v[31:32], v[25:26], v[5:6]
	;; [unrolled: 1-line block ×3, first 2 shown]
	s_delay_alu instid0(VALU_DEP_3) | instskip(NEXT) | instid1(VALU_DEP_3)
	v_fma_f64 v[33:34], v[27:28], v[5:6], -v[7:8]
	v_fma_f64 v[48:49], v[25:26], v[5:6], -v[31:32]
	s_delay_alu instid0(VALU_DEP_3) | instskip(NEXT) | instid1(VALU_DEP_3)
	v_fma_f64 v[5:6], v[13:14], v[5:6], -v[46:47]
	v_add_f64 v[38:39], v[31:32], v[33:34]
	s_delay_alu instid0(VALU_DEP_1) | instskip(SKIP_1) | instid1(VALU_DEP_2)
	v_add_f64 v[40:41], v[38:39], -v[31:32]
	v_add_f64 v[44:45], v[7:8], v[38:39]
	v_add_f64 v[42:43], v[38:39], -v[40:41]
	v_add_f64 v[33:34], v[33:34], -v[40:41]
	s_delay_alu instid0(VALU_DEP_3) | instskip(SKIP_1) | instid1(VALU_DEP_4)
	v_ldexp_f64 v[40:41], v[44:45], -2
	v_add_f64 v[7:8], v[44:45], -v[7:8]
	v_add_f64 v[31:32], v[31:32], -v[42:43]
	v_add_f64 v[42:43], v[46:47], v[48:49]
	s_delay_alu instid0(VALU_DEP_4) | instskip(NEXT) | instid1(VALU_DEP_4)
	v_cmp_neq_f64_e64 vcc_lo, 0x7ff00000, |v[40:41]|
	v_add_f64 v[7:8], v[38:39], -v[7:8]
	s_delay_alu instid0(VALU_DEP_4) | instskip(SKIP_1) | instid1(VALU_DEP_2)
	v_add_f64 v[31:32], v[33:34], v[31:32]
	v_fract_f64_e32 v[33:34], v[40:41]
	v_add_f64 v[38:39], v[42:43], v[31:32]
	s_delay_alu instid0(VALU_DEP_2) | instskip(NEXT) | instid1(VALU_DEP_1)
	v_dual_cndmask_b32 v34, 0, v34 :: v_dual_cndmask_b32 v33, 0, v33
	v_ldexp_f64 v[33:34], v[33:34], 2
	s_delay_alu instid0(VALU_DEP_3) | instskip(SKIP_1) | instid1(VALU_DEP_2)
	v_add_f64 v[40:41], v[7:8], v[38:39]
	v_add_f64 v[50:51], v[38:39], -v[42:43]
	v_add_f64 v[44:45], v[40:41], v[33:34]
	s_delay_alu instid0(VALU_DEP_2) | instskip(SKIP_2) | instid1(VALU_DEP_4)
	v_add_f64 v[56:57], v[38:39], -v[50:51]
	v_add_f64 v[31:32], v[31:32], -v[50:51]
	;; [unrolled: 1-line block ×3, first 2 shown]
	v_cmp_gt_f64_e32 vcc_lo, 0, v[44:45]
	v_add_f64 v[44:45], v[42:43], -v[46:47]
	s_delay_alu instid0(VALU_DEP_3) | instskip(SKIP_1) | instid1(VALU_DEP_3)
	v_add_f64 v[7:8], v[38:39], -v[7:8]
	v_cndmask_b32_e64 v22, 0, 0x40100000, vcc_lo
	v_add_f64 v[54:55], v[42:43], -v[44:45]
	v_add_f64 v[44:45], v[48:49], -v[44:45]
	;; [unrolled: 1-line block ×3, first 2 shown]
	s_delay_alu instid0(VALU_DEP_4) | instskip(NEXT) | instid1(VALU_DEP_4)
	v_add_f64 v[33:34], v[33:34], v[21:22]
	v_add_f64 v[48:49], v[46:47], -v[54:55]
	s_delay_alu instid0(VALU_DEP_3) | instskip(NEXT) | instid1(VALU_DEP_3)
	v_add_f64 v[31:32], v[31:32], v[42:43]
	v_add_f64 v[52:53], v[40:41], v[33:34]
	s_delay_alu instid0(VALU_DEP_3) | instskip(NEXT) | instid1(VALU_DEP_2)
	v_add_f64 v[44:45], v[44:45], v[48:49]
	v_cvt_i32_f64_e32 v22, v[52:53]
	s_delay_alu instid0(VALU_DEP_2) | instskip(NEXT) | instid1(VALU_DEP_2)
	v_add_f64 v[31:32], v[44:45], v[31:32]
	v_cvt_f64_i32_e32 v[50:51], v22
	s_delay_alu instid0(VALU_DEP_2) | instskip(NEXT) | instid1(VALU_DEP_2)
	v_add_f64 v[5:6], v[5:6], v[31:32]
	v_add_f64 v[33:34], v[33:34], -v[50:51]
	s_delay_alu instid0(VALU_DEP_2) | instskip(NEXT) | instid1(VALU_DEP_2)
	v_add_f64 v[5:6], v[7:8], v[5:6]
	v_add_f64 v[42:43], v[40:41], v[33:34]
	s_delay_alu instid0(VALU_DEP_1) | instskip(SKIP_1) | instid1(VALU_DEP_2)
	v_add_f64 v[31:32], v[42:43], -v[33:34]
	v_cmp_le_f64_e32 vcc_lo, 0.5, v[42:43]
	v_add_f64 v[7:8], v[40:41], -v[31:32]
	v_add_co_ci_u32_e64 v36, s2, 0, v22, vcc_lo
	v_cndmask_b32_e64 v22, 0, 0x3ff00000, vcc_lo
	s_delay_alu instid0(VALU_DEP_3) | instskip(NEXT) | instid1(VALU_DEP_2)
	v_add_f64 v[5:6], v[5:6], v[7:8]
	v_add_f64 v[7:8], v[42:43], -v[21:22]
	s_delay_alu instid0(VALU_DEP_1) | instskip(NEXT) | instid1(VALU_DEP_1)
	v_add_f64 v[31:32], v[7:8], v[5:6]
	v_mul_f64 v[33:34], v[31:32], s[12:13]
	v_add_f64 v[7:8], v[31:32], -v[7:8]
	s_delay_alu instid0(VALU_DEP_2) | instskip(NEXT) | instid1(VALU_DEP_2)
	v_fma_f64 v[38:39], v[31:32], s[12:13], -v[33:34]
	v_add_f64 v[5:6], v[5:6], -v[7:8]
	s_delay_alu instid0(VALU_DEP_2) | instskip(NEXT) | instid1(VALU_DEP_1)
	v_fma_f64 v[7:8], v[31:32], s[20:21], v[38:39]
	v_fma_f64 v[7:8], v[5:6], s[12:13], v[7:8]
	s_delay_alu instid0(VALU_DEP_1) | instskip(NEXT) | instid1(VALU_DEP_1)
	v_add_f64 v[5:6], v[33:34], v[7:8]
	v_add_f64 v[31:32], v[5:6], -v[33:34]
	s_delay_alu instid0(VALU_DEP_1)
	v_add_f64 v[7:8], v[7:8], -v[31:32]
	s_and_not1_saveexec_b32 s2, s5
	s_cbranch_execz .LBB132_40
	s_branch .LBB132_39
.LBB132_38:                             ;   in Loop: Header=BB132_4 Depth=1
	s_and_not1_saveexec_b32 s2, s5
	s_cbranch_execz .LBB132_40
.LBB132_39:                             ;   in Loop: Header=BB132_4 Depth=1
	v_mul_f64 v[5:6], |v[15:16]|, s[22:23]
	s_mov_b32 s18, s24
	s_delay_alu instid0(VALU_DEP_1) | instskip(NEXT) | instid1(VALU_DEP_1)
	v_rndne_f64_e32 v[31:32], v[5:6]
	v_fma_f64 v[5:6], v[31:32], s[14:15], |v[15:16]|
	v_mul_f64 v[7:8], v[31:32], s[24:25]
	v_cvt_i32_f64_e32 v36, v[31:32]
	s_delay_alu instid0(VALU_DEP_3) | instskip(NEXT) | instid1(VALU_DEP_3)
	v_fma_f64 v[38:39], v[31:32], s[24:25], v[5:6]
	v_add_f64 v[33:34], v[5:6], v[7:8]
	s_delay_alu instid0(VALU_DEP_1) | instskip(NEXT) | instid1(VALU_DEP_3)
	v_add_f64 v[5:6], v[5:6], -v[33:34]
	v_add_f64 v[33:34], v[33:34], -v[38:39]
	s_delay_alu instid0(VALU_DEP_2) | instskip(SKIP_1) | instid1(VALU_DEP_2)
	v_add_f64 v[5:6], v[5:6], v[7:8]
	v_fma_f64 v[7:8], v[31:32], s[18:19], v[7:8]
	v_add_f64 v[5:6], v[33:34], v[5:6]
	s_delay_alu instid0(VALU_DEP_1) | instskip(NEXT) | instid1(VALU_DEP_1)
	v_add_f64 v[5:6], v[5:6], -v[7:8]
	v_fma_f64 v[7:8], v[31:32], s[26:27], v[5:6]
	s_delay_alu instid0(VALU_DEP_1) | instskip(NEXT) | instid1(VALU_DEP_1)
	v_add_f64 v[5:6], v[38:39], v[7:8]
	v_add_f64 v[33:34], v[5:6], -v[38:39]
	s_delay_alu instid0(VALU_DEP_1)
	v_add_f64 v[7:8], v[7:8], -v[33:34]
.LBB132_40:                             ;   in Loop: Header=BB132_4 Depth=1
	s_or_b32 exec_lo, exec_lo, s2
                                        ; implicit-def: $vgpr38
                                        ; implicit-def: $vgpr31_vgpr32
                                        ; implicit-def: $vgpr33_vgpr34
	s_and_saveexec_b32 s2, s3
	s_delay_alu instid0(SALU_CYCLE_1)
	s_xor_b32 s3, exec_lo, s2
	s_cbranch_execz .LBB132_42
; %bb.41:                               ;   in Loop: Header=BB132_4 Depth=1
	v_cmp_le_f64_e64 vcc_lo, 0x7b000000, |v[15:16]|
	s_mov_b32 s12, s14
	s_mov_b32 s21, s19
	s_delay_alu instid0(VALU_DEP_4) | instskip(NEXT) | instid1(VALU_DEP_1)
	v_dual_cndmask_b32 v30, v37, v30 :: v_dual_cndmask_b32 v29, v15, v29
	v_mul_f64 v[31:32], v[27:28], v[29:30]
	v_mul_f64 v[33:34], v[25:26], v[29:30]
	;; [unrolled: 1-line block ×3, first 2 shown]
	s_delay_alu instid0(VALU_DEP_3) | instskip(NEXT) | instid1(VALU_DEP_3)
	v_fma_f64 v[27:28], v[27:28], v[29:30], -v[31:32]
	v_fma_f64 v[25:26], v[25:26], v[29:30], -v[33:34]
	s_delay_alu instid0(VALU_DEP_3) | instskip(NEXT) | instid1(VALU_DEP_3)
	v_fma_f64 v[13:14], v[13:14], v[29:30], -v[45:46]
	v_add_f64 v[37:38], v[33:34], v[27:28]
	s_delay_alu instid0(VALU_DEP_1) | instskip(SKIP_1) | instid1(VALU_DEP_2)
	v_add_f64 v[39:40], v[37:38], -v[33:34]
	v_add_f64 v[43:44], v[31:32], v[37:38]
	v_add_f64 v[41:42], v[37:38], -v[39:40]
	v_add_f64 v[27:28], v[27:28], -v[39:40]
	s_delay_alu instid0(VALU_DEP_3) | instskip(SKIP_1) | instid1(VALU_DEP_4)
	v_ldexp_f64 v[39:40], v[43:44], -2
	v_add_f64 v[31:32], v[43:44], -v[31:32]
	v_add_f64 v[33:34], v[33:34], -v[41:42]
	v_add_f64 v[41:42], v[45:46], v[25:26]
	s_delay_alu instid0(VALU_DEP_4) | instskip(NEXT) | instid1(VALU_DEP_4)
	v_cmp_neq_f64_e64 vcc_lo, 0x7ff00000, |v[39:40]|
	v_add_f64 v[31:32], v[37:38], -v[31:32]
	s_delay_alu instid0(VALU_DEP_4) | instskip(SKIP_1) | instid1(VALU_DEP_2)
	v_add_f64 v[27:28], v[27:28], v[33:34]
	v_fract_f64_e32 v[33:34], v[39:40]
	v_add_f64 v[37:38], v[41:42], v[27:28]
	s_delay_alu instid0(VALU_DEP_2) | instskip(NEXT) | instid1(VALU_DEP_1)
	v_dual_cndmask_b32 v34, 0, v34 :: v_dual_cndmask_b32 v33, 0, v33
	v_ldexp_f64 v[33:34], v[33:34], 2
	s_delay_alu instid0(VALU_DEP_3) | instskip(SKIP_1) | instid1(VALU_DEP_2)
	v_add_f64 v[39:40], v[31:32], v[37:38]
	v_add_f64 v[47:48], v[37:38], -v[41:42]
	v_add_f64 v[43:44], v[39:40], v[33:34]
	s_delay_alu instid0(VALU_DEP_2) | instskip(SKIP_2) | instid1(VALU_DEP_4)
	v_add_f64 v[53:54], v[37:38], -v[47:48]
	v_add_f64 v[27:28], v[27:28], -v[47:48]
	;; [unrolled: 1-line block ×3, first 2 shown]
	v_cmp_gt_f64_e32 vcc_lo, 0, v[43:44]
	v_add_f64 v[43:44], v[41:42], -v[45:46]
	s_delay_alu instid0(VALU_DEP_3) | instskip(SKIP_1) | instid1(VALU_DEP_3)
	v_add_f64 v[29:30], v[37:38], -v[29:30]
	v_cndmask_b32_e64 v22, 0, 0x40100000, vcc_lo
	v_add_f64 v[51:52], v[41:42], -v[43:44]
	v_add_f64 v[25:26], v[25:26], -v[43:44]
	;; [unrolled: 1-line block ×3, first 2 shown]
	s_delay_alu instid0(VALU_DEP_4) | instskip(NEXT) | instid1(VALU_DEP_4)
	v_add_f64 v[33:34], v[33:34], v[21:22]
	v_add_f64 v[43:44], v[45:46], -v[51:52]
	s_delay_alu instid0(VALU_DEP_3) | instskip(NEXT) | instid1(VALU_DEP_3)
	v_add_f64 v[27:28], v[27:28], v[41:42]
	v_add_f64 v[49:50], v[39:40], v[33:34]
	s_delay_alu instid0(VALU_DEP_3) | instskip(NEXT) | instid1(VALU_DEP_2)
	v_add_f64 v[25:26], v[25:26], v[43:44]
	v_cvt_i32_f64_e32 v22, v[49:50]
	s_delay_alu instid0(VALU_DEP_2) | instskip(NEXT) | instid1(VALU_DEP_2)
	v_add_f64 v[25:26], v[25:26], v[27:28]
	v_cvt_f64_i32_e32 v[47:48], v22
	s_delay_alu instid0(VALU_DEP_2) | instskip(NEXT) | instid1(VALU_DEP_2)
	v_add_f64 v[13:14], v[13:14], v[25:26]
	v_add_f64 v[33:34], v[33:34], -v[47:48]
	s_delay_alu instid0(VALU_DEP_2) | instskip(NEXT) | instid1(VALU_DEP_2)
	v_add_f64 v[13:14], v[29:30], v[13:14]
	v_add_f64 v[27:28], v[39:40], v[33:34]
	s_delay_alu instid0(VALU_DEP_1) | instskip(SKIP_1) | instid1(VALU_DEP_2)
	v_add_f64 v[25:26], v[27:28], -v[33:34]
	v_cmp_le_f64_e32 vcc_lo, 0.5, v[27:28]
	v_add_f64 v[25:26], v[39:40], -v[25:26]
	v_add_co_ci_u32_e64 v38, s2, 0, v22, vcc_lo
	v_cndmask_b32_e64 v22, 0, 0x3ff00000, vcc_lo
	s_delay_alu instid0(VALU_DEP_3) | instskip(NEXT) | instid1(VALU_DEP_2)
	v_add_f64 v[13:14], v[13:14], v[25:26]
	v_add_f64 v[25:26], v[27:28], -v[21:22]
	s_delay_alu instid0(VALU_DEP_1) | instskip(NEXT) | instid1(VALU_DEP_1)
	v_add_f64 v[27:28], v[25:26], v[13:14]
	v_mul_f64 v[29:30], v[27:28], s[12:13]
	v_add_f64 v[25:26], v[27:28], -v[25:26]
	s_delay_alu instid0(VALU_DEP_2) | instskip(NEXT) | instid1(VALU_DEP_2)
	v_fma_f64 v[31:32], v[27:28], s[12:13], -v[29:30]
	v_add_f64 v[13:14], v[13:14], -v[25:26]
	s_delay_alu instid0(VALU_DEP_2) | instskip(NEXT) | instid1(VALU_DEP_1)
	v_fma_f64 v[25:26], v[27:28], s[20:21], v[31:32]
	v_fma_f64 v[13:14], v[13:14], s[12:13], v[25:26]
	s_delay_alu instid0(VALU_DEP_1) | instskip(NEXT) | instid1(VALU_DEP_1)
	v_add_f64 v[31:32], v[29:30], v[13:14]
	v_add_f64 v[25:26], v[31:32], -v[29:30]
	s_delay_alu instid0(VALU_DEP_1)
	v_add_f64 v[33:34], v[13:14], -v[25:26]
	s_and_not1_saveexec_b32 s2, s3
	s_cbranch_execnz .LBB132_43
	s_branch .LBB132_44
.LBB132_42:                             ;   in Loop: Header=BB132_4 Depth=1
	s_and_not1_saveexec_b32 s2, s3
	s_cbranch_execz .LBB132_44
.LBB132_43:                             ;   in Loop: Header=BB132_4 Depth=1
	v_mul_f64 v[13:14], |v[15:16]|, s[22:23]
	s_mov_b32 s18, s24
	s_delay_alu instid0(VALU_DEP_1) | instskip(NEXT) | instid1(VALU_DEP_1)
	v_rndne_f64_e32 v[13:14], v[13:14]
	v_fma_f64 v[25:26], v[13:14], s[14:15], |v[15:16]|
	v_mul_f64 v[27:28], v[13:14], s[24:25]
	v_cvt_i32_f64_e32 v38, v[13:14]
	s_delay_alu instid0(VALU_DEP_3) | instskip(NEXT) | instid1(VALU_DEP_3)
	v_fma_f64 v[33:34], v[13:14], s[24:25], v[25:26]
	v_add_f64 v[29:30], v[25:26], v[27:28]
	s_delay_alu instid0(VALU_DEP_1) | instskip(NEXT) | instid1(VALU_DEP_3)
	v_add_f64 v[25:26], v[25:26], -v[29:30]
	v_add_f64 v[29:30], v[29:30], -v[33:34]
	s_delay_alu instid0(VALU_DEP_2) | instskip(SKIP_1) | instid1(VALU_DEP_2)
	v_add_f64 v[25:26], v[25:26], v[27:28]
	v_fma_f64 v[27:28], v[13:14], s[18:19], v[27:28]
	v_add_f64 v[25:26], v[29:30], v[25:26]
	s_delay_alu instid0(VALU_DEP_1) | instskip(NEXT) | instid1(VALU_DEP_1)
	v_add_f64 v[25:26], v[25:26], -v[27:28]
	v_fma_f64 v[25:26], v[13:14], s[26:27], v[25:26]
	s_delay_alu instid0(VALU_DEP_1) | instskip(NEXT) | instid1(VALU_DEP_1)
	v_add_f64 v[31:32], v[33:34], v[25:26]
	v_add_f64 v[27:28], v[31:32], -v[33:34]
	s_delay_alu instid0(VALU_DEP_1)
	v_add_f64 v[33:34], v[25:26], -v[27:28]
.LBB132_44:                             ;   in Loop: Header=BB132_4 Depth=1
	s_or_b32 exec_lo, exec_lo, s2
	v_mul_f64 v[13:14], v[5:6], v[5:6]
	v_mul_f64 v[25:26], v[31:32], v[31:32]
	s_delay_alu instid0(VALU_DEP_3) | instskip(NEXT) | instid1(VALU_DEP_4)
	v_mul_f64 v[51:52], v[7:8], 0.5
	v_mul_f64 v[57:58], v[33:34], 0.5
	s_mov_b32 s80, s50
	v_cmp_class_f64_e64 s2, v[15:16], 0x1f8
	v_fma_f64 v[27:28], v[13:14], s[68:69], s[66:67]
	v_fma_f64 v[29:30], v[25:26], s[68:69], s[66:67]
	v_mul_f64 v[41:42], v[13:14], 0.5
	v_fma_f64 v[39:40], v[13:14], s[58:59], s[56:57]
	v_fma_f64 v[43:44], v[25:26], s[58:59], s[56:57]
	v_mul_f64 v[45:46], v[25:26], 0.5
	v_mul_f64 v[53:54], v[5:6], -v[13:14]
	v_mul_f64 v[59:60], v[31:32], -v[25:26]
	v_fma_f64 v[27:28], v[13:14], v[27:28], s[70:71]
	v_fma_f64 v[29:30], v[25:26], v[29:30], s[70:71]
	v_add_f64 v[47:48], -v[41:42], 1.0
	v_fma_f64 v[39:40], v[13:14], v[39:40], s[60:61]
	v_fma_f64 v[43:44], v[25:26], v[43:44], s[60:61]
	v_add_f64 v[49:50], -v[45:46], 1.0
	;; [unrolled: 3-line block ×4, first 2 shown]
	v_fma_f64 v[27:28], v[13:14], v[27:28], s[48:49]
	v_fma_f64 v[29:30], v[25:26], v[29:30], s[48:49]
	v_add_f64 v[41:42], v[55:56], -v[41:42]
	v_fma_f64 v[39:40], v[13:14], v[39:40], s[64:65]
	v_fma_f64 v[43:44], v[25:26], v[43:44], s[64:65]
	v_add_f64 v[45:46], v[61:62], -v[45:46]
	v_fma_f64 v[27:28], v[53:54], v[27:28], v[51:52]
	v_fma_f64 v[29:30], v[59:60], v[29:30], v[57:58]
	v_fma_f64 v[41:42], v[5:6], -v[7:8], v[41:42]
	v_mul_f64 v[51:52], v[13:14], v[13:14]
	v_fma_f64 v[39:40], v[13:14], v[39:40], s[50:51]
	v_fma_f64 v[7:8], v[13:14], v[27:28], -v[7:8]
	v_mul_f64 v[13:14], v[25:26], v[25:26]
	v_fma_f64 v[27:28], v[25:26], v[43:44], s[50:51]
	v_fma_f64 v[43:44], v[31:32], -v[33:34], v[45:46]
	v_fma_f64 v[25:26], v[25:26], v[29:30], -v[33:34]
	v_fma_f64 v[29:30], v[51:52], v[39:40], v[41:42]
	v_fma_f64 v[7:8], v[53:54], s[80:81], v[7:8]
	s_delay_alu instid0(VALU_DEP_4) | instskip(NEXT) | instid1(VALU_DEP_4)
	v_fma_f64 v[13:14], v[13:14], v[27:28], v[43:44]
	v_fma_f64 v[25:26], v[59:60], s[80:81], v[25:26]
	s_delay_alu instid0(VALU_DEP_4) | instskip(NEXT) | instid1(VALU_DEP_4)
	v_add_f64 v[27:28], v[47:48], v[29:30]
	v_add_f64 v[5:6], v[5:6], -v[7:8]
	v_and_b32_e32 v22, 1, v36
	v_add_f64 v[7:8], v[49:50], v[13:14]
	v_add_f64 v[13:14], v[31:32], -v[25:26]
	v_lshlrev_b32_e32 v25, 30, v36
	s_delay_alu instid0(VALU_DEP_4) | instskip(SKIP_1) | instid1(VALU_DEP_1)
	v_cmp_eq_u32_e32 vcc_lo, 0, v22
	v_and_b32_e32 v22, 1, v38
	v_cmp_eq_u32_e64 s3, 0, v22
	v_cndmask_b32_e32 v5, v5, v27, vcc_lo
	v_xor_b32_e32 v6, 0x80000000, v6
	v_lshlrev_b32_e32 v15, 30, v38
	s_delay_alu instid0(VALU_DEP_4) | instskip(SKIP_1) | instid1(VALU_DEP_4)
	v_cndmask_b32_e64 v8, v8, v14, s3
	v_cndmask_b32_e64 v7, v7, v13, s3
	v_cndmask_b32_e32 v6, v6, v28, vcc_lo
	s_delay_alu instid0(VALU_DEP_4) | instskip(SKIP_3) | instid1(VALU_DEP_4)
	v_xor_b32_e32 v15, v15, v16
	v_and_b32_e32 v16, 0x80000000, v25
	v_cndmask_b32_e64 v5, 0, v5, s2
	v_cndmask_b32_e64 v7, 0, v7, s2
	v_and_b32_e32 v15, 0x80000000, v15
	s_delay_alu instid0(VALU_DEP_4) | instskip(NEXT) | instid1(VALU_DEP_2)
	v_xor_b32_e32 v6, v6, v16
	v_xor_b32_e32 v8, v8, v15
	s_delay_alu instid0(VALU_DEP_2) | instskip(NEXT) | instid1(VALU_DEP_2)
	v_cndmask_b32_e64 v6, 0x7ff80000, v6, s2
	v_cndmask_b32_e64 v8, 0x7ff80000, v8, s2
.LBB132_45:                             ;   in Loop: Header=BB132_4 Depth=1
	s_or_b32 exec_lo, exec_lo, s4
                                        ; implicit-def: $vgpr13_vgpr14
.LBB132_46:                             ;   in Loop: Header=BB132_4 Depth=1
	s_and_not1_saveexec_b32 s3, s90
	s_cbranch_execz .LBB132_48
; %bb.47:                               ;   in Loop: Header=BB132_4 Depth=1
	v_mul_f64 v[5:6], v[13:14], s[28:29]
	s_mov_b32 s77, s49
	s_mov_b32 s79, s51
	v_cmp_nlt_f64_e32 vcc_lo, 0x40900000, v[13:14]
	v_cmp_ngt_f64_e64 s2, 0xc090cc00, v[13:14]
	s_delay_alu instid0(VALU_DEP_3) | instskip(NEXT) | instid1(VALU_DEP_1)
	v_rndne_f64_e32 v[5:6], v[5:6]
	v_fma_f64 v[7:8], v[5:6], s[30:31], v[13:14]
	v_cvt_i32_f64_e32 v22, v[5:6]
	s_delay_alu instid0(VALU_DEP_2) | instskip(NEXT) | instid1(VALU_DEP_1)
	v_fma_f64 v[7:8], v[5:6], s[34:35], v[7:8]
	v_fma_f64 v[25:26], v[7:8], s[38:39], s[36:37]
	s_delay_alu instid0(VALU_DEP_1) | instskip(NEXT) | instid1(VALU_DEP_1)
	v_fma_f64 v[25:26], v[7:8], v[25:26], s[40:41]
	v_fma_f64 v[25:26], v[7:8], v[25:26], s[42:43]
	s_delay_alu instid0(VALU_DEP_1) | instskip(NEXT) | instid1(VALU_DEP_1)
	;; [unrolled: 3-line block ×5, first 2 shown]
	v_fma_f64 v[25:26], v[7:8], v[25:26], 1.0
	v_fma_f64 v[5:6], v[7:8], v[25:26], 1.0
	v_dual_mov_b32 v7, v15 :: v_dual_mov_b32 v8, v16
	s_delay_alu instid0(VALU_DEP_2) | instskip(NEXT) | instid1(VALU_DEP_1)
	v_ldexp_f64 v[5:6], v[5:6], v22
	v_cndmask_b32_e32 v6, 0x7ff00000, v6, vcc_lo
	s_and_b32 vcc_lo, s2, vcc_lo
	s_delay_alu instid0(VALU_DEP_2) | instskip(NEXT) | instid1(VALU_DEP_2)
	v_cndmask_b32_e32 v5, 0, v5, vcc_lo
	v_cndmask_b32_e64 v6, 0, v6, s2
.LBB132_48:                             ;   in Loop: Header=BB132_4 Depth=1
	s_or_b32 exec_lo, exec_lo, s3
	s_waitcnt vmcnt(2)
	v_and_b32_e32 v13, 0x7fffffff, v20
                                        ; implicit-def: $vgpr15_vgpr16
	s_mov_b32 s2, exec_lo
	s_delay_alu instid0(VALU_DEP_1) | instskip(NEXT) | instid1(VALU_DEP_1)
	v_or_b32_e32 v14, v13, v19
	v_cmpx_ne_u32_e32 0, v14
	s_xor_b32 s90, exec_lo, s2
	s_cbranch_execz .LBB132_90
; %bb.49:                               ;   in Loop: Header=BB132_4 Depth=1
	v_and_b32_e32 v22, 0x7fffffff, v18
                                        ; implicit-def: $vgpr15_vgpr16
	s_mov_b32 s2, exec_lo
	s_delay_alu instid0(VALU_DEP_1) | instskip(NEXT) | instid1(VALU_DEP_1)
	v_or_b32_e32 v14, v22, v17
	v_cmpx_ne_u32_e32 0, v14
	s_xor_b32 s91, exec_lo, s2
	s_cbranch_execz .LBB132_79
; %bb.50:                               ;   in Loop: Header=BB132_4 Depth=1
                                        ; implicit-def: $vgpr15_vgpr16
	s_mov_b32 s2, exec_lo
	v_cmpx_gt_u32_e32 0x7ff00000, v13
	s_xor_b32 s92, exec_lo, s2
	s_cbranch_execz .LBB132_72
; %bb.51:                               ;   in Loop: Header=BB132_4 Depth=1
	v_add_nc_u32_e32 v13, 0xbf79d1be, v18
                                        ; implicit-def: $vgpr15_vgpr16
	s_mov_b32 s2, exec_lo
	s_delay_alu instid0(VALU_DEP_1)
	v_cmpx_lt_u32_e32 0x108aa2, v13
	s_xor_b32 s93, exec_lo, s2
	s_cbranch_execz .LBB132_61
; %bb.52:                               ;   in Loop: Header=BB132_4 Depth=1
	v_cmp_ngt_f64_e64 s3, 0x41d00000, |v[19:20]|
                                        ; implicit-def: $vgpr29
                                        ; implicit-def: $vgpr13_vgpr14
                                        ; implicit-def: $vgpr15_vgpr16
	s_delay_alu instid0(VALU_DEP_1) | instskip(NEXT) | instid1(SALU_CYCLE_1)
	s_and_saveexec_b32 s2, s3
	s_xor_b32 s4, exec_lo, s2
	s_cbranch_execz .LBB132_54
; %bb.53:                               ;   in Loop: Header=BB132_4 Depth=1
	v_ldexp_f64 v[13:14], |v[19:20]|, 0xffffff80
	v_cmp_le_f64_e64 vcc_lo, 0x7b000000, |v[19:20]|
	v_trig_preop_f64 v[15:16], |v[19:20]|, 0
	v_and_b32_e32 v22, 0x7fffffff, v20
	v_trig_preop_f64 v[25:26], |v[19:20]|, 1
	v_trig_preop_f64 v[36:37], |v[19:20]|, 2
	s_mov_b32 s12, s14
	s_mov_b32 s21, s19
	v_dual_cndmask_b32 v13, v19, v13 :: v_dual_cndmask_b32 v14, v22, v14
	s_delay_alu instid0(VALU_DEP_1) | instskip(NEXT) | instid1(VALU_DEP_4)
	v_mul_f64 v[27:28], v[15:16], v[13:14]
	v_mul_f64 v[29:30], v[25:26], v[13:14]
	s_delay_alu instid0(VALU_DEP_2) | instskip(NEXT) | instid1(VALU_DEP_2)
	v_fma_f64 v[15:16], v[15:16], v[13:14], -v[27:28]
	v_fma_f64 v[25:26], v[25:26], v[13:14], -v[29:30]
	s_delay_alu instid0(VALU_DEP_2) | instskip(NEXT) | instid1(VALU_DEP_1)
	v_add_f64 v[31:32], v[29:30], v[15:16]
	v_add_f64 v[33:34], v[31:32], -v[29:30]
	v_add_f64 v[40:41], v[27:28], v[31:32]
	s_delay_alu instid0(VALU_DEP_2) | instskip(SKIP_1) | instid1(VALU_DEP_3)
	v_add_f64 v[38:39], v[31:32], -v[33:34]
	v_add_f64 v[15:16], v[15:16], -v[33:34]
	v_ldexp_f64 v[33:34], v[40:41], -2
	v_add_f64 v[27:28], v[40:41], -v[27:28]
	s_delay_alu instid0(VALU_DEP_4) | instskip(NEXT) | instid1(VALU_DEP_3)
	v_add_f64 v[29:30], v[29:30], -v[38:39]
	v_cmp_neq_f64_e64 vcc_lo, 0x7ff00000, |v[33:34]|
	s_delay_alu instid0(VALU_DEP_3) | instskip(NEXT) | instid1(VALU_DEP_3)
	v_add_f64 v[27:28], v[31:32], -v[27:28]
	v_add_f64 v[15:16], v[15:16], v[29:30]
	v_fract_f64_e32 v[29:30], v[33:34]
	s_delay_alu instid0(VALU_DEP_1) | instskip(SKIP_1) | instid1(VALU_DEP_3)
	v_cndmask_b32_e32 v29, 0, v29, vcc_lo
	v_mul_f64 v[42:43], v[36:37], v[13:14]
	v_cndmask_b32_e32 v30, 0, v30, vcc_lo
	s_delay_alu instid0(VALU_DEP_1) | instskip(NEXT) | instid1(VALU_DEP_3)
	v_ldexp_f64 v[29:30], v[29:30], 2
	v_add_f64 v[38:39], v[42:43], v[25:26]
	v_fma_f64 v[13:14], v[36:37], v[13:14], -v[42:43]
	s_delay_alu instid0(VALU_DEP_2) | instskip(NEXT) | instid1(VALU_DEP_1)
	v_add_f64 v[31:32], v[38:39], v[15:16]
	v_add_f64 v[33:34], v[27:28], v[31:32]
	v_add_f64 v[44:45], v[31:32], -v[38:39]
	s_delay_alu instid0(VALU_DEP_2) | instskip(NEXT) | instid1(VALU_DEP_2)
	v_add_f64 v[40:41], v[33:34], v[29:30]
	v_add_f64 v[50:51], v[31:32], -v[44:45]
	v_add_f64 v[15:16], v[15:16], -v[44:45]
	;; [unrolled: 1-line block ×3, first 2 shown]
	s_delay_alu instid0(VALU_DEP_4) | instskip(SKIP_1) | instid1(VALU_DEP_3)
	v_cmp_gt_f64_e32 vcc_lo, 0, v[40:41]
	v_add_f64 v[40:41], v[38:39], -v[42:43]
	v_add_f64 v[27:28], v[31:32], -v[27:28]
	v_cndmask_b32_e64 v22, 0, 0x40100000, vcc_lo
	s_delay_alu instid0(VALU_DEP_3) | instskip(SKIP_2) | instid1(VALU_DEP_4)
	v_add_f64 v[48:49], v[38:39], -v[40:41]
	v_add_f64 v[25:26], v[25:26], -v[40:41]
	;; [unrolled: 1-line block ×3, first 2 shown]
	v_add_f64 v[29:30], v[29:30], v[21:22]
	s_delay_alu instid0(VALU_DEP_4) | instskip(NEXT) | instid1(VALU_DEP_3)
	v_add_f64 v[40:41], v[42:43], -v[48:49]
	v_add_f64 v[15:16], v[15:16], v[38:39]
	s_delay_alu instid0(VALU_DEP_3) | instskip(NEXT) | instid1(VALU_DEP_3)
	v_add_f64 v[46:47], v[33:34], v[29:30]
	v_add_f64 v[25:26], v[25:26], v[40:41]
	s_delay_alu instid0(VALU_DEP_2) | instskip(NEXT) | instid1(VALU_DEP_2)
	v_cvt_i32_f64_e32 v22, v[46:47]
	v_add_f64 v[15:16], v[25:26], v[15:16]
	s_delay_alu instid0(VALU_DEP_2) | instskip(NEXT) | instid1(VALU_DEP_2)
	v_cvt_f64_i32_e32 v[44:45], v22
	v_add_f64 v[13:14], v[13:14], v[15:16]
	s_delay_alu instid0(VALU_DEP_2) | instskip(NEXT) | instid1(VALU_DEP_2)
	v_add_f64 v[29:30], v[29:30], -v[44:45]
	v_add_f64 v[13:14], v[27:28], v[13:14]
	s_delay_alu instid0(VALU_DEP_2) | instskip(NEXT) | instid1(VALU_DEP_1)
	v_add_f64 v[25:26], v[33:34], v[29:30]
	v_add_f64 v[15:16], v[25:26], -v[29:30]
	v_cmp_le_f64_e32 vcc_lo, 0.5, v[25:26]
	s_delay_alu instid0(VALU_DEP_2) | instskip(SKIP_2) | instid1(VALU_DEP_3)
	v_add_f64 v[15:16], v[33:34], -v[15:16]
	v_add_co_ci_u32_e64 v29, s2, 0, v22, vcc_lo
	v_cndmask_b32_e64 v22, 0, 0x3ff00000, vcc_lo
	v_add_f64 v[13:14], v[13:14], v[15:16]
	s_delay_alu instid0(VALU_DEP_2) | instskip(NEXT) | instid1(VALU_DEP_1)
	v_add_f64 v[15:16], v[25:26], -v[21:22]
	v_add_f64 v[25:26], v[15:16], v[13:14]
	s_delay_alu instid0(VALU_DEP_1) | instskip(SKIP_1) | instid1(VALU_DEP_2)
	v_mul_f64 v[27:28], v[25:26], s[12:13]
	v_add_f64 v[15:16], v[25:26], -v[15:16]
	v_fma_f64 v[30:31], v[25:26], s[12:13], -v[27:28]
	s_delay_alu instid0(VALU_DEP_2) | instskip(NEXT) | instid1(VALU_DEP_2)
	v_add_f64 v[13:14], v[13:14], -v[15:16]
	v_fma_f64 v[15:16], v[25:26], s[20:21], v[30:31]
	s_delay_alu instid0(VALU_DEP_1) | instskip(NEXT) | instid1(VALU_DEP_1)
	v_fma_f64 v[15:16], v[13:14], s[12:13], v[15:16]
	v_add_f64 v[13:14], v[27:28], v[15:16]
	s_delay_alu instid0(VALU_DEP_1) | instskip(NEXT) | instid1(VALU_DEP_1)
	v_add_f64 v[25:26], v[13:14], -v[27:28]
	v_add_f64 v[15:16], v[15:16], -v[25:26]
	s_and_not1_saveexec_b32 s2, s4
	s_cbranch_execz .LBB132_56
	s_branch .LBB132_55
.LBB132_54:                             ;   in Loop: Header=BB132_4 Depth=1
	s_and_not1_saveexec_b32 s2, s4
	s_cbranch_execz .LBB132_56
.LBB132_55:                             ;   in Loop: Header=BB132_4 Depth=1
	v_mul_f64 v[13:14], |v[19:20]|, s[22:23]
	s_mov_b32 s18, s24
	s_delay_alu instid0(VALU_DEP_1) | instskip(NEXT) | instid1(VALU_DEP_1)
	v_rndne_f64_e32 v[25:26], v[13:14]
	v_fma_f64 v[13:14], v[25:26], s[14:15], |v[19:20]|
	v_mul_f64 v[15:16], v[25:26], s[24:25]
	s_delay_alu instid0(VALU_DEP_2) | instskip(NEXT) | instid1(VALU_DEP_2)
	v_fma_f64 v[29:30], v[25:26], s[24:25], v[13:14]
	v_add_f64 v[27:28], v[13:14], v[15:16]
	s_delay_alu instid0(VALU_DEP_1) | instskip(NEXT) | instid1(VALU_DEP_3)
	v_add_f64 v[13:14], v[13:14], -v[27:28]
	v_add_f64 v[27:28], v[27:28], -v[29:30]
	s_delay_alu instid0(VALU_DEP_2) | instskip(SKIP_1) | instid1(VALU_DEP_2)
	v_add_f64 v[13:14], v[13:14], v[15:16]
	v_fma_f64 v[15:16], v[25:26], s[18:19], v[15:16]
	v_add_f64 v[13:14], v[27:28], v[13:14]
	s_delay_alu instid0(VALU_DEP_1) | instskip(NEXT) | instid1(VALU_DEP_1)
	v_add_f64 v[13:14], v[13:14], -v[15:16]
	v_fma_f64 v[15:16], v[25:26], s[26:27], v[13:14]
	s_delay_alu instid0(VALU_DEP_1) | instskip(NEXT) | instid1(VALU_DEP_1)
	v_add_f64 v[13:14], v[29:30], v[15:16]
	v_add_f64 v[27:28], v[13:14], -v[29:30]
	v_cvt_i32_f64_e32 v29, v[25:26]
	s_delay_alu instid0(VALU_DEP_2)
	v_add_f64 v[15:16], v[15:16], -v[27:28]
.LBB132_56:                             ;   in Loop: Header=BB132_4 Depth=1
	s_or_b32 exec_lo, exec_lo, s2
                                        ; implicit-def: $vgpr30
                                        ; implicit-def: $vgpr25_vgpr26
                                        ; implicit-def: $vgpr27_vgpr28
	s_and_saveexec_b32 s2, s3
	s_delay_alu instid0(SALU_CYCLE_1)
	s_xor_b32 s3, exec_lo, s2
	s_cbranch_execz .LBB132_58
; %bb.57:                               ;   in Loop: Header=BB132_4 Depth=1
	v_ldexp_f64 v[25:26], |v[19:20]|, 0xffffff80
	v_cmp_le_f64_e64 vcc_lo, 0x7b000000, |v[19:20]|
	v_trig_preop_f64 v[27:28], |v[19:20]|, 0
	v_and_b32_e32 v22, 0x7fffffff, v20
	v_trig_preop_f64 v[30:31], |v[19:20]|, 1
	v_trig_preop_f64 v[42:43], |v[19:20]|, 2
	s_mov_b32 s12, s14
	s_mov_b32 s21, s19
	v_dual_cndmask_b32 v25, v19, v25 :: v_dual_cndmask_b32 v26, v22, v26
	s_delay_alu instid0(VALU_DEP_1) | instskip(NEXT) | instid1(VALU_DEP_4)
	v_mul_f64 v[32:33], v[27:28], v[25:26]
	v_mul_f64 v[36:37], v[30:31], v[25:26]
	s_delay_alu instid0(VALU_DEP_2) | instskip(NEXT) | instid1(VALU_DEP_2)
	v_fma_f64 v[27:28], v[27:28], v[25:26], -v[32:33]
	v_fma_f64 v[30:31], v[30:31], v[25:26], -v[36:37]
	s_delay_alu instid0(VALU_DEP_2) | instskip(NEXT) | instid1(VALU_DEP_1)
	v_add_f64 v[38:39], v[36:37], v[27:28]
	v_add_f64 v[40:41], v[38:39], -v[36:37]
	v_add_f64 v[46:47], v[32:33], v[38:39]
	s_delay_alu instid0(VALU_DEP_2) | instskip(SKIP_1) | instid1(VALU_DEP_3)
	v_add_f64 v[44:45], v[38:39], -v[40:41]
	v_add_f64 v[27:28], v[27:28], -v[40:41]
	v_ldexp_f64 v[40:41], v[46:47], -2
	v_add_f64 v[32:33], v[46:47], -v[32:33]
	s_delay_alu instid0(VALU_DEP_4) | instskip(NEXT) | instid1(VALU_DEP_3)
	v_add_f64 v[36:37], v[36:37], -v[44:45]
	v_cmp_neq_f64_e64 vcc_lo, 0x7ff00000, |v[40:41]|
	s_delay_alu instid0(VALU_DEP_3) | instskip(NEXT) | instid1(VALU_DEP_3)
	v_add_f64 v[32:33], v[38:39], -v[32:33]
	v_add_f64 v[27:28], v[27:28], v[36:37]
	v_fract_f64_e32 v[36:37], v[40:41]
	s_delay_alu instid0(VALU_DEP_1) | instskip(SKIP_1) | instid1(VALU_DEP_3)
	v_cndmask_b32_e32 v37, 0, v37, vcc_lo
	v_mul_f64 v[48:49], v[42:43], v[25:26]
	v_cndmask_b32_e32 v36, 0, v36, vcc_lo
	s_delay_alu instid0(VALU_DEP_1) | instskip(NEXT) | instid1(VALU_DEP_3)
	v_ldexp_f64 v[36:37], v[36:37], 2
	v_add_f64 v[44:45], v[48:49], v[30:31]
	v_fma_f64 v[25:26], v[42:43], v[25:26], -v[48:49]
	s_delay_alu instid0(VALU_DEP_2) | instskip(NEXT) | instid1(VALU_DEP_1)
	v_add_f64 v[38:39], v[44:45], v[27:28]
	v_add_f64 v[40:41], v[32:33], v[38:39]
	v_add_f64 v[50:51], v[38:39], -v[44:45]
	s_delay_alu instid0(VALU_DEP_2) | instskip(NEXT) | instid1(VALU_DEP_2)
	v_add_f64 v[46:47], v[40:41], v[36:37]
	v_add_f64 v[56:57], v[38:39], -v[50:51]
	v_add_f64 v[27:28], v[27:28], -v[50:51]
	;; [unrolled: 1-line block ×3, first 2 shown]
	s_delay_alu instid0(VALU_DEP_4) | instskip(SKIP_2) | instid1(VALU_DEP_2)
	v_cmp_gt_f64_e32 vcc_lo, 0, v[46:47]
	v_add_f64 v[46:47], v[44:45], -v[48:49]
	v_cndmask_b32_e64 v22, 0, 0x40100000, vcc_lo
	v_add_f64 v[54:55], v[44:45], -v[46:47]
	v_add_f64 v[30:31], v[30:31], -v[46:47]
	;; [unrolled: 1-line block ×3, first 2 shown]
	s_delay_alu instid0(VALU_DEP_4) | instskip(NEXT) | instid1(VALU_DEP_4)
	v_add_f64 v[36:37], v[36:37], v[21:22]
	v_add_f64 v[46:47], v[48:49], -v[54:55]
	s_delay_alu instid0(VALU_DEP_3) | instskip(NEXT) | instid1(VALU_DEP_3)
	v_add_f64 v[27:28], v[27:28], v[44:45]
	v_add_f64 v[52:53], v[40:41], v[36:37]
	s_delay_alu instid0(VALU_DEP_3) | instskip(NEXT) | instid1(VALU_DEP_2)
	v_add_f64 v[30:31], v[30:31], v[46:47]
	v_cvt_i32_f64_e32 v22, v[52:53]
	s_delay_alu instid0(VALU_DEP_2) | instskip(SKIP_1) | instid1(VALU_DEP_3)
	v_add_f64 v[27:28], v[30:31], v[27:28]
	v_add_f64 v[30:31], v[38:39], -v[32:33]
	v_cvt_f64_i32_e32 v[50:51], v22
	s_delay_alu instid0(VALU_DEP_3) | instskip(NEXT) | instid1(VALU_DEP_2)
	v_add_f64 v[25:26], v[25:26], v[27:28]
	v_add_f64 v[36:37], v[36:37], -v[50:51]
	s_delay_alu instid0(VALU_DEP_2) | instskip(NEXT) | instid1(VALU_DEP_2)
	v_add_f64 v[25:26], v[30:31], v[25:26]
	v_add_f64 v[42:43], v[40:41], v[36:37]
	s_delay_alu instid0(VALU_DEP_1) | instskip(SKIP_1) | instid1(VALU_DEP_2)
	v_add_f64 v[27:28], v[42:43], -v[36:37]
	v_cmp_le_f64_e32 vcc_lo, 0.5, v[42:43]
	v_add_f64 v[27:28], v[40:41], -v[27:28]
	v_add_co_ci_u32_e64 v30, s2, 0, v22, vcc_lo
	v_cndmask_b32_e64 v22, 0, 0x3ff00000, vcc_lo
	s_delay_alu instid0(VALU_DEP_3) | instskip(NEXT) | instid1(VALU_DEP_2)
	v_add_f64 v[25:26], v[25:26], v[27:28]
	v_add_f64 v[27:28], v[42:43], -v[21:22]
	s_delay_alu instid0(VALU_DEP_1) | instskip(NEXT) | instid1(VALU_DEP_1)
	v_add_f64 v[31:32], v[27:28], v[25:26]
	v_mul_f64 v[33:34], v[31:32], s[12:13]
	v_add_f64 v[27:28], v[31:32], -v[27:28]
	s_delay_alu instid0(VALU_DEP_2) | instskip(NEXT) | instid1(VALU_DEP_2)
	v_fma_f64 v[36:37], v[31:32], s[12:13], -v[33:34]
	v_add_f64 v[25:26], v[25:26], -v[27:28]
	s_delay_alu instid0(VALU_DEP_2) | instskip(NEXT) | instid1(VALU_DEP_1)
	v_fma_f64 v[27:28], v[31:32], s[20:21], v[36:37]
	v_fma_f64 v[27:28], v[25:26], s[12:13], v[27:28]
	s_delay_alu instid0(VALU_DEP_1) | instskip(NEXT) | instid1(VALU_DEP_1)
	v_add_f64 v[25:26], v[33:34], v[27:28]
	v_add_f64 v[31:32], v[25:26], -v[33:34]
	s_delay_alu instid0(VALU_DEP_1)
	v_add_f64 v[27:28], v[27:28], -v[31:32]
	s_and_not1_saveexec_b32 s2, s3
	s_cbranch_execnz .LBB132_59
	s_branch .LBB132_60
.LBB132_58:                             ;   in Loop: Header=BB132_4 Depth=1
	s_and_not1_saveexec_b32 s2, s3
	s_cbranch_execz .LBB132_60
.LBB132_59:                             ;   in Loop: Header=BB132_4 Depth=1
	v_mul_f64 v[25:26], |v[19:20]|, s[22:23]
	s_mov_b32 s18, s24
	s_delay_alu instid0(VALU_DEP_1) | instskip(NEXT) | instid1(VALU_DEP_1)
	v_rndne_f64_e32 v[30:31], v[25:26]
	v_fma_f64 v[25:26], v[30:31], s[14:15], |v[19:20]|
	v_mul_f64 v[27:28], v[30:31], s[24:25]
	s_delay_alu instid0(VALU_DEP_2) | instskip(NEXT) | instid1(VALU_DEP_2)
	v_fma_f64 v[36:37], v[30:31], s[24:25], v[25:26]
	v_add_f64 v[32:33], v[25:26], v[27:28]
	s_delay_alu instid0(VALU_DEP_1) | instskip(NEXT) | instid1(VALU_DEP_3)
	v_add_f64 v[25:26], v[25:26], -v[32:33]
	v_add_f64 v[32:33], v[32:33], -v[36:37]
	s_delay_alu instid0(VALU_DEP_2) | instskip(SKIP_1) | instid1(VALU_DEP_2)
	v_add_f64 v[25:26], v[25:26], v[27:28]
	v_fma_f64 v[27:28], v[30:31], s[18:19], v[27:28]
	v_add_f64 v[25:26], v[32:33], v[25:26]
	s_delay_alu instid0(VALU_DEP_1) | instskip(NEXT) | instid1(VALU_DEP_1)
	v_add_f64 v[25:26], v[25:26], -v[27:28]
	v_fma_f64 v[27:28], v[30:31], s[26:27], v[25:26]
	v_cvt_i32_f64_e32 v30, v[30:31]
	s_delay_alu instid0(VALU_DEP_2) | instskip(NEXT) | instid1(VALU_DEP_1)
	v_add_f64 v[25:26], v[36:37], v[27:28]
	v_add_f64 v[32:33], v[25:26], -v[36:37]
	s_delay_alu instid0(VALU_DEP_1)
	v_add_f64 v[27:28], v[27:28], -v[32:33]
.LBB132_60:                             ;   in Loop: Header=BB132_4 Depth=1
	s_or_b32 exec_lo, exec_lo, s2
	v_mul_f64 v[31:32], v[17:18], s[28:29]
	v_mul_f64 v[38:39], v[13:14], v[13:14]
	;; [unrolled: 1-line block ×3, first 2 shown]
	s_mov_b32 s77, s49
	s_mov_b32 s79, s51
	s_delay_alu instid0(VALU_DEP_4)
	v_mul_f64 v[58:59], v[15:16], 0.5
	v_mul_f64 v[64:65], v[27:28], 0.5
	s_mov_b32 s80, s50
	v_cmp_nlt_f64_e64 s3, 0x40900000, v[17:18]
	v_cmp_ngt_f64_e64 s4, 0xc090cc00, v[17:18]
	v_cmp_class_f64_e64 s2, v[19:20], 0x1f8
	v_rndne_f64_e32 v[31:32], v[31:32]
	v_fma_f64 v[42:43], v[38:39], s[68:69], s[66:67]
	v_fma_f64 v[44:45], v[40:41], s[68:69], s[66:67]
	v_mul_f64 v[48:49], v[38:39], 0.5
	v_fma_f64 v[46:47], v[38:39], s[58:59], s[56:57]
	v_fma_f64 v[50:51], v[40:41], s[58:59], s[56:57]
	v_mul_f64 v[52:53], v[40:41], 0.5
	v_mul_f64 v[60:61], v[13:14], -v[38:39]
	v_mul_f64 v[66:67], v[25:26], -v[40:41]
	v_fma_f64 v[33:34], v[31:32], s[30:31], v[17:18]
	v_fma_f64 v[42:43], v[38:39], v[42:43], s[70:71]
	;; [unrolled: 1-line block ×3, first 2 shown]
	v_add_f64 v[54:55], -v[48:49], 1.0
	v_fma_f64 v[46:47], v[38:39], v[46:47], s[60:61]
	v_fma_f64 v[50:51], v[40:41], v[50:51], s[60:61]
	v_add_f64 v[56:57], -v[52:53], 1.0
	v_cvt_i32_f64_e32 v22, v[31:32]
	v_and_b32_e32 v18, 1, v30
	s_delay_alu instid0(VALU_DEP_1)
	v_cmp_eq_u32_e64 s5, 0, v18
	v_fma_f64 v[33:34], v[31:32], s[34:35], v[33:34]
	v_fma_f64 v[42:43], v[38:39], v[42:43], s[72:73]
	;; [unrolled: 1-line block ×3, first 2 shown]
	v_add_f64 v[62:63], -v[54:55], 1.0
	v_fma_f64 v[46:47], v[38:39], v[46:47], s[62:63]
	v_fma_f64 v[50:51], v[40:41], v[50:51], s[62:63]
	v_add_f64 v[68:69], -v[56:57], 1.0
	v_fma_f64 v[36:37], v[33:34], s[38:39], s[36:37]
	v_fma_f64 v[42:43], v[38:39], v[42:43], s[48:49]
	;; [unrolled: 1-line block ×3, first 2 shown]
	v_add_f64 v[48:49], v[62:63], -v[48:49]
	v_fma_f64 v[46:47], v[38:39], v[46:47], s[64:65]
	v_fma_f64 v[50:51], v[40:41], v[50:51], s[64:65]
	v_add_f64 v[52:53], v[68:69], -v[52:53]
	v_fma_f64 v[36:37], v[33:34], v[36:37], s[40:41]
	v_fma_f64 v[42:43], v[60:61], v[42:43], v[58:59]
	;; [unrolled: 1-line block ×3, first 2 shown]
	v_fma_f64 v[48:49], v[13:14], -v[15:16], v[48:49]
	v_mul_f64 v[58:59], v[38:39], v[38:39]
	v_fma_f64 v[46:47], v[38:39], v[46:47], s[50:51]
	v_fma_f64 v[36:37], v[33:34], v[36:37], s[42:43]
	v_fma_f64 v[15:16], v[38:39], v[42:43], -v[15:16]
	v_mul_f64 v[38:39], v[40:41], v[40:41]
	v_fma_f64 v[42:43], v[40:41], v[50:51], s[50:51]
	v_fma_f64 v[50:51], v[25:26], -v[27:28], v[52:53]
	v_fma_f64 v[27:28], v[40:41], v[44:45], -v[27:28]
	v_fma_f64 v[40:41], v[58:59], v[46:47], v[48:49]
	v_fma_f64 v[36:37], v[33:34], v[36:37], s[44:45]
	;; [unrolled: 1-line block ×3, first 2 shown]
	s_delay_alu instid0(VALU_DEP_4) | instskip(NEXT) | instid1(VALU_DEP_3)
	v_fma_f64 v[27:28], v[66:67], s[80:81], v[27:28]
	v_fma_f64 v[36:37], v[33:34], v[36:37], s[46:47]
	s_delay_alu instid0(VALU_DEP_3) | instskip(NEXT) | instid1(VALU_DEP_3)
	v_add_f64 v[13:14], v[13:14], -v[15:16]
	v_add_f64 v[25:26], v[25:26], -v[27:28]
	s_delay_alu instid0(VALU_DEP_3) | instskip(NEXT) | instid1(VALU_DEP_3)
	v_fma_f64 v[36:37], v[33:34], v[36:37], s[76:77]
	v_xor_b32_e32 v14, 0x80000000, v14
	s_delay_alu instid0(VALU_DEP_2) | instskip(NEXT) | instid1(VALU_DEP_1)
	v_fma_f64 v[36:37], v[33:34], v[36:37], s[78:79]
	v_fma_f64 v[36:37], v[33:34], v[36:37], s[52:53]
	s_delay_alu instid0(VALU_DEP_1) | instskip(NEXT) | instid1(VALU_DEP_1)
	v_fma_f64 v[36:37], v[33:34], v[36:37], s[54:55]
	v_fma_f64 v[36:37], v[33:34], v[36:37], 1.0
	s_delay_alu instid0(VALU_DEP_1) | instskip(SKIP_2) | instid1(VALU_DEP_3)
	v_fma_f64 v[31:32], v[33:34], v[36:37], 1.0
	v_fma_f64 v[33:34], v[38:39], v[42:43], v[50:51]
	v_add_f64 v[36:37], v[54:55], v[40:41]
	v_ldexp_f64 v[15:16], v[31:32], v22
	s_delay_alu instid0(VALU_DEP_3) | instskip(SKIP_1) | instid1(VALU_DEP_1)
	v_add_f64 v[31:32], v[56:57], v[33:34]
	v_and_b32_e32 v22, 1, v29
	v_cmp_eq_u32_e32 vcc_lo, 0, v22
	v_dual_cndmask_b32 v13, v13, v36 :: v_dual_cndmask_b32 v14, v14, v37
	s_and_b32 vcc_lo, s4, s3
	v_lshlrev_b32_e32 v17, 30, v29
	s_delay_alu instid0(VALU_DEP_2) | instskip(NEXT) | instid1(VALU_DEP_2)
	v_cndmask_b32_e64 v13, 0, v13, s2
	v_and_b32_e32 v17, 0x80000000, v17
	s_delay_alu instid0(VALU_DEP_1) | instskip(NEXT) | instid1(VALU_DEP_1)
	v_xor_b32_e32 v14, v14, v17
	v_cndmask_b32_e64 v14, 0x7ff80000, v14, s2
	v_cndmask_b32_e64 v19, 0x7ff00000, v16, s3
	v_lshlrev_b32_e32 v16, 30, v30
	v_cndmask_b32_e64 v18, v31, v25, s5
	s_delay_alu instid0(VALU_DEP_3) | instskip(NEXT) | instid1(VALU_DEP_3)
	v_cndmask_b32_e64 v19, 0, v19, s4
	v_xor_b32_e32 v16, v16, v20
	v_cndmask_b32_e64 v20, v32, v26, s5
	s_delay_alu instid0(VALU_DEP_2) | instskip(NEXT) | instid1(VALU_DEP_1)
	v_and_b32_e32 v16, 0x80000000, v16
	v_xor_b32_e32 v17, v20, v16
	v_cndmask_b32_e64 v16, 0, v18, s2
	v_cndmask_b32_e32 v18, 0, v15, vcc_lo
	s_delay_alu instid0(VALU_DEP_3) | instskip(NEXT) | instid1(VALU_DEP_2)
	v_cndmask_b32_e64 v17, 0x7ff80000, v17, s2
	v_mul_f64 v[13:14], v[18:19], v[13:14]
	s_delay_alu instid0(VALU_DEP_2)
	v_mul_f64 v[15:16], v[18:19], v[16:17]
                                        ; implicit-def: $vgpr19_vgpr20
.LBB132_61:                             ;   in Loop: Header=BB132_4 Depth=1
	s_and_not1_saveexec_b32 s93, s93
	s_cbranch_execz .LBB132_71
; %bb.62:                               ;   in Loop: Header=BB132_4 Depth=1
	v_cmp_ngt_f64_e64 s3, 0x41d00000, |v[19:20]|
                                        ; implicit-def: $vgpr29
                                        ; implicit-def: $vgpr13_vgpr14
                                        ; implicit-def: $vgpr15_vgpr16
	s_delay_alu instid0(VALU_DEP_1) | instskip(NEXT) | instid1(SALU_CYCLE_1)
	s_and_saveexec_b32 s2, s3
	s_xor_b32 s4, exec_lo, s2
	s_cbranch_execz .LBB132_64
; %bb.63:                               ;   in Loop: Header=BB132_4 Depth=1
	v_ldexp_f64 v[13:14], |v[19:20]|, 0xffffff80
	v_cmp_le_f64_e64 vcc_lo, 0x7b000000, |v[19:20]|
	v_trig_preop_f64 v[15:16], |v[19:20]|, 0
	v_and_b32_e32 v22, 0x7fffffff, v20
	v_trig_preop_f64 v[25:26], |v[19:20]|, 1
	v_trig_preop_f64 v[36:37], |v[19:20]|, 2
	s_mov_b32 s12, s14
	s_mov_b32 s21, s19
	v_dual_cndmask_b32 v13, v19, v13 :: v_dual_cndmask_b32 v14, v22, v14
	s_delay_alu instid0(VALU_DEP_1) | instskip(NEXT) | instid1(VALU_DEP_4)
	v_mul_f64 v[27:28], v[15:16], v[13:14]
	v_mul_f64 v[29:30], v[25:26], v[13:14]
	s_delay_alu instid0(VALU_DEP_2) | instskip(NEXT) | instid1(VALU_DEP_2)
	v_fma_f64 v[15:16], v[15:16], v[13:14], -v[27:28]
	v_fma_f64 v[25:26], v[25:26], v[13:14], -v[29:30]
	s_delay_alu instid0(VALU_DEP_2) | instskip(NEXT) | instid1(VALU_DEP_1)
	v_add_f64 v[31:32], v[29:30], v[15:16]
	v_add_f64 v[33:34], v[31:32], -v[29:30]
	v_add_f64 v[40:41], v[27:28], v[31:32]
	s_delay_alu instid0(VALU_DEP_2) | instskip(SKIP_1) | instid1(VALU_DEP_3)
	v_add_f64 v[38:39], v[31:32], -v[33:34]
	v_add_f64 v[15:16], v[15:16], -v[33:34]
	v_ldexp_f64 v[33:34], v[40:41], -2
	v_add_f64 v[27:28], v[40:41], -v[27:28]
	s_delay_alu instid0(VALU_DEP_4) | instskip(NEXT) | instid1(VALU_DEP_3)
	v_add_f64 v[29:30], v[29:30], -v[38:39]
	v_cmp_neq_f64_e64 vcc_lo, 0x7ff00000, |v[33:34]|
	s_delay_alu instid0(VALU_DEP_3) | instskip(NEXT) | instid1(VALU_DEP_3)
	v_add_f64 v[27:28], v[31:32], -v[27:28]
	v_add_f64 v[15:16], v[15:16], v[29:30]
	v_fract_f64_e32 v[29:30], v[33:34]
	s_delay_alu instid0(VALU_DEP_1) | instskip(SKIP_1) | instid1(VALU_DEP_3)
	v_cndmask_b32_e32 v29, 0, v29, vcc_lo
	v_mul_f64 v[42:43], v[36:37], v[13:14]
	v_cndmask_b32_e32 v30, 0, v30, vcc_lo
	s_delay_alu instid0(VALU_DEP_1) | instskip(NEXT) | instid1(VALU_DEP_3)
	v_ldexp_f64 v[29:30], v[29:30], 2
	v_add_f64 v[38:39], v[42:43], v[25:26]
	v_fma_f64 v[13:14], v[36:37], v[13:14], -v[42:43]
	s_delay_alu instid0(VALU_DEP_2) | instskip(NEXT) | instid1(VALU_DEP_1)
	v_add_f64 v[31:32], v[38:39], v[15:16]
	v_add_f64 v[33:34], v[27:28], v[31:32]
	v_add_f64 v[44:45], v[31:32], -v[38:39]
	s_delay_alu instid0(VALU_DEP_2) | instskip(NEXT) | instid1(VALU_DEP_2)
	v_add_f64 v[40:41], v[33:34], v[29:30]
	v_add_f64 v[50:51], v[31:32], -v[44:45]
	v_add_f64 v[15:16], v[15:16], -v[44:45]
	v_add_f64 v[27:28], v[33:34], -v[27:28]
	s_delay_alu instid0(VALU_DEP_4) | instskip(SKIP_1) | instid1(VALU_DEP_3)
	v_cmp_gt_f64_e32 vcc_lo, 0, v[40:41]
	v_add_f64 v[40:41], v[38:39], -v[42:43]
	v_add_f64 v[27:28], v[31:32], -v[27:28]
	v_cndmask_b32_e64 v22, 0, 0x40100000, vcc_lo
	s_delay_alu instid0(VALU_DEP_3) | instskip(SKIP_2) | instid1(VALU_DEP_4)
	v_add_f64 v[48:49], v[38:39], -v[40:41]
	v_add_f64 v[25:26], v[25:26], -v[40:41]
	v_add_f64 v[38:39], v[38:39], -v[50:51]
	v_add_f64 v[29:30], v[29:30], v[21:22]
	s_delay_alu instid0(VALU_DEP_4) | instskip(NEXT) | instid1(VALU_DEP_3)
	v_add_f64 v[40:41], v[42:43], -v[48:49]
	v_add_f64 v[15:16], v[15:16], v[38:39]
	s_delay_alu instid0(VALU_DEP_3) | instskip(NEXT) | instid1(VALU_DEP_3)
	v_add_f64 v[46:47], v[33:34], v[29:30]
	v_add_f64 v[25:26], v[25:26], v[40:41]
	s_delay_alu instid0(VALU_DEP_2) | instskip(NEXT) | instid1(VALU_DEP_2)
	v_cvt_i32_f64_e32 v22, v[46:47]
	v_add_f64 v[15:16], v[25:26], v[15:16]
	s_delay_alu instid0(VALU_DEP_2) | instskip(NEXT) | instid1(VALU_DEP_2)
	v_cvt_f64_i32_e32 v[44:45], v22
	v_add_f64 v[13:14], v[13:14], v[15:16]
	s_delay_alu instid0(VALU_DEP_2) | instskip(NEXT) | instid1(VALU_DEP_2)
	v_add_f64 v[29:30], v[29:30], -v[44:45]
	v_add_f64 v[13:14], v[27:28], v[13:14]
	s_delay_alu instid0(VALU_DEP_2) | instskip(NEXT) | instid1(VALU_DEP_1)
	v_add_f64 v[25:26], v[33:34], v[29:30]
	v_add_f64 v[15:16], v[25:26], -v[29:30]
	v_cmp_le_f64_e32 vcc_lo, 0.5, v[25:26]
	s_delay_alu instid0(VALU_DEP_2) | instskip(SKIP_2) | instid1(VALU_DEP_3)
	v_add_f64 v[15:16], v[33:34], -v[15:16]
	v_add_co_ci_u32_e64 v29, s2, 0, v22, vcc_lo
	v_cndmask_b32_e64 v22, 0, 0x3ff00000, vcc_lo
	v_add_f64 v[13:14], v[13:14], v[15:16]
	s_delay_alu instid0(VALU_DEP_2) | instskip(NEXT) | instid1(VALU_DEP_1)
	v_add_f64 v[15:16], v[25:26], -v[21:22]
	v_add_f64 v[25:26], v[15:16], v[13:14]
	s_delay_alu instid0(VALU_DEP_1) | instskip(SKIP_1) | instid1(VALU_DEP_2)
	v_mul_f64 v[27:28], v[25:26], s[12:13]
	v_add_f64 v[15:16], v[25:26], -v[15:16]
	v_fma_f64 v[30:31], v[25:26], s[12:13], -v[27:28]
	s_delay_alu instid0(VALU_DEP_2) | instskip(NEXT) | instid1(VALU_DEP_2)
	v_add_f64 v[13:14], v[13:14], -v[15:16]
	v_fma_f64 v[15:16], v[25:26], s[20:21], v[30:31]
	s_delay_alu instid0(VALU_DEP_1) | instskip(NEXT) | instid1(VALU_DEP_1)
	v_fma_f64 v[15:16], v[13:14], s[12:13], v[15:16]
	v_add_f64 v[13:14], v[27:28], v[15:16]
	s_delay_alu instid0(VALU_DEP_1) | instskip(NEXT) | instid1(VALU_DEP_1)
	v_add_f64 v[25:26], v[13:14], -v[27:28]
	v_add_f64 v[15:16], v[15:16], -v[25:26]
	s_and_not1_saveexec_b32 s2, s4
	s_cbranch_execz .LBB132_66
	s_branch .LBB132_65
.LBB132_64:                             ;   in Loop: Header=BB132_4 Depth=1
	s_and_not1_saveexec_b32 s2, s4
	s_cbranch_execz .LBB132_66
.LBB132_65:                             ;   in Loop: Header=BB132_4 Depth=1
	v_mul_f64 v[13:14], |v[19:20]|, s[22:23]
	s_mov_b32 s18, s24
	s_delay_alu instid0(VALU_DEP_1) | instskip(NEXT) | instid1(VALU_DEP_1)
	v_rndne_f64_e32 v[25:26], v[13:14]
	v_fma_f64 v[13:14], v[25:26], s[14:15], |v[19:20]|
	v_mul_f64 v[15:16], v[25:26], s[24:25]
	s_delay_alu instid0(VALU_DEP_2) | instskip(NEXT) | instid1(VALU_DEP_2)
	v_fma_f64 v[29:30], v[25:26], s[24:25], v[13:14]
	v_add_f64 v[27:28], v[13:14], v[15:16]
	s_delay_alu instid0(VALU_DEP_1) | instskip(NEXT) | instid1(VALU_DEP_3)
	v_add_f64 v[13:14], v[13:14], -v[27:28]
	v_add_f64 v[27:28], v[27:28], -v[29:30]
	s_delay_alu instid0(VALU_DEP_2) | instskip(SKIP_1) | instid1(VALU_DEP_2)
	v_add_f64 v[13:14], v[13:14], v[15:16]
	v_fma_f64 v[15:16], v[25:26], s[18:19], v[15:16]
	v_add_f64 v[13:14], v[27:28], v[13:14]
	s_delay_alu instid0(VALU_DEP_1) | instskip(NEXT) | instid1(VALU_DEP_1)
	v_add_f64 v[13:14], v[13:14], -v[15:16]
	v_fma_f64 v[15:16], v[25:26], s[26:27], v[13:14]
	s_delay_alu instid0(VALU_DEP_1) | instskip(NEXT) | instid1(VALU_DEP_1)
	v_add_f64 v[13:14], v[29:30], v[15:16]
	v_add_f64 v[27:28], v[13:14], -v[29:30]
	v_cvt_i32_f64_e32 v29, v[25:26]
	s_delay_alu instid0(VALU_DEP_2)
	v_add_f64 v[15:16], v[15:16], -v[27:28]
.LBB132_66:                             ;   in Loop: Header=BB132_4 Depth=1
	s_or_b32 exec_lo, exec_lo, s2
                                        ; implicit-def: $vgpr30
                                        ; implicit-def: $vgpr25_vgpr26
                                        ; implicit-def: $vgpr27_vgpr28
	s_and_saveexec_b32 s2, s3
	s_delay_alu instid0(SALU_CYCLE_1)
	s_xor_b32 s3, exec_lo, s2
	s_cbranch_execz .LBB132_68
; %bb.67:                               ;   in Loop: Header=BB132_4 Depth=1
	v_ldexp_f64 v[25:26], |v[19:20]|, 0xffffff80
	v_cmp_le_f64_e64 vcc_lo, 0x7b000000, |v[19:20]|
	v_trig_preop_f64 v[27:28], |v[19:20]|, 0
	v_and_b32_e32 v22, 0x7fffffff, v20
	v_trig_preop_f64 v[30:31], |v[19:20]|, 1
	v_trig_preop_f64 v[42:43], |v[19:20]|, 2
	s_mov_b32 s12, s14
	s_mov_b32 s21, s19
	v_dual_cndmask_b32 v25, v19, v25 :: v_dual_cndmask_b32 v26, v22, v26
	s_delay_alu instid0(VALU_DEP_1) | instskip(NEXT) | instid1(VALU_DEP_4)
	v_mul_f64 v[32:33], v[27:28], v[25:26]
	v_mul_f64 v[36:37], v[30:31], v[25:26]
	s_delay_alu instid0(VALU_DEP_2) | instskip(NEXT) | instid1(VALU_DEP_2)
	v_fma_f64 v[27:28], v[27:28], v[25:26], -v[32:33]
	v_fma_f64 v[30:31], v[30:31], v[25:26], -v[36:37]
	s_delay_alu instid0(VALU_DEP_2) | instskip(NEXT) | instid1(VALU_DEP_1)
	v_add_f64 v[38:39], v[36:37], v[27:28]
	v_add_f64 v[40:41], v[38:39], -v[36:37]
	v_add_f64 v[46:47], v[32:33], v[38:39]
	s_delay_alu instid0(VALU_DEP_2) | instskip(SKIP_1) | instid1(VALU_DEP_3)
	v_add_f64 v[44:45], v[38:39], -v[40:41]
	v_add_f64 v[27:28], v[27:28], -v[40:41]
	v_ldexp_f64 v[40:41], v[46:47], -2
	v_add_f64 v[32:33], v[46:47], -v[32:33]
	s_delay_alu instid0(VALU_DEP_4) | instskip(NEXT) | instid1(VALU_DEP_3)
	v_add_f64 v[36:37], v[36:37], -v[44:45]
	v_cmp_neq_f64_e64 vcc_lo, 0x7ff00000, |v[40:41]|
	s_delay_alu instid0(VALU_DEP_3) | instskip(NEXT) | instid1(VALU_DEP_3)
	v_add_f64 v[32:33], v[38:39], -v[32:33]
	v_add_f64 v[27:28], v[27:28], v[36:37]
	v_fract_f64_e32 v[36:37], v[40:41]
	s_delay_alu instid0(VALU_DEP_1) | instskip(SKIP_1) | instid1(VALU_DEP_3)
	v_cndmask_b32_e32 v37, 0, v37, vcc_lo
	v_mul_f64 v[48:49], v[42:43], v[25:26]
	v_cndmask_b32_e32 v36, 0, v36, vcc_lo
	s_delay_alu instid0(VALU_DEP_1) | instskip(NEXT) | instid1(VALU_DEP_3)
	v_ldexp_f64 v[36:37], v[36:37], 2
	v_add_f64 v[44:45], v[48:49], v[30:31]
	v_fma_f64 v[25:26], v[42:43], v[25:26], -v[48:49]
	s_delay_alu instid0(VALU_DEP_2) | instskip(NEXT) | instid1(VALU_DEP_1)
	v_add_f64 v[38:39], v[44:45], v[27:28]
	v_add_f64 v[40:41], v[32:33], v[38:39]
	v_add_f64 v[50:51], v[38:39], -v[44:45]
	s_delay_alu instid0(VALU_DEP_2) | instskip(NEXT) | instid1(VALU_DEP_2)
	v_add_f64 v[46:47], v[40:41], v[36:37]
	v_add_f64 v[56:57], v[38:39], -v[50:51]
	v_add_f64 v[27:28], v[27:28], -v[50:51]
	;; [unrolled: 1-line block ×3, first 2 shown]
	s_delay_alu instid0(VALU_DEP_4) | instskip(SKIP_2) | instid1(VALU_DEP_2)
	v_cmp_gt_f64_e32 vcc_lo, 0, v[46:47]
	v_add_f64 v[46:47], v[44:45], -v[48:49]
	v_cndmask_b32_e64 v22, 0, 0x40100000, vcc_lo
	v_add_f64 v[54:55], v[44:45], -v[46:47]
	v_add_f64 v[30:31], v[30:31], -v[46:47]
	;; [unrolled: 1-line block ×3, first 2 shown]
	s_delay_alu instid0(VALU_DEP_4) | instskip(NEXT) | instid1(VALU_DEP_4)
	v_add_f64 v[36:37], v[36:37], v[21:22]
	v_add_f64 v[46:47], v[48:49], -v[54:55]
	s_delay_alu instid0(VALU_DEP_3) | instskip(NEXT) | instid1(VALU_DEP_3)
	v_add_f64 v[27:28], v[27:28], v[44:45]
	v_add_f64 v[52:53], v[40:41], v[36:37]
	s_delay_alu instid0(VALU_DEP_3) | instskip(NEXT) | instid1(VALU_DEP_2)
	v_add_f64 v[30:31], v[30:31], v[46:47]
	v_cvt_i32_f64_e32 v22, v[52:53]
	s_delay_alu instid0(VALU_DEP_2) | instskip(SKIP_1) | instid1(VALU_DEP_3)
	v_add_f64 v[27:28], v[30:31], v[27:28]
	v_add_f64 v[30:31], v[38:39], -v[32:33]
	v_cvt_f64_i32_e32 v[50:51], v22
	s_delay_alu instid0(VALU_DEP_3) | instskip(NEXT) | instid1(VALU_DEP_2)
	v_add_f64 v[25:26], v[25:26], v[27:28]
	v_add_f64 v[36:37], v[36:37], -v[50:51]
	s_delay_alu instid0(VALU_DEP_2) | instskip(NEXT) | instid1(VALU_DEP_2)
	v_add_f64 v[25:26], v[30:31], v[25:26]
	v_add_f64 v[42:43], v[40:41], v[36:37]
	s_delay_alu instid0(VALU_DEP_1) | instskip(SKIP_1) | instid1(VALU_DEP_2)
	v_add_f64 v[27:28], v[42:43], -v[36:37]
	v_cmp_le_f64_e32 vcc_lo, 0.5, v[42:43]
	v_add_f64 v[27:28], v[40:41], -v[27:28]
	v_add_co_ci_u32_e64 v30, s2, 0, v22, vcc_lo
	v_cndmask_b32_e64 v22, 0, 0x3ff00000, vcc_lo
	s_delay_alu instid0(VALU_DEP_3) | instskip(NEXT) | instid1(VALU_DEP_2)
	v_add_f64 v[25:26], v[25:26], v[27:28]
	v_add_f64 v[27:28], v[42:43], -v[21:22]
	s_delay_alu instid0(VALU_DEP_1) | instskip(NEXT) | instid1(VALU_DEP_1)
	v_add_f64 v[31:32], v[27:28], v[25:26]
	v_mul_f64 v[33:34], v[31:32], s[12:13]
	v_add_f64 v[27:28], v[31:32], -v[27:28]
	s_delay_alu instid0(VALU_DEP_2) | instskip(NEXT) | instid1(VALU_DEP_2)
	v_fma_f64 v[36:37], v[31:32], s[12:13], -v[33:34]
	v_add_f64 v[25:26], v[25:26], -v[27:28]
	s_delay_alu instid0(VALU_DEP_2) | instskip(NEXT) | instid1(VALU_DEP_1)
	v_fma_f64 v[27:28], v[31:32], s[20:21], v[36:37]
	v_fma_f64 v[27:28], v[25:26], s[12:13], v[27:28]
	s_delay_alu instid0(VALU_DEP_1) | instskip(NEXT) | instid1(VALU_DEP_1)
	v_add_f64 v[25:26], v[33:34], v[27:28]
	v_add_f64 v[31:32], v[25:26], -v[33:34]
	s_delay_alu instid0(VALU_DEP_1)
	v_add_f64 v[27:28], v[27:28], -v[31:32]
	s_and_not1_saveexec_b32 s2, s3
	s_cbranch_execnz .LBB132_69
	s_branch .LBB132_70
.LBB132_68:                             ;   in Loop: Header=BB132_4 Depth=1
	s_and_not1_saveexec_b32 s2, s3
	s_cbranch_execz .LBB132_70
.LBB132_69:                             ;   in Loop: Header=BB132_4 Depth=1
	v_mul_f64 v[25:26], |v[19:20]|, s[22:23]
	s_mov_b32 s18, s24
	s_delay_alu instid0(VALU_DEP_1) | instskip(NEXT) | instid1(VALU_DEP_1)
	v_rndne_f64_e32 v[30:31], v[25:26]
	v_fma_f64 v[25:26], v[30:31], s[14:15], |v[19:20]|
	v_mul_f64 v[27:28], v[30:31], s[24:25]
	s_delay_alu instid0(VALU_DEP_2) | instskip(NEXT) | instid1(VALU_DEP_2)
	v_fma_f64 v[36:37], v[30:31], s[24:25], v[25:26]
	v_add_f64 v[32:33], v[25:26], v[27:28]
	s_delay_alu instid0(VALU_DEP_1) | instskip(NEXT) | instid1(VALU_DEP_3)
	v_add_f64 v[25:26], v[25:26], -v[32:33]
	v_add_f64 v[32:33], v[32:33], -v[36:37]
	s_delay_alu instid0(VALU_DEP_2) | instskip(SKIP_1) | instid1(VALU_DEP_2)
	v_add_f64 v[25:26], v[25:26], v[27:28]
	v_fma_f64 v[27:28], v[30:31], s[18:19], v[27:28]
	v_add_f64 v[25:26], v[32:33], v[25:26]
	s_delay_alu instid0(VALU_DEP_1) | instskip(NEXT) | instid1(VALU_DEP_1)
	v_add_f64 v[25:26], v[25:26], -v[27:28]
	v_fma_f64 v[27:28], v[30:31], s[26:27], v[25:26]
	v_cvt_i32_f64_e32 v30, v[30:31]
	s_delay_alu instid0(VALU_DEP_2) | instskip(NEXT) | instid1(VALU_DEP_1)
	v_add_f64 v[25:26], v[36:37], v[27:28]
	v_add_f64 v[32:33], v[25:26], -v[36:37]
	s_delay_alu instid0(VALU_DEP_1)
	v_add_f64 v[27:28], v[27:28], -v[32:33]
.LBB132_70:                             ;   in Loop: Header=BB132_4 Depth=1
	s_or_b32 exec_lo, exec_lo, s2
	v_add_f64 v[17:18], v[17:18], s[74:75]
	s_delay_alu instid0(VALU_DEP_4) | instskip(SKIP_3) | instid1(VALU_DEP_4)
	v_mul_f64 v[38:39], v[13:14], v[13:14]
	v_mul_f64 v[40:41], v[25:26], v[25:26]
	s_mov_b32 s77, s49
	s_mov_b32 s79, s51
	v_mul_f64 v[58:59], v[15:16], 0.5
	v_mul_f64 v[64:65], v[27:28], 0.5
	s_mov_b32 s80, s50
	v_cmp_class_f64_e64 s2, v[19:20], 0x1f8
	v_mul_f64 v[31:32], v[17:18], s[28:29]
	v_fma_f64 v[42:43], v[38:39], s[68:69], s[66:67]
	v_fma_f64 v[44:45], v[40:41], s[68:69], s[66:67]
	v_mul_f64 v[48:49], v[38:39], 0.5
	v_fma_f64 v[46:47], v[38:39], s[58:59], s[56:57]
	v_fma_f64 v[50:51], v[40:41], s[58:59], s[56:57]
	v_mul_f64 v[52:53], v[40:41], 0.5
	v_mul_f64 v[60:61], v[13:14], -v[38:39]
	v_mul_f64 v[66:67], v[25:26], -v[40:41]
	v_cmp_nlt_f64_e64 s3, 0x40900000, v[17:18]
	v_cmp_ngt_f64_e64 s4, 0xc090cc00, v[17:18]
	v_rndne_f64_e32 v[31:32], v[31:32]
	v_fma_f64 v[42:43], v[38:39], v[42:43], s[70:71]
	v_fma_f64 v[44:45], v[40:41], v[44:45], s[70:71]
	v_add_f64 v[54:55], -v[48:49], 1.0
	v_fma_f64 v[46:47], v[38:39], v[46:47], s[60:61]
	v_fma_f64 v[50:51], v[40:41], v[50:51], s[60:61]
	v_add_f64 v[56:57], -v[52:53], 1.0
	v_fma_f64 v[33:34], v[31:32], s[30:31], v[17:18]
	v_fma_f64 v[42:43], v[38:39], v[42:43], s[72:73]
	;; [unrolled: 1-line block ×3, first 2 shown]
	v_add_f64 v[62:63], -v[54:55], 1.0
	v_fma_f64 v[46:47], v[38:39], v[46:47], s[62:63]
	v_fma_f64 v[50:51], v[40:41], v[50:51], s[62:63]
	v_add_f64 v[68:69], -v[56:57], 1.0
	v_cvt_i32_f64_e32 v22, v[31:32]
	v_lshlrev_b32_e32 v18, 30, v29
	s_delay_alu instid0(VALU_DEP_1)
	v_and_b32_e32 v18, 0x80000000, v18
	v_fma_f64 v[33:34], v[31:32], s[34:35], v[33:34]
	v_fma_f64 v[42:43], v[38:39], v[42:43], s[48:49]
	;; [unrolled: 1-line block ×3, first 2 shown]
	v_add_f64 v[48:49], v[62:63], -v[48:49]
	v_fma_f64 v[46:47], v[38:39], v[46:47], s[64:65]
	v_fma_f64 v[50:51], v[40:41], v[50:51], s[64:65]
	v_add_f64 v[52:53], v[68:69], -v[52:53]
	v_fma_f64 v[36:37], v[33:34], s[38:39], s[36:37]
	v_fma_f64 v[42:43], v[60:61], v[42:43], v[58:59]
	v_fma_f64 v[44:45], v[66:67], v[44:45], v[64:65]
	v_fma_f64 v[48:49], v[13:14], -v[15:16], v[48:49]
	v_mul_f64 v[58:59], v[38:39], v[38:39]
	v_fma_f64 v[46:47], v[38:39], v[46:47], s[50:51]
	v_fma_f64 v[36:37], v[33:34], v[36:37], s[40:41]
	v_fma_f64 v[15:16], v[38:39], v[42:43], -v[15:16]
	v_mul_f64 v[38:39], v[40:41], v[40:41]
	v_fma_f64 v[42:43], v[40:41], v[50:51], s[50:51]
	v_fma_f64 v[50:51], v[25:26], -v[27:28], v[52:53]
	v_fma_f64 v[27:28], v[40:41], v[44:45], -v[27:28]
	v_fma_f64 v[40:41], v[58:59], v[46:47], v[48:49]
	v_fma_f64 v[36:37], v[33:34], v[36:37], s[42:43]
	;; [unrolled: 1-line block ×3, first 2 shown]
	s_delay_alu instid0(VALU_DEP_4) | instskip(NEXT) | instid1(VALU_DEP_3)
	v_fma_f64 v[27:28], v[66:67], s[80:81], v[27:28]
	v_fma_f64 v[36:37], v[33:34], v[36:37], s[44:45]
	s_delay_alu instid0(VALU_DEP_3) | instskip(NEXT) | instid1(VALU_DEP_3)
	v_add_f64 v[13:14], v[13:14], -v[15:16]
	v_add_f64 v[25:26], v[25:26], -v[27:28]
	s_delay_alu instid0(VALU_DEP_3) | instskip(NEXT) | instid1(VALU_DEP_3)
	v_fma_f64 v[36:37], v[33:34], v[36:37], s[46:47]
	v_xor_b32_e32 v14, 0x80000000, v14
	s_delay_alu instid0(VALU_DEP_2) | instskip(NEXT) | instid1(VALU_DEP_1)
	v_fma_f64 v[36:37], v[33:34], v[36:37], s[76:77]
	v_fma_f64 v[36:37], v[33:34], v[36:37], s[78:79]
	s_delay_alu instid0(VALU_DEP_1) | instskip(NEXT) | instid1(VALU_DEP_1)
	v_fma_f64 v[36:37], v[33:34], v[36:37], s[52:53]
	v_fma_f64 v[36:37], v[33:34], v[36:37], s[54:55]
	s_delay_alu instid0(VALU_DEP_1) | instskip(NEXT) | instid1(VALU_DEP_1)
	v_fma_f64 v[36:37], v[33:34], v[36:37], 1.0
	v_fma_f64 v[31:32], v[33:34], v[36:37], 1.0
	v_fma_f64 v[33:34], v[38:39], v[42:43], v[50:51]
	v_add_f64 v[36:37], v[54:55], v[40:41]
	s_delay_alu instid0(VALU_DEP_3) | instskip(NEXT) | instid1(VALU_DEP_3)
	v_ldexp_f64 v[15:16], v[31:32], v22
	v_add_f64 v[31:32], v[56:57], v[33:34]
	v_and_b32_e32 v22, 1, v29
	s_delay_alu instid0(VALU_DEP_1) | instskip(SKIP_4) | instid1(VALU_DEP_3)
	v_cmp_eq_u32_e32 vcc_lo, 0, v22
	v_dual_cndmask_b32 v14, v14, v37 :: v_dual_lshlrev_b32 v17, 30, v30
	v_cndmask_b32_e32 v13, v13, v36, vcc_lo
	s_and_b32 vcc_lo, s4, s3
	v_and_b32_e32 v19, 1, v30
	v_xor_b32_e32 v17, v17, v20
	v_xor_b32_e32 v14, v14, v18
	v_cndmask_b32_e64 v13, 0, v13, s2
	s_delay_alu instid0(VALU_DEP_3) | instskip(NEXT) | instid1(VALU_DEP_3)
	v_and_b32_e32 v17, 0x80000000, v17
	v_cndmask_b32_e64 v14, 0x7ff80000, v14, s2
	v_cndmask_b32_e32 v18, 0, v15, vcc_lo
	v_cmp_eq_u32_e64 s5, 0, v19
	v_cndmask_b32_e64 v16, 0x7ff00000, v16, s3
	s_delay_alu instid0(VALU_DEP_2) | instskip(SKIP_1) | instid1(VALU_DEP_3)
	v_cndmask_b32_e64 v20, v32, v26, s5
	v_cndmask_b32_e64 v19, v31, v25, s5
	;; [unrolled: 1-line block ×3, first 2 shown]
	s_delay_alu instid0(VALU_DEP_3) | instskip(NEXT) | instid1(VALU_DEP_3)
	v_xor_b32_e32 v17, v20, v17
	v_cndmask_b32_e64 v16, 0, v19, s2
	s_delay_alu instid0(VALU_DEP_3) | instskip(NEXT) | instid1(VALU_DEP_3)
	v_and_or_b32 v19, v22, s89, 0x7fe00000
	v_cndmask_b32_e64 v17, 0x7ff80000, v17, s2
	s_delay_alu instid0(VALU_DEP_2) | instskip(NEXT) | instid1(VALU_DEP_2)
	v_mul_f64 v[13:14], v[18:19], v[13:14]
	v_mul_f64 v[15:16], v[18:19], v[16:17]
	v_lshrrev_b32_e32 v17, 20, v22
	s_delay_alu instid0(VALU_DEP_1) | instskip(NEXT) | instid1(VALU_DEP_1)
	v_add_nc_u32_e32 v17, 0xffffff09, v17
	v_lshrrev_b16 v18, 15, v17
	s_delay_alu instid0(VALU_DEP_1) | instskip(NEXT) | instid1(VALU_DEP_1)
	v_add_nc_u16 v18, v17, v18
	v_ashrrev_i16 v18, 1, v18
	s_delay_alu instid0(VALU_DEP_1) | instskip(NEXT) | instid1(VALU_DEP_1)
	v_bfe_i32 v18, v18, 0, 16
	v_lshl_add_u32 v22, v18, 20, 0x3ff00000
	v_sub_nc_u32_e32 v18, v17, v18
	v_mov_b32_e32 v17, v21
	s_delay_alu instid0(VALU_DEP_3) | instskip(NEXT) | instid1(VALU_DEP_3)
	v_mul_f64 v[13:14], v[13:14], v[21:22]
	v_lshl_add_u32 v18, v18, 20, 0x3ff00000
	v_mul_f64 v[15:16], v[15:16], v[21:22]
	s_delay_alu instid0(VALU_DEP_2) | instskip(NEXT) | instid1(VALU_DEP_2)
	v_mul_f64 v[13:14], v[13:14], v[17:18]
	v_mul_f64 v[15:16], v[15:16], v[17:18]
.LBB132_71:                             ;   in Loop: Header=BB132_4 Depth=1
	s_or_b32 exec_lo, exec_lo, s93
                                        ; implicit-def: $vgpr17_vgpr18
                                        ; implicit-def: $vgpr22
.LBB132_72:                             ;   in Loop: Header=BB132_4 Depth=1
	s_and_not1_saveexec_b32 s3, s92
	s_cbranch_execz .LBB132_78
; %bb.73:                               ;   in Loop: Header=BB132_4 Depth=1
	v_add_f64 v[15:16], v[19:20], -v[19:20]
	v_cmp_ne_u32_e32 vcc_lo, 0, v17
	v_cmp_ne_u32_e64 s2, 0x7ff00000, v22
	s_delay_alu instid0(VALU_DEP_1) | instskip(NEXT) | instid1(SALU_CYCLE_1)
	s_or_b32 s2, vcc_lo, s2
	s_and_saveexec_b32 s4, s2
	s_delay_alu instid0(SALU_CYCLE_1)
	s_xor_b32 s2, exec_lo, s4
; %bb.74:                               ;   in Loop: Header=BB132_4 Depth=1
                                        ; implicit-def: $vgpr17_vgpr18
; %bb.75:                               ;   in Loop: Header=BB132_4 Depth=1
	s_delay_alu instid0(SALU_CYCLE_1) | instskip(NEXT) | instid1(VALU_DEP_3)
	s_or_saveexec_b32 s2, s2
	v_dual_mov_b32 v13, v15 :: v_dual_mov_b32 v14, v16
	s_xor_b32 exec_lo, exec_lo, s2
; %bb.76:                               ;   in Loop: Header=BB132_4 Depth=1
	v_cmp_lt_i64_e32 vcc_lo, -1, v[17:18]
	v_dual_cndmask_b32 v14, 0, v18 :: v_dual_cndmask_b32 v13, 0, v17
	v_dual_cndmask_b32 v16, 0, v16 :: v_dual_cndmask_b32 v15, 0, v15
; %bb.77:                               ;   in Loop: Header=BB132_4 Depth=1
	s_or_b32 exec_lo, exec_lo, s2
.LBB132_78:                             ;   in Loop: Header=BB132_4 Depth=1
	s_delay_alu instid0(SALU_CYCLE_1)
	s_or_b32 exec_lo, exec_lo, s3
                                        ; implicit-def: $vgpr19_vgpr20
.LBB132_79:                             ;   in Loop: Header=BB132_4 Depth=1
	s_and_not1_saveexec_b32 s4, s91
	s_cbranch_execz .LBB132_89
; %bb.80:                               ;   in Loop: Header=BB132_4 Depth=1
	v_cmp_ngt_f64_e64 s3, 0x41d00000, |v[19:20]|
	v_trig_preop_f64 v[27:28], |v[19:20]|, 0
	v_trig_preop_f64 v[25:26], |v[19:20]|, 1
	v_ldexp_f64 v[29:30], |v[19:20]|, 0xffffff80
	v_trig_preop_f64 v[17:18], |v[19:20]|, 2
	v_and_b32_e32 v37, 0x7fffffff, v20
                                        ; implicit-def: $vgpr36
                                        ; implicit-def: $vgpr13_vgpr14
                                        ; implicit-def: $vgpr15_vgpr16
	s_and_saveexec_b32 s2, s3
	s_delay_alu instid0(SALU_CYCLE_1)
	s_xor_b32 s5, exec_lo, s2
	s_cbranch_execz .LBB132_82
; %bb.81:                               ;   in Loop: Header=BB132_4 Depth=1
	v_cmp_le_f64_e64 vcc_lo, 0x7b000000, |v[19:20]|
	s_mov_b32 s12, s14
	s_mov_b32 s21, s19
	s_delay_alu instid0(VALU_DEP_4) | instskip(NEXT) | instid1(VALU_DEP_1)
	v_dual_cndmask_b32 v14, v37, v30 :: v_dual_cndmask_b32 v13, v19, v29
	v_mul_f64 v[15:16], v[27:28], v[13:14]
	v_mul_f64 v[31:32], v[25:26], v[13:14]
	;; [unrolled: 1-line block ×3, first 2 shown]
	s_delay_alu instid0(VALU_DEP_3) | instskip(NEXT) | instid1(VALU_DEP_3)
	v_fma_f64 v[33:34], v[27:28], v[13:14], -v[15:16]
	v_fma_f64 v[48:49], v[25:26], v[13:14], -v[31:32]
	s_delay_alu instid0(VALU_DEP_3) | instskip(NEXT) | instid1(VALU_DEP_3)
	v_fma_f64 v[13:14], v[17:18], v[13:14], -v[46:47]
	v_add_f64 v[38:39], v[31:32], v[33:34]
	s_delay_alu instid0(VALU_DEP_1) | instskip(SKIP_1) | instid1(VALU_DEP_2)
	v_add_f64 v[40:41], v[38:39], -v[31:32]
	v_add_f64 v[44:45], v[15:16], v[38:39]
	v_add_f64 v[42:43], v[38:39], -v[40:41]
	v_add_f64 v[33:34], v[33:34], -v[40:41]
	s_delay_alu instid0(VALU_DEP_3) | instskip(SKIP_1) | instid1(VALU_DEP_4)
	v_ldexp_f64 v[40:41], v[44:45], -2
	v_add_f64 v[15:16], v[44:45], -v[15:16]
	v_add_f64 v[31:32], v[31:32], -v[42:43]
	v_add_f64 v[42:43], v[46:47], v[48:49]
	s_delay_alu instid0(VALU_DEP_4) | instskip(NEXT) | instid1(VALU_DEP_4)
	v_cmp_neq_f64_e64 vcc_lo, 0x7ff00000, |v[40:41]|
	v_add_f64 v[15:16], v[38:39], -v[15:16]
	s_delay_alu instid0(VALU_DEP_4) | instskip(SKIP_1) | instid1(VALU_DEP_2)
	v_add_f64 v[31:32], v[33:34], v[31:32]
	v_fract_f64_e32 v[33:34], v[40:41]
	v_add_f64 v[38:39], v[42:43], v[31:32]
	s_delay_alu instid0(VALU_DEP_2) | instskip(NEXT) | instid1(VALU_DEP_1)
	v_dual_cndmask_b32 v34, 0, v34 :: v_dual_cndmask_b32 v33, 0, v33
	v_ldexp_f64 v[33:34], v[33:34], 2
	s_delay_alu instid0(VALU_DEP_3) | instskip(SKIP_1) | instid1(VALU_DEP_2)
	v_add_f64 v[40:41], v[15:16], v[38:39]
	v_add_f64 v[50:51], v[38:39], -v[42:43]
	v_add_f64 v[44:45], v[40:41], v[33:34]
	s_delay_alu instid0(VALU_DEP_2) | instskip(SKIP_2) | instid1(VALU_DEP_4)
	v_add_f64 v[56:57], v[38:39], -v[50:51]
	v_add_f64 v[31:32], v[31:32], -v[50:51]
	;; [unrolled: 1-line block ×3, first 2 shown]
	v_cmp_gt_f64_e32 vcc_lo, 0, v[44:45]
	v_add_f64 v[44:45], v[42:43], -v[46:47]
	s_delay_alu instid0(VALU_DEP_3) | instskip(SKIP_1) | instid1(VALU_DEP_3)
	v_add_f64 v[15:16], v[38:39], -v[15:16]
	v_cndmask_b32_e64 v22, 0, 0x40100000, vcc_lo
	v_add_f64 v[54:55], v[42:43], -v[44:45]
	v_add_f64 v[44:45], v[48:49], -v[44:45]
	v_add_f64 v[42:43], v[42:43], -v[56:57]
	s_delay_alu instid0(VALU_DEP_4) | instskip(NEXT) | instid1(VALU_DEP_4)
	v_add_f64 v[33:34], v[33:34], v[21:22]
	v_add_f64 v[48:49], v[46:47], -v[54:55]
	s_delay_alu instid0(VALU_DEP_3) | instskip(NEXT) | instid1(VALU_DEP_3)
	v_add_f64 v[31:32], v[31:32], v[42:43]
	v_add_f64 v[52:53], v[40:41], v[33:34]
	s_delay_alu instid0(VALU_DEP_3) | instskip(NEXT) | instid1(VALU_DEP_2)
	v_add_f64 v[44:45], v[44:45], v[48:49]
	v_cvt_i32_f64_e32 v22, v[52:53]
	s_delay_alu instid0(VALU_DEP_2) | instskip(NEXT) | instid1(VALU_DEP_2)
	v_add_f64 v[31:32], v[44:45], v[31:32]
	v_cvt_f64_i32_e32 v[50:51], v22
	s_delay_alu instid0(VALU_DEP_2) | instskip(NEXT) | instid1(VALU_DEP_2)
	v_add_f64 v[13:14], v[13:14], v[31:32]
	v_add_f64 v[33:34], v[33:34], -v[50:51]
	s_delay_alu instid0(VALU_DEP_2) | instskip(NEXT) | instid1(VALU_DEP_2)
	v_add_f64 v[13:14], v[15:16], v[13:14]
	v_add_f64 v[42:43], v[40:41], v[33:34]
	s_delay_alu instid0(VALU_DEP_1) | instskip(SKIP_1) | instid1(VALU_DEP_2)
	v_add_f64 v[31:32], v[42:43], -v[33:34]
	v_cmp_le_f64_e32 vcc_lo, 0.5, v[42:43]
	v_add_f64 v[15:16], v[40:41], -v[31:32]
	v_add_co_ci_u32_e64 v36, s2, 0, v22, vcc_lo
	v_cndmask_b32_e64 v22, 0, 0x3ff00000, vcc_lo
	s_delay_alu instid0(VALU_DEP_3) | instskip(NEXT) | instid1(VALU_DEP_2)
	v_add_f64 v[13:14], v[13:14], v[15:16]
	v_add_f64 v[15:16], v[42:43], -v[21:22]
	s_delay_alu instid0(VALU_DEP_1) | instskip(NEXT) | instid1(VALU_DEP_1)
	v_add_f64 v[31:32], v[15:16], v[13:14]
	v_mul_f64 v[33:34], v[31:32], s[12:13]
	v_add_f64 v[15:16], v[31:32], -v[15:16]
	s_delay_alu instid0(VALU_DEP_2) | instskip(NEXT) | instid1(VALU_DEP_2)
	v_fma_f64 v[38:39], v[31:32], s[12:13], -v[33:34]
	v_add_f64 v[13:14], v[13:14], -v[15:16]
	s_delay_alu instid0(VALU_DEP_2) | instskip(NEXT) | instid1(VALU_DEP_1)
	v_fma_f64 v[15:16], v[31:32], s[20:21], v[38:39]
	v_fma_f64 v[15:16], v[13:14], s[12:13], v[15:16]
	s_delay_alu instid0(VALU_DEP_1) | instskip(NEXT) | instid1(VALU_DEP_1)
	v_add_f64 v[13:14], v[33:34], v[15:16]
	v_add_f64 v[31:32], v[13:14], -v[33:34]
	s_delay_alu instid0(VALU_DEP_1)
	v_add_f64 v[15:16], v[15:16], -v[31:32]
	s_and_not1_saveexec_b32 s2, s5
	s_cbranch_execz .LBB132_84
	s_branch .LBB132_83
.LBB132_82:                             ;   in Loop: Header=BB132_4 Depth=1
	s_and_not1_saveexec_b32 s2, s5
	s_cbranch_execz .LBB132_84
.LBB132_83:                             ;   in Loop: Header=BB132_4 Depth=1
	v_mul_f64 v[13:14], |v[19:20]|, s[22:23]
	s_mov_b32 s18, s24
	s_delay_alu instid0(VALU_DEP_1) | instskip(NEXT) | instid1(VALU_DEP_1)
	v_rndne_f64_e32 v[31:32], v[13:14]
	v_fma_f64 v[13:14], v[31:32], s[14:15], |v[19:20]|
	v_mul_f64 v[15:16], v[31:32], s[24:25]
	v_cvt_i32_f64_e32 v36, v[31:32]
	s_delay_alu instid0(VALU_DEP_3) | instskip(NEXT) | instid1(VALU_DEP_3)
	v_fma_f64 v[38:39], v[31:32], s[24:25], v[13:14]
	v_add_f64 v[33:34], v[13:14], v[15:16]
	s_delay_alu instid0(VALU_DEP_1) | instskip(NEXT) | instid1(VALU_DEP_3)
	v_add_f64 v[13:14], v[13:14], -v[33:34]
	v_add_f64 v[33:34], v[33:34], -v[38:39]
	s_delay_alu instid0(VALU_DEP_2) | instskip(SKIP_1) | instid1(VALU_DEP_2)
	v_add_f64 v[13:14], v[13:14], v[15:16]
	v_fma_f64 v[15:16], v[31:32], s[18:19], v[15:16]
	v_add_f64 v[13:14], v[33:34], v[13:14]
	s_delay_alu instid0(VALU_DEP_1) | instskip(NEXT) | instid1(VALU_DEP_1)
	v_add_f64 v[13:14], v[13:14], -v[15:16]
	v_fma_f64 v[15:16], v[31:32], s[26:27], v[13:14]
	s_delay_alu instid0(VALU_DEP_1) | instskip(NEXT) | instid1(VALU_DEP_1)
	v_add_f64 v[13:14], v[38:39], v[15:16]
	v_add_f64 v[33:34], v[13:14], -v[38:39]
	s_delay_alu instid0(VALU_DEP_1)
	v_add_f64 v[15:16], v[15:16], -v[33:34]
.LBB132_84:                             ;   in Loop: Header=BB132_4 Depth=1
	s_or_b32 exec_lo, exec_lo, s2
                                        ; implicit-def: $vgpr38
                                        ; implicit-def: $vgpr31_vgpr32
                                        ; implicit-def: $vgpr33_vgpr34
	s_and_saveexec_b32 s2, s3
	s_delay_alu instid0(SALU_CYCLE_1)
	s_xor_b32 s3, exec_lo, s2
	s_cbranch_execz .LBB132_86
; %bb.85:                               ;   in Loop: Header=BB132_4 Depth=1
	v_cmp_le_f64_e64 vcc_lo, 0x7b000000, |v[19:20]|
	s_mov_b32 s12, s14
	s_mov_b32 s21, s19
	s_delay_alu instid0(VALU_DEP_4) | instskip(NEXT) | instid1(VALU_DEP_1)
	v_dual_cndmask_b32 v30, v37, v30 :: v_dual_cndmask_b32 v29, v19, v29
	v_mul_f64 v[31:32], v[27:28], v[29:30]
	v_mul_f64 v[33:34], v[25:26], v[29:30]
	;; [unrolled: 1-line block ×3, first 2 shown]
	s_delay_alu instid0(VALU_DEP_3) | instskip(NEXT) | instid1(VALU_DEP_3)
	v_fma_f64 v[27:28], v[27:28], v[29:30], -v[31:32]
	v_fma_f64 v[25:26], v[25:26], v[29:30], -v[33:34]
	s_delay_alu instid0(VALU_DEP_3) | instskip(NEXT) | instid1(VALU_DEP_3)
	v_fma_f64 v[17:18], v[17:18], v[29:30], -v[45:46]
	v_add_f64 v[37:38], v[33:34], v[27:28]
	s_delay_alu instid0(VALU_DEP_1) | instskip(SKIP_1) | instid1(VALU_DEP_2)
	v_add_f64 v[39:40], v[37:38], -v[33:34]
	v_add_f64 v[43:44], v[31:32], v[37:38]
	v_add_f64 v[41:42], v[37:38], -v[39:40]
	v_add_f64 v[27:28], v[27:28], -v[39:40]
	s_delay_alu instid0(VALU_DEP_3) | instskip(SKIP_1) | instid1(VALU_DEP_4)
	v_ldexp_f64 v[39:40], v[43:44], -2
	v_add_f64 v[31:32], v[43:44], -v[31:32]
	v_add_f64 v[33:34], v[33:34], -v[41:42]
	v_add_f64 v[41:42], v[45:46], v[25:26]
	s_delay_alu instid0(VALU_DEP_4) | instskip(NEXT) | instid1(VALU_DEP_4)
	v_cmp_neq_f64_e64 vcc_lo, 0x7ff00000, |v[39:40]|
	v_add_f64 v[31:32], v[37:38], -v[31:32]
	s_delay_alu instid0(VALU_DEP_4) | instskip(SKIP_1) | instid1(VALU_DEP_2)
	v_add_f64 v[27:28], v[27:28], v[33:34]
	v_fract_f64_e32 v[33:34], v[39:40]
	v_add_f64 v[37:38], v[41:42], v[27:28]
	s_delay_alu instid0(VALU_DEP_2) | instskip(NEXT) | instid1(VALU_DEP_1)
	v_dual_cndmask_b32 v34, 0, v34 :: v_dual_cndmask_b32 v33, 0, v33
	v_ldexp_f64 v[33:34], v[33:34], 2
	s_delay_alu instid0(VALU_DEP_3) | instskip(SKIP_1) | instid1(VALU_DEP_2)
	v_add_f64 v[39:40], v[31:32], v[37:38]
	v_add_f64 v[47:48], v[37:38], -v[41:42]
	v_add_f64 v[43:44], v[39:40], v[33:34]
	s_delay_alu instid0(VALU_DEP_2) | instskip(SKIP_2) | instid1(VALU_DEP_4)
	v_add_f64 v[53:54], v[37:38], -v[47:48]
	v_add_f64 v[27:28], v[27:28], -v[47:48]
	;; [unrolled: 1-line block ×3, first 2 shown]
	v_cmp_gt_f64_e32 vcc_lo, 0, v[43:44]
	v_add_f64 v[43:44], v[41:42], -v[45:46]
	s_delay_alu instid0(VALU_DEP_3) | instskip(SKIP_1) | instid1(VALU_DEP_3)
	v_add_f64 v[29:30], v[37:38], -v[29:30]
	v_cndmask_b32_e64 v22, 0, 0x40100000, vcc_lo
	v_add_f64 v[51:52], v[41:42], -v[43:44]
	v_add_f64 v[25:26], v[25:26], -v[43:44]
	;; [unrolled: 1-line block ×3, first 2 shown]
	s_delay_alu instid0(VALU_DEP_4) | instskip(NEXT) | instid1(VALU_DEP_4)
	v_add_f64 v[33:34], v[33:34], v[21:22]
	v_add_f64 v[43:44], v[45:46], -v[51:52]
	s_delay_alu instid0(VALU_DEP_3) | instskip(NEXT) | instid1(VALU_DEP_3)
	v_add_f64 v[27:28], v[27:28], v[41:42]
	v_add_f64 v[49:50], v[39:40], v[33:34]
	s_delay_alu instid0(VALU_DEP_3) | instskip(NEXT) | instid1(VALU_DEP_2)
	v_add_f64 v[25:26], v[25:26], v[43:44]
	v_cvt_i32_f64_e32 v22, v[49:50]
	s_delay_alu instid0(VALU_DEP_2) | instskip(NEXT) | instid1(VALU_DEP_2)
	v_add_f64 v[25:26], v[25:26], v[27:28]
	v_cvt_f64_i32_e32 v[47:48], v22
	s_delay_alu instid0(VALU_DEP_2) | instskip(NEXT) | instid1(VALU_DEP_2)
	v_add_f64 v[17:18], v[17:18], v[25:26]
	v_add_f64 v[33:34], v[33:34], -v[47:48]
	s_delay_alu instid0(VALU_DEP_2) | instskip(NEXT) | instid1(VALU_DEP_2)
	v_add_f64 v[17:18], v[29:30], v[17:18]
	v_add_f64 v[27:28], v[39:40], v[33:34]
	s_delay_alu instid0(VALU_DEP_1) | instskip(SKIP_1) | instid1(VALU_DEP_2)
	v_add_f64 v[25:26], v[27:28], -v[33:34]
	v_cmp_le_f64_e32 vcc_lo, 0.5, v[27:28]
	v_add_f64 v[25:26], v[39:40], -v[25:26]
	v_add_co_ci_u32_e64 v38, s2, 0, v22, vcc_lo
	v_cndmask_b32_e64 v22, 0, 0x3ff00000, vcc_lo
	s_delay_alu instid0(VALU_DEP_3) | instskip(NEXT) | instid1(VALU_DEP_2)
	v_add_f64 v[17:18], v[17:18], v[25:26]
	v_add_f64 v[25:26], v[27:28], -v[21:22]
	s_delay_alu instid0(VALU_DEP_1) | instskip(NEXT) | instid1(VALU_DEP_1)
	v_add_f64 v[27:28], v[25:26], v[17:18]
	v_mul_f64 v[29:30], v[27:28], s[12:13]
	v_add_f64 v[25:26], v[27:28], -v[25:26]
	s_delay_alu instid0(VALU_DEP_2) | instskip(NEXT) | instid1(VALU_DEP_2)
	v_fma_f64 v[31:32], v[27:28], s[12:13], -v[29:30]
	v_add_f64 v[17:18], v[17:18], -v[25:26]
	s_delay_alu instid0(VALU_DEP_2) | instskip(NEXT) | instid1(VALU_DEP_1)
	v_fma_f64 v[25:26], v[27:28], s[20:21], v[31:32]
	v_fma_f64 v[17:18], v[17:18], s[12:13], v[25:26]
	s_delay_alu instid0(VALU_DEP_1) | instskip(NEXT) | instid1(VALU_DEP_1)
	v_add_f64 v[31:32], v[29:30], v[17:18]
	v_add_f64 v[25:26], v[31:32], -v[29:30]
	s_delay_alu instid0(VALU_DEP_1)
	v_add_f64 v[33:34], v[17:18], -v[25:26]
	s_and_not1_saveexec_b32 s2, s3
	s_cbranch_execnz .LBB132_87
	s_branch .LBB132_88
.LBB132_86:                             ;   in Loop: Header=BB132_4 Depth=1
	s_and_not1_saveexec_b32 s2, s3
	s_cbranch_execz .LBB132_88
.LBB132_87:                             ;   in Loop: Header=BB132_4 Depth=1
	v_mul_f64 v[17:18], |v[19:20]|, s[22:23]
	s_mov_b32 s18, s24
	s_delay_alu instid0(VALU_DEP_1) | instskip(NEXT) | instid1(VALU_DEP_1)
	v_rndne_f64_e32 v[17:18], v[17:18]
	v_fma_f64 v[25:26], v[17:18], s[14:15], |v[19:20]|
	v_mul_f64 v[27:28], v[17:18], s[24:25]
	v_cvt_i32_f64_e32 v38, v[17:18]
	s_delay_alu instid0(VALU_DEP_3) | instskip(NEXT) | instid1(VALU_DEP_3)
	v_fma_f64 v[33:34], v[17:18], s[24:25], v[25:26]
	v_add_f64 v[29:30], v[25:26], v[27:28]
	s_delay_alu instid0(VALU_DEP_1) | instskip(NEXT) | instid1(VALU_DEP_3)
	v_add_f64 v[25:26], v[25:26], -v[29:30]
	v_add_f64 v[29:30], v[29:30], -v[33:34]
	s_delay_alu instid0(VALU_DEP_2) | instskip(SKIP_1) | instid1(VALU_DEP_2)
	v_add_f64 v[25:26], v[25:26], v[27:28]
	v_fma_f64 v[27:28], v[17:18], s[18:19], v[27:28]
	v_add_f64 v[25:26], v[29:30], v[25:26]
	s_delay_alu instid0(VALU_DEP_1) | instskip(NEXT) | instid1(VALU_DEP_1)
	v_add_f64 v[25:26], v[25:26], -v[27:28]
	v_fma_f64 v[25:26], v[17:18], s[26:27], v[25:26]
	s_delay_alu instid0(VALU_DEP_1) | instskip(NEXT) | instid1(VALU_DEP_1)
	v_add_f64 v[31:32], v[33:34], v[25:26]
	v_add_f64 v[27:28], v[31:32], -v[33:34]
	s_delay_alu instid0(VALU_DEP_1)
	v_add_f64 v[33:34], v[25:26], -v[27:28]
.LBB132_88:                             ;   in Loop: Header=BB132_4 Depth=1
	s_or_b32 exec_lo, exec_lo, s2
	v_mul_f64 v[17:18], v[13:14], v[13:14]
	v_mul_f64 v[25:26], v[31:32], v[31:32]
	s_delay_alu instid0(VALU_DEP_3) | instskip(NEXT) | instid1(VALU_DEP_4)
	v_mul_f64 v[51:52], v[15:16], 0.5
	v_mul_f64 v[57:58], v[33:34], 0.5
	s_mov_b32 s80, s50
	v_cmp_class_f64_e64 s2, v[19:20], 0x1f8
	v_fma_f64 v[27:28], v[17:18], s[68:69], s[66:67]
	v_fma_f64 v[29:30], v[25:26], s[68:69], s[66:67]
	v_mul_f64 v[41:42], v[17:18], 0.5
	v_fma_f64 v[39:40], v[17:18], s[58:59], s[56:57]
	v_fma_f64 v[43:44], v[25:26], s[58:59], s[56:57]
	v_mul_f64 v[45:46], v[25:26], 0.5
	v_mul_f64 v[53:54], v[13:14], -v[17:18]
	v_mul_f64 v[59:60], v[31:32], -v[25:26]
	v_fma_f64 v[27:28], v[17:18], v[27:28], s[70:71]
	v_fma_f64 v[29:30], v[25:26], v[29:30], s[70:71]
	v_add_f64 v[47:48], -v[41:42], 1.0
	v_fma_f64 v[39:40], v[17:18], v[39:40], s[60:61]
	v_fma_f64 v[43:44], v[25:26], v[43:44], s[60:61]
	v_add_f64 v[49:50], -v[45:46], 1.0
	;; [unrolled: 3-line block ×4, first 2 shown]
	v_fma_f64 v[27:28], v[17:18], v[27:28], s[48:49]
	v_fma_f64 v[29:30], v[25:26], v[29:30], s[48:49]
	v_add_f64 v[41:42], v[55:56], -v[41:42]
	v_fma_f64 v[39:40], v[17:18], v[39:40], s[64:65]
	v_fma_f64 v[43:44], v[25:26], v[43:44], s[64:65]
	v_add_f64 v[45:46], v[61:62], -v[45:46]
	v_fma_f64 v[27:28], v[53:54], v[27:28], v[51:52]
	v_fma_f64 v[29:30], v[59:60], v[29:30], v[57:58]
	v_fma_f64 v[41:42], v[13:14], -v[15:16], v[41:42]
	v_mul_f64 v[51:52], v[17:18], v[17:18]
	v_fma_f64 v[39:40], v[17:18], v[39:40], s[50:51]
	v_fma_f64 v[15:16], v[17:18], v[27:28], -v[15:16]
	v_mul_f64 v[17:18], v[25:26], v[25:26]
	v_fma_f64 v[27:28], v[25:26], v[43:44], s[50:51]
	v_fma_f64 v[43:44], v[31:32], -v[33:34], v[45:46]
	v_fma_f64 v[25:26], v[25:26], v[29:30], -v[33:34]
	v_fma_f64 v[29:30], v[51:52], v[39:40], v[41:42]
	v_fma_f64 v[15:16], v[53:54], s[80:81], v[15:16]
	s_delay_alu instid0(VALU_DEP_4) | instskip(NEXT) | instid1(VALU_DEP_4)
	v_fma_f64 v[17:18], v[17:18], v[27:28], v[43:44]
	v_fma_f64 v[25:26], v[59:60], s[80:81], v[25:26]
	s_delay_alu instid0(VALU_DEP_4) | instskip(NEXT) | instid1(VALU_DEP_4)
	v_add_f64 v[27:28], v[47:48], v[29:30]
	v_add_f64 v[13:14], v[13:14], -v[15:16]
	v_and_b32_e32 v22, 1, v36
	v_add_f64 v[15:16], v[49:50], v[17:18]
	v_add_f64 v[17:18], v[31:32], -v[25:26]
	v_lshlrev_b32_e32 v25, 30, v36
	s_delay_alu instid0(VALU_DEP_4) | instskip(SKIP_1) | instid1(VALU_DEP_1)
	v_cmp_eq_u32_e32 vcc_lo, 0, v22
	v_and_b32_e32 v22, 1, v38
	v_cmp_eq_u32_e64 s3, 0, v22
	v_cndmask_b32_e32 v13, v13, v27, vcc_lo
	v_xor_b32_e32 v14, 0x80000000, v14
	v_lshlrev_b32_e32 v19, 30, v38
	s_delay_alu instid0(VALU_DEP_4) | instskip(SKIP_1) | instid1(VALU_DEP_4)
	v_cndmask_b32_e64 v16, v16, v18, s3
	v_cndmask_b32_e64 v15, v15, v17, s3
	v_cndmask_b32_e32 v14, v14, v28, vcc_lo
	s_delay_alu instid0(VALU_DEP_4) | instskip(SKIP_3) | instid1(VALU_DEP_4)
	v_xor_b32_e32 v19, v19, v20
	v_and_b32_e32 v20, 0x80000000, v25
	v_cndmask_b32_e64 v13, 0, v13, s2
	v_cndmask_b32_e64 v15, 0, v15, s2
	v_and_b32_e32 v19, 0x80000000, v19
	s_delay_alu instid0(VALU_DEP_4) | instskip(NEXT) | instid1(VALU_DEP_2)
	v_xor_b32_e32 v14, v14, v20
	v_xor_b32_e32 v16, v16, v19
	s_delay_alu instid0(VALU_DEP_2) | instskip(NEXT) | instid1(VALU_DEP_2)
	v_cndmask_b32_e64 v14, 0x7ff80000, v14, s2
	v_cndmask_b32_e64 v16, 0x7ff80000, v16, s2
.LBB132_89:                             ;   in Loop: Header=BB132_4 Depth=1
	s_or_b32 exec_lo, exec_lo, s4
                                        ; implicit-def: $vgpr17_vgpr18
.LBB132_90:                             ;   in Loop: Header=BB132_4 Depth=1
	s_and_not1_saveexec_b32 s3, s90
	s_cbranch_execz .LBB132_92
; %bb.91:                               ;   in Loop: Header=BB132_4 Depth=1
	v_mul_f64 v[13:14], v[17:18], s[28:29]
	s_mov_b32 s77, s49
	s_mov_b32 s79, s51
	v_cmp_nlt_f64_e32 vcc_lo, 0x40900000, v[17:18]
	v_cmp_ngt_f64_e64 s2, 0xc090cc00, v[17:18]
	s_delay_alu instid0(VALU_DEP_3) | instskip(NEXT) | instid1(VALU_DEP_1)
	v_rndne_f64_e32 v[13:14], v[13:14]
	v_fma_f64 v[15:16], v[13:14], s[30:31], v[17:18]
	v_cvt_i32_f64_e32 v22, v[13:14]
	s_delay_alu instid0(VALU_DEP_2) | instskip(NEXT) | instid1(VALU_DEP_1)
	v_fma_f64 v[15:16], v[13:14], s[34:35], v[15:16]
	v_fma_f64 v[25:26], v[15:16], s[38:39], s[36:37]
	s_delay_alu instid0(VALU_DEP_1) | instskip(NEXT) | instid1(VALU_DEP_1)
	v_fma_f64 v[25:26], v[15:16], v[25:26], s[40:41]
	v_fma_f64 v[25:26], v[15:16], v[25:26], s[42:43]
	s_delay_alu instid0(VALU_DEP_1) | instskip(NEXT) | instid1(VALU_DEP_1)
	;; [unrolled: 3-line block ×5, first 2 shown]
	v_fma_f64 v[25:26], v[15:16], v[25:26], 1.0
	v_fma_f64 v[13:14], v[15:16], v[25:26], 1.0
	v_dual_mov_b32 v15, v19 :: v_dual_mov_b32 v16, v20
	s_delay_alu instid0(VALU_DEP_2) | instskip(NEXT) | instid1(VALU_DEP_1)
	v_ldexp_f64 v[13:14], v[13:14], v22
	v_cndmask_b32_e32 v14, 0x7ff00000, v14, vcc_lo
	s_and_b32 vcc_lo, s2, vcc_lo
	s_delay_alu instid0(VALU_DEP_2) | instskip(NEXT) | instid1(VALU_DEP_2)
	v_cndmask_b32_e32 v13, 0, v13, vcc_lo
	v_cndmask_b32_e64 v14, 0, v14, s2
.LBB132_92:                             ;   in Loop: Header=BB132_4 Depth=1
	s_or_b32 exec_lo, exec_lo, s3
	s_waitcnt vmcnt(0)
	v_and_b32_e32 v17, 0x7fffffff, v12
                                        ; implicit-def: $vgpr19_vgpr20
	s_mov_b32 s2, exec_lo
	s_delay_alu instid0(VALU_DEP_1) | instskip(NEXT) | instid1(VALU_DEP_1)
	v_or_b32_e32 v18, v17, v11
	v_cmpx_ne_u32_e32 0, v18
	s_xor_b32 s90, exec_lo, s2
	s_cbranch_execz .LBB132_134
; %bb.93:                               ;   in Loop: Header=BB132_4 Depth=1
	v_and_b32_e32 v22, 0x7fffffff, v10
                                        ; implicit-def: $vgpr19_vgpr20
	s_mov_b32 s2, exec_lo
	s_delay_alu instid0(VALU_DEP_1) | instskip(NEXT) | instid1(VALU_DEP_1)
	v_or_b32_e32 v18, v22, v9
	v_cmpx_ne_u32_e32 0, v18
	s_xor_b32 s91, exec_lo, s2
	s_cbranch_execz .LBB132_123
; %bb.94:                               ;   in Loop: Header=BB132_4 Depth=1
                                        ; implicit-def: $vgpr19_vgpr20
	s_mov_b32 s2, exec_lo
	v_cmpx_gt_u32_e32 0x7ff00000, v17
	s_xor_b32 s92, exec_lo, s2
	s_cbranch_execz .LBB132_116
; %bb.95:                               ;   in Loop: Header=BB132_4 Depth=1
	v_add_nc_u32_e32 v17, 0xbf79d1be, v10
                                        ; implicit-def: $vgpr19_vgpr20
	s_mov_b32 s2, exec_lo
	s_delay_alu instid0(VALU_DEP_1)
	v_cmpx_lt_u32_e32 0x108aa2, v17
	s_xor_b32 s93, exec_lo, s2
	s_cbranch_execz .LBB132_105
; %bb.96:                               ;   in Loop: Header=BB132_4 Depth=1
	v_cmp_ngt_f64_e64 s3, 0x41d00000, |v[11:12]|
                                        ; implicit-def: $vgpr29
                                        ; implicit-def: $vgpr17_vgpr18
                                        ; implicit-def: $vgpr19_vgpr20
	s_delay_alu instid0(VALU_DEP_1) | instskip(NEXT) | instid1(SALU_CYCLE_1)
	s_and_saveexec_b32 s2, s3
	s_xor_b32 s4, exec_lo, s2
	s_cbranch_execz .LBB132_98
; %bb.97:                               ;   in Loop: Header=BB132_4 Depth=1
	v_ldexp_f64 v[17:18], |v[11:12]|, 0xffffff80
	v_cmp_le_f64_e64 vcc_lo, 0x7b000000, |v[11:12]|
	v_trig_preop_f64 v[19:20], |v[11:12]|, 0
	v_and_b32_e32 v22, 0x7fffffff, v12
	v_trig_preop_f64 v[25:26], |v[11:12]|, 1
	v_trig_preop_f64 v[36:37], |v[11:12]|, 2
	s_mov_b32 s12, s14
	s_mov_b32 s21, s19
	v_dual_cndmask_b32 v17, v11, v17 :: v_dual_cndmask_b32 v18, v22, v18
	s_delay_alu instid0(VALU_DEP_1) | instskip(NEXT) | instid1(VALU_DEP_4)
	v_mul_f64 v[27:28], v[19:20], v[17:18]
	v_mul_f64 v[29:30], v[25:26], v[17:18]
	s_delay_alu instid0(VALU_DEP_2) | instskip(NEXT) | instid1(VALU_DEP_2)
	v_fma_f64 v[19:20], v[19:20], v[17:18], -v[27:28]
	v_fma_f64 v[25:26], v[25:26], v[17:18], -v[29:30]
	s_delay_alu instid0(VALU_DEP_2) | instskip(NEXT) | instid1(VALU_DEP_1)
	v_add_f64 v[31:32], v[29:30], v[19:20]
	v_add_f64 v[33:34], v[31:32], -v[29:30]
	v_add_f64 v[40:41], v[27:28], v[31:32]
	s_delay_alu instid0(VALU_DEP_2) | instskip(SKIP_1) | instid1(VALU_DEP_3)
	v_add_f64 v[38:39], v[31:32], -v[33:34]
	v_add_f64 v[19:20], v[19:20], -v[33:34]
	v_ldexp_f64 v[33:34], v[40:41], -2
	v_add_f64 v[27:28], v[40:41], -v[27:28]
	s_delay_alu instid0(VALU_DEP_4) | instskip(NEXT) | instid1(VALU_DEP_3)
	v_add_f64 v[29:30], v[29:30], -v[38:39]
	v_cmp_neq_f64_e64 vcc_lo, 0x7ff00000, |v[33:34]|
	s_delay_alu instid0(VALU_DEP_3) | instskip(NEXT) | instid1(VALU_DEP_3)
	v_add_f64 v[27:28], v[31:32], -v[27:28]
	v_add_f64 v[19:20], v[19:20], v[29:30]
	v_fract_f64_e32 v[29:30], v[33:34]
	s_delay_alu instid0(VALU_DEP_1) | instskip(SKIP_1) | instid1(VALU_DEP_3)
	v_cndmask_b32_e32 v29, 0, v29, vcc_lo
	v_mul_f64 v[42:43], v[36:37], v[17:18]
	v_cndmask_b32_e32 v30, 0, v30, vcc_lo
	s_delay_alu instid0(VALU_DEP_1) | instskip(NEXT) | instid1(VALU_DEP_3)
	v_ldexp_f64 v[29:30], v[29:30], 2
	v_add_f64 v[38:39], v[42:43], v[25:26]
	v_fma_f64 v[17:18], v[36:37], v[17:18], -v[42:43]
	s_delay_alu instid0(VALU_DEP_2) | instskip(NEXT) | instid1(VALU_DEP_1)
	v_add_f64 v[31:32], v[38:39], v[19:20]
	v_add_f64 v[33:34], v[27:28], v[31:32]
	v_add_f64 v[44:45], v[31:32], -v[38:39]
	s_delay_alu instid0(VALU_DEP_2) | instskip(NEXT) | instid1(VALU_DEP_2)
	v_add_f64 v[40:41], v[33:34], v[29:30]
	v_add_f64 v[50:51], v[31:32], -v[44:45]
	v_add_f64 v[19:20], v[19:20], -v[44:45]
	;; [unrolled: 1-line block ×3, first 2 shown]
	s_delay_alu instid0(VALU_DEP_4) | instskip(SKIP_1) | instid1(VALU_DEP_3)
	v_cmp_gt_f64_e32 vcc_lo, 0, v[40:41]
	v_add_f64 v[40:41], v[38:39], -v[42:43]
	v_add_f64 v[27:28], v[31:32], -v[27:28]
	v_cndmask_b32_e64 v22, 0, 0x40100000, vcc_lo
	s_delay_alu instid0(VALU_DEP_3) | instskip(SKIP_2) | instid1(VALU_DEP_4)
	v_add_f64 v[48:49], v[38:39], -v[40:41]
	v_add_f64 v[25:26], v[25:26], -v[40:41]
	v_add_f64 v[38:39], v[38:39], -v[50:51]
	v_add_f64 v[29:30], v[29:30], v[21:22]
	s_delay_alu instid0(VALU_DEP_4) | instskip(NEXT) | instid1(VALU_DEP_3)
	v_add_f64 v[40:41], v[42:43], -v[48:49]
	v_add_f64 v[19:20], v[19:20], v[38:39]
	s_delay_alu instid0(VALU_DEP_3) | instskip(NEXT) | instid1(VALU_DEP_3)
	v_add_f64 v[46:47], v[33:34], v[29:30]
	v_add_f64 v[25:26], v[25:26], v[40:41]
	s_delay_alu instid0(VALU_DEP_2) | instskip(NEXT) | instid1(VALU_DEP_2)
	v_cvt_i32_f64_e32 v22, v[46:47]
	v_add_f64 v[19:20], v[25:26], v[19:20]
	s_delay_alu instid0(VALU_DEP_2) | instskip(NEXT) | instid1(VALU_DEP_2)
	v_cvt_f64_i32_e32 v[44:45], v22
	v_add_f64 v[17:18], v[17:18], v[19:20]
	s_delay_alu instid0(VALU_DEP_2) | instskip(NEXT) | instid1(VALU_DEP_2)
	v_add_f64 v[29:30], v[29:30], -v[44:45]
	v_add_f64 v[17:18], v[27:28], v[17:18]
	s_delay_alu instid0(VALU_DEP_2) | instskip(NEXT) | instid1(VALU_DEP_1)
	v_add_f64 v[25:26], v[33:34], v[29:30]
	v_add_f64 v[19:20], v[25:26], -v[29:30]
	v_cmp_le_f64_e32 vcc_lo, 0.5, v[25:26]
	s_delay_alu instid0(VALU_DEP_2) | instskip(SKIP_2) | instid1(VALU_DEP_3)
	v_add_f64 v[19:20], v[33:34], -v[19:20]
	v_add_co_ci_u32_e64 v29, s2, 0, v22, vcc_lo
	v_cndmask_b32_e64 v22, 0, 0x3ff00000, vcc_lo
	v_add_f64 v[17:18], v[17:18], v[19:20]
	s_delay_alu instid0(VALU_DEP_2) | instskip(NEXT) | instid1(VALU_DEP_1)
	v_add_f64 v[19:20], v[25:26], -v[21:22]
	v_add_f64 v[25:26], v[19:20], v[17:18]
	s_delay_alu instid0(VALU_DEP_1) | instskip(SKIP_1) | instid1(VALU_DEP_2)
	v_mul_f64 v[27:28], v[25:26], s[12:13]
	v_add_f64 v[19:20], v[25:26], -v[19:20]
	v_fma_f64 v[30:31], v[25:26], s[12:13], -v[27:28]
	s_delay_alu instid0(VALU_DEP_2) | instskip(NEXT) | instid1(VALU_DEP_2)
	v_add_f64 v[17:18], v[17:18], -v[19:20]
	v_fma_f64 v[19:20], v[25:26], s[20:21], v[30:31]
	s_delay_alu instid0(VALU_DEP_1) | instskip(NEXT) | instid1(VALU_DEP_1)
	v_fma_f64 v[19:20], v[17:18], s[12:13], v[19:20]
	v_add_f64 v[17:18], v[27:28], v[19:20]
	s_delay_alu instid0(VALU_DEP_1) | instskip(NEXT) | instid1(VALU_DEP_1)
	v_add_f64 v[25:26], v[17:18], -v[27:28]
	v_add_f64 v[19:20], v[19:20], -v[25:26]
	s_and_not1_saveexec_b32 s2, s4
	s_cbranch_execz .LBB132_100
	s_branch .LBB132_99
.LBB132_98:                             ;   in Loop: Header=BB132_4 Depth=1
	s_and_not1_saveexec_b32 s2, s4
	s_cbranch_execz .LBB132_100
.LBB132_99:                             ;   in Loop: Header=BB132_4 Depth=1
	v_mul_f64 v[17:18], |v[11:12]|, s[22:23]
	s_mov_b32 s18, s24
	s_delay_alu instid0(VALU_DEP_1) | instskip(NEXT) | instid1(VALU_DEP_1)
	v_rndne_f64_e32 v[25:26], v[17:18]
	v_fma_f64 v[17:18], v[25:26], s[14:15], |v[11:12]|
	v_mul_f64 v[19:20], v[25:26], s[24:25]
	s_delay_alu instid0(VALU_DEP_2) | instskip(NEXT) | instid1(VALU_DEP_2)
	v_fma_f64 v[29:30], v[25:26], s[24:25], v[17:18]
	v_add_f64 v[27:28], v[17:18], v[19:20]
	s_delay_alu instid0(VALU_DEP_1) | instskip(NEXT) | instid1(VALU_DEP_3)
	v_add_f64 v[17:18], v[17:18], -v[27:28]
	v_add_f64 v[27:28], v[27:28], -v[29:30]
	s_delay_alu instid0(VALU_DEP_2) | instskip(SKIP_1) | instid1(VALU_DEP_2)
	v_add_f64 v[17:18], v[17:18], v[19:20]
	v_fma_f64 v[19:20], v[25:26], s[18:19], v[19:20]
	v_add_f64 v[17:18], v[27:28], v[17:18]
	s_delay_alu instid0(VALU_DEP_1) | instskip(NEXT) | instid1(VALU_DEP_1)
	v_add_f64 v[17:18], v[17:18], -v[19:20]
	v_fma_f64 v[19:20], v[25:26], s[26:27], v[17:18]
	s_delay_alu instid0(VALU_DEP_1) | instskip(NEXT) | instid1(VALU_DEP_1)
	v_add_f64 v[17:18], v[29:30], v[19:20]
	v_add_f64 v[27:28], v[17:18], -v[29:30]
	v_cvt_i32_f64_e32 v29, v[25:26]
	s_delay_alu instid0(VALU_DEP_2)
	v_add_f64 v[19:20], v[19:20], -v[27:28]
.LBB132_100:                            ;   in Loop: Header=BB132_4 Depth=1
	s_or_b32 exec_lo, exec_lo, s2
                                        ; implicit-def: $vgpr30
                                        ; implicit-def: $vgpr25_vgpr26
                                        ; implicit-def: $vgpr27_vgpr28
	s_and_saveexec_b32 s2, s3
	s_delay_alu instid0(SALU_CYCLE_1)
	s_xor_b32 s3, exec_lo, s2
	s_cbranch_execz .LBB132_102
; %bb.101:                              ;   in Loop: Header=BB132_4 Depth=1
	v_ldexp_f64 v[25:26], |v[11:12]|, 0xffffff80
	v_cmp_le_f64_e64 vcc_lo, 0x7b000000, |v[11:12]|
	v_trig_preop_f64 v[27:28], |v[11:12]|, 0
	v_and_b32_e32 v22, 0x7fffffff, v12
	v_trig_preop_f64 v[30:31], |v[11:12]|, 1
	v_trig_preop_f64 v[42:43], |v[11:12]|, 2
	s_mov_b32 s12, s14
	s_mov_b32 s21, s19
	v_dual_cndmask_b32 v25, v11, v25 :: v_dual_cndmask_b32 v26, v22, v26
	s_delay_alu instid0(VALU_DEP_1) | instskip(NEXT) | instid1(VALU_DEP_4)
	v_mul_f64 v[32:33], v[27:28], v[25:26]
	v_mul_f64 v[36:37], v[30:31], v[25:26]
	s_delay_alu instid0(VALU_DEP_2) | instskip(NEXT) | instid1(VALU_DEP_2)
	v_fma_f64 v[27:28], v[27:28], v[25:26], -v[32:33]
	v_fma_f64 v[30:31], v[30:31], v[25:26], -v[36:37]
	s_delay_alu instid0(VALU_DEP_2) | instskip(NEXT) | instid1(VALU_DEP_1)
	v_add_f64 v[38:39], v[36:37], v[27:28]
	v_add_f64 v[40:41], v[38:39], -v[36:37]
	v_add_f64 v[46:47], v[32:33], v[38:39]
	s_delay_alu instid0(VALU_DEP_2) | instskip(SKIP_1) | instid1(VALU_DEP_3)
	v_add_f64 v[44:45], v[38:39], -v[40:41]
	v_add_f64 v[27:28], v[27:28], -v[40:41]
	v_ldexp_f64 v[40:41], v[46:47], -2
	v_add_f64 v[32:33], v[46:47], -v[32:33]
	s_delay_alu instid0(VALU_DEP_4) | instskip(NEXT) | instid1(VALU_DEP_3)
	v_add_f64 v[36:37], v[36:37], -v[44:45]
	v_cmp_neq_f64_e64 vcc_lo, 0x7ff00000, |v[40:41]|
	s_delay_alu instid0(VALU_DEP_3) | instskip(NEXT) | instid1(VALU_DEP_3)
	v_add_f64 v[32:33], v[38:39], -v[32:33]
	v_add_f64 v[27:28], v[27:28], v[36:37]
	v_fract_f64_e32 v[36:37], v[40:41]
	s_delay_alu instid0(VALU_DEP_1) | instskip(SKIP_1) | instid1(VALU_DEP_3)
	v_cndmask_b32_e32 v37, 0, v37, vcc_lo
	v_mul_f64 v[48:49], v[42:43], v[25:26]
	v_cndmask_b32_e32 v36, 0, v36, vcc_lo
	s_delay_alu instid0(VALU_DEP_1) | instskip(NEXT) | instid1(VALU_DEP_3)
	v_ldexp_f64 v[36:37], v[36:37], 2
	v_add_f64 v[44:45], v[48:49], v[30:31]
	v_fma_f64 v[25:26], v[42:43], v[25:26], -v[48:49]
	s_delay_alu instid0(VALU_DEP_2) | instskip(NEXT) | instid1(VALU_DEP_1)
	v_add_f64 v[38:39], v[44:45], v[27:28]
	v_add_f64 v[40:41], v[32:33], v[38:39]
	v_add_f64 v[50:51], v[38:39], -v[44:45]
	s_delay_alu instid0(VALU_DEP_2) | instskip(NEXT) | instid1(VALU_DEP_2)
	v_add_f64 v[46:47], v[40:41], v[36:37]
	v_add_f64 v[56:57], v[38:39], -v[50:51]
	v_add_f64 v[27:28], v[27:28], -v[50:51]
	;; [unrolled: 1-line block ×3, first 2 shown]
	s_delay_alu instid0(VALU_DEP_4) | instskip(SKIP_2) | instid1(VALU_DEP_2)
	v_cmp_gt_f64_e32 vcc_lo, 0, v[46:47]
	v_add_f64 v[46:47], v[44:45], -v[48:49]
	v_cndmask_b32_e64 v22, 0, 0x40100000, vcc_lo
	v_add_f64 v[54:55], v[44:45], -v[46:47]
	v_add_f64 v[30:31], v[30:31], -v[46:47]
	;; [unrolled: 1-line block ×3, first 2 shown]
	s_delay_alu instid0(VALU_DEP_4) | instskip(NEXT) | instid1(VALU_DEP_4)
	v_add_f64 v[36:37], v[36:37], v[21:22]
	v_add_f64 v[46:47], v[48:49], -v[54:55]
	s_delay_alu instid0(VALU_DEP_3) | instskip(NEXT) | instid1(VALU_DEP_3)
	v_add_f64 v[27:28], v[27:28], v[44:45]
	v_add_f64 v[52:53], v[40:41], v[36:37]
	s_delay_alu instid0(VALU_DEP_3) | instskip(NEXT) | instid1(VALU_DEP_2)
	v_add_f64 v[30:31], v[30:31], v[46:47]
	v_cvt_i32_f64_e32 v22, v[52:53]
	s_delay_alu instid0(VALU_DEP_2) | instskip(SKIP_1) | instid1(VALU_DEP_3)
	v_add_f64 v[27:28], v[30:31], v[27:28]
	v_add_f64 v[30:31], v[38:39], -v[32:33]
	v_cvt_f64_i32_e32 v[50:51], v22
	s_delay_alu instid0(VALU_DEP_3) | instskip(NEXT) | instid1(VALU_DEP_2)
	v_add_f64 v[25:26], v[25:26], v[27:28]
	v_add_f64 v[36:37], v[36:37], -v[50:51]
	s_delay_alu instid0(VALU_DEP_2) | instskip(NEXT) | instid1(VALU_DEP_2)
	v_add_f64 v[25:26], v[30:31], v[25:26]
	v_add_f64 v[42:43], v[40:41], v[36:37]
	s_delay_alu instid0(VALU_DEP_1) | instskip(SKIP_1) | instid1(VALU_DEP_2)
	v_add_f64 v[27:28], v[42:43], -v[36:37]
	v_cmp_le_f64_e32 vcc_lo, 0.5, v[42:43]
	v_add_f64 v[27:28], v[40:41], -v[27:28]
	v_add_co_ci_u32_e64 v30, s2, 0, v22, vcc_lo
	v_cndmask_b32_e64 v22, 0, 0x3ff00000, vcc_lo
	s_delay_alu instid0(VALU_DEP_3) | instskip(NEXT) | instid1(VALU_DEP_2)
	v_add_f64 v[25:26], v[25:26], v[27:28]
	v_add_f64 v[27:28], v[42:43], -v[21:22]
	s_delay_alu instid0(VALU_DEP_1) | instskip(NEXT) | instid1(VALU_DEP_1)
	v_add_f64 v[31:32], v[27:28], v[25:26]
	v_mul_f64 v[33:34], v[31:32], s[12:13]
	v_add_f64 v[27:28], v[31:32], -v[27:28]
	s_delay_alu instid0(VALU_DEP_2) | instskip(NEXT) | instid1(VALU_DEP_2)
	v_fma_f64 v[36:37], v[31:32], s[12:13], -v[33:34]
	v_add_f64 v[25:26], v[25:26], -v[27:28]
	s_delay_alu instid0(VALU_DEP_2) | instskip(NEXT) | instid1(VALU_DEP_1)
	v_fma_f64 v[27:28], v[31:32], s[20:21], v[36:37]
	v_fma_f64 v[27:28], v[25:26], s[12:13], v[27:28]
	s_delay_alu instid0(VALU_DEP_1) | instskip(NEXT) | instid1(VALU_DEP_1)
	v_add_f64 v[25:26], v[33:34], v[27:28]
	v_add_f64 v[31:32], v[25:26], -v[33:34]
	s_delay_alu instid0(VALU_DEP_1)
	v_add_f64 v[27:28], v[27:28], -v[31:32]
	s_and_not1_saveexec_b32 s2, s3
	s_cbranch_execnz .LBB132_103
	s_branch .LBB132_104
.LBB132_102:                            ;   in Loop: Header=BB132_4 Depth=1
	s_and_not1_saveexec_b32 s2, s3
	s_cbranch_execz .LBB132_104
.LBB132_103:                            ;   in Loop: Header=BB132_4 Depth=1
	v_mul_f64 v[25:26], |v[11:12]|, s[22:23]
	s_mov_b32 s18, s24
	s_delay_alu instid0(VALU_DEP_1) | instskip(NEXT) | instid1(VALU_DEP_1)
	v_rndne_f64_e32 v[30:31], v[25:26]
	v_fma_f64 v[25:26], v[30:31], s[14:15], |v[11:12]|
	v_mul_f64 v[27:28], v[30:31], s[24:25]
	s_delay_alu instid0(VALU_DEP_2) | instskip(NEXT) | instid1(VALU_DEP_2)
	v_fma_f64 v[36:37], v[30:31], s[24:25], v[25:26]
	v_add_f64 v[32:33], v[25:26], v[27:28]
	s_delay_alu instid0(VALU_DEP_1) | instskip(NEXT) | instid1(VALU_DEP_3)
	v_add_f64 v[25:26], v[25:26], -v[32:33]
	v_add_f64 v[32:33], v[32:33], -v[36:37]
	s_delay_alu instid0(VALU_DEP_2) | instskip(SKIP_1) | instid1(VALU_DEP_2)
	v_add_f64 v[25:26], v[25:26], v[27:28]
	v_fma_f64 v[27:28], v[30:31], s[18:19], v[27:28]
	v_add_f64 v[25:26], v[32:33], v[25:26]
	s_delay_alu instid0(VALU_DEP_1) | instskip(NEXT) | instid1(VALU_DEP_1)
	v_add_f64 v[25:26], v[25:26], -v[27:28]
	v_fma_f64 v[27:28], v[30:31], s[26:27], v[25:26]
	v_cvt_i32_f64_e32 v30, v[30:31]
	s_delay_alu instid0(VALU_DEP_2) | instskip(NEXT) | instid1(VALU_DEP_1)
	v_add_f64 v[25:26], v[36:37], v[27:28]
	v_add_f64 v[32:33], v[25:26], -v[36:37]
	s_delay_alu instid0(VALU_DEP_1)
	v_add_f64 v[27:28], v[27:28], -v[32:33]
.LBB132_104:                            ;   in Loop: Header=BB132_4 Depth=1
	s_or_b32 exec_lo, exec_lo, s2
	v_mul_f64 v[31:32], v[9:10], s[28:29]
	v_mul_f64 v[38:39], v[17:18], v[17:18]
	;; [unrolled: 1-line block ×3, first 2 shown]
	s_mov_b32 s77, s49
	s_mov_b32 s79, s51
	s_delay_alu instid0(VALU_DEP_4)
	v_mul_f64 v[58:59], v[19:20], 0.5
	v_mul_f64 v[64:65], v[27:28], 0.5
	s_mov_b32 s80, s50
	v_cmp_nlt_f64_e64 s3, 0x40900000, v[9:10]
	v_cmp_ngt_f64_e64 s4, 0xc090cc00, v[9:10]
	v_cmp_class_f64_e64 s2, v[11:12], 0x1f8
	v_and_b32_e32 v11, 1, v30
	s_delay_alu instid0(VALU_DEP_1)
	v_cmp_eq_u32_e64 s5, 0, v11
	v_rndne_f64_e32 v[31:32], v[31:32]
	v_fma_f64 v[42:43], v[38:39], s[68:69], s[66:67]
	v_fma_f64 v[44:45], v[40:41], s[68:69], s[66:67]
	v_mul_f64 v[48:49], v[38:39], 0.5
	v_fma_f64 v[46:47], v[38:39], s[58:59], s[56:57]
	v_fma_f64 v[50:51], v[40:41], s[58:59], s[56:57]
	v_mul_f64 v[52:53], v[40:41], 0.5
	v_mul_f64 v[60:61], v[17:18], -v[38:39]
	v_mul_f64 v[66:67], v[25:26], -v[40:41]
	v_fma_f64 v[33:34], v[31:32], s[30:31], v[9:10]
	v_fma_f64 v[42:43], v[38:39], v[42:43], s[70:71]
	;; [unrolled: 1-line block ×3, first 2 shown]
	v_add_f64 v[54:55], -v[48:49], 1.0
	v_fma_f64 v[46:47], v[38:39], v[46:47], s[60:61]
	v_fma_f64 v[50:51], v[40:41], v[50:51], s[60:61]
	v_add_f64 v[56:57], -v[52:53], 1.0
	v_cvt_i32_f64_e32 v22, v[31:32]
	v_lshlrev_b32_e32 v9, 30, v30
	s_delay_alu instid0(VALU_DEP_1) | instskip(NEXT) | instid1(VALU_DEP_1)
	v_xor_b32_e32 v9, v9, v12
	v_and_b32_e32 v12, 0x80000000, v9
	v_fma_f64 v[33:34], v[31:32], s[34:35], v[33:34]
	v_fma_f64 v[42:43], v[38:39], v[42:43], s[72:73]
	v_fma_f64 v[44:45], v[40:41], v[44:45], s[72:73]
	v_add_f64 v[62:63], -v[54:55], 1.0
	v_fma_f64 v[46:47], v[38:39], v[46:47], s[62:63]
	v_fma_f64 v[50:51], v[40:41], v[50:51], s[62:63]
	v_add_f64 v[68:69], -v[56:57], 1.0
	v_fma_f64 v[36:37], v[33:34], s[38:39], s[36:37]
	v_fma_f64 v[42:43], v[38:39], v[42:43], s[48:49]
	;; [unrolled: 1-line block ×3, first 2 shown]
	v_add_f64 v[48:49], v[62:63], -v[48:49]
	v_fma_f64 v[46:47], v[38:39], v[46:47], s[64:65]
	v_fma_f64 v[50:51], v[40:41], v[50:51], s[64:65]
	v_add_f64 v[52:53], v[68:69], -v[52:53]
	v_fma_f64 v[36:37], v[33:34], v[36:37], s[40:41]
	v_fma_f64 v[42:43], v[60:61], v[42:43], v[58:59]
	;; [unrolled: 1-line block ×3, first 2 shown]
	v_fma_f64 v[48:49], v[17:18], -v[19:20], v[48:49]
	v_mul_f64 v[58:59], v[38:39], v[38:39]
	v_fma_f64 v[46:47], v[38:39], v[46:47], s[50:51]
	v_fma_f64 v[36:37], v[33:34], v[36:37], s[42:43]
	v_fma_f64 v[19:20], v[38:39], v[42:43], -v[19:20]
	v_mul_f64 v[38:39], v[40:41], v[40:41]
	v_fma_f64 v[42:43], v[40:41], v[50:51], s[50:51]
	v_fma_f64 v[50:51], v[25:26], -v[27:28], v[52:53]
	v_fma_f64 v[27:28], v[40:41], v[44:45], -v[27:28]
	v_fma_f64 v[40:41], v[58:59], v[46:47], v[48:49]
	v_fma_f64 v[36:37], v[33:34], v[36:37], s[44:45]
	;; [unrolled: 1-line block ×3, first 2 shown]
	s_delay_alu instid0(VALU_DEP_4) | instskip(NEXT) | instid1(VALU_DEP_3)
	v_fma_f64 v[27:28], v[66:67], s[80:81], v[27:28]
	v_fma_f64 v[36:37], v[33:34], v[36:37], s[46:47]
	s_delay_alu instid0(VALU_DEP_3) | instskip(NEXT) | instid1(VALU_DEP_3)
	v_add_f64 v[17:18], v[17:18], -v[19:20]
	v_add_f64 v[25:26], v[25:26], -v[27:28]
	s_delay_alu instid0(VALU_DEP_3) | instskip(NEXT) | instid1(VALU_DEP_3)
	v_fma_f64 v[36:37], v[33:34], v[36:37], s[76:77]
	v_xor_b32_e32 v18, 0x80000000, v18
	s_delay_alu instid0(VALU_DEP_2) | instskip(NEXT) | instid1(VALU_DEP_1)
	v_fma_f64 v[36:37], v[33:34], v[36:37], s[78:79]
	v_fma_f64 v[36:37], v[33:34], v[36:37], s[52:53]
	s_delay_alu instid0(VALU_DEP_1) | instskip(NEXT) | instid1(VALU_DEP_1)
	v_fma_f64 v[36:37], v[33:34], v[36:37], s[54:55]
	v_fma_f64 v[36:37], v[33:34], v[36:37], 1.0
	s_delay_alu instid0(VALU_DEP_1) | instskip(SKIP_2) | instid1(VALU_DEP_3)
	v_fma_f64 v[31:32], v[33:34], v[36:37], 1.0
	v_fma_f64 v[33:34], v[38:39], v[42:43], v[50:51]
	v_add_f64 v[36:37], v[54:55], v[40:41]
	v_ldexp_f64 v[19:20], v[31:32], v22
	s_delay_alu instid0(VALU_DEP_3) | instskip(SKIP_1) | instid1(VALU_DEP_1)
	v_add_f64 v[31:32], v[56:57], v[33:34]
	v_and_b32_e32 v22, 1, v29
	v_cmp_eq_u32_e32 vcc_lo, 0, v22
	v_cndmask_b32_e32 v17, v17, v36, vcc_lo
	v_cndmask_b32_e32 v11, v18, v37, vcc_lo
	s_and_b32 vcc_lo, s4, s3
	v_lshlrev_b32_e32 v10, 30, v29
	s_delay_alu instid0(VALU_DEP_3) | instskip(NEXT) | instid1(VALU_DEP_2)
	v_cndmask_b32_e64 v9, 0, v17, s2
	v_dual_cndmask_b32 v19, 0, v19 :: v_dual_and_b32 v10, 0x80000000, v10
	v_cndmask_b32_e64 v22, v32, v26, s5
	v_cndmask_b32_e64 v20, 0x7ff00000, v20, s3
	;; [unrolled: 1-line block ×3, first 2 shown]
	s_delay_alu instid0(VALU_DEP_4) | instskip(NEXT) | instid1(VALU_DEP_4)
	v_xor_b32_e32 v10, v11, v10
	v_xor_b32_e32 v12, v22, v12
	s_delay_alu instid0(VALU_DEP_4) | instskip(NEXT) | instid1(VALU_DEP_4)
	v_cndmask_b32_e64 v20, 0, v20, s4
	v_cndmask_b32_e64 v11, 0, v18, s2
	s_delay_alu instid0(VALU_DEP_4) | instskip(NEXT) | instid1(VALU_DEP_4)
	v_cndmask_b32_e64 v10, 0x7ff80000, v10, s2
	v_cndmask_b32_e64 v12, 0x7ff80000, v12, s2
	s_delay_alu instid0(VALU_DEP_2) | instskip(NEXT) | instid1(VALU_DEP_2)
	v_mul_f64 v[17:18], v[19:20], v[9:10]
	v_mul_f64 v[19:20], v[19:20], v[11:12]
                                        ; implicit-def: $vgpr11_vgpr12
.LBB132_105:                            ;   in Loop: Header=BB132_4 Depth=1
	s_and_not1_saveexec_b32 s93, s93
	s_cbranch_execz .LBB132_115
; %bb.106:                              ;   in Loop: Header=BB132_4 Depth=1
	v_cmp_ngt_f64_e64 s3, 0x41d00000, |v[11:12]|
                                        ; implicit-def: $vgpr29
                                        ; implicit-def: $vgpr17_vgpr18
                                        ; implicit-def: $vgpr19_vgpr20
	s_delay_alu instid0(VALU_DEP_1) | instskip(NEXT) | instid1(SALU_CYCLE_1)
	s_and_saveexec_b32 s2, s3
	s_xor_b32 s4, exec_lo, s2
	s_cbranch_execz .LBB132_108
; %bb.107:                              ;   in Loop: Header=BB132_4 Depth=1
	v_ldexp_f64 v[17:18], |v[11:12]|, 0xffffff80
	v_cmp_le_f64_e64 vcc_lo, 0x7b000000, |v[11:12]|
	v_trig_preop_f64 v[19:20], |v[11:12]|, 0
	v_and_b32_e32 v22, 0x7fffffff, v12
	v_trig_preop_f64 v[25:26], |v[11:12]|, 1
	v_trig_preop_f64 v[36:37], |v[11:12]|, 2
	s_mov_b32 s12, s14
	s_mov_b32 s21, s19
	v_dual_cndmask_b32 v17, v11, v17 :: v_dual_cndmask_b32 v18, v22, v18
	s_delay_alu instid0(VALU_DEP_1) | instskip(NEXT) | instid1(VALU_DEP_4)
	v_mul_f64 v[27:28], v[19:20], v[17:18]
	v_mul_f64 v[29:30], v[25:26], v[17:18]
	s_delay_alu instid0(VALU_DEP_2) | instskip(NEXT) | instid1(VALU_DEP_2)
	v_fma_f64 v[19:20], v[19:20], v[17:18], -v[27:28]
	v_fma_f64 v[25:26], v[25:26], v[17:18], -v[29:30]
	s_delay_alu instid0(VALU_DEP_2) | instskip(NEXT) | instid1(VALU_DEP_1)
	v_add_f64 v[31:32], v[29:30], v[19:20]
	v_add_f64 v[33:34], v[31:32], -v[29:30]
	v_add_f64 v[40:41], v[27:28], v[31:32]
	s_delay_alu instid0(VALU_DEP_2) | instskip(SKIP_1) | instid1(VALU_DEP_3)
	v_add_f64 v[38:39], v[31:32], -v[33:34]
	v_add_f64 v[19:20], v[19:20], -v[33:34]
	v_ldexp_f64 v[33:34], v[40:41], -2
	v_add_f64 v[27:28], v[40:41], -v[27:28]
	s_delay_alu instid0(VALU_DEP_4) | instskip(NEXT) | instid1(VALU_DEP_3)
	v_add_f64 v[29:30], v[29:30], -v[38:39]
	v_cmp_neq_f64_e64 vcc_lo, 0x7ff00000, |v[33:34]|
	s_delay_alu instid0(VALU_DEP_3) | instskip(NEXT) | instid1(VALU_DEP_3)
	v_add_f64 v[27:28], v[31:32], -v[27:28]
	v_add_f64 v[19:20], v[19:20], v[29:30]
	v_fract_f64_e32 v[29:30], v[33:34]
	s_delay_alu instid0(VALU_DEP_1) | instskip(SKIP_1) | instid1(VALU_DEP_3)
	v_cndmask_b32_e32 v29, 0, v29, vcc_lo
	v_mul_f64 v[42:43], v[36:37], v[17:18]
	v_cndmask_b32_e32 v30, 0, v30, vcc_lo
	s_delay_alu instid0(VALU_DEP_1) | instskip(NEXT) | instid1(VALU_DEP_3)
	v_ldexp_f64 v[29:30], v[29:30], 2
	v_add_f64 v[38:39], v[42:43], v[25:26]
	v_fma_f64 v[17:18], v[36:37], v[17:18], -v[42:43]
	s_delay_alu instid0(VALU_DEP_2) | instskip(NEXT) | instid1(VALU_DEP_1)
	v_add_f64 v[31:32], v[38:39], v[19:20]
	v_add_f64 v[33:34], v[27:28], v[31:32]
	v_add_f64 v[44:45], v[31:32], -v[38:39]
	s_delay_alu instid0(VALU_DEP_2) | instskip(NEXT) | instid1(VALU_DEP_2)
	v_add_f64 v[40:41], v[33:34], v[29:30]
	v_add_f64 v[50:51], v[31:32], -v[44:45]
	v_add_f64 v[19:20], v[19:20], -v[44:45]
	;; [unrolled: 1-line block ×3, first 2 shown]
	s_delay_alu instid0(VALU_DEP_4) | instskip(SKIP_1) | instid1(VALU_DEP_3)
	v_cmp_gt_f64_e32 vcc_lo, 0, v[40:41]
	v_add_f64 v[40:41], v[38:39], -v[42:43]
	v_add_f64 v[27:28], v[31:32], -v[27:28]
	v_cndmask_b32_e64 v22, 0, 0x40100000, vcc_lo
	s_delay_alu instid0(VALU_DEP_3) | instskip(SKIP_2) | instid1(VALU_DEP_4)
	v_add_f64 v[48:49], v[38:39], -v[40:41]
	v_add_f64 v[25:26], v[25:26], -v[40:41]
	;; [unrolled: 1-line block ×3, first 2 shown]
	v_add_f64 v[29:30], v[29:30], v[21:22]
	s_delay_alu instid0(VALU_DEP_4) | instskip(NEXT) | instid1(VALU_DEP_3)
	v_add_f64 v[40:41], v[42:43], -v[48:49]
	v_add_f64 v[19:20], v[19:20], v[38:39]
	s_delay_alu instid0(VALU_DEP_3) | instskip(NEXT) | instid1(VALU_DEP_3)
	v_add_f64 v[46:47], v[33:34], v[29:30]
	v_add_f64 v[25:26], v[25:26], v[40:41]
	s_delay_alu instid0(VALU_DEP_2) | instskip(NEXT) | instid1(VALU_DEP_2)
	v_cvt_i32_f64_e32 v22, v[46:47]
	v_add_f64 v[19:20], v[25:26], v[19:20]
	s_delay_alu instid0(VALU_DEP_2) | instskip(NEXT) | instid1(VALU_DEP_2)
	v_cvt_f64_i32_e32 v[44:45], v22
	v_add_f64 v[17:18], v[17:18], v[19:20]
	s_delay_alu instid0(VALU_DEP_2) | instskip(NEXT) | instid1(VALU_DEP_2)
	v_add_f64 v[29:30], v[29:30], -v[44:45]
	v_add_f64 v[17:18], v[27:28], v[17:18]
	s_delay_alu instid0(VALU_DEP_2) | instskip(NEXT) | instid1(VALU_DEP_1)
	v_add_f64 v[25:26], v[33:34], v[29:30]
	v_add_f64 v[19:20], v[25:26], -v[29:30]
	v_cmp_le_f64_e32 vcc_lo, 0.5, v[25:26]
	s_delay_alu instid0(VALU_DEP_2) | instskip(SKIP_2) | instid1(VALU_DEP_3)
	v_add_f64 v[19:20], v[33:34], -v[19:20]
	v_add_co_ci_u32_e64 v29, s2, 0, v22, vcc_lo
	v_cndmask_b32_e64 v22, 0, 0x3ff00000, vcc_lo
	v_add_f64 v[17:18], v[17:18], v[19:20]
	s_delay_alu instid0(VALU_DEP_2) | instskip(NEXT) | instid1(VALU_DEP_1)
	v_add_f64 v[19:20], v[25:26], -v[21:22]
	v_add_f64 v[25:26], v[19:20], v[17:18]
	s_delay_alu instid0(VALU_DEP_1) | instskip(SKIP_1) | instid1(VALU_DEP_2)
	v_mul_f64 v[27:28], v[25:26], s[12:13]
	v_add_f64 v[19:20], v[25:26], -v[19:20]
	v_fma_f64 v[30:31], v[25:26], s[12:13], -v[27:28]
	s_delay_alu instid0(VALU_DEP_2) | instskip(NEXT) | instid1(VALU_DEP_2)
	v_add_f64 v[17:18], v[17:18], -v[19:20]
	v_fma_f64 v[19:20], v[25:26], s[20:21], v[30:31]
	s_delay_alu instid0(VALU_DEP_1) | instskip(NEXT) | instid1(VALU_DEP_1)
	v_fma_f64 v[19:20], v[17:18], s[12:13], v[19:20]
	v_add_f64 v[17:18], v[27:28], v[19:20]
	s_delay_alu instid0(VALU_DEP_1) | instskip(NEXT) | instid1(VALU_DEP_1)
	v_add_f64 v[25:26], v[17:18], -v[27:28]
	v_add_f64 v[19:20], v[19:20], -v[25:26]
	s_and_not1_saveexec_b32 s2, s4
	s_cbranch_execz .LBB132_110
	s_branch .LBB132_109
.LBB132_108:                            ;   in Loop: Header=BB132_4 Depth=1
	s_and_not1_saveexec_b32 s2, s4
	s_cbranch_execz .LBB132_110
.LBB132_109:                            ;   in Loop: Header=BB132_4 Depth=1
	v_mul_f64 v[17:18], |v[11:12]|, s[22:23]
	s_mov_b32 s18, s24
	s_delay_alu instid0(VALU_DEP_1) | instskip(NEXT) | instid1(VALU_DEP_1)
	v_rndne_f64_e32 v[25:26], v[17:18]
	v_fma_f64 v[17:18], v[25:26], s[14:15], |v[11:12]|
	v_mul_f64 v[19:20], v[25:26], s[24:25]
	s_delay_alu instid0(VALU_DEP_2) | instskip(NEXT) | instid1(VALU_DEP_2)
	v_fma_f64 v[29:30], v[25:26], s[24:25], v[17:18]
	v_add_f64 v[27:28], v[17:18], v[19:20]
	s_delay_alu instid0(VALU_DEP_1) | instskip(NEXT) | instid1(VALU_DEP_3)
	v_add_f64 v[17:18], v[17:18], -v[27:28]
	v_add_f64 v[27:28], v[27:28], -v[29:30]
	s_delay_alu instid0(VALU_DEP_2) | instskip(SKIP_1) | instid1(VALU_DEP_2)
	v_add_f64 v[17:18], v[17:18], v[19:20]
	v_fma_f64 v[19:20], v[25:26], s[18:19], v[19:20]
	v_add_f64 v[17:18], v[27:28], v[17:18]
	s_delay_alu instid0(VALU_DEP_1) | instskip(NEXT) | instid1(VALU_DEP_1)
	v_add_f64 v[17:18], v[17:18], -v[19:20]
	v_fma_f64 v[19:20], v[25:26], s[26:27], v[17:18]
	s_delay_alu instid0(VALU_DEP_1) | instskip(NEXT) | instid1(VALU_DEP_1)
	v_add_f64 v[17:18], v[29:30], v[19:20]
	v_add_f64 v[27:28], v[17:18], -v[29:30]
	v_cvt_i32_f64_e32 v29, v[25:26]
	s_delay_alu instid0(VALU_DEP_2)
	v_add_f64 v[19:20], v[19:20], -v[27:28]
.LBB132_110:                            ;   in Loop: Header=BB132_4 Depth=1
	s_or_b32 exec_lo, exec_lo, s2
                                        ; implicit-def: $vgpr30
                                        ; implicit-def: $vgpr25_vgpr26
                                        ; implicit-def: $vgpr27_vgpr28
	s_and_saveexec_b32 s2, s3
	s_delay_alu instid0(SALU_CYCLE_1)
	s_xor_b32 s3, exec_lo, s2
	s_cbranch_execz .LBB132_112
; %bb.111:                              ;   in Loop: Header=BB132_4 Depth=1
	v_ldexp_f64 v[25:26], |v[11:12]|, 0xffffff80
	v_cmp_le_f64_e64 vcc_lo, 0x7b000000, |v[11:12]|
	v_trig_preop_f64 v[27:28], |v[11:12]|, 0
	v_and_b32_e32 v22, 0x7fffffff, v12
	v_trig_preop_f64 v[30:31], |v[11:12]|, 1
	v_trig_preop_f64 v[42:43], |v[11:12]|, 2
	s_mov_b32 s12, s14
	s_mov_b32 s21, s19
	v_dual_cndmask_b32 v25, v11, v25 :: v_dual_cndmask_b32 v26, v22, v26
	s_delay_alu instid0(VALU_DEP_1) | instskip(NEXT) | instid1(VALU_DEP_4)
	v_mul_f64 v[32:33], v[27:28], v[25:26]
	v_mul_f64 v[36:37], v[30:31], v[25:26]
	s_delay_alu instid0(VALU_DEP_2) | instskip(NEXT) | instid1(VALU_DEP_2)
	v_fma_f64 v[27:28], v[27:28], v[25:26], -v[32:33]
	v_fma_f64 v[30:31], v[30:31], v[25:26], -v[36:37]
	s_delay_alu instid0(VALU_DEP_2) | instskip(NEXT) | instid1(VALU_DEP_1)
	v_add_f64 v[38:39], v[36:37], v[27:28]
	v_add_f64 v[40:41], v[38:39], -v[36:37]
	v_add_f64 v[46:47], v[32:33], v[38:39]
	s_delay_alu instid0(VALU_DEP_2) | instskip(SKIP_1) | instid1(VALU_DEP_3)
	v_add_f64 v[44:45], v[38:39], -v[40:41]
	v_add_f64 v[27:28], v[27:28], -v[40:41]
	v_ldexp_f64 v[40:41], v[46:47], -2
	v_add_f64 v[32:33], v[46:47], -v[32:33]
	s_delay_alu instid0(VALU_DEP_4) | instskip(NEXT) | instid1(VALU_DEP_3)
	v_add_f64 v[36:37], v[36:37], -v[44:45]
	v_cmp_neq_f64_e64 vcc_lo, 0x7ff00000, |v[40:41]|
	s_delay_alu instid0(VALU_DEP_3) | instskip(NEXT) | instid1(VALU_DEP_3)
	v_add_f64 v[32:33], v[38:39], -v[32:33]
	v_add_f64 v[27:28], v[27:28], v[36:37]
	v_fract_f64_e32 v[36:37], v[40:41]
	s_delay_alu instid0(VALU_DEP_1) | instskip(SKIP_1) | instid1(VALU_DEP_3)
	v_cndmask_b32_e32 v37, 0, v37, vcc_lo
	v_mul_f64 v[48:49], v[42:43], v[25:26]
	v_cndmask_b32_e32 v36, 0, v36, vcc_lo
	s_delay_alu instid0(VALU_DEP_1) | instskip(NEXT) | instid1(VALU_DEP_3)
	v_ldexp_f64 v[36:37], v[36:37], 2
	v_add_f64 v[44:45], v[48:49], v[30:31]
	v_fma_f64 v[25:26], v[42:43], v[25:26], -v[48:49]
	s_delay_alu instid0(VALU_DEP_2) | instskip(NEXT) | instid1(VALU_DEP_1)
	v_add_f64 v[38:39], v[44:45], v[27:28]
	v_add_f64 v[40:41], v[32:33], v[38:39]
	v_add_f64 v[50:51], v[38:39], -v[44:45]
	s_delay_alu instid0(VALU_DEP_2) | instskip(NEXT) | instid1(VALU_DEP_2)
	v_add_f64 v[46:47], v[40:41], v[36:37]
	v_add_f64 v[56:57], v[38:39], -v[50:51]
	v_add_f64 v[27:28], v[27:28], -v[50:51]
	;; [unrolled: 1-line block ×3, first 2 shown]
	s_delay_alu instid0(VALU_DEP_4) | instskip(SKIP_2) | instid1(VALU_DEP_2)
	v_cmp_gt_f64_e32 vcc_lo, 0, v[46:47]
	v_add_f64 v[46:47], v[44:45], -v[48:49]
	v_cndmask_b32_e64 v22, 0, 0x40100000, vcc_lo
	v_add_f64 v[54:55], v[44:45], -v[46:47]
	v_add_f64 v[30:31], v[30:31], -v[46:47]
	;; [unrolled: 1-line block ×3, first 2 shown]
	s_delay_alu instid0(VALU_DEP_4) | instskip(NEXT) | instid1(VALU_DEP_4)
	v_add_f64 v[36:37], v[36:37], v[21:22]
	v_add_f64 v[46:47], v[48:49], -v[54:55]
	s_delay_alu instid0(VALU_DEP_3) | instskip(NEXT) | instid1(VALU_DEP_3)
	v_add_f64 v[27:28], v[27:28], v[44:45]
	v_add_f64 v[52:53], v[40:41], v[36:37]
	s_delay_alu instid0(VALU_DEP_3) | instskip(NEXT) | instid1(VALU_DEP_2)
	v_add_f64 v[30:31], v[30:31], v[46:47]
	v_cvt_i32_f64_e32 v22, v[52:53]
	s_delay_alu instid0(VALU_DEP_2) | instskip(SKIP_1) | instid1(VALU_DEP_3)
	v_add_f64 v[27:28], v[30:31], v[27:28]
	v_add_f64 v[30:31], v[38:39], -v[32:33]
	v_cvt_f64_i32_e32 v[50:51], v22
	s_delay_alu instid0(VALU_DEP_3) | instskip(NEXT) | instid1(VALU_DEP_2)
	v_add_f64 v[25:26], v[25:26], v[27:28]
	v_add_f64 v[36:37], v[36:37], -v[50:51]
	s_delay_alu instid0(VALU_DEP_2) | instskip(NEXT) | instid1(VALU_DEP_2)
	v_add_f64 v[25:26], v[30:31], v[25:26]
	v_add_f64 v[42:43], v[40:41], v[36:37]
	s_delay_alu instid0(VALU_DEP_1) | instskip(SKIP_1) | instid1(VALU_DEP_2)
	v_add_f64 v[27:28], v[42:43], -v[36:37]
	v_cmp_le_f64_e32 vcc_lo, 0.5, v[42:43]
	v_add_f64 v[27:28], v[40:41], -v[27:28]
	v_add_co_ci_u32_e64 v30, s2, 0, v22, vcc_lo
	v_cndmask_b32_e64 v22, 0, 0x3ff00000, vcc_lo
	s_delay_alu instid0(VALU_DEP_3) | instskip(NEXT) | instid1(VALU_DEP_2)
	v_add_f64 v[25:26], v[25:26], v[27:28]
	v_add_f64 v[27:28], v[42:43], -v[21:22]
	s_delay_alu instid0(VALU_DEP_1) | instskip(NEXT) | instid1(VALU_DEP_1)
	v_add_f64 v[31:32], v[27:28], v[25:26]
	v_mul_f64 v[33:34], v[31:32], s[12:13]
	v_add_f64 v[27:28], v[31:32], -v[27:28]
	s_delay_alu instid0(VALU_DEP_2) | instskip(NEXT) | instid1(VALU_DEP_2)
	v_fma_f64 v[36:37], v[31:32], s[12:13], -v[33:34]
	v_add_f64 v[25:26], v[25:26], -v[27:28]
	s_delay_alu instid0(VALU_DEP_2) | instskip(NEXT) | instid1(VALU_DEP_1)
	v_fma_f64 v[27:28], v[31:32], s[20:21], v[36:37]
	v_fma_f64 v[27:28], v[25:26], s[12:13], v[27:28]
	s_delay_alu instid0(VALU_DEP_1) | instskip(NEXT) | instid1(VALU_DEP_1)
	v_add_f64 v[25:26], v[33:34], v[27:28]
	v_add_f64 v[31:32], v[25:26], -v[33:34]
	s_delay_alu instid0(VALU_DEP_1)
	v_add_f64 v[27:28], v[27:28], -v[31:32]
	s_and_not1_saveexec_b32 s2, s3
	s_cbranch_execnz .LBB132_113
	s_branch .LBB132_114
.LBB132_112:                            ;   in Loop: Header=BB132_4 Depth=1
	s_and_not1_saveexec_b32 s2, s3
	s_cbranch_execz .LBB132_114
.LBB132_113:                            ;   in Loop: Header=BB132_4 Depth=1
	v_mul_f64 v[25:26], |v[11:12]|, s[22:23]
	s_mov_b32 s18, s24
	s_delay_alu instid0(VALU_DEP_1) | instskip(NEXT) | instid1(VALU_DEP_1)
	v_rndne_f64_e32 v[30:31], v[25:26]
	v_fma_f64 v[25:26], v[30:31], s[14:15], |v[11:12]|
	v_mul_f64 v[27:28], v[30:31], s[24:25]
	s_delay_alu instid0(VALU_DEP_2) | instskip(NEXT) | instid1(VALU_DEP_2)
	v_fma_f64 v[36:37], v[30:31], s[24:25], v[25:26]
	v_add_f64 v[32:33], v[25:26], v[27:28]
	s_delay_alu instid0(VALU_DEP_1) | instskip(NEXT) | instid1(VALU_DEP_3)
	v_add_f64 v[25:26], v[25:26], -v[32:33]
	v_add_f64 v[32:33], v[32:33], -v[36:37]
	s_delay_alu instid0(VALU_DEP_2) | instskip(SKIP_1) | instid1(VALU_DEP_2)
	v_add_f64 v[25:26], v[25:26], v[27:28]
	v_fma_f64 v[27:28], v[30:31], s[18:19], v[27:28]
	v_add_f64 v[25:26], v[32:33], v[25:26]
	s_delay_alu instid0(VALU_DEP_1) | instskip(NEXT) | instid1(VALU_DEP_1)
	v_add_f64 v[25:26], v[25:26], -v[27:28]
	v_fma_f64 v[27:28], v[30:31], s[26:27], v[25:26]
	v_cvt_i32_f64_e32 v30, v[30:31]
	s_delay_alu instid0(VALU_DEP_2) | instskip(NEXT) | instid1(VALU_DEP_1)
	v_add_f64 v[25:26], v[36:37], v[27:28]
	v_add_f64 v[32:33], v[25:26], -v[36:37]
	s_delay_alu instid0(VALU_DEP_1)
	v_add_f64 v[27:28], v[27:28], -v[32:33]
.LBB132_114:                            ;   in Loop: Header=BB132_4 Depth=1
	s_or_b32 exec_lo, exec_lo, s2
	v_add_f64 v[9:10], v[9:10], s[74:75]
	s_delay_alu instid0(VALU_DEP_4) | instskip(SKIP_3) | instid1(VALU_DEP_4)
	v_mul_f64 v[38:39], v[17:18], v[17:18]
	v_mul_f64 v[40:41], v[25:26], v[25:26]
	s_mov_b32 s77, s49
	s_mov_b32 s79, s51
	v_mul_f64 v[58:59], v[19:20], 0.5
	v_mul_f64 v[64:65], v[27:28], 0.5
	s_mov_b32 s80, s50
	v_cmp_class_f64_e64 s2, v[11:12], 0x1f8
	v_mul_f64 v[31:32], v[9:10], s[28:29]
	v_fma_f64 v[42:43], v[38:39], s[68:69], s[66:67]
	v_fma_f64 v[44:45], v[40:41], s[68:69], s[66:67]
	v_mul_f64 v[48:49], v[38:39], 0.5
	v_fma_f64 v[46:47], v[38:39], s[58:59], s[56:57]
	v_fma_f64 v[50:51], v[40:41], s[58:59], s[56:57]
	v_mul_f64 v[52:53], v[40:41], 0.5
	v_mul_f64 v[60:61], v[17:18], -v[38:39]
	v_mul_f64 v[66:67], v[25:26], -v[40:41]
	v_cmp_nlt_f64_e64 s3, 0x40900000, v[9:10]
	v_cmp_ngt_f64_e64 s4, 0xc090cc00, v[9:10]
	v_rndne_f64_e32 v[31:32], v[31:32]
	v_fma_f64 v[42:43], v[38:39], v[42:43], s[70:71]
	v_fma_f64 v[44:45], v[40:41], v[44:45], s[70:71]
	v_add_f64 v[54:55], -v[48:49], 1.0
	v_fma_f64 v[46:47], v[38:39], v[46:47], s[60:61]
	v_fma_f64 v[50:51], v[40:41], v[50:51], s[60:61]
	v_add_f64 v[56:57], -v[52:53], 1.0
	v_fma_f64 v[33:34], v[31:32], s[30:31], v[9:10]
	v_fma_f64 v[42:43], v[38:39], v[42:43], s[72:73]
	;; [unrolled: 1-line block ×3, first 2 shown]
	v_add_f64 v[62:63], -v[54:55], 1.0
	v_fma_f64 v[46:47], v[38:39], v[46:47], s[62:63]
	v_fma_f64 v[50:51], v[40:41], v[50:51], s[62:63]
	v_add_f64 v[68:69], -v[56:57], 1.0
	v_cvt_i32_f64_e32 v22, v[31:32]
	v_fma_f64 v[33:34], v[31:32], s[34:35], v[33:34]
	v_fma_f64 v[42:43], v[38:39], v[42:43], s[48:49]
	;; [unrolled: 1-line block ×3, first 2 shown]
	v_add_f64 v[48:49], v[62:63], -v[48:49]
	v_fma_f64 v[46:47], v[38:39], v[46:47], s[64:65]
	v_fma_f64 v[50:51], v[40:41], v[50:51], s[64:65]
	v_add_f64 v[52:53], v[68:69], -v[52:53]
	v_fma_f64 v[36:37], v[33:34], s[38:39], s[36:37]
	v_fma_f64 v[42:43], v[60:61], v[42:43], v[58:59]
	;; [unrolled: 1-line block ×3, first 2 shown]
	v_fma_f64 v[48:49], v[17:18], -v[19:20], v[48:49]
	v_mul_f64 v[58:59], v[38:39], v[38:39]
	v_fma_f64 v[46:47], v[38:39], v[46:47], s[50:51]
	v_fma_f64 v[36:37], v[33:34], v[36:37], s[40:41]
	v_fma_f64 v[19:20], v[38:39], v[42:43], -v[19:20]
	v_mul_f64 v[38:39], v[40:41], v[40:41]
	v_fma_f64 v[42:43], v[40:41], v[50:51], s[50:51]
	v_fma_f64 v[50:51], v[25:26], -v[27:28], v[52:53]
	v_fma_f64 v[27:28], v[40:41], v[44:45], -v[27:28]
	v_fma_f64 v[40:41], v[58:59], v[46:47], v[48:49]
	v_fma_f64 v[36:37], v[33:34], v[36:37], s[42:43]
	;; [unrolled: 1-line block ×3, first 2 shown]
	s_delay_alu instid0(VALU_DEP_4) | instskip(NEXT) | instid1(VALU_DEP_3)
	v_fma_f64 v[27:28], v[66:67], s[80:81], v[27:28]
	v_fma_f64 v[36:37], v[33:34], v[36:37], s[44:45]
	s_delay_alu instid0(VALU_DEP_3) | instskip(NEXT) | instid1(VALU_DEP_3)
	v_add_f64 v[17:18], v[17:18], -v[19:20]
	v_add_f64 v[25:26], v[25:26], -v[27:28]
	s_delay_alu instid0(VALU_DEP_3) | instskip(NEXT) | instid1(VALU_DEP_3)
	v_fma_f64 v[36:37], v[33:34], v[36:37], s[46:47]
	v_xor_b32_e32 v18, 0x80000000, v18
	s_delay_alu instid0(VALU_DEP_2) | instskip(NEXT) | instid1(VALU_DEP_1)
	v_fma_f64 v[36:37], v[33:34], v[36:37], s[76:77]
	v_fma_f64 v[36:37], v[33:34], v[36:37], s[78:79]
	s_delay_alu instid0(VALU_DEP_1) | instskip(NEXT) | instid1(VALU_DEP_1)
	v_fma_f64 v[36:37], v[33:34], v[36:37], s[52:53]
	v_fma_f64 v[36:37], v[33:34], v[36:37], s[54:55]
	s_delay_alu instid0(VALU_DEP_1) | instskip(NEXT) | instid1(VALU_DEP_1)
	v_fma_f64 v[36:37], v[33:34], v[36:37], 1.0
	v_fma_f64 v[31:32], v[33:34], v[36:37], 1.0
	v_fma_f64 v[33:34], v[38:39], v[42:43], v[50:51]
	v_add_f64 v[36:37], v[54:55], v[40:41]
	s_delay_alu instid0(VALU_DEP_3) | instskip(NEXT) | instid1(VALU_DEP_3)
	v_ldexp_f64 v[19:20], v[31:32], v22
	v_add_f64 v[31:32], v[56:57], v[33:34]
	v_and_b32_e32 v22, 1, v29
	s_delay_alu instid0(VALU_DEP_1) | instskip(SKIP_2) | instid1(VALU_DEP_2)
	v_cmp_eq_u32_e32 vcc_lo, 0, v22
	v_lshlrev_b32_e32 v9, 30, v30
	v_cndmask_b32_e32 v17, v17, v36, vcc_lo
	v_xor_b32_e32 v9, v9, v12
	v_cndmask_b32_e32 v12, v18, v37, vcc_lo
	s_and_b32 vcc_lo, s4, s3
	v_lshlrev_b32_e32 v10, 30, v29
	s_delay_alu instid0(VALU_DEP_3)
	v_and_b32_e32 v18, 0x80000000, v9
	v_cndmask_b32_e64 v9, 0, v17, s2
	v_cndmask_b32_e32 v17, 0, v19, vcc_lo
	v_cndmask_b32_e64 v11, 0x7ff00000, v20, s3
	v_dual_mov_b32 v19, v21 :: v_dual_and_b32 v20, 1, v30
	v_and_b32_e32 v10, 0x80000000, v10
	s_delay_alu instid0(VALU_DEP_2) | instskip(NEXT) | instid1(VALU_DEP_2)
	v_cmp_eq_u32_e64 s5, 0, v20
	v_xor_b32_e32 v10, v12, v10
	s_delay_alu instid0(VALU_DEP_2) | instskip(SKIP_2) | instid1(VALU_DEP_4)
	v_cndmask_b32_e64 v22, v32, v26, s5
	v_cndmask_b32_e64 v20, v31, v25, s5
	;; [unrolled: 1-line block ×4, first 2 shown]
	s_delay_alu instid0(VALU_DEP_4) | instskip(NEXT) | instid1(VALU_DEP_4)
	v_xor_b32_e32 v12, v22, v18
	v_cndmask_b32_e64 v11, 0, v20, s2
	s_delay_alu instid0(VALU_DEP_4) | instskip(NEXT) | instid1(VALU_DEP_3)
	v_and_or_b32 v18, v25, s89, 0x7fe00000
	v_cndmask_b32_e64 v12, 0x7ff80000, v12, s2
	s_delay_alu instid0(VALU_DEP_2) | instskip(NEXT) | instid1(VALU_DEP_2)
	v_mul_f64 v[9:10], v[17:18], v[9:10]
	v_mul_f64 v[11:12], v[17:18], v[11:12]
	v_lshrrev_b32_e32 v17, 20, v25
	s_delay_alu instid0(VALU_DEP_1) | instskip(NEXT) | instid1(VALU_DEP_1)
	v_add_nc_u32_e32 v17, 0xffffff09, v17
	v_lshrrev_b16 v18, 15, v17
	s_delay_alu instid0(VALU_DEP_1) | instskip(NEXT) | instid1(VALU_DEP_1)
	v_add_nc_u16 v18, v17, v18
	v_ashrrev_i16 v18, 1, v18
	s_delay_alu instid0(VALU_DEP_1) | instskip(NEXT) | instid1(VALU_DEP_1)
	v_bfe_i32 v18, v18, 0, 16
	v_lshl_add_u32 v22, v18, 20, 0x3ff00000
	v_sub_nc_u32_e32 v17, v17, v18
	s_delay_alu instid0(VALU_DEP_2) | instskip(NEXT) | instid1(VALU_DEP_2)
	v_mul_f64 v[9:10], v[9:10], v[21:22]
	v_lshl_add_u32 v20, v17, 20, 0x3ff00000
	v_mul_f64 v[11:12], v[11:12], v[21:22]
	s_delay_alu instid0(VALU_DEP_2) | instskip(NEXT) | instid1(VALU_DEP_2)
	v_mul_f64 v[17:18], v[9:10], v[19:20]
	v_mul_f64 v[19:20], v[11:12], v[19:20]
.LBB132_115:                            ;   in Loop: Header=BB132_4 Depth=1
	s_or_b32 exec_lo, exec_lo, s93
                                        ; implicit-def: $vgpr9_vgpr10
                                        ; implicit-def: $vgpr22
.LBB132_116:                            ;   in Loop: Header=BB132_4 Depth=1
	s_and_not1_saveexec_b32 s3, s92
	s_cbranch_execz .LBB132_122
; %bb.117:                              ;   in Loop: Header=BB132_4 Depth=1
	v_add_f64 v[19:20], v[11:12], -v[11:12]
	v_cmp_ne_u32_e32 vcc_lo, 0, v9
	v_cmp_ne_u32_e64 s2, 0x7ff00000, v22
	s_delay_alu instid0(VALU_DEP_1) | instskip(NEXT) | instid1(SALU_CYCLE_1)
	s_or_b32 s2, vcc_lo, s2
	s_and_saveexec_b32 s4, s2
	s_delay_alu instid0(SALU_CYCLE_1)
	s_xor_b32 s2, exec_lo, s4
; %bb.118:                              ;   in Loop: Header=BB132_4 Depth=1
                                        ; implicit-def: $vgpr9_vgpr10
; %bb.119:                              ;   in Loop: Header=BB132_4 Depth=1
	s_delay_alu instid0(SALU_CYCLE_1) | instskip(NEXT) | instid1(VALU_DEP_3)
	s_or_saveexec_b32 s2, s2
	v_dual_mov_b32 v17, v19 :: v_dual_mov_b32 v18, v20
	s_xor_b32 exec_lo, exec_lo, s2
; %bb.120:                              ;   in Loop: Header=BB132_4 Depth=1
	v_cmp_lt_i64_e32 vcc_lo, -1, v[9:10]
	v_dual_cndmask_b32 v18, 0, v10 :: v_dual_cndmask_b32 v17, 0, v9
	v_dual_cndmask_b32 v20, 0, v20 :: v_dual_cndmask_b32 v19, 0, v19
; %bb.121:                              ;   in Loop: Header=BB132_4 Depth=1
	s_or_b32 exec_lo, exec_lo, s2
.LBB132_122:                            ;   in Loop: Header=BB132_4 Depth=1
	s_delay_alu instid0(SALU_CYCLE_1)
	s_or_b32 exec_lo, exec_lo, s3
                                        ; implicit-def: $vgpr11_vgpr12
.LBB132_123:                            ;   in Loop: Header=BB132_4 Depth=1
	s_and_not1_saveexec_b32 s4, s91
	s_cbranch_execz .LBB132_133
; %bb.124:                              ;   in Loop: Header=BB132_4 Depth=1
	v_cmp_ngt_f64_e64 s3, 0x41d00000, |v[11:12]|
	v_trig_preop_f64 v[27:28], |v[11:12]|, 0
	v_trig_preop_f64 v[25:26], |v[11:12]|, 1
	v_ldexp_f64 v[29:30], |v[11:12]|, 0xffffff80
	v_trig_preop_f64 v[19:20], |v[11:12]|, 2
	v_and_b32_e32 v37, 0x7fffffff, v12
                                        ; implicit-def: $vgpr36
                                        ; implicit-def: $vgpr9_vgpr10
                                        ; implicit-def: $vgpr17_vgpr18
	s_and_saveexec_b32 s2, s3
	s_delay_alu instid0(SALU_CYCLE_1)
	s_xor_b32 s5, exec_lo, s2
	s_cbranch_execz .LBB132_126
; %bb.125:                              ;   in Loop: Header=BB132_4 Depth=1
	v_cmp_le_f64_e64 vcc_lo, 0x7b000000, |v[11:12]|
	s_mov_b32 s12, s14
	s_mov_b32 s21, s19
	s_delay_alu instid0(VALU_DEP_4) | instskip(NEXT) | instid1(VALU_DEP_1)
	v_dual_cndmask_b32 v10, v37, v30 :: v_dual_cndmask_b32 v9, v11, v29
	v_mul_f64 v[17:18], v[27:28], v[9:10]
	v_mul_f64 v[31:32], v[25:26], v[9:10]
	;; [unrolled: 1-line block ×3, first 2 shown]
	s_delay_alu instid0(VALU_DEP_3) | instskip(NEXT) | instid1(VALU_DEP_3)
	v_fma_f64 v[33:34], v[27:28], v[9:10], -v[17:18]
	v_fma_f64 v[48:49], v[25:26], v[9:10], -v[31:32]
	s_delay_alu instid0(VALU_DEP_3) | instskip(NEXT) | instid1(VALU_DEP_3)
	v_fma_f64 v[9:10], v[19:20], v[9:10], -v[46:47]
	v_add_f64 v[38:39], v[31:32], v[33:34]
	s_delay_alu instid0(VALU_DEP_1) | instskip(SKIP_1) | instid1(VALU_DEP_2)
	v_add_f64 v[40:41], v[38:39], -v[31:32]
	v_add_f64 v[44:45], v[17:18], v[38:39]
	v_add_f64 v[42:43], v[38:39], -v[40:41]
	v_add_f64 v[33:34], v[33:34], -v[40:41]
	s_delay_alu instid0(VALU_DEP_3) | instskip(SKIP_1) | instid1(VALU_DEP_4)
	v_ldexp_f64 v[40:41], v[44:45], -2
	v_add_f64 v[17:18], v[44:45], -v[17:18]
	v_add_f64 v[31:32], v[31:32], -v[42:43]
	v_add_f64 v[42:43], v[46:47], v[48:49]
	s_delay_alu instid0(VALU_DEP_4) | instskip(NEXT) | instid1(VALU_DEP_4)
	v_cmp_neq_f64_e64 vcc_lo, 0x7ff00000, |v[40:41]|
	v_add_f64 v[17:18], v[38:39], -v[17:18]
	s_delay_alu instid0(VALU_DEP_4) | instskip(SKIP_1) | instid1(VALU_DEP_2)
	v_add_f64 v[31:32], v[33:34], v[31:32]
	v_fract_f64_e32 v[33:34], v[40:41]
	v_add_f64 v[38:39], v[42:43], v[31:32]
	s_delay_alu instid0(VALU_DEP_2) | instskip(NEXT) | instid1(VALU_DEP_1)
	v_dual_cndmask_b32 v34, 0, v34 :: v_dual_cndmask_b32 v33, 0, v33
	v_ldexp_f64 v[33:34], v[33:34], 2
	s_delay_alu instid0(VALU_DEP_3) | instskip(SKIP_1) | instid1(VALU_DEP_2)
	v_add_f64 v[40:41], v[17:18], v[38:39]
	v_add_f64 v[50:51], v[38:39], -v[42:43]
	v_add_f64 v[44:45], v[40:41], v[33:34]
	s_delay_alu instid0(VALU_DEP_2) | instskip(SKIP_2) | instid1(VALU_DEP_4)
	v_add_f64 v[56:57], v[38:39], -v[50:51]
	v_add_f64 v[31:32], v[31:32], -v[50:51]
	;; [unrolled: 1-line block ×3, first 2 shown]
	v_cmp_gt_f64_e32 vcc_lo, 0, v[44:45]
	v_add_f64 v[44:45], v[42:43], -v[46:47]
	s_delay_alu instid0(VALU_DEP_3) | instskip(SKIP_1) | instid1(VALU_DEP_3)
	v_add_f64 v[17:18], v[38:39], -v[17:18]
	v_cndmask_b32_e64 v22, 0, 0x40100000, vcc_lo
	v_add_f64 v[54:55], v[42:43], -v[44:45]
	v_add_f64 v[44:45], v[48:49], -v[44:45]
	;; [unrolled: 1-line block ×3, first 2 shown]
	s_delay_alu instid0(VALU_DEP_4) | instskip(NEXT) | instid1(VALU_DEP_4)
	v_add_f64 v[33:34], v[33:34], v[21:22]
	v_add_f64 v[48:49], v[46:47], -v[54:55]
	s_delay_alu instid0(VALU_DEP_3) | instskip(NEXT) | instid1(VALU_DEP_3)
	v_add_f64 v[31:32], v[31:32], v[42:43]
	v_add_f64 v[52:53], v[40:41], v[33:34]
	s_delay_alu instid0(VALU_DEP_3) | instskip(NEXT) | instid1(VALU_DEP_2)
	v_add_f64 v[44:45], v[44:45], v[48:49]
	v_cvt_i32_f64_e32 v22, v[52:53]
	s_delay_alu instid0(VALU_DEP_2) | instskip(NEXT) | instid1(VALU_DEP_2)
	v_add_f64 v[31:32], v[44:45], v[31:32]
	v_cvt_f64_i32_e32 v[50:51], v22
	s_delay_alu instid0(VALU_DEP_2) | instskip(NEXT) | instid1(VALU_DEP_2)
	v_add_f64 v[9:10], v[9:10], v[31:32]
	v_add_f64 v[33:34], v[33:34], -v[50:51]
	s_delay_alu instid0(VALU_DEP_2) | instskip(NEXT) | instid1(VALU_DEP_2)
	v_add_f64 v[9:10], v[17:18], v[9:10]
	v_add_f64 v[42:43], v[40:41], v[33:34]
	s_delay_alu instid0(VALU_DEP_1) | instskip(SKIP_1) | instid1(VALU_DEP_2)
	v_add_f64 v[31:32], v[42:43], -v[33:34]
	v_cmp_le_f64_e32 vcc_lo, 0.5, v[42:43]
	v_add_f64 v[17:18], v[40:41], -v[31:32]
	v_add_co_ci_u32_e64 v36, s2, 0, v22, vcc_lo
	v_cndmask_b32_e64 v22, 0, 0x3ff00000, vcc_lo
	s_delay_alu instid0(VALU_DEP_3) | instskip(NEXT) | instid1(VALU_DEP_2)
	v_add_f64 v[9:10], v[9:10], v[17:18]
	v_add_f64 v[17:18], v[42:43], -v[21:22]
	s_delay_alu instid0(VALU_DEP_1) | instskip(NEXT) | instid1(VALU_DEP_1)
	v_add_f64 v[31:32], v[17:18], v[9:10]
	v_mul_f64 v[33:34], v[31:32], s[12:13]
	v_add_f64 v[17:18], v[31:32], -v[17:18]
	s_delay_alu instid0(VALU_DEP_2) | instskip(NEXT) | instid1(VALU_DEP_2)
	v_fma_f64 v[38:39], v[31:32], s[12:13], -v[33:34]
	v_add_f64 v[9:10], v[9:10], -v[17:18]
	s_delay_alu instid0(VALU_DEP_2) | instskip(NEXT) | instid1(VALU_DEP_1)
	v_fma_f64 v[17:18], v[31:32], s[20:21], v[38:39]
	v_fma_f64 v[17:18], v[9:10], s[12:13], v[17:18]
	s_delay_alu instid0(VALU_DEP_1) | instskip(NEXT) | instid1(VALU_DEP_1)
	v_add_f64 v[9:10], v[33:34], v[17:18]
	v_add_f64 v[31:32], v[9:10], -v[33:34]
	s_delay_alu instid0(VALU_DEP_1)
	v_add_f64 v[17:18], v[17:18], -v[31:32]
	s_and_not1_saveexec_b32 s2, s5
	s_cbranch_execz .LBB132_128
	s_branch .LBB132_127
.LBB132_126:                            ;   in Loop: Header=BB132_4 Depth=1
	s_and_not1_saveexec_b32 s2, s5
	s_cbranch_execz .LBB132_128
.LBB132_127:                            ;   in Loop: Header=BB132_4 Depth=1
	v_mul_f64 v[9:10], |v[11:12]|, s[22:23]
	s_mov_b32 s18, s24
	s_delay_alu instid0(VALU_DEP_1) | instskip(NEXT) | instid1(VALU_DEP_1)
	v_rndne_f64_e32 v[31:32], v[9:10]
	v_fma_f64 v[9:10], v[31:32], s[14:15], |v[11:12]|
	v_mul_f64 v[17:18], v[31:32], s[24:25]
	v_cvt_i32_f64_e32 v36, v[31:32]
	s_delay_alu instid0(VALU_DEP_3) | instskip(NEXT) | instid1(VALU_DEP_3)
	v_fma_f64 v[38:39], v[31:32], s[24:25], v[9:10]
	v_add_f64 v[33:34], v[9:10], v[17:18]
	s_delay_alu instid0(VALU_DEP_1) | instskip(NEXT) | instid1(VALU_DEP_3)
	v_add_f64 v[9:10], v[9:10], -v[33:34]
	v_add_f64 v[33:34], v[33:34], -v[38:39]
	s_delay_alu instid0(VALU_DEP_2) | instskip(SKIP_1) | instid1(VALU_DEP_2)
	v_add_f64 v[9:10], v[9:10], v[17:18]
	v_fma_f64 v[17:18], v[31:32], s[18:19], v[17:18]
	v_add_f64 v[9:10], v[33:34], v[9:10]
	s_delay_alu instid0(VALU_DEP_1) | instskip(NEXT) | instid1(VALU_DEP_1)
	v_add_f64 v[9:10], v[9:10], -v[17:18]
	v_fma_f64 v[17:18], v[31:32], s[26:27], v[9:10]
	s_delay_alu instid0(VALU_DEP_1) | instskip(NEXT) | instid1(VALU_DEP_1)
	v_add_f64 v[9:10], v[38:39], v[17:18]
	v_add_f64 v[33:34], v[9:10], -v[38:39]
	s_delay_alu instid0(VALU_DEP_1)
	v_add_f64 v[17:18], v[17:18], -v[33:34]
.LBB132_128:                            ;   in Loop: Header=BB132_4 Depth=1
	s_or_b32 exec_lo, exec_lo, s2
                                        ; implicit-def: $vgpr38
                                        ; implicit-def: $vgpr31_vgpr32
                                        ; implicit-def: $vgpr33_vgpr34
	s_and_saveexec_b32 s2, s3
	s_delay_alu instid0(SALU_CYCLE_1)
	s_xor_b32 s3, exec_lo, s2
	s_cbranch_execz .LBB132_130
; %bb.129:                              ;   in Loop: Header=BB132_4 Depth=1
	v_cmp_le_f64_e64 vcc_lo, 0x7b000000, |v[11:12]|
	s_mov_b32 s12, s14
	s_mov_b32 s21, s19
	s_delay_alu instid0(VALU_DEP_4) | instskip(NEXT) | instid1(VALU_DEP_1)
	v_dual_cndmask_b32 v30, v37, v30 :: v_dual_cndmask_b32 v29, v11, v29
	v_mul_f64 v[31:32], v[27:28], v[29:30]
	v_mul_f64 v[33:34], v[25:26], v[29:30]
	v_mul_f64 v[45:46], v[19:20], v[29:30]
	s_delay_alu instid0(VALU_DEP_3) | instskip(NEXT) | instid1(VALU_DEP_3)
	v_fma_f64 v[27:28], v[27:28], v[29:30], -v[31:32]
	v_fma_f64 v[25:26], v[25:26], v[29:30], -v[33:34]
	s_delay_alu instid0(VALU_DEP_3) | instskip(NEXT) | instid1(VALU_DEP_3)
	v_fma_f64 v[19:20], v[19:20], v[29:30], -v[45:46]
	v_add_f64 v[37:38], v[33:34], v[27:28]
	s_delay_alu instid0(VALU_DEP_1) | instskip(SKIP_1) | instid1(VALU_DEP_2)
	v_add_f64 v[39:40], v[37:38], -v[33:34]
	v_add_f64 v[43:44], v[31:32], v[37:38]
	v_add_f64 v[41:42], v[37:38], -v[39:40]
	v_add_f64 v[27:28], v[27:28], -v[39:40]
	s_delay_alu instid0(VALU_DEP_3) | instskip(SKIP_1) | instid1(VALU_DEP_4)
	v_ldexp_f64 v[39:40], v[43:44], -2
	v_add_f64 v[31:32], v[43:44], -v[31:32]
	v_add_f64 v[33:34], v[33:34], -v[41:42]
	v_add_f64 v[41:42], v[45:46], v[25:26]
	s_delay_alu instid0(VALU_DEP_4) | instskip(NEXT) | instid1(VALU_DEP_4)
	v_cmp_neq_f64_e64 vcc_lo, 0x7ff00000, |v[39:40]|
	v_add_f64 v[31:32], v[37:38], -v[31:32]
	s_delay_alu instid0(VALU_DEP_4) | instskip(SKIP_1) | instid1(VALU_DEP_2)
	v_add_f64 v[27:28], v[27:28], v[33:34]
	v_fract_f64_e32 v[33:34], v[39:40]
	v_add_f64 v[37:38], v[41:42], v[27:28]
	s_delay_alu instid0(VALU_DEP_2) | instskip(NEXT) | instid1(VALU_DEP_1)
	v_dual_cndmask_b32 v34, 0, v34 :: v_dual_cndmask_b32 v33, 0, v33
	v_ldexp_f64 v[33:34], v[33:34], 2
	s_delay_alu instid0(VALU_DEP_3) | instskip(SKIP_1) | instid1(VALU_DEP_2)
	v_add_f64 v[39:40], v[31:32], v[37:38]
	v_add_f64 v[47:48], v[37:38], -v[41:42]
	v_add_f64 v[43:44], v[39:40], v[33:34]
	s_delay_alu instid0(VALU_DEP_2) | instskip(SKIP_2) | instid1(VALU_DEP_4)
	v_add_f64 v[53:54], v[37:38], -v[47:48]
	v_add_f64 v[27:28], v[27:28], -v[47:48]
	;; [unrolled: 1-line block ×3, first 2 shown]
	v_cmp_gt_f64_e32 vcc_lo, 0, v[43:44]
	v_add_f64 v[43:44], v[41:42], -v[45:46]
	s_delay_alu instid0(VALU_DEP_3) | instskip(SKIP_1) | instid1(VALU_DEP_3)
	v_add_f64 v[29:30], v[37:38], -v[29:30]
	v_cndmask_b32_e64 v22, 0, 0x40100000, vcc_lo
	v_add_f64 v[51:52], v[41:42], -v[43:44]
	v_add_f64 v[25:26], v[25:26], -v[43:44]
	;; [unrolled: 1-line block ×3, first 2 shown]
	s_delay_alu instid0(VALU_DEP_4) | instskip(NEXT) | instid1(VALU_DEP_4)
	v_add_f64 v[33:34], v[33:34], v[21:22]
	v_add_f64 v[43:44], v[45:46], -v[51:52]
	s_delay_alu instid0(VALU_DEP_3) | instskip(NEXT) | instid1(VALU_DEP_3)
	v_add_f64 v[27:28], v[27:28], v[41:42]
	v_add_f64 v[49:50], v[39:40], v[33:34]
	s_delay_alu instid0(VALU_DEP_3) | instskip(NEXT) | instid1(VALU_DEP_2)
	v_add_f64 v[25:26], v[25:26], v[43:44]
	v_cvt_i32_f64_e32 v22, v[49:50]
	s_delay_alu instid0(VALU_DEP_2) | instskip(NEXT) | instid1(VALU_DEP_2)
	v_add_f64 v[25:26], v[25:26], v[27:28]
	v_cvt_f64_i32_e32 v[47:48], v22
	s_delay_alu instid0(VALU_DEP_2) | instskip(NEXT) | instid1(VALU_DEP_2)
	v_add_f64 v[19:20], v[19:20], v[25:26]
	v_add_f64 v[33:34], v[33:34], -v[47:48]
	s_delay_alu instid0(VALU_DEP_2) | instskip(NEXT) | instid1(VALU_DEP_2)
	v_add_f64 v[19:20], v[29:30], v[19:20]
	v_add_f64 v[27:28], v[39:40], v[33:34]
	s_delay_alu instid0(VALU_DEP_1) | instskip(SKIP_1) | instid1(VALU_DEP_2)
	v_add_f64 v[25:26], v[27:28], -v[33:34]
	v_cmp_le_f64_e32 vcc_lo, 0.5, v[27:28]
	v_add_f64 v[25:26], v[39:40], -v[25:26]
	v_add_co_ci_u32_e64 v38, s2, 0, v22, vcc_lo
	v_cndmask_b32_e64 v22, 0, 0x3ff00000, vcc_lo
	s_delay_alu instid0(VALU_DEP_3) | instskip(NEXT) | instid1(VALU_DEP_2)
	v_add_f64 v[19:20], v[19:20], v[25:26]
	v_add_f64 v[25:26], v[27:28], -v[21:22]
	s_delay_alu instid0(VALU_DEP_1) | instskip(NEXT) | instid1(VALU_DEP_1)
	v_add_f64 v[27:28], v[25:26], v[19:20]
	v_mul_f64 v[29:30], v[27:28], s[12:13]
	v_add_f64 v[25:26], v[27:28], -v[25:26]
	s_delay_alu instid0(VALU_DEP_2) | instskip(NEXT) | instid1(VALU_DEP_2)
	v_fma_f64 v[31:32], v[27:28], s[12:13], -v[29:30]
	v_add_f64 v[19:20], v[19:20], -v[25:26]
	s_delay_alu instid0(VALU_DEP_2) | instskip(NEXT) | instid1(VALU_DEP_1)
	v_fma_f64 v[25:26], v[27:28], s[20:21], v[31:32]
	v_fma_f64 v[19:20], v[19:20], s[12:13], v[25:26]
	s_delay_alu instid0(VALU_DEP_1) | instskip(NEXT) | instid1(VALU_DEP_1)
	v_add_f64 v[31:32], v[29:30], v[19:20]
	v_add_f64 v[25:26], v[31:32], -v[29:30]
	s_delay_alu instid0(VALU_DEP_1)
	v_add_f64 v[33:34], v[19:20], -v[25:26]
	s_and_not1_saveexec_b32 s2, s3
	s_cbranch_execnz .LBB132_131
	s_branch .LBB132_132
.LBB132_130:                            ;   in Loop: Header=BB132_4 Depth=1
	s_and_not1_saveexec_b32 s2, s3
	s_cbranch_execz .LBB132_132
.LBB132_131:                            ;   in Loop: Header=BB132_4 Depth=1
	v_mul_f64 v[19:20], |v[11:12]|, s[22:23]
	s_mov_b32 s18, s24
	s_delay_alu instid0(VALU_DEP_1) | instskip(NEXT) | instid1(VALU_DEP_1)
	v_rndne_f64_e32 v[19:20], v[19:20]
	v_fma_f64 v[25:26], v[19:20], s[14:15], |v[11:12]|
	v_mul_f64 v[27:28], v[19:20], s[24:25]
	v_cvt_i32_f64_e32 v38, v[19:20]
	s_delay_alu instid0(VALU_DEP_3) | instskip(NEXT) | instid1(VALU_DEP_3)
	v_fma_f64 v[33:34], v[19:20], s[24:25], v[25:26]
	v_add_f64 v[29:30], v[25:26], v[27:28]
	s_delay_alu instid0(VALU_DEP_1) | instskip(NEXT) | instid1(VALU_DEP_3)
	v_add_f64 v[25:26], v[25:26], -v[29:30]
	v_add_f64 v[29:30], v[29:30], -v[33:34]
	s_delay_alu instid0(VALU_DEP_2) | instskip(SKIP_1) | instid1(VALU_DEP_2)
	v_add_f64 v[25:26], v[25:26], v[27:28]
	v_fma_f64 v[27:28], v[19:20], s[18:19], v[27:28]
	v_add_f64 v[25:26], v[29:30], v[25:26]
	s_delay_alu instid0(VALU_DEP_1) | instskip(NEXT) | instid1(VALU_DEP_1)
	v_add_f64 v[25:26], v[25:26], -v[27:28]
	v_fma_f64 v[25:26], v[19:20], s[26:27], v[25:26]
	s_delay_alu instid0(VALU_DEP_1) | instskip(NEXT) | instid1(VALU_DEP_1)
	v_add_f64 v[31:32], v[33:34], v[25:26]
	v_add_f64 v[27:28], v[31:32], -v[33:34]
	s_delay_alu instid0(VALU_DEP_1)
	v_add_f64 v[33:34], v[25:26], -v[27:28]
.LBB132_132:                            ;   in Loop: Header=BB132_4 Depth=1
	s_or_b32 exec_lo, exec_lo, s2
	v_mul_f64 v[19:20], v[9:10], v[9:10]
	v_mul_f64 v[25:26], v[31:32], v[31:32]
	s_delay_alu instid0(VALU_DEP_3) | instskip(NEXT) | instid1(VALU_DEP_4)
	v_mul_f64 v[51:52], v[17:18], 0.5
	v_mul_f64 v[57:58], v[33:34], 0.5
	s_mov_b32 s80, s50
	v_cmp_class_f64_e64 s2, v[11:12], 0x1f8
	v_fma_f64 v[27:28], v[19:20], s[68:69], s[66:67]
	v_fma_f64 v[29:30], v[25:26], s[68:69], s[66:67]
	v_mul_f64 v[41:42], v[19:20], 0.5
	v_fma_f64 v[39:40], v[19:20], s[58:59], s[56:57]
	v_fma_f64 v[43:44], v[25:26], s[58:59], s[56:57]
	v_mul_f64 v[45:46], v[25:26], 0.5
	v_mul_f64 v[53:54], v[9:10], -v[19:20]
	v_mul_f64 v[59:60], v[31:32], -v[25:26]
	v_fma_f64 v[27:28], v[19:20], v[27:28], s[70:71]
	v_fma_f64 v[29:30], v[25:26], v[29:30], s[70:71]
	v_add_f64 v[47:48], -v[41:42], 1.0
	v_fma_f64 v[39:40], v[19:20], v[39:40], s[60:61]
	v_fma_f64 v[43:44], v[25:26], v[43:44], s[60:61]
	v_add_f64 v[49:50], -v[45:46], 1.0
	;; [unrolled: 3-line block ×4, first 2 shown]
	v_fma_f64 v[27:28], v[19:20], v[27:28], s[48:49]
	v_fma_f64 v[29:30], v[25:26], v[29:30], s[48:49]
	v_add_f64 v[41:42], v[55:56], -v[41:42]
	v_fma_f64 v[39:40], v[19:20], v[39:40], s[64:65]
	v_fma_f64 v[43:44], v[25:26], v[43:44], s[64:65]
	v_add_f64 v[45:46], v[61:62], -v[45:46]
	v_fma_f64 v[27:28], v[53:54], v[27:28], v[51:52]
	v_fma_f64 v[29:30], v[59:60], v[29:30], v[57:58]
	v_fma_f64 v[41:42], v[9:10], -v[17:18], v[41:42]
	v_mul_f64 v[51:52], v[19:20], v[19:20]
	v_fma_f64 v[39:40], v[19:20], v[39:40], s[50:51]
	v_fma_f64 v[17:18], v[19:20], v[27:28], -v[17:18]
	v_mul_f64 v[19:20], v[25:26], v[25:26]
	v_fma_f64 v[27:28], v[25:26], v[43:44], s[50:51]
	v_fma_f64 v[43:44], v[31:32], -v[33:34], v[45:46]
	v_fma_f64 v[25:26], v[25:26], v[29:30], -v[33:34]
	v_fma_f64 v[29:30], v[51:52], v[39:40], v[41:42]
	v_fma_f64 v[17:18], v[53:54], s[80:81], v[17:18]
	s_delay_alu instid0(VALU_DEP_4) | instskip(NEXT) | instid1(VALU_DEP_4)
	v_fma_f64 v[19:20], v[19:20], v[27:28], v[43:44]
	v_fma_f64 v[25:26], v[59:60], s[80:81], v[25:26]
	s_delay_alu instid0(VALU_DEP_4) | instskip(NEXT) | instid1(VALU_DEP_4)
	v_add_f64 v[27:28], v[47:48], v[29:30]
	v_add_f64 v[9:10], v[9:10], -v[17:18]
	v_and_b32_e32 v22, 1, v36
	v_add_f64 v[17:18], v[49:50], v[19:20]
	v_add_f64 v[19:20], v[31:32], -v[25:26]
	v_lshlrev_b32_e32 v25, 30, v36
	s_delay_alu instid0(VALU_DEP_4) | instskip(SKIP_1) | instid1(VALU_DEP_1)
	v_cmp_eq_u32_e32 vcc_lo, 0, v22
	v_and_b32_e32 v22, 1, v38
	v_cmp_eq_u32_e64 s3, 0, v22
	v_cndmask_b32_e32 v9, v9, v27, vcc_lo
	v_xor_b32_e32 v10, 0x80000000, v10
	v_lshlrev_b32_e32 v11, 30, v38
	s_delay_alu instid0(VALU_DEP_4) | instskip(SKIP_1) | instid1(VALU_DEP_4)
	v_cndmask_b32_e64 v19, v17, v19, s3
	v_cndmask_b32_e64 v17, v18, v20, s3
	v_cndmask_b32_e32 v10, v10, v28, vcc_lo
	s_delay_alu instid0(VALU_DEP_4) | instskip(SKIP_2) | instid1(VALU_DEP_3)
	v_xor_b32_e32 v11, v11, v12
	v_and_b32_e32 v12, 0x80000000, v25
	v_cndmask_b32_e64 v19, 0, v19, s2
	v_and_b32_e32 v11, 0x80000000, v11
	s_delay_alu instid0(VALU_DEP_3) | instskip(NEXT) | instid1(VALU_DEP_2)
	v_xor_b32_e32 v10, v10, v12
	v_xor_b32_e32 v11, v17, v11
	v_cndmask_b32_e64 v17, 0, v9, s2
	s_delay_alu instid0(VALU_DEP_3) | instskip(NEXT) | instid1(VALU_DEP_3)
	v_cndmask_b32_e64 v18, 0x7ff80000, v10, s2
	v_cndmask_b32_e64 v20, 0x7ff80000, v11, s2
.LBB132_133:                            ;   in Loop: Header=BB132_4 Depth=1
	s_or_b32 exec_lo, exec_lo, s4
                                        ; implicit-def: $vgpr9_vgpr10
.LBB132_134:                            ;   in Loop: Header=BB132_4 Depth=1
	s_and_not1_saveexec_b32 s3, s90
	s_cbranch_execz .LBB132_136
; %bb.135:                              ;   in Loop: Header=BB132_4 Depth=1
	v_mul_f64 v[17:18], v[9:10], s[28:29]
	s_mov_b32 s77, s49
	s_mov_b32 s79, s51
	v_cmp_nlt_f64_e32 vcc_lo, 0x40900000, v[9:10]
	v_cmp_ngt_f64_e64 s2, 0xc090cc00, v[9:10]
	s_delay_alu instid0(VALU_DEP_3) | instskip(NEXT) | instid1(VALU_DEP_1)
	v_rndne_f64_e32 v[17:18], v[17:18]
	v_fma_f64 v[19:20], v[17:18], s[30:31], v[9:10]
	v_cvt_i32_f64_e32 v22, v[17:18]
	s_delay_alu instid0(VALU_DEP_2) | instskip(NEXT) | instid1(VALU_DEP_1)
	v_fma_f64 v[19:20], v[17:18], s[34:35], v[19:20]
	v_fma_f64 v[25:26], v[19:20], s[38:39], s[36:37]
	s_delay_alu instid0(VALU_DEP_1) | instskip(NEXT) | instid1(VALU_DEP_1)
	v_fma_f64 v[25:26], v[19:20], v[25:26], s[40:41]
	v_fma_f64 v[25:26], v[19:20], v[25:26], s[42:43]
	s_delay_alu instid0(VALU_DEP_1) | instskip(NEXT) | instid1(VALU_DEP_1)
	;; [unrolled: 3-line block ×5, first 2 shown]
	v_fma_f64 v[25:26], v[19:20], v[25:26], 1.0
	v_fma_f64 v[17:18], v[19:20], v[25:26], 1.0
	v_dual_mov_b32 v20, v12 :: v_dual_mov_b32 v19, v11
	s_delay_alu instid0(VALU_DEP_2) | instskip(NEXT) | instid1(VALU_DEP_1)
	v_ldexp_f64 v[17:18], v[17:18], v22
	v_cndmask_b32_e32 v18, 0x7ff00000, v18, vcc_lo
	s_and_b32 vcc_lo, s2, vcc_lo
	s_delay_alu instid0(VALU_DEP_2) | instskip(NEXT) | instid1(VALU_DEP_2)
	v_cndmask_b32_e32 v17, 0, v17, vcc_lo
	v_cndmask_b32_e64 v18, 0, v18, s2
.LBB132_136:                            ;   in Loop: Header=BB132_4 Depth=1
	s_or_b32 exec_lo, exec_lo, s3
	v_and_b32_e32 v9, 0x7fffffff, v4
                                        ; implicit-def: $vgpr11_vgpr12
	s_mov_b32 s2, exec_lo
	s_delay_alu instid0(VALU_DEP_1) | instskip(NEXT) | instid1(VALU_DEP_1)
	v_or_b32_e32 v10, v9, v3
	v_cmpx_ne_u32_e32 0, v10
	s_xor_b32 s90, exec_lo, s2
	s_cbranch_execz .LBB132_178
; %bb.137:                              ;   in Loop: Header=BB132_4 Depth=1
	v_and_b32_e32 v22, 0x7fffffff, v2
                                        ; implicit-def: $vgpr11_vgpr12
	s_mov_b32 s2, exec_lo
	s_delay_alu instid0(VALU_DEP_1) | instskip(NEXT) | instid1(VALU_DEP_1)
	v_or_b32_e32 v10, v22, v1
	v_cmpx_ne_u32_e32 0, v10
	s_xor_b32 s91, exec_lo, s2
	s_cbranch_execz .LBB132_167
; %bb.138:                              ;   in Loop: Header=BB132_4 Depth=1
                                        ; implicit-def: $vgpr11_vgpr12
	s_mov_b32 s2, exec_lo
	v_cmpx_gt_u32_e32 0x7ff00000, v9
	s_xor_b32 s92, exec_lo, s2
	s_cbranch_execz .LBB132_160
; %bb.139:                              ;   in Loop: Header=BB132_4 Depth=1
	v_add_nc_u32_e32 v9, 0xbf79d1be, v2
                                        ; implicit-def: $vgpr11_vgpr12
	s_mov_b32 s2, exec_lo
	s_delay_alu instid0(VALU_DEP_1)
	v_cmpx_lt_u32_e32 0x108aa2, v9
	s_xor_b32 s93, exec_lo, s2
	s_cbranch_execz .LBB132_149
; %bb.140:                              ;   in Loop: Header=BB132_4 Depth=1
	v_cmp_ngt_f64_e64 s3, 0x41d00000, |v[3:4]|
                                        ; implicit-def: $vgpr29
                                        ; implicit-def: $vgpr9_vgpr10
                                        ; implicit-def: $vgpr11_vgpr12
	s_delay_alu instid0(VALU_DEP_1) | instskip(NEXT) | instid1(SALU_CYCLE_1)
	s_and_saveexec_b32 s2, s3
	s_xor_b32 s4, exec_lo, s2
	s_cbranch_execz .LBB132_142
; %bb.141:                              ;   in Loop: Header=BB132_4 Depth=1
	v_ldexp_f64 v[9:10], |v[3:4]|, 0xffffff80
	v_cmp_le_f64_e64 vcc_lo, 0x7b000000, |v[3:4]|
	v_trig_preop_f64 v[11:12], |v[3:4]|, 0
	v_and_b32_e32 v22, 0x7fffffff, v4
	v_trig_preop_f64 v[25:26], |v[3:4]|, 1
	v_trig_preop_f64 v[36:37], |v[3:4]|, 2
	s_mov_b32 s12, s14
	s_mov_b32 s21, s19
	v_dual_cndmask_b32 v9, v3, v9 :: v_dual_cndmask_b32 v10, v22, v10
	s_delay_alu instid0(VALU_DEP_1) | instskip(NEXT) | instid1(VALU_DEP_4)
	v_mul_f64 v[27:28], v[11:12], v[9:10]
	v_mul_f64 v[29:30], v[25:26], v[9:10]
	s_delay_alu instid0(VALU_DEP_2) | instskip(NEXT) | instid1(VALU_DEP_2)
	v_fma_f64 v[11:12], v[11:12], v[9:10], -v[27:28]
	v_fma_f64 v[25:26], v[25:26], v[9:10], -v[29:30]
	s_delay_alu instid0(VALU_DEP_2) | instskip(NEXT) | instid1(VALU_DEP_1)
	v_add_f64 v[31:32], v[29:30], v[11:12]
	v_add_f64 v[33:34], v[31:32], -v[29:30]
	v_add_f64 v[40:41], v[27:28], v[31:32]
	s_delay_alu instid0(VALU_DEP_2) | instskip(SKIP_1) | instid1(VALU_DEP_3)
	v_add_f64 v[38:39], v[31:32], -v[33:34]
	v_add_f64 v[11:12], v[11:12], -v[33:34]
	v_ldexp_f64 v[33:34], v[40:41], -2
	v_add_f64 v[27:28], v[40:41], -v[27:28]
	s_delay_alu instid0(VALU_DEP_4) | instskip(NEXT) | instid1(VALU_DEP_3)
	v_add_f64 v[29:30], v[29:30], -v[38:39]
	v_cmp_neq_f64_e64 vcc_lo, 0x7ff00000, |v[33:34]|
	s_delay_alu instid0(VALU_DEP_3) | instskip(NEXT) | instid1(VALU_DEP_3)
	v_add_f64 v[27:28], v[31:32], -v[27:28]
	v_add_f64 v[11:12], v[11:12], v[29:30]
	v_fract_f64_e32 v[29:30], v[33:34]
	s_delay_alu instid0(VALU_DEP_1) | instskip(SKIP_1) | instid1(VALU_DEP_3)
	v_cndmask_b32_e32 v29, 0, v29, vcc_lo
	v_mul_f64 v[42:43], v[36:37], v[9:10]
	v_cndmask_b32_e32 v30, 0, v30, vcc_lo
	s_delay_alu instid0(VALU_DEP_1) | instskip(NEXT) | instid1(VALU_DEP_3)
	v_ldexp_f64 v[29:30], v[29:30], 2
	v_add_f64 v[38:39], v[42:43], v[25:26]
	v_fma_f64 v[9:10], v[36:37], v[9:10], -v[42:43]
	s_delay_alu instid0(VALU_DEP_2) | instskip(NEXT) | instid1(VALU_DEP_1)
	v_add_f64 v[31:32], v[38:39], v[11:12]
	v_add_f64 v[33:34], v[27:28], v[31:32]
	v_add_f64 v[44:45], v[31:32], -v[38:39]
	s_delay_alu instid0(VALU_DEP_2) | instskip(NEXT) | instid1(VALU_DEP_2)
	v_add_f64 v[40:41], v[33:34], v[29:30]
	v_add_f64 v[50:51], v[31:32], -v[44:45]
	v_add_f64 v[11:12], v[11:12], -v[44:45]
	;; [unrolled: 1-line block ×3, first 2 shown]
	s_delay_alu instid0(VALU_DEP_4) | instskip(SKIP_1) | instid1(VALU_DEP_3)
	v_cmp_gt_f64_e32 vcc_lo, 0, v[40:41]
	v_add_f64 v[40:41], v[38:39], -v[42:43]
	v_add_f64 v[27:28], v[31:32], -v[27:28]
	v_cndmask_b32_e64 v22, 0, 0x40100000, vcc_lo
	s_delay_alu instid0(VALU_DEP_3) | instskip(SKIP_2) | instid1(VALU_DEP_4)
	v_add_f64 v[48:49], v[38:39], -v[40:41]
	v_add_f64 v[25:26], v[25:26], -v[40:41]
	;; [unrolled: 1-line block ×3, first 2 shown]
	v_add_f64 v[29:30], v[29:30], v[21:22]
	s_delay_alu instid0(VALU_DEP_4) | instskip(NEXT) | instid1(VALU_DEP_3)
	v_add_f64 v[40:41], v[42:43], -v[48:49]
	v_add_f64 v[11:12], v[11:12], v[38:39]
	s_delay_alu instid0(VALU_DEP_3) | instskip(NEXT) | instid1(VALU_DEP_3)
	v_add_f64 v[46:47], v[33:34], v[29:30]
	v_add_f64 v[25:26], v[25:26], v[40:41]
	s_delay_alu instid0(VALU_DEP_2) | instskip(NEXT) | instid1(VALU_DEP_2)
	v_cvt_i32_f64_e32 v22, v[46:47]
	v_add_f64 v[11:12], v[25:26], v[11:12]
	s_delay_alu instid0(VALU_DEP_2) | instskip(NEXT) | instid1(VALU_DEP_2)
	v_cvt_f64_i32_e32 v[44:45], v22
	v_add_f64 v[9:10], v[9:10], v[11:12]
	s_delay_alu instid0(VALU_DEP_2) | instskip(NEXT) | instid1(VALU_DEP_2)
	v_add_f64 v[29:30], v[29:30], -v[44:45]
	v_add_f64 v[9:10], v[27:28], v[9:10]
	s_delay_alu instid0(VALU_DEP_2) | instskip(NEXT) | instid1(VALU_DEP_1)
	v_add_f64 v[25:26], v[33:34], v[29:30]
	v_add_f64 v[11:12], v[25:26], -v[29:30]
	v_cmp_le_f64_e32 vcc_lo, 0.5, v[25:26]
	s_delay_alu instid0(VALU_DEP_2) | instskip(SKIP_2) | instid1(VALU_DEP_3)
	v_add_f64 v[11:12], v[33:34], -v[11:12]
	v_add_co_ci_u32_e64 v29, s2, 0, v22, vcc_lo
	v_cndmask_b32_e64 v22, 0, 0x3ff00000, vcc_lo
	v_add_f64 v[9:10], v[9:10], v[11:12]
	s_delay_alu instid0(VALU_DEP_2) | instskip(NEXT) | instid1(VALU_DEP_1)
	v_add_f64 v[11:12], v[25:26], -v[21:22]
	v_add_f64 v[25:26], v[11:12], v[9:10]
	s_delay_alu instid0(VALU_DEP_1) | instskip(SKIP_1) | instid1(VALU_DEP_2)
	v_mul_f64 v[27:28], v[25:26], s[12:13]
	v_add_f64 v[11:12], v[25:26], -v[11:12]
	v_fma_f64 v[30:31], v[25:26], s[12:13], -v[27:28]
	s_delay_alu instid0(VALU_DEP_2) | instskip(NEXT) | instid1(VALU_DEP_2)
	v_add_f64 v[9:10], v[9:10], -v[11:12]
	v_fma_f64 v[11:12], v[25:26], s[20:21], v[30:31]
	s_delay_alu instid0(VALU_DEP_1) | instskip(NEXT) | instid1(VALU_DEP_1)
	v_fma_f64 v[11:12], v[9:10], s[12:13], v[11:12]
	v_add_f64 v[9:10], v[27:28], v[11:12]
	s_delay_alu instid0(VALU_DEP_1) | instskip(NEXT) | instid1(VALU_DEP_1)
	v_add_f64 v[25:26], v[9:10], -v[27:28]
	v_add_f64 v[11:12], v[11:12], -v[25:26]
	s_and_not1_saveexec_b32 s2, s4
	s_cbranch_execz .LBB132_144
	s_branch .LBB132_143
.LBB132_142:                            ;   in Loop: Header=BB132_4 Depth=1
	s_and_not1_saveexec_b32 s2, s4
	s_cbranch_execz .LBB132_144
.LBB132_143:                            ;   in Loop: Header=BB132_4 Depth=1
	v_mul_f64 v[9:10], |v[3:4]|, s[22:23]
	s_mov_b32 s18, s24
	s_delay_alu instid0(VALU_DEP_1) | instskip(NEXT) | instid1(VALU_DEP_1)
	v_rndne_f64_e32 v[25:26], v[9:10]
	v_fma_f64 v[9:10], v[25:26], s[14:15], |v[3:4]|
	v_mul_f64 v[11:12], v[25:26], s[24:25]
	s_delay_alu instid0(VALU_DEP_2) | instskip(NEXT) | instid1(VALU_DEP_2)
	v_fma_f64 v[29:30], v[25:26], s[24:25], v[9:10]
	v_add_f64 v[27:28], v[9:10], v[11:12]
	s_delay_alu instid0(VALU_DEP_1) | instskip(NEXT) | instid1(VALU_DEP_3)
	v_add_f64 v[9:10], v[9:10], -v[27:28]
	v_add_f64 v[27:28], v[27:28], -v[29:30]
	s_delay_alu instid0(VALU_DEP_2) | instskip(SKIP_1) | instid1(VALU_DEP_2)
	v_add_f64 v[9:10], v[9:10], v[11:12]
	v_fma_f64 v[11:12], v[25:26], s[18:19], v[11:12]
	v_add_f64 v[9:10], v[27:28], v[9:10]
	s_delay_alu instid0(VALU_DEP_1) | instskip(NEXT) | instid1(VALU_DEP_1)
	v_add_f64 v[9:10], v[9:10], -v[11:12]
	v_fma_f64 v[11:12], v[25:26], s[26:27], v[9:10]
	s_delay_alu instid0(VALU_DEP_1) | instskip(NEXT) | instid1(VALU_DEP_1)
	v_add_f64 v[9:10], v[29:30], v[11:12]
	v_add_f64 v[27:28], v[9:10], -v[29:30]
	v_cvt_i32_f64_e32 v29, v[25:26]
	s_delay_alu instid0(VALU_DEP_2)
	v_add_f64 v[11:12], v[11:12], -v[27:28]
.LBB132_144:                            ;   in Loop: Header=BB132_4 Depth=1
	s_or_b32 exec_lo, exec_lo, s2
                                        ; implicit-def: $vgpr30
                                        ; implicit-def: $vgpr25_vgpr26
                                        ; implicit-def: $vgpr27_vgpr28
	s_and_saveexec_b32 s2, s3
	s_delay_alu instid0(SALU_CYCLE_1)
	s_xor_b32 s3, exec_lo, s2
	s_cbranch_execz .LBB132_146
; %bb.145:                              ;   in Loop: Header=BB132_4 Depth=1
	v_ldexp_f64 v[25:26], |v[3:4]|, 0xffffff80
	v_cmp_le_f64_e64 vcc_lo, 0x7b000000, |v[3:4]|
	v_trig_preop_f64 v[27:28], |v[3:4]|, 0
	v_and_b32_e32 v22, 0x7fffffff, v4
	v_trig_preop_f64 v[30:31], |v[3:4]|, 1
	v_trig_preop_f64 v[42:43], |v[3:4]|, 2
	s_mov_b32 s12, s14
	s_mov_b32 s21, s19
	v_dual_cndmask_b32 v25, v3, v25 :: v_dual_cndmask_b32 v26, v22, v26
	s_delay_alu instid0(VALU_DEP_1) | instskip(NEXT) | instid1(VALU_DEP_4)
	v_mul_f64 v[32:33], v[27:28], v[25:26]
	v_mul_f64 v[36:37], v[30:31], v[25:26]
	s_delay_alu instid0(VALU_DEP_2) | instskip(NEXT) | instid1(VALU_DEP_2)
	v_fma_f64 v[27:28], v[27:28], v[25:26], -v[32:33]
	v_fma_f64 v[30:31], v[30:31], v[25:26], -v[36:37]
	s_delay_alu instid0(VALU_DEP_2) | instskip(NEXT) | instid1(VALU_DEP_1)
	v_add_f64 v[38:39], v[36:37], v[27:28]
	v_add_f64 v[40:41], v[38:39], -v[36:37]
	v_add_f64 v[46:47], v[32:33], v[38:39]
	s_delay_alu instid0(VALU_DEP_2) | instskip(SKIP_1) | instid1(VALU_DEP_3)
	v_add_f64 v[44:45], v[38:39], -v[40:41]
	v_add_f64 v[27:28], v[27:28], -v[40:41]
	v_ldexp_f64 v[40:41], v[46:47], -2
	v_add_f64 v[32:33], v[46:47], -v[32:33]
	s_delay_alu instid0(VALU_DEP_4) | instskip(NEXT) | instid1(VALU_DEP_3)
	v_add_f64 v[36:37], v[36:37], -v[44:45]
	v_cmp_neq_f64_e64 vcc_lo, 0x7ff00000, |v[40:41]|
	s_delay_alu instid0(VALU_DEP_3) | instskip(NEXT) | instid1(VALU_DEP_3)
	v_add_f64 v[32:33], v[38:39], -v[32:33]
	v_add_f64 v[27:28], v[27:28], v[36:37]
	v_fract_f64_e32 v[36:37], v[40:41]
	s_delay_alu instid0(VALU_DEP_1) | instskip(SKIP_1) | instid1(VALU_DEP_3)
	v_cndmask_b32_e32 v37, 0, v37, vcc_lo
	v_mul_f64 v[48:49], v[42:43], v[25:26]
	v_cndmask_b32_e32 v36, 0, v36, vcc_lo
	s_delay_alu instid0(VALU_DEP_1) | instskip(NEXT) | instid1(VALU_DEP_3)
	v_ldexp_f64 v[36:37], v[36:37], 2
	v_add_f64 v[44:45], v[48:49], v[30:31]
	v_fma_f64 v[25:26], v[42:43], v[25:26], -v[48:49]
	s_delay_alu instid0(VALU_DEP_2) | instskip(NEXT) | instid1(VALU_DEP_1)
	v_add_f64 v[38:39], v[44:45], v[27:28]
	v_add_f64 v[40:41], v[32:33], v[38:39]
	v_add_f64 v[50:51], v[38:39], -v[44:45]
	s_delay_alu instid0(VALU_DEP_2) | instskip(NEXT) | instid1(VALU_DEP_2)
	v_add_f64 v[46:47], v[40:41], v[36:37]
	v_add_f64 v[56:57], v[38:39], -v[50:51]
	v_add_f64 v[27:28], v[27:28], -v[50:51]
	;; [unrolled: 1-line block ×3, first 2 shown]
	s_delay_alu instid0(VALU_DEP_4) | instskip(SKIP_2) | instid1(VALU_DEP_2)
	v_cmp_gt_f64_e32 vcc_lo, 0, v[46:47]
	v_add_f64 v[46:47], v[44:45], -v[48:49]
	v_cndmask_b32_e64 v22, 0, 0x40100000, vcc_lo
	v_add_f64 v[54:55], v[44:45], -v[46:47]
	v_add_f64 v[30:31], v[30:31], -v[46:47]
	;; [unrolled: 1-line block ×3, first 2 shown]
	s_delay_alu instid0(VALU_DEP_4) | instskip(NEXT) | instid1(VALU_DEP_4)
	v_add_f64 v[36:37], v[36:37], v[21:22]
	v_add_f64 v[46:47], v[48:49], -v[54:55]
	s_delay_alu instid0(VALU_DEP_3) | instskip(NEXT) | instid1(VALU_DEP_3)
	v_add_f64 v[27:28], v[27:28], v[44:45]
	v_add_f64 v[52:53], v[40:41], v[36:37]
	s_delay_alu instid0(VALU_DEP_3) | instskip(NEXT) | instid1(VALU_DEP_2)
	v_add_f64 v[30:31], v[30:31], v[46:47]
	v_cvt_i32_f64_e32 v22, v[52:53]
	s_delay_alu instid0(VALU_DEP_2) | instskip(SKIP_1) | instid1(VALU_DEP_3)
	v_add_f64 v[27:28], v[30:31], v[27:28]
	v_add_f64 v[30:31], v[38:39], -v[32:33]
	v_cvt_f64_i32_e32 v[50:51], v22
	s_delay_alu instid0(VALU_DEP_3) | instskip(NEXT) | instid1(VALU_DEP_2)
	v_add_f64 v[25:26], v[25:26], v[27:28]
	v_add_f64 v[36:37], v[36:37], -v[50:51]
	s_delay_alu instid0(VALU_DEP_2) | instskip(NEXT) | instid1(VALU_DEP_2)
	v_add_f64 v[25:26], v[30:31], v[25:26]
	v_add_f64 v[42:43], v[40:41], v[36:37]
	s_delay_alu instid0(VALU_DEP_1) | instskip(SKIP_1) | instid1(VALU_DEP_2)
	v_add_f64 v[27:28], v[42:43], -v[36:37]
	v_cmp_le_f64_e32 vcc_lo, 0.5, v[42:43]
	v_add_f64 v[27:28], v[40:41], -v[27:28]
	v_add_co_ci_u32_e64 v30, s2, 0, v22, vcc_lo
	v_cndmask_b32_e64 v22, 0, 0x3ff00000, vcc_lo
	s_delay_alu instid0(VALU_DEP_3) | instskip(NEXT) | instid1(VALU_DEP_2)
	v_add_f64 v[25:26], v[25:26], v[27:28]
	v_add_f64 v[27:28], v[42:43], -v[21:22]
	s_delay_alu instid0(VALU_DEP_1) | instskip(NEXT) | instid1(VALU_DEP_1)
	v_add_f64 v[31:32], v[27:28], v[25:26]
	v_mul_f64 v[33:34], v[31:32], s[12:13]
	v_add_f64 v[27:28], v[31:32], -v[27:28]
	s_delay_alu instid0(VALU_DEP_2) | instskip(NEXT) | instid1(VALU_DEP_2)
	v_fma_f64 v[36:37], v[31:32], s[12:13], -v[33:34]
	v_add_f64 v[25:26], v[25:26], -v[27:28]
	s_delay_alu instid0(VALU_DEP_2) | instskip(NEXT) | instid1(VALU_DEP_1)
	v_fma_f64 v[27:28], v[31:32], s[20:21], v[36:37]
	v_fma_f64 v[27:28], v[25:26], s[12:13], v[27:28]
	s_delay_alu instid0(VALU_DEP_1) | instskip(NEXT) | instid1(VALU_DEP_1)
	v_add_f64 v[25:26], v[33:34], v[27:28]
	v_add_f64 v[31:32], v[25:26], -v[33:34]
	s_delay_alu instid0(VALU_DEP_1)
	v_add_f64 v[27:28], v[27:28], -v[31:32]
	s_and_not1_saveexec_b32 s2, s3
	s_cbranch_execnz .LBB132_147
	s_branch .LBB132_148
.LBB132_146:                            ;   in Loop: Header=BB132_4 Depth=1
	s_and_not1_saveexec_b32 s2, s3
	s_cbranch_execz .LBB132_148
.LBB132_147:                            ;   in Loop: Header=BB132_4 Depth=1
	v_mul_f64 v[25:26], |v[3:4]|, s[22:23]
	s_mov_b32 s18, s24
	s_delay_alu instid0(VALU_DEP_1) | instskip(NEXT) | instid1(VALU_DEP_1)
	v_rndne_f64_e32 v[30:31], v[25:26]
	v_fma_f64 v[25:26], v[30:31], s[14:15], |v[3:4]|
	v_mul_f64 v[27:28], v[30:31], s[24:25]
	s_delay_alu instid0(VALU_DEP_2) | instskip(NEXT) | instid1(VALU_DEP_2)
	v_fma_f64 v[36:37], v[30:31], s[24:25], v[25:26]
	v_add_f64 v[32:33], v[25:26], v[27:28]
	s_delay_alu instid0(VALU_DEP_1) | instskip(NEXT) | instid1(VALU_DEP_3)
	v_add_f64 v[25:26], v[25:26], -v[32:33]
	v_add_f64 v[32:33], v[32:33], -v[36:37]
	s_delay_alu instid0(VALU_DEP_2) | instskip(SKIP_1) | instid1(VALU_DEP_2)
	v_add_f64 v[25:26], v[25:26], v[27:28]
	v_fma_f64 v[27:28], v[30:31], s[18:19], v[27:28]
	v_add_f64 v[25:26], v[32:33], v[25:26]
	s_delay_alu instid0(VALU_DEP_1) | instskip(NEXT) | instid1(VALU_DEP_1)
	v_add_f64 v[25:26], v[25:26], -v[27:28]
	v_fma_f64 v[27:28], v[30:31], s[26:27], v[25:26]
	v_cvt_i32_f64_e32 v30, v[30:31]
	s_delay_alu instid0(VALU_DEP_2) | instskip(NEXT) | instid1(VALU_DEP_1)
	v_add_f64 v[25:26], v[36:37], v[27:28]
	v_add_f64 v[32:33], v[25:26], -v[36:37]
	s_delay_alu instid0(VALU_DEP_1)
	v_add_f64 v[27:28], v[27:28], -v[32:33]
.LBB132_148:                            ;   in Loop: Header=BB132_4 Depth=1
	s_or_b32 exec_lo, exec_lo, s2
	v_mul_f64 v[31:32], v[1:2], s[28:29]
	v_mul_f64 v[38:39], v[9:10], v[9:10]
	;; [unrolled: 1-line block ×3, first 2 shown]
	s_mov_b32 s77, s49
	s_mov_b32 s79, s51
	s_delay_alu instid0(VALU_DEP_4)
	v_mul_f64 v[58:59], v[11:12], 0.5
	v_mul_f64 v[64:65], v[27:28], 0.5
	s_mov_b32 s80, s50
	v_cmp_nlt_f64_e64 s3, 0x40900000, v[1:2]
	v_cmp_ngt_f64_e64 s4, 0xc090cc00, v[1:2]
	v_cmp_class_f64_e64 s2, v[3:4], 0x1f8
	v_and_b32_e32 v3, 1, v30
	s_delay_alu instid0(VALU_DEP_1)
	v_cmp_eq_u32_e64 s5, 0, v3
	v_rndne_f64_e32 v[31:32], v[31:32]
	v_fma_f64 v[42:43], v[38:39], s[68:69], s[66:67]
	v_fma_f64 v[44:45], v[40:41], s[68:69], s[66:67]
	v_mul_f64 v[48:49], v[38:39], 0.5
	v_fma_f64 v[46:47], v[38:39], s[58:59], s[56:57]
	v_fma_f64 v[50:51], v[40:41], s[58:59], s[56:57]
	v_mul_f64 v[52:53], v[40:41], 0.5
	v_mul_f64 v[60:61], v[9:10], -v[38:39]
	v_mul_f64 v[66:67], v[25:26], -v[40:41]
	v_fma_f64 v[33:34], v[31:32], s[30:31], v[1:2]
	v_fma_f64 v[42:43], v[38:39], v[42:43], s[70:71]
	;; [unrolled: 1-line block ×3, first 2 shown]
	v_add_f64 v[54:55], -v[48:49], 1.0
	v_fma_f64 v[46:47], v[38:39], v[46:47], s[60:61]
	v_fma_f64 v[50:51], v[40:41], v[50:51], s[60:61]
	v_add_f64 v[56:57], -v[52:53], 1.0
	v_cvt_i32_f64_e32 v22, v[31:32]
	v_lshlrev_b32_e32 v1, 30, v30
	s_delay_alu instid0(VALU_DEP_1) | instskip(NEXT) | instid1(VALU_DEP_1)
	v_xor_b32_e32 v1, v1, v4
	v_and_b32_e32 v4, 0x80000000, v1
	v_fma_f64 v[33:34], v[31:32], s[34:35], v[33:34]
	v_fma_f64 v[42:43], v[38:39], v[42:43], s[72:73]
	;; [unrolled: 1-line block ×3, first 2 shown]
	v_add_f64 v[62:63], -v[54:55], 1.0
	v_fma_f64 v[46:47], v[38:39], v[46:47], s[62:63]
	v_fma_f64 v[50:51], v[40:41], v[50:51], s[62:63]
	v_add_f64 v[68:69], -v[56:57], 1.0
	v_fma_f64 v[36:37], v[33:34], s[38:39], s[36:37]
	v_fma_f64 v[42:43], v[38:39], v[42:43], s[48:49]
	;; [unrolled: 1-line block ×3, first 2 shown]
	v_add_f64 v[48:49], v[62:63], -v[48:49]
	v_fma_f64 v[46:47], v[38:39], v[46:47], s[64:65]
	v_fma_f64 v[50:51], v[40:41], v[50:51], s[64:65]
	v_add_f64 v[52:53], v[68:69], -v[52:53]
	v_fma_f64 v[36:37], v[33:34], v[36:37], s[40:41]
	v_fma_f64 v[42:43], v[60:61], v[42:43], v[58:59]
	;; [unrolled: 1-line block ×3, first 2 shown]
	v_fma_f64 v[48:49], v[9:10], -v[11:12], v[48:49]
	v_mul_f64 v[58:59], v[38:39], v[38:39]
	v_fma_f64 v[46:47], v[38:39], v[46:47], s[50:51]
	v_fma_f64 v[36:37], v[33:34], v[36:37], s[42:43]
	v_fma_f64 v[11:12], v[38:39], v[42:43], -v[11:12]
	v_mul_f64 v[38:39], v[40:41], v[40:41]
	v_fma_f64 v[42:43], v[40:41], v[50:51], s[50:51]
	v_fma_f64 v[50:51], v[25:26], -v[27:28], v[52:53]
	v_fma_f64 v[27:28], v[40:41], v[44:45], -v[27:28]
	v_fma_f64 v[40:41], v[58:59], v[46:47], v[48:49]
	v_fma_f64 v[36:37], v[33:34], v[36:37], s[44:45]
	;; [unrolled: 1-line block ×3, first 2 shown]
	s_delay_alu instid0(VALU_DEP_4) | instskip(NEXT) | instid1(VALU_DEP_3)
	v_fma_f64 v[27:28], v[66:67], s[80:81], v[27:28]
	v_fma_f64 v[36:37], v[33:34], v[36:37], s[46:47]
	s_delay_alu instid0(VALU_DEP_3) | instskip(NEXT) | instid1(VALU_DEP_3)
	v_add_f64 v[9:10], v[9:10], -v[11:12]
	v_add_f64 v[25:26], v[25:26], -v[27:28]
	s_delay_alu instid0(VALU_DEP_3) | instskip(NEXT) | instid1(VALU_DEP_3)
	v_fma_f64 v[36:37], v[33:34], v[36:37], s[76:77]
	v_xor_b32_e32 v10, 0x80000000, v10
	s_delay_alu instid0(VALU_DEP_2) | instskip(NEXT) | instid1(VALU_DEP_1)
	v_fma_f64 v[36:37], v[33:34], v[36:37], s[78:79]
	v_fma_f64 v[36:37], v[33:34], v[36:37], s[52:53]
	s_delay_alu instid0(VALU_DEP_1) | instskip(NEXT) | instid1(VALU_DEP_1)
	v_fma_f64 v[36:37], v[33:34], v[36:37], s[54:55]
	v_fma_f64 v[36:37], v[33:34], v[36:37], 1.0
	s_delay_alu instid0(VALU_DEP_1) | instskip(SKIP_2) | instid1(VALU_DEP_3)
	v_fma_f64 v[31:32], v[33:34], v[36:37], 1.0
	v_fma_f64 v[33:34], v[38:39], v[42:43], v[50:51]
	v_add_f64 v[36:37], v[54:55], v[40:41]
	v_ldexp_f64 v[11:12], v[31:32], v22
	s_delay_alu instid0(VALU_DEP_3) | instskip(SKIP_1) | instid1(VALU_DEP_1)
	v_add_f64 v[31:32], v[56:57], v[33:34]
	v_and_b32_e32 v22, 1, v29
	v_cmp_eq_u32_e32 vcc_lo, 0, v22
	v_cndmask_b32_e32 v9, v9, v36, vcc_lo
	v_cndmask_b32_e32 v3, v10, v37, vcc_lo
	s_and_b32 vcc_lo, s4, s3
	v_lshlrev_b32_e32 v2, 30, v29
	s_delay_alu instid0(VALU_DEP_3) | instskip(NEXT) | instid1(VALU_DEP_2)
	v_cndmask_b32_e64 v1, 0, v9, s2
	v_dual_cndmask_b32 v11, 0, v11 :: v_dual_and_b32 v2, 0x80000000, v2
	v_cndmask_b32_e64 v22, v32, v26, s5
	v_cndmask_b32_e64 v12, 0x7ff00000, v12, s3
	;; [unrolled: 1-line block ×3, first 2 shown]
	s_delay_alu instid0(VALU_DEP_4) | instskip(NEXT) | instid1(VALU_DEP_4)
	v_xor_b32_e32 v2, v3, v2
	v_xor_b32_e32 v4, v22, v4
	s_delay_alu instid0(VALU_DEP_4) | instskip(NEXT) | instid1(VALU_DEP_4)
	v_cndmask_b32_e64 v12, 0, v12, s4
	v_cndmask_b32_e64 v3, 0, v10, s2
	s_delay_alu instid0(VALU_DEP_4) | instskip(NEXT) | instid1(VALU_DEP_4)
	v_cndmask_b32_e64 v2, 0x7ff80000, v2, s2
	v_cndmask_b32_e64 v4, 0x7ff80000, v4, s2
	s_delay_alu instid0(VALU_DEP_2) | instskip(NEXT) | instid1(VALU_DEP_2)
	v_mul_f64 v[9:10], v[11:12], v[1:2]
	v_mul_f64 v[11:12], v[11:12], v[3:4]
                                        ; implicit-def: $vgpr3_vgpr4
.LBB132_149:                            ;   in Loop: Header=BB132_4 Depth=1
	s_and_not1_saveexec_b32 s93, s93
	s_cbranch_execz .LBB132_159
; %bb.150:                              ;   in Loop: Header=BB132_4 Depth=1
	v_cmp_ngt_f64_e64 s3, 0x41d00000, |v[3:4]|
                                        ; implicit-def: $vgpr29
                                        ; implicit-def: $vgpr9_vgpr10
                                        ; implicit-def: $vgpr11_vgpr12
	s_delay_alu instid0(VALU_DEP_1) | instskip(NEXT) | instid1(SALU_CYCLE_1)
	s_and_saveexec_b32 s2, s3
	s_xor_b32 s4, exec_lo, s2
	s_cbranch_execz .LBB132_152
; %bb.151:                              ;   in Loop: Header=BB132_4 Depth=1
	v_ldexp_f64 v[9:10], |v[3:4]|, 0xffffff80
	v_cmp_le_f64_e64 vcc_lo, 0x7b000000, |v[3:4]|
	v_trig_preop_f64 v[11:12], |v[3:4]|, 0
	v_and_b32_e32 v22, 0x7fffffff, v4
	v_trig_preop_f64 v[25:26], |v[3:4]|, 1
	v_trig_preop_f64 v[36:37], |v[3:4]|, 2
	s_mov_b32 s12, s14
	s_mov_b32 s21, s19
	v_dual_cndmask_b32 v9, v3, v9 :: v_dual_cndmask_b32 v10, v22, v10
	s_delay_alu instid0(VALU_DEP_1) | instskip(NEXT) | instid1(VALU_DEP_4)
	v_mul_f64 v[27:28], v[11:12], v[9:10]
	v_mul_f64 v[29:30], v[25:26], v[9:10]
	s_delay_alu instid0(VALU_DEP_2) | instskip(NEXT) | instid1(VALU_DEP_2)
	v_fma_f64 v[11:12], v[11:12], v[9:10], -v[27:28]
	v_fma_f64 v[25:26], v[25:26], v[9:10], -v[29:30]
	s_delay_alu instid0(VALU_DEP_2) | instskip(NEXT) | instid1(VALU_DEP_1)
	v_add_f64 v[31:32], v[29:30], v[11:12]
	v_add_f64 v[33:34], v[31:32], -v[29:30]
	v_add_f64 v[40:41], v[27:28], v[31:32]
	s_delay_alu instid0(VALU_DEP_2) | instskip(SKIP_1) | instid1(VALU_DEP_3)
	v_add_f64 v[38:39], v[31:32], -v[33:34]
	v_add_f64 v[11:12], v[11:12], -v[33:34]
	v_ldexp_f64 v[33:34], v[40:41], -2
	v_add_f64 v[27:28], v[40:41], -v[27:28]
	s_delay_alu instid0(VALU_DEP_4) | instskip(NEXT) | instid1(VALU_DEP_3)
	v_add_f64 v[29:30], v[29:30], -v[38:39]
	v_cmp_neq_f64_e64 vcc_lo, 0x7ff00000, |v[33:34]|
	s_delay_alu instid0(VALU_DEP_3) | instskip(NEXT) | instid1(VALU_DEP_3)
	v_add_f64 v[27:28], v[31:32], -v[27:28]
	v_add_f64 v[11:12], v[11:12], v[29:30]
	v_fract_f64_e32 v[29:30], v[33:34]
	s_delay_alu instid0(VALU_DEP_1) | instskip(SKIP_1) | instid1(VALU_DEP_3)
	v_cndmask_b32_e32 v29, 0, v29, vcc_lo
	v_mul_f64 v[42:43], v[36:37], v[9:10]
	v_cndmask_b32_e32 v30, 0, v30, vcc_lo
	s_delay_alu instid0(VALU_DEP_1) | instskip(NEXT) | instid1(VALU_DEP_3)
	v_ldexp_f64 v[29:30], v[29:30], 2
	v_add_f64 v[38:39], v[42:43], v[25:26]
	v_fma_f64 v[9:10], v[36:37], v[9:10], -v[42:43]
	s_delay_alu instid0(VALU_DEP_2) | instskip(NEXT) | instid1(VALU_DEP_1)
	v_add_f64 v[31:32], v[38:39], v[11:12]
	v_add_f64 v[33:34], v[27:28], v[31:32]
	v_add_f64 v[44:45], v[31:32], -v[38:39]
	s_delay_alu instid0(VALU_DEP_2) | instskip(NEXT) | instid1(VALU_DEP_2)
	v_add_f64 v[40:41], v[33:34], v[29:30]
	v_add_f64 v[50:51], v[31:32], -v[44:45]
	v_add_f64 v[11:12], v[11:12], -v[44:45]
	;; [unrolled: 1-line block ×3, first 2 shown]
	s_delay_alu instid0(VALU_DEP_4) | instskip(SKIP_1) | instid1(VALU_DEP_3)
	v_cmp_gt_f64_e32 vcc_lo, 0, v[40:41]
	v_add_f64 v[40:41], v[38:39], -v[42:43]
	v_add_f64 v[27:28], v[31:32], -v[27:28]
	v_cndmask_b32_e64 v22, 0, 0x40100000, vcc_lo
	s_delay_alu instid0(VALU_DEP_3) | instskip(SKIP_2) | instid1(VALU_DEP_4)
	v_add_f64 v[48:49], v[38:39], -v[40:41]
	v_add_f64 v[25:26], v[25:26], -v[40:41]
	;; [unrolled: 1-line block ×3, first 2 shown]
	v_add_f64 v[29:30], v[29:30], v[21:22]
	s_delay_alu instid0(VALU_DEP_4) | instskip(NEXT) | instid1(VALU_DEP_3)
	v_add_f64 v[40:41], v[42:43], -v[48:49]
	v_add_f64 v[11:12], v[11:12], v[38:39]
	s_delay_alu instid0(VALU_DEP_3) | instskip(NEXT) | instid1(VALU_DEP_3)
	v_add_f64 v[46:47], v[33:34], v[29:30]
	v_add_f64 v[25:26], v[25:26], v[40:41]
	s_delay_alu instid0(VALU_DEP_2) | instskip(NEXT) | instid1(VALU_DEP_2)
	v_cvt_i32_f64_e32 v22, v[46:47]
	v_add_f64 v[11:12], v[25:26], v[11:12]
	s_delay_alu instid0(VALU_DEP_2) | instskip(NEXT) | instid1(VALU_DEP_2)
	v_cvt_f64_i32_e32 v[44:45], v22
	v_add_f64 v[9:10], v[9:10], v[11:12]
	s_delay_alu instid0(VALU_DEP_2) | instskip(NEXT) | instid1(VALU_DEP_2)
	v_add_f64 v[29:30], v[29:30], -v[44:45]
	v_add_f64 v[9:10], v[27:28], v[9:10]
	s_delay_alu instid0(VALU_DEP_2) | instskip(NEXT) | instid1(VALU_DEP_1)
	v_add_f64 v[25:26], v[33:34], v[29:30]
	v_add_f64 v[11:12], v[25:26], -v[29:30]
	v_cmp_le_f64_e32 vcc_lo, 0.5, v[25:26]
	s_delay_alu instid0(VALU_DEP_2) | instskip(SKIP_2) | instid1(VALU_DEP_3)
	v_add_f64 v[11:12], v[33:34], -v[11:12]
	v_add_co_ci_u32_e64 v29, s2, 0, v22, vcc_lo
	v_cndmask_b32_e64 v22, 0, 0x3ff00000, vcc_lo
	v_add_f64 v[9:10], v[9:10], v[11:12]
	s_delay_alu instid0(VALU_DEP_2) | instskip(NEXT) | instid1(VALU_DEP_1)
	v_add_f64 v[11:12], v[25:26], -v[21:22]
	v_add_f64 v[25:26], v[11:12], v[9:10]
	s_delay_alu instid0(VALU_DEP_1) | instskip(SKIP_1) | instid1(VALU_DEP_2)
	v_mul_f64 v[27:28], v[25:26], s[12:13]
	v_add_f64 v[11:12], v[25:26], -v[11:12]
	v_fma_f64 v[30:31], v[25:26], s[12:13], -v[27:28]
	s_delay_alu instid0(VALU_DEP_2) | instskip(NEXT) | instid1(VALU_DEP_2)
	v_add_f64 v[9:10], v[9:10], -v[11:12]
	v_fma_f64 v[11:12], v[25:26], s[20:21], v[30:31]
	s_delay_alu instid0(VALU_DEP_1) | instskip(NEXT) | instid1(VALU_DEP_1)
	v_fma_f64 v[11:12], v[9:10], s[12:13], v[11:12]
	v_add_f64 v[9:10], v[27:28], v[11:12]
	s_delay_alu instid0(VALU_DEP_1) | instskip(NEXT) | instid1(VALU_DEP_1)
	v_add_f64 v[25:26], v[9:10], -v[27:28]
	v_add_f64 v[11:12], v[11:12], -v[25:26]
	s_and_not1_saveexec_b32 s2, s4
	s_cbranch_execz .LBB132_154
	s_branch .LBB132_153
.LBB132_152:                            ;   in Loop: Header=BB132_4 Depth=1
	s_and_not1_saveexec_b32 s2, s4
	s_cbranch_execz .LBB132_154
.LBB132_153:                            ;   in Loop: Header=BB132_4 Depth=1
	v_mul_f64 v[9:10], |v[3:4]|, s[22:23]
	s_mov_b32 s18, s24
	s_delay_alu instid0(VALU_DEP_1) | instskip(NEXT) | instid1(VALU_DEP_1)
	v_rndne_f64_e32 v[25:26], v[9:10]
	v_fma_f64 v[9:10], v[25:26], s[14:15], |v[3:4]|
	v_mul_f64 v[11:12], v[25:26], s[24:25]
	s_delay_alu instid0(VALU_DEP_2) | instskip(NEXT) | instid1(VALU_DEP_2)
	v_fma_f64 v[29:30], v[25:26], s[24:25], v[9:10]
	v_add_f64 v[27:28], v[9:10], v[11:12]
	s_delay_alu instid0(VALU_DEP_1) | instskip(NEXT) | instid1(VALU_DEP_3)
	v_add_f64 v[9:10], v[9:10], -v[27:28]
	v_add_f64 v[27:28], v[27:28], -v[29:30]
	s_delay_alu instid0(VALU_DEP_2) | instskip(SKIP_1) | instid1(VALU_DEP_2)
	v_add_f64 v[9:10], v[9:10], v[11:12]
	v_fma_f64 v[11:12], v[25:26], s[18:19], v[11:12]
	v_add_f64 v[9:10], v[27:28], v[9:10]
	s_delay_alu instid0(VALU_DEP_1) | instskip(NEXT) | instid1(VALU_DEP_1)
	v_add_f64 v[9:10], v[9:10], -v[11:12]
	v_fma_f64 v[11:12], v[25:26], s[26:27], v[9:10]
	s_delay_alu instid0(VALU_DEP_1) | instskip(NEXT) | instid1(VALU_DEP_1)
	v_add_f64 v[9:10], v[29:30], v[11:12]
	v_add_f64 v[27:28], v[9:10], -v[29:30]
	v_cvt_i32_f64_e32 v29, v[25:26]
	s_delay_alu instid0(VALU_DEP_2)
	v_add_f64 v[11:12], v[11:12], -v[27:28]
.LBB132_154:                            ;   in Loop: Header=BB132_4 Depth=1
	s_or_b32 exec_lo, exec_lo, s2
                                        ; implicit-def: $vgpr30
                                        ; implicit-def: $vgpr25_vgpr26
                                        ; implicit-def: $vgpr27_vgpr28
	s_and_saveexec_b32 s2, s3
	s_delay_alu instid0(SALU_CYCLE_1)
	s_xor_b32 s3, exec_lo, s2
	s_cbranch_execz .LBB132_156
; %bb.155:                              ;   in Loop: Header=BB132_4 Depth=1
	v_ldexp_f64 v[25:26], |v[3:4]|, 0xffffff80
	v_cmp_le_f64_e64 vcc_lo, 0x7b000000, |v[3:4]|
	v_trig_preop_f64 v[27:28], |v[3:4]|, 0
	v_and_b32_e32 v22, 0x7fffffff, v4
	v_trig_preop_f64 v[30:31], |v[3:4]|, 1
	v_trig_preop_f64 v[42:43], |v[3:4]|, 2
	s_mov_b32 s12, s14
	s_mov_b32 s21, s19
	v_dual_cndmask_b32 v25, v3, v25 :: v_dual_cndmask_b32 v26, v22, v26
	s_delay_alu instid0(VALU_DEP_1) | instskip(NEXT) | instid1(VALU_DEP_4)
	v_mul_f64 v[32:33], v[27:28], v[25:26]
	v_mul_f64 v[36:37], v[30:31], v[25:26]
	s_delay_alu instid0(VALU_DEP_2) | instskip(NEXT) | instid1(VALU_DEP_2)
	v_fma_f64 v[27:28], v[27:28], v[25:26], -v[32:33]
	v_fma_f64 v[30:31], v[30:31], v[25:26], -v[36:37]
	s_delay_alu instid0(VALU_DEP_2) | instskip(NEXT) | instid1(VALU_DEP_1)
	v_add_f64 v[38:39], v[36:37], v[27:28]
	v_add_f64 v[40:41], v[38:39], -v[36:37]
	v_add_f64 v[46:47], v[32:33], v[38:39]
	s_delay_alu instid0(VALU_DEP_2) | instskip(SKIP_1) | instid1(VALU_DEP_3)
	v_add_f64 v[44:45], v[38:39], -v[40:41]
	v_add_f64 v[27:28], v[27:28], -v[40:41]
	v_ldexp_f64 v[40:41], v[46:47], -2
	v_add_f64 v[32:33], v[46:47], -v[32:33]
	s_delay_alu instid0(VALU_DEP_4) | instskip(NEXT) | instid1(VALU_DEP_3)
	v_add_f64 v[36:37], v[36:37], -v[44:45]
	v_cmp_neq_f64_e64 vcc_lo, 0x7ff00000, |v[40:41]|
	s_delay_alu instid0(VALU_DEP_3) | instskip(NEXT) | instid1(VALU_DEP_3)
	v_add_f64 v[32:33], v[38:39], -v[32:33]
	v_add_f64 v[27:28], v[27:28], v[36:37]
	v_fract_f64_e32 v[36:37], v[40:41]
	s_delay_alu instid0(VALU_DEP_1) | instskip(SKIP_1) | instid1(VALU_DEP_3)
	v_cndmask_b32_e32 v37, 0, v37, vcc_lo
	v_mul_f64 v[48:49], v[42:43], v[25:26]
	v_cndmask_b32_e32 v36, 0, v36, vcc_lo
	s_delay_alu instid0(VALU_DEP_1) | instskip(NEXT) | instid1(VALU_DEP_3)
	v_ldexp_f64 v[36:37], v[36:37], 2
	v_add_f64 v[44:45], v[48:49], v[30:31]
	v_fma_f64 v[25:26], v[42:43], v[25:26], -v[48:49]
	s_delay_alu instid0(VALU_DEP_2) | instskip(NEXT) | instid1(VALU_DEP_1)
	v_add_f64 v[38:39], v[44:45], v[27:28]
	v_add_f64 v[40:41], v[32:33], v[38:39]
	v_add_f64 v[50:51], v[38:39], -v[44:45]
	s_delay_alu instid0(VALU_DEP_2) | instskip(NEXT) | instid1(VALU_DEP_2)
	v_add_f64 v[46:47], v[40:41], v[36:37]
	v_add_f64 v[56:57], v[38:39], -v[50:51]
	v_add_f64 v[27:28], v[27:28], -v[50:51]
	;; [unrolled: 1-line block ×3, first 2 shown]
	s_delay_alu instid0(VALU_DEP_4) | instskip(SKIP_2) | instid1(VALU_DEP_2)
	v_cmp_gt_f64_e32 vcc_lo, 0, v[46:47]
	v_add_f64 v[46:47], v[44:45], -v[48:49]
	v_cndmask_b32_e64 v22, 0, 0x40100000, vcc_lo
	v_add_f64 v[54:55], v[44:45], -v[46:47]
	v_add_f64 v[30:31], v[30:31], -v[46:47]
	;; [unrolled: 1-line block ×3, first 2 shown]
	s_delay_alu instid0(VALU_DEP_4) | instskip(NEXT) | instid1(VALU_DEP_4)
	v_add_f64 v[36:37], v[36:37], v[21:22]
	v_add_f64 v[46:47], v[48:49], -v[54:55]
	s_delay_alu instid0(VALU_DEP_3) | instskip(NEXT) | instid1(VALU_DEP_3)
	v_add_f64 v[27:28], v[27:28], v[44:45]
	v_add_f64 v[52:53], v[40:41], v[36:37]
	s_delay_alu instid0(VALU_DEP_3) | instskip(NEXT) | instid1(VALU_DEP_2)
	v_add_f64 v[30:31], v[30:31], v[46:47]
	v_cvt_i32_f64_e32 v22, v[52:53]
	s_delay_alu instid0(VALU_DEP_2) | instskip(SKIP_1) | instid1(VALU_DEP_3)
	v_add_f64 v[27:28], v[30:31], v[27:28]
	v_add_f64 v[30:31], v[38:39], -v[32:33]
	v_cvt_f64_i32_e32 v[50:51], v22
	s_delay_alu instid0(VALU_DEP_3) | instskip(NEXT) | instid1(VALU_DEP_2)
	v_add_f64 v[25:26], v[25:26], v[27:28]
	v_add_f64 v[36:37], v[36:37], -v[50:51]
	s_delay_alu instid0(VALU_DEP_2) | instskip(NEXT) | instid1(VALU_DEP_2)
	v_add_f64 v[25:26], v[30:31], v[25:26]
	v_add_f64 v[42:43], v[40:41], v[36:37]
	s_delay_alu instid0(VALU_DEP_1) | instskip(SKIP_1) | instid1(VALU_DEP_2)
	v_add_f64 v[27:28], v[42:43], -v[36:37]
	v_cmp_le_f64_e32 vcc_lo, 0.5, v[42:43]
	v_add_f64 v[27:28], v[40:41], -v[27:28]
	v_add_co_ci_u32_e64 v30, s2, 0, v22, vcc_lo
	v_cndmask_b32_e64 v22, 0, 0x3ff00000, vcc_lo
	s_delay_alu instid0(VALU_DEP_3) | instskip(NEXT) | instid1(VALU_DEP_2)
	v_add_f64 v[25:26], v[25:26], v[27:28]
	v_add_f64 v[27:28], v[42:43], -v[21:22]
	s_delay_alu instid0(VALU_DEP_1) | instskip(NEXT) | instid1(VALU_DEP_1)
	v_add_f64 v[31:32], v[27:28], v[25:26]
	v_mul_f64 v[33:34], v[31:32], s[12:13]
	v_add_f64 v[27:28], v[31:32], -v[27:28]
	s_delay_alu instid0(VALU_DEP_2) | instskip(NEXT) | instid1(VALU_DEP_2)
	v_fma_f64 v[36:37], v[31:32], s[12:13], -v[33:34]
	v_add_f64 v[25:26], v[25:26], -v[27:28]
	s_delay_alu instid0(VALU_DEP_2) | instskip(NEXT) | instid1(VALU_DEP_1)
	v_fma_f64 v[27:28], v[31:32], s[20:21], v[36:37]
	v_fma_f64 v[27:28], v[25:26], s[12:13], v[27:28]
	s_delay_alu instid0(VALU_DEP_1) | instskip(NEXT) | instid1(VALU_DEP_1)
	v_add_f64 v[25:26], v[33:34], v[27:28]
	v_add_f64 v[31:32], v[25:26], -v[33:34]
	s_delay_alu instid0(VALU_DEP_1)
	v_add_f64 v[27:28], v[27:28], -v[31:32]
	s_and_not1_saveexec_b32 s2, s3
	s_cbranch_execnz .LBB132_157
	s_branch .LBB132_158
.LBB132_156:                            ;   in Loop: Header=BB132_4 Depth=1
	s_and_not1_saveexec_b32 s2, s3
	s_cbranch_execz .LBB132_158
.LBB132_157:                            ;   in Loop: Header=BB132_4 Depth=1
	v_mul_f64 v[25:26], |v[3:4]|, s[22:23]
	s_mov_b32 s18, s24
	s_delay_alu instid0(VALU_DEP_1) | instskip(NEXT) | instid1(VALU_DEP_1)
	v_rndne_f64_e32 v[30:31], v[25:26]
	v_fma_f64 v[25:26], v[30:31], s[14:15], |v[3:4]|
	v_mul_f64 v[27:28], v[30:31], s[24:25]
	s_delay_alu instid0(VALU_DEP_2) | instskip(NEXT) | instid1(VALU_DEP_2)
	v_fma_f64 v[36:37], v[30:31], s[24:25], v[25:26]
	v_add_f64 v[32:33], v[25:26], v[27:28]
	s_delay_alu instid0(VALU_DEP_1) | instskip(NEXT) | instid1(VALU_DEP_3)
	v_add_f64 v[25:26], v[25:26], -v[32:33]
	v_add_f64 v[32:33], v[32:33], -v[36:37]
	s_delay_alu instid0(VALU_DEP_2) | instskip(SKIP_1) | instid1(VALU_DEP_2)
	v_add_f64 v[25:26], v[25:26], v[27:28]
	v_fma_f64 v[27:28], v[30:31], s[18:19], v[27:28]
	v_add_f64 v[25:26], v[32:33], v[25:26]
	s_delay_alu instid0(VALU_DEP_1) | instskip(NEXT) | instid1(VALU_DEP_1)
	v_add_f64 v[25:26], v[25:26], -v[27:28]
	v_fma_f64 v[27:28], v[30:31], s[26:27], v[25:26]
	v_cvt_i32_f64_e32 v30, v[30:31]
	s_delay_alu instid0(VALU_DEP_2) | instskip(NEXT) | instid1(VALU_DEP_1)
	v_add_f64 v[25:26], v[36:37], v[27:28]
	v_add_f64 v[32:33], v[25:26], -v[36:37]
	s_delay_alu instid0(VALU_DEP_1)
	v_add_f64 v[27:28], v[27:28], -v[32:33]
.LBB132_158:                            ;   in Loop: Header=BB132_4 Depth=1
	s_or_b32 exec_lo, exec_lo, s2
	v_add_f64 v[1:2], v[1:2], s[74:75]
	s_delay_alu instid0(VALU_DEP_4) | instskip(SKIP_3) | instid1(VALU_DEP_4)
	v_mul_f64 v[38:39], v[9:10], v[9:10]
	v_mul_f64 v[40:41], v[25:26], v[25:26]
	s_mov_b32 s77, s49
	s_mov_b32 s79, s51
	v_mul_f64 v[58:59], v[11:12], 0.5
	v_mul_f64 v[64:65], v[27:28], 0.5
	s_mov_b32 s80, s50
	v_cmp_class_f64_e64 s2, v[3:4], 0x1f8
	v_mul_f64 v[31:32], v[1:2], s[28:29]
	v_fma_f64 v[42:43], v[38:39], s[68:69], s[66:67]
	v_fma_f64 v[44:45], v[40:41], s[68:69], s[66:67]
	v_mul_f64 v[48:49], v[38:39], 0.5
	v_fma_f64 v[46:47], v[38:39], s[58:59], s[56:57]
	v_fma_f64 v[50:51], v[40:41], s[58:59], s[56:57]
	v_mul_f64 v[52:53], v[40:41], 0.5
	v_mul_f64 v[60:61], v[9:10], -v[38:39]
	v_mul_f64 v[66:67], v[25:26], -v[40:41]
	v_cmp_nlt_f64_e64 s3, 0x40900000, v[1:2]
	v_cmp_ngt_f64_e64 s4, 0xc090cc00, v[1:2]
	v_rndne_f64_e32 v[31:32], v[31:32]
	v_fma_f64 v[42:43], v[38:39], v[42:43], s[70:71]
	v_fma_f64 v[44:45], v[40:41], v[44:45], s[70:71]
	v_add_f64 v[54:55], -v[48:49], 1.0
	v_fma_f64 v[46:47], v[38:39], v[46:47], s[60:61]
	v_fma_f64 v[50:51], v[40:41], v[50:51], s[60:61]
	v_add_f64 v[56:57], -v[52:53], 1.0
	v_fma_f64 v[33:34], v[31:32], s[30:31], v[1:2]
	v_fma_f64 v[42:43], v[38:39], v[42:43], s[72:73]
	;; [unrolled: 1-line block ×3, first 2 shown]
	v_add_f64 v[62:63], -v[54:55], 1.0
	v_fma_f64 v[46:47], v[38:39], v[46:47], s[62:63]
	v_fma_f64 v[50:51], v[40:41], v[50:51], s[62:63]
	v_add_f64 v[68:69], -v[56:57], 1.0
	v_cvt_i32_f64_e32 v22, v[31:32]
	v_fma_f64 v[33:34], v[31:32], s[34:35], v[33:34]
	v_fma_f64 v[42:43], v[38:39], v[42:43], s[48:49]
	;; [unrolled: 1-line block ×3, first 2 shown]
	v_add_f64 v[48:49], v[62:63], -v[48:49]
	v_fma_f64 v[46:47], v[38:39], v[46:47], s[64:65]
	v_fma_f64 v[50:51], v[40:41], v[50:51], s[64:65]
	v_add_f64 v[52:53], v[68:69], -v[52:53]
	v_fma_f64 v[36:37], v[33:34], s[38:39], s[36:37]
	v_fma_f64 v[42:43], v[60:61], v[42:43], v[58:59]
	v_fma_f64 v[44:45], v[66:67], v[44:45], v[64:65]
	v_fma_f64 v[48:49], v[9:10], -v[11:12], v[48:49]
	v_mul_f64 v[58:59], v[38:39], v[38:39]
	v_fma_f64 v[46:47], v[38:39], v[46:47], s[50:51]
	v_fma_f64 v[36:37], v[33:34], v[36:37], s[40:41]
	v_fma_f64 v[11:12], v[38:39], v[42:43], -v[11:12]
	v_mul_f64 v[38:39], v[40:41], v[40:41]
	v_fma_f64 v[42:43], v[40:41], v[50:51], s[50:51]
	v_fma_f64 v[50:51], v[25:26], -v[27:28], v[52:53]
	v_fma_f64 v[27:28], v[40:41], v[44:45], -v[27:28]
	v_fma_f64 v[40:41], v[58:59], v[46:47], v[48:49]
	v_fma_f64 v[36:37], v[33:34], v[36:37], s[42:43]
	;; [unrolled: 1-line block ×3, first 2 shown]
	s_delay_alu instid0(VALU_DEP_4) | instskip(NEXT) | instid1(VALU_DEP_3)
	v_fma_f64 v[27:28], v[66:67], s[80:81], v[27:28]
	v_fma_f64 v[36:37], v[33:34], v[36:37], s[44:45]
	s_delay_alu instid0(VALU_DEP_3) | instskip(NEXT) | instid1(VALU_DEP_3)
	v_add_f64 v[9:10], v[9:10], -v[11:12]
	v_add_f64 v[25:26], v[25:26], -v[27:28]
	s_delay_alu instid0(VALU_DEP_3) | instskip(NEXT) | instid1(VALU_DEP_3)
	v_fma_f64 v[36:37], v[33:34], v[36:37], s[46:47]
	v_xor_b32_e32 v10, 0x80000000, v10
	s_delay_alu instid0(VALU_DEP_2) | instskip(NEXT) | instid1(VALU_DEP_1)
	v_fma_f64 v[36:37], v[33:34], v[36:37], s[76:77]
	v_fma_f64 v[36:37], v[33:34], v[36:37], s[78:79]
	s_delay_alu instid0(VALU_DEP_1) | instskip(NEXT) | instid1(VALU_DEP_1)
	v_fma_f64 v[36:37], v[33:34], v[36:37], s[52:53]
	v_fma_f64 v[36:37], v[33:34], v[36:37], s[54:55]
	s_delay_alu instid0(VALU_DEP_1) | instskip(NEXT) | instid1(VALU_DEP_1)
	v_fma_f64 v[36:37], v[33:34], v[36:37], 1.0
	v_fma_f64 v[31:32], v[33:34], v[36:37], 1.0
	v_fma_f64 v[33:34], v[38:39], v[42:43], v[50:51]
	v_add_f64 v[36:37], v[54:55], v[40:41]
	s_delay_alu instid0(VALU_DEP_3) | instskip(NEXT) | instid1(VALU_DEP_3)
	v_ldexp_f64 v[11:12], v[31:32], v22
	v_add_f64 v[31:32], v[56:57], v[33:34]
	v_and_b32_e32 v22, 1, v29
	s_delay_alu instid0(VALU_DEP_1) | instskip(SKIP_2) | instid1(VALU_DEP_2)
	v_cmp_eq_u32_e32 vcc_lo, 0, v22
	v_lshlrev_b32_e32 v1, 30, v30
	v_cndmask_b32_e32 v9, v9, v36, vcc_lo
	v_xor_b32_e32 v1, v1, v4
	v_cndmask_b32_e32 v4, v10, v37, vcc_lo
	s_and_b32 vcc_lo, s4, s3
	v_lshlrev_b32_e32 v2, 30, v29
	s_delay_alu instid0(VALU_DEP_3)
	v_and_b32_e32 v10, 0x80000000, v1
	v_cndmask_b32_e64 v1, 0, v9, s2
	v_cndmask_b32_e32 v9, 0, v11, vcc_lo
	v_cndmask_b32_e64 v3, 0x7ff00000, v12, s3
	v_dual_mov_b32 v11, v21 :: v_dual_and_b32 v12, 1, v30
	v_and_b32_e32 v2, 0x80000000, v2
	s_delay_alu instid0(VALU_DEP_2) | instskip(NEXT) | instid1(VALU_DEP_2)
	v_cmp_eq_u32_e64 s5, 0, v12
	v_xor_b32_e32 v2, v4, v2
	s_delay_alu instid0(VALU_DEP_2) | instskip(SKIP_2) | instid1(VALU_DEP_4)
	v_cndmask_b32_e64 v22, v32, v26, s5
	v_cndmask_b32_e64 v12, v31, v25, s5
	;; [unrolled: 1-line block ×4, first 2 shown]
	s_delay_alu instid0(VALU_DEP_4) | instskip(NEXT) | instid1(VALU_DEP_4)
	v_xor_b32_e32 v4, v22, v10
	v_cndmask_b32_e64 v3, 0, v12, s2
	s_delay_alu instid0(VALU_DEP_4) | instskip(NEXT) | instid1(VALU_DEP_3)
	v_and_or_b32 v10, v25, s89, 0x7fe00000
	v_cndmask_b32_e64 v4, 0x7ff80000, v4, s2
	s_delay_alu instid0(VALU_DEP_2) | instskip(NEXT) | instid1(VALU_DEP_2)
	v_mul_f64 v[1:2], v[9:10], v[1:2]
	v_mul_f64 v[3:4], v[9:10], v[3:4]
	v_lshrrev_b32_e32 v9, 20, v25
	s_delay_alu instid0(VALU_DEP_1) | instskip(NEXT) | instid1(VALU_DEP_1)
	v_add_nc_u32_e32 v9, 0xffffff09, v9
	v_lshrrev_b16 v10, 15, v9
	s_delay_alu instid0(VALU_DEP_1) | instskip(NEXT) | instid1(VALU_DEP_1)
	v_add_nc_u16 v10, v9, v10
	v_ashrrev_i16 v10, 1, v10
	s_delay_alu instid0(VALU_DEP_1) | instskip(NEXT) | instid1(VALU_DEP_1)
	v_bfe_i32 v10, v10, 0, 16
	v_lshl_add_u32 v22, v10, 20, 0x3ff00000
	v_sub_nc_u32_e32 v9, v9, v10
	s_delay_alu instid0(VALU_DEP_2) | instskip(NEXT) | instid1(VALU_DEP_2)
	v_mul_f64 v[1:2], v[1:2], v[21:22]
	v_lshl_add_u32 v12, v9, 20, 0x3ff00000
	v_mul_f64 v[3:4], v[3:4], v[21:22]
	s_delay_alu instid0(VALU_DEP_2) | instskip(NEXT) | instid1(VALU_DEP_2)
	v_mul_f64 v[9:10], v[1:2], v[11:12]
	v_mul_f64 v[11:12], v[3:4], v[11:12]
.LBB132_159:                            ;   in Loop: Header=BB132_4 Depth=1
	s_or_b32 exec_lo, exec_lo, s93
                                        ; implicit-def: $vgpr1_vgpr2
                                        ; implicit-def: $vgpr22
.LBB132_160:                            ;   in Loop: Header=BB132_4 Depth=1
	s_and_not1_saveexec_b32 s3, s92
	s_cbranch_execz .LBB132_166
; %bb.161:                              ;   in Loop: Header=BB132_4 Depth=1
	v_add_f64 v[11:12], v[3:4], -v[3:4]
	v_cmp_ne_u32_e32 vcc_lo, 0, v1
	v_cmp_ne_u32_e64 s2, 0x7ff00000, v22
	s_delay_alu instid0(VALU_DEP_1) | instskip(NEXT) | instid1(SALU_CYCLE_1)
	s_or_b32 s2, vcc_lo, s2
	s_and_saveexec_b32 s4, s2
	s_delay_alu instid0(SALU_CYCLE_1)
	s_xor_b32 s2, exec_lo, s4
; %bb.162:                              ;   in Loop: Header=BB132_4 Depth=1
                                        ; implicit-def: $vgpr1_vgpr2
; %bb.163:                              ;   in Loop: Header=BB132_4 Depth=1
	s_delay_alu instid0(SALU_CYCLE_1) | instskip(NEXT) | instid1(VALU_DEP_3)
	s_or_saveexec_b32 s2, s2
	v_dual_mov_b32 v9, v11 :: v_dual_mov_b32 v10, v12
	s_xor_b32 exec_lo, exec_lo, s2
; %bb.164:                              ;   in Loop: Header=BB132_4 Depth=1
	v_cmp_lt_i64_e32 vcc_lo, -1, v[1:2]
	v_dual_cndmask_b32 v10, 0, v2 :: v_dual_cndmask_b32 v9, 0, v1
	v_dual_cndmask_b32 v12, 0, v12 :: v_dual_cndmask_b32 v11, 0, v11
; %bb.165:                              ;   in Loop: Header=BB132_4 Depth=1
	s_or_b32 exec_lo, exec_lo, s2
.LBB132_166:                            ;   in Loop: Header=BB132_4 Depth=1
	s_delay_alu instid0(SALU_CYCLE_1)
	s_or_b32 exec_lo, exec_lo, s3
                                        ; implicit-def: $vgpr3_vgpr4
.LBB132_167:                            ;   in Loop: Header=BB132_4 Depth=1
	s_and_not1_saveexec_b32 s4, s91
	s_cbranch_execz .LBB132_177
; %bb.168:                              ;   in Loop: Header=BB132_4 Depth=1
	v_cmp_ngt_f64_e64 s3, 0x41d00000, |v[3:4]|
	v_trig_preop_f64 v[27:28], |v[3:4]|, 0
	v_trig_preop_f64 v[25:26], |v[3:4]|, 1
	v_ldexp_f64 v[29:30], |v[3:4]|, 0xffffff80
	v_trig_preop_f64 v[11:12], |v[3:4]|, 2
	v_and_b32_e32 v37, 0x7fffffff, v4
                                        ; implicit-def: $vgpr36
                                        ; implicit-def: $vgpr1_vgpr2
                                        ; implicit-def: $vgpr9_vgpr10
	s_and_saveexec_b32 s2, s3
	s_delay_alu instid0(SALU_CYCLE_1)
	s_xor_b32 s5, exec_lo, s2
	s_cbranch_execz .LBB132_170
; %bb.169:                              ;   in Loop: Header=BB132_4 Depth=1
	v_cmp_le_f64_e64 vcc_lo, 0x7b000000, |v[3:4]|
	s_mov_b32 s12, s14
	s_mov_b32 s21, s19
	s_delay_alu instid0(VALU_DEP_4) | instskip(NEXT) | instid1(VALU_DEP_1)
	v_dual_cndmask_b32 v2, v37, v30 :: v_dual_cndmask_b32 v1, v3, v29
	v_mul_f64 v[9:10], v[27:28], v[1:2]
	v_mul_f64 v[31:32], v[25:26], v[1:2]
	;; [unrolled: 1-line block ×3, first 2 shown]
	s_delay_alu instid0(VALU_DEP_3) | instskip(NEXT) | instid1(VALU_DEP_3)
	v_fma_f64 v[33:34], v[27:28], v[1:2], -v[9:10]
	v_fma_f64 v[48:49], v[25:26], v[1:2], -v[31:32]
	s_delay_alu instid0(VALU_DEP_3) | instskip(NEXT) | instid1(VALU_DEP_3)
	v_fma_f64 v[1:2], v[11:12], v[1:2], -v[46:47]
	v_add_f64 v[38:39], v[31:32], v[33:34]
	s_delay_alu instid0(VALU_DEP_1) | instskip(SKIP_1) | instid1(VALU_DEP_2)
	v_add_f64 v[40:41], v[38:39], -v[31:32]
	v_add_f64 v[44:45], v[9:10], v[38:39]
	v_add_f64 v[42:43], v[38:39], -v[40:41]
	v_add_f64 v[33:34], v[33:34], -v[40:41]
	s_delay_alu instid0(VALU_DEP_3) | instskip(SKIP_1) | instid1(VALU_DEP_4)
	v_ldexp_f64 v[40:41], v[44:45], -2
	v_add_f64 v[9:10], v[44:45], -v[9:10]
	v_add_f64 v[31:32], v[31:32], -v[42:43]
	v_add_f64 v[42:43], v[46:47], v[48:49]
	s_delay_alu instid0(VALU_DEP_4) | instskip(NEXT) | instid1(VALU_DEP_4)
	v_cmp_neq_f64_e64 vcc_lo, 0x7ff00000, |v[40:41]|
	v_add_f64 v[9:10], v[38:39], -v[9:10]
	s_delay_alu instid0(VALU_DEP_4) | instskip(SKIP_1) | instid1(VALU_DEP_2)
	v_add_f64 v[31:32], v[33:34], v[31:32]
	v_fract_f64_e32 v[33:34], v[40:41]
	v_add_f64 v[38:39], v[42:43], v[31:32]
	s_delay_alu instid0(VALU_DEP_2) | instskip(NEXT) | instid1(VALU_DEP_1)
	v_dual_cndmask_b32 v34, 0, v34 :: v_dual_cndmask_b32 v33, 0, v33
	v_ldexp_f64 v[33:34], v[33:34], 2
	s_delay_alu instid0(VALU_DEP_3) | instskip(SKIP_1) | instid1(VALU_DEP_2)
	v_add_f64 v[40:41], v[9:10], v[38:39]
	v_add_f64 v[50:51], v[38:39], -v[42:43]
	v_add_f64 v[44:45], v[40:41], v[33:34]
	s_delay_alu instid0(VALU_DEP_2) | instskip(SKIP_2) | instid1(VALU_DEP_4)
	v_add_f64 v[56:57], v[38:39], -v[50:51]
	v_add_f64 v[31:32], v[31:32], -v[50:51]
	;; [unrolled: 1-line block ×3, first 2 shown]
	v_cmp_gt_f64_e32 vcc_lo, 0, v[44:45]
	v_add_f64 v[44:45], v[42:43], -v[46:47]
	s_delay_alu instid0(VALU_DEP_3) | instskip(SKIP_1) | instid1(VALU_DEP_3)
	v_add_f64 v[9:10], v[38:39], -v[9:10]
	v_cndmask_b32_e64 v22, 0, 0x40100000, vcc_lo
	v_add_f64 v[54:55], v[42:43], -v[44:45]
	v_add_f64 v[44:45], v[48:49], -v[44:45]
	;; [unrolled: 1-line block ×3, first 2 shown]
	s_delay_alu instid0(VALU_DEP_4) | instskip(NEXT) | instid1(VALU_DEP_4)
	v_add_f64 v[33:34], v[33:34], v[21:22]
	v_add_f64 v[48:49], v[46:47], -v[54:55]
	s_delay_alu instid0(VALU_DEP_3) | instskip(NEXT) | instid1(VALU_DEP_3)
	v_add_f64 v[31:32], v[31:32], v[42:43]
	v_add_f64 v[52:53], v[40:41], v[33:34]
	s_delay_alu instid0(VALU_DEP_3) | instskip(NEXT) | instid1(VALU_DEP_2)
	v_add_f64 v[44:45], v[44:45], v[48:49]
	v_cvt_i32_f64_e32 v22, v[52:53]
	s_delay_alu instid0(VALU_DEP_2) | instskip(NEXT) | instid1(VALU_DEP_2)
	v_add_f64 v[31:32], v[44:45], v[31:32]
	v_cvt_f64_i32_e32 v[50:51], v22
	s_delay_alu instid0(VALU_DEP_2) | instskip(NEXT) | instid1(VALU_DEP_2)
	v_add_f64 v[1:2], v[1:2], v[31:32]
	v_add_f64 v[33:34], v[33:34], -v[50:51]
	s_delay_alu instid0(VALU_DEP_2) | instskip(NEXT) | instid1(VALU_DEP_2)
	v_add_f64 v[1:2], v[9:10], v[1:2]
	v_add_f64 v[42:43], v[40:41], v[33:34]
	s_delay_alu instid0(VALU_DEP_1) | instskip(SKIP_1) | instid1(VALU_DEP_2)
	v_add_f64 v[31:32], v[42:43], -v[33:34]
	v_cmp_le_f64_e32 vcc_lo, 0.5, v[42:43]
	v_add_f64 v[9:10], v[40:41], -v[31:32]
	v_add_co_ci_u32_e64 v36, s2, 0, v22, vcc_lo
	v_cndmask_b32_e64 v22, 0, 0x3ff00000, vcc_lo
	s_delay_alu instid0(VALU_DEP_3) | instskip(NEXT) | instid1(VALU_DEP_2)
	v_add_f64 v[1:2], v[1:2], v[9:10]
	v_add_f64 v[9:10], v[42:43], -v[21:22]
	s_delay_alu instid0(VALU_DEP_1) | instskip(NEXT) | instid1(VALU_DEP_1)
	v_add_f64 v[31:32], v[9:10], v[1:2]
	v_mul_f64 v[33:34], v[31:32], s[12:13]
	v_add_f64 v[9:10], v[31:32], -v[9:10]
	s_delay_alu instid0(VALU_DEP_2) | instskip(NEXT) | instid1(VALU_DEP_2)
	v_fma_f64 v[38:39], v[31:32], s[12:13], -v[33:34]
	v_add_f64 v[1:2], v[1:2], -v[9:10]
	s_delay_alu instid0(VALU_DEP_2) | instskip(NEXT) | instid1(VALU_DEP_1)
	v_fma_f64 v[9:10], v[31:32], s[20:21], v[38:39]
	v_fma_f64 v[9:10], v[1:2], s[12:13], v[9:10]
	s_delay_alu instid0(VALU_DEP_1) | instskip(NEXT) | instid1(VALU_DEP_1)
	v_add_f64 v[1:2], v[33:34], v[9:10]
	v_add_f64 v[31:32], v[1:2], -v[33:34]
	s_delay_alu instid0(VALU_DEP_1)
	v_add_f64 v[9:10], v[9:10], -v[31:32]
	s_and_not1_saveexec_b32 s2, s5
	s_cbranch_execz .LBB132_172
	s_branch .LBB132_171
.LBB132_170:                            ;   in Loop: Header=BB132_4 Depth=1
	s_and_not1_saveexec_b32 s2, s5
	s_cbranch_execz .LBB132_172
.LBB132_171:                            ;   in Loop: Header=BB132_4 Depth=1
	v_mul_f64 v[1:2], |v[3:4]|, s[22:23]
	s_mov_b32 s18, s24
	s_delay_alu instid0(VALU_DEP_1) | instskip(NEXT) | instid1(VALU_DEP_1)
	v_rndne_f64_e32 v[31:32], v[1:2]
	v_fma_f64 v[1:2], v[31:32], s[14:15], |v[3:4]|
	v_mul_f64 v[9:10], v[31:32], s[24:25]
	v_cvt_i32_f64_e32 v36, v[31:32]
	s_delay_alu instid0(VALU_DEP_3) | instskip(NEXT) | instid1(VALU_DEP_3)
	v_fma_f64 v[38:39], v[31:32], s[24:25], v[1:2]
	v_add_f64 v[33:34], v[1:2], v[9:10]
	s_delay_alu instid0(VALU_DEP_1) | instskip(NEXT) | instid1(VALU_DEP_3)
	v_add_f64 v[1:2], v[1:2], -v[33:34]
	v_add_f64 v[33:34], v[33:34], -v[38:39]
	s_delay_alu instid0(VALU_DEP_2) | instskip(SKIP_1) | instid1(VALU_DEP_2)
	v_add_f64 v[1:2], v[1:2], v[9:10]
	v_fma_f64 v[9:10], v[31:32], s[18:19], v[9:10]
	v_add_f64 v[1:2], v[33:34], v[1:2]
	s_delay_alu instid0(VALU_DEP_1) | instskip(NEXT) | instid1(VALU_DEP_1)
	v_add_f64 v[1:2], v[1:2], -v[9:10]
	v_fma_f64 v[9:10], v[31:32], s[26:27], v[1:2]
	s_delay_alu instid0(VALU_DEP_1) | instskip(NEXT) | instid1(VALU_DEP_1)
	v_add_f64 v[1:2], v[38:39], v[9:10]
	v_add_f64 v[33:34], v[1:2], -v[38:39]
	s_delay_alu instid0(VALU_DEP_1)
	v_add_f64 v[9:10], v[9:10], -v[33:34]
.LBB132_172:                            ;   in Loop: Header=BB132_4 Depth=1
	s_or_b32 exec_lo, exec_lo, s2
                                        ; implicit-def: $vgpr38
                                        ; implicit-def: $vgpr31_vgpr32
                                        ; implicit-def: $vgpr33_vgpr34
	s_and_saveexec_b32 s2, s3
	s_delay_alu instid0(SALU_CYCLE_1)
	s_xor_b32 s3, exec_lo, s2
	s_cbranch_execz .LBB132_174
; %bb.173:                              ;   in Loop: Header=BB132_4 Depth=1
	v_cmp_le_f64_e64 vcc_lo, 0x7b000000, |v[3:4]|
	s_mov_b32 s12, s14
	s_mov_b32 s21, s19
	s_delay_alu instid0(VALU_DEP_4) | instskip(NEXT) | instid1(VALU_DEP_1)
	v_dual_cndmask_b32 v30, v37, v30 :: v_dual_cndmask_b32 v29, v3, v29
	v_mul_f64 v[31:32], v[27:28], v[29:30]
	v_mul_f64 v[33:34], v[25:26], v[29:30]
	;; [unrolled: 1-line block ×3, first 2 shown]
	s_delay_alu instid0(VALU_DEP_3) | instskip(NEXT) | instid1(VALU_DEP_3)
	v_fma_f64 v[27:28], v[27:28], v[29:30], -v[31:32]
	v_fma_f64 v[25:26], v[25:26], v[29:30], -v[33:34]
	s_delay_alu instid0(VALU_DEP_3) | instskip(NEXT) | instid1(VALU_DEP_3)
	v_fma_f64 v[11:12], v[11:12], v[29:30], -v[45:46]
	v_add_f64 v[37:38], v[33:34], v[27:28]
	s_delay_alu instid0(VALU_DEP_1) | instskip(SKIP_1) | instid1(VALU_DEP_2)
	v_add_f64 v[39:40], v[37:38], -v[33:34]
	v_add_f64 v[43:44], v[31:32], v[37:38]
	v_add_f64 v[41:42], v[37:38], -v[39:40]
	v_add_f64 v[27:28], v[27:28], -v[39:40]
	s_delay_alu instid0(VALU_DEP_3) | instskip(SKIP_1) | instid1(VALU_DEP_4)
	v_ldexp_f64 v[39:40], v[43:44], -2
	v_add_f64 v[31:32], v[43:44], -v[31:32]
	v_add_f64 v[33:34], v[33:34], -v[41:42]
	v_add_f64 v[41:42], v[45:46], v[25:26]
	s_delay_alu instid0(VALU_DEP_4) | instskip(NEXT) | instid1(VALU_DEP_4)
	v_cmp_neq_f64_e64 vcc_lo, 0x7ff00000, |v[39:40]|
	v_add_f64 v[31:32], v[37:38], -v[31:32]
	s_delay_alu instid0(VALU_DEP_4) | instskip(SKIP_1) | instid1(VALU_DEP_2)
	v_add_f64 v[27:28], v[27:28], v[33:34]
	v_fract_f64_e32 v[33:34], v[39:40]
	v_add_f64 v[37:38], v[41:42], v[27:28]
	s_delay_alu instid0(VALU_DEP_2) | instskip(NEXT) | instid1(VALU_DEP_1)
	v_dual_cndmask_b32 v34, 0, v34 :: v_dual_cndmask_b32 v33, 0, v33
	v_ldexp_f64 v[33:34], v[33:34], 2
	s_delay_alu instid0(VALU_DEP_3) | instskip(SKIP_1) | instid1(VALU_DEP_2)
	v_add_f64 v[39:40], v[31:32], v[37:38]
	v_add_f64 v[47:48], v[37:38], -v[41:42]
	v_add_f64 v[43:44], v[39:40], v[33:34]
	s_delay_alu instid0(VALU_DEP_2) | instskip(SKIP_2) | instid1(VALU_DEP_4)
	v_add_f64 v[53:54], v[37:38], -v[47:48]
	v_add_f64 v[27:28], v[27:28], -v[47:48]
	;; [unrolled: 1-line block ×3, first 2 shown]
	v_cmp_gt_f64_e32 vcc_lo, 0, v[43:44]
	v_add_f64 v[43:44], v[41:42], -v[45:46]
	s_delay_alu instid0(VALU_DEP_3) | instskip(SKIP_1) | instid1(VALU_DEP_3)
	v_add_f64 v[29:30], v[37:38], -v[29:30]
	v_cndmask_b32_e64 v22, 0, 0x40100000, vcc_lo
	v_add_f64 v[51:52], v[41:42], -v[43:44]
	v_add_f64 v[25:26], v[25:26], -v[43:44]
	v_add_f64 v[41:42], v[41:42], -v[53:54]
	s_delay_alu instid0(VALU_DEP_4) | instskip(NEXT) | instid1(VALU_DEP_4)
	v_add_f64 v[33:34], v[33:34], v[21:22]
	v_add_f64 v[43:44], v[45:46], -v[51:52]
	s_delay_alu instid0(VALU_DEP_3) | instskip(NEXT) | instid1(VALU_DEP_3)
	v_add_f64 v[27:28], v[27:28], v[41:42]
	v_add_f64 v[49:50], v[39:40], v[33:34]
	s_delay_alu instid0(VALU_DEP_3) | instskip(NEXT) | instid1(VALU_DEP_2)
	v_add_f64 v[25:26], v[25:26], v[43:44]
	v_cvt_i32_f64_e32 v22, v[49:50]
	s_delay_alu instid0(VALU_DEP_2) | instskip(NEXT) | instid1(VALU_DEP_2)
	v_add_f64 v[25:26], v[25:26], v[27:28]
	v_cvt_f64_i32_e32 v[47:48], v22
	s_delay_alu instid0(VALU_DEP_2) | instskip(NEXT) | instid1(VALU_DEP_2)
	v_add_f64 v[11:12], v[11:12], v[25:26]
	v_add_f64 v[33:34], v[33:34], -v[47:48]
	s_delay_alu instid0(VALU_DEP_2) | instskip(NEXT) | instid1(VALU_DEP_2)
	v_add_f64 v[11:12], v[29:30], v[11:12]
	v_add_f64 v[27:28], v[39:40], v[33:34]
	s_delay_alu instid0(VALU_DEP_1) | instskip(SKIP_1) | instid1(VALU_DEP_2)
	v_add_f64 v[25:26], v[27:28], -v[33:34]
	v_cmp_le_f64_e32 vcc_lo, 0.5, v[27:28]
	v_add_f64 v[25:26], v[39:40], -v[25:26]
	v_add_co_ci_u32_e64 v38, s2, 0, v22, vcc_lo
	v_cndmask_b32_e64 v22, 0, 0x3ff00000, vcc_lo
	s_delay_alu instid0(VALU_DEP_3) | instskip(NEXT) | instid1(VALU_DEP_2)
	v_add_f64 v[11:12], v[11:12], v[25:26]
	v_add_f64 v[25:26], v[27:28], -v[21:22]
	s_delay_alu instid0(VALU_DEP_1) | instskip(NEXT) | instid1(VALU_DEP_1)
	v_add_f64 v[27:28], v[25:26], v[11:12]
	v_mul_f64 v[29:30], v[27:28], s[12:13]
	v_add_f64 v[25:26], v[27:28], -v[25:26]
	s_delay_alu instid0(VALU_DEP_2) | instskip(NEXT) | instid1(VALU_DEP_2)
	v_fma_f64 v[31:32], v[27:28], s[12:13], -v[29:30]
	v_add_f64 v[11:12], v[11:12], -v[25:26]
	s_delay_alu instid0(VALU_DEP_2) | instskip(NEXT) | instid1(VALU_DEP_1)
	v_fma_f64 v[25:26], v[27:28], s[20:21], v[31:32]
	v_fma_f64 v[11:12], v[11:12], s[12:13], v[25:26]
	s_delay_alu instid0(VALU_DEP_1) | instskip(NEXT) | instid1(VALU_DEP_1)
	v_add_f64 v[31:32], v[29:30], v[11:12]
	v_add_f64 v[25:26], v[31:32], -v[29:30]
	s_delay_alu instid0(VALU_DEP_1)
	v_add_f64 v[33:34], v[11:12], -v[25:26]
	s_and_not1_saveexec_b32 s2, s3
	s_cbranch_execnz .LBB132_175
	s_branch .LBB132_176
.LBB132_174:                            ;   in Loop: Header=BB132_4 Depth=1
	s_and_not1_saveexec_b32 s2, s3
	s_cbranch_execz .LBB132_176
.LBB132_175:                            ;   in Loop: Header=BB132_4 Depth=1
	v_mul_f64 v[11:12], |v[3:4]|, s[22:23]
	s_mov_b32 s18, s24
	s_delay_alu instid0(VALU_DEP_1) | instskip(NEXT) | instid1(VALU_DEP_1)
	v_rndne_f64_e32 v[11:12], v[11:12]
	v_fma_f64 v[25:26], v[11:12], s[14:15], |v[3:4]|
	v_mul_f64 v[27:28], v[11:12], s[24:25]
	v_cvt_i32_f64_e32 v38, v[11:12]
	s_delay_alu instid0(VALU_DEP_3) | instskip(NEXT) | instid1(VALU_DEP_3)
	v_fma_f64 v[33:34], v[11:12], s[24:25], v[25:26]
	v_add_f64 v[29:30], v[25:26], v[27:28]
	s_delay_alu instid0(VALU_DEP_1) | instskip(NEXT) | instid1(VALU_DEP_3)
	v_add_f64 v[25:26], v[25:26], -v[29:30]
	v_add_f64 v[29:30], v[29:30], -v[33:34]
	s_delay_alu instid0(VALU_DEP_2) | instskip(SKIP_1) | instid1(VALU_DEP_2)
	v_add_f64 v[25:26], v[25:26], v[27:28]
	v_fma_f64 v[27:28], v[11:12], s[18:19], v[27:28]
	v_add_f64 v[25:26], v[29:30], v[25:26]
	s_delay_alu instid0(VALU_DEP_1) | instskip(NEXT) | instid1(VALU_DEP_1)
	v_add_f64 v[25:26], v[25:26], -v[27:28]
	v_fma_f64 v[25:26], v[11:12], s[26:27], v[25:26]
	s_delay_alu instid0(VALU_DEP_1) | instskip(NEXT) | instid1(VALU_DEP_1)
	v_add_f64 v[31:32], v[33:34], v[25:26]
	v_add_f64 v[27:28], v[31:32], -v[33:34]
	s_delay_alu instid0(VALU_DEP_1)
	v_add_f64 v[33:34], v[25:26], -v[27:28]
.LBB132_176:                            ;   in Loop: Header=BB132_4 Depth=1
	s_or_b32 exec_lo, exec_lo, s2
	v_mul_f64 v[11:12], v[1:2], v[1:2]
	v_mul_f64 v[25:26], v[31:32], v[31:32]
	s_delay_alu instid0(VALU_DEP_3) | instskip(NEXT) | instid1(VALU_DEP_4)
	v_mul_f64 v[51:52], v[9:10], 0.5
	v_mul_f64 v[57:58], v[33:34], 0.5
	s_mov_b32 s80, s50
	v_cmp_class_f64_e64 s2, v[3:4], 0x1f8
	v_fma_f64 v[27:28], v[11:12], s[68:69], s[66:67]
	v_fma_f64 v[29:30], v[25:26], s[68:69], s[66:67]
	v_mul_f64 v[41:42], v[11:12], 0.5
	v_fma_f64 v[39:40], v[11:12], s[58:59], s[56:57]
	v_fma_f64 v[43:44], v[25:26], s[58:59], s[56:57]
	v_mul_f64 v[45:46], v[25:26], 0.5
	v_mul_f64 v[53:54], v[1:2], -v[11:12]
	v_mul_f64 v[59:60], v[31:32], -v[25:26]
	v_fma_f64 v[27:28], v[11:12], v[27:28], s[70:71]
	v_fma_f64 v[29:30], v[25:26], v[29:30], s[70:71]
	v_add_f64 v[47:48], -v[41:42], 1.0
	v_fma_f64 v[39:40], v[11:12], v[39:40], s[60:61]
	v_fma_f64 v[43:44], v[25:26], v[43:44], s[60:61]
	v_add_f64 v[49:50], -v[45:46], 1.0
	;; [unrolled: 3-line block ×4, first 2 shown]
	v_fma_f64 v[27:28], v[11:12], v[27:28], s[48:49]
	v_fma_f64 v[29:30], v[25:26], v[29:30], s[48:49]
	v_add_f64 v[41:42], v[55:56], -v[41:42]
	v_fma_f64 v[39:40], v[11:12], v[39:40], s[64:65]
	v_fma_f64 v[43:44], v[25:26], v[43:44], s[64:65]
	v_add_f64 v[45:46], v[61:62], -v[45:46]
	v_fma_f64 v[27:28], v[53:54], v[27:28], v[51:52]
	v_fma_f64 v[29:30], v[59:60], v[29:30], v[57:58]
	v_fma_f64 v[41:42], v[1:2], -v[9:10], v[41:42]
	v_mul_f64 v[51:52], v[11:12], v[11:12]
	v_fma_f64 v[39:40], v[11:12], v[39:40], s[50:51]
	v_fma_f64 v[9:10], v[11:12], v[27:28], -v[9:10]
	v_mul_f64 v[11:12], v[25:26], v[25:26]
	v_fma_f64 v[27:28], v[25:26], v[43:44], s[50:51]
	v_fma_f64 v[43:44], v[31:32], -v[33:34], v[45:46]
	v_fma_f64 v[25:26], v[25:26], v[29:30], -v[33:34]
	v_fma_f64 v[29:30], v[51:52], v[39:40], v[41:42]
	v_fma_f64 v[9:10], v[53:54], s[80:81], v[9:10]
	s_delay_alu instid0(VALU_DEP_4) | instskip(NEXT) | instid1(VALU_DEP_4)
	v_fma_f64 v[11:12], v[11:12], v[27:28], v[43:44]
	v_fma_f64 v[25:26], v[59:60], s[80:81], v[25:26]
	s_delay_alu instid0(VALU_DEP_4) | instskip(NEXT) | instid1(VALU_DEP_4)
	v_add_f64 v[27:28], v[47:48], v[29:30]
	v_add_f64 v[1:2], v[1:2], -v[9:10]
	v_and_b32_e32 v22, 1, v36
	v_add_f64 v[9:10], v[49:50], v[11:12]
	v_add_f64 v[11:12], v[31:32], -v[25:26]
	v_lshlrev_b32_e32 v25, 30, v36
	s_delay_alu instid0(VALU_DEP_4) | instskip(SKIP_1) | instid1(VALU_DEP_1)
	v_cmp_eq_u32_e32 vcc_lo, 0, v22
	v_and_b32_e32 v22, 1, v38
	v_cmp_eq_u32_e64 s3, 0, v22
	v_cndmask_b32_e32 v1, v1, v27, vcc_lo
	v_xor_b32_e32 v2, 0x80000000, v2
	v_lshlrev_b32_e32 v3, 30, v38
	s_delay_alu instid0(VALU_DEP_4) | instskip(SKIP_1) | instid1(VALU_DEP_4)
	v_cndmask_b32_e64 v11, v9, v11, s3
	v_cndmask_b32_e64 v9, v10, v12, s3
	v_cndmask_b32_e32 v2, v2, v28, vcc_lo
	s_delay_alu instid0(VALU_DEP_4) | instskip(SKIP_2) | instid1(VALU_DEP_3)
	v_xor_b32_e32 v3, v3, v4
	v_and_b32_e32 v4, 0x80000000, v25
	v_cndmask_b32_e64 v11, 0, v11, s2
	v_and_b32_e32 v3, 0x80000000, v3
	s_delay_alu instid0(VALU_DEP_3) | instskip(NEXT) | instid1(VALU_DEP_2)
	v_xor_b32_e32 v2, v2, v4
	v_xor_b32_e32 v3, v9, v3
	v_cndmask_b32_e64 v9, 0, v1, s2
	s_delay_alu instid0(VALU_DEP_3) | instskip(NEXT) | instid1(VALU_DEP_3)
	v_cndmask_b32_e64 v10, 0x7ff80000, v2, s2
	v_cndmask_b32_e64 v12, 0x7ff80000, v3, s2
.LBB132_177:                            ;   in Loop: Header=BB132_4 Depth=1
	s_or_b32 exec_lo, exec_lo, s4
                                        ; implicit-def: $vgpr1_vgpr2
.LBB132_178:                            ;   in Loop: Header=BB132_4 Depth=1
	s_and_not1_saveexec_b32 s3, s90
	s_cbranch_execz .LBB132_3
; %bb.179:                              ;   in Loop: Header=BB132_4 Depth=1
	v_mul_f64 v[9:10], v[1:2], s[28:29]
	s_mov_b32 s77, s49
	s_mov_b32 s79, s51
	v_cmp_nlt_f64_e32 vcc_lo, 0x40900000, v[1:2]
	v_cmp_ngt_f64_e64 s2, 0xc090cc00, v[1:2]
	s_delay_alu instid0(VALU_DEP_3) | instskip(NEXT) | instid1(VALU_DEP_1)
	v_rndne_f64_e32 v[9:10], v[9:10]
	v_fma_f64 v[11:12], v[9:10], s[30:31], v[1:2]
	v_cvt_i32_f64_e32 v22, v[9:10]
	s_delay_alu instid0(VALU_DEP_2) | instskip(NEXT) | instid1(VALU_DEP_1)
	v_fma_f64 v[11:12], v[9:10], s[34:35], v[11:12]
	v_fma_f64 v[25:26], v[11:12], s[38:39], s[36:37]
	s_delay_alu instid0(VALU_DEP_1) | instskip(NEXT) | instid1(VALU_DEP_1)
	v_fma_f64 v[25:26], v[11:12], v[25:26], s[40:41]
	v_fma_f64 v[25:26], v[11:12], v[25:26], s[42:43]
	s_delay_alu instid0(VALU_DEP_1) | instskip(NEXT) | instid1(VALU_DEP_1)
	;; [unrolled: 3-line block ×5, first 2 shown]
	v_fma_f64 v[25:26], v[11:12], v[25:26], 1.0
	v_fma_f64 v[9:10], v[11:12], v[25:26], 1.0
	v_dual_mov_b32 v12, v4 :: v_dual_mov_b32 v11, v3
	s_delay_alu instid0(VALU_DEP_2) | instskip(NEXT) | instid1(VALU_DEP_1)
	v_ldexp_f64 v[9:10], v[9:10], v22
	v_cndmask_b32_e32 v10, 0x7ff00000, v10, vcc_lo
	s_and_b32 vcc_lo, s2, vcc_lo
	s_delay_alu instid0(VALU_DEP_2) | instskip(NEXT) | instid1(VALU_DEP_2)
	v_cndmask_b32_e32 v9, 0, v9, vcc_lo
	v_cndmask_b32_e64 v10, 0, v10, s2
	s_branch .LBB132_3
.LBB132_180:
	s_or_b32 exec_lo, exec_lo, s85
	s_mov_b32 s2, 0
.LBB132_181:
	s_delay_alu instid0(SALU_CYCLE_1)
	s_and_not1_b32 vcc_lo, exec_lo, s2
	s_cbranch_vccnz .LBB132_377
; %bb.182:
	v_cmp_lt_i64_e64 s2, s[10:11], 1
	s_delay_alu instid0(VALU_DEP_1)
	s_and_b32 vcc_lo, exec_lo, s2
	s_cbranch_vccnz .LBB132_377
; %bb.183:
	s_load_b32 s0, s[0:1], 0xc5c
	v_mov_b32_e32 v22, 0
	v_lshl_or_b32 v2, v0, 4, 8
	v_cmp_gt_u64_e64 s1, 0x10000, s[10:11]
	s_mov_b32 s13, 0
	s_mov_b32 s18, 0x54442d18
	v_mov_b32_e32 v3, v22
	v_add_co_u32 v27, s2, s6, v2
	s_delay_alu instid0(VALU_DEP_1)
	v_add_co_ci_u32_e64 v28, null, s7, 0, s2
	v_add_co_u32 v29, s2, s16, v2
	v_mov_b32_e32 v1, v22
	v_add_co_ci_u32_e64 v30, null, s17, 0, s2
	s_mov_b32 s24, 0x6dc9c883
	s_mov_b32 s26, 0x33145c00
	;; [unrolled: 1-line block ×4, first 2 shown]
	s_waitcnt lgkmcnt(0)
	s_and_b32 s33, s0, 0xffff
	s_and_b32 s0, s1, exec_lo
	v_add_lshl_u32 v6, v0, s33, 4
	v_mad_u64_u32 v[4:5], null, s33, 48, v[2:3]
	s_cselect_b32 s15, s11, 0
	s_cselect_b32 s14, s10, 0x10000
	s_delay_alu instid0(VALU_DEP_2) | instskip(NEXT) | instid1(VALU_DEP_1)
	v_add_co_u32 v31, s0, s16, v6
	v_add_co_ci_u32_e64 v32, null, s17, 0, s0
	v_add_co_u32 v35, s0, s6, v6
	s_delay_alu instid0(VALU_DEP_1)
	v_add_co_ci_u32_e64 v36, null, s7, 0, s0
	s_lshl_b32 s0, s33, 5
	v_add_co_u32 v33, vcc_lo, s6, v4
	v_add_co_u32 v2, s0, v2, s0
	v_add_co_ci_u32_e32 v34, vcc_lo, s7, v5, vcc_lo
	v_add_co_ci_u32_e64 v3, null, 0, 0, s0
	v_add_co_u32 v37, vcc_lo, s16, v4
	v_add_co_ci_u32_e32 v38, vcc_lo, s17, v5, vcc_lo
	v_add_co_u32 v39, vcc_lo, s6, v2
	s_delay_alu instid0(VALU_DEP_4)
	v_add_co_ci_u32_e32 v40, vcc_lo, s7, v3, vcc_lo
	v_add_co_u32 v41, vcc_lo, s16, v2
	v_add_co_ci_u32_e32 v42, vcc_lo, s17, v3, vcc_lo
	s_lshl_b32 s12, s33, 2
	s_mov_b32 s34, 0xfefa39ef
	s_mov_b32 s36, 0x3b39803f
	;; [unrolled: 1-line block ×22, first 2 shown]
	s_lshl_b32 s86, s33, 1
	s_mul_i32 s87, s33, 3
	s_lshl_b32 s88, s33, 6
	s_mov_b32 s17, 0x3ff921fb
	s_mov_b32 s19, 0xbff921fb
	;; [unrolled: 1-line block ×34, first 2 shown]
	s_mov_b64 s[84:85], s[12:13]
	s_branch .LBB132_185
.LBB132_184:                            ;   in Loop: Header=BB132_185 Depth=1
	s_or_b32 exec_lo, exec_lo, s0
	v_add_co_u32 v0, vcc_lo, v0, s12
	v_add_co_ci_u32_e32 v1, vcc_lo, 0, v1, vcc_lo
	v_add_co_u32 v27, vcc_lo, v27, s88
	v_add_co_ci_u32_e32 v28, vcc_lo, 0, v28, vcc_lo
	;; [unrolled: 2-line block ×7, first 2 shown]
	v_cmp_ge_i64_e64 s0, s[84:85], s[10:11]
	v_cmp_lt_u64_e64 s1, 0xffff, s[84:85]
	v_add_co_u32 v39, vcc_lo, v39, s88
	v_add_co_ci_u32_e32 v40, vcc_lo, 0, v40, vcc_lo
	v_add_co_u32 v41, vcc_lo, v41, s88
	v_add_co_ci_u32_e32 v42, vcc_lo, 0, v42, vcc_lo
	s_or_b32 s0, s0, s1
	s_add_u32 s84, s84, s12
	s_addc_u32 s85, s85, 0
	s_and_b32 vcc_lo, exec_lo, s0
	s_cbranch_vccnz .LBB132_377
.LBB132_185:                            ; =>This Inner Loop Header: Depth=1
	v_mov_b32_e32 v20, 0
	v_mov_b32_e32 v21, 0
	v_cmp_gt_u64_e32 vcc_lo, s[14:15], v[0:1]
	s_delay_alu instid0(VALU_DEP_3) | instskip(NEXT) | instid1(VALU_DEP_3)
	v_mov_b32_e32 v16, v20
	v_dual_mov_b32 v14, v20 :: v_dual_mov_b32 v15, v21
	v_mov_b32_e32 v17, v21
	s_and_saveexec_b32 s1, vcc_lo
	s_cbranch_execz .LBB132_187
; %bb.186:                              ;   in Loop: Header=BB132_185 Depth=1
	v_add_co_u32 v2, s0, v27, s8
	s_delay_alu instid0(VALU_DEP_1)
	v_add_co_ci_u32_e64 v3, s0, s9, v28, s0
	global_load_b128 v[14:17], v[2:3], off offset:-8
.LBB132_187:                            ;   in Loop: Header=BB132_185 Depth=1
	s_or_b32 exec_lo, exec_lo, s1
	v_add_co_u32 v2, s0, s33, v0
	s_delay_alu instid0(VALU_DEP_1) | instskip(SKIP_1) | instid1(VALU_DEP_2)
	v_add_co_ci_u32_e64 v3, s0, 0, v1, s0
	v_dual_mov_b32 v18, v20 :: v_dual_mov_b32 v19, v21
	v_cmp_gt_u64_e64 s0, s[14:15], v[2:3]
	s_delay_alu instid0(VALU_DEP_1)
	s_and_saveexec_b32 s2, s0
	s_cbranch_execz .LBB132_189
; %bb.188:                              ;   in Loop: Header=BB132_185 Depth=1
	v_add_co_u32 v2, s1, v35, s8
	s_delay_alu instid0(VALU_DEP_1)
	v_add_co_ci_u32_e64 v3, s1, s9, v36, s1
	global_load_b128 v[18:21], v[2:3], off
.LBB132_189:                            ;   in Loop: Header=BB132_185 Depth=1
	s_or_b32 exec_lo, exec_lo, s2
	v_add_co_u32 v2, s1, s86, v0
	s_delay_alu instid0(VALU_DEP_1) | instskip(SKIP_2) | instid1(VALU_DEP_3)
	v_add_co_ci_u32_e64 v3, s1, 0, v1, s1
	v_mov_b32_e32 v4, 0
	v_mov_b32_e32 v5, 0
	v_cmp_gt_u64_e64 s1, s[14:15], v[2:3]
	s_delay_alu instid0(VALU_DEP_2) | instskip(SKIP_1) | instid1(VALU_DEP_3)
	v_dual_mov_b32 v13, v5 :: v_dual_mov_b32 v12, v4
	v_dual_mov_b32 v11, v5 :: v_dual_mov_b32 v10, v4
	s_and_saveexec_b32 s3, s1
	s_cbranch_execz .LBB132_191
; %bb.190:                              ;   in Loop: Header=BB132_185 Depth=1
	v_add_co_u32 v2, s2, v39, s8
	s_delay_alu instid0(VALU_DEP_1)
	v_add_co_ci_u32_e64 v3, s2, s9, v40, s2
	global_load_b128 v[10:13], v[2:3], off offset:-8
.LBB132_191:                            ;   in Loop: Header=BB132_185 Depth=1
	s_or_b32 exec_lo, exec_lo, s3
	v_add_co_u32 v2, s2, s87, v0
	s_delay_alu instid0(VALU_DEP_1) | instskip(NEXT) | instid1(VALU_DEP_1)
	v_add_co_ci_u32_e64 v3, s2, 0, v1, s2
	v_cmp_gt_u64_e64 s2, s[14:15], v[2:3]
	v_dual_mov_b32 v2, v4 :: v_dual_mov_b32 v3, v5
	s_delay_alu instid0(VALU_DEP_2)
	s_and_saveexec_b32 s4, s2
	s_cbranch_execz .LBB132_193
; %bb.192:                              ;   in Loop: Header=BB132_185 Depth=1
	v_add_co_u32 v2, s3, v33, s8
	s_delay_alu instid0(VALU_DEP_1)
	v_add_co_ci_u32_e64 v3, s3, s9, v34, s3
	global_load_b128 v[2:5], v[2:3], off offset:-8
.LBB132_193:                            ;   in Loop: Header=BB132_185 Depth=1
	s_or_b32 exec_lo, exec_lo, s4
	s_waitcnt vmcnt(0)
	v_and_b32_e32 v43, 0x7fffffff, v17
                                        ; implicit-def: $vgpr8_vgpr9
	s_mov_b32 s4, exec_lo
	s_delay_alu instid0(VALU_DEP_1) | instskip(NEXT) | instid1(VALU_DEP_1)
	v_or_b32_e32 v6, v43, v16
	v_cmpx_ne_u32_e32 0, v6
	s_xor_b32 s13, exec_lo, s4
	s_cbranch_execz .LBB132_234
; %bb.194:                              ;   in Loop: Header=BB132_185 Depth=1
	v_and_b32_e32 v23, 0x7fffffff, v15
                                        ; implicit-def: $vgpr8_vgpr9
	s_mov_b32 s4, exec_lo
	s_delay_alu instid0(VALU_DEP_1) | instskip(NEXT) | instid1(VALU_DEP_1)
	v_or_b32_e32 v6, v23, v14
	v_cmpx_ne_u32_e32 0, v6
	s_xor_b32 s90, exec_lo, s4
	s_cbranch_execz .LBB132_223
; %bb.195:                              ;   in Loop: Header=BB132_185 Depth=1
                                        ; implicit-def: $vgpr8_vgpr9
	s_mov_b32 s4, exec_lo
	v_cmpx_gt_u32_e32 0x7ff00000, v43
	s_xor_b32 s91, exec_lo, s4
	s_cbranch_execz .LBB132_216
; %bb.196:                              ;   in Loop: Header=BB132_185 Depth=1
	v_add_nc_u32_e32 v6, 0xbf79d1be, v15
                                        ; implicit-def: $vgpr8_vgpr9
	s_mov_b32 s4, exec_lo
	s_delay_alu instid0(VALU_DEP_1)
	v_cmpx_lt_u32_e32 0x108aa2, v6
	s_xor_b32 s92, exec_lo, s4
	s_cbranch_execz .LBB132_206
; %bb.197:                              ;   in Loop: Header=BB132_185 Depth=1
	v_cmp_ngt_f64_e64 s5, 0x41d00000, |v[16:17]|
                                        ; implicit-def: $vgpr44
                                        ; implicit-def: $vgpr6_vgpr7
                                        ; implicit-def: $vgpr8_vgpr9
	s_delay_alu instid0(VALU_DEP_1) | instskip(NEXT) | instid1(SALU_CYCLE_1)
	s_and_saveexec_b32 s3, s5
	s_xor_b32 s6, exec_lo, s3
	s_cbranch_execz .LBB132_199
; %bb.198:                              ;   in Loop: Header=BB132_185 Depth=1
	v_ldexp_f64 v[6:7], |v[16:17]|, 0xffffff80
	v_cmp_le_f64_e64 s3, 0x7b000000, |v[16:17]|
	v_trig_preop_f64 v[8:9], |v[16:17]|, 0
	v_trig_preop_f64 v[23:24], |v[16:17]|, 1
	;; [unrolled: 1-line block ×3, first 2 shown]
	s_mov_b32 s16, s18
	s_mov_b32 s23, s21
	s_delay_alu instid0(VALU_DEP_4) | instskip(SKIP_1) | instid1(VALU_DEP_1)
	v_cndmask_b32_e64 v7, v43, v7, s3
	v_cndmask_b32_e64 v6, v16, v6, s3
	v_mul_f64 v[25:26], v[8:9], v[6:7]
	v_mul_f64 v[44:45], v[23:24], v[6:7]
	v_mul_f64 v[56:57], v[50:51], v[6:7]
	s_delay_alu instid0(VALU_DEP_3) | instskip(NEXT) | instid1(VALU_DEP_3)
	v_fma_f64 v[8:9], v[8:9], v[6:7], -v[25:26]
	v_fma_f64 v[58:59], v[23:24], v[6:7], -v[44:45]
	s_delay_alu instid0(VALU_DEP_3) | instskip(NEXT) | instid1(VALU_DEP_3)
	v_fma_f64 v[6:7], v[50:51], v[6:7], -v[56:57]
	v_add_f64 v[46:47], v[44:45], v[8:9]
	s_delay_alu instid0(VALU_DEP_1) | instskip(SKIP_1) | instid1(VALU_DEP_2)
	v_add_f64 v[48:49], v[46:47], -v[44:45]
	v_add_f64 v[54:55], v[25:26], v[46:47]
	v_add_f64 v[52:53], v[46:47], -v[48:49]
	v_add_f64 v[8:9], v[8:9], -v[48:49]
	v_add_f64 v[48:49], v[56:57], v[58:59]
	s_delay_alu instid0(VALU_DEP_4) | instskip(NEXT) | instid1(VALU_DEP_4)
	v_add_f64 v[25:26], v[54:55], -v[25:26]
	v_add_f64 v[23:24], v[44:45], -v[52:53]
	v_ldexp_f64 v[44:45], v[54:55], -2
	s_delay_alu instid0(VALU_DEP_3) | instskip(NEXT) | instid1(VALU_DEP_3)
	v_add_f64 v[25:26], v[46:47], -v[25:26]
	v_add_f64 v[8:9], v[8:9], v[23:24]
	s_delay_alu instid0(VALU_DEP_3) | instskip(SKIP_1) | instid1(VALU_DEP_3)
	v_fract_f64_e32 v[23:24], v[44:45]
	v_cmp_neq_f64_e64 s3, 0x7ff00000, |v[44:45]|
	v_add_f64 v[44:45], v[48:49], v[8:9]
	s_delay_alu instid0(VALU_DEP_2) | instskip(NEXT) | instid1(VALU_DEP_4)
	v_cndmask_b32_e64 v24, 0, v24, s3
	v_cndmask_b32_e64 v23, 0, v23, s3
	s_delay_alu instid0(VALU_DEP_1) | instskip(NEXT) | instid1(VALU_DEP_4)
	v_ldexp_f64 v[46:47], v[23:24], 2
	v_add_f64 v[52:53], v[25:26], v[44:45]
	v_add_f64 v[54:55], v[44:45], -v[48:49]
	s_delay_alu instid0(VALU_DEP_2) | instskip(NEXT) | instid1(VALU_DEP_2)
	v_add_f64 v[23:24], v[52:53], v[46:47]
	v_add_f64 v[64:65], v[44:45], -v[54:55]
	v_add_f64 v[8:9], v[8:9], -v[54:55]
	;; [unrolled: 1-line block ×3, first 2 shown]
	s_delay_alu instid0(VALU_DEP_4) | instskip(NEXT) | instid1(VALU_DEP_2)
	v_cmp_gt_f64_e64 s3, 0, v[23:24]
	v_add_f64 v[25:26], v[44:45], -v[25:26]
	s_delay_alu instid0(VALU_DEP_2) | instskip(NEXT) | instid1(VALU_DEP_1)
	v_cndmask_b32_e64 v23, 0, 0x40100000, s3
	v_add_f64 v[23:24], v[46:47], v[22:23]
	v_add_f64 v[46:47], v[48:49], -v[56:57]
	s_delay_alu instid0(VALU_DEP_2) | instskip(NEXT) | instid1(VALU_DEP_2)
	v_add_f64 v[60:61], v[52:53], v[23:24]
	v_add_f64 v[62:63], v[48:49], -v[46:47]
	v_add_f64 v[46:47], v[58:59], -v[46:47]
	;; [unrolled: 1-line block ×3, first 2 shown]
	s_delay_alu instid0(VALU_DEP_4) | instskip(NEXT) | instid1(VALU_DEP_4)
	v_cvt_i32_f64_e32 v60, v[60:61]
	v_add_f64 v[58:59], v[56:57], -v[62:63]
	s_delay_alu instid0(VALU_DEP_3) | instskip(NEXT) | instid1(VALU_DEP_3)
	v_add_f64 v[8:9], v[8:9], v[48:49]
	v_cvt_f64_i32_e32 v[54:55], v60
	s_delay_alu instid0(VALU_DEP_3) | instskip(NEXT) | instid1(VALU_DEP_2)
	v_add_f64 v[46:47], v[46:47], v[58:59]
	v_add_f64 v[23:24], v[23:24], -v[54:55]
	s_delay_alu instid0(VALU_DEP_2) | instskip(NEXT) | instid1(VALU_DEP_2)
	v_add_f64 v[8:9], v[46:47], v[8:9]
	v_add_f64 v[46:47], v[52:53], v[23:24]
	s_delay_alu instid0(VALU_DEP_2) | instskip(NEXT) | instid1(VALU_DEP_2)
	v_add_f64 v[6:7], v[6:7], v[8:9]
	v_add_f64 v[8:9], v[46:47], -v[23:24]
	v_cmp_le_f64_e64 s3, 0.5, v[46:47]
	s_delay_alu instid0(VALU_DEP_3) | instskip(NEXT) | instid1(VALU_DEP_3)
	v_add_f64 v[6:7], v[25:26], v[6:7]
	v_add_f64 v[8:9], v[52:53], -v[8:9]
	s_delay_alu instid0(VALU_DEP_3) | instskip(SKIP_1) | instid1(VALU_DEP_3)
	v_cndmask_b32_e64 v23, 0, 0x3ff00000, s3
	v_add_co_ci_u32_e64 v44, s4, 0, v60, s3
	v_add_f64 v[6:7], v[6:7], v[8:9]
	s_delay_alu instid0(VALU_DEP_3) | instskip(NEXT) | instid1(VALU_DEP_1)
	v_add_f64 v[8:9], v[46:47], -v[22:23]
	v_add_f64 v[23:24], v[8:9], v[6:7]
	s_delay_alu instid0(VALU_DEP_1) | instskip(SKIP_1) | instid1(VALU_DEP_2)
	v_mul_f64 v[25:26], v[23:24], s[16:17]
	v_add_f64 v[8:9], v[23:24], -v[8:9]
	v_fma_f64 v[45:46], v[23:24], s[16:17], -v[25:26]
	s_delay_alu instid0(VALU_DEP_2) | instskip(NEXT) | instid1(VALU_DEP_2)
	v_add_f64 v[6:7], v[6:7], -v[8:9]
	v_fma_f64 v[8:9], v[23:24], s[22:23], v[45:46]
	s_delay_alu instid0(VALU_DEP_1) | instskip(NEXT) | instid1(VALU_DEP_1)
	v_fma_f64 v[8:9], v[6:7], s[16:17], v[8:9]
	v_add_f64 v[6:7], v[25:26], v[8:9]
	s_delay_alu instid0(VALU_DEP_1) | instskip(NEXT) | instid1(VALU_DEP_1)
	v_add_f64 v[23:24], v[6:7], -v[25:26]
	v_add_f64 v[8:9], v[8:9], -v[23:24]
	s_and_not1_saveexec_b32 s3, s6
	s_cbranch_execz .LBB132_201
	s_branch .LBB132_200
.LBB132_199:                            ;   in Loop: Header=BB132_185 Depth=1
	s_and_not1_saveexec_b32 s3, s6
	s_cbranch_execz .LBB132_201
.LBB132_200:                            ;   in Loop: Header=BB132_185 Depth=1
	v_mul_f64 v[6:7], |v[16:17]|, s[24:25]
	s_mov_b32 s20, s26
	s_delay_alu instid0(VALU_DEP_1) | instskip(NEXT) | instid1(VALU_DEP_1)
	v_rndne_f64_e32 v[23:24], v[6:7]
	v_fma_f64 v[6:7], v[23:24], s[18:19], |v[16:17]|
	v_mul_f64 v[8:9], v[23:24], s[26:27]
	s_delay_alu instid0(VALU_DEP_2) | instskip(NEXT) | instid1(VALU_DEP_2)
	v_fma_f64 v[44:45], v[23:24], s[26:27], v[6:7]
	v_add_f64 v[25:26], v[6:7], v[8:9]
	s_delay_alu instid0(VALU_DEP_1) | instskip(NEXT) | instid1(VALU_DEP_3)
	v_add_f64 v[6:7], v[6:7], -v[25:26]
	v_add_f64 v[25:26], v[25:26], -v[44:45]
	s_delay_alu instid0(VALU_DEP_2) | instskip(SKIP_1) | instid1(VALU_DEP_2)
	v_add_f64 v[6:7], v[6:7], v[8:9]
	v_fma_f64 v[8:9], v[23:24], s[20:21], v[8:9]
	v_add_f64 v[6:7], v[25:26], v[6:7]
	s_delay_alu instid0(VALU_DEP_1) | instskip(NEXT) | instid1(VALU_DEP_1)
	v_add_f64 v[6:7], v[6:7], -v[8:9]
	v_fma_f64 v[8:9], v[23:24], s[28:29], v[6:7]
	s_delay_alu instid0(VALU_DEP_1) | instskip(NEXT) | instid1(VALU_DEP_1)
	v_add_f64 v[6:7], v[44:45], v[8:9]
	v_add_f64 v[25:26], v[6:7], -v[44:45]
	v_cvt_i32_f64_e32 v44, v[23:24]
	s_delay_alu instid0(VALU_DEP_2)
	v_add_f64 v[8:9], v[8:9], -v[25:26]
.LBB132_201:                            ;   in Loop: Header=BB132_185 Depth=1
	s_or_b32 exec_lo, exec_lo, s3
                                        ; implicit-def: $vgpr45
                                        ; implicit-def: $vgpr23_vgpr24
                                        ; implicit-def: $vgpr25_vgpr26
	s_and_saveexec_b32 s3, s5
	s_delay_alu instid0(SALU_CYCLE_1)
	s_xor_b32 s5, exec_lo, s3
	s_cbranch_execz .LBB132_203
; %bb.202:                              ;   in Loop: Header=BB132_185 Depth=1
	v_ldexp_f64 v[23:24], |v[16:17]|, 0xffffff80
	v_cmp_le_f64_e64 s3, 0x7b000000, |v[16:17]|
	v_trig_preop_f64 v[25:26], |v[16:17]|, 0
	v_trig_preop_f64 v[55:56], |v[16:17]|, 2
	s_mov_b32 s16, s18
	s_mov_b32 s23, s21
	s_delay_alu instid0(VALU_DEP_3) | instskip(SKIP_2) | instid1(VALU_DEP_2)
	v_cndmask_b32_e64 v46, v43, v24, s3
	v_cndmask_b32_e64 v45, v16, v23, s3
	v_trig_preop_f64 v[23:24], |v[16:17]|, 1
	v_mul_f64 v[47:48], v[25:26], v[45:46]
	v_mul_f64 v[61:62], v[55:56], v[45:46]
	s_delay_alu instid0(VALU_DEP_3) | instskip(NEXT) | instid1(VALU_DEP_3)
	v_mul_f64 v[49:50], v[23:24], v[45:46]
	v_fma_f64 v[25:26], v[25:26], v[45:46], -v[47:48]
	s_delay_alu instid0(VALU_DEP_2) | instskip(NEXT) | instid1(VALU_DEP_4)
	v_fma_f64 v[63:64], v[23:24], v[45:46], -v[49:50]
	v_fma_f64 v[45:46], v[55:56], v[45:46], -v[61:62]
	s_delay_alu instid0(VALU_DEP_3) | instskip(NEXT) | instid1(VALU_DEP_1)
	v_add_f64 v[51:52], v[49:50], v[25:26]
	v_add_f64 v[53:54], v[51:52], -v[49:50]
	v_add_f64 v[59:60], v[47:48], v[51:52]
	s_delay_alu instid0(VALU_DEP_2) | instskip(SKIP_2) | instid1(VALU_DEP_4)
	v_add_f64 v[57:58], v[51:52], -v[53:54]
	v_add_f64 v[23:24], v[25:26], -v[53:54]
	v_add_f64 v[53:54], v[61:62], v[63:64]
	v_add_f64 v[47:48], v[59:60], -v[47:48]
	s_delay_alu instid0(VALU_DEP_4) | instskip(SKIP_1) | instid1(VALU_DEP_3)
	v_add_f64 v[25:26], v[49:50], -v[57:58]
	v_ldexp_f64 v[49:50], v[59:60], -2
	v_add_f64 v[47:48], v[51:52], -v[47:48]
	s_delay_alu instid0(VALU_DEP_3) | instskip(NEXT) | instid1(VALU_DEP_3)
	v_add_f64 v[24:25], v[23:24], v[25:26]
	v_fract_f64_e32 v[57:58], v[49:50]
	v_cmp_neq_f64_e64 s3, 0x7ff00000, |v[49:50]|
	s_delay_alu instid0(VALU_DEP_3) | instskip(NEXT) | instid1(VALU_DEP_2)
	v_add_f64 v[49:50], v[53:54], v[24:25]
	v_cndmask_b32_e64 v52, 0, v58, s3
	s_delay_alu instid0(VALU_DEP_4) | instskip(NEXT) | instid1(VALU_DEP_1)
	v_cndmask_b32_e64 v51, 0, v57, s3
	v_ldexp_f64 v[51:52], v[51:52], 2
	s_delay_alu instid0(VALU_DEP_4) | instskip(SKIP_1) | instid1(VALU_DEP_2)
	v_add_f64 v[57:58], v[47:48], v[49:50]
	v_add_f64 v[65:66], v[49:50], -v[53:54]
	v_add_f64 v[59:60], v[57:58], v[51:52]
	s_delay_alu instid0(VALU_DEP_2) | instskip(SKIP_1) | instid1(VALU_DEP_3)
	v_add_f64 v[71:72], v[49:50], -v[65:66]
	v_add_f64 v[47:48], v[57:58], -v[47:48]
	v_cmp_gt_f64_e64 s3, 0, v[59:60]
	v_add_f64 v[59:60], v[53:54], -v[61:62]
	s_delay_alu instid0(VALU_DEP_3) | instskip(NEXT) | instid1(VALU_DEP_3)
	v_add_f64 v[47:48], v[49:50], -v[47:48]
	v_cndmask_b32_e64 v23, 0, 0x40100000, s3
	s_delay_alu instid0(VALU_DEP_3) | instskip(SKIP_1) | instid1(VALU_DEP_3)
	v_add_f64 v[69:70], v[53:54], -v[59:60]
	v_add_f64 v[59:60], v[63:64], -v[59:60]
	v_add_f64 v[51:52], v[51:52], v[22:23]
	v_add_f64 v[23:24], v[24:25], -v[65:66]
	v_add_f64 v[25:26], v[53:54], -v[71:72]
	;; [unrolled: 1-line block ×3, first 2 shown]
	s_delay_alu instid0(VALU_DEP_4) | instskip(NEXT) | instid1(VALU_DEP_3)
	v_add_f64 v[67:68], v[57:58], v[51:52]
	v_add_f64 v[23:24], v[23:24], v[25:26]
	s_delay_alu instid0(VALU_DEP_3) | instskip(NEXT) | instid1(VALU_DEP_3)
	v_add_f64 v[59:60], v[59:60], v[63:64]
	v_cvt_i32_f64_e32 v43, v[67:68]
	s_delay_alu instid0(VALU_DEP_2) | instskip(NEXT) | instid1(VALU_DEP_2)
	v_add_f64 v[23:24], v[59:60], v[23:24]
	v_cvt_f64_i32_e32 v[53:54], v43
	s_delay_alu instid0(VALU_DEP_2) | instskip(NEXT) | instid1(VALU_DEP_2)
	v_add_f64 v[23:24], v[45:46], v[23:24]
	v_add_f64 v[25:26], v[51:52], -v[53:54]
	s_delay_alu instid0(VALU_DEP_2) | instskip(NEXT) | instid1(VALU_DEP_2)
	v_add_f64 v[46:47], v[47:48], v[23:24]
	v_add_f64 v[51:52], v[57:58], v[25:26]
	s_delay_alu instid0(VALU_DEP_1) | instskip(SKIP_1) | instid1(VALU_DEP_2)
	v_add_f64 v[25:26], v[51:52], -v[25:26]
	v_cmp_le_f64_e64 s3, 0.5, v[51:52]
	v_add_f64 v[24:25], v[57:58], -v[25:26]
	s_delay_alu instid0(VALU_DEP_2) | instskip(SKIP_1) | instid1(VALU_DEP_3)
	v_cndmask_b32_e64 v23, 0, 0x3ff00000, s3
	v_add_co_ci_u32_e64 v45, s4, 0, v43, s3
	v_add_f64 v[24:25], v[46:47], v[24:25]
	s_delay_alu instid0(VALU_DEP_3) | instskip(NEXT) | instid1(VALU_DEP_1)
	v_add_f64 v[46:47], v[51:52], -v[22:23]
	v_add_f64 v[48:49], v[46:47], v[24:25]
	s_delay_alu instid0(VALU_DEP_1) | instskip(SKIP_1) | instid1(VALU_DEP_2)
	v_mul_f64 v[50:51], v[48:49], s[16:17]
	v_add_f64 v[46:47], v[48:49], -v[46:47]
	v_fma_f64 v[52:53], v[48:49], s[16:17], -v[50:51]
	s_delay_alu instid0(VALU_DEP_2) | instskip(NEXT) | instid1(VALU_DEP_2)
	v_add_f64 v[23:24], v[24:25], -v[46:47]
	v_fma_f64 v[25:26], v[48:49], s[22:23], v[52:53]
	s_delay_alu instid0(VALU_DEP_1) | instskip(NEXT) | instid1(VALU_DEP_1)
	v_fma_f64 v[25:26], v[23:24], s[16:17], v[25:26]
	v_add_f64 v[23:24], v[50:51], v[25:26]
	s_delay_alu instid0(VALU_DEP_1) | instskip(NEXT) | instid1(VALU_DEP_1)
	v_add_f64 v[46:47], v[23:24], -v[50:51]
	v_add_f64 v[25:26], v[25:26], -v[46:47]
	s_and_not1_saveexec_b32 s3, s5
	s_cbranch_execnz .LBB132_204
	s_branch .LBB132_205
.LBB132_203:                            ;   in Loop: Header=BB132_185 Depth=1
	s_and_not1_saveexec_b32 s3, s5
	s_cbranch_execz .LBB132_205
.LBB132_204:                            ;   in Loop: Header=BB132_185 Depth=1
	v_mul_f64 v[23:24], |v[16:17]|, s[24:25]
	s_mov_b32 s20, s26
	s_delay_alu instid0(VALU_DEP_1) | instskip(NEXT) | instid1(VALU_DEP_1)
	v_rndne_f64_e32 v[45:46], v[23:24]
	v_fma_f64 v[23:24], v[45:46], s[18:19], |v[16:17]|
	v_mul_f64 v[25:26], v[45:46], s[26:27]
	s_delay_alu instid0(VALU_DEP_2) | instskip(NEXT) | instid1(VALU_DEP_2)
	v_fma_f64 v[49:50], v[45:46], s[26:27], v[23:24]
	v_add_f64 v[47:48], v[23:24], v[25:26]
	s_delay_alu instid0(VALU_DEP_1) | instskip(NEXT) | instid1(VALU_DEP_3)
	v_add_f64 v[23:24], v[23:24], -v[47:48]
	v_add_f64 v[47:48], v[47:48], -v[49:50]
	s_delay_alu instid0(VALU_DEP_2) | instskip(SKIP_1) | instid1(VALU_DEP_2)
	v_add_f64 v[23:24], v[23:24], v[25:26]
	v_fma_f64 v[25:26], v[45:46], s[20:21], v[25:26]
	v_add_f64 v[23:24], v[47:48], v[23:24]
	s_delay_alu instid0(VALU_DEP_1) | instskip(NEXT) | instid1(VALU_DEP_1)
	v_add_f64 v[23:24], v[23:24], -v[25:26]
	v_fma_f64 v[25:26], v[45:46], s[28:29], v[23:24]
	v_cvt_i32_f64_e32 v45, v[45:46]
	s_delay_alu instid0(VALU_DEP_2) | instskip(NEXT) | instid1(VALU_DEP_1)
	v_add_f64 v[23:24], v[49:50], v[25:26]
	v_add_f64 v[47:48], v[23:24], -v[49:50]
	s_delay_alu instid0(VALU_DEP_1)
	v_add_f64 v[25:26], v[25:26], -v[47:48]
.LBB132_205:                            ;   in Loop: Header=BB132_185 Depth=1
	s_or_b32 exec_lo, exec_lo, s3
	v_mul_f64 v[46:47], v[14:15], s[30:31]
	v_mul_f64 v[52:53], v[6:7], v[6:7]
	;; [unrolled: 1-line block ×3, first 2 shown]
	s_mov_b32 s53, s51
	s_mov_b32 s81, s55
	s_delay_alu instid0(VALU_DEP_4)
	v_mul_f64 v[72:73], v[8:9], 0.5
	v_mul_f64 v[78:79], v[25:26], 0.5
	s_mov_b32 s82, s54
	v_cmp_nlt_f64_e64 s5, 0x40900000, v[14:15]
	v_cmp_ngt_f64_e64 s6, 0xc090cc00, v[14:15]
	v_cmp_class_f64_e64 s4, v[16:17], 0x1f8
	v_and_b32_e32 v16, 1, v45
	s_delay_alu instid0(VALU_DEP_1)
	v_cmp_eq_u32_e64 s7, 0, v16
	v_rndne_f64_e32 v[46:47], v[46:47]
	v_fma_f64 v[56:57], v[52:53], s[72:73], s[70:71]
	v_fma_f64 v[58:59], v[54:55], s[72:73], s[70:71]
	v_mul_f64 v[62:63], v[52:53], 0.5
	v_fma_f64 v[60:61], v[52:53], s[62:63], s[60:61]
	v_fma_f64 v[64:65], v[54:55], s[62:63], s[60:61]
	v_mul_f64 v[66:67], v[54:55], 0.5
	v_mul_f64 v[74:75], v[6:7], -v[52:53]
	v_mul_f64 v[80:81], v[23:24], -v[54:55]
	v_fma_f64 v[48:49], v[46:47], s[34:35], v[14:15]
	v_fma_f64 v[56:57], v[52:53], v[56:57], s[74:75]
	;; [unrolled: 1-line block ×3, first 2 shown]
	v_add_f64 v[68:69], -v[62:63], 1.0
	v_fma_f64 v[60:61], v[52:53], v[60:61], s[64:65]
	v_fma_f64 v[64:65], v[54:55], v[64:65], s[64:65]
	v_add_f64 v[70:71], -v[66:67], 1.0
	v_cvt_i32_f64_e32 v43, v[46:47]
	v_lshlrev_b32_e32 v14, 30, v45
	v_lshlrev_b32_e32 v15, 30, v44
	s_delay_alu instid0(VALU_DEP_2) | instskip(NEXT) | instid1(VALU_DEP_2)
	v_xor_b32_e32 v14, v14, v17
	v_and_b32_e32 v15, 0x80000000, v15
	s_delay_alu instid0(VALU_DEP_2)
	v_and_b32_e32 v14, 0x80000000, v14
	v_fma_f64 v[48:49], v[46:47], s[36:37], v[48:49]
	v_fma_f64 v[56:57], v[52:53], v[56:57], s[76:77]
	;; [unrolled: 1-line block ×3, first 2 shown]
	v_add_f64 v[76:77], -v[68:69], 1.0
	v_fma_f64 v[60:61], v[52:53], v[60:61], s[66:67]
	v_fma_f64 v[64:65], v[54:55], v[64:65], s[66:67]
	v_add_f64 v[82:83], -v[70:71], 1.0
	v_fma_f64 v[50:51], v[48:49], s[40:41], s[38:39]
	v_fma_f64 v[56:57], v[52:53], v[56:57], s[50:51]
	;; [unrolled: 1-line block ×3, first 2 shown]
	v_add_f64 v[62:63], v[76:77], -v[62:63]
	v_fma_f64 v[60:61], v[52:53], v[60:61], s[68:69]
	v_fma_f64 v[64:65], v[54:55], v[64:65], s[68:69]
	v_add_f64 v[66:67], v[82:83], -v[66:67]
	v_fma_f64 v[50:51], v[48:49], v[50:51], s[42:43]
	v_fma_f64 v[56:57], v[74:75], v[56:57], v[72:73]
	;; [unrolled: 1-line block ×3, first 2 shown]
	v_fma_f64 v[62:63], v[6:7], -v[8:9], v[62:63]
	v_mul_f64 v[72:73], v[52:53], v[52:53]
	v_fma_f64 v[60:61], v[52:53], v[60:61], s[54:55]
	v_fma_f64 v[50:51], v[48:49], v[50:51], s[44:45]
	v_fma_f64 v[8:9], v[52:53], v[56:57], -v[8:9]
	v_mul_f64 v[52:53], v[54:55], v[54:55]
	v_fma_f64 v[56:57], v[54:55], v[64:65], s[54:55]
	v_fma_f64 v[64:65], v[23:24], -v[25:26], v[66:67]
	v_fma_f64 v[25:26], v[54:55], v[58:59], -v[25:26]
	v_fma_f64 v[54:55], v[72:73], v[60:61], v[62:63]
	v_fma_f64 v[50:51], v[48:49], v[50:51], s[46:47]
	;; [unrolled: 1-line block ×3, first 2 shown]
	s_delay_alu instid0(VALU_DEP_4) | instskip(NEXT) | instid1(VALU_DEP_3)
	v_fma_f64 v[25:26], v[80:81], s[82:83], v[25:26]
	v_fma_f64 v[50:51], v[48:49], v[50:51], s[48:49]
	s_delay_alu instid0(VALU_DEP_3) | instskip(NEXT) | instid1(VALU_DEP_3)
	v_add_f64 v[6:7], v[6:7], -v[8:9]
	v_add_f64 v[23:24], v[23:24], -v[25:26]
	v_and_b32_e32 v25, 1, v44
	s_delay_alu instid0(VALU_DEP_1) | instskip(SKIP_2) | instid1(VALU_DEP_2)
	v_cmp_eq_u32_e64 s3, 0, v25
	v_fma_f64 v[50:51], v[48:49], v[50:51], s[52:53]
	v_xor_b32_e32 v7, 0x80000000, v7
	v_fma_f64 v[50:51], v[48:49], v[50:51], s[80:81]
	s_delay_alu instid0(VALU_DEP_1) | instskip(NEXT) | instid1(VALU_DEP_1)
	v_fma_f64 v[50:51], v[48:49], v[50:51], s[56:57]
	v_fma_f64 v[50:51], v[48:49], v[50:51], s[58:59]
	s_delay_alu instid0(VALU_DEP_1) | instskip(NEXT) | instid1(VALU_DEP_1)
	v_fma_f64 v[50:51], v[48:49], v[50:51], 1.0
	v_fma_f64 v[46:47], v[48:49], v[50:51], 1.0
	v_fma_f64 v[48:49], v[52:53], v[56:57], v[64:65]
	v_add_f64 v[50:51], v[68:69], v[54:55]
	s_delay_alu instid0(VALU_DEP_3) | instskip(NEXT) | instid1(VALU_DEP_3)
	v_ldexp_f64 v[8:9], v[46:47], v43
	v_add_f64 v[46:47], v[70:71], v[48:49]
	s_delay_alu instid0(VALU_DEP_3) | instskip(NEXT) | instid1(VALU_DEP_4)
	v_cndmask_b32_e64 v7, v7, v51, s3
	v_cndmask_b32_e64 v6, v6, v50, s3
	s_and_b32 s3, s6, s5
                                        ; implicit-def: $vgpr43
	s_delay_alu instid0(VALU_DEP_2) | instskip(NEXT) | instid1(VALU_DEP_2)
	v_xor_b32_e32 v7, v7, v15
	v_cndmask_b32_e64 v6, 0, v6, s4
	s_delay_alu instid0(VALU_DEP_2) | instskip(SKIP_4) | instid1(VALU_DEP_4)
	v_cndmask_b32_e64 v7, 0x7ff80000, v7, s4
	v_cndmask_b32_e64 v9, 0x7ff00000, v9, s5
	;; [unrolled: 1-line block ×6, first 2 shown]
	s_delay_alu instid0(VALU_DEP_4) | instskip(NEXT) | instid1(VALU_DEP_4)
	v_xor_b32_e32 v15, v17, v14
	v_cndmask_b32_e64 v14, 0, v16, s4
                                        ; implicit-def: $vgpr16_vgpr17
	s_delay_alu instid0(VALU_DEP_3) | instskip(NEXT) | instid1(VALU_DEP_3)
	v_mul_f64 v[6:7], v[8:9], v[6:7]
	v_cndmask_b32_e64 v15, 0x7ff80000, v15, s4
	s_delay_alu instid0(VALU_DEP_1)
	v_mul_f64 v[8:9], v[8:9], v[14:15]
.LBB132_206:                            ;   in Loop: Header=BB132_185 Depth=1
	s_and_not1_saveexec_b32 s92, s92
	s_cbranch_execz .LBB132_242
; %bb.207:                              ;   in Loop: Header=BB132_185 Depth=1
	v_cmp_ngt_f64_e64 s5, 0x41d00000, |v[16:17]|
                                        ; implicit-def: $vgpr44
                                        ; implicit-def: $vgpr6_vgpr7
                                        ; implicit-def: $vgpr8_vgpr9
	s_delay_alu instid0(VALU_DEP_1) | instskip(NEXT) | instid1(SALU_CYCLE_1)
	s_and_saveexec_b32 s3, s5
	s_xor_b32 s6, exec_lo, s3
	s_cbranch_execz .LBB132_209
; %bb.208:                              ;   in Loop: Header=BB132_185 Depth=1
	v_ldexp_f64 v[6:7], |v[16:17]|, 0xffffff80
	v_cmp_le_f64_e64 s3, 0x7b000000, |v[16:17]|
	v_trig_preop_f64 v[8:9], |v[16:17]|, 0
	v_trig_preop_f64 v[23:24], |v[16:17]|, 1
	v_trig_preop_f64 v[50:51], |v[16:17]|, 2
	s_mov_b32 s16, s18
	s_mov_b32 s23, s21
	s_delay_alu instid0(VALU_DEP_4) | instskip(SKIP_1) | instid1(VALU_DEP_1)
	v_cndmask_b32_e64 v7, v43, v7, s3
	v_cndmask_b32_e64 v6, v16, v6, s3
	v_mul_f64 v[25:26], v[8:9], v[6:7]
	v_mul_f64 v[44:45], v[23:24], v[6:7]
	;; [unrolled: 1-line block ×3, first 2 shown]
	s_delay_alu instid0(VALU_DEP_3) | instskip(NEXT) | instid1(VALU_DEP_3)
	v_fma_f64 v[8:9], v[8:9], v[6:7], -v[25:26]
	v_fma_f64 v[58:59], v[23:24], v[6:7], -v[44:45]
	s_delay_alu instid0(VALU_DEP_3) | instskip(NEXT) | instid1(VALU_DEP_3)
	v_fma_f64 v[6:7], v[50:51], v[6:7], -v[56:57]
	v_add_f64 v[46:47], v[44:45], v[8:9]
	s_delay_alu instid0(VALU_DEP_1) | instskip(SKIP_1) | instid1(VALU_DEP_2)
	v_add_f64 v[48:49], v[46:47], -v[44:45]
	v_add_f64 v[54:55], v[25:26], v[46:47]
	v_add_f64 v[52:53], v[46:47], -v[48:49]
	v_add_f64 v[8:9], v[8:9], -v[48:49]
	v_add_f64 v[48:49], v[56:57], v[58:59]
	s_delay_alu instid0(VALU_DEP_4) | instskip(NEXT) | instid1(VALU_DEP_4)
	v_add_f64 v[25:26], v[54:55], -v[25:26]
	v_add_f64 v[23:24], v[44:45], -v[52:53]
	v_ldexp_f64 v[44:45], v[54:55], -2
	s_delay_alu instid0(VALU_DEP_3) | instskip(NEXT) | instid1(VALU_DEP_3)
	v_add_f64 v[25:26], v[46:47], -v[25:26]
	v_add_f64 v[8:9], v[8:9], v[23:24]
	s_delay_alu instid0(VALU_DEP_3) | instskip(SKIP_1) | instid1(VALU_DEP_3)
	v_fract_f64_e32 v[23:24], v[44:45]
	v_cmp_neq_f64_e64 s3, 0x7ff00000, |v[44:45]|
	v_add_f64 v[44:45], v[48:49], v[8:9]
	s_delay_alu instid0(VALU_DEP_2) | instskip(NEXT) | instid1(VALU_DEP_4)
	v_cndmask_b32_e64 v24, 0, v24, s3
	v_cndmask_b32_e64 v23, 0, v23, s3
	s_delay_alu instid0(VALU_DEP_1) | instskip(NEXT) | instid1(VALU_DEP_4)
	v_ldexp_f64 v[46:47], v[23:24], 2
	v_add_f64 v[52:53], v[25:26], v[44:45]
	v_add_f64 v[54:55], v[44:45], -v[48:49]
	s_delay_alu instid0(VALU_DEP_2) | instskip(NEXT) | instid1(VALU_DEP_2)
	v_add_f64 v[23:24], v[52:53], v[46:47]
	v_add_f64 v[64:65], v[44:45], -v[54:55]
	v_add_f64 v[8:9], v[8:9], -v[54:55]
	;; [unrolled: 1-line block ×3, first 2 shown]
	s_delay_alu instid0(VALU_DEP_4) | instskip(NEXT) | instid1(VALU_DEP_2)
	v_cmp_gt_f64_e64 s3, 0, v[23:24]
	v_add_f64 v[25:26], v[44:45], -v[25:26]
	s_delay_alu instid0(VALU_DEP_2) | instskip(NEXT) | instid1(VALU_DEP_1)
	v_cndmask_b32_e64 v23, 0, 0x40100000, s3
	v_add_f64 v[23:24], v[46:47], v[22:23]
	v_add_f64 v[46:47], v[48:49], -v[56:57]
	s_delay_alu instid0(VALU_DEP_2) | instskip(NEXT) | instid1(VALU_DEP_2)
	v_add_f64 v[60:61], v[52:53], v[23:24]
	v_add_f64 v[62:63], v[48:49], -v[46:47]
	v_add_f64 v[46:47], v[58:59], -v[46:47]
	;; [unrolled: 1-line block ×3, first 2 shown]
	s_delay_alu instid0(VALU_DEP_4) | instskip(NEXT) | instid1(VALU_DEP_4)
	v_cvt_i32_f64_e32 v60, v[60:61]
	v_add_f64 v[58:59], v[56:57], -v[62:63]
	s_delay_alu instid0(VALU_DEP_3) | instskip(NEXT) | instid1(VALU_DEP_3)
	v_add_f64 v[8:9], v[8:9], v[48:49]
	v_cvt_f64_i32_e32 v[54:55], v60
	s_delay_alu instid0(VALU_DEP_3) | instskip(NEXT) | instid1(VALU_DEP_2)
	v_add_f64 v[46:47], v[46:47], v[58:59]
	v_add_f64 v[23:24], v[23:24], -v[54:55]
	s_delay_alu instid0(VALU_DEP_2) | instskip(NEXT) | instid1(VALU_DEP_2)
	v_add_f64 v[8:9], v[46:47], v[8:9]
	v_add_f64 v[46:47], v[52:53], v[23:24]
	s_delay_alu instid0(VALU_DEP_2) | instskip(NEXT) | instid1(VALU_DEP_2)
	v_add_f64 v[6:7], v[6:7], v[8:9]
	v_add_f64 v[8:9], v[46:47], -v[23:24]
	v_cmp_le_f64_e64 s3, 0.5, v[46:47]
	s_delay_alu instid0(VALU_DEP_3) | instskip(NEXT) | instid1(VALU_DEP_3)
	v_add_f64 v[6:7], v[25:26], v[6:7]
	v_add_f64 v[8:9], v[52:53], -v[8:9]
	s_delay_alu instid0(VALU_DEP_3) | instskip(SKIP_1) | instid1(VALU_DEP_3)
	v_cndmask_b32_e64 v23, 0, 0x3ff00000, s3
	v_add_co_ci_u32_e64 v44, s4, 0, v60, s3
	v_add_f64 v[6:7], v[6:7], v[8:9]
	s_delay_alu instid0(VALU_DEP_3) | instskip(NEXT) | instid1(VALU_DEP_1)
	v_add_f64 v[8:9], v[46:47], -v[22:23]
	v_add_f64 v[23:24], v[8:9], v[6:7]
	s_delay_alu instid0(VALU_DEP_1) | instskip(SKIP_1) | instid1(VALU_DEP_2)
	v_mul_f64 v[25:26], v[23:24], s[16:17]
	v_add_f64 v[8:9], v[23:24], -v[8:9]
	v_fma_f64 v[45:46], v[23:24], s[16:17], -v[25:26]
	s_delay_alu instid0(VALU_DEP_2) | instskip(NEXT) | instid1(VALU_DEP_2)
	v_add_f64 v[6:7], v[6:7], -v[8:9]
	v_fma_f64 v[8:9], v[23:24], s[22:23], v[45:46]
	s_delay_alu instid0(VALU_DEP_1) | instskip(NEXT) | instid1(VALU_DEP_1)
	v_fma_f64 v[8:9], v[6:7], s[16:17], v[8:9]
	v_add_f64 v[6:7], v[25:26], v[8:9]
	s_delay_alu instid0(VALU_DEP_1) | instskip(NEXT) | instid1(VALU_DEP_1)
	v_add_f64 v[23:24], v[6:7], -v[25:26]
	v_add_f64 v[8:9], v[8:9], -v[23:24]
	s_and_not1_saveexec_b32 s3, s6
	s_cbranch_execz .LBB132_211
	s_branch .LBB132_210
.LBB132_209:                            ;   in Loop: Header=BB132_185 Depth=1
	s_and_not1_saveexec_b32 s3, s6
	s_cbranch_execz .LBB132_211
.LBB132_210:                            ;   in Loop: Header=BB132_185 Depth=1
	v_mul_f64 v[6:7], |v[16:17]|, s[24:25]
	s_mov_b32 s20, s26
	s_delay_alu instid0(VALU_DEP_1) | instskip(NEXT) | instid1(VALU_DEP_1)
	v_rndne_f64_e32 v[23:24], v[6:7]
	v_fma_f64 v[6:7], v[23:24], s[18:19], |v[16:17]|
	v_mul_f64 v[8:9], v[23:24], s[26:27]
	s_delay_alu instid0(VALU_DEP_2) | instskip(NEXT) | instid1(VALU_DEP_2)
	v_fma_f64 v[44:45], v[23:24], s[26:27], v[6:7]
	v_add_f64 v[25:26], v[6:7], v[8:9]
	s_delay_alu instid0(VALU_DEP_1) | instskip(NEXT) | instid1(VALU_DEP_3)
	v_add_f64 v[6:7], v[6:7], -v[25:26]
	v_add_f64 v[25:26], v[25:26], -v[44:45]
	s_delay_alu instid0(VALU_DEP_2) | instskip(SKIP_1) | instid1(VALU_DEP_2)
	v_add_f64 v[6:7], v[6:7], v[8:9]
	v_fma_f64 v[8:9], v[23:24], s[20:21], v[8:9]
	v_add_f64 v[6:7], v[25:26], v[6:7]
	s_delay_alu instid0(VALU_DEP_1) | instskip(NEXT) | instid1(VALU_DEP_1)
	v_add_f64 v[6:7], v[6:7], -v[8:9]
	v_fma_f64 v[8:9], v[23:24], s[28:29], v[6:7]
	s_delay_alu instid0(VALU_DEP_1) | instskip(NEXT) | instid1(VALU_DEP_1)
	v_add_f64 v[6:7], v[44:45], v[8:9]
	v_add_f64 v[25:26], v[6:7], -v[44:45]
	v_cvt_i32_f64_e32 v44, v[23:24]
	s_delay_alu instid0(VALU_DEP_2)
	v_add_f64 v[8:9], v[8:9], -v[25:26]
.LBB132_211:                            ;   in Loop: Header=BB132_185 Depth=1
	s_or_b32 exec_lo, exec_lo, s3
                                        ; implicit-def: $vgpr45
                                        ; implicit-def: $vgpr23_vgpr24
                                        ; implicit-def: $vgpr25_vgpr26
	s_and_saveexec_b32 s3, s5
	s_delay_alu instid0(SALU_CYCLE_1)
	s_xor_b32 s5, exec_lo, s3
	s_cbranch_execz .LBB132_213
; %bb.212:                              ;   in Loop: Header=BB132_185 Depth=1
	v_ldexp_f64 v[23:24], |v[16:17]|, 0xffffff80
	v_cmp_le_f64_e64 s3, 0x7b000000, |v[16:17]|
	v_trig_preop_f64 v[25:26], |v[16:17]|, 0
	v_trig_preop_f64 v[55:56], |v[16:17]|, 2
	s_mov_b32 s16, s18
	s_mov_b32 s23, s21
	s_delay_alu instid0(VALU_DEP_3) | instskip(SKIP_2) | instid1(VALU_DEP_2)
	v_cndmask_b32_e64 v46, v43, v24, s3
	v_cndmask_b32_e64 v45, v16, v23, s3
	v_trig_preop_f64 v[23:24], |v[16:17]|, 1
	v_mul_f64 v[47:48], v[25:26], v[45:46]
	v_mul_f64 v[61:62], v[55:56], v[45:46]
	s_delay_alu instid0(VALU_DEP_3) | instskip(NEXT) | instid1(VALU_DEP_3)
	v_mul_f64 v[49:50], v[23:24], v[45:46]
	v_fma_f64 v[25:26], v[25:26], v[45:46], -v[47:48]
	s_delay_alu instid0(VALU_DEP_2) | instskip(NEXT) | instid1(VALU_DEP_4)
	v_fma_f64 v[63:64], v[23:24], v[45:46], -v[49:50]
	v_fma_f64 v[45:46], v[55:56], v[45:46], -v[61:62]
	s_delay_alu instid0(VALU_DEP_3) | instskip(NEXT) | instid1(VALU_DEP_1)
	v_add_f64 v[51:52], v[49:50], v[25:26]
	v_add_f64 v[53:54], v[51:52], -v[49:50]
	v_add_f64 v[59:60], v[47:48], v[51:52]
	s_delay_alu instid0(VALU_DEP_2) | instskip(SKIP_2) | instid1(VALU_DEP_4)
	v_add_f64 v[57:58], v[51:52], -v[53:54]
	v_add_f64 v[23:24], v[25:26], -v[53:54]
	v_add_f64 v[53:54], v[61:62], v[63:64]
	v_add_f64 v[47:48], v[59:60], -v[47:48]
	s_delay_alu instid0(VALU_DEP_4) | instskip(SKIP_1) | instid1(VALU_DEP_3)
	v_add_f64 v[25:26], v[49:50], -v[57:58]
	v_ldexp_f64 v[49:50], v[59:60], -2
	v_add_f64 v[47:48], v[51:52], -v[47:48]
	s_delay_alu instid0(VALU_DEP_3) | instskip(NEXT) | instid1(VALU_DEP_3)
	v_add_f64 v[24:25], v[23:24], v[25:26]
	v_fract_f64_e32 v[57:58], v[49:50]
	v_cmp_neq_f64_e64 s3, 0x7ff00000, |v[49:50]|
	s_delay_alu instid0(VALU_DEP_3) | instskip(NEXT) | instid1(VALU_DEP_2)
	v_add_f64 v[49:50], v[53:54], v[24:25]
	v_cndmask_b32_e64 v52, 0, v58, s3
	s_delay_alu instid0(VALU_DEP_4) | instskip(NEXT) | instid1(VALU_DEP_1)
	v_cndmask_b32_e64 v51, 0, v57, s3
	v_ldexp_f64 v[51:52], v[51:52], 2
	s_delay_alu instid0(VALU_DEP_4) | instskip(SKIP_1) | instid1(VALU_DEP_2)
	v_add_f64 v[57:58], v[47:48], v[49:50]
	v_add_f64 v[65:66], v[49:50], -v[53:54]
	v_add_f64 v[59:60], v[57:58], v[51:52]
	s_delay_alu instid0(VALU_DEP_2) | instskip(SKIP_1) | instid1(VALU_DEP_3)
	v_add_f64 v[71:72], v[49:50], -v[65:66]
	v_add_f64 v[47:48], v[57:58], -v[47:48]
	v_cmp_gt_f64_e64 s3, 0, v[59:60]
	v_add_f64 v[59:60], v[53:54], -v[61:62]
	s_delay_alu instid0(VALU_DEP_3) | instskip(NEXT) | instid1(VALU_DEP_3)
	v_add_f64 v[47:48], v[49:50], -v[47:48]
	v_cndmask_b32_e64 v23, 0, 0x40100000, s3
	s_delay_alu instid0(VALU_DEP_3) | instskip(SKIP_1) | instid1(VALU_DEP_3)
	v_add_f64 v[69:70], v[53:54], -v[59:60]
	v_add_f64 v[59:60], v[63:64], -v[59:60]
	v_add_f64 v[51:52], v[51:52], v[22:23]
	v_add_f64 v[23:24], v[24:25], -v[65:66]
	v_add_f64 v[25:26], v[53:54], -v[71:72]
	;; [unrolled: 1-line block ×3, first 2 shown]
	s_delay_alu instid0(VALU_DEP_4) | instskip(NEXT) | instid1(VALU_DEP_3)
	v_add_f64 v[67:68], v[57:58], v[51:52]
	v_add_f64 v[23:24], v[23:24], v[25:26]
	s_delay_alu instid0(VALU_DEP_3) | instskip(NEXT) | instid1(VALU_DEP_3)
	v_add_f64 v[59:60], v[59:60], v[63:64]
	v_cvt_i32_f64_e32 v43, v[67:68]
	s_delay_alu instid0(VALU_DEP_2) | instskip(NEXT) | instid1(VALU_DEP_2)
	v_add_f64 v[23:24], v[59:60], v[23:24]
	v_cvt_f64_i32_e32 v[53:54], v43
	s_delay_alu instid0(VALU_DEP_2) | instskip(NEXT) | instid1(VALU_DEP_2)
	v_add_f64 v[23:24], v[45:46], v[23:24]
	v_add_f64 v[25:26], v[51:52], -v[53:54]
	s_delay_alu instid0(VALU_DEP_2) | instskip(NEXT) | instid1(VALU_DEP_2)
	v_add_f64 v[46:47], v[47:48], v[23:24]
	v_add_f64 v[51:52], v[57:58], v[25:26]
	s_delay_alu instid0(VALU_DEP_1) | instskip(SKIP_1) | instid1(VALU_DEP_2)
	v_add_f64 v[25:26], v[51:52], -v[25:26]
	v_cmp_le_f64_e64 s3, 0.5, v[51:52]
	v_add_f64 v[24:25], v[57:58], -v[25:26]
	s_delay_alu instid0(VALU_DEP_2) | instskip(SKIP_1) | instid1(VALU_DEP_3)
	v_cndmask_b32_e64 v23, 0, 0x3ff00000, s3
	v_add_co_ci_u32_e64 v45, s4, 0, v43, s3
	v_add_f64 v[24:25], v[46:47], v[24:25]
	s_delay_alu instid0(VALU_DEP_3) | instskip(NEXT) | instid1(VALU_DEP_1)
	v_add_f64 v[46:47], v[51:52], -v[22:23]
	v_add_f64 v[48:49], v[46:47], v[24:25]
	s_delay_alu instid0(VALU_DEP_1) | instskip(SKIP_1) | instid1(VALU_DEP_2)
	v_mul_f64 v[50:51], v[48:49], s[16:17]
	v_add_f64 v[46:47], v[48:49], -v[46:47]
	v_fma_f64 v[52:53], v[48:49], s[16:17], -v[50:51]
	s_delay_alu instid0(VALU_DEP_2) | instskip(NEXT) | instid1(VALU_DEP_2)
	v_add_f64 v[23:24], v[24:25], -v[46:47]
	v_fma_f64 v[25:26], v[48:49], s[22:23], v[52:53]
	s_delay_alu instid0(VALU_DEP_1) | instskip(NEXT) | instid1(VALU_DEP_1)
	v_fma_f64 v[25:26], v[23:24], s[16:17], v[25:26]
	v_add_f64 v[23:24], v[50:51], v[25:26]
	s_delay_alu instid0(VALU_DEP_1) | instskip(NEXT) | instid1(VALU_DEP_1)
	v_add_f64 v[46:47], v[23:24], -v[50:51]
	v_add_f64 v[25:26], v[25:26], -v[46:47]
	s_and_not1_saveexec_b32 s3, s5
	s_cbranch_execnz .LBB132_214
	s_branch .LBB132_215
.LBB132_213:                            ;   in Loop: Header=BB132_185 Depth=1
	s_and_not1_saveexec_b32 s3, s5
	s_cbranch_execz .LBB132_215
.LBB132_214:                            ;   in Loop: Header=BB132_185 Depth=1
	v_mul_f64 v[23:24], |v[16:17]|, s[24:25]
	s_mov_b32 s20, s26
	s_delay_alu instid0(VALU_DEP_1) | instskip(NEXT) | instid1(VALU_DEP_1)
	v_rndne_f64_e32 v[45:46], v[23:24]
	v_fma_f64 v[23:24], v[45:46], s[18:19], |v[16:17]|
	v_mul_f64 v[25:26], v[45:46], s[26:27]
	s_delay_alu instid0(VALU_DEP_2) | instskip(NEXT) | instid1(VALU_DEP_2)
	v_fma_f64 v[49:50], v[45:46], s[26:27], v[23:24]
	v_add_f64 v[47:48], v[23:24], v[25:26]
	s_delay_alu instid0(VALU_DEP_1) | instskip(NEXT) | instid1(VALU_DEP_3)
	v_add_f64 v[23:24], v[23:24], -v[47:48]
	v_add_f64 v[47:48], v[47:48], -v[49:50]
	s_delay_alu instid0(VALU_DEP_2) | instskip(SKIP_1) | instid1(VALU_DEP_2)
	v_add_f64 v[23:24], v[23:24], v[25:26]
	v_fma_f64 v[25:26], v[45:46], s[20:21], v[25:26]
	v_add_f64 v[23:24], v[47:48], v[23:24]
	s_delay_alu instid0(VALU_DEP_1) | instskip(NEXT) | instid1(VALU_DEP_1)
	v_add_f64 v[23:24], v[23:24], -v[25:26]
	v_fma_f64 v[25:26], v[45:46], s[28:29], v[23:24]
	v_cvt_i32_f64_e32 v45, v[45:46]
	s_delay_alu instid0(VALU_DEP_2) | instskip(NEXT) | instid1(VALU_DEP_1)
	v_add_f64 v[23:24], v[49:50], v[25:26]
	v_add_f64 v[47:48], v[23:24], -v[49:50]
	s_delay_alu instid0(VALU_DEP_1)
	v_add_f64 v[25:26], v[25:26], -v[47:48]
.LBB132_215:                            ;   in Loop: Header=BB132_185 Depth=1
	s_or_b32 exec_lo, exec_lo, s3
	v_add_f64 v[14:15], v[14:15], s[78:79]
	v_mul_f64 v[52:53], v[6:7], v[6:7]
	v_mul_f64 v[54:55], v[23:24], v[23:24]
	s_mov_b32 s53, s51
	s_mov_b32 s81, s55
	s_delay_alu instid0(VALU_DEP_4) | instskip(SKIP_4) | instid1(VALU_DEP_1)
	v_mul_f64 v[72:73], v[8:9], 0.5
	v_mul_f64 v[78:79], v[25:26], 0.5
	s_mov_b32 s82, s54
	v_cmp_class_f64_e64 s4, v[16:17], 0x1f8
	v_and_b32_e32 v16, 1, v45
	v_cmp_eq_u32_e64 s7, 0, v16
	v_mul_f64 v[46:47], v[14:15], s[30:31]
	v_fma_f64 v[56:57], v[52:53], s[72:73], s[70:71]
	v_fma_f64 v[58:59], v[54:55], s[72:73], s[70:71]
	v_mul_f64 v[62:63], v[52:53], 0.5
	v_fma_f64 v[60:61], v[52:53], s[62:63], s[60:61]
	v_fma_f64 v[64:65], v[54:55], s[62:63], s[60:61]
	v_mul_f64 v[66:67], v[54:55], 0.5
	v_mul_f64 v[74:75], v[6:7], -v[52:53]
	v_mul_f64 v[80:81], v[23:24], -v[54:55]
	v_cmp_nlt_f64_e64 s5, 0x40900000, v[14:15]
	v_cmp_ngt_f64_e64 s6, 0xc090cc00, v[14:15]
	v_rndne_f64_e32 v[46:47], v[46:47]
	v_fma_f64 v[56:57], v[52:53], v[56:57], s[74:75]
	v_fma_f64 v[58:59], v[54:55], v[58:59], s[74:75]
	v_add_f64 v[68:69], -v[62:63], 1.0
	v_fma_f64 v[60:61], v[52:53], v[60:61], s[64:65]
	v_fma_f64 v[64:65], v[54:55], v[64:65], s[64:65]
	v_add_f64 v[70:71], -v[66:67], 1.0
	v_fma_f64 v[48:49], v[46:47], s[34:35], v[14:15]
	v_fma_f64 v[56:57], v[52:53], v[56:57], s[76:77]
	;; [unrolled: 1-line block ×3, first 2 shown]
	v_add_f64 v[76:77], -v[68:69], 1.0
	v_fma_f64 v[60:61], v[52:53], v[60:61], s[66:67]
	v_fma_f64 v[64:65], v[54:55], v[64:65], s[66:67]
	v_add_f64 v[82:83], -v[70:71], 1.0
	v_cvt_i32_f64_e32 v43, v[46:47]
	v_lshlrev_b32_e32 v14, 30, v45
	v_lshlrev_b32_e32 v15, 30, v44
	s_delay_alu instid0(VALU_DEP_2) | instskip(NEXT) | instid1(VALU_DEP_2)
	v_xor_b32_e32 v14, v14, v17
	v_and_b32_e32 v15, 0x80000000, v15
	s_delay_alu instid0(VALU_DEP_2)
	v_and_b32_e32 v14, 0x80000000, v14
	v_fma_f64 v[48:49], v[46:47], s[36:37], v[48:49]
	v_fma_f64 v[56:57], v[52:53], v[56:57], s[50:51]
	v_fma_f64 v[58:59], v[54:55], v[58:59], s[50:51]
	v_add_f64 v[62:63], v[76:77], -v[62:63]
	v_fma_f64 v[60:61], v[52:53], v[60:61], s[68:69]
	v_fma_f64 v[64:65], v[54:55], v[64:65], s[68:69]
	v_add_f64 v[66:67], v[82:83], -v[66:67]
	v_fma_f64 v[50:51], v[48:49], s[40:41], s[38:39]
	v_fma_f64 v[56:57], v[74:75], v[56:57], v[72:73]
	;; [unrolled: 1-line block ×3, first 2 shown]
	v_fma_f64 v[62:63], v[6:7], -v[8:9], v[62:63]
	v_mul_f64 v[72:73], v[52:53], v[52:53]
	v_fma_f64 v[60:61], v[52:53], v[60:61], s[54:55]
	v_fma_f64 v[50:51], v[48:49], v[50:51], s[42:43]
	v_fma_f64 v[8:9], v[52:53], v[56:57], -v[8:9]
	v_mul_f64 v[52:53], v[54:55], v[54:55]
	v_fma_f64 v[56:57], v[54:55], v[64:65], s[54:55]
	v_fma_f64 v[64:65], v[23:24], -v[25:26], v[66:67]
	v_fma_f64 v[25:26], v[54:55], v[58:59], -v[25:26]
	v_fma_f64 v[54:55], v[72:73], v[60:61], v[62:63]
	v_fma_f64 v[50:51], v[48:49], v[50:51], s[44:45]
	;; [unrolled: 1-line block ×3, first 2 shown]
	s_delay_alu instid0(VALU_DEP_4) | instskip(NEXT) | instid1(VALU_DEP_3)
	v_fma_f64 v[25:26], v[80:81], s[82:83], v[25:26]
	v_fma_f64 v[50:51], v[48:49], v[50:51], s[46:47]
	s_delay_alu instid0(VALU_DEP_3) | instskip(NEXT) | instid1(VALU_DEP_3)
	v_add_f64 v[6:7], v[6:7], -v[8:9]
	v_add_f64 v[23:24], v[23:24], -v[25:26]
	v_and_b32_e32 v25, 1, v44
	s_delay_alu instid0(VALU_DEP_1) | instskip(SKIP_2) | instid1(VALU_DEP_2)
	v_cmp_eq_u32_e64 s3, 0, v25
	v_fma_f64 v[50:51], v[48:49], v[50:51], s[48:49]
	v_xor_b32_e32 v7, 0x80000000, v7
	v_fma_f64 v[50:51], v[48:49], v[50:51], s[52:53]
	s_delay_alu instid0(VALU_DEP_1) | instskip(NEXT) | instid1(VALU_DEP_1)
	v_fma_f64 v[50:51], v[48:49], v[50:51], s[80:81]
	v_fma_f64 v[50:51], v[48:49], v[50:51], s[56:57]
	s_delay_alu instid0(VALU_DEP_1) | instskip(NEXT) | instid1(VALU_DEP_1)
	v_fma_f64 v[50:51], v[48:49], v[50:51], s[58:59]
	v_fma_f64 v[50:51], v[48:49], v[50:51], 1.0
	s_delay_alu instid0(VALU_DEP_1) | instskip(SKIP_2) | instid1(VALU_DEP_3)
	v_fma_f64 v[46:47], v[48:49], v[50:51], 1.0
	v_fma_f64 v[48:49], v[52:53], v[56:57], v[64:65]
	v_add_f64 v[50:51], v[68:69], v[54:55]
	v_ldexp_f64 v[8:9], v[46:47], v43
	s_delay_alu instid0(VALU_DEP_3) | instskip(NEXT) | instid1(VALU_DEP_3)
	v_add_f64 v[46:47], v[70:71], v[48:49]
	v_cndmask_b32_e64 v7, v7, v51, s3
	s_delay_alu instid0(VALU_DEP_4) | instskip(SKIP_1) | instid1(VALU_DEP_2)
	v_cndmask_b32_e64 v6, v6, v50, s3
	s_and_b32 s3, s6, s5
	v_xor_b32_e32 v7, v7, v15
	s_delay_alu instid0(VALU_DEP_2) | instskip(NEXT) | instid1(VALU_DEP_2)
	v_cndmask_b32_e64 v6, 0, v6, s4
	v_cndmask_b32_e64 v7, 0x7ff80000, v7, s4
	;; [unrolled: 1-line block ×6, first 2 shown]
	s_delay_alu instid0(VALU_DEP_4) | instskip(NEXT) | instid1(VALU_DEP_4)
	v_cndmask_b32_e64 v23, 0, v9, s6
	v_xor_b32_e32 v15, v17, v14
	s_delay_alu instid0(VALU_DEP_4) | instskip(NEXT) | instid1(VALU_DEP_3)
	v_cndmask_b32_e64 v14, 0, v16, s4
	v_and_or_b32 v9, v23, s89, 0x7fe00000
	s_delay_alu instid0(VALU_DEP_3) | instskip(NEXT) | instid1(VALU_DEP_2)
	v_cndmask_b32_e64 v15, 0x7ff80000, v15, s4
	v_mul_f64 v[6:7], v[8:9], v[6:7]
	s_delay_alu instid0(VALU_DEP_2) | instskip(SKIP_1) | instid1(VALU_DEP_1)
	v_mul_f64 v[8:9], v[8:9], v[14:15]
	v_lshrrev_b32_e32 v14, 20, v23
	v_add_nc_u32_e32 v14, 0xffffff09, v14
	s_delay_alu instid0(VALU_DEP_1) | instskip(NEXT) | instid1(VALU_DEP_1)
	v_lshrrev_b16 v15, 15, v14
	v_add_nc_u16 v15, v14, v15
	s_delay_alu instid0(VALU_DEP_1) | instskip(NEXT) | instid1(VALU_DEP_1)
	v_ashrrev_i16 v15, 1, v15
	v_bfe_i32 v15, v15, 0, 16
	s_delay_alu instid0(VALU_DEP_1) | instskip(SKIP_2) | instid1(VALU_DEP_2)
	v_lshl_add_u32 v23, v15, 20, 0x3ff00000
	v_sub_nc_u32_e32 v15, v14, v15
	v_mov_b32_e32 v14, v22
	v_lshl_add_u32 v15, v15, 20, 0x3ff00000
	s_delay_alu instid0(VALU_DEP_4) | instskip(SKIP_1) | instid1(VALU_DEP_2)
	v_mul_f64 v[6:7], v[6:7], v[22:23]
	v_mul_f64 v[8:9], v[8:9], v[22:23]
	;; [unrolled: 1-line block ×3, first 2 shown]
	s_delay_alu instid0(VALU_DEP_2)
	v_mul_f64 v[8:9], v[8:9], v[14:15]
	s_or_b32 exec_lo, exec_lo, s92
                                        ; implicit-def: $vgpr14_vgpr15
                                        ; implicit-def: $vgpr23
.LBB132_216:                            ;   in Loop: Header=BB132_185 Depth=1
	s_and_not1_saveexec_b32 s5, s91
	s_cbranch_execz .LBB132_222
.LBB132_217:                            ;   in Loop: Header=BB132_185 Depth=1
	v_cmp_ne_u32_e64 s3, 0, v14
	v_cmp_ne_u32_e64 s4, 0x7ff00000, v23
                                        ; implicit-def: $vgpr8_vgpr9
	s_delay_alu instid0(VALU_DEP_1) | instskip(NEXT) | instid1(SALU_CYCLE_1)
	s_or_b32 s3, s3, s4
	s_and_saveexec_b32 s4, s3
	s_delay_alu instid0(SALU_CYCLE_1)
	s_xor_b32 s3, exec_lo, s4
; %bb.218:                              ;   in Loop: Header=BB132_185 Depth=1
	v_add_f64 v[8:9], v[16:17], -v[16:17]
                                        ; implicit-def: $vgpr14_vgpr15
; %bb.219:                              ;   in Loop: Header=BB132_185 Depth=1
	s_or_saveexec_b32 s4, s3
	s_delay_alu instid0(VALU_DEP_1)
	v_dual_mov_b32 v6, v8 :: v_dual_mov_b32 v7, v9
	s_xor_b32 exec_lo, exec_lo, s4
; %bb.220:                              ;   in Loop: Header=BB132_185 Depth=1
	v_add_f64 v[8:9], v[16:17], -v[16:17]
	v_cmp_lt_i64_e64 s3, -1, v[14:15]
	s_delay_alu instid0(VALU_DEP_1) | instskip(SKIP_1) | instid1(VALU_DEP_4)
	v_cndmask_b32_e64 v7, 0, v15, s3
	v_cndmask_b32_e64 v6, 0, v14, s3
	;; [unrolled: 1-line block ×4, first 2 shown]
; %bb.221:                              ;   in Loop: Header=BB132_185 Depth=1
	s_or_b32 exec_lo, exec_lo, s4
.LBB132_222:                            ;   in Loop: Header=BB132_185 Depth=1
	s_delay_alu instid0(SALU_CYCLE_1)
	s_or_b32 exec_lo, exec_lo, s5
                                        ; implicit-def: $vgpr16_vgpr17
                                        ; implicit-def: $vgpr43
.LBB132_223:                            ;   in Loop: Header=BB132_185 Depth=1
	s_and_not1_saveexec_b32 s6, s90
	s_cbranch_execz .LBB132_233
; %bb.224:                              ;   in Loop: Header=BB132_185 Depth=1
	v_cmp_ngt_f64_e64 s5, 0x41d00000, |v[16:17]|
                                        ; implicit-def: $vgpr25
                                        ; implicit-def: $vgpr6_vgpr7
                                        ; implicit-def: $vgpr8_vgpr9
	s_delay_alu instid0(VALU_DEP_1) | instskip(NEXT) | instid1(SALU_CYCLE_1)
	s_and_saveexec_b32 s3, s5
	s_xor_b32 s7, exec_lo, s3
	s_cbranch_execz .LBB132_226
; %bb.225:                              ;   in Loop: Header=BB132_185 Depth=1
	v_ldexp_f64 v[6:7], |v[16:17]|, 0xffffff80
	v_cmp_le_f64_e64 s3, 0x7b000000, |v[16:17]|
	v_trig_preop_f64 v[8:9], |v[16:17]|, 0
	v_trig_preop_f64 v[14:15], |v[16:17]|, 1
	;; [unrolled: 1-line block ×3, first 2 shown]
	s_mov_b32 s16, s18
	s_mov_b32 s23, s21
	s_delay_alu instid0(VALU_DEP_4) | instskip(SKIP_1) | instid1(VALU_DEP_1)
	v_cndmask_b32_e64 v7, v43, v7, s3
	v_cndmask_b32_e64 v6, v16, v6, s3
	v_mul_f64 v[23:24], v[8:9], v[6:7]
	v_mul_f64 v[25:26], v[14:15], v[6:7]
	;; [unrolled: 1-line block ×3, first 2 shown]
	s_delay_alu instid0(VALU_DEP_3) | instskip(NEXT) | instid1(VALU_DEP_3)
	v_fma_f64 v[8:9], v[8:9], v[6:7], -v[23:24]
	v_fma_f64 v[14:15], v[14:15], v[6:7], -v[25:26]
	s_delay_alu instid0(VALU_DEP_3) | instskip(NEXT) | instid1(VALU_DEP_3)
	v_fma_f64 v[6:7], v[48:49], v[6:7], -v[54:55]
	v_add_f64 v[44:45], v[25:26], v[8:9]
	s_delay_alu instid0(VALU_DEP_1) | instskip(SKIP_1) | instid1(VALU_DEP_2)
	v_add_f64 v[46:47], v[44:45], -v[25:26]
	v_add_f64 v[52:53], v[23:24], v[44:45]
	v_add_f64 v[50:51], v[44:45], -v[46:47]
	v_add_f64 v[8:9], v[8:9], -v[46:47]
	s_delay_alu instid0(VALU_DEP_3) | instskip(SKIP_1) | instid1(VALU_DEP_4)
	v_ldexp_f64 v[46:47], v[52:53], -2
	v_add_f64 v[23:24], v[52:53], -v[23:24]
	v_add_f64 v[25:26], v[25:26], -v[50:51]
	v_add_f64 v[50:51], v[54:55], v[14:15]
	s_delay_alu instid0(VALU_DEP_4) | instskip(NEXT) | instid1(VALU_DEP_4)
	v_cmp_neq_f64_e64 s3, 0x7ff00000, |v[46:47]|
	v_add_f64 v[44:45], v[44:45], -v[23:24]
	s_delay_alu instid0(VALU_DEP_4) | instskip(SKIP_1) | instid1(VALU_DEP_2)
	v_add_f64 v[8:9], v[8:9], v[25:26]
	v_fract_f64_e32 v[25:26], v[46:47]
	v_add_f64 v[46:47], v[50:51], v[8:9]
	s_delay_alu instid0(VALU_DEP_2) | instskip(NEXT) | instid1(VALU_DEP_3)
	v_cndmask_b32_e64 v24, 0, v26, s3
	v_cndmask_b32_e64 v23, 0, v25, s3
	s_delay_alu instid0(VALU_DEP_1) | instskip(NEXT) | instid1(VALU_DEP_4)
	v_ldexp_f64 v[24:25], v[23:24], 2
	v_add_f64 v[52:53], v[44:45], v[46:47]
	s_delay_alu instid0(VALU_DEP_1) | instskip(NEXT) | instid1(VALU_DEP_1)
	v_add_f64 v[56:57], v[52:53], v[24:25]
	v_cmp_gt_f64_e64 s3, 0, v[56:57]
	v_add_f64 v[56:57], v[46:47], -v[50:51]
	s_delay_alu instid0(VALU_DEP_2) | instskip(NEXT) | instid1(VALU_DEP_2)
	v_cndmask_b32_e64 v23, 0, 0x40100000, s3
	v_add_f64 v[62:63], v[46:47], -v[56:57]
	v_add_f64 v[8:9], v[8:9], -v[56:57]
	s_delay_alu instid0(VALU_DEP_3) | instskip(SKIP_1) | instid1(VALU_DEP_2)
	v_add_f64 v[23:24], v[24:25], v[22:23]
	v_add_f64 v[25:26], v[50:51], -v[54:55]
	v_add_f64 v[58:59], v[52:53], v[23:24]
	s_delay_alu instid0(VALU_DEP_2) | instskip(SKIP_2) | instid1(VALU_DEP_4)
	v_add_f64 v[60:61], v[50:51], -v[25:26]
	v_add_f64 v[14:15], v[14:15], -v[25:26]
	;; [unrolled: 1-line block ×3, first 2 shown]
	v_cvt_i32_f64_e32 v58, v[58:59]
	s_delay_alu instid0(VALU_DEP_4) | instskip(NEXT) | instid1(VALU_DEP_3)
	v_add_f64 v[25:26], v[54:55], -v[60:61]
	v_add_f64 v[8:9], v[8:9], v[50:51]
	s_delay_alu instid0(VALU_DEP_3) | instskip(NEXT) | instid1(VALU_DEP_3)
	v_cvt_f64_i32_e32 v[56:57], v58
	v_add_f64 v[14:15], v[14:15], v[25:26]
	v_add_f64 v[25:26], v[52:53], -v[44:45]
	s_delay_alu instid0(VALU_DEP_3) | instskip(NEXT) | instid1(VALU_DEP_3)
	v_add_f64 v[23:24], v[23:24], -v[56:57]
	v_add_f64 v[8:9], v[14:15], v[8:9]
	s_delay_alu instid0(VALU_DEP_3) | instskip(NEXT) | instid1(VALU_DEP_3)
	v_add_f64 v[25:26], v[46:47], -v[25:26]
	v_add_f64 v[14:15], v[52:53], v[23:24]
	s_delay_alu instid0(VALU_DEP_3) | instskip(NEXT) | instid1(VALU_DEP_2)
	v_add_f64 v[6:7], v[6:7], v[8:9]
	v_add_f64 v[8:9], v[14:15], -v[23:24]
	v_cmp_le_f64_e64 s3, 0.5, v[14:15]
	s_delay_alu instid0(VALU_DEP_3) | instskip(NEXT) | instid1(VALU_DEP_3)
	v_add_f64 v[6:7], v[25:26], v[6:7]
	v_add_f64 v[8:9], v[52:53], -v[8:9]
	s_delay_alu instid0(VALU_DEP_3) | instskip(SKIP_1) | instid1(VALU_DEP_3)
	v_cndmask_b32_e64 v23, 0, 0x3ff00000, s3
	v_add_co_ci_u32_e64 v25, s4, 0, v58, s3
	v_add_f64 v[6:7], v[6:7], v[8:9]
	s_delay_alu instid0(VALU_DEP_3) | instskip(NEXT) | instid1(VALU_DEP_1)
	v_add_f64 v[8:9], v[14:15], -v[22:23]
	v_add_f64 v[14:15], v[8:9], v[6:7]
	s_delay_alu instid0(VALU_DEP_1) | instskip(SKIP_1) | instid1(VALU_DEP_2)
	v_mul_f64 v[23:24], v[14:15], s[16:17]
	v_add_f64 v[8:9], v[14:15], -v[8:9]
	v_fma_f64 v[44:45], v[14:15], s[16:17], -v[23:24]
	s_delay_alu instid0(VALU_DEP_2) | instskip(NEXT) | instid1(VALU_DEP_2)
	v_add_f64 v[6:7], v[6:7], -v[8:9]
	v_fma_f64 v[8:9], v[14:15], s[22:23], v[44:45]
	s_delay_alu instid0(VALU_DEP_1) | instskip(NEXT) | instid1(VALU_DEP_1)
	v_fma_f64 v[8:9], v[6:7], s[16:17], v[8:9]
	v_add_f64 v[6:7], v[23:24], v[8:9]
	s_delay_alu instid0(VALU_DEP_1) | instskip(NEXT) | instid1(VALU_DEP_1)
	v_add_f64 v[14:15], v[6:7], -v[23:24]
	v_add_f64 v[8:9], v[8:9], -v[14:15]
	s_and_not1_saveexec_b32 s3, s7
	s_cbranch_execz .LBB132_228
	s_branch .LBB132_227
.LBB132_226:                            ;   in Loop: Header=BB132_185 Depth=1
	s_and_not1_saveexec_b32 s3, s7
	s_cbranch_execz .LBB132_228
.LBB132_227:                            ;   in Loop: Header=BB132_185 Depth=1
	v_mul_f64 v[6:7], |v[16:17]|, s[24:25]
	s_mov_b32 s20, s26
	s_delay_alu instid0(VALU_DEP_1) | instskip(NEXT) | instid1(VALU_DEP_1)
	v_rndne_f64_e32 v[14:15], v[6:7]
	v_fma_f64 v[6:7], v[14:15], s[18:19], |v[16:17]|
	v_mul_f64 v[8:9], v[14:15], s[26:27]
	s_delay_alu instid0(VALU_DEP_2) | instskip(NEXT) | instid1(VALU_DEP_2)
	v_fma_f64 v[25:26], v[14:15], s[26:27], v[6:7]
	v_add_f64 v[23:24], v[6:7], v[8:9]
	s_delay_alu instid0(VALU_DEP_1) | instskip(NEXT) | instid1(VALU_DEP_3)
	v_add_f64 v[6:7], v[6:7], -v[23:24]
	v_add_f64 v[23:24], v[23:24], -v[25:26]
	s_delay_alu instid0(VALU_DEP_2) | instskip(SKIP_1) | instid1(VALU_DEP_2)
	v_add_f64 v[6:7], v[6:7], v[8:9]
	v_fma_f64 v[8:9], v[14:15], s[20:21], v[8:9]
	v_add_f64 v[6:7], v[23:24], v[6:7]
	s_delay_alu instid0(VALU_DEP_1) | instskip(NEXT) | instid1(VALU_DEP_1)
	v_add_f64 v[6:7], v[6:7], -v[8:9]
	v_fma_f64 v[8:9], v[14:15], s[28:29], v[6:7]
	s_delay_alu instid0(VALU_DEP_1) | instskip(NEXT) | instid1(VALU_DEP_1)
	v_add_f64 v[6:7], v[25:26], v[8:9]
	v_add_f64 v[23:24], v[6:7], -v[25:26]
	v_cvt_i32_f64_e32 v25, v[14:15]
	s_delay_alu instid0(VALU_DEP_2)
	v_add_f64 v[8:9], v[8:9], -v[23:24]
.LBB132_228:                            ;   in Loop: Header=BB132_185 Depth=1
	s_or_b32 exec_lo, exec_lo, s3
                                        ; implicit-def: $vgpr26
                                        ; implicit-def: $vgpr14_vgpr15
                                        ; implicit-def: $vgpr23_vgpr24
	s_and_saveexec_b32 s3, s5
	s_delay_alu instid0(SALU_CYCLE_1)
	s_xor_b32 s5, exec_lo, s3
	s_cbranch_execz .LBB132_230
; %bb.229:                              ;   in Loop: Header=BB132_185 Depth=1
	v_ldexp_f64 v[14:15], |v[16:17]|, 0xffffff80
	v_cmp_le_f64_e64 s3, 0x7b000000, |v[16:17]|
	v_trig_preop_f64 v[23:24], |v[16:17]|, 0
	v_trig_preop_f64 v[53:54], |v[16:17]|, 2
	s_mov_b32 s16, s18
	s_mov_b32 s23, s21
	s_delay_alu instid0(VALU_DEP_3) | instskip(SKIP_2) | instid1(VALU_DEP_2)
	v_cndmask_b32_e64 v15, v43, v15, s3
	v_cndmask_b32_e64 v14, v16, v14, s3
	v_trig_preop_f64 v[43:44], |v[16:17]|, 1
	v_mul_f64 v[45:46], v[23:24], v[14:15]
	v_mul_f64 v[59:60], v[53:54], v[14:15]
	s_delay_alu instid0(VALU_DEP_3) | instskip(NEXT) | instid1(VALU_DEP_3)
	v_mul_f64 v[47:48], v[43:44], v[14:15]
	v_fma_f64 v[23:24], v[23:24], v[14:15], -v[45:46]
	s_delay_alu instid0(VALU_DEP_2) | instskip(NEXT) | instid1(VALU_DEP_4)
	v_fma_f64 v[43:44], v[43:44], v[14:15], -v[47:48]
	v_fma_f64 v[14:15], v[53:54], v[14:15], -v[59:60]
	s_delay_alu instid0(VALU_DEP_3) | instskip(NEXT) | instid1(VALU_DEP_1)
	v_add_f64 v[49:50], v[47:48], v[23:24]
	v_add_f64 v[51:52], v[49:50], -v[47:48]
	v_add_f64 v[57:58], v[45:46], v[49:50]
	s_delay_alu instid0(VALU_DEP_2) | instskip(SKIP_1) | instid1(VALU_DEP_3)
	v_add_f64 v[55:56], v[49:50], -v[51:52]
	v_add_f64 v[23:24], v[23:24], -v[51:52]
	v_ldexp_f64 v[51:52], v[57:58], -2
	v_add_f64 v[45:46], v[57:58], -v[45:46]
	s_delay_alu instid0(VALU_DEP_4) | instskip(SKIP_1) | instid1(VALU_DEP_4)
	v_add_f64 v[47:48], v[47:48], -v[55:56]
	v_add_f64 v[55:56], v[59:60], v[43:44]
	v_cmp_neq_f64_e64 s3, 0x7ff00000, |v[51:52]|
	s_delay_alu instid0(VALU_DEP_4) | instskip(NEXT) | instid1(VALU_DEP_4)
	v_add_f64 v[45:46], v[49:50], -v[45:46]
	v_add_f64 v[47:48], v[23:24], v[47:48]
	v_fract_f64_e32 v[23:24], v[51:52]
	s_delay_alu instid0(VALU_DEP_2) | instskip(NEXT) | instid1(VALU_DEP_2)
	v_add_f64 v[49:50], v[55:56], v[47:48]
	v_cndmask_b32_e64 v24, 0, v24, s3
	s_delay_alu instid0(VALU_DEP_3) | instskip(NEXT) | instid1(VALU_DEP_1)
	v_cndmask_b32_e64 v23, 0, v23, s3
	v_ldexp_f64 v[51:52], v[23:24], 2
	s_delay_alu instid0(VALU_DEP_4) | instskip(SKIP_1) | instid1(VALU_DEP_2)
	v_add_f64 v[57:58], v[45:46], v[49:50]
	v_add_f64 v[61:62], v[49:50], -v[55:56]
	v_add_f64 v[23:24], v[57:58], v[51:52]
	s_delay_alu instid0(VALU_DEP_2) | instskip(SKIP_2) | instid1(VALU_DEP_4)
	v_add_f64 v[67:68], v[49:50], -v[61:62]
	v_add_f64 v[47:48], v[47:48], -v[61:62]
	;; [unrolled: 1-line block ×3, first 2 shown]
	v_cmp_gt_f64_e64 s3, 0, v[23:24]
	s_delay_alu instid0(VALU_DEP_2) | instskip(NEXT) | instid1(VALU_DEP_2)
	v_add_f64 v[45:46], v[49:50], -v[45:46]
	v_cndmask_b32_e64 v23, 0, 0x40100000, s3
	s_delay_alu instid0(VALU_DEP_1) | instskip(SKIP_1) | instid1(VALU_DEP_2)
	v_add_f64 v[23:24], v[51:52], v[22:23]
	v_add_f64 v[51:52], v[55:56], -v[59:60]
	v_add_f64 v[63:64], v[57:58], v[23:24]
	s_delay_alu instid0(VALU_DEP_2) | instskip(SKIP_2) | instid1(VALU_DEP_4)
	v_add_f64 v[65:66], v[55:56], -v[51:52]
	v_add_f64 v[43:44], v[43:44], -v[51:52]
	;; [unrolled: 1-line block ×3, first 2 shown]
	v_cvt_i32_f64_e32 v26, v[63:64]
	s_delay_alu instid0(VALU_DEP_4) | instskip(NEXT) | instid1(VALU_DEP_3)
	v_add_f64 v[51:52], v[59:60], -v[65:66]
	v_add_f64 v[47:48], v[47:48], v[55:56]
	s_delay_alu instid0(VALU_DEP_3) | instskip(NEXT) | instid1(VALU_DEP_3)
	v_cvt_f64_i32_e32 v[61:62], v26
	v_add_f64 v[43:44], v[43:44], v[51:52]
	s_delay_alu instid0(VALU_DEP_2) | instskip(NEXT) | instid1(VALU_DEP_2)
	v_add_f64 v[23:24], v[23:24], -v[61:62]
	v_add_f64 v[43:44], v[43:44], v[47:48]
	s_delay_alu instid0(VALU_DEP_2) | instskip(NEXT) | instid1(VALU_DEP_2)
	v_add_f64 v[47:48], v[57:58], v[23:24]
	v_add_f64 v[14:15], v[14:15], v[43:44]
	s_delay_alu instid0(VALU_DEP_2) | instskip(SKIP_1) | instid1(VALU_DEP_3)
	v_add_f64 v[23:24], v[47:48], -v[23:24]
	v_cmp_le_f64_e64 s3, 0.5, v[47:48]
	v_add_f64 v[14:15], v[45:46], v[14:15]
	s_delay_alu instid0(VALU_DEP_3) | instskip(NEXT) | instid1(VALU_DEP_3)
	v_add_f64 v[43:44], v[57:58], -v[23:24]
	v_cndmask_b32_e64 v23, 0, 0x3ff00000, s3
	v_add_co_ci_u32_e64 v26, s4, 0, v26, s3
	s_delay_alu instid0(VALU_DEP_2) | instskip(NEXT) | instid1(VALU_DEP_4)
	v_add_f64 v[23:24], v[47:48], -v[22:23]
	v_add_f64 v[14:15], v[14:15], v[43:44]
	s_delay_alu instid0(VALU_DEP_1) | instskip(NEXT) | instid1(VALU_DEP_1)
	v_add_f64 v[43:44], v[23:24], v[14:15]
	v_mul_f64 v[45:46], v[43:44], s[16:17]
	v_add_f64 v[23:24], v[43:44], -v[23:24]
	s_delay_alu instid0(VALU_DEP_2) | instskip(NEXT) | instid1(VALU_DEP_2)
	v_fma_f64 v[47:48], v[43:44], s[16:17], -v[45:46]
	v_add_f64 v[14:15], v[14:15], -v[23:24]
	s_delay_alu instid0(VALU_DEP_2) | instskip(NEXT) | instid1(VALU_DEP_1)
	v_fma_f64 v[23:24], v[43:44], s[22:23], v[47:48]
	v_fma_f64 v[23:24], v[14:15], s[16:17], v[23:24]
	s_delay_alu instid0(VALU_DEP_1) | instskip(NEXT) | instid1(VALU_DEP_1)
	v_add_f64 v[14:15], v[45:46], v[23:24]
	v_add_f64 v[43:44], v[14:15], -v[45:46]
	s_delay_alu instid0(VALU_DEP_1)
	v_add_f64 v[23:24], v[23:24], -v[43:44]
	s_and_not1_saveexec_b32 s3, s5
	s_cbranch_execnz .LBB132_231
	s_branch .LBB132_232
.LBB132_230:                            ;   in Loop: Header=BB132_185 Depth=1
	s_and_not1_saveexec_b32 s3, s5
	s_cbranch_execz .LBB132_232
.LBB132_231:                            ;   in Loop: Header=BB132_185 Depth=1
	v_mul_f64 v[14:15], |v[16:17]|, s[24:25]
	s_mov_b32 s20, s26
	s_delay_alu instid0(VALU_DEP_1) | instskip(NEXT) | instid1(VALU_DEP_1)
	v_rndne_f64_e32 v[43:44], v[14:15]
	v_fma_f64 v[14:15], v[43:44], s[18:19], |v[16:17]|
	v_mul_f64 v[23:24], v[43:44], s[26:27]
	v_cvt_i32_f64_e32 v26, v[43:44]
	s_delay_alu instid0(VALU_DEP_3) | instskip(NEXT) | instid1(VALU_DEP_3)
	v_fma_f64 v[47:48], v[43:44], s[26:27], v[14:15]
	v_add_f64 v[45:46], v[14:15], v[23:24]
	s_delay_alu instid0(VALU_DEP_1) | instskip(NEXT) | instid1(VALU_DEP_3)
	v_add_f64 v[14:15], v[14:15], -v[45:46]
	v_add_f64 v[45:46], v[45:46], -v[47:48]
	s_delay_alu instid0(VALU_DEP_2) | instskip(SKIP_1) | instid1(VALU_DEP_2)
	v_add_f64 v[14:15], v[14:15], v[23:24]
	v_fma_f64 v[23:24], v[43:44], s[20:21], v[23:24]
	v_add_f64 v[14:15], v[45:46], v[14:15]
	s_delay_alu instid0(VALU_DEP_1) | instskip(NEXT) | instid1(VALU_DEP_1)
	v_add_f64 v[14:15], v[14:15], -v[23:24]
	v_fma_f64 v[23:24], v[43:44], s[28:29], v[14:15]
	s_delay_alu instid0(VALU_DEP_1) | instskip(NEXT) | instid1(VALU_DEP_1)
	v_add_f64 v[14:15], v[47:48], v[23:24]
	v_add_f64 v[45:46], v[14:15], -v[47:48]
	s_delay_alu instid0(VALU_DEP_1)
	v_add_f64 v[23:24], v[23:24], -v[45:46]
.LBB132_232:                            ;   in Loop: Header=BB132_185 Depth=1
	s_or_b32 exec_lo, exec_lo, s3
	s_delay_alu instid0(VALU_DEP_3) | instskip(SKIP_1) | instid1(VALU_DEP_3)
	v_mul_f64 v[43:44], v[6:7], v[6:7]
	v_mul_f64 v[45:46], v[14:15], v[14:15]
	v_mul_f64 v[63:64], v[8:9], 0.5
	s_delay_alu instid0(VALU_DEP_4) | instskip(SKIP_3) | instid1(VALU_DEP_1)
	v_mul_f64 v[69:70], v[23:24], 0.5
	s_mov_b32 s82, s54
	v_cmp_class_f64_e64 s4, v[16:17], 0x1f8
	v_lshlrev_b32_e32 v16, 30, v26
	v_xor_b32_e32 v16, v16, v17
	s_delay_alu instid0(VALU_DEP_1)
	v_and_b32_e32 v16, 0x80000000, v16
	v_fma_f64 v[47:48], v[43:44], s[72:73], s[70:71]
	v_fma_f64 v[49:50], v[45:46], s[72:73], s[70:71]
	v_mul_f64 v[53:54], v[43:44], 0.5
	v_fma_f64 v[51:52], v[43:44], s[62:63], s[60:61]
	v_fma_f64 v[55:56], v[45:46], s[62:63], s[60:61]
	v_mul_f64 v[57:58], v[45:46], 0.5
	v_mul_f64 v[65:66], v[6:7], -v[43:44]
	v_mul_f64 v[71:72], v[14:15], -v[45:46]
	v_fma_f64 v[47:48], v[43:44], v[47:48], s[74:75]
	v_fma_f64 v[49:50], v[45:46], v[49:50], s[74:75]
	v_add_f64 v[59:60], -v[53:54], 1.0
	v_fma_f64 v[51:52], v[43:44], v[51:52], s[64:65]
	v_fma_f64 v[55:56], v[45:46], v[55:56], s[64:65]
	v_add_f64 v[61:62], -v[57:58], 1.0
	;; [unrolled: 3-line block ×4, first 2 shown]
	v_fma_f64 v[47:48], v[43:44], v[47:48], s[50:51]
	v_fma_f64 v[49:50], v[45:46], v[49:50], s[50:51]
	v_add_f64 v[53:54], v[67:68], -v[53:54]
	v_fma_f64 v[51:52], v[43:44], v[51:52], s[68:69]
	v_fma_f64 v[55:56], v[45:46], v[55:56], s[68:69]
	v_add_f64 v[57:58], v[73:74], -v[57:58]
	v_fma_f64 v[47:48], v[65:66], v[47:48], v[63:64]
	v_fma_f64 v[49:50], v[71:72], v[49:50], v[69:70]
	v_fma_f64 v[53:54], v[6:7], -v[8:9], v[53:54]
	v_mul_f64 v[63:64], v[43:44], v[43:44]
	v_fma_f64 v[51:52], v[43:44], v[51:52], s[54:55]
	v_fma_f64 v[8:9], v[43:44], v[47:48], -v[8:9]
	v_mul_f64 v[43:44], v[45:46], v[45:46]
	v_fma_f64 v[47:48], v[45:46], v[55:56], s[54:55]
	v_fma_f64 v[55:56], v[14:15], -v[23:24], v[57:58]
	v_fma_f64 v[23:24], v[45:46], v[49:50], -v[23:24]
	v_fma_f64 v[45:46], v[63:64], v[51:52], v[53:54]
	v_fma_f64 v[8:9], v[65:66], s[82:83], v[8:9]
	s_delay_alu instid0(VALU_DEP_4) | instskip(NEXT) | instid1(VALU_DEP_4)
	v_fma_f64 v[43:44], v[43:44], v[47:48], v[55:56]
	v_fma_f64 v[23:24], v[71:72], s[82:83], v[23:24]
	s_delay_alu instid0(VALU_DEP_4) | instskip(NEXT) | instid1(VALU_DEP_4)
	v_add_f64 v[45:46], v[59:60], v[45:46]
	v_add_f64 v[6:7], v[6:7], -v[8:9]
	s_delay_alu instid0(VALU_DEP_4) | instskip(NEXT) | instid1(VALU_DEP_4)
	v_add_f64 v[8:9], v[61:62], v[43:44]
	v_add_f64 v[14:15], v[14:15], -v[23:24]
	v_and_b32_e32 v23, 1, v25
	v_lshlrev_b32_e32 v24, 30, v25
	s_delay_alu instid0(VALU_DEP_2) | instskip(SKIP_1) | instid1(VALU_DEP_3)
	v_cmp_eq_u32_e64 s3, 0, v23
	v_and_b32_e32 v23, 1, v26
	v_and_b32_e32 v17, 0x80000000, v24
	s_delay_alu instid0(VALU_DEP_2) | instskip(SKIP_2) | instid1(VALU_DEP_3)
	v_cmp_eq_u32_e64 s5, 0, v23
	v_xor_b32_e32 v7, 0x80000000, v7
	v_cndmask_b32_e64 v6, v6, v45, s3
	v_cndmask_b32_e64 v9, v9, v15, s5
	s_delay_alu instid0(VALU_DEP_3) | instskip(SKIP_1) | instid1(VALU_DEP_4)
	v_cndmask_b32_e64 v7, v7, v46, s3
	v_cndmask_b32_e64 v8, v8, v14, s5
	v_cndmask_b32_e64 v6, 0, v6, s4
	s_delay_alu instid0(VALU_DEP_4) | instskip(NEXT) | instid1(VALU_DEP_4)
	v_xor_b32_e32 v9, v9, v16
	v_xor_b32_e32 v7, v7, v17
	s_delay_alu instid0(VALU_DEP_4) | instskip(NEXT) | instid1(VALU_DEP_3)
	v_cndmask_b32_e64 v8, 0, v8, s4
	v_cndmask_b32_e64 v9, 0x7ff80000, v9, s4
	s_delay_alu instid0(VALU_DEP_3)
	v_cndmask_b32_e64 v7, 0x7ff80000, v7, s4
.LBB132_233:                            ;   in Loop: Header=BB132_185 Depth=1
	s_or_b32 exec_lo, exec_lo, s6
                                        ; implicit-def: $vgpr14_vgpr15
.LBB132_234:                            ;   in Loop: Header=BB132_185 Depth=1
	s_and_not1_saveexec_b32 s5, s13
	s_cbranch_execz .LBB132_236
; %bb.235:                              ;   in Loop: Header=BB132_185 Depth=1
	v_mul_f64 v[6:7], v[14:15], s[30:31]
	s_mov_b32 s53, s51
	s_mov_b32 s81, s55
	v_cmp_nlt_f64_e64 s3, 0x40900000, v[14:15]
	v_cmp_ngt_f64_e64 s4, 0xc090cc00, v[14:15]
	s_delay_alu instid0(VALU_DEP_3) | instskip(NEXT) | instid1(VALU_DEP_1)
	v_rndne_f64_e32 v[6:7], v[6:7]
	v_fma_f64 v[8:9], v[6:7], s[34:35], v[14:15]
	v_cvt_i32_f64_e32 v25, v[6:7]
	s_delay_alu instid0(VALU_DEP_2) | instskip(NEXT) | instid1(VALU_DEP_1)
	v_fma_f64 v[8:9], v[6:7], s[36:37], v[8:9]
	v_fma_f64 v[23:24], v[8:9], s[40:41], s[38:39]
	s_delay_alu instid0(VALU_DEP_1) | instskip(NEXT) | instid1(VALU_DEP_1)
	v_fma_f64 v[23:24], v[8:9], v[23:24], s[42:43]
	v_fma_f64 v[23:24], v[8:9], v[23:24], s[44:45]
	s_delay_alu instid0(VALU_DEP_1) | instskip(NEXT) | instid1(VALU_DEP_1)
	;; [unrolled: 3-line block ×5, first 2 shown]
	v_fma_f64 v[23:24], v[8:9], v[23:24], 1.0
	v_fma_f64 v[6:7], v[8:9], v[23:24], 1.0
	v_dual_mov_b32 v8, v16 :: v_dual_mov_b32 v9, v17
	s_delay_alu instid0(VALU_DEP_2) | instskip(NEXT) | instid1(VALU_DEP_1)
	v_ldexp_f64 v[6:7], v[6:7], v25
	v_cndmask_b32_e64 v7, 0x7ff00000, v7, s3
	s_and_b32 s3, s4, s3
	s_delay_alu instid0(VALU_DEP_2) | instid1(SALU_CYCLE_1)
	v_cndmask_b32_e64 v6, 0, v6, s3
	s_delay_alu instid0(VALU_DEP_2)
	v_cndmask_b32_e64 v7, 0, v7, s4
.LBB132_236:                            ;   in Loop: Header=BB132_185 Depth=1
	s_or_b32 exec_lo, exec_lo, s5
	v_and_b32_e32 v43, 0x7fffffff, v21
                                        ; implicit-def: $vgpr16_vgpr17
	s_mov_b32 s4, exec_lo
	s_delay_alu instid0(VALU_DEP_1) | instskip(NEXT) | instid1(VALU_DEP_1)
	v_or_b32_e32 v14, v43, v20
	v_cmpx_ne_u32_e32 0, v14
	s_xor_b32 s13, exec_lo, s4
	s_cbranch_execz .LBB132_279
; %bb.237:                              ;   in Loop: Header=BB132_185 Depth=1
	v_and_b32_e32 v23, 0x7fffffff, v19
                                        ; implicit-def: $vgpr16_vgpr17
	s_mov_b32 s4, exec_lo
	s_delay_alu instid0(VALU_DEP_1) | instskip(NEXT) | instid1(VALU_DEP_1)
	v_or_b32_e32 v14, v23, v18
	v_cmpx_ne_u32_e32 0, v14
	s_xor_b32 s90, exec_lo, s4
	s_cbranch_execz .LBB132_268
; %bb.238:                              ;   in Loop: Header=BB132_185 Depth=1
                                        ; implicit-def: $vgpr16_vgpr17
	s_mov_b32 s4, exec_lo
	v_cmpx_gt_u32_e32 0x7ff00000, v43
	s_xor_b32 s91, exec_lo, s4
	s_cbranch_execz .LBB132_261
; %bb.239:                              ;   in Loop: Header=BB132_185 Depth=1
	v_add_nc_u32_e32 v14, 0xbf79d1be, v19
                                        ; implicit-def: $vgpr16_vgpr17
	s_mov_b32 s4, exec_lo
	s_delay_alu instid0(VALU_DEP_1)
	v_cmpx_lt_u32_e32 0x108aa2, v14
	s_xor_b32 s92, exec_lo, s4
	s_cbranch_execz .LBB132_250
; %bb.240:                              ;   in Loop: Header=BB132_185 Depth=1
	v_cmp_ngt_f64_e64 s5, 0x41d00000, |v[20:21]|
                                        ; implicit-def: $vgpr44
                                        ; implicit-def: $vgpr14_vgpr15
                                        ; implicit-def: $vgpr16_vgpr17
	s_delay_alu instid0(VALU_DEP_1) | instskip(NEXT) | instid1(SALU_CYCLE_1)
	s_and_saveexec_b32 s3, s5
	s_xor_b32 s6, exec_lo, s3
	s_cbranch_execz .LBB132_243
; %bb.241:                              ;   in Loop: Header=BB132_185 Depth=1
	v_ldexp_f64 v[14:15], |v[20:21]|, 0xffffff80
	v_cmp_le_f64_e64 s3, 0x7b000000, |v[20:21]|
	v_trig_preop_f64 v[16:17], |v[20:21]|, 0
	v_trig_preop_f64 v[23:24], |v[20:21]|, 1
	;; [unrolled: 1-line block ×3, first 2 shown]
	s_mov_b32 s16, s18
	s_mov_b32 s23, s21
	s_delay_alu instid0(VALU_DEP_4) | instskip(SKIP_1) | instid1(VALU_DEP_1)
	v_cndmask_b32_e64 v15, v43, v15, s3
	v_cndmask_b32_e64 v14, v20, v14, s3
	v_mul_f64 v[25:26], v[16:17], v[14:15]
	v_mul_f64 v[44:45], v[23:24], v[14:15]
	v_mul_f64 v[56:57], v[50:51], v[14:15]
	s_delay_alu instid0(VALU_DEP_3) | instskip(NEXT) | instid1(VALU_DEP_3)
	v_fma_f64 v[16:17], v[16:17], v[14:15], -v[25:26]
	v_fma_f64 v[58:59], v[23:24], v[14:15], -v[44:45]
	s_delay_alu instid0(VALU_DEP_3) | instskip(NEXT) | instid1(VALU_DEP_3)
	v_fma_f64 v[14:15], v[50:51], v[14:15], -v[56:57]
	v_add_f64 v[46:47], v[44:45], v[16:17]
	s_delay_alu instid0(VALU_DEP_1) | instskip(SKIP_1) | instid1(VALU_DEP_2)
	v_add_f64 v[48:49], v[46:47], -v[44:45]
	v_add_f64 v[54:55], v[25:26], v[46:47]
	v_add_f64 v[52:53], v[46:47], -v[48:49]
	v_add_f64 v[16:17], v[16:17], -v[48:49]
	v_add_f64 v[48:49], v[56:57], v[58:59]
	s_delay_alu instid0(VALU_DEP_4) | instskip(NEXT) | instid1(VALU_DEP_4)
	v_add_f64 v[25:26], v[54:55], -v[25:26]
	v_add_f64 v[23:24], v[44:45], -v[52:53]
	v_ldexp_f64 v[44:45], v[54:55], -2
	s_delay_alu instid0(VALU_DEP_3) | instskip(NEXT) | instid1(VALU_DEP_3)
	v_add_f64 v[25:26], v[46:47], -v[25:26]
	v_add_f64 v[16:17], v[16:17], v[23:24]
	s_delay_alu instid0(VALU_DEP_3) | instskip(SKIP_1) | instid1(VALU_DEP_3)
	v_fract_f64_e32 v[23:24], v[44:45]
	v_cmp_neq_f64_e64 s3, 0x7ff00000, |v[44:45]|
	v_add_f64 v[44:45], v[48:49], v[16:17]
	s_delay_alu instid0(VALU_DEP_2) | instskip(NEXT) | instid1(VALU_DEP_4)
	v_cndmask_b32_e64 v24, 0, v24, s3
	v_cndmask_b32_e64 v23, 0, v23, s3
	s_delay_alu instid0(VALU_DEP_1) | instskip(NEXT) | instid1(VALU_DEP_4)
	v_ldexp_f64 v[46:47], v[23:24], 2
	v_add_f64 v[52:53], v[25:26], v[44:45]
	v_add_f64 v[54:55], v[44:45], -v[48:49]
	s_delay_alu instid0(VALU_DEP_2) | instskip(NEXT) | instid1(VALU_DEP_2)
	v_add_f64 v[23:24], v[52:53], v[46:47]
	v_add_f64 v[64:65], v[44:45], -v[54:55]
	v_add_f64 v[16:17], v[16:17], -v[54:55]
	;; [unrolled: 1-line block ×3, first 2 shown]
	s_delay_alu instid0(VALU_DEP_4) | instskip(NEXT) | instid1(VALU_DEP_2)
	v_cmp_gt_f64_e64 s3, 0, v[23:24]
	v_add_f64 v[25:26], v[44:45], -v[25:26]
	s_delay_alu instid0(VALU_DEP_2) | instskip(NEXT) | instid1(VALU_DEP_1)
	v_cndmask_b32_e64 v23, 0, 0x40100000, s3
	v_add_f64 v[23:24], v[46:47], v[22:23]
	v_add_f64 v[46:47], v[48:49], -v[56:57]
	s_delay_alu instid0(VALU_DEP_2) | instskip(NEXT) | instid1(VALU_DEP_2)
	v_add_f64 v[60:61], v[52:53], v[23:24]
	v_add_f64 v[62:63], v[48:49], -v[46:47]
	v_add_f64 v[46:47], v[58:59], -v[46:47]
	;; [unrolled: 1-line block ×3, first 2 shown]
	s_delay_alu instid0(VALU_DEP_4) | instskip(NEXT) | instid1(VALU_DEP_4)
	v_cvt_i32_f64_e32 v60, v[60:61]
	v_add_f64 v[58:59], v[56:57], -v[62:63]
	s_delay_alu instid0(VALU_DEP_3) | instskip(NEXT) | instid1(VALU_DEP_3)
	v_add_f64 v[16:17], v[16:17], v[48:49]
	v_cvt_f64_i32_e32 v[54:55], v60
	s_delay_alu instid0(VALU_DEP_3) | instskip(NEXT) | instid1(VALU_DEP_2)
	v_add_f64 v[46:47], v[46:47], v[58:59]
	v_add_f64 v[23:24], v[23:24], -v[54:55]
	s_delay_alu instid0(VALU_DEP_2) | instskip(NEXT) | instid1(VALU_DEP_2)
	v_add_f64 v[16:17], v[46:47], v[16:17]
	v_add_f64 v[46:47], v[52:53], v[23:24]
	s_delay_alu instid0(VALU_DEP_2) | instskip(NEXT) | instid1(VALU_DEP_2)
	v_add_f64 v[14:15], v[14:15], v[16:17]
	v_add_f64 v[16:17], v[46:47], -v[23:24]
	v_cmp_le_f64_e64 s3, 0.5, v[46:47]
	s_delay_alu instid0(VALU_DEP_3) | instskip(NEXT) | instid1(VALU_DEP_3)
	v_add_f64 v[14:15], v[25:26], v[14:15]
	v_add_f64 v[16:17], v[52:53], -v[16:17]
	s_delay_alu instid0(VALU_DEP_3) | instskip(SKIP_1) | instid1(VALU_DEP_3)
	v_cndmask_b32_e64 v23, 0, 0x3ff00000, s3
	v_add_co_ci_u32_e64 v44, s4, 0, v60, s3
	v_add_f64 v[14:15], v[14:15], v[16:17]
	s_delay_alu instid0(VALU_DEP_3) | instskip(NEXT) | instid1(VALU_DEP_1)
	v_add_f64 v[16:17], v[46:47], -v[22:23]
	v_add_f64 v[23:24], v[16:17], v[14:15]
	s_delay_alu instid0(VALU_DEP_1) | instskip(SKIP_1) | instid1(VALU_DEP_2)
	v_mul_f64 v[25:26], v[23:24], s[16:17]
	v_add_f64 v[16:17], v[23:24], -v[16:17]
	v_fma_f64 v[45:46], v[23:24], s[16:17], -v[25:26]
	s_delay_alu instid0(VALU_DEP_2) | instskip(NEXT) | instid1(VALU_DEP_2)
	v_add_f64 v[14:15], v[14:15], -v[16:17]
	v_fma_f64 v[16:17], v[23:24], s[22:23], v[45:46]
	s_delay_alu instid0(VALU_DEP_1) | instskip(NEXT) | instid1(VALU_DEP_1)
	v_fma_f64 v[16:17], v[14:15], s[16:17], v[16:17]
	v_add_f64 v[14:15], v[25:26], v[16:17]
	s_delay_alu instid0(VALU_DEP_1) | instskip(NEXT) | instid1(VALU_DEP_1)
	v_add_f64 v[23:24], v[14:15], -v[25:26]
	v_add_f64 v[16:17], v[16:17], -v[23:24]
	s_and_not1_saveexec_b32 s3, s6
	s_cbranch_execz .LBB132_245
	s_branch .LBB132_244
.LBB132_242:                            ;   in Loop: Header=BB132_185 Depth=1
	s_or_b32 exec_lo, exec_lo, s92
                                        ; implicit-def: $vgpr14_vgpr15
                                        ; implicit-def: $vgpr23
	s_and_not1_saveexec_b32 s5, s91
	s_cbranch_execnz .LBB132_217
	s_branch .LBB132_222
.LBB132_243:                            ;   in Loop: Header=BB132_185 Depth=1
	s_and_not1_saveexec_b32 s3, s6
	s_cbranch_execz .LBB132_245
.LBB132_244:                            ;   in Loop: Header=BB132_185 Depth=1
	v_mul_f64 v[14:15], |v[20:21]|, s[24:25]
	s_mov_b32 s20, s26
	s_delay_alu instid0(VALU_DEP_1) | instskip(NEXT) | instid1(VALU_DEP_1)
	v_rndne_f64_e32 v[23:24], v[14:15]
	v_fma_f64 v[14:15], v[23:24], s[18:19], |v[20:21]|
	v_mul_f64 v[16:17], v[23:24], s[26:27]
	s_delay_alu instid0(VALU_DEP_2) | instskip(NEXT) | instid1(VALU_DEP_2)
	v_fma_f64 v[44:45], v[23:24], s[26:27], v[14:15]
	v_add_f64 v[25:26], v[14:15], v[16:17]
	s_delay_alu instid0(VALU_DEP_1) | instskip(NEXT) | instid1(VALU_DEP_3)
	v_add_f64 v[14:15], v[14:15], -v[25:26]
	v_add_f64 v[25:26], v[25:26], -v[44:45]
	s_delay_alu instid0(VALU_DEP_2) | instskip(SKIP_1) | instid1(VALU_DEP_2)
	v_add_f64 v[14:15], v[14:15], v[16:17]
	v_fma_f64 v[16:17], v[23:24], s[20:21], v[16:17]
	v_add_f64 v[14:15], v[25:26], v[14:15]
	s_delay_alu instid0(VALU_DEP_1) | instskip(NEXT) | instid1(VALU_DEP_1)
	v_add_f64 v[14:15], v[14:15], -v[16:17]
	v_fma_f64 v[16:17], v[23:24], s[28:29], v[14:15]
	s_delay_alu instid0(VALU_DEP_1) | instskip(NEXT) | instid1(VALU_DEP_1)
	v_add_f64 v[14:15], v[44:45], v[16:17]
	v_add_f64 v[25:26], v[14:15], -v[44:45]
	v_cvt_i32_f64_e32 v44, v[23:24]
	s_delay_alu instid0(VALU_DEP_2)
	v_add_f64 v[16:17], v[16:17], -v[25:26]
.LBB132_245:                            ;   in Loop: Header=BB132_185 Depth=1
	s_or_b32 exec_lo, exec_lo, s3
                                        ; implicit-def: $vgpr45
                                        ; implicit-def: $vgpr23_vgpr24
                                        ; implicit-def: $vgpr25_vgpr26
	s_and_saveexec_b32 s3, s5
	s_delay_alu instid0(SALU_CYCLE_1)
	s_xor_b32 s5, exec_lo, s3
	s_cbranch_execz .LBB132_247
; %bb.246:                              ;   in Loop: Header=BB132_185 Depth=1
	v_ldexp_f64 v[23:24], |v[20:21]|, 0xffffff80
	v_cmp_le_f64_e64 s3, 0x7b000000, |v[20:21]|
	v_trig_preop_f64 v[25:26], |v[20:21]|, 0
	v_trig_preop_f64 v[55:56], |v[20:21]|, 2
	s_mov_b32 s16, s18
	s_mov_b32 s23, s21
	s_delay_alu instid0(VALU_DEP_3) | instskip(SKIP_2) | instid1(VALU_DEP_2)
	v_cndmask_b32_e64 v46, v43, v24, s3
	v_cndmask_b32_e64 v45, v20, v23, s3
	v_trig_preop_f64 v[23:24], |v[20:21]|, 1
	v_mul_f64 v[47:48], v[25:26], v[45:46]
	v_mul_f64 v[61:62], v[55:56], v[45:46]
	s_delay_alu instid0(VALU_DEP_3) | instskip(NEXT) | instid1(VALU_DEP_3)
	v_mul_f64 v[49:50], v[23:24], v[45:46]
	v_fma_f64 v[25:26], v[25:26], v[45:46], -v[47:48]
	s_delay_alu instid0(VALU_DEP_2) | instskip(NEXT) | instid1(VALU_DEP_4)
	v_fma_f64 v[63:64], v[23:24], v[45:46], -v[49:50]
	v_fma_f64 v[45:46], v[55:56], v[45:46], -v[61:62]
	s_delay_alu instid0(VALU_DEP_3) | instskip(NEXT) | instid1(VALU_DEP_1)
	v_add_f64 v[51:52], v[49:50], v[25:26]
	v_add_f64 v[53:54], v[51:52], -v[49:50]
	v_add_f64 v[59:60], v[47:48], v[51:52]
	s_delay_alu instid0(VALU_DEP_2) | instskip(SKIP_2) | instid1(VALU_DEP_4)
	v_add_f64 v[57:58], v[51:52], -v[53:54]
	v_add_f64 v[23:24], v[25:26], -v[53:54]
	v_add_f64 v[53:54], v[61:62], v[63:64]
	v_add_f64 v[47:48], v[59:60], -v[47:48]
	s_delay_alu instid0(VALU_DEP_4) | instskip(SKIP_1) | instid1(VALU_DEP_3)
	v_add_f64 v[25:26], v[49:50], -v[57:58]
	v_ldexp_f64 v[49:50], v[59:60], -2
	v_add_f64 v[47:48], v[51:52], -v[47:48]
	s_delay_alu instid0(VALU_DEP_3) | instskip(NEXT) | instid1(VALU_DEP_3)
	v_add_f64 v[24:25], v[23:24], v[25:26]
	v_fract_f64_e32 v[57:58], v[49:50]
	v_cmp_neq_f64_e64 s3, 0x7ff00000, |v[49:50]|
	s_delay_alu instid0(VALU_DEP_3) | instskip(NEXT) | instid1(VALU_DEP_2)
	v_add_f64 v[49:50], v[53:54], v[24:25]
	v_cndmask_b32_e64 v52, 0, v58, s3
	s_delay_alu instid0(VALU_DEP_4) | instskip(NEXT) | instid1(VALU_DEP_1)
	v_cndmask_b32_e64 v51, 0, v57, s3
	v_ldexp_f64 v[51:52], v[51:52], 2
	s_delay_alu instid0(VALU_DEP_4) | instskip(SKIP_1) | instid1(VALU_DEP_2)
	v_add_f64 v[57:58], v[47:48], v[49:50]
	v_add_f64 v[65:66], v[49:50], -v[53:54]
	v_add_f64 v[59:60], v[57:58], v[51:52]
	s_delay_alu instid0(VALU_DEP_2) | instskip(SKIP_1) | instid1(VALU_DEP_3)
	v_add_f64 v[71:72], v[49:50], -v[65:66]
	v_add_f64 v[47:48], v[57:58], -v[47:48]
	v_cmp_gt_f64_e64 s3, 0, v[59:60]
	v_add_f64 v[59:60], v[53:54], -v[61:62]
	s_delay_alu instid0(VALU_DEP_3) | instskip(NEXT) | instid1(VALU_DEP_3)
	v_add_f64 v[47:48], v[49:50], -v[47:48]
	v_cndmask_b32_e64 v23, 0, 0x40100000, s3
	s_delay_alu instid0(VALU_DEP_3) | instskip(SKIP_1) | instid1(VALU_DEP_3)
	v_add_f64 v[69:70], v[53:54], -v[59:60]
	v_add_f64 v[59:60], v[63:64], -v[59:60]
	v_add_f64 v[51:52], v[51:52], v[22:23]
	v_add_f64 v[23:24], v[24:25], -v[65:66]
	v_add_f64 v[25:26], v[53:54], -v[71:72]
	;; [unrolled: 1-line block ×3, first 2 shown]
	s_delay_alu instid0(VALU_DEP_4) | instskip(NEXT) | instid1(VALU_DEP_3)
	v_add_f64 v[67:68], v[57:58], v[51:52]
	v_add_f64 v[23:24], v[23:24], v[25:26]
	s_delay_alu instid0(VALU_DEP_3) | instskip(NEXT) | instid1(VALU_DEP_3)
	v_add_f64 v[59:60], v[59:60], v[63:64]
	v_cvt_i32_f64_e32 v43, v[67:68]
	s_delay_alu instid0(VALU_DEP_2) | instskip(NEXT) | instid1(VALU_DEP_2)
	v_add_f64 v[23:24], v[59:60], v[23:24]
	v_cvt_f64_i32_e32 v[53:54], v43
	s_delay_alu instid0(VALU_DEP_2) | instskip(NEXT) | instid1(VALU_DEP_2)
	v_add_f64 v[23:24], v[45:46], v[23:24]
	v_add_f64 v[25:26], v[51:52], -v[53:54]
	s_delay_alu instid0(VALU_DEP_2) | instskip(NEXT) | instid1(VALU_DEP_2)
	v_add_f64 v[46:47], v[47:48], v[23:24]
	v_add_f64 v[51:52], v[57:58], v[25:26]
	s_delay_alu instid0(VALU_DEP_1) | instskip(SKIP_1) | instid1(VALU_DEP_2)
	v_add_f64 v[25:26], v[51:52], -v[25:26]
	v_cmp_le_f64_e64 s3, 0.5, v[51:52]
	v_add_f64 v[24:25], v[57:58], -v[25:26]
	s_delay_alu instid0(VALU_DEP_2) | instskip(SKIP_1) | instid1(VALU_DEP_3)
	v_cndmask_b32_e64 v23, 0, 0x3ff00000, s3
	v_add_co_ci_u32_e64 v45, s4, 0, v43, s3
	v_add_f64 v[24:25], v[46:47], v[24:25]
	s_delay_alu instid0(VALU_DEP_3) | instskip(NEXT) | instid1(VALU_DEP_1)
	v_add_f64 v[46:47], v[51:52], -v[22:23]
	v_add_f64 v[48:49], v[46:47], v[24:25]
	s_delay_alu instid0(VALU_DEP_1) | instskip(SKIP_1) | instid1(VALU_DEP_2)
	v_mul_f64 v[50:51], v[48:49], s[16:17]
	v_add_f64 v[46:47], v[48:49], -v[46:47]
	v_fma_f64 v[52:53], v[48:49], s[16:17], -v[50:51]
	s_delay_alu instid0(VALU_DEP_2) | instskip(NEXT) | instid1(VALU_DEP_2)
	v_add_f64 v[23:24], v[24:25], -v[46:47]
	v_fma_f64 v[25:26], v[48:49], s[22:23], v[52:53]
	s_delay_alu instid0(VALU_DEP_1) | instskip(NEXT) | instid1(VALU_DEP_1)
	v_fma_f64 v[25:26], v[23:24], s[16:17], v[25:26]
	v_add_f64 v[23:24], v[50:51], v[25:26]
	s_delay_alu instid0(VALU_DEP_1) | instskip(NEXT) | instid1(VALU_DEP_1)
	v_add_f64 v[46:47], v[23:24], -v[50:51]
	v_add_f64 v[25:26], v[25:26], -v[46:47]
	s_and_not1_saveexec_b32 s3, s5
	s_cbranch_execnz .LBB132_248
	s_branch .LBB132_249
.LBB132_247:                            ;   in Loop: Header=BB132_185 Depth=1
	s_and_not1_saveexec_b32 s3, s5
	s_cbranch_execz .LBB132_249
.LBB132_248:                            ;   in Loop: Header=BB132_185 Depth=1
	v_mul_f64 v[23:24], |v[20:21]|, s[24:25]
	s_mov_b32 s20, s26
	s_delay_alu instid0(VALU_DEP_1) | instskip(NEXT) | instid1(VALU_DEP_1)
	v_rndne_f64_e32 v[45:46], v[23:24]
	v_fma_f64 v[23:24], v[45:46], s[18:19], |v[20:21]|
	v_mul_f64 v[25:26], v[45:46], s[26:27]
	s_delay_alu instid0(VALU_DEP_2) | instskip(NEXT) | instid1(VALU_DEP_2)
	v_fma_f64 v[49:50], v[45:46], s[26:27], v[23:24]
	v_add_f64 v[47:48], v[23:24], v[25:26]
	s_delay_alu instid0(VALU_DEP_1) | instskip(NEXT) | instid1(VALU_DEP_3)
	v_add_f64 v[23:24], v[23:24], -v[47:48]
	v_add_f64 v[47:48], v[47:48], -v[49:50]
	s_delay_alu instid0(VALU_DEP_2) | instskip(SKIP_1) | instid1(VALU_DEP_2)
	v_add_f64 v[23:24], v[23:24], v[25:26]
	v_fma_f64 v[25:26], v[45:46], s[20:21], v[25:26]
	v_add_f64 v[23:24], v[47:48], v[23:24]
	s_delay_alu instid0(VALU_DEP_1) | instskip(NEXT) | instid1(VALU_DEP_1)
	v_add_f64 v[23:24], v[23:24], -v[25:26]
	v_fma_f64 v[25:26], v[45:46], s[28:29], v[23:24]
	v_cvt_i32_f64_e32 v45, v[45:46]
	s_delay_alu instid0(VALU_DEP_2) | instskip(NEXT) | instid1(VALU_DEP_1)
	v_add_f64 v[23:24], v[49:50], v[25:26]
	v_add_f64 v[47:48], v[23:24], -v[49:50]
	s_delay_alu instid0(VALU_DEP_1)
	v_add_f64 v[25:26], v[25:26], -v[47:48]
.LBB132_249:                            ;   in Loop: Header=BB132_185 Depth=1
	s_or_b32 exec_lo, exec_lo, s3
	v_mul_f64 v[46:47], v[18:19], s[30:31]
	v_mul_f64 v[52:53], v[14:15], v[14:15]
	;; [unrolled: 1-line block ×3, first 2 shown]
	s_mov_b32 s53, s51
	s_mov_b32 s81, s55
	s_delay_alu instid0(VALU_DEP_4)
	v_mul_f64 v[72:73], v[16:17], 0.5
	v_mul_f64 v[78:79], v[25:26], 0.5
	s_mov_b32 s82, s54
	v_cmp_nlt_f64_e64 s5, 0x40900000, v[18:19]
	v_cmp_ngt_f64_e64 s6, 0xc090cc00, v[18:19]
	v_cmp_class_f64_e64 s4, v[20:21], 0x1f8
	v_rndne_f64_e32 v[46:47], v[46:47]
	v_fma_f64 v[56:57], v[52:53], s[72:73], s[70:71]
	v_fma_f64 v[58:59], v[54:55], s[72:73], s[70:71]
	v_mul_f64 v[62:63], v[52:53], 0.5
	v_fma_f64 v[60:61], v[52:53], s[62:63], s[60:61]
	v_fma_f64 v[64:65], v[54:55], s[62:63], s[60:61]
	v_mul_f64 v[66:67], v[54:55], 0.5
	v_mul_f64 v[74:75], v[14:15], -v[52:53]
	v_mul_f64 v[80:81], v[23:24], -v[54:55]
	v_fma_f64 v[48:49], v[46:47], s[34:35], v[18:19]
	v_fma_f64 v[56:57], v[52:53], v[56:57], s[74:75]
	;; [unrolled: 1-line block ×3, first 2 shown]
	v_add_f64 v[68:69], -v[62:63], 1.0
	v_fma_f64 v[60:61], v[52:53], v[60:61], s[64:65]
	v_fma_f64 v[64:65], v[54:55], v[64:65], s[64:65]
	v_add_f64 v[70:71], -v[66:67], 1.0
	v_cvt_i32_f64_e32 v43, v[46:47]
	v_and_b32_e32 v19, 1, v45
	v_lshlrev_b32_e32 v18, 30, v44
	s_delay_alu instid0(VALU_DEP_2) | instskip(NEXT) | instid1(VALU_DEP_2)
	v_cmp_eq_u32_e64 s7, 0, v19
	v_and_b32_e32 v18, 0x80000000, v18
	v_fma_f64 v[48:49], v[46:47], s[36:37], v[48:49]
	v_fma_f64 v[56:57], v[52:53], v[56:57], s[76:77]
	;; [unrolled: 1-line block ×3, first 2 shown]
	v_add_f64 v[76:77], -v[68:69], 1.0
	v_fma_f64 v[60:61], v[52:53], v[60:61], s[66:67]
	v_fma_f64 v[64:65], v[54:55], v[64:65], s[66:67]
	v_add_f64 v[82:83], -v[70:71], 1.0
	v_fma_f64 v[50:51], v[48:49], s[40:41], s[38:39]
	v_fma_f64 v[56:57], v[52:53], v[56:57], s[50:51]
	;; [unrolled: 1-line block ×3, first 2 shown]
	v_add_f64 v[62:63], v[76:77], -v[62:63]
	v_fma_f64 v[60:61], v[52:53], v[60:61], s[68:69]
	v_fma_f64 v[64:65], v[54:55], v[64:65], s[68:69]
	v_add_f64 v[66:67], v[82:83], -v[66:67]
	v_fma_f64 v[50:51], v[48:49], v[50:51], s[42:43]
	v_fma_f64 v[56:57], v[74:75], v[56:57], v[72:73]
	;; [unrolled: 1-line block ×3, first 2 shown]
	v_fma_f64 v[62:63], v[14:15], -v[16:17], v[62:63]
	v_mul_f64 v[72:73], v[52:53], v[52:53]
	v_fma_f64 v[60:61], v[52:53], v[60:61], s[54:55]
	v_fma_f64 v[50:51], v[48:49], v[50:51], s[44:45]
	v_fma_f64 v[16:17], v[52:53], v[56:57], -v[16:17]
	v_mul_f64 v[52:53], v[54:55], v[54:55]
	v_fma_f64 v[56:57], v[54:55], v[64:65], s[54:55]
	v_fma_f64 v[64:65], v[23:24], -v[25:26], v[66:67]
	v_fma_f64 v[25:26], v[54:55], v[58:59], -v[25:26]
	v_fma_f64 v[54:55], v[72:73], v[60:61], v[62:63]
	v_fma_f64 v[50:51], v[48:49], v[50:51], s[46:47]
	;; [unrolled: 1-line block ×3, first 2 shown]
	s_delay_alu instid0(VALU_DEP_4) | instskip(NEXT) | instid1(VALU_DEP_3)
	v_fma_f64 v[25:26], v[80:81], s[82:83], v[25:26]
	v_fma_f64 v[50:51], v[48:49], v[50:51], s[48:49]
	s_delay_alu instid0(VALU_DEP_3) | instskip(NEXT) | instid1(VALU_DEP_3)
	v_add_f64 v[14:15], v[14:15], -v[16:17]
	v_add_f64 v[23:24], v[23:24], -v[25:26]
	v_and_b32_e32 v25, 1, v44
	s_delay_alu instid0(VALU_DEP_1) | instskip(SKIP_2) | instid1(VALU_DEP_2)
	v_cmp_eq_u32_e64 s3, 0, v25
	v_fma_f64 v[50:51], v[48:49], v[50:51], s[52:53]
	v_xor_b32_e32 v15, 0x80000000, v15
	v_fma_f64 v[50:51], v[48:49], v[50:51], s[80:81]
	s_delay_alu instid0(VALU_DEP_1) | instskip(NEXT) | instid1(VALU_DEP_1)
	v_fma_f64 v[50:51], v[48:49], v[50:51], s[56:57]
	v_fma_f64 v[50:51], v[48:49], v[50:51], s[58:59]
	s_delay_alu instid0(VALU_DEP_1) | instskip(NEXT) | instid1(VALU_DEP_1)
	v_fma_f64 v[50:51], v[48:49], v[50:51], 1.0
	v_fma_f64 v[46:47], v[48:49], v[50:51], 1.0
	v_fma_f64 v[48:49], v[52:53], v[56:57], v[64:65]
	v_add_f64 v[50:51], v[68:69], v[54:55]
	s_delay_alu instid0(VALU_DEP_3) | instskip(NEXT) | instid1(VALU_DEP_3)
	v_ldexp_f64 v[16:17], v[46:47], v43
	v_add_f64 v[46:47], v[70:71], v[48:49]
	s_delay_alu instid0(VALU_DEP_3) | instskip(NEXT) | instid1(VALU_DEP_4)
	v_cndmask_b32_e64 v15, v15, v51, s3
	v_cndmask_b32_e64 v14, v14, v50, s3
	s_and_b32 s3, s6, s5
                                        ; implicit-def: $vgpr43
	s_delay_alu instid0(VALU_DEP_2) | instskip(NEXT) | instid1(VALU_DEP_2)
	v_xor_b32_e32 v15, v15, v18
	v_cndmask_b32_e64 v14, 0, v14, s4
	s_delay_alu instid0(VALU_DEP_2) | instskip(SKIP_3) | instid1(VALU_DEP_3)
	v_cndmask_b32_e64 v15, 0x7ff80000, v15, s4
	v_cndmask_b32_e64 v20, 0x7ff00000, v17, s5
	v_lshlrev_b32_e32 v17, 30, v45
	v_cndmask_b32_e64 v19, v46, v23, s7
	v_cndmask_b32_e64 v20, 0, v20, s6
	s_delay_alu instid0(VALU_DEP_3) | instskip(SKIP_1) | instid1(VALU_DEP_2)
	v_xor_b32_e32 v17, v17, v21
	v_cndmask_b32_e64 v21, v47, v24, s7
	v_and_b32_e32 v17, 0x80000000, v17
	s_delay_alu instid0(VALU_DEP_1) | instskip(SKIP_2) | instid1(VALU_DEP_3)
	v_xor_b32_e32 v18, v21, v17
	v_cndmask_b32_e64 v17, 0, v19, s4
	v_cndmask_b32_e64 v19, 0, v16, s3
	;; [unrolled: 1-line block ×3, first 2 shown]
	s_delay_alu instid0(VALU_DEP_2) | instskip(NEXT) | instid1(VALU_DEP_2)
	v_mul_f64 v[14:15], v[19:20], v[14:15]
	v_mul_f64 v[16:17], v[19:20], v[17:18]
                                        ; implicit-def: $vgpr20_vgpr21
.LBB132_250:                            ;   in Loop: Header=BB132_185 Depth=1
	s_and_not1_saveexec_b32 s92, s92
	s_cbranch_execz .LBB132_260
; %bb.251:                              ;   in Loop: Header=BB132_185 Depth=1
	v_cmp_ngt_f64_e64 s5, 0x41d00000, |v[20:21]|
                                        ; implicit-def: $vgpr44
                                        ; implicit-def: $vgpr14_vgpr15
                                        ; implicit-def: $vgpr16_vgpr17
	s_delay_alu instid0(VALU_DEP_1) | instskip(NEXT) | instid1(SALU_CYCLE_1)
	s_and_saveexec_b32 s3, s5
	s_xor_b32 s6, exec_lo, s3
	s_cbranch_execz .LBB132_253
; %bb.252:                              ;   in Loop: Header=BB132_185 Depth=1
	v_ldexp_f64 v[14:15], |v[20:21]|, 0xffffff80
	v_cmp_le_f64_e64 s3, 0x7b000000, |v[20:21]|
	v_trig_preop_f64 v[16:17], |v[20:21]|, 0
	v_trig_preop_f64 v[23:24], |v[20:21]|, 1
	;; [unrolled: 1-line block ×3, first 2 shown]
	s_mov_b32 s16, s18
	s_mov_b32 s23, s21
	s_delay_alu instid0(VALU_DEP_4) | instskip(SKIP_1) | instid1(VALU_DEP_1)
	v_cndmask_b32_e64 v15, v43, v15, s3
	v_cndmask_b32_e64 v14, v20, v14, s3
	v_mul_f64 v[25:26], v[16:17], v[14:15]
	v_mul_f64 v[44:45], v[23:24], v[14:15]
	v_mul_f64 v[56:57], v[50:51], v[14:15]
	s_delay_alu instid0(VALU_DEP_3) | instskip(NEXT) | instid1(VALU_DEP_3)
	v_fma_f64 v[16:17], v[16:17], v[14:15], -v[25:26]
	v_fma_f64 v[58:59], v[23:24], v[14:15], -v[44:45]
	s_delay_alu instid0(VALU_DEP_3) | instskip(NEXT) | instid1(VALU_DEP_3)
	v_fma_f64 v[14:15], v[50:51], v[14:15], -v[56:57]
	v_add_f64 v[46:47], v[44:45], v[16:17]
	s_delay_alu instid0(VALU_DEP_1) | instskip(SKIP_1) | instid1(VALU_DEP_2)
	v_add_f64 v[48:49], v[46:47], -v[44:45]
	v_add_f64 v[54:55], v[25:26], v[46:47]
	v_add_f64 v[52:53], v[46:47], -v[48:49]
	v_add_f64 v[16:17], v[16:17], -v[48:49]
	v_add_f64 v[48:49], v[56:57], v[58:59]
	s_delay_alu instid0(VALU_DEP_4) | instskip(NEXT) | instid1(VALU_DEP_4)
	v_add_f64 v[25:26], v[54:55], -v[25:26]
	v_add_f64 v[23:24], v[44:45], -v[52:53]
	v_ldexp_f64 v[44:45], v[54:55], -2
	s_delay_alu instid0(VALU_DEP_3) | instskip(NEXT) | instid1(VALU_DEP_3)
	v_add_f64 v[25:26], v[46:47], -v[25:26]
	v_add_f64 v[16:17], v[16:17], v[23:24]
	s_delay_alu instid0(VALU_DEP_3) | instskip(SKIP_1) | instid1(VALU_DEP_3)
	v_fract_f64_e32 v[23:24], v[44:45]
	v_cmp_neq_f64_e64 s3, 0x7ff00000, |v[44:45]|
	v_add_f64 v[44:45], v[48:49], v[16:17]
	s_delay_alu instid0(VALU_DEP_2) | instskip(NEXT) | instid1(VALU_DEP_4)
	v_cndmask_b32_e64 v24, 0, v24, s3
	v_cndmask_b32_e64 v23, 0, v23, s3
	s_delay_alu instid0(VALU_DEP_1) | instskip(NEXT) | instid1(VALU_DEP_4)
	v_ldexp_f64 v[46:47], v[23:24], 2
	v_add_f64 v[52:53], v[25:26], v[44:45]
	v_add_f64 v[54:55], v[44:45], -v[48:49]
	s_delay_alu instid0(VALU_DEP_2) | instskip(NEXT) | instid1(VALU_DEP_2)
	v_add_f64 v[23:24], v[52:53], v[46:47]
	v_add_f64 v[64:65], v[44:45], -v[54:55]
	v_add_f64 v[16:17], v[16:17], -v[54:55]
	;; [unrolled: 1-line block ×3, first 2 shown]
	s_delay_alu instid0(VALU_DEP_4) | instskip(NEXT) | instid1(VALU_DEP_2)
	v_cmp_gt_f64_e64 s3, 0, v[23:24]
	v_add_f64 v[25:26], v[44:45], -v[25:26]
	s_delay_alu instid0(VALU_DEP_2) | instskip(NEXT) | instid1(VALU_DEP_1)
	v_cndmask_b32_e64 v23, 0, 0x40100000, s3
	v_add_f64 v[23:24], v[46:47], v[22:23]
	v_add_f64 v[46:47], v[48:49], -v[56:57]
	s_delay_alu instid0(VALU_DEP_2) | instskip(NEXT) | instid1(VALU_DEP_2)
	v_add_f64 v[60:61], v[52:53], v[23:24]
	v_add_f64 v[62:63], v[48:49], -v[46:47]
	v_add_f64 v[46:47], v[58:59], -v[46:47]
	;; [unrolled: 1-line block ×3, first 2 shown]
	s_delay_alu instid0(VALU_DEP_4) | instskip(NEXT) | instid1(VALU_DEP_4)
	v_cvt_i32_f64_e32 v60, v[60:61]
	v_add_f64 v[58:59], v[56:57], -v[62:63]
	s_delay_alu instid0(VALU_DEP_3) | instskip(NEXT) | instid1(VALU_DEP_3)
	v_add_f64 v[16:17], v[16:17], v[48:49]
	v_cvt_f64_i32_e32 v[54:55], v60
	s_delay_alu instid0(VALU_DEP_3) | instskip(NEXT) | instid1(VALU_DEP_2)
	v_add_f64 v[46:47], v[46:47], v[58:59]
	v_add_f64 v[23:24], v[23:24], -v[54:55]
	s_delay_alu instid0(VALU_DEP_2) | instskip(NEXT) | instid1(VALU_DEP_2)
	v_add_f64 v[16:17], v[46:47], v[16:17]
	v_add_f64 v[46:47], v[52:53], v[23:24]
	s_delay_alu instid0(VALU_DEP_2) | instskip(NEXT) | instid1(VALU_DEP_2)
	v_add_f64 v[14:15], v[14:15], v[16:17]
	v_add_f64 v[16:17], v[46:47], -v[23:24]
	v_cmp_le_f64_e64 s3, 0.5, v[46:47]
	s_delay_alu instid0(VALU_DEP_3) | instskip(NEXT) | instid1(VALU_DEP_3)
	v_add_f64 v[14:15], v[25:26], v[14:15]
	v_add_f64 v[16:17], v[52:53], -v[16:17]
	s_delay_alu instid0(VALU_DEP_3) | instskip(SKIP_1) | instid1(VALU_DEP_3)
	v_cndmask_b32_e64 v23, 0, 0x3ff00000, s3
	v_add_co_ci_u32_e64 v44, s4, 0, v60, s3
	v_add_f64 v[14:15], v[14:15], v[16:17]
	s_delay_alu instid0(VALU_DEP_3) | instskip(NEXT) | instid1(VALU_DEP_1)
	v_add_f64 v[16:17], v[46:47], -v[22:23]
	v_add_f64 v[23:24], v[16:17], v[14:15]
	s_delay_alu instid0(VALU_DEP_1) | instskip(SKIP_1) | instid1(VALU_DEP_2)
	v_mul_f64 v[25:26], v[23:24], s[16:17]
	v_add_f64 v[16:17], v[23:24], -v[16:17]
	v_fma_f64 v[45:46], v[23:24], s[16:17], -v[25:26]
	s_delay_alu instid0(VALU_DEP_2) | instskip(NEXT) | instid1(VALU_DEP_2)
	v_add_f64 v[14:15], v[14:15], -v[16:17]
	v_fma_f64 v[16:17], v[23:24], s[22:23], v[45:46]
	s_delay_alu instid0(VALU_DEP_1) | instskip(NEXT) | instid1(VALU_DEP_1)
	v_fma_f64 v[16:17], v[14:15], s[16:17], v[16:17]
	v_add_f64 v[14:15], v[25:26], v[16:17]
	s_delay_alu instid0(VALU_DEP_1) | instskip(NEXT) | instid1(VALU_DEP_1)
	v_add_f64 v[23:24], v[14:15], -v[25:26]
	v_add_f64 v[16:17], v[16:17], -v[23:24]
	s_and_not1_saveexec_b32 s3, s6
	s_cbranch_execz .LBB132_255
	s_branch .LBB132_254
.LBB132_253:                            ;   in Loop: Header=BB132_185 Depth=1
	s_and_not1_saveexec_b32 s3, s6
	s_cbranch_execz .LBB132_255
.LBB132_254:                            ;   in Loop: Header=BB132_185 Depth=1
	v_mul_f64 v[14:15], |v[20:21]|, s[24:25]
	s_mov_b32 s20, s26
	s_delay_alu instid0(VALU_DEP_1) | instskip(NEXT) | instid1(VALU_DEP_1)
	v_rndne_f64_e32 v[23:24], v[14:15]
	v_fma_f64 v[14:15], v[23:24], s[18:19], |v[20:21]|
	v_mul_f64 v[16:17], v[23:24], s[26:27]
	s_delay_alu instid0(VALU_DEP_2) | instskip(NEXT) | instid1(VALU_DEP_2)
	v_fma_f64 v[44:45], v[23:24], s[26:27], v[14:15]
	v_add_f64 v[25:26], v[14:15], v[16:17]
	s_delay_alu instid0(VALU_DEP_1) | instskip(NEXT) | instid1(VALU_DEP_3)
	v_add_f64 v[14:15], v[14:15], -v[25:26]
	v_add_f64 v[25:26], v[25:26], -v[44:45]
	s_delay_alu instid0(VALU_DEP_2) | instskip(SKIP_1) | instid1(VALU_DEP_2)
	v_add_f64 v[14:15], v[14:15], v[16:17]
	v_fma_f64 v[16:17], v[23:24], s[20:21], v[16:17]
	v_add_f64 v[14:15], v[25:26], v[14:15]
	s_delay_alu instid0(VALU_DEP_1) | instskip(NEXT) | instid1(VALU_DEP_1)
	v_add_f64 v[14:15], v[14:15], -v[16:17]
	v_fma_f64 v[16:17], v[23:24], s[28:29], v[14:15]
	s_delay_alu instid0(VALU_DEP_1) | instskip(NEXT) | instid1(VALU_DEP_1)
	v_add_f64 v[14:15], v[44:45], v[16:17]
	v_add_f64 v[25:26], v[14:15], -v[44:45]
	v_cvt_i32_f64_e32 v44, v[23:24]
	s_delay_alu instid0(VALU_DEP_2)
	v_add_f64 v[16:17], v[16:17], -v[25:26]
.LBB132_255:                            ;   in Loop: Header=BB132_185 Depth=1
	s_or_b32 exec_lo, exec_lo, s3
                                        ; implicit-def: $vgpr45
                                        ; implicit-def: $vgpr23_vgpr24
                                        ; implicit-def: $vgpr25_vgpr26
	s_and_saveexec_b32 s3, s5
	s_delay_alu instid0(SALU_CYCLE_1)
	s_xor_b32 s5, exec_lo, s3
	s_cbranch_execz .LBB132_257
; %bb.256:                              ;   in Loop: Header=BB132_185 Depth=1
	v_ldexp_f64 v[23:24], |v[20:21]|, 0xffffff80
	v_cmp_le_f64_e64 s3, 0x7b000000, |v[20:21]|
	v_trig_preop_f64 v[25:26], |v[20:21]|, 0
	v_trig_preop_f64 v[55:56], |v[20:21]|, 2
	s_mov_b32 s16, s18
	s_mov_b32 s23, s21
	s_delay_alu instid0(VALU_DEP_3) | instskip(SKIP_2) | instid1(VALU_DEP_2)
	v_cndmask_b32_e64 v46, v43, v24, s3
	v_cndmask_b32_e64 v45, v20, v23, s3
	v_trig_preop_f64 v[23:24], |v[20:21]|, 1
	v_mul_f64 v[47:48], v[25:26], v[45:46]
	v_mul_f64 v[61:62], v[55:56], v[45:46]
	s_delay_alu instid0(VALU_DEP_3) | instskip(NEXT) | instid1(VALU_DEP_3)
	v_mul_f64 v[49:50], v[23:24], v[45:46]
	v_fma_f64 v[25:26], v[25:26], v[45:46], -v[47:48]
	s_delay_alu instid0(VALU_DEP_2) | instskip(NEXT) | instid1(VALU_DEP_4)
	v_fma_f64 v[63:64], v[23:24], v[45:46], -v[49:50]
	v_fma_f64 v[45:46], v[55:56], v[45:46], -v[61:62]
	s_delay_alu instid0(VALU_DEP_3) | instskip(NEXT) | instid1(VALU_DEP_1)
	v_add_f64 v[51:52], v[49:50], v[25:26]
	v_add_f64 v[53:54], v[51:52], -v[49:50]
	v_add_f64 v[59:60], v[47:48], v[51:52]
	s_delay_alu instid0(VALU_DEP_2) | instskip(SKIP_2) | instid1(VALU_DEP_4)
	v_add_f64 v[57:58], v[51:52], -v[53:54]
	v_add_f64 v[23:24], v[25:26], -v[53:54]
	v_add_f64 v[53:54], v[61:62], v[63:64]
	v_add_f64 v[47:48], v[59:60], -v[47:48]
	s_delay_alu instid0(VALU_DEP_4) | instskip(SKIP_1) | instid1(VALU_DEP_3)
	v_add_f64 v[25:26], v[49:50], -v[57:58]
	v_ldexp_f64 v[49:50], v[59:60], -2
	v_add_f64 v[47:48], v[51:52], -v[47:48]
	s_delay_alu instid0(VALU_DEP_3) | instskip(NEXT) | instid1(VALU_DEP_3)
	v_add_f64 v[24:25], v[23:24], v[25:26]
	v_fract_f64_e32 v[57:58], v[49:50]
	v_cmp_neq_f64_e64 s3, 0x7ff00000, |v[49:50]|
	s_delay_alu instid0(VALU_DEP_3) | instskip(NEXT) | instid1(VALU_DEP_2)
	v_add_f64 v[49:50], v[53:54], v[24:25]
	v_cndmask_b32_e64 v52, 0, v58, s3
	s_delay_alu instid0(VALU_DEP_4) | instskip(NEXT) | instid1(VALU_DEP_1)
	v_cndmask_b32_e64 v51, 0, v57, s3
	v_ldexp_f64 v[51:52], v[51:52], 2
	s_delay_alu instid0(VALU_DEP_4) | instskip(SKIP_1) | instid1(VALU_DEP_2)
	v_add_f64 v[57:58], v[47:48], v[49:50]
	v_add_f64 v[65:66], v[49:50], -v[53:54]
	v_add_f64 v[59:60], v[57:58], v[51:52]
	s_delay_alu instid0(VALU_DEP_2) | instskip(SKIP_1) | instid1(VALU_DEP_3)
	v_add_f64 v[71:72], v[49:50], -v[65:66]
	v_add_f64 v[47:48], v[57:58], -v[47:48]
	v_cmp_gt_f64_e64 s3, 0, v[59:60]
	v_add_f64 v[59:60], v[53:54], -v[61:62]
	s_delay_alu instid0(VALU_DEP_3) | instskip(NEXT) | instid1(VALU_DEP_3)
	v_add_f64 v[47:48], v[49:50], -v[47:48]
	v_cndmask_b32_e64 v23, 0, 0x40100000, s3
	s_delay_alu instid0(VALU_DEP_3) | instskip(SKIP_1) | instid1(VALU_DEP_3)
	v_add_f64 v[69:70], v[53:54], -v[59:60]
	v_add_f64 v[59:60], v[63:64], -v[59:60]
	v_add_f64 v[51:52], v[51:52], v[22:23]
	v_add_f64 v[23:24], v[24:25], -v[65:66]
	v_add_f64 v[25:26], v[53:54], -v[71:72]
	;; [unrolled: 1-line block ×3, first 2 shown]
	s_delay_alu instid0(VALU_DEP_4) | instskip(NEXT) | instid1(VALU_DEP_3)
	v_add_f64 v[67:68], v[57:58], v[51:52]
	v_add_f64 v[23:24], v[23:24], v[25:26]
	s_delay_alu instid0(VALU_DEP_3) | instskip(NEXT) | instid1(VALU_DEP_3)
	v_add_f64 v[59:60], v[59:60], v[63:64]
	v_cvt_i32_f64_e32 v43, v[67:68]
	s_delay_alu instid0(VALU_DEP_2) | instskip(NEXT) | instid1(VALU_DEP_2)
	v_add_f64 v[23:24], v[59:60], v[23:24]
	v_cvt_f64_i32_e32 v[53:54], v43
	s_delay_alu instid0(VALU_DEP_2) | instskip(NEXT) | instid1(VALU_DEP_2)
	v_add_f64 v[23:24], v[45:46], v[23:24]
	v_add_f64 v[25:26], v[51:52], -v[53:54]
	s_delay_alu instid0(VALU_DEP_2) | instskip(NEXT) | instid1(VALU_DEP_2)
	v_add_f64 v[46:47], v[47:48], v[23:24]
	v_add_f64 v[51:52], v[57:58], v[25:26]
	s_delay_alu instid0(VALU_DEP_1) | instskip(SKIP_1) | instid1(VALU_DEP_2)
	v_add_f64 v[25:26], v[51:52], -v[25:26]
	v_cmp_le_f64_e64 s3, 0.5, v[51:52]
	v_add_f64 v[24:25], v[57:58], -v[25:26]
	s_delay_alu instid0(VALU_DEP_2) | instskip(SKIP_1) | instid1(VALU_DEP_3)
	v_cndmask_b32_e64 v23, 0, 0x3ff00000, s3
	v_add_co_ci_u32_e64 v45, s4, 0, v43, s3
	v_add_f64 v[24:25], v[46:47], v[24:25]
	s_delay_alu instid0(VALU_DEP_3) | instskip(NEXT) | instid1(VALU_DEP_1)
	v_add_f64 v[46:47], v[51:52], -v[22:23]
	v_add_f64 v[48:49], v[46:47], v[24:25]
	s_delay_alu instid0(VALU_DEP_1) | instskip(SKIP_1) | instid1(VALU_DEP_2)
	v_mul_f64 v[50:51], v[48:49], s[16:17]
	v_add_f64 v[46:47], v[48:49], -v[46:47]
	v_fma_f64 v[52:53], v[48:49], s[16:17], -v[50:51]
	s_delay_alu instid0(VALU_DEP_2) | instskip(NEXT) | instid1(VALU_DEP_2)
	v_add_f64 v[23:24], v[24:25], -v[46:47]
	v_fma_f64 v[25:26], v[48:49], s[22:23], v[52:53]
	s_delay_alu instid0(VALU_DEP_1) | instskip(NEXT) | instid1(VALU_DEP_1)
	v_fma_f64 v[25:26], v[23:24], s[16:17], v[25:26]
	v_add_f64 v[23:24], v[50:51], v[25:26]
	s_delay_alu instid0(VALU_DEP_1) | instskip(NEXT) | instid1(VALU_DEP_1)
	v_add_f64 v[46:47], v[23:24], -v[50:51]
	v_add_f64 v[25:26], v[25:26], -v[46:47]
	s_and_not1_saveexec_b32 s3, s5
	s_cbranch_execnz .LBB132_258
	s_branch .LBB132_259
.LBB132_257:                            ;   in Loop: Header=BB132_185 Depth=1
	s_and_not1_saveexec_b32 s3, s5
	s_cbranch_execz .LBB132_259
.LBB132_258:                            ;   in Loop: Header=BB132_185 Depth=1
	v_mul_f64 v[23:24], |v[20:21]|, s[24:25]
	s_mov_b32 s20, s26
	s_delay_alu instid0(VALU_DEP_1) | instskip(NEXT) | instid1(VALU_DEP_1)
	v_rndne_f64_e32 v[45:46], v[23:24]
	v_fma_f64 v[23:24], v[45:46], s[18:19], |v[20:21]|
	v_mul_f64 v[25:26], v[45:46], s[26:27]
	s_delay_alu instid0(VALU_DEP_2) | instskip(NEXT) | instid1(VALU_DEP_2)
	v_fma_f64 v[49:50], v[45:46], s[26:27], v[23:24]
	v_add_f64 v[47:48], v[23:24], v[25:26]
	s_delay_alu instid0(VALU_DEP_1) | instskip(NEXT) | instid1(VALU_DEP_3)
	v_add_f64 v[23:24], v[23:24], -v[47:48]
	v_add_f64 v[47:48], v[47:48], -v[49:50]
	s_delay_alu instid0(VALU_DEP_2) | instskip(SKIP_1) | instid1(VALU_DEP_2)
	v_add_f64 v[23:24], v[23:24], v[25:26]
	v_fma_f64 v[25:26], v[45:46], s[20:21], v[25:26]
	v_add_f64 v[23:24], v[47:48], v[23:24]
	s_delay_alu instid0(VALU_DEP_1) | instskip(NEXT) | instid1(VALU_DEP_1)
	v_add_f64 v[23:24], v[23:24], -v[25:26]
	v_fma_f64 v[25:26], v[45:46], s[28:29], v[23:24]
	v_cvt_i32_f64_e32 v45, v[45:46]
	s_delay_alu instid0(VALU_DEP_2) | instskip(NEXT) | instid1(VALU_DEP_1)
	v_add_f64 v[23:24], v[49:50], v[25:26]
	v_add_f64 v[47:48], v[23:24], -v[49:50]
	s_delay_alu instid0(VALU_DEP_1)
	v_add_f64 v[25:26], v[25:26], -v[47:48]
.LBB132_259:                            ;   in Loop: Header=BB132_185 Depth=1
	s_or_b32 exec_lo, exec_lo, s3
	v_add_f64 v[18:19], v[18:19], s[78:79]
	s_delay_alu instid0(VALU_DEP_4) | instskip(SKIP_3) | instid1(VALU_DEP_4)
	v_mul_f64 v[52:53], v[14:15], v[14:15]
	v_mul_f64 v[54:55], v[23:24], v[23:24]
	s_mov_b32 s53, s51
	s_mov_b32 s81, s55
	v_mul_f64 v[72:73], v[16:17], 0.5
	v_mul_f64 v[78:79], v[25:26], 0.5
	s_mov_b32 s82, s54
	v_cmp_class_f64_e64 s4, v[20:21], 0x1f8
	v_and_b32_e32 v20, 1, v45
	s_delay_alu instid0(VALU_DEP_1)
	v_cmp_eq_u32_e64 s7, 0, v20
	v_mul_f64 v[46:47], v[18:19], s[30:31]
	v_fma_f64 v[56:57], v[52:53], s[72:73], s[70:71]
	v_fma_f64 v[58:59], v[54:55], s[72:73], s[70:71]
	v_mul_f64 v[62:63], v[52:53], 0.5
	v_fma_f64 v[60:61], v[52:53], s[62:63], s[60:61]
	v_fma_f64 v[64:65], v[54:55], s[62:63], s[60:61]
	v_mul_f64 v[66:67], v[54:55], 0.5
	v_mul_f64 v[74:75], v[14:15], -v[52:53]
	v_mul_f64 v[80:81], v[23:24], -v[54:55]
	v_cmp_nlt_f64_e64 s5, 0x40900000, v[18:19]
	v_cmp_ngt_f64_e64 s6, 0xc090cc00, v[18:19]
	v_rndne_f64_e32 v[46:47], v[46:47]
	v_fma_f64 v[56:57], v[52:53], v[56:57], s[74:75]
	v_fma_f64 v[58:59], v[54:55], v[58:59], s[74:75]
	v_add_f64 v[68:69], -v[62:63], 1.0
	v_fma_f64 v[60:61], v[52:53], v[60:61], s[64:65]
	v_fma_f64 v[64:65], v[54:55], v[64:65], s[64:65]
	v_add_f64 v[70:71], -v[66:67], 1.0
	v_fma_f64 v[48:49], v[46:47], s[34:35], v[18:19]
	v_fma_f64 v[56:57], v[52:53], v[56:57], s[76:77]
	v_fma_f64 v[58:59], v[54:55], v[58:59], s[76:77]
	v_add_f64 v[76:77], -v[68:69], 1.0
	v_fma_f64 v[60:61], v[52:53], v[60:61], s[66:67]
	v_fma_f64 v[64:65], v[54:55], v[64:65], s[66:67]
	v_add_f64 v[82:83], -v[70:71], 1.0
	v_cvt_i32_f64_e32 v43, v[46:47]
	v_lshlrev_b32_e32 v18, 30, v45
	v_lshlrev_b32_e32 v19, 30, v44
	s_delay_alu instid0(VALU_DEP_2) | instskip(NEXT) | instid1(VALU_DEP_2)
	v_xor_b32_e32 v18, v18, v21
	v_and_b32_e32 v19, 0x80000000, v19
	s_delay_alu instid0(VALU_DEP_2)
	v_and_b32_e32 v18, 0x80000000, v18
	v_fma_f64 v[48:49], v[46:47], s[36:37], v[48:49]
	v_fma_f64 v[56:57], v[52:53], v[56:57], s[50:51]
	;; [unrolled: 1-line block ×3, first 2 shown]
	v_add_f64 v[62:63], v[76:77], -v[62:63]
	v_fma_f64 v[60:61], v[52:53], v[60:61], s[68:69]
	v_fma_f64 v[64:65], v[54:55], v[64:65], s[68:69]
	v_add_f64 v[66:67], v[82:83], -v[66:67]
	v_fma_f64 v[50:51], v[48:49], s[40:41], s[38:39]
	v_fma_f64 v[56:57], v[74:75], v[56:57], v[72:73]
	;; [unrolled: 1-line block ×3, first 2 shown]
	v_fma_f64 v[62:63], v[14:15], -v[16:17], v[62:63]
	v_mul_f64 v[72:73], v[52:53], v[52:53]
	v_fma_f64 v[60:61], v[52:53], v[60:61], s[54:55]
	v_fma_f64 v[50:51], v[48:49], v[50:51], s[42:43]
	v_fma_f64 v[16:17], v[52:53], v[56:57], -v[16:17]
	v_mul_f64 v[52:53], v[54:55], v[54:55]
	v_fma_f64 v[56:57], v[54:55], v[64:65], s[54:55]
	v_fma_f64 v[64:65], v[23:24], -v[25:26], v[66:67]
	v_fma_f64 v[25:26], v[54:55], v[58:59], -v[25:26]
	v_fma_f64 v[54:55], v[72:73], v[60:61], v[62:63]
	v_fma_f64 v[50:51], v[48:49], v[50:51], s[44:45]
	;; [unrolled: 1-line block ×3, first 2 shown]
	s_delay_alu instid0(VALU_DEP_4) | instskip(NEXT) | instid1(VALU_DEP_3)
	v_fma_f64 v[25:26], v[80:81], s[82:83], v[25:26]
	v_fma_f64 v[50:51], v[48:49], v[50:51], s[46:47]
	s_delay_alu instid0(VALU_DEP_3) | instskip(NEXT) | instid1(VALU_DEP_3)
	v_add_f64 v[14:15], v[14:15], -v[16:17]
	v_add_f64 v[23:24], v[23:24], -v[25:26]
	v_and_b32_e32 v25, 1, v44
	s_delay_alu instid0(VALU_DEP_1) | instskip(SKIP_2) | instid1(VALU_DEP_2)
	v_cmp_eq_u32_e64 s3, 0, v25
	v_fma_f64 v[50:51], v[48:49], v[50:51], s[48:49]
	v_xor_b32_e32 v15, 0x80000000, v15
	v_fma_f64 v[50:51], v[48:49], v[50:51], s[52:53]
	s_delay_alu instid0(VALU_DEP_1) | instskip(NEXT) | instid1(VALU_DEP_1)
	v_fma_f64 v[50:51], v[48:49], v[50:51], s[80:81]
	v_fma_f64 v[50:51], v[48:49], v[50:51], s[56:57]
	s_delay_alu instid0(VALU_DEP_1) | instskip(NEXT) | instid1(VALU_DEP_1)
	v_fma_f64 v[50:51], v[48:49], v[50:51], s[58:59]
	v_fma_f64 v[50:51], v[48:49], v[50:51], 1.0
	s_delay_alu instid0(VALU_DEP_1) | instskip(SKIP_2) | instid1(VALU_DEP_3)
	v_fma_f64 v[46:47], v[48:49], v[50:51], 1.0
	v_fma_f64 v[48:49], v[52:53], v[56:57], v[64:65]
	v_add_f64 v[50:51], v[68:69], v[54:55]
	v_ldexp_f64 v[16:17], v[46:47], v43
	s_delay_alu instid0(VALU_DEP_3) | instskip(NEXT) | instid1(VALU_DEP_3)
	v_add_f64 v[46:47], v[70:71], v[48:49]
	v_cndmask_b32_e64 v15, v15, v51, s3
	s_delay_alu instid0(VALU_DEP_4) | instskip(SKIP_1) | instid1(VALU_DEP_2)
	v_cndmask_b32_e64 v14, v14, v50, s3
	s_and_b32 s3, s6, s5
	v_xor_b32_e32 v15, v15, v19
	s_delay_alu instid0(VALU_DEP_2) | instskip(NEXT) | instid1(VALU_DEP_2)
	v_cndmask_b32_e64 v14, 0, v14, s4
	v_cndmask_b32_e64 v15, 0x7ff80000, v15, s4
	;; [unrolled: 1-line block ×6, first 2 shown]
	s_delay_alu instid0(VALU_DEP_4) | instskip(NEXT) | instid1(VALU_DEP_4)
	v_cndmask_b32_e64 v23, 0, v17, s6
	v_xor_b32_e32 v18, v21, v18
	s_delay_alu instid0(VALU_DEP_4) | instskip(NEXT) | instid1(VALU_DEP_3)
	v_cndmask_b32_e64 v17, 0, v20, s4
	v_and_or_b32 v20, v23, s89, 0x7fe00000
	s_delay_alu instid0(VALU_DEP_3) | instskip(NEXT) | instid1(VALU_DEP_2)
	v_cndmask_b32_e64 v18, 0x7ff80000, v18, s4
	v_mul_f64 v[14:15], v[19:20], v[14:15]
	s_delay_alu instid0(VALU_DEP_2) | instskip(SKIP_1) | instid1(VALU_DEP_1)
	v_mul_f64 v[16:17], v[19:20], v[17:18]
	v_lshrrev_b32_e32 v18, 20, v23
	v_add_nc_u32_e32 v18, 0xffffff09, v18
	s_delay_alu instid0(VALU_DEP_1) | instskip(NEXT) | instid1(VALU_DEP_1)
	v_lshrrev_b16 v19, 15, v18
	v_add_nc_u16 v19, v18, v19
	s_delay_alu instid0(VALU_DEP_1) | instskip(NEXT) | instid1(VALU_DEP_1)
	v_ashrrev_i16 v19, 1, v19
	v_bfe_i32 v19, v19, 0, 16
	s_delay_alu instid0(VALU_DEP_1) | instskip(SKIP_2) | instid1(VALU_DEP_2)
	v_lshl_add_u32 v23, v19, 20, 0x3ff00000
	v_sub_nc_u32_e32 v19, v18, v19
	v_mov_b32_e32 v18, v22
	v_lshl_add_u32 v19, v19, 20, 0x3ff00000
	s_delay_alu instid0(VALU_DEP_4) | instskip(SKIP_1) | instid1(VALU_DEP_2)
	v_mul_f64 v[14:15], v[14:15], v[22:23]
	v_mul_f64 v[16:17], v[16:17], v[22:23]
	;; [unrolled: 1-line block ×3, first 2 shown]
	s_delay_alu instid0(VALU_DEP_2)
	v_mul_f64 v[16:17], v[16:17], v[18:19]
.LBB132_260:                            ;   in Loop: Header=BB132_185 Depth=1
	s_or_b32 exec_lo, exec_lo, s92
                                        ; implicit-def: $vgpr18_vgpr19
                                        ; implicit-def: $vgpr23
.LBB132_261:                            ;   in Loop: Header=BB132_185 Depth=1
	s_and_not1_saveexec_b32 s5, s91
	s_cbranch_execz .LBB132_267
; %bb.262:                              ;   in Loop: Header=BB132_185 Depth=1
	v_cmp_ne_u32_e64 s3, 0, v18
	v_cmp_ne_u32_e64 s4, 0x7ff00000, v23
                                        ; implicit-def: $vgpr16_vgpr17
	s_delay_alu instid0(VALU_DEP_1) | instskip(NEXT) | instid1(SALU_CYCLE_1)
	s_or_b32 s3, s3, s4
	s_and_saveexec_b32 s4, s3
	s_delay_alu instid0(SALU_CYCLE_1)
	s_xor_b32 s3, exec_lo, s4
; %bb.263:                              ;   in Loop: Header=BB132_185 Depth=1
	v_add_f64 v[16:17], v[20:21], -v[20:21]
                                        ; implicit-def: $vgpr18_vgpr19
; %bb.264:                              ;   in Loop: Header=BB132_185 Depth=1
	s_or_saveexec_b32 s4, s3
	s_delay_alu instid0(VALU_DEP_1)
	v_dual_mov_b32 v14, v16 :: v_dual_mov_b32 v15, v17
	s_xor_b32 exec_lo, exec_lo, s4
; %bb.265:                              ;   in Loop: Header=BB132_185 Depth=1
	v_add_f64 v[16:17], v[20:21], -v[20:21]
	v_cmp_lt_i64_e64 s3, -1, v[18:19]
	s_delay_alu instid0(VALU_DEP_1) | instskip(SKIP_1) | instid1(VALU_DEP_4)
	v_cndmask_b32_e64 v15, 0, v19, s3
	v_cndmask_b32_e64 v14, 0, v18, s3
	;; [unrolled: 1-line block ×4, first 2 shown]
; %bb.266:                              ;   in Loop: Header=BB132_185 Depth=1
	s_or_b32 exec_lo, exec_lo, s4
.LBB132_267:                            ;   in Loop: Header=BB132_185 Depth=1
	s_delay_alu instid0(SALU_CYCLE_1)
	s_or_b32 exec_lo, exec_lo, s5
                                        ; implicit-def: $vgpr20_vgpr21
                                        ; implicit-def: $vgpr43
.LBB132_268:                            ;   in Loop: Header=BB132_185 Depth=1
	s_and_not1_saveexec_b32 s6, s90
	s_cbranch_execz .LBB132_278
; %bb.269:                              ;   in Loop: Header=BB132_185 Depth=1
	v_cmp_ngt_f64_e64 s5, 0x41d00000, |v[20:21]|
                                        ; implicit-def: $vgpr25
                                        ; implicit-def: $vgpr14_vgpr15
                                        ; implicit-def: $vgpr16_vgpr17
	s_delay_alu instid0(VALU_DEP_1) | instskip(NEXT) | instid1(SALU_CYCLE_1)
	s_and_saveexec_b32 s3, s5
	s_xor_b32 s7, exec_lo, s3
	s_cbranch_execz .LBB132_271
; %bb.270:                              ;   in Loop: Header=BB132_185 Depth=1
	v_ldexp_f64 v[14:15], |v[20:21]|, 0xffffff80
	v_cmp_le_f64_e64 s3, 0x7b000000, |v[20:21]|
	v_trig_preop_f64 v[16:17], |v[20:21]|, 0
	v_trig_preop_f64 v[18:19], |v[20:21]|, 1
	;; [unrolled: 1-line block ×3, first 2 shown]
	s_mov_b32 s16, s18
	s_mov_b32 s23, s21
	s_delay_alu instid0(VALU_DEP_4) | instskip(SKIP_1) | instid1(VALU_DEP_1)
	v_cndmask_b32_e64 v15, v43, v15, s3
	v_cndmask_b32_e64 v14, v20, v14, s3
	v_mul_f64 v[23:24], v[16:17], v[14:15]
	v_mul_f64 v[25:26], v[18:19], v[14:15]
	;; [unrolled: 1-line block ×3, first 2 shown]
	s_delay_alu instid0(VALU_DEP_3) | instskip(NEXT) | instid1(VALU_DEP_3)
	v_fma_f64 v[16:17], v[16:17], v[14:15], -v[23:24]
	v_fma_f64 v[18:19], v[18:19], v[14:15], -v[25:26]
	s_delay_alu instid0(VALU_DEP_3) | instskip(NEXT) | instid1(VALU_DEP_3)
	v_fma_f64 v[14:15], v[48:49], v[14:15], -v[54:55]
	v_add_f64 v[44:45], v[25:26], v[16:17]
	s_delay_alu instid0(VALU_DEP_1) | instskip(SKIP_1) | instid1(VALU_DEP_2)
	v_add_f64 v[46:47], v[44:45], -v[25:26]
	v_add_f64 v[52:53], v[23:24], v[44:45]
	v_add_f64 v[50:51], v[44:45], -v[46:47]
	v_add_f64 v[16:17], v[16:17], -v[46:47]
	s_delay_alu instid0(VALU_DEP_3) | instskip(SKIP_1) | instid1(VALU_DEP_4)
	v_ldexp_f64 v[46:47], v[52:53], -2
	v_add_f64 v[23:24], v[52:53], -v[23:24]
	v_add_f64 v[25:26], v[25:26], -v[50:51]
	v_add_f64 v[50:51], v[54:55], v[18:19]
	s_delay_alu instid0(VALU_DEP_4) | instskip(NEXT) | instid1(VALU_DEP_4)
	v_cmp_neq_f64_e64 s3, 0x7ff00000, |v[46:47]|
	v_add_f64 v[44:45], v[44:45], -v[23:24]
	s_delay_alu instid0(VALU_DEP_4) | instskip(SKIP_1) | instid1(VALU_DEP_2)
	v_add_f64 v[16:17], v[16:17], v[25:26]
	v_fract_f64_e32 v[25:26], v[46:47]
	v_add_f64 v[46:47], v[50:51], v[16:17]
	s_delay_alu instid0(VALU_DEP_2) | instskip(NEXT) | instid1(VALU_DEP_3)
	v_cndmask_b32_e64 v24, 0, v26, s3
	v_cndmask_b32_e64 v23, 0, v25, s3
	s_delay_alu instid0(VALU_DEP_1) | instskip(NEXT) | instid1(VALU_DEP_4)
	v_ldexp_f64 v[24:25], v[23:24], 2
	v_add_f64 v[52:53], v[44:45], v[46:47]
	s_delay_alu instid0(VALU_DEP_1) | instskip(NEXT) | instid1(VALU_DEP_1)
	v_add_f64 v[56:57], v[52:53], v[24:25]
	v_cmp_gt_f64_e64 s3, 0, v[56:57]
	v_add_f64 v[56:57], v[46:47], -v[50:51]
	s_delay_alu instid0(VALU_DEP_2) | instskip(NEXT) | instid1(VALU_DEP_2)
	v_cndmask_b32_e64 v23, 0, 0x40100000, s3
	v_add_f64 v[62:63], v[46:47], -v[56:57]
	v_add_f64 v[16:17], v[16:17], -v[56:57]
	s_delay_alu instid0(VALU_DEP_3) | instskip(SKIP_1) | instid1(VALU_DEP_2)
	v_add_f64 v[23:24], v[24:25], v[22:23]
	v_add_f64 v[25:26], v[50:51], -v[54:55]
	v_add_f64 v[58:59], v[52:53], v[23:24]
	s_delay_alu instid0(VALU_DEP_2) | instskip(SKIP_2) | instid1(VALU_DEP_4)
	v_add_f64 v[60:61], v[50:51], -v[25:26]
	v_add_f64 v[18:19], v[18:19], -v[25:26]
	;; [unrolled: 1-line block ×3, first 2 shown]
	v_cvt_i32_f64_e32 v58, v[58:59]
	s_delay_alu instid0(VALU_DEP_4) | instskip(NEXT) | instid1(VALU_DEP_3)
	v_add_f64 v[25:26], v[54:55], -v[60:61]
	v_add_f64 v[16:17], v[16:17], v[50:51]
	s_delay_alu instid0(VALU_DEP_3) | instskip(NEXT) | instid1(VALU_DEP_3)
	v_cvt_f64_i32_e32 v[56:57], v58
	v_add_f64 v[18:19], v[18:19], v[25:26]
	v_add_f64 v[25:26], v[52:53], -v[44:45]
	s_delay_alu instid0(VALU_DEP_3) | instskip(NEXT) | instid1(VALU_DEP_3)
	v_add_f64 v[23:24], v[23:24], -v[56:57]
	v_add_f64 v[16:17], v[18:19], v[16:17]
	s_delay_alu instid0(VALU_DEP_3) | instskip(NEXT) | instid1(VALU_DEP_3)
	v_add_f64 v[25:26], v[46:47], -v[25:26]
	v_add_f64 v[18:19], v[52:53], v[23:24]
	s_delay_alu instid0(VALU_DEP_3) | instskip(NEXT) | instid1(VALU_DEP_2)
	v_add_f64 v[14:15], v[14:15], v[16:17]
	v_add_f64 v[16:17], v[18:19], -v[23:24]
	v_cmp_le_f64_e64 s3, 0.5, v[18:19]
	s_delay_alu instid0(VALU_DEP_3) | instskip(NEXT) | instid1(VALU_DEP_3)
	v_add_f64 v[14:15], v[25:26], v[14:15]
	v_add_f64 v[16:17], v[52:53], -v[16:17]
	s_delay_alu instid0(VALU_DEP_3) | instskip(SKIP_1) | instid1(VALU_DEP_3)
	v_cndmask_b32_e64 v23, 0, 0x3ff00000, s3
	v_add_co_ci_u32_e64 v25, s4, 0, v58, s3
	v_add_f64 v[14:15], v[14:15], v[16:17]
	s_delay_alu instid0(VALU_DEP_3) | instskip(NEXT) | instid1(VALU_DEP_1)
	v_add_f64 v[16:17], v[18:19], -v[22:23]
	v_add_f64 v[18:19], v[16:17], v[14:15]
	s_delay_alu instid0(VALU_DEP_1) | instskip(SKIP_1) | instid1(VALU_DEP_2)
	v_mul_f64 v[23:24], v[18:19], s[16:17]
	v_add_f64 v[16:17], v[18:19], -v[16:17]
	v_fma_f64 v[44:45], v[18:19], s[16:17], -v[23:24]
	s_delay_alu instid0(VALU_DEP_2) | instskip(NEXT) | instid1(VALU_DEP_2)
	v_add_f64 v[14:15], v[14:15], -v[16:17]
	v_fma_f64 v[16:17], v[18:19], s[22:23], v[44:45]
	s_delay_alu instid0(VALU_DEP_1) | instskip(NEXT) | instid1(VALU_DEP_1)
	v_fma_f64 v[16:17], v[14:15], s[16:17], v[16:17]
	v_add_f64 v[14:15], v[23:24], v[16:17]
	s_delay_alu instid0(VALU_DEP_1) | instskip(NEXT) | instid1(VALU_DEP_1)
	v_add_f64 v[18:19], v[14:15], -v[23:24]
	v_add_f64 v[16:17], v[16:17], -v[18:19]
	s_and_not1_saveexec_b32 s3, s7
	s_cbranch_execz .LBB132_273
	s_branch .LBB132_272
.LBB132_271:                            ;   in Loop: Header=BB132_185 Depth=1
	s_and_not1_saveexec_b32 s3, s7
	s_cbranch_execz .LBB132_273
.LBB132_272:                            ;   in Loop: Header=BB132_185 Depth=1
	v_mul_f64 v[14:15], |v[20:21]|, s[24:25]
	s_mov_b32 s20, s26
	s_delay_alu instid0(VALU_DEP_1) | instskip(NEXT) | instid1(VALU_DEP_1)
	v_rndne_f64_e32 v[18:19], v[14:15]
	v_fma_f64 v[14:15], v[18:19], s[18:19], |v[20:21]|
	v_mul_f64 v[16:17], v[18:19], s[26:27]
	s_delay_alu instid0(VALU_DEP_2) | instskip(NEXT) | instid1(VALU_DEP_2)
	v_fma_f64 v[25:26], v[18:19], s[26:27], v[14:15]
	v_add_f64 v[23:24], v[14:15], v[16:17]
	s_delay_alu instid0(VALU_DEP_1) | instskip(NEXT) | instid1(VALU_DEP_3)
	v_add_f64 v[14:15], v[14:15], -v[23:24]
	v_add_f64 v[23:24], v[23:24], -v[25:26]
	s_delay_alu instid0(VALU_DEP_2) | instskip(SKIP_1) | instid1(VALU_DEP_2)
	v_add_f64 v[14:15], v[14:15], v[16:17]
	v_fma_f64 v[16:17], v[18:19], s[20:21], v[16:17]
	v_add_f64 v[14:15], v[23:24], v[14:15]
	s_delay_alu instid0(VALU_DEP_1) | instskip(NEXT) | instid1(VALU_DEP_1)
	v_add_f64 v[14:15], v[14:15], -v[16:17]
	v_fma_f64 v[16:17], v[18:19], s[28:29], v[14:15]
	s_delay_alu instid0(VALU_DEP_1) | instskip(NEXT) | instid1(VALU_DEP_1)
	v_add_f64 v[14:15], v[25:26], v[16:17]
	v_add_f64 v[23:24], v[14:15], -v[25:26]
	v_cvt_i32_f64_e32 v25, v[18:19]
	s_delay_alu instid0(VALU_DEP_2)
	v_add_f64 v[16:17], v[16:17], -v[23:24]
.LBB132_273:                            ;   in Loop: Header=BB132_185 Depth=1
	s_or_b32 exec_lo, exec_lo, s3
                                        ; implicit-def: $vgpr26
                                        ; implicit-def: $vgpr18_vgpr19
                                        ; implicit-def: $vgpr23_vgpr24
	s_and_saveexec_b32 s3, s5
	s_delay_alu instid0(SALU_CYCLE_1)
	s_xor_b32 s5, exec_lo, s3
	s_cbranch_execz .LBB132_275
; %bb.274:                              ;   in Loop: Header=BB132_185 Depth=1
	v_ldexp_f64 v[18:19], |v[20:21]|, 0xffffff80
	v_cmp_le_f64_e64 s3, 0x7b000000, |v[20:21]|
	v_trig_preop_f64 v[23:24], |v[20:21]|, 0
	v_trig_preop_f64 v[53:54], |v[20:21]|, 2
	s_mov_b32 s16, s18
	s_mov_b32 s23, s21
	s_delay_alu instid0(VALU_DEP_3) | instskip(SKIP_2) | instid1(VALU_DEP_2)
	v_cndmask_b32_e64 v19, v43, v19, s3
	v_cndmask_b32_e64 v18, v20, v18, s3
	v_trig_preop_f64 v[43:44], |v[20:21]|, 1
	v_mul_f64 v[45:46], v[23:24], v[18:19]
	v_mul_f64 v[59:60], v[53:54], v[18:19]
	s_delay_alu instid0(VALU_DEP_3) | instskip(NEXT) | instid1(VALU_DEP_3)
	v_mul_f64 v[47:48], v[43:44], v[18:19]
	v_fma_f64 v[23:24], v[23:24], v[18:19], -v[45:46]
	s_delay_alu instid0(VALU_DEP_2) | instskip(NEXT) | instid1(VALU_DEP_4)
	v_fma_f64 v[43:44], v[43:44], v[18:19], -v[47:48]
	v_fma_f64 v[18:19], v[53:54], v[18:19], -v[59:60]
	s_delay_alu instid0(VALU_DEP_3) | instskip(NEXT) | instid1(VALU_DEP_1)
	v_add_f64 v[49:50], v[47:48], v[23:24]
	v_add_f64 v[51:52], v[49:50], -v[47:48]
	v_add_f64 v[57:58], v[45:46], v[49:50]
	s_delay_alu instid0(VALU_DEP_2) | instskip(SKIP_1) | instid1(VALU_DEP_3)
	v_add_f64 v[55:56], v[49:50], -v[51:52]
	v_add_f64 v[23:24], v[23:24], -v[51:52]
	v_ldexp_f64 v[51:52], v[57:58], -2
	v_add_f64 v[45:46], v[57:58], -v[45:46]
	s_delay_alu instid0(VALU_DEP_4) | instskip(SKIP_1) | instid1(VALU_DEP_4)
	v_add_f64 v[47:48], v[47:48], -v[55:56]
	v_add_f64 v[55:56], v[59:60], v[43:44]
	v_cmp_neq_f64_e64 s3, 0x7ff00000, |v[51:52]|
	s_delay_alu instid0(VALU_DEP_4) | instskip(NEXT) | instid1(VALU_DEP_4)
	v_add_f64 v[45:46], v[49:50], -v[45:46]
	v_add_f64 v[47:48], v[23:24], v[47:48]
	v_fract_f64_e32 v[23:24], v[51:52]
	s_delay_alu instid0(VALU_DEP_2) | instskip(NEXT) | instid1(VALU_DEP_2)
	v_add_f64 v[49:50], v[55:56], v[47:48]
	v_cndmask_b32_e64 v24, 0, v24, s3
	s_delay_alu instid0(VALU_DEP_3) | instskip(NEXT) | instid1(VALU_DEP_1)
	v_cndmask_b32_e64 v23, 0, v23, s3
	v_ldexp_f64 v[51:52], v[23:24], 2
	s_delay_alu instid0(VALU_DEP_4) | instskip(SKIP_1) | instid1(VALU_DEP_2)
	v_add_f64 v[57:58], v[45:46], v[49:50]
	v_add_f64 v[61:62], v[49:50], -v[55:56]
	v_add_f64 v[23:24], v[57:58], v[51:52]
	s_delay_alu instid0(VALU_DEP_2) | instskip(SKIP_2) | instid1(VALU_DEP_4)
	v_add_f64 v[67:68], v[49:50], -v[61:62]
	v_add_f64 v[47:48], v[47:48], -v[61:62]
	;; [unrolled: 1-line block ×3, first 2 shown]
	v_cmp_gt_f64_e64 s3, 0, v[23:24]
	s_delay_alu instid0(VALU_DEP_2) | instskip(NEXT) | instid1(VALU_DEP_2)
	v_add_f64 v[45:46], v[49:50], -v[45:46]
	v_cndmask_b32_e64 v23, 0, 0x40100000, s3
	s_delay_alu instid0(VALU_DEP_1) | instskip(SKIP_1) | instid1(VALU_DEP_2)
	v_add_f64 v[23:24], v[51:52], v[22:23]
	v_add_f64 v[51:52], v[55:56], -v[59:60]
	v_add_f64 v[63:64], v[57:58], v[23:24]
	s_delay_alu instid0(VALU_DEP_2) | instskip(SKIP_2) | instid1(VALU_DEP_4)
	v_add_f64 v[65:66], v[55:56], -v[51:52]
	v_add_f64 v[43:44], v[43:44], -v[51:52]
	;; [unrolled: 1-line block ×3, first 2 shown]
	v_cvt_i32_f64_e32 v26, v[63:64]
	s_delay_alu instid0(VALU_DEP_4) | instskip(NEXT) | instid1(VALU_DEP_3)
	v_add_f64 v[51:52], v[59:60], -v[65:66]
	v_add_f64 v[47:48], v[47:48], v[55:56]
	s_delay_alu instid0(VALU_DEP_3) | instskip(NEXT) | instid1(VALU_DEP_3)
	v_cvt_f64_i32_e32 v[61:62], v26
	v_add_f64 v[43:44], v[43:44], v[51:52]
	s_delay_alu instid0(VALU_DEP_2) | instskip(NEXT) | instid1(VALU_DEP_2)
	v_add_f64 v[23:24], v[23:24], -v[61:62]
	v_add_f64 v[43:44], v[43:44], v[47:48]
	s_delay_alu instid0(VALU_DEP_2) | instskip(NEXT) | instid1(VALU_DEP_2)
	v_add_f64 v[47:48], v[57:58], v[23:24]
	v_add_f64 v[18:19], v[18:19], v[43:44]
	s_delay_alu instid0(VALU_DEP_2) | instskip(SKIP_1) | instid1(VALU_DEP_3)
	v_add_f64 v[23:24], v[47:48], -v[23:24]
	v_cmp_le_f64_e64 s3, 0.5, v[47:48]
	v_add_f64 v[18:19], v[45:46], v[18:19]
	s_delay_alu instid0(VALU_DEP_3) | instskip(NEXT) | instid1(VALU_DEP_3)
	v_add_f64 v[43:44], v[57:58], -v[23:24]
	v_cndmask_b32_e64 v23, 0, 0x3ff00000, s3
	v_add_co_ci_u32_e64 v26, s4, 0, v26, s3
	s_delay_alu instid0(VALU_DEP_2) | instskip(NEXT) | instid1(VALU_DEP_4)
	v_add_f64 v[23:24], v[47:48], -v[22:23]
	v_add_f64 v[18:19], v[18:19], v[43:44]
	s_delay_alu instid0(VALU_DEP_1) | instskip(NEXT) | instid1(VALU_DEP_1)
	v_add_f64 v[43:44], v[23:24], v[18:19]
	v_mul_f64 v[45:46], v[43:44], s[16:17]
	v_add_f64 v[23:24], v[43:44], -v[23:24]
	s_delay_alu instid0(VALU_DEP_2) | instskip(NEXT) | instid1(VALU_DEP_2)
	v_fma_f64 v[47:48], v[43:44], s[16:17], -v[45:46]
	v_add_f64 v[18:19], v[18:19], -v[23:24]
	s_delay_alu instid0(VALU_DEP_2) | instskip(NEXT) | instid1(VALU_DEP_1)
	v_fma_f64 v[23:24], v[43:44], s[22:23], v[47:48]
	v_fma_f64 v[23:24], v[18:19], s[16:17], v[23:24]
	s_delay_alu instid0(VALU_DEP_1) | instskip(NEXT) | instid1(VALU_DEP_1)
	v_add_f64 v[18:19], v[45:46], v[23:24]
	v_add_f64 v[43:44], v[18:19], -v[45:46]
	s_delay_alu instid0(VALU_DEP_1)
	v_add_f64 v[23:24], v[23:24], -v[43:44]
	s_and_not1_saveexec_b32 s3, s5
	s_cbranch_execnz .LBB132_276
	s_branch .LBB132_277
.LBB132_275:                            ;   in Loop: Header=BB132_185 Depth=1
	s_and_not1_saveexec_b32 s3, s5
	s_cbranch_execz .LBB132_277
.LBB132_276:                            ;   in Loop: Header=BB132_185 Depth=1
	v_mul_f64 v[18:19], |v[20:21]|, s[24:25]
	s_mov_b32 s20, s26
	s_delay_alu instid0(VALU_DEP_1) | instskip(NEXT) | instid1(VALU_DEP_1)
	v_rndne_f64_e32 v[43:44], v[18:19]
	v_fma_f64 v[18:19], v[43:44], s[18:19], |v[20:21]|
	v_mul_f64 v[23:24], v[43:44], s[26:27]
	v_cvt_i32_f64_e32 v26, v[43:44]
	s_delay_alu instid0(VALU_DEP_3) | instskip(NEXT) | instid1(VALU_DEP_3)
	v_fma_f64 v[47:48], v[43:44], s[26:27], v[18:19]
	v_add_f64 v[45:46], v[18:19], v[23:24]
	s_delay_alu instid0(VALU_DEP_1) | instskip(NEXT) | instid1(VALU_DEP_3)
	v_add_f64 v[18:19], v[18:19], -v[45:46]
	v_add_f64 v[45:46], v[45:46], -v[47:48]
	s_delay_alu instid0(VALU_DEP_2) | instskip(SKIP_1) | instid1(VALU_DEP_2)
	v_add_f64 v[18:19], v[18:19], v[23:24]
	v_fma_f64 v[23:24], v[43:44], s[20:21], v[23:24]
	v_add_f64 v[18:19], v[45:46], v[18:19]
	s_delay_alu instid0(VALU_DEP_1) | instskip(NEXT) | instid1(VALU_DEP_1)
	v_add_f64 v[18:19], v[18:19], -v[23:24]
	v_fma_f64 v[23:24], v[43:44], s[28:29], v[18:19]
	s_delay_alu instid0(VALU_DEP_1) | instskip(NEXT) | instid1(VALU_DEP_1)
	v_add_f64 v[18:19], v[47:48], v[23:24]
	v_add_f64 v[45:46], v[18:19], -v[47:48]
	s_delay_alu instid0(VALU_DEP_1)
	v_add_f64 v[23:24], v[23:24], -v[45:46]
.LBB132_277:                            ;   in Loop: Header=BB132_185 Depth=1
	s_or_b32 exec_lo, exec_lo, s3
	s_delay_alu instid0(VALU_DEP_3) | instskip(SKIP_1) | instid1(VALU_DEP_3)
	v_mul_f64 v[43:44], v[14:15], v[14:15]
	v_mul_f64 v[45:46], v[18:19], v[18:19]
	v_mul_f64 v[63:64], v[16:17], 0.5
	s_delay_alu instid0(VALU_DEP_4) | instskip(SKIP_3) | instid1(VALU_DEP_1)
	v_mul_f64 v[69:70], v[23:24], 0.5
	s_mov_b32 s82, s54
	v_cmp_class_f64_e64 s4, v[20:21], 0x1f8
	v_lshlrev_b32_e32 v20, 30, v26
	v_xor_b32_e32 v20, v20, v21
	s_delay_alu instid0(VALU_DEP_1)
	v_and_b32_e32 v20, 0x80000000, v20
	v_fma_f64 v[47:48], v[43:44], s[72:73], s[70:71]
	v_fma_f64 v[49:50], v[45:46], s[72:73], s[70:71]
	v_mul_f64 v[53:54], v[43:44], 0.5
	v_fma_f64 v[51:52], v[43:44], s[62:63], s[60:61]
	v_fma_f64 v[55:56], v[45:46], s[62:63], s[60:61]
	v_mul_f64 v[57:58], v[45:46], 0.5
	v_mul_f64 v[65:66], v[14:15], -v[43:44]
	v_mul_f64 v[71:72], v[18:19], -v[45:46]
	v_fma_f64 v[47:48], v[43:44], v[47:48], s[74:75]
	v_fma_f64 v[49:50], v[45:46], v[49:50], s[74:75]
	v_add_f64 v[59:60], -v[53:54], 1.0
	v_fma_f64 v[51:52], v[43:44], v[51:52], s[64:65]
	v_fma_f64 v[55:56], v[45:46], v[55:56], s[64:65]
	v_add_f64 v[61:62], -v[57:58], 1.0
	;; [unrolled: 3-line block ×4, first 2 shown]
	v_fma_f64 v[47:48], v[43:44], v[47:48], s[50:51]
	v_fma_f64 v[49:50], v[45:46], v[49:50], s[50:51]
	v_add_f64 v[53:54], v[67:68], -v[53:54]
	v_fma_f64 v[51:52], v[43:44], v[51:52], s[68:69]
	v_fma_f64 v[55:56], v[45:46], v[55:56], s[68:69]
	v_add_f64 v[57:58], v[73:74], -v[57:58]
	v_fma_f64 v[47:48], v[65:66], v[47:48], v[63:64]
	v_fma_f64 v[49:50], v[71:72], v[49:50], v[69:70]
	v_fma_f64 v[53:54], v[14:15], -v[16:17], v[53:54]
	v_mul_f64 v[63:64], v[43:44], v[43:44]
	v_fma_f64 v[51:52], v[43:44], v[51:52], s[54:55]
	v_fma_f64 v[16:17], v[43:44], v[47:48], -v[16:17]
	v_mul_f64 v[43:44], v[45:46], v[45:46]
	v_fma_f64 v[47:48], v[45:46], v[55:56], s[54:55]
	v_fma_f64 v[55:56], v[18:19], -v[23:24], v[57:58]
	v_fma_f64 v[23:24], v[45:46], v[49:50], -v[23:24]
	v_fma_f64 v[45:46], v[63:64], v[51:52], v[53:54]
	v_fma_f64 v[16:17], v[65:66], s[82:83], v[16:17]
	s_delay_alu instid0(VALU_DEP_4) | instskip(NEXT) | instid1(VALU_DEP_4)
	v_fma_f64 v[43:44], v[43:44], v[47:48], v[55:56]
	v_fma_f64 v[23:24], v[71:72], s[82:83], v[23:24]
	s_delay_alu instid0(VALU_DEP_4) | instskip(NEXT) | instid1(VALU_DEP_4)
	v_add_f64 v[45:46], v[59:60], v[45:46]
	v_add_f64 v[14:15], v[14:15], -v[16:17]
	s_delay_alu instid0(VALU_DEP_4) | instskip(NEXT) | instid1(VALU_DEP_4)
	v_add_f64 v[16:17], v[61:62], v[43:44]
	v_add_f64 v[18:19], v[18:19], -v[23:24]
	v_and_b32_e32 v23, 1, v25
	v_lshlrev_b32_e32 v24, 30, v25
	s_delay_alu instid0(VALU_DEP_2) | instskip(SKIP_1) | instid1(VALU_DEP_3)
	v_cmp_eq_u32_e64 s3, 0, v23
	v_and_b32_e32 v23, 1, v26
	v_and_b32_e32 v21, 0x80000000, v24
	s_delay_alu instid0(VALU_DEP_2) | instskip(SKIP_2) | instid1(VALU_DEP_3)
	v_cmp_eq_u32_e64 s5, 0, v23
	v_xor_b32_e32 v15, 0x80000000, v15
	v_cndmask_b32_e64 v14, v14, v45, s3
	v_cndmask_b32_e64 v17, v17, v19, s5
	s_delay_alu instid0(VALU_DEP_3) | instskip(SKIP_1) | instid1(VALU_DEP_4)
	v_cndmask_b32_e64 v15, v15, v46, s3
	v_cndmask_b32_e64 v16, v16, v18, s5
	;; [unrolled: 1-line block ×3, first 2 shown]
	s_delay_alu instid0(VALU_DEP_4) | instskip(NEXT) | instid1(VALU_DEP_4)
	v_xor_b32_e32 v17, v17, v20
	v_xor_b32_e32 v15, v15, v21
	s_delay_alu instid0(VALU_DEP_4) | instskip(NEXT) | instid1(VALU_DEP_3)
	v_cndmask_b32_e64 v16, 0, v16, s4
	v_cndmask_b32_e64 v17, 0x7ff80000, v17, s4
	s_delay_alu instid0(VALU_DEP_3)
	v_cndmask_b32_e64 v15, 0x7ff80000, v15, s4
.LBB132_278:                            ;   in Loop: Header=BB132_185 Depth=1
	s_or_b32 exec_lo, exec_lo, s6
                                        ; implicit-def: $vgpr18_vgpr19
.LBB132_279:                            ;   in Loop: Header=BB132_185 Depth=1
	s_and_not1_saveexec_b32 s5, s13
	s_cbranch_execz .LBB132_281
; %bb.280:                              ;   in Loop: Header=BB132_185 Depth=1
	v_mul_f64 v[14:15], v[18:19], s[30:31]
	s_mov_b32 s53, s51
	s_mov_b32 s81, s55
	v_cmp_nlt_f64_e64 s3, 0x40900000, v[18:19]
	v_cmp_ngt_f64_e64 s4, 0xc090cc00, v[18:19]
	s_delay_alu instid0(VALU_DEP_3) | instskip(NEXT) | instid1(VALU_DEP_1)
	v_rndne_f64_e32 v[14:15], v[14:15]
	v_fma_f64 v[16:17], v[14:15], s[34:35], v[18:19]
	v_cvt_i32_f64_e32 v25, v[14:15]
	s_delay_alu instid0(VALU_DEP_2) | instskip(NEXT) | instid1(VALU_DEP_1)
	v_fma_f64 v[16:17], v[14:15], s[36:37], v[16:17]
	v_fma_f64 v[23:24], v[16:17], s[40:41], s[38:39]
	s_delay_alu instid0(VALU_DEP_1) | instskip(NEXT) | instid1(VALU_DEP_1)
	v_fma_f64 v[23:24], v[16:17], v[23:24], s[42:43]
	v_fma_f64 v[23:24], v[16:17], v[23:24], s[44:45]
	s_delay_alu instid0(VALU_DEP_1) | instskip(NEXT) | instid1(VALU_DEP_1)
	;; [unrolled: 3-line block ×5, first 2 shown]
	v_fma_f64 v[23:24], v[16:17], v[23:24], 1.0
	v_fma_f64 v[14:15], v[16:17], v[23:24], 1.0
	v_dual_mov_b32 v16, v20 :: v_dual_mov_b32 v17, v21
	s_delay_alu instid0(VALU_DEP_2) | instskip(NEXT) | instid1(VALU_DEP_1)
	v_ldexp_f64 v[14:15], v[14:15], v25
	v_cndmask_b32_e64 v15, 0x7ff00000, v15, s3
	s_and_b32 s3, s4, s3
	s_delay_alu instid0(VALU_DEP_2) | instid1(SALU_CYCLE_1)
	v_cndmask_b32_e64 v14, 0, v14, s3
	s_delay_alu instid0(VALU_DEP_2)
	v_cndmask_b32_e64 v15, 0, v15, s4
.LBB132_281:                            ;   in Loop: Header=BB132_185 Depth=1
	s_or_b32 exec_lo, exec_lo, s5
	v_and_b32_e32 v43, 0x7fffffff, v13
                                        ; implicit-def: $vgpr20_vgpr21
	s_mov_b32 s4, exec_lo
	s_delay_alu instid0(VALU_DEP_1) | instskip(NEXT) | instid1(VALU_DEP_1)
	v_or_b32_e32 v18, v43, v12
	v_cmpx_ne_u32_e32 0, v18
	s_xor_b32 s13, exec_lo, s4
	s_cbranch_execz .LBB132_323
; %bb.282:                              ;   in Loop: Header=BB132_185 Depth=1
	v_and_b32_e32 v23, 0x7fffffff, v11
                                        ; implicit-def: $vgpr20_vgpr21
	s_mov_b32 s4, exec_lo
	s_delay_alu instid0(VALU_DEP_1) | instskip(NEXT) | instid1(VALU_DEP_1)
	v_or_b32_e32 v18, v23, v10
	v_cmpx_ne_u32_e32 0, v18
	s_xor_b32 s90, exec_lo, s4
	s_cbranch_execz .LBB132_312
; %bb.283:                              ;   in Loop: Header=BB132_185 Depth=1
                                        ; implicit-def: $vgpr20_vgpr21
	s_mov_b32 s4, exec_lo
	v_cmpx_gt_u32_e32 0x7ff00000, v43
	s_xor_b32 s91, exec_lo, s4
	s_cbranch_execz .LBB132_305
; %bb.284:                              ;   in Loop: Header=BB132_185 Depth=1
	v_add_nc_u32_e32 v18, 0xbf79d1be, v11
                                        ; implicit-def: $vgpr20_vgpr21
	s_mov_b32 s4, exec_lo
	s_delay_alu instid0(VALU_DEP_1)
	v_cmpx_lt_u32_e32 0x108aa2, v18
	s_xor_b32 s92, exec_lo, s4
	s_cbranch_execz .LBB132_294
; %bb.285:                              ;   in Loop: Header=BB132_185 Depth=1
	v_cmp_ngt_f64_e64 s5, 0x41d00000, |v[12:13]|
                                        ; implicit-def: $vgpr44
                                        ; implicit-def: $vgpr18_vgpr19
                                        ; implicit-def: $vgpr20_vgpr21
	s_delay_alu instid0(VALU_DEP_1) | instskip(NEXT) | instid1(SALU_CYCLE_1)
	s_and_saveexec_b32 s3, s5
	s_xor_b32 s6, exec_lo, s3
	s_cbranch_execz .LBB132_287
; %bb.286:                              ;   in Loop: Header=BB132_185 Depth=1
	v_ldexp_f64 v[18:19], |v[12:13]|, 0xffffff80
	v_cmp_le_f64_e64 s3, 0x7b000000, |v[12:13]|
	v_trig_preop_f64 v[20:21], |v[12:13]|, 0
	v_trig_preop_f64 v[23:24], |v[12:13]|, 1
	;; [unrolled: 1-line block ×3, first 2 shown]
	s_mov_b32 s16, s18
	s_mov_b32 s23, s21
	s_delay_alu instid0(VALU_DEP_4) | instskip(SKIP_1) | instid1(VALU_DEP_1)
	v_cndmask_b32_e64 v19, v43, v19, s3
	v_cndmask_b32_e64 v18, v12, v18, s3
	v_mul_f64 v[25:26], v[20:21], v[18:19]
	v_mul_f64 v[44:45], v[23:24], v[18:19]
	;; [unrolled: 1-line block ×3, first 2 shown]
	s_delay_alu instid0(VALU_DEP_3) | instskip(NEXT) | instid1(VALU_DEP_3)
	v_fma_f64 v[20:21], v[20:21], v[18:19], -v[25:26]
	v_fma_f64 v[58:59], v[23:24], v[18:19], -v[44:45]
	s_delay_alu instid0(VALU_DEP_3) | instskip(NEXT) | instid1(VALU_DEP_3)
	v_fma_f64 v[18:19], v[50:51], v[18:19], -v[56:57]
	v_add_f64 v[46:47], v[44:45], v[20:21]
	s_delay_alu instid0(VALU_DEP_1) | instskip(SKIP_1) | instid1(VALU_DEP_2)
	v_add_f64 v[48:49], v[46:47], -v[44:45]
	v_add_f64 v[54:55], v[25:26], v[46:47]
	v_add_f64 v[52:53], v[46:47], -v[48:49]
	v_add_f64 v[20:21], v[20:21], -v[48:49]
	v_add_f64 v[48:49], v[56:57], v[58:59]
	s_delay_alu instid0(VALU_DEP_4) | instskip(NEXT) | instid1(VALU_DEP_4)
	v_add_f64 v[25:26], v[54:55], -v[25:26]
	v_add_f64 v[23:24], v[44:45], -v[52:53]
	v_ldexp_f64 v[44:45], v[54:55], -2
	s_delay_alu instid0(VALU_DEP_3) | instskip(NEXT) | instid1(VALU_DEP_3)
	v_add_f64 v[25:26], v[46:47], -v[25:26]
	v_add_f64 v[20:21], v[20:21], v[23:24]
	s_delay_alu instid0(VALU_DEP_3) | instskip(SKIP_1) | instid1(VALU_DEP_3)
	v_fract_f64_e32 v[23:24], v[44:45]
	v_cmp_neq_f64_e64 s3, 0x7ff00000, |v[44:45]|
	v_add_f64 v[44:45], v[48:49], v[20:21]
	s_delay_alu instid0(VALU_DEP_2) | instskip(NEXT) | instid1(VALU_DEP_4)
	v_cndmask_b32_e64 v24, 0, v24, s3
	v_cndmask_b32_e64 v23, 0, v23, s3
	s_delay_alu instid0(VALU_DEP_1) | instskip(NEXT) | instid1(VALU_DEP_4)
	v_ldexp_f64 v[46:47], v[23:24], 2
	v_add_f64 v[52:53], v[25:26], v[44:45]
	v_add_f64 v[54:55], v[44:45], -v[48:49]
	s_delay_alu instid0(VALU_DEP_2) | instskip(NEXT) | instid1(VALU_DEP_2)
	v_add_f64 v[23:24], v[52:53], v[46:47]
	v_add_f64 v[64:65], v[44:45], -v[54:55]
	v_add_f64 v[20:21], v[20:21], -v[54:55]
	;; [unrolled: 1-line block ×3, first 2 shown]
	s_delay_alu instid0(VALU_DEP_4) | instskip(NEXT) | instid1(VALU_DEP_2)
	v_cmp_gt_f64_e64 s3, 0, v[23:24]
	v_add_f64 v[25:26], v[44:45], -v[25:26]
	s_delay_alu instid0(VALU_DEP_2) | instskip(NEXT) | instid1(VALU_DEP_1)
	v_cndmask_b32_e64 v23, 0, 0x40100000, s3
	v_add_f64 v[23:24], v[46:47], v[22:23]
	v_add_f64 v[46:47], v[48:49], -v[56:57]
	s_delay_alu instid0(VALU_DEP_2) | instskip(NEXT) | instid1(VALU_DEP_2)
	v_add_f64 v[60:61], v[52:53], v[23:24]
	v_add_f64 v[62:63], v[48:49], -v[46:47]
	v_add_f64 v[46:47], v[58:59], -v[46:47]
	;; [unrolled: 1-line block ×3, first 2 shown]
	s_delay_alu instid0(VALU_DEP_4) | instskip(NEXT) | instid1(VALU_DEP_4)
	v_cvt_i32_f64_e32 v60, v[60:61]
	v_add_f64 v[58:59], v[56:57], -v[62:63]
	s_delay_alu instid0(VALU_DEP_3) | instskip(NEXT) | instid1(VALU_DEP_3)
	v_add_f64 v[20:21], v[20:21], v[48:49]
	v_cvt_f64_i32_e32 v[54:55], v60
	s_delay_alu instid0(VALU_DEP_3) | instskip(NEXT) | instid1(VALU_DEP_2)
	v_add_f64 v[46:47], v[46:47], v[58:59]
	v_add_f64 v[23:24], v[23:24], -v[54:55]
	s_delay_alu instid0(VALU_DEP_2) | instskip(NEXT) | instid1(VALU_DEP_2)
	v_add_f64 v[20:21], v[46:47], v[20:21]
	v_add_f64 v[46:47], v[52:53], v[23:24]
	s_delay_alu instid0(VALU_DEP_2) | instskip(NEXT) | instid1(VALU_DEP_2)
	v_add_f64 v[18:19], v[18:19], v[20:21]
	v_add_f64 v[20:21], v[46:47], -v[23:24]
	v_cmp_le_f64_e64 s3, 0.5, v[46:47]
	s_delay_alu instid0(VALU_DEP_3) | instskip(NEXT) | instid1(VALU_DEP_3)
	v_add_f64 v[18:19], v[25:26], v[18:19]
	v_add_f64 v[20:21], v[52:53], -v[20:21]
	s_delay_alu instid0(VALU_DEP_3) | instskip(SKIP_1) | instid1(VALU_DEP_3)
	v_cndmask_b32_e64 v23, 0, 0x3ff00000, s3
	v_add_co_ci_u32_e64 v44, s4, 0, v60, s3
	v_add_f64 v[18:19], v[18:19], v[20:21]
	s_delay_alu instid0(VALU_DEP_3) | instskip(NEXT) | instid1(VALU_DEP_1)
	v_add_f64 v[20:21], v[46:47], -v[22:23]
	v_add_f64 v[23:24], v[20:21], v[18:19]
	s_delay_alu instid0(VALU_DEP_1) | instskip(SKIP_1) | instid1(VALU_DEP_2)
	v_mul_f64 v[25:26], v[23:24], s[16:17]
	v_add_f64 v[20:21], v[23:24], -v[20:21]
	v_fma_f64 v[45:46], v[23:24], s[16:17], -v[25:26]
	s_delay_alu instid0(VALU_DEP_2) | instskip(NEXT) | instid1(VALU_DEP_2)
	v_add_f64 v[18:19], v[18:19], -v[20:21]
	v_fma_f64 v[20:21], v[23:24], s[22:23], v[45:46]
	s_delay_alu instid0(VALU_DEP_1) | instskip(NEXT) | instid1(VALU_DEP_1)
	v_fma_f64 v[20:21], v[18:19], s[16:17], v[20:21]
	v_add_f64 v[18:19], v[25:26], v[20:21]
	s_delay_alu instid0(VALU_DEP_1) | instskip(NEXT) | instid1(VALU_DEP_1)
	v_add_f64 v[23:24], v[18:19], -v[25:26]
	v_add_f64 v[20:21], v[20:21], -v[23:24]
	s_and_not1_saveexec_b32 s3, s6
	s_cbranch_execz .LBB132_289
	s_branch .LBB132_288
.LBB132_287:                            ;   in Loop: Header=BB132_185 Depth=1
	s_and_not1_saveexec_b32 s3, s6
	s_cbranch_execz .LBB132_289
.LBB132_288:                            ;   in Loop: Header=BB132_185 Depth=1
	v_mul_f64 v[18:19], |v[12:13]|, s[24:25]
	s_mov_b32 s20, s26
	s_delay_alu instid0(VALU_DEP_1) | instskip(NEXT) | instid1(VALU_DEP_1)
	v_rndne_f64_e32 v[23:24], v[18:19]
	v_fma_f64 v[18:19], v[23:24], s[18:19], |v[12:13]|
	v_mul_f64 v[20:21], v[23:24], s[26:27]
	s_delay_alu instid0(VALU_DEP_2) | instskip(NEXT) | instid1(VALU_DEP_2)
	v_fma_f64 v[44:45], v[23:24], s[26:27], v[18:19]
	v_add_f64 v[25:26], v[18:19], v[20:21]
	s_delay_alu instid0(VALU_DEP_1) | instskip(NEXT) | instid1(VALU_DEP_3)
	v_add_f64 v[18:19], v[18:19], -v[25:26]
	v_add_f64 v[25:26], v[25:26], -v[44:45]
	s_delay_alu instid0(VALU_DEP_2) | instskip(SKIP_1) | instid1(VALU_DEP_2)
	v_add_f64 v[18:19], v[18:19], v[20:21]
	v_fma_f64 v[20:21], v[23:24], s[20:21], v[20:21]
	v_add_f64 v[18:19], v[25:26], v[18:19]
	s_delay_alu instid0(VALU_DEP_1) | instskip(NEXT) | instid1(VALU_DEP_1)
	v_add_f64 v[18:19], v[18:19], -v[20:21]
	v_fma_f64 v[20:21], v[23:24], s[28:29], v[18:19]
	s_delay_alu instid0(VALU_DEP_1) | instskip(NEXT) | instid1(VALU_DEP_1)
	v_add_f64 v[18:19], v[44:45], v[20:21]
	v_add_f64 v[25:26], v[18:19], -v[44:45]
	v_cvt_i32_f64_e32 v44, v[23:24]
	s_delay_alu instid0(VALU_DEP_2)
	v_add_f64 v[20:21], v[20:21], -v[25:26]
.LBB132_289:                            ;   in Loop: Header=BB132_185 Depth=1
	s_or_b32 exec_lo, exec_lo, s3
                                        ; implicit-def: $vgpr45
                                        ; implicit-def: $vgpr23_vgpr24
                                        ; implicit-def: $vgpr25_vgpr26
	s_and_saveexec_b32 s3, s5
	s_delay_alu instid0(SALU_CYCLE_1)
	s_xor_b32 s5, exec_lo, s3
	s_cbranch_execz .LBB132_291
; %bb.290:                              ;   in Loop: Header=BB132_185 Depth=1
	v_ldexp_f64 v[23:24], |v[12:13]|, 0xffffff80
	v_cmp_le_f64_e64 s3, 0x7b000000, |v[12:13]|
	v_trig_preop_f64 v[25:26], |v[12:13]|, 0
	v_trig_preop_f64 v[55:56], |v[12:13]|, 2
	s_mov_b32 s16, s18
	s_mov_b32 s23, s21
	s_delay_alu instid0(VALU_DEP_3) | instskip(SKIP_2) | instid1(VALU_DEP_2)
	v_cndmask_b32_e64 v46, v43, v24, s3
	v_cndmask_b32_e64 v45, v12, v23, s3
	v_trig_preop_f64 v[23:24], |v[12:13]|, 1
	v_mul_f64 v[47:48], v[25:26], v[45:46]
	v_mul_f64 v[61:62], v[55:56], v[45:46]
	s_delay_alu instid0(VALU_DEP_3) | instskip(NEXT) | instid1(VALU_DEP_3)
	v_mul_f64 v[49:50], v[23:24], v[45:46]
	v_fma_f64 v[25:26], v[25:26], v[45:46], -v[47:48]
	s_delay_alu instid0(VALU_DEP_2) | instskip(NEXT) | instid1(VALU_DEP_4)
	v_fma_f64 v[63:64], v[23:24], v[45:46], -v[49:50]
	v_fma_f64 v[45:46], v[55:56], v[45:46], -v[61:62]
	s_delay_alu instid0(VALU_DEP_3) | instskip(NEXT) | instid1(VALU_DEP_1)
	v_add_f64 v[51:52], v[49:50], v[25:26]
	v_add_f64 v[53:54], v[51:52], -v[49:50]
	v_add_f64 v[59:60], v[47:48], v[51:52]
	s_delay_alu instid0(VALU_DEP_2) | instskip(SKIP_2) | instid1(VALU_DEP_4)
	v_add_f64 v[57:58], v[51:52], -v[53:54]
	v_add_f64 v[23:24], v[25:26], -v[53:54]
	v_add_f64 v[53:54], v[61:62], v[63:64]
	v_add_f64 v[47:48], v[59:60], -v[47:48]
	s_delay_alu instid0(VALU_DEP_4) | instskip(SKIP_1) | instid1(VALU_DEP_3)
	v_add_f64 v[25:26], v[49:50], -v[57:58]
	v_ldexp_f64 v[49:50], v[59:60], -2
	v_add_f64 v[47:48], v[51:52], -v[47:48]
	s_delay_alu instid0(VALU_DEP_3) | instskip(NEXT) | instid1(VALU_DEP_3)
	v_add_f64 v[24:25], v[23:24], v[25:26]
	v_fract_f64_e32 v[57:58], v[49:50]
	v_cmp_neq_f64_e64 s3, 0x7ff00000, |v[49:50]|
	s_delay_alu instid0(VALU_DEP_3) | instskip(NEXT) | instid1(VALU_DEP_2)
	v_add_f64 v[49:50], v[53:54], v[24:25]
	v_cndmask_b32_e64 v52, 0, v58, s3
	s_delay_alu instid0(VALU_DEP_4) | instskip(NEXT) | instid1(VALU_DEP_1)
	v_cndmask_b32_e64 v51, 0, v57, s3
	v_ldexp_f64 v[51:52], v[51:52], 2
	s_delay_alu instid0(VALU_DEP_4) | instskip(SKIP_1) | instid1(VALU_DEP_2)
	v_add_f64 v[57:58], v[47:48], v[49:50]
	v_add_f64 v[65:66], v[49:50], -v[53:54]
	v_add_f64 v[59:60], v[57:58], v[51:52]
	s_delay_alu instid0(VALU_DEP_2) | instskip(SKIP_1) | instid1(VALU_DEP_3)
	v_add_f64 v[71:72], v[49:50], -v[65:66]
	v_add_f64 v[47:48], v[57:58], -v[47:48]
	v_cmp_gt_f64_e64 s3, 0, v[59:60]
	v_add_f64 v[59:60], v[53:54], -v[61:62]
	s_delay_alu instid0(VALU_DEP_3) | instskip(NEXT) | instid1(VALU_DEP_3)
	v_add_f64 v[47:48], v[49:50], -v[47:48]
	v_cndmask_b32_e64 v23, 0, 0x40100000, s3
	s_delay_alu instid0(VALU_DEP_3) | instskip(SKIP_1) | instid1(VALU_DEP_3)
	v_add_f64 v[69:70], v[53:54], -v[59:60]
	v_add_f64 v[59:60], v[63:64], -v[59:60]
	v_add_f64 v[51:52], v[51:52], v[22:23]
	v_add_f64 v[23:24], v[24:25], -v[65:66]
	v_add_f64 v[25:26], v[53:54], -v[71:72]
	;; [unrolled: 1-line block ×3, first 2 shown]
	s_delay_alu instid0(VALU_DEP_4) | instskip(NEXT) | instid1(VALU_DEP_3)
	v_add_f64 v[67:68], v[57:58], v[51:52]
	v_add_f64 v[23:24], v[23:24], v[25:26]
	s_delay_alu instid0(VALU_DEP_3) | instskip(NEXT) | instid1(VALU_DEP_3)
	v_add_f64 v[59:60], v[59:60], v[63:64]
	v_cvt_i32_f64_e32 v43, v[67:68]
	s_delay_alu instid0(VALU_DEP_2) | instskip(NEXT) | instid1(VALU_DEP_2)
	v_add_f64 v[23:24], v[59:60], v[23:24]
	v_cvt_f64_i32_e32 v[53:54], v43
	s_delay_alu instid0(VALU_DEP_2) | instskip(NEXT) | instid1(VALU_DEP_2)
	v_add_f64 v[23:24], v[45:46], v[23:24]
	v_add_f64 v[25:26], v[51:52], -v[53:54]
	s_delay_alu instid0(VALU_DEP_2) | instskip(NEXT) | instid1(VALU_DEP_2)
	v_add_f64 v[46:47], v[47:48], v[23:24]
	v_add_f64 v[51:52], v[57:58], v[25:26]
	s_delay_alu instid0(VALU_DEP_1) | instskip(SKIP_1) | instid1(VALU_DEP_2)
	v_add_f64 v[25:26], v[51:52], -v[25:26]
	v_cmp_le_f64_e64 s3, 0.5, v[51:52]
	v_add_f64 v[24:25], v[57:58], -v[25:26]
	s_delay_alu instid0(VALU_DEP_2) | instskip(SKIP_1) | instid1(VALU_DEP_3)
	v_cndmask_b32_e64 v23, 0, 0x3ff00000, s3
	v_add_co_ci_u32_e64 v45, s4, 0, v43, s3
	v_add_f64 v[24:25], v[46:47], v[24:25]
	s_delay_alu instid0(VALU_DEP_3) | instskip(NEXT) | instid1(VALU_DEP_1)
	v_add_f64 v[46:47], v[51:52], -v[22:23]
	v_add_f64 v[48:49], v[46:47], v[24:25]
	s_delay_alu instid0(VALU_DEP_1) | instskip(SKIP_1) | instid1(VALU_DEP_2)
	v_mul_f64 v[50:51], v[48:49], s[16:17]
	v_add_f64 v[46:47], v[48:49], -v[46:47]
	v_fma_f64 v[52:53], v[48:49], s[16:17], -v[50:51]
	s_delay_alu instid0(VALU_DEP_2) | instskip(NEXT) | instid1(VALU_DEP_2)
	v_add_f64 v[23:24], v[24:25], -v[46:47]
	v_fma_f64 v[25:26], v[48:49], s[22:23], v[52:53]
	s_delay_alu instid0(VALU_DEP_1) | instskip(NEXT) | instid1(VALU_DEP_1)
	v_fma_f64 v[25:26], v[23:24], s[16:17], v[25:26]
	v_add_f64 v[23:24], v[50:51], v[25:26]
	s_delay_alu instid0(VALU_DEP_1) | instskip(NEXT) | instid1(VALU_DEP_1)
	v_add_f64 v[46:47], v[23:24], -v[50:51]
	v_add_f64 v[25:26], v[25:26], -v[46:47]
	s_and_not1_saveexec_b32 s3, s5
	s_cbranch_execnz .LBB132_292
	s_branch .LBB132_293
.LBB132_291:                            ;   in Loop: Header=BB132_185 Depth=1
	s_and_not1_saveexec_b32 s3, s5
	s_cbranch_execz .LBB132_293
.LBB132_292:                            ;   in Loop: Header=BB132_185 Depth=1
	v_mul_f64 v[23:24], |v[12:13]|, s[24:25]
	s_mov_b32 s20, s26
	s_delay_alu instid0(VALU_DEP_1) | instskip(NEXT) | instid1(VALU_DEP_1)
	v_rndne_f64_e32 v[45:46], v[23:24]
	v_fma_f64 v[23:24], v[45:46], s[18:19], |v[12:13]|
	v_mul_f64 v[25:26], v[45:46], s[26:27]
	s_delay_alu instid0(VALU_DEP_2) | instskip(NEXT) | instid1(VALU_DEP_2)
	v_fma_f64 v[49:50], v[45:46], s[26:27], v[23:24]
	v_add_f64 v[47:48], v[23:24], v[25:26]
	s_delay_alu instid0(VALU_DEP_1) | instskip(NEXT) | instid1(VALU_DEP_3)
	v_add_f64 v[23:24], v[23:24], -v[47:48]
	v_add_f64 v[47:48], v[47:48], -v[49:50]
	s_delay_alu instid0(VALU_DEP_2) | instskip(SKIP_1) | instid1(VALU_DEP_2)
	v_add_f64 v[23:24], v[23:24], v[25:26]
	v_fma_f64 v[25:26], v[45:46], s[20:21], v[25:26]
	v_add_f64 v[23:24], v[47:48], v[23:24]
	s_delay_alu instid0(VALU_DEP_1) | instskip(NEXT) | instid1(VALU_DEP_1)
	v_add_f64 v[23:24], v[23:24], -v[25:26]
	v_fma_f64 v[25:26], v[45:46], s[28:29], v[23:24]
	v_cvt_i32_f64_e32 v45, v[45:46]
	s_delay_alu instid0(VALU_DEP_2) | instskip(NEXT) | instid1(VALU_DEP_1)
	v_add_f64 v[23:24], v[49:50], v[25:26]
	v_add_f64 v[47:48], v[23:24], -v[49:50]
	s_delay_alu instid0(VALU_DEP_1)
	v_add_f64 v[25:26], v[25:26], -v[47:48]
.LBB132_293:                            ;   in Loop: Header=BB132_185 Depth=1
	s_or_b32 exec_lo, exec_lo, s3
	v_mul_f64 v[46:47], v[10:11], s[30:31]
	v_mul_f64 v[52:53], v[18:19], v[18:19]
	v_mul_f64 v[54:55], v[23:24], v[23:24]
	s_mov_b32 s53, s51
	s_mov_b32 s81, s55
	s_delay_alu instid0(VALU_DEP_4)
	v_mul_f64 v[72:73], v[20:21], 0.5
	v_mul_f64 v[78:79], v[25:26], 0.5
	s_mov_b32 s82, s54
	v_cmp_nlt_f64_e64 s5, 0x40900000, v[10:11]
	v_cmp_ngt_f64_e64 s6, 0xc090cc00, v[10:11]
	v_cmp_class_f64_e64 s4, v[12:13], 0x1f8
	v_and_b32_e32 v12, 1, v45
	s_delay_alu instid0(VALU_DEP_1)
	v_cmp_eq_u32_e64 s7, 0, v12
	v_rndne_f64_e32 v[46:47], v[46:47]
	v_fma_f64 v[56:57], v[52:53], s[72:73], s[70:71]
	v_fma_f64 v[58:59], v[54:55], s[72:73], s[70:71]
	v_mul_f64 v[62:63], v[52:53], 0.5
	v_fma_f64 v[60:61], v[52:53], s[62:63], s[60:61]
	v_fma_f64 v[64:65], v[54:55], s[62:63], s[60:61]
	v_mul_f64 v[66:67], v[54:55], 0.5
	v_mul_f64 v[74:75], v[18:19], -v[52:53]
	v_mul_f64 v[80:81], v[23:24], -v[54:55]
	v_fma_f64 v[48:49], v[46:47], s[34:35], v[10:11]
	v_fma_f64 v[56:57], v[52:53], v[56:57], s[74:75]
	;; [unrolled: 1-line block ×3, first 2 shown]
	v_add_f64 v[68:69], -v[62:63], 1.0
	v_fma_f64 v[60:61], v[52:53], v[60:61], s[64:65]
	v_fma_f64 v[64:65], v[54:55], v[64:65], s[64:65]
	v_add_f64 v[70:71], -v[66:67], 1.0
	v_cvt_i32_f64_e32 v43, v[46:47]
	v_lshlrev_b32_e32 v10, 30, v45
	v_lshlrev_b32_e32 v11, 30, v44
	s_delay_alu instid0(VALU_DEP_2) | instskip(NEXT) | instid1(VALU_DEP_2)
	v_xor_b32_e32 v10, v10, v13
	v_and_b32_e32 v11, 0x80000000, v11
	s_delay_alu instid0(VALU_DEP_2)
	v_and_b32_e32 v13, 0x80000000, v10
	v_fma_f64 v[48:49], v[46:47], s[36:37], v[48:49]
	v_fma_f64 v[56:57], v[52:53], v[56:57], s[76:77]
	;; [unrolled: 1-line block ×3, first 2 shown]
	v_add_f64 v[76:77], -v[68:69], 1.0
	v_fma_f64 v[60:61], v[52:53], v[60:61], s[66:67]
	v_fma_f64 v[64:65], v[54:55], v[64:65], s[66:67]
	v_add_f64 v[82:83], -v[70:71], 1.0
	v_fma_f64 v[50:51], v[48:49], s[40:41], s[38:39]
	v_fma_f64 v[56:57], v[52:53], v[56:57], s[50:51]
	;; [unrolled: 1-line block ×3, first 2 shown]
	v_add_f64 v[62:63], v[76:77], -v[62:63]
	v_fma_f64 v[60:61], v[52:53], v[60:61], s[68:69]
	v_fma_f64 v[64:65], v[54:55], v[64:65], s[68:69]
	v_add_f64 v[66:67], v[82:83], -v[66:67]
	v_fma_f64 v[50:51], v[48:49], v[50:51], s[42:43]
	v_fma_f64 v[56:57], v[74:75], v[56:57], v[72:73]
	;; [unrolled: 1-line block ×3, first 2 shown]
	v_fma_f64 v[62:63], v[18:19], -v[20:21], v[62:63]
	v_mul_f64 v[72:73], v[52:53], v[52:53]
	v_fma_f64 v[60:61], v[52:53], v[60:61], s[54:55]
	v_fma_f64 v[50:51], v[48:49], v[50:51], s[44:45]
	v_fma_f64 v[20:21], v[52:53], v[56:57], -v[20:21]
	v_mul_f64 v[52:53], v[54:55], v[54:55]
	v_fma_f64 v[56:57], v[54:55], v[64:65], s[54:55]
	v_fma_f64 v[64:65], v[23:24], -v[25:26], v[66:67]
	v_fma_f64 v[25:26], v[54:55], v[58:59], -v[25:26]
	v_fma_f64 v[54:55], v[72:73], v[60:61], v[62:63]
	v_fma_f64 v[50:51], v[48:49], v[50:51], s[46:47]
	;; [unrolled: 1-line block ×3, first 2 shown]
	s_delay_alu instid0(VALU_DEP_4) | instskip(NEXT) | instid1(VALU_DEP_3)
	v_fma_f64 v[25:26], v[80:81], s[82:83], v[25:26]
	v_fma_f64 v[50:51], v[48:49], v[50:51], s[48:49]
	s_delay_alu instid0(VALU_DEP_3) | instskip(NEXT) | instid1(VALU_DEP_3)
	v_add_f64 v[18:19], v[18:19], -v[20:21]
	v_add_f64 v[23:24], v[23:24], -v[25:26]
	v_and_b32_e32 v25, 1, v44
	s_delay_alu instid0(VALU_DEP_1) | instskip(SKIP_2) | instid1(VALU_DEP_2)
	v_cmp_eq_u32_e64 s3, 0, v25
	v_fma_f64 v[50:51], v[48:49], v[50:51], s[52:53]
	v_xor_b32_e32 v19, 0x80000000, v19
	v_fma_f64 v[50:51], v[48:49], v[50:51], s[80:81]
	s_delay_alu instid0(VALU_DEP_1) | instskip(NEXT) | instid1(VALU_DEP_1)
	v_fma_f64 v[50:51], v[48:49], v[50:51], s[56:57]
	v_fma_f64 v[50:51], v[48:49], v[50:51], s[58:59]
	s_delay_alu instid0(VALU_DEP_1) | instskip(NEXT) | instid1(VALU_DEP_1)
	v_fma_f64 v[50:51], v[48:49], v[50:51], 1.0
	v_fma_f64 v[46:47], v[48:49], v[50:51], 1.0
	v_fma_f64 v[48:49], v[52:53], v[56:57], v[64:65]
	v_add_f64 v[50:51], v[68:69], v[54:55]
	s_delay_alu instid0(VALU_DEP_3) | instskip(NEXT) | instid1(VALU_DEP_3)
	v_ldexp_f64 v[20:21], v[46:47], v43
	v_add_f64 v[46:47], v[70:71], v[48:49]
	s_delay_alu instid0(VALU_DEP_3) | instskip(NEXT) | instid1(VALU_DEP_4)
	v_cndmask_b32_e64 v12, v19, v51, s3
	v_cndmask_b32_e64 v18, v18, v50, s3
	s_and_b32 s3, s6, s5
                                        ; implicit-def: $vgpr43
	s_delay_alu instid0(VALU_DEP_2) | instskip(NEXT) | instid1(VALU_DEP_2)
	v_xor_b32_e32 v11, v12, v11
	v_cndmask_b32_e64 v10, 0, v18, s4
	s_delay_alu instid0(VALU_DEP_2) | instskip(SKIP_4) | instid1(VALU_DEP_4)
	v_cndmask_b32_e64 v11, 0x7ff80000, v11, s4
	v_cndmask_b32_e64 v21, 0x7ff00000, v21, s5
	;; [unrolled: 1-line block ×6, first 2 shown]
	s_delay_alu instid0(VALU_DEP_4) | instskip(NEXT) | instid1(VALU_DEP_4)
	v_cndmask_b32_e64 v12, 0, v19, s4
	v_xor_b32_e32 v13, v23, v13
	s_delay_alu instid0(VALU_DEP_3) | instskip(NEXT) | instid1(VALU_DEP_2)
	v_mul_f64 v[18:19], v[20:21], v[10:11]
	v_cndmask_b32_e64 v13, 0x7ff80000, v13, s4
	s_delay_alu instid0(VALU_DEP_1)
	v_mul_f64 v[20:21], v[20:21], v[12:13]
                                        ; implicit-def: $vgpr12_vgpr13
.LBB132_294:                            ;   in Loop: Header=BB132_185 Depth=1
	s_and_not1_saveexec_b32 s92, s92
	s_cbranch_execz .LBB132_304
; %bb.295:                              ;   in Loop: Header=BB132_185 Depth=1
	v_cmp_ngt_f64_e64 s5, 0x41d00000, |v[12:13]|
                                        ; implicit-def: $vgpr44
                                        ; implicit-def: $vgpr18_vgpr19
                                        ; implicit-def: $vgpr20_vgpr21
	s_delay_alu instid0(VALU_DEP_1) | instskip(NEXT) | instid1(SALU_CYCLE_1)
	s_and_saveexec_b32 s3, s5
	s_xor_b32 s6, exec_lo, s3
	s_cbranch_execz .LBB132_297
; %bb.296:                              ;   in Loop: Header=BB132_185 Depth=1
	v_ldexp_f64 v[18:19], |v[12:13]|, 0xffffff80
	v_cmp_le_f64_e64 s3, 0x7b000000, |v[12:13]|
	v_trig_preop_f64 v[20:21], |v[12:13]|, 0
	v_trig_preop_f64 v[23:24], |v[12:13]|, 1
	;; [unrolled: 1-line block ×3, first 2 shown]
	s_mov_b32 s16, s18
	s_mov_b32 s23, s21
	s_delay_alu instid0(VALU_DEP_4) | instskip(SKIP_1) | instid1(VALU_DEP_1)
	v_cndmask_b32_e64 v19, v43, v19, s3
	v_cndmask_b32_e64 v18, v12, v18, s3
	v_mul_f64 v[25:26], v[20:21], v[18:19]
	v_mul_f64 v[44:45], v[23:24], v[18:19]
	;; [unrolled: 1-line block ×3, first 2 shown]
	s_delay_alu instid0(VALU_DEP_3) | instskip(NEXT) | instid1(VALU_DEP_3)
	v_fma_f64 v[20:21], v[20:21], v[18:19], -v[25:26]
	v_fma_f64 v[58:59], v[23:24], v[18:19], -v[44:45]
	s_delay_alu instid0(VALU_DEP_3) | instskip(NEXT) | instid1(VALU_DEP_3)
	v_fma_f64 v[18:19], v[50:51], v[18:19], -v[56:57]
	v_add_f64 v[46:47], v[44:45], v[20:21]
	s_delay_alu instid0(VALU_DEP_1) | instskip(SKIP_1) | instid1(VALU_DEP_2)
	v_add_f64 v[48:49], v[46:47], -v[44:45]
	v_add_f64 v[54:55], v[25:26], v[46:47]
	v_add_f64 v[52:53], v[46:47], -v[48:49]
	v_add_f64 v[20:21], v[20:21], -v[48:49]
	v_add_f64 v[48:49], v[56:57], v[58:59]
	s_delay_alu instid0(VALU_DEP_4) | instskip(NEXT) | instid1(VALU_DEP_4)
	v_add_f64 v[25:26], v[54:55], -v[25:26]
	v_add_f64 v[23:24], v[44:45], -v[52:53]
	v_ldexp_f64 v[44:45], v[54:55], -2
	s_delay_alu instid0(VALU_DEP_3) | instskip(NEXT) | instid1(VALU_DEP_3)
	v_add_f64 v[25:26], v[46:47], -v[25:26]
	v_add_f64 v[20:21], v[20:21], v[23:24]
	s_delay_alu instid0(VALU_DEP_3) | instskip(SKIP_1) | instid1(VALU_DEP_3)
	v_fract_f64_e32 v[23:24], v[44:45]
	v_cmp_neq_f64_e64 s3, 0x7ff00000, |v[44:45]|
	v_add_f64 v[44:45], v[48:49], v[20:21]
	s_delay_alu instid0(VALU_DEP_2) | instskip(NEXT) | instid1(VALU_DEP_4)
	v_cndmask_b32_e64 v24, 0, v24, s3
	v_cndmask_b32_e64 v23, 0, v23, s3
	s_delay_alu instid0(VALU_DEP_1) | instskip(NEXT) | instid1(VALU_DEP_4)
	v_ldexp_f64 v[46:47], v[23:24], 2
	v_add_f64 v[52:53], v[25:26], v[44:45]
	v_add_f64 v[54:55], v[44:45], -v[48:49]
	s_delay_alu instid0(VALU_DEP_2) | instskip(NEXT) | instid1(VALU_DEP_2)
	v_add_f64 v[23:24], v[52:53], v[46:47]
	v_add_f64 v[64:65], v[44:45], -v[54:55]
	v_add_f64 v[20:21], v[20:21], -v[54:55]
	;; [unrolled: 1-line block ×3, first 2 shown]
	s_delay_alu instid0(VALU_DEP_4) | instskip(NEXT) | instid1(VALU_DEP_2)
	v_cmp_gt_f64_e64 s3, 0, v[23:24]
	v_add_f64 v[25:26], v[44:45], -v[25:26]
	s_delay_alu instid0(VALU_DEP_2) | instskip(NEXT) | instid1(VALU_DEP_1)
	v_cndmask_b32_e64 v23, 0, 0x40100000, s3
	v_add_f64 v[23:24], v[46:47], v[22:23]
	v_add_f64 v[46:47], v[48:49], -v[56:57]
	s_delay_alu instid0(VALU_DEP_2) | instskip(NEXT) | instid1(VALU_DEP_2)
	v_add_f64 v[60:61], v[52:53], v[23:24]
	v_add_f64 v[62:63], v[48:49], -v[46:47]
	v_add_f64 v[46:47], v[58:59], -v[46:47]
	;; [unrolled: 1-line block ×3, first 2 shown]
	s_delay_alu instid0(VALU_DEP_4) | instskip(NEXT) | instid1(VALU_DEP_4)
	v_cvt_i32_f64_e32 v60, v[60:61]
	v_add_f64 v[58:59], v[56:57], -v[62:63]
	s_delay_alu instid0(VALU_DEP_3) | instskip(NEXT) | instid1(VALU_DEP_3)
	v_add_f64 v[20:21], v[20:21], v[48:49]
	v_cvt_f64_i32_e32 v[54:55], v60
	s_delay_alu instid0(VALU_DEP_3) | instskip(NEXT) | instid1(VALU_DEP_2)
	v_add_f64 v[46:47], v[46:47], v[58:59]
	v_add_f64 v[23:24], v[23:24], -v[54:55]
	s_delay_alu instid0(VALU_DEP_2) | instskip(NEXT) | instid1(VALU_DEP_2)
	v_add_f64 v[20:21], v[46:47], v[20:21]
	v_add_f64 v[46:47], v[52:53], v[23:24]
	s_delay_alu instid0(VALU_DEP_2) | instskip(NEXT) | instid1(VALU_DEP_2)
	v_add_f64 v[18:19], v[18:19], v[20:21]
	v_add_f64 v[20:21], v[46:47], -v[23:24]
	v_cmp_le_f64_e64 s3, 0.5, v[46:47]
	s_delay_alu instid0(VALU_DEP_3) | instskip(NEXT) | instid1(VALU_DEP_3)
	v_add_f64 v[18:19], v[25:26], v[18:19]
	v_add_f64 v[20:21], v[52:53], -v[20:21]
	s_delay_alu instid0(VALU_DEP_3) | instskip(SKIP_1) | instid1(VALU_DEP_3)
	v_cndmask_b32_e64 v23, 0, 0x3ff00000, s3
	v_add_co_ci_u32_e64 v44, s4, 0, v60, s3
	v_add_f64 v[18:19], v[18:19], v[20:21]
	s_delay_alu instid0(VALU_DEP_3) | instskip(NEXT) | instid1(VALU_DEP_1)
	v_add_f64 v[20:21], v[46:47], -v[22:23]
	v_add_f64 v[23:24], v[20:21], v[18:19]
	s_delay_alu instid0(VALU_DEP_1) | instskip(SKIP_1) | instid1(VALU_DEP_2)
	v_mul_f64 v[25:26], v[23:24], s[16:17]
	v_add_f64 v[20:21], v[23:24], -v[20:21]
	v_fma_f64 v[45:46], v[23:24], s[16:17], -v[25:26]
	s_delay_alu instid0(VALU_DEP_2) | instskip(NEXT) | instid1(VALU_DEP_2)
	v_add_f64 v[18:19], v[18:19], -v[20:21]
	v_fma_f64 v[20:21], v[23:24], s[22:23], v[45:46]
	s_delay_alu instid0(VALU_DEP_1) | instskip(NEXT) | instid1(VALU_DEP_1)
	v_fma_f64 v[20:21], v[18:19], s[16:17], v[20:21]
	v_add_f64 v[18:19], v[25:26], v[20:21]
	s_delay_alu instid0(VALU_DEP_1) | instskip(NEXT) | instid1(VALU_DEP_1)
	v_add_f64 v[23:24], v[18:19], -v[25:26]
	v_add_f64 v[20:21], v[20:21], -v[23:24]
	s_and_not1_saveexec_b32 s3, s6
	s_cbranch_execz .LBB132_299
	s_branch .LBB132_298
.LBB132_297:                            ;   in Loop: Header=BB132_185 Depth=1
	s_and_not1_saveexec_b32 s3, s6
	s_cbranch_execz .LBB132_299
.LBB132_298:                            ;   in Loop: Header=BB132_185 Depth=1
	v_mul_f64 v[18:19], |v[12:13]|, s[24:25]
	s_mov_b32 s20, s26
	s_delay_alu instid0(VALU_DEP_1) | instskip(NEXT) | instid1(VALU_DEP_1)
	v_rndne_f64_e32 v[23:24], v[18:19]
	v_fma_f64 v[18:19], v[23:24], s[18:19], |v[12:13]|
	v_mul_f64 v[20:21], v[23:24], s[26:27]
	s_delay_alu instid0(VALU_DEP_2) | instskip(NEXT) | instid1(VALU_DEP_2)
	v_fma_f64 v[44:45], v[23:24], s[26:27], v[18:19]
	v_add_f64 v[25:26], v[18:19], v[20:21]
	s_delay_alu instid0(VALU_DEP_1) | instskip(NEXT) | instid1(VALU_DEP_3)
	v_add_f64 v[18:19], v[18:19], -v[25:26]
	v_add_f64 v[25:26], v[25:26], -v[44:45]
	s_delay_alu instid0(VALU_DEP_2) | instskip(SKIP_1) | instid1(VALU_DEP_2)
	v_add_f64 v[18:19], v[18:19], v[20:21]
	v_fma_f64 v[20:21], v[23:24], s[20:21], v[20:21]
	v_add_f64 v[18:19], v[25:26], v[18:19]
	s_delay_alu instid0(VALU_DEP_1) | instskip(NEXT) | instid1(VALU_DEP_1)
	v_add_f64 v[18:19], v[18:19], -v[20:21]
	v_fma_f64 v[20:21], v[23:24], s[28:29], v[18:19]
	s_delay_alu instid0(VALU_DEP_1) | instskip(NEXT) | instid1(VALU_DEP_1)
	v_add_f64 v[18:19], v[44:45], v[20:21]
	v_add_f64 v[25:26], v[18:19], -v[44:45]
	v_cvt_i32_f64_e32 v44, v[23:24]
	s_delay_alu instid0(VALU_DEP_2)
	v_add_f64 v[20:21], v[20:21], -v[25:26]
.LBB132_299:                            ;   in Loop: Header=BB132_185 Depth=1
	s_or_b32 exec_lo, exec_lo, s3
                                        ; implicit-def: $vgpr45
                                        ; implicit-def: $vgpr23_vgpr24
                                        ; implicit-def: $vgpr25_vgpr26
	s_and_saveexec_b32 s3, s5
	s_delay_alu instid0(SALU_CYCLE_1)
	s_xor_b32 s5, exec_lo, s3
	s_cbranch_execz .LBB132_301
; %bb.300:                              ;   in Loop: Header=BB132_185 Depth=1
	v_ldexp_f64 v[23:24], |v[12:13]|, 0xffffff80
	v_cmp_le_f64_e64 s3, 0x7b000000, |v[12:13]|
	v_trig_preop_f64 v[25:26], |v[12:13]|, 0
	v_trig_preop_f64 v[55:56], |v[12:13]|, 2
	s_mov_b32 s16, s18
	s_mov_b32 s23, s21
	s_delay_alu instid0(VALU_DEP_3) | instskip(SKIP_2) | instid1(VALU_DEP_2)
	v_cndmask_b32_e64 v46, v43, v24, s3
	v_cndmask_b32_e64 v45, v12, v23, s3
	v_trig_preop_f64 v[23:24], |v[12:13]|, 1
	v_mul_f64 v[47:48], v[25:26], v[45:46]
	v_mul_f64 v[61:62], v[55:56], v[45:46]
	s_delay_alu instid0(VALU_DEP_3) | instskip(NEXT) | instid1(VALU_DEP_3)
	v_mul_f64 v[49:50], v[23:24], v[45:46]
	v_fma_f64 v[25:26], v[25:26], v[45:46], -v[47:48]
	s_delay_alu instid0(VALU_DEP_2) | instskip(NEXT) | instid1(VALU_DEP_4)
	v_fma_f64 v[63:64], v[23:24], v[45:46], -v[49:50]
	v_fma_f64 v[45:46], v[55:56], v[45:46], -v[61:62]
	s_delay_alu instid0(VALU_DEP_3) | instskip(NEXT) | instid1(VALU_DEP_1)
	v_add_f64 v[51:52], v[49:50], v[25:26]
	v_add_f64 v[53:54], v[51:52], -v[49:50]
	v_add_f64 v[59:60], v[47:48], v[51:52]
	s_delay_alu instid0(VALU_DEP_2) | instskip(SKIP_2) | instid1(VALU_DEP_4)
	v_add_f64 v[57:58], v[51:52], -v[53:54]
	v_add_f64 v[23:24], v[25:26], -v[53:54]
	v_add_f64 v[53:54], v[61:62], v[63:64]
	v_add_f64 v[47:48], v[59:60], -v[47:48]
	s_delay_alu instid0(VALU_DEP_4) | instskip(SKIP_1) | instid1(VALU_DEP_3)
	v_add_f64 v[25:26], v[49:50], -v[57:58]
	v_ldexp_f64 v[49:50], v[59:60], -2
	v_add_f64 v[47:48], v[51:52], -v[47:48]
	s_delay_alu instid0(VALU_DEP_3) | instskip(NEXT) | instid1(VALU_DEP_3)
	v_add_f64 v[24:25], v[23:24], v[25:26]
	v_fract_f64_e32 v[57:58], v[49:50]
	v_cmp_neq_f64_e64 s3, 0x7ff00000, |v[49:50]|
	s_delay_alu instid0(VALU_DEP_3) | instskip(NEXT) | instid1(VALU_DEP_2)
	v_add_f64 v[49:50], v[53:54], v[24:25]
	v_cndmask_b32_e64 v52, 0, v58, s3
	s_delay_alu instid0(VALU_DEP_4) | instskip(NEXT) | instid1(VALU_DEP_1)
	v_cndmask_b32_e64 v51, 0, v57, s3
	v_ldexp_f64 v[51:52], v[51:52], 2
	s_delay_alu instid0(VALU_DEP_4) | instskip(SKIP_1) | instid1(VALU_DEP_2)
	v_add_f64 v[57:58], v[47:48], v[49:50]
	v_add_f64 v[65:66], v[49:50], -v[53:54]
	v_add_f64 v[59:60], v[57:58], v[51:52]
	s_delay_alu instid0(VALU_DEP_2) | instskip(SKIP_1) | instid1(VALU_DEP_3)
	v_add_f64 v[71:72], v[49:50], -v[65:66]
	v_add_f64 v[47:48], v[57:58], -v[47:48]
	v_cmp_gt_f64_e64 s3, 0, v[59:60]
	v_add_f64 v[59:60], v[53:54], -v[61:62]
	s_delay_alu instid0(VALU_DEP_3) | instskip(NEXT) | instid1(VALU_DEP_3)
	v_add_f64 v[47:48], v[49:50], -v[47:48]
	v_cndmask_b32_e64 v23, 0, 0x40100000, s3
	s_delay_alu instid0(VALU_DEP_3) | instskip(SKIP_1) | instid1(VALU_DEP_3)
	v_add_f64 v[69:70], v[53:54], -v[59:60]
	v_add_f64 v[59:60], v[63:64], -v[59:60]
	v_add_f64 v[51:52], v[51:52], v[22:23]
	v_add_f64 v[23:24], v[24:25], -v[65:66]
	v_add_f64 v[25:26], v[53:54], -v[71:72]
	;; [unrolled: 1-line block ×3, first 2 shown]
	s_delay_alu instid0(VALU_DEP_4) | instskip(NEXT) | instid1(VALU_DEP_3)
	v_add_f64 v[67:68], v[57:58], v[51:52]
	v_add_f64 v[23:24], v[23:24], v[25:26]
	s_delay_alu instid0(VALU_DEP_3) | instskip(NEXT) | instid1(VALU_DEP_3)
	v_add_f64 v[59:60], v[59:60], v[63:64]
	v_cvt_i32_f64_e32 v43, v[67:68]
	s_delay_alu instid0(VALU_DEP_2) | instskip(NEXT) | instid1(VALU_DEP_2)
	v_add_f64 v[23:24], v[59:60], v[23:24]
	v_cvt_f64_i32_e32 v[53:54], v43
	s_delay_alu instid0(VALU_DEP_2) | instskip(NEXT) | instid1(VALU_DEP_2)
	v_add_f64 v[23:24], v[45:46], v[23:24]
	v_add_f64 v[25:26], v[51:52], -v[53:54]
	s_delay_alu instid0(VALU_DEP_2) | instskip(NEXT) | instid1(VALU_DEP_2)
	v_add_f64 v[46:47], v[47:48], v[23:24]
	v_add_f64 v[51:52], v[57:58], v[25:26]
	s_delay_alu instid0(VALU_DEP_1) | instskip(SKIP_1) | instid1(VALU_DEP_2)
	v_add_f64 v[25:26], v[51:52], -v[25:26]
	v_cmp_le_f64_e64 s3, 0.5, v[51:52]
	v_add_f64 v[24:25], v[57:58], -v[25:26]
	s_delay_alu instid0(VALU_DEP_2) | instskip(SKIP_1) | instid1(VALU_DEP_3)
	v_cndmask_b32_e64 v23, 0, 0x3ff00000, s3
	v_add_co_ci_u32_e64 v45, s4, 0, v43, s3
	v_add_f64 v[24:25], v[46:47], v[24:25]
	s_delay_alu instid0(VALU_DEP_3) | instskip(NEXT) | instid1(VALU_DEP_1)
	v_add_f64 v[46:47], v[51:52], -v[22:23]
	v_add_f64 v[48:49], v[46:47], v[24:25]
	s_delay_alu instid0(VALU_DEP_1) | instskip(SKIP_1) | instid1(VALU_DEP_2)
	v_mul_f64 v[50:51], v[48:49], s[16:17]
	v_add_f64 v[46:47], v[48:49], -v[46:47]
	v_fma_f64 v[52:53], v[48:49], s[16:17], -v[50:51]
	s_delay_alu instid0(VALU_DEP_2) | instskip(NEXT) | instid1(VALU_DEP_2)
	v_add_f64 v[23:24], v[24:25], -v[46:47]
	v_fma_f64 v[25:26], v[48:49], s[22:23], v[52:53]
	s_delay_alu instid0(VALU_DEP_1) | instskip(NEXT) | instid1(VALU_DEP_1)
	v_fma_f64 v[25:26], v[23:24], s[16:17], v[25:26]
	v_add_f64 v[23:24], v[50:51], v[25:26]
	s_delay_alu instid0(VALU_DEP_1) | instskip(NEXT) | instid1(VALU_DEP_1)
	v_add_f64 v[46:47], v[23:24], -v[50:51]
	v_add_f64 v[25:26], v[25:26], -v[46:47]
	s_and_not1_saveexec_b32 s3, s5
	s_cbranch_execnz .LBB132_302
	s_branch .LBB132_303
.LBB132_301:                            ;   in Loop: Header=BB132_185 Depth=1
	s_and_not1_saveexec_b32 s3, s5
	s_cbranch_execz .LBB132_303
.LBB132_302:                            ;   in Loop: Header=BB132_185 Depth=1
	v_mul_f64 v[23:24], |v[12:13]|, s[24:25]
	s_mov_b32 s20, s26
	s_delay_alu instid0(VALU_DEP_1) | instskip(NEXT) | instid1(VALU_DEP_1)
	v_rndne_f64_e32 v[45:46], v[23:24]
	v_fma_f64 v[23:24], v[45:46], s[18:19], |v[12:13]|
	v_mul_f64 v[25:26], v[45:46], s[26:27]
	s_delay_alu instid0(VALU_DEP_2) | instskip(NEXT) | instid1(VALU_DEP_2)
	v_fma_f64 v[49:50], v[45:46], s[26:27], v[23:24]
	v_add_f64 v[47:48], v[23:24], v[25:26]
	s_delay_alu instid0(VALU_DEP_1) | instskip(NEXT) | instid1(VALU_DEP_3)
	v_add_f64 v[23:24], v[23:24], -v[47:48]
	v_add_f64 v[47:48], v[47:48], -v[49:50]
	s_delay_alu instid0(VALU_DEP_2) | instskip(SKIP_1) | instid1(VALU_DEP_2)
	v_add_f64 v[23:24], v[23:24], v[25:26]
	v_fma_f64 v[25:26], v[45:46], s[20:21], v[25:26]
	v_add_f64 v[23:24], v[47:48], v[23:24]
	s_delay_alu instid0(VALU_DEP_1) | instskip(NEXT) | instid1(VALU_DEP_1)
	v_add_f64 v[23:24], v[23:24], -v[25:26]
	v_fma_f64 v[25:26], v[45:46], s[28:29], v[23:24]
	v_cvt_i32_f64_e32 v45, v[45:46]
	s_delay_alu instid0(VALU_DEP_2) | instskip(NEXT) | instid1(VALU_DEP_1)
	v_add_f64 v[23:24], v[49:50], v[25:26]
	v_add_f64 v[47:48], v[23:24], -v[49:50]
	s_delay_alu instid0(VALU_DEP_1)
	v_add_f64 v[25:26], v[25:26], -v[47:48]
.LBB132_303:                            ;   in Loop: Header=BB132_185 Depth=1
	s_or_b32 exec_lo, exec_lo, s3
	v_add_f64 v[10:11], v[10:11], s[78:79]
	v_mul_f64 v[52:53], v[18:19], v[18:19]
	v_mul_f64 v[54:55], v[23:24], v[23:24]
	s_mov_b32 s53, s51
	s_mov_b32 s81, s55
	s_delay_alu instid0(VALU_DEP_4)
	v_mul_f64 v[72:73], v[20:21], 0.5
	v_mul_f64 v[78:79], v[25:26], 0.5
	s_mov_b32 s82, s54
	v_cmp_class_f64_e64 s4, v[12:13], 0x1f8
	v_mul_f64 v[46:47], v[10:11], s[30:31]
	v_fma_f64 v[56:57], v[52:53], s[72:73], s[70:71]
	v_fma_f64 v[58:59], v[54:55], s[72:73], s[70:71]
	v_mul_f64 v[62:63], v[52:53], 0.5
	v_fma_f64 v[60:61], v[52:53], s[62:63], s[60:61]
	v_fma_f64 v[64:65], v[54:55], s[62:63], s[60:61]
	v_mul_f64 v[66:67], v[54:55], 0.5
	v_mul_f64 v[74:75], v[18:19], -v[52:53]
	v_mul_f64 v[80:81], v[23:24], -v[54:55]
	v_cmp_nlt_f64_e64 s5, 0x40900000, v[10:11]
	v_cmp_ngt_f64_e64 s6, 0xc090cc00, v[10:11]
	v_rndne_f64_e32 v[46:47], v[46:47]
	v_fma_f64 v[56:57], v[52:53], v[56:57], s[74:75]
	v_fma_f64 v[58:59], v[54:55], v[58:59], s[74:75]
	v_add_f64 v[68:69], -v[62:63], 1.0
	v_fma_f64 v[60:61], v[52:53], v[60:61], s[64:65]
	v_fma_f64 v[64:65], v[54:55], v[64:65], s[64:65]
	v_add_f64 v[70:71], -v[66:67], 1.0
	v_fma_f64 v[48:49], v[46:47], s[34:35], v[10:11]
	v_fma_f64 v[56:57], v[52:53], v[56:57], s[76:77]
	;; [unrolled: 1-line block ×3, first 2 shown]
	v_add_f64 v[76:77], -v[68:69], 1.0
	v_fma_f64 v[60:61], v[52:53], v[60:61], s[66:67]
	v_fma_f64 v[64:65], v[54:55], v[64:65], s[66:67]
	v_add_f64 v[82:83], -v[70:71], 1.0
	v_cvt_i32_f64_e32 v43, v[46:47]
	v_lshlrev_b32_e32 v10, 30, v45
	v_lshlrev_b32_e32 v11, 30, v44
	s_delay_alu instid0(VALU_DEP_2) | instskip(NEXT) | instid1(VALU_DEP_2)
	v_xor_b32_e32 v10, v10, v13
	v_and_b32_e32 v11, 0x80000000, v11
	v_fma_f64 v[48:49], v[46:47], s[36:37], v[48:49]
	v_fma_f64 v[56:57], v[52:53], v[56:57], s[50:51]
	;; [unrolled: 1-line block ×3, first 2 shown]
	v_add_f64 v[62:63], v[76:77], -v[62:63]
	v_fma_f64 v[60:61], v[52:53], v[60:61], s[68:69]
	v_fma_f64 v[64:65], v[54:55], v[64:65], s[68:69]
	v_add_f64 v[66:67], v[82:83], -v[66:67]
	v_fma_f64 v[50:51], v[48:49], s[40:41], s[38:39]
	v_fma_f64 v[56:57], v[74:75], v[56:57], v[72:73]
	;; [unrolled: 1-line block ×3, first 2 shown]
	v_fma_f64 v[62:63], v[18:19], -v[20:21], v[62:63]
	v_mul_f64 v[72:73], v[52:53], v[52:53]
	v_fma_f64 v[60:61], v[52:53], v[60:61], s[54:55]
	v_fma_f64 v[50:51], v[48:49], v[50:51], s[42:43]
	v_fma_f64 v[20:21], v[52:53], v[56:57], -v[20:21]
	v_mul_f64 v[52:53], v[54:55], v[54:55]
	v_fma_f64 v[56:57], v[54:55], v[64:65], s[54:55]
	v_fma_f64 v[64:65], v[23:24], -v[25:26], v[66:67]
	v_fma_f64 v[25:26], v[54:55], v[58:59], -v[25:26]
	v_fma_f64 v[54:55], v[72:73], v[60:61], v[62:63]
	v_fma_f64 v[50:51], v[48:49], v[50:51], s[44:45]
	v_fma_f64 v[20:21], v[74:75], s[82:83], v[20:21]
	s_delay_alu instid0(VALU_DEP_4) | instskip(NEXT) | instid1(VALU_DEP_3)
	v_fma_f64 v[25:26], v[80:81], s[82:83], v[25:26]
	v_fma_f64 v[50:51], v[48:49], v[50:51], s[46:47]
	s_delay_alu instid0(VALU_DEP_3) | instskip(NEXT) | instid1(VALU_DEP_3)
	v_add_f64 v[18:19], v[18:19], -v[20:21]
	v_add_f64 v[23:24], v[23:24], -v[25:26]
	v_and_b32_e32 v25, 1, v44
	s_delay_alu instid0(VALU_DEP_1) | instskip(SKIP_2) | instid1(VALU_DEP_2)
	v_cmp_eq_u32_e64 s3, 0, v25
	v_fma_f64 v[50:51], v[48:49], v[50:51], s[48:49]
	v_xor_b32_e32 v19, 0x80000000, v19
	v_fma_f64 v[50:51], v[48:49], v[50:51], s[52:53]
	s_delay_alu instid0(VALU_DEP_1) | instskip(NEXT) | instid1(VALU_DEP_1)
	v_fma_f64 v[50:51], v[48:49], v[50:51], s[80:81]
	v_fma_f64 v[50:51], v[48:49], v[50:51], s[56:57]
	s_delay_alu instid0(VALU_DEP_1) | instskip(NEXT) | instid1(VALU_DEP_1)
	v_fma_f64 v[50:51], v[48:49], v[50:51], s[58:59]
	v_fma_f64 v[50:51], v[48:49], v[50:51], 1.0
	s_delay_alu instid0(VALU_DEP_1) | instskip(SKIP_2) | instid1(VALU_DEP_3)
	v_fma_f64 v[46:47], v[48:49], v[50:51], 1.0
	v_fma_f64 v[48:49], v[52:53], v[56:57], v[64:65]
	v_add_f64 v[50:51], v[68:69], v[54:55]
	v_ldexp_f64 v[20:21], v[46:47], v43
	s_delay_alu instid0(VALU_DEP_3) | instskip(NEXT) | instid1(VALU_DEP_3)
	v_add_f64 v[46:47], v[70:71], v[48:49]
	v_cndmask_b32_e64 v13, v19, v51, s3
	v_and_b32_e32 v19, 0x80000000, v10
	v_cndmask_b32_e64 v18, v18, v50, s3
	s_and_b32 s3, s6, s5
	s_delay_alu instid0(VALU_DEP_3) | instskip(NEXT) | instid1(VALU_DEP_2)
	v_xor_b32_e32 v11, v13, v11
	v_cndmask_b32_e64 v10, 0, v18, s4
	s_delay_alu instid0(VALU_DEP_2) | instskip(SKIP_4) | instid1(VALU_DEP_3)
	v_cndmask_b32_e64 v11, 0x7ff80000, v11, s4
	v_cndmask_b32_e64 v12, 0x7ff00000, v21, s5
	v_and_b32_e32 v21, 1, v45
	v_cndmask_b32_e64 v18, 0, v20, s3
	v_mov_b32_e32 v20, v22
	v_cmp_eq_u32_e64 s7, 0, v21
	s_delay_alu instid0(VALU_DEP_1) | instskip(SKIP_2) | instid1(VALU_DEP_3)
	v_cndmask_b32_e64 v21, v46, v23, s7
	v_cndmask_b32_e64 v23, v47, v24, s7
	;; [unrolled: 1-line block ×4, first 2 shown]
	s_delay_alu instid0(VALU_DEP_3) | instskip(NEXT) | instid1(VALU_DEP_3)
	v_xor_b32_e32 v13, v23, v19
	v_and_or_b32 v19, v24, s89, 0x7fe00000
	s_delay_alu instid0(VALU_DEP_2) | instskip(NEXT) | instid1(VALU_DEP_2)
	v_cndmask_b32_e64 v13, 0x7ff80000, v13, s4
	v_mul_f64 v[10:11], v[18:19], v[10:11]
	s_delay_alu instid0(VALU_DEP_2) | instskip(SKIP_1) | instid1(VALU_DEP_1)
	v_mul_f64 v[12:13], v[18:19], v[12:13]
	v_lshrrev_b32_e32 v18, 20, v24
	v_add_nc_u32_e32 v18, 0xffffff09, v18
	s_delay_alu instid0(VALU_DEP_1) | instskip(NEXT) | instid1(VALU_DEP_1)
	v_lshrrev_b16 v19, 15, v18
	v_add_nc_u16 v19, v18, v19
	s_delay_alu instid0(VALU_DEP_1) | instskip(NEXT) | instid1(VALU_DEP_1)
	v_ashrrev_i16 v19, 1, v19
	v_bfe_i32 v19, v19, 0, 16
	s_delay_alu instid0(VALU_DEP_1) | instskip(SKIP_1) | instid1(VALU_DEP_2)
	v_lshl_add_u32 v23, v19, 20, 0x3ff00000
	v_sub_nc_u32_e32 v18, v18, v19
	v_mul_f64 v[10:11], v[10:11], v[22:23]
	s_delay_alu instid0(VALU_DEP_2) | instskip(SKIP_1) | instid1(VALU_DEP_2)
	v_lshl_add_u32 v21, v18, 20, 0x3ff00000
	v_mul_f64 v[12:13], v[12:13], v[22:23]
	v_mul_f64 v[18:19], v[10:11], v[20:21]
	s_delay_alu instid0(VALU_DEP_2)
	v_mul_f64 v[20:21], v[12:13], v[20:21]
.LBB132_304:                            ;   in Loop: Header=BB132_185 Depth=1
	s_or_b32 exec_lo, exec_lo, s92
                                        ; implicit-def: $vgpr10_vgpr11
                                        ; implicit-def: $vgpr23
.LBB132_305:                            ;   in Loop: Header=BB132_185 Depth=1
	s_and_not1_saveexec_b32 s5, s91
	s_cbranch_execz .LBB132_311
; %bb.306:                              ;   in Loop: Header=BB132_185 Depth=1
	v_cmp_ne_u32_e64 s3, 0, v10
	v_cmp_ne_u32_e64 s4, 0x7ff00000, v23
                                        ; implicit-def: $vgpr20_vgpr21
	s_delay_alu instid0(VALU_DEP_1) | instskip(NEXT) | instid1(SALU_CYCLE_1)
	s_or_b32 s3, s3, s4
	s_and_saveexec_b32 s4, s3
	s_delay_alu instid0(SALU_CYCLE_1)
	s_xor_b32 s3, exec_lo, s4
; %bb.307:                              ;   in Loop: Header=BB132_185 Depth=1
	v_add_f64 v[20:21], v[12:13], -v[12:13]
                                        ; implicit-def: $vgpr10_vgpr11
; %bb.308:                              ;   in Loop: Header=BB132_185 Depth=1
	s_or_saveexec_b32 s4, s3
	s_delay_alu instid0(VALU_DEP_1)
	v_dual_mov_b32 v18, v20 :: v_dual_mov_b32 v19, v21
	s_xor_b32 exec_lo, exec_lo, s4
; %bb.309:                              ;   in Loop: Header=BB132_185 Depth=1
	v_add_f64 v[12:13], v[12:13], -v[12:13]
	v_cmp_lt_i64_e64 s3, -1, v[10:11]
	s_delay_alu instid0(VALU_DEP_1) | instskip(SKIP_1) | instid1(VALU_DEP_4)
	v_cndmask_b32_e64 v19, 0, v11, s3
	v_cndmask_b32_e64 v18, 0, v10, s3
	;; [unrolled: 1-line block ×4, first 2 shown]
; %bb.310:                              ;   in Loop: Header=BB132_185 Depth=1
	s_or_b32 exec_lo, exec_lo, s4
.LBB132_311:                            ;   in Loop: Header=BB132_185 Depth=1
	s_delay_alu instid0(SALU_CYCLE_1)
	s_or_b32 exec_lo, exec_lo, s5
                                        ; implicit-def: $vgpr12_vgpr13
                                        ; implicit-def: $vgpr43
.LBB132_312:                            ;   in Loop: Header=BB132_185 Depth=1
	s_and_not1_saveexec_b32 s6, s90
	s_cbranch_execz .LBB132_322
; %bb.313:                              ;   in Loop: Header=BB132_185 Depth=1
	v_cmp_ngt_f64_e64 s5, 0x41d00000, |v[12:13]|
                                        ; implicit-def: $vgpr25
                                        ; implicit-def: $vgpr10_vgpr11
                                        ; implicit-def: $vgpr18_vgpr19
	s_delay_alu instid0(VALU_DEP_1) | instskip(NEXT) | instid1(SALU_CYCLE_1)
	s_and_saveexec_b32 s3, s5
	s_xor_b32 s7, exec_lo, s3
	s_cbranch_execz .LBB132_315
; %bb.314:                              ;   in Loop: Header=BB132_185 Depth=1
	v_ldexp_f64 v[10:11], |v[12:13]|, 0xffffff80
	v_cmp_le_f64_e64 s3, 0x7b000000, |v[12:13]|
	v_trig_preop_f64 v[18:19], |v[12:13]|, 0
	v_trig_preop_f64 v[20:21], |v[12:13]|, 1
	;; [unrolled: 1-line block ×3, first 2 shown]
	s_mov_b32 s16, s18
	s_mov_b32 s23, s21
	s_delay_alu instid0(VALU_DEP_4) | instskip(SKIP_1) | instid1(VALU_DEP_1)
	v_cndmask_b32_e64 v11, v43, v11, s3
	v_cndmask_b32_e64 v10, v12, v10, s3
	v_mul_f64 v[23:24], v[18:19], v[10:11]
	v_mul_f64 v[25:26], v[20:21], v[10:11]
	;; [unrolled: 1-line block ×3, first 2 shown]
	s_delay_alu instid0(VALU_DEP_3) | instskip(NEXT) | instid1(VALU_DEP_3)
	v_fma_f64 v[18:19], v[18:19], v[10:11], -v[23:24]
	v_fma_f64 v[20:21], v[20:21], v[10:11], -v[25:26]
	s_delay_alu instid0(VALU_DEP_3) | instskip(NEXT) | instid1(VALU_DEP_3)
	v_fma_f64 v[10:11], v[48:49], v[10:11], -v[54:55]
	v_add_f64 v[44:45], v[25:26], v[18:19]
	s_delay_alu instid0(VALU_DEP_1) | instskip(SKIP_1) | instid1(VALU_DEP_2)
	v_add_f64 v[46:47], v[44:45], -v[25:26]
	v_add_f64 v[52:53], v[23:24], v[44:45]
	v_add_f64 v[50:51], v[44:45], -v[46:47]
	v_add_f64 v[18:19], v[18:19], -v[46:47]
	s_delay_alu instid0(VALU_DEP_3) | instskip(SKIP_1) | instid1(VALU_DEP_4)
	v_ldexp_f64 v[46:47], v[52:53], -2
	v_add_f64 v[23:24], v[52:53], -v[23:24]
	v_add_f64 v[25:26], v[25:26], -v[50:51]
	v_add_f64 v[50:51], v[54:55], v[20:21]
	s_delay_alu instid0(VALU_DEP_4) | instskip(NEXT) | instid1(VALU_DEP_4)
	v_cmp_neq_f64_e64 s3, 0x7ff00000, |v[46:47]|
	v_add_f64 v[44:45], v[44:45], -v[23:24]
	s_delay_alu instid0(VALU_DEP_4) | instskip(SKIP_1) | instid1(VALU_DEP_2)
	v_add_f64 v[18:19], v[18:19], v[25:26]
	v_fract_f64_e32 v[25:26], v[46:47]
	v_add_f64 v[46:47], v[50:51], v[18:19]
	s_delay_alu instid0(VALU_DEP_2) | instskip(NEXT) | instid1(VALU_DEP_3)
	v_cndmask_b32_e64 v24, 0, v26, s3
	v_cndmask_b32_e64 v23, 0, v25, s3
	s_delay_alu instid0(VALU_DEP_1) | instskip(NEXT) | instid1(VALU_DEP_4)
	v_ldexp_f64 v[24:25], v[23:24], 2
	v_add_f64 v[52:53], v[44:45], v[46:47]
	s_delay_alu instid0(VALU_DEP_1) | instskip(NEXT) | instid1(VALU_DEP_1)
	v_add_f64 v[56:57], v[52:53], v[24:25]
	v_cmp_gt_f64_e64 s3, 0, v[56:57]
	v_add_f64 v[56:57], v[46:47], -v[50:51]
	s_delay_alu instid0(VALU_DEP_2) | instskip(NEXT) | instid1(VALU_DEP_2)
	v_cndmask_b32_e64 v23, 0, 0x40100000, s3
	v_add_f64 v[62:63], v[46:47], -v[56:57]
	v_add_f64 v[18:19], v[18:19], -v[56:57]
	s_delay_alu instid0(VALU_DEP_3) | instskip(SKIP_1) | instid1(VALU_DEP_2)
	v_add_f64 v[23:24], v[24:25], v[22:23]
	v_add_f64 v[25:26], v[50:51], -v[54:55]
	v_add_f64 v[58:59], v[52:53], v[23:24]
	s_delay_alu instid0(VALU_DEP_2) | instskip(SKIP_2) | instid1(VALU_DEP_4)
	v_add_f64 v[60:61], v[50:51], -v[25:26]
	v_add_f64 v[20:21], v[20:21], -v[25:26]
	;; [unrolled: 1-line block ×3, first 2 shown]
	v_cvt_i32_f64_e32 v58, v[58:59]
	s_delay_alu instid0(VALU_DEP_4) | instskip(NEXT) | instid1(VALU_DEP_3)
	v_add_f64 v[25:26], v[54:55], -v[60:61]
	v_add_f64 v[18:19], v[18:19], v[50:51]
	s_delay_alu instid0(VALU_DEP_3) | instskip(NEXT) | instid1(VALU_DEP_3)
	v_cvt_f64_i32_e32 v[56:57], v58
	v_add_f64 v[20:21], v[20:21], v[25:26]
	v_add_f64 v[25:26], v[52:53], -v[44:45]
	s_delay_alu instid0(VALU_DEP_3) | instskip(NEXT) | instid1(VALU_DEP_3)
	v_add_f64 v[23:24], v[23:24], -v[56:57]
	v_add_f64 v[18:19], v[20:21], v[18:19]
	s_delay_alu instid0(VALU_DEP_3) | instskip(NEXT) | instid1(VALU_DEP_3)
	v_add_f64 v[25:26], v[46:47], -v[25:26]
	v_add_f64 v[20:21], v[52:53], v[23:24]
	s_delay_alu instid0(VALU_DEP_3) | instskip(NEXT) | instid1(VALU_DEP_2)
	v_add_f64 v[10:11], v[10:11], v[18:19]
	v_add_f64 v[18:19], v[20:21], -v[23:24]
	v_cmp_le_f64_e64 s3, 0.5, v[20:21]
	s_delay_alu instid0(VALU_DEP_3) | instskip(NEXT) | instid1(VALU_DEP_3)
	v_add_f64 v[10:11], v[25:26], v[10:11]
	v_add_f64 v[18:19], v[52:53], -v[18:19]
	s_delay_alu instid0(VALU_DEP_3) | instskip(SKIP_1) | instid1(VALU_DEP_3)
	v_cndmask_b32_e64 v23, 0, 0x3ff00000, s3
	v_add_co_ci_u32_e64 v25, s4, 0, v58, s3
	v_add_f64 v[10:11], v[10:11], v[18:19]
	s_delay_alu instid0(VALU_DEP_3) | instskip(NEXT) | instid1(VALU_DEP_1)
	v_add_f64 v[18:19], v[20:21], -v[22:23]
	v_add_f64 v[20:21], v[18:19], v[10:11]
	s_delay_alu instid0(VALU_DEP_1) | instskip(SKIP_1) | instid1(VALU_DEP_2)
	v_mul_f64 v[23:24], v[20:21], s[16:17]
	v_add_f64 v[18:19], v[20:21], -v[18:19]
	v_fma_f64 v[44:45], v[20:21], s[16:17], -v[23:24]
	s_delay_alu instid0(VALU_DEP_2) | instskip(NEXT) | instid1(VALU_DEP_2)
	v_add_f64 v[10:11], v[10:11], -v[18:19]
	v_fma_f64 v[18:19], v[20:21], s[22:23], v[44:45]
	s_delay_alu instid0(VALU_DEP_1) | instskip(NEXT) | instid1(VALU_DEP_1)
	v_fma_f64 v[18:19], v[10:11], s[16:17], v[18:19]
	v_add_f64 v[10:11], v[23:24], v[18:19]
	s_delay_alu instid0(VALU_DEP_1) | instskip(NEXT) | instid1(VALU_DEP_1)
	v_add_f64 v[20:21], v[10:11], -v[23:24]
	v_add_f64 v[18:19], v[18:19], -v[20:21]
	s_and_not1_saveexec_b32 s3, s7
	s_cbranch_execz .LBB132_317
	s_branch .LBB132_316
.LBB132_315:                            ;   in Loop: Header=BB132_185 Depth=1
	s_and_not1_saveexec_b32 s3, s7
	s_cbranch_execz .LBB132_317
.LBB132_316:                            ;   in Loop: Header=BB132_185 Depth=1
	v_mul_f64 v[10:11], |v[12:13]|, s[24:25]
	s_mov_b32 s20, s26
	s_delay_alu instid0(VALU_DEP_1) | instskip(NEXT) | instid1(VALU_DEP_1)
	v_rndne_f64_e32 v[20:21], v[10:11]
	v_fma_f64 v[10:11], v[20:21], s[18:19], |v[12:13]|
	v_mul_f64 v[18:19], v[20:21], s[26:27]
	s_delay_alu instid0(VALU_DEP_2) | instskip(NEXT) | instid1(VALU_DEP_2)
	v_fma_f64 v[25:26], v[20:21], s[26:27], v[10:11]
	v_add_f64 v[23:24], v[10:11], v[18:19]
	s_delay_alu instid0(VALU_DEP_1) | instskip(NEXT) | instid1(VALU_DEP_3)
	v_add_f64 v[10:11], v[10:11], -v[23:24]
	v_add_f64 v[23:24], v[23:24], -v[25:26]
	s_delay_alu instid0(VALU_DEP_2) | instskip(SKIP_1) | instid1(VALU_DEP_2)
	v_add_f64 v[10:11], v[10:11], v[18:19]
	v_fma_f64 v[18:19], v[20:21], s[20:21], v[18:19]
	v_add_f64 v[10:11], v[23:24], v[10:11]
	s_delay_alu instid0(VALU_DEP_1) | instskip(NEXT) | instid1(VALU_DEP_1)
	v_add_f64 v[10:11], v[10:11], -v[18:19]
	v_fma_f64 v[18:19], v[20:21], s[28:29], v[10:11]
	s_delay_alu instid0(VALU_DEP_1) | instskip(NEXT) | instid1(VALU_DEP_1)
	v_add_f64 v[10:11], v[25:26], v[18:19]
	v_add_f64 v[23:24], v[10:11], -v[25:26]
	v_cvt_i32_f64_e32 v25, v[20:21]
	s_delay_alu instid0(VALU_DEP_2)
	v_add_f64 v[18:19], v[18:19], -v[23:24]
.LBB132_317:                            ;   in Loop: Header=BB132_185 Depth=1
	s_or_b32 exec_lo, exec_lo, s3
                                        ; implicit-def: $vgpr26
                                        ; implicit-def: $vgpr20_vgpr21
                                        ; implicit-def: $vgpr23_vgpr24
	s_and_saveexec_b32 s3, s5
	s_delay_alu instid0(SALU_CYCLE_1)
	s_xor_b32 s5, exec_lo, s3
	s_cbranch_execz .LBB132_319
; %bb.318:                              ;   in Loop: Header=BB132_185 Depth=1
	v_ldexp_f64 v[20:21], |v[12:13]|, 0xffffff80
	v_cmp_le_f64_e64 s3, 0x7b000000, |v[12:13]|
	v_trig_preop_f64 v[23:24], |v[12:13]|, 0
	v_trig_preop_f64 v[53:54], |v[12:13]|, 2
	s_mov_b32 s16, s18
	s_mov_b32 s23, s21
	s_delay_alu instid0(VALU_DEP_3) | instskip(SKIP_2) | instid1(VALU_DEP_2)
	v_cndmask_b32_e64 v21, v43, v21, s3
	v_cndmask_b32_e64 v20, v12, v20, s3
	v_trig_preop_f64 v[43:44], |v[12:13]|, 1
	v_mul_f64 v[45:46], v[23:24], v[20:21]
	v_mul_f64 v[59:60], v[53:54], v[20:21]
	s_delay_alu instid0(VALU_DEP_3) | instskip(NEXT) | instid1(VALU_DEP_3)
	v_mul_f64 v[47:48], v[43:44], v[20:21]
	v_fma_f64 v[23:24], v[23:24], v[20:21], -v[45:46]
	s_delay_alu instid0(VALU_DEP_2) | instskip(NEXT) | instid1(VALU_DEP_4)
	v_fma_f64 v[43:44], v[43:44], v[20:21], -v[47:48]
	v_fma_f64 v[20:21], v[53:54], v[20:21], -v[59:60]
	s_delay_alu instid0(VALU_DEP_3) | instskip(NEXT) | instid1(VALU_DEP_1)
	v_add_f64 v[49:50], v[47:48], v[23:24]
	v_add_f64 v[51:52], v[49:50], -v[47:48]
	v_add_f64 v[57:58], v[45:46], v[49:50]
	s_delay_alu instid0(VALU_DEP_2) | instskip(SKIP_1) | instid1(VALU_DEP_3)
	v_add_f64 v[55:56], v[49:50], -v[51:52]
	v_add_f64 v[23:24], v[23:24], -v[51:52]
	v_ldexp_f64 v[51:52], v[57:58], -2
	v_add_f64 v[45:46], v[57:58], -v[45:46]
	s_delay_alu instid0(VALU_DEP_4) | instskip(SKIP_1) | instid1(VALU_DEP_4)
	v_add_f64 v[47:48], v[47:48], -v[55:56]
	v_add_f64 v[55:56], v[59:60], v[43:44]
	v_cmp_neq_f64_e64 s3, 0x7ff00000, |v[51:52]|
	s_delay_alu instid0(VALU_DEP_4) | instskip(NEXT) | instid1(VALU_DEP_4)
	v_add_f64 v[45:46], v[49:50], -v[45:46]
	v_add_f64 v[47:48], v[23:24], v[47:48]
	v_fract_f64_e32 v[23:24], v[51:52]
	s_delay_alu instid0(VALU_DEP_2) | instskip(NEXT) | instid1(VALU_DEP_2)
	v_add_f64 v[49:50], v[55:56], v[47:48]
	v_cndmask_b32_e64 v24, 0, v24, s3
	s_delay_alu instid0(VALU_DEP_3) | instskip(NEXT) | instid1(VALU_DEP_1)
	v_cndmask_b32_e64 v23, 0, v23, s3
	v_ldexp_f64 v[51:52], v[23:24], 2
	s_delay_alu instid0(VALU_DEP_4) | instskip(SKIP_1) | instid1(VALU_DEP_2)
	v_add_f64 v[57:58], v[45:46], v[49:50]
	v_add_f64 v[61:62], v[49:50], -v[55:56]
	v_add_f64 v[23:24], v[57:58], v[51:52]
	s_delay_alu instid0(VALU_DEP_2) | instskip(SKIP_2) | instid1(VALU_DEP_4)
	v_add_f64 v[67:68], v[49:50], -v[61:62]
	v_add_f64 v[47:48], v[47:48], -v[61:62]
	v_add_f64 v[45:46], v[57:58], -v[45:46]
	v_cmp_gt_f64_e64 s3, 0, v[23:24]
	s_delay_alu instid0(VALU_DEP_2) | instskip(NEXT) | instid1(VALU_DEP_2)
	v_add_f64 v[45:46], v[49:50], -v[45:46]
	v_cndmask_b32_e64 v23, 0, 0x40100000, s3
	s_delay_alu instid0(VALU_DEP_1) | instskip(SKIP_1) | instid1(VALU_DEP_2)
	v_add_f64 v[23:24], v[51:52], v[22:23]
	v_add_f64 v[51:52], v[55:56], -v[59:60]
	v_add_f64 v[63:64], v[57:58], v[23:24]
	s_delay_alu instid0(VALU_DEP_2) | instskip(SKIP_2) | instid1(VALU_DEP_4)
	v_add_f64 v[65:66], v[55:56], -v[51:52]
	v_add_f64 v[43:44], v[43:44], -v[51:52]
	v_add_f64 v[55:56], v[55:56], -v[67:68]
	v_cvt_i32_f64_e32 v26, v[63:64]
	s_delay_alu instid0(VALU_DEP_4) | instskip(NEXT) | instid1(VALU_DEP_3)
	v_add_f64 v[51:52], v[59:60], -v[65:66]
	v_add_f64 v[47:48], v[47:48], v[55:56]
	s_delay_alu instid0(VALU_DEP_3) | instskip(NEXT) | instid1(VALU_DEP_3)
	v_cvt_f64_i32_e32 v[61:62], v26
	v_add_f64 v[43:44], v[43:44], v[51:52]
	s_delay_alu instid0(VALU_DEP_2) | instskip(NEXT) | instid1(VALU_DEP_2)
	v_add_f64 v[23:24], v[23:24], -v[61:62]
	v_add_f64 v[43:44], v[43:44], v[47:48]
	s_delay_alu instid0(VALU_DEP_2) | instskip(NEXT) | instid1(VALU_DEP_2)
	v_add_f64 v[47:48], v[57:58], v[23:24]
	v_add_f64 v[20:21], v[20:21], v[43:44]
	s_delay_alu instid0(VALU_DEP_2) | instskip(SKIP_1) | instid1(VALU_DEP_3)
	v_add_f64 v[23:24], v[47:48], -v[23:24]
	v_cmp_le_f64_e64 s3, 0.5, v[47:48]
	v_add_f64 v[20:21], v[45:46], v[20:21]
	s_delay_alu instid0(VALU_DEP_3) | instskip(NEXT) | instid1(VALU_DEP_3)
	v_add_f64 v[43:44], v[57:58], -v[23:24]
	v_cndmask_b32_e64 v23, 0, 0x3ff00000, s3
	v_add_co_ci_u32_e64 v26, s4, 0, v26, s3
	s_delay_alu instid0(VALU_DEP_2) | instskip(NEXT) | instid1(VALU_DEP_4)
	v_add_f64 v[23:24], v[47:48], -v[22:23]
	v_add_f64 v[20:21], v[20:21], v[43:44]
	s_delay_alu instid0(VALU_DEP_1) | instskip(NEXT) | instid1(VALU_DEP_1)
	v_add_f64 v[43:44], v[23:24], v[20:21]
	v_mul_f64 v[45:46], v[43:44], s[16:17]
	v_add_f64 v[23:24], v[43:44], -v[23:24]
	s_delay_alu instid0(VALU_DEP_2) | instskip(NEXT) | instid1(VALU_DEP_2)
	v_fma_f64 v[47:48], v[43:44], s[16:17], -v[45:46]
	v_add_f64 v[20:21], v[20:21], -v[23:24]
	s_delay_alu instid0(VALU_DEP_2) | instskip(NEXT) | instid1(VALU_DEP_1)
	v_fma_f64 v[23:24], v[43:44], s[22:23], v[47:48]
	v_fma_f64 v[23:24], v[20:21], s[16:17], v[23:24]
	s_delay_alu instid0(VALU_DEP_1) | instskip(NEXT) | instid1(VALU_DEP_1)
	v_add_f64 v[20:21], v[45:46], v[23:24]
	v_add_f64 v[43:44], v[20:21], -v[45:46]
	s_delay_alu instid0(VALU_DEP_1)
	v_add_f64 v[23:24], v[23:24], -v[43:44]
	s_and_not1_saveexec_b32 s3, s5
	s_cbranch_execnz .LBB132_320
	s_branch .LBB132_321
.LBB132_319:                            ;   in Loop: Header=BB132_185 Depth=1
	s_and_not1_saveexec_b32 s3, s5
	s_cbranch_execz .LBB132_321
.LBB132_320:                            ;   in Loop: Header=BB132_185 Depth=1
	v_mul_f64 v[20:21], |v[12:13]|, s[24:25]
	s_mov_b32 s20, s26
	s_delay_alu instid0(VALU_DEP_1) | instskip(NEXT) | instid1(VALU_DEP_1)
	v_rndne_f64_e32 v[43:44], v[20:21]
	v_fma_f64 v[20:21], v[43:44], s[18:19], |v[12:13]|
	v_mul_f64 v[23:24], v[43:44], s[26:27]
	v_cvt_i32_f64_e32 v26, v[43:44]
	s_delay_alu instid0(VALU_DEP_3) | instskip(NEXT) | instid1(VALU_DEP_3)
	v_fma_f64 v[47:48], v[43:44], s[26:27], v[20:21]
	v_add_f64 v[45:46], v[20:21], v[23:24]
	s_delay_alu instid0(VALU_DEP_1) | instskip(NEXT) | instid1(VALU_DEP_3)
	v_add_f64 v[20:21], v[20:21], -v[45:46]
	v_add_f64 v[45:46], v[45:46], -v[47:48]
	s_delay_alu instid0(VALU_DEP_2) | instskip(SKIP_1) | instid1(VALU_DEP_2)
	v_add_f64 v[20:21], v[20:21], v[23:24]
	v_fma_f64 v[23:24], v[43:44], s[20:21], v[23:24]
	v_add_f64 v[20:21], v[45:46], v[20:21]
	s_delay_alu instid0(VALU_DEP_1) | instskip(NEXT) | instid1(VALU_DEP_1)
	v_add_f64 v[20:21], v[20:21], -v[23:24]
	v_fma_f64 v[23:24], v[43:44], s[28:29], v[20:21]
	s_delay_alu instid0(VALU_DEP_1) | instskip(NEXT) | instid1(VALU_DEP_1)
	v_add_f64 v[20:21], v[47:48], v[23:24]
	v_add_f64 v[45:46], v[20:21], -v[47:48]
	s_delay_alu instid0(VALU_DEP_1)
	v_add_f64 v[23:24], v[23:24], -v[45:46]
.LBB132_321:                            ;   in Loop: Header=BB132_185 Depth=1
	s_or_b32 exec_lo, exec_lo, s3
	v_mul_f64 v[43:44], v[10:11], v[10:11]
	s_delay_alu instid0(VALU_DEP_3) | instskip(NEXT) | instid1(VALU_DEP_3)
	v_mul_f64 v[45:46], v[20:21], v[20:21]
	v_mul_f64 v[63:64], v[18:19], 0.5
	s_delay_alu instid0(VALU_DEP_4) | instskip(SKIP_3) | instid1(VALU_DEP_1)
	v_mul_f64 v[69:70], v[23:24], 0.5
	s_mov_b32 s82, s54
	v_cmp_class_f64_e64 s4, v[12:13], 0x1f8
	v_lshlrev_b32_e32 v12, 30, v26
	v_xor_b32_e32 v12, v12, v13
	s_delay_alu instid0(VALU_DEP_1)
	v_and_b32_e32 v12, 0x80000000, v12
	v_fma_f64 v[47:48], v[43:44], s[72:73], s[70:71]
	v_fma_f64 v[49:50], v[45:46], s[72:73], s[70:71]
	v_mul_f64 v[53:54], v[43:44], 0.5
	v_fma_f64 v[51:52], v[43:44], s[62:63], s[60:61]
	v_fma_f64 v[55:56], v[45:46], s[62:63], s[60:61]
	v_mul_f64 v[57:58], v[45:46], 0.5
	v_mul_f64 v[65:66], v[10:11], -v[43:44]
	v_mul_f64 v[71:72], v[20:21], -v[45:46]
	v_fma_f64 v[47:48], v[43:44], v[47:48], s[74:75]
	v_fma_f64 v[49:50], v[45:46], v[49:50], s[74:75]
	v_add_f64 v[59:60], -v[53:54], 1.0
	v_fma_f64 v[51:52], v[43:44], v[51:52], s[64:65]
	v_fma_f64 v[55:56], v[45:46], v[55:56], s[64:65]
	v_add_f64 v[61:62], -v[57:58], 1.0
	;; [unrolled: 3-line block ×4, first 2 shown]
	v_fma_f64 v[47:48], v[43:44], v[47:48], s[50:51]
	v_fma_f64 v[49:50], v[45:46], v[49:50], s[50:51]
	v_add_f64 v[53:54], v[67:68], -v[53:54]
	v_fma_f64 v[51:52], v[43:44], v[51:52], s[68:69]
	v_fma_f64 v[55:56], v[45:46], v[55:56], s[68:69]
	v_add_f64 v[57:58], v[73:74], -v[57:58]
	v_fma_f64 v[47:48], v[65:66], v[47:48], v[63:64]
	v_fma_f64 v[49:50], v[71:72], v[49:50], v[69:70]
	v_fma_f64 v[53:54], v[10:11], -v[18:19], v[53:54]
	v_mul_f64 v[63:64], v[43:44], v[43:44]
	v_fma_f64 v[51:52], v[43:44], v[51:52], s[54:55]
	v_fma_f64 v[18:19], v[43:44], v[47:48], -v[18:19]
	v_mul_f64 v[43:44], v[45:46], v[45:46]
	v_fma_f64 v[47:48], v[45:46], v[55:56], s[54:55]
	v_fma_f64 v[55:56], v[20:21], -v[23:24], v[57:58]
	v_fma_f64 v[23:24], v[45:46], v[49:50], -v[23:24]
	v_fma_f64 v[45:46], v[63:64], v[51:52], v[53:54]
	v_fma_f64 v[18:19], v[65:66], s[82:83], v[18:19]
	s_delay_alu instid0(VALU_DEP_4) | instskip(NEXT) | instid1(VALU_DEP_4)
	v_fma_f64 v[43:44], v[43:44], v[47:48], v[55:56]
	v_fma_f64 v[23:24], v[71:72], s[82:83], v[23:24]
	s_delay_alu instid0(VALU_DEP_4) | instskip(NEXT) | instid1(VALU_DEP_4)
	v_add_f64 v[45:46], v[59:60], v[45:46]
	v_add_f64 v[10:11], v[10:11], -v[18:19]
	s_delay_alu instid0(VALU_DEP_4) | instskip(NEXT) | instid1(VALU_DEP_4)
	v_add_f64 v[18:19], v[61:62], v[43:44]
	v_add_f64 v[20:21], v[20:21], -v[23:24]
	v_and_b32_e32 v23, 1, v25
	v_lshlrev_b32_e32 v24, 30, v25
	s_delay_alu instid0(VALU_DEP_2) | instskip(SKIP_1) | instid1(VALU_DEP_3)
	v_cmp_eq_u32_e64 s3, 0, v23
	v_and_b32_e32 v23, 1, v26
	v_and_b32_e32 v13, 0x80000000, v24
	s_delay_alu instid0(VALU_DEP_2) | instskip(SKIP_2) | instid1(VALU_DEP_3)
	v_cmp_eq_u32_e64 s5, 0, v23
	v_xor_b32_e32 v11, 0x80000000, v11
	v_cndmask_b32_e64 v10, v10, v45, s3
	v_cndmask_b32_e64 v20, v18, v20, s5
	s_delay_alu instid0(VALU_DEP_3) | instskip(SKIP_1) | instid1(VALU_DEP_3)
	v_cndmask_b32_e64 v11, v11, v46, s3
	v_cndmask_b32_e64 v18, v19, v21, s5
	;; [unrolled: 1-line block ×3, first 2 shown]
	s_delay_alu instid0(VALU_DEP_3) | instskip(NEXT) | instid1(VALU_DEP_3)
	v_xor_b32_e32 v11, v11, v13
	v_xor_b32_e32 v12, v18, v12
	v_cndmask_b32_e64 v18, 0, v10, s4
	s_delay_alu instid0(VALU_DEP_3) | instskip(NEXT) | instid1(VALU_DEP_3)
	v_cndmask_b32_e64 v19, 0x7ff80000, v11, s4
	v_cndmask_b32_e64 v21, 0x7ff80000, v12, s4
.LBB132_322:                            ;   in Loop: Header=BB132_185 Depth=1
	s_or_b32 exec_lo, exec_lo, s6
                                        ; implicit-def: $vgpr10_vgpr11
.LBB132_323:                            ;   in Loop: Header=BB132_185 Depth=1
	s_and_not1_saveexec_b32 s5, s13
	s_cbranch_execz .LBB132_325
; %bb.324:                              ;   in Loop: Header=BB132_185 Depth=1
	v_mul_f64 v[18:19], v[10:11], s[30:31]
	s_mov_b32 s53, s51
	s_mov_b32 s81, s55
	v_cmp_nlt_f64_e64 s3, 0x40900000, v[10:11]
	v_cmp_ngt_f64_e64 s4, 0xc090cc00, v[10:11]
	s_delay_alu instid0(VALU_DEP_3) | instskip(NEXT) | instid1(VALU_DEP_1)
	v_rndne_f64_e32 v[18:19], v[18:19]
	v_fma_f64 v[20:21], v[18:19], s[34:35], v[10:11]
	v_cvt_i32_f64_e32 v25, v[18:19]
	s_delay_alu instid0(VALU_DEP_2) | instskip(NEXT) | instid1(VALU_DEP_1)
	v_fma_f64 v[20:21], v[18:19], s[36:37], v[20:21]
	v_fma_f64 v[23:24], v[20:21], s[40:41], s[38:39]
	s_delay_alu instid0(VALU_DEP_1) | instskip(NEXT) | instid1(VALU_DEP_1)
	v_fma_f64 v[23:24], v[20:21], v[23:24], s[42:43]
	v_fma_f64 v[23:24], v[20:21], v[23:24], s[44:45]
	s_delay_alu instid0(VALU_DEP_1) | instskip(NEXT) | instid1(VALU_DEP_1)
	;; [unrolled: 3-line block ×5, first 2 shown]
	v_fma_f64 v[23:24], v[20:21], v[23:24], 1.0
	v_fma_f64 v[18:19], v[20:21], v[23:24], 1.0
	v_dual_mov_b32 v21, v13 :: v_dual_mov_b32 v20, v12
	s_delay_alu instid0(VALU_DEP_2) | instskip(NEXT) | instid1(VALU_DEP_1)
	v_ldexp_f64 v[18:19], v[18:19], v25
	v_cndmask_b32_e64 v19, 0x7ff00000, v19, s3
	s_and_b32 s3, s4, s3
	s_delay_alu instid0(VALU_DEP_2) | instid1(SALU_CYCLE_1)
	v_cndmask_b32_e64 v18, 0, v18, s3
	s_delay_alu instid0(VALU_DEP_2)
	v_cndmask_b32_e64 v19, 0, v19, s4
.LBB132_325:                            ;   in Loop: Header=BB132_185 Depth=1
	s_or_b32 exec_lo, exec_lo, s5
	v_and_b32_e32 v43, 0x7fffffff, v5
                                        ; implicit-def: $vgpr12_vgpr13
	s_mov_b32 s4, exec_lo
	s_delay_alu instid0(VALU_DEP_1) | instskip(NEXT) | instid1(VALU_DEP_1)
	v_or_b32_e32 v10, v43, v4
	v_cmpx_ne_u32_e32 0, v10
	s_xor_b32 s13, exec_lo, s4
	s_cbranch_execz .LBB132_331
; %bb.326:                              ;   in Loop: Header=BB132_185 Depth=1
	v_and_b32_e32 v23, 0x7fffffff, v3
                                        ; implicit-def: $vgpr12_vgpr13
	s_mov_b32 s4, exec_lo
	s_delay_alu instid0(VALU_DEP_1) | instskip(NEXT) | instid1(VALU_DEP_1)
	v_or_b32_e32 v10, v23, v2
	v_cmpx_ne_u32_e32 0, v10
	s_xor_b32 s90, exec_lo, s4
	s_cbranch_execz .LBB132_361
; %bb.327:                              ;   in Loop: Header=BB132_185 Depth=1
                                        ; implicit-def: $vgpr12_vgpr13
	s_mov_b32 s4, exec_lo
	v_cmpx_gt_u32_e32 0x7ff00000, v43
	s_xor_b32 s91, exec_lo, s4
	s_cbranch_execz .LBB132_354
; %bb.328:                              ;   in Loop: Header=BB132_185 Depth=1
	v_add_nc_u32_e32 v10, 0xbf79d1be, v3
                                        ; implicit-def: $vgpr12_vgpr13
	s_mov_b32 s4, exec_lo
	s_delay_alu instid0(VALU_DEP_1)
	v_cmpx_lt_u32_e32 0x108aa2, v10
	s_xor_b32 s92, exec_lo, s4
	s_cbranch_execz .LBB132_343
; %bb.329:                              ;   in Loop: Header=BB132_185 Depth=1
	v_cmp_ngt_f64_e64 s5, 0x41d00000, |v[4:5]|
                                        ; implicit-def: $vgpr44
                                        ; implicit-def: $vgpr10_vgpr11
                                        ; implicit-def: $vgpr12_vgpr13
	s_delay_alu instid0(VALU_DEP_1) | instskip(NEXT) | instid1(SALU_CYCLE_1)
	s_and_saveexec_b32 s3, s5
	s_xor_b32 s6, exec_lo, s3
	s_cbranch_execz .LBB132_336
; %bb.330:                              ;   in Loop: Header=BB132_185 Depth=1
	v_ldexp_f64 v[10:11], |v[4:5]|, 0xffffff80
	v_cmp_le_f64_e64 s3, 0x7b000000, |v[4:5]|
	v_trig_preop_f64 v[12:13], |v[4:5]|, 0
	v_trig_preop_f64 v[23:24], |v[4:5]|, 1
	;; [unrolled: 1-line block ×3, first 2 shown]
	s_mov_b32 s16, s18
	s_mov_b32 s23, s21
	s_delay_alu instid0(VALU_DEP_4) | instskip(SKIP_1) | instid1(VALU_DEP_1)
	v_cndmask_b32_e64 v11, v43, v11, s3
	v_cndmask_b32_e64 v10, v4, v10, s3
	v_mul_f64 v[25:26], v[12:13], v[10:11]
	v_mul_f64 v[44:45], v[23:24], v[10:11]
	;; [unrolled: 1-line block ×3, first 2 shown]
	s_delay_alu instid0(VALU_DEP_3) | instskip(NEXT) | instid1(VALU_DEP_3)
	v_fma_f64 v[12:13], v[12:13], v[10:11], -v[25:26]
	v_fma_f64 v[58:59], v[23:24], v[10:11], -v[44:45]
	s_delay_alu instid0(VALU_DEP_3) | instskip(NEXT) | instid1(VALU_DEP_3)
	v_fma_f64 v[10:11], v[50:51], v[10:11], -v[56:57]
	v_add_f64 v[46:47], v[44:45], v[12:13]
	s_delay_alu instid0(VALU_DEP_1) | instskip(SKIP_1) | instid1(VALU_DEP_2)
	v_add_f64 v[48:49], v[46:47], -v[44:45]
	v_add_f64 v[54:55], v[25:26], v[46:47]
	v_add_f64 v[52:53], v[46:47], -v[48:49]
	v_add_f64 v[12:13], v[12:13], -v[48:49]
	v_add_f64 v[48:49], v[56:57], v[58:59]
	s_delay_alu instid0(VALU_DEP_4) | instskip(NEXT) | instid1(VALU_DEP_4)
	v_add_f64 v[25:26], v[54:55], -v[25:26]
	v_add_f64 v[23:24], v[44:45], -v[52:53]
	v_ldexp_f64 v[44:45], v[54:55], -2
	s_delay_alu instid0(VALU_DEP_3) | instskip(NEXT) | instid1(VALU_DEP_3)
	v_add_f64 v[25:26], v[46:47], -v[25:26]
	v_add_f64 v[12:13], v[12:13], v[23:24]
	s_delay_alu instid0(VALU_DEP_3) | instskip(SKIP_1) | instid1(VALU_DEP_3)
	v_fract_f64_e32 v[23:24], v[44:45]
	v_cmp_neq_f64_e64 s3, 0x7ff00000, |v[44:45]|
	v_add_f64 v[44:45], v[48:49], v[12:13]
	s_delay_alu instid0(VALU_DEP_2) | instskip(NEXT) | instid1(VALU_DEP_4)
	v_cndmask_b32_e64 v24, 0, v24, s3
	v_cndmask_b32_e64 v23, 0, v23, s3
	s_delay_alu instid0(VALU_DEP_1) | instskip(NEXT) | instid1(VALU_DEP_4)
	v_ldexp_f64 v[46:47], v[23:24], 2
	v_add_f64 v[52:53], v[25:26], v[44:45]
	v_add_f64 v[54:55], v[44:45], -v[48:49]
	s_delay_alu instid0(VALU_DEP_2) | instskip(NEXT) | instid1(VALU_DEP_2)
	v_add_f64 v[23:24], v[52:53], v[46:47]
	v_add_f64 v[64:65], v[44:45], -v[54:55]
	v_add_f64 v[12:13], v[12:13], -v[54:55]
	;; [unrolled: 1-line block ×3, first 2 shown]
	s_delay_alu instid0(VALU_DEP_4) | instskip(NEXT) | instid1(VALU_DEP_2)
	v_cmp_gt_f64_e64 s3, 0, v[23:24]
	v_add_f64 v[25:26], v[44:45], -v[25:26]
	s_delay_alu instid0(VALU_DEP_2) | instskip(NEXT) | instid1(VALU_DEP_1)
	v_cndmask_b32_e64 v23, 0, 0x40100000, s3
	v_add_f64 v[23:24], v[46:47], v[22:23]
	v_add_f64 v[46:47], v[48:49], -v[56:57]
	s_delay_alu instid0(VALU_DEP_2) | instskip(NEXT) | instid1(VALU_DEP_2)
	v_add_f64 v[60:61], v[52:53], v[23:24]
	v_add_f64 v[62:63], v[48:49], -v[46:47]
	v_add_f64 v[46:47], v[58:59], -v[46:47]
	;; [unrolled: 1-line block ×3, first 2 shown]
	s_delay_alu instid0(VALU_DEP_4) | instskip(NEXT) | instid1(VALU_DEP_4)
	v_cvt_i32_f64_e32 v60, v[60:61]
	v_add_f64 v[58:59], v[56:57], -v[62:63]
	s_delay_alu instid0(VALU_DEP_3) | instskip(NEXT) | instid1(VALU_DEP_3)
	v_add_f64 v[12:13], v[12:13], v[48:49]
	v_cvt_f64_i32_e32 v[54:55], v60
	s_delay_alu instid0(VALU_DEP_3) | instskip(NEXT) | instid1(VALU_DEP_2)
	v_add_f64 v[46:47], v[46:47], v[58:59]
	v_add_f64 v[23:24], v[23:24], -v[54:55]
	s_delay_alu instid0(VALU_DEP_2) | instskip(NEXT) | instid1(VALU_DEP_2)
	v_add_f64 v[12:13], v[46:47], v[12:13]
	v_add_f64 v[46:47], v[52:53], v[23:24]
	s_delay_alu instid0(VALU_DEP_2) | instskip(NEXT) | instid1(VALU_DEP_2)
	v_add_f64 v[10:11], v[10:11], v[12:13]
	v_add_f64 v[12:13], v[46:47], -v[23:24]
	v_cmp_le_f64_e64 s3, 0.5, v[46:47]
	s_delay_alu instid0(VALU_DEP_3) | instskip(NEXT) | instid1(VALU_DEP_3)
	v_add_f64 v[10:11], v[25:26], v[10:11]
	v_add_f64 v[12:13], v[52:53], -v[12:13]
	s_delay_alu instid0(VALU_DEP_3) | instskip(SKIP_1) | instid1(VALU_DEP_3)
	v_cndmask_b32_e64 v23, 0, 0x3ff00000, s3
	v_add_co_ci_u32_e64 v44, s4, 0, v60, s3
	v_add_f64 v[10:11], v[10:11], v[12:13]
	s_delay_alu instid0(VALU_DEP_3) | instskip(NEXT) | instid1(VALU_DEP_1)
	v_add_f64 v[12:13], v[46:47], -v[22:23]
	v_add_f64 v[23:24], v[12:13], v[10:11]
	s_delay_alu instid0(VALU_DEP_1) | instskip(SKIP_1) | instid1(VALU_DEP_2)
	v_mul_f64 v[25:26], v[23:24], s[16:17]
	v_add_f64 v[12:13], v[23:24], -v[12:13]
	v_fma_f64 v[45:46], v[23:24], s[16:17], -v[25:26]
	s_delay_alu instid0(VALU_DEP_2) | instskip(NEXT) | instid1(VALU_DEP_2)
	v_add_f64 v[10:11], v[10:11], -v[12:13]
	v_fma_f64 v[12:13], v[23:24], s[22:23], v[45:46]
	s_delay_alu instid0(VALU_DEP_1) | instskip(NEXT) | instid1(VALU_DEP_1)
	v_fma_f64 v[12:13], v[10:11], s[16:17], v[12:13]
	v_add_f64 v[10:11], v[25:26], v[12:13]
	s_delay_alu instid0(VALU_DEP_1) | instskip(NEXT) | instid1(VALU_DEP_1)
	v_add_f64 v[23:24], v[10:11], -v[25:26]
	v_add_f64 v[12:13], v[12:13], -v[23:24]
	s_and_not1_saveexec_b32 s3, s6
	s_cbranch_execz .LBB132_338
	s_branch .LBB132_337
.LBB132_331:                            ;   in Loop: Header=BB132_185 Depth=1
	s_and_not1_saveexec_b32 s5, s13
	s_cbranch_execz .LBB132_372
.LBB132_332:                            ;   in Loop: Header=BB132_185 Depth=1
	v_mul_f64 v[10:11], v[2:3], s[30:31]
	s_mov_b32 s53, s51
	s_mov_b32 s81, s55
	v_cmp_nlt_f64_e64 s3, 0x40900000, v[2:3]
	v_cmp_ngt_f64_e64 s4, 0xc090cc00, v[2:3]
	s_delay_alu instid0(VALU_DEP_3) | instskip(NEXT) | instid1(VALU_DEP_1)
	v_rndne_f64_e32 v[10:11], v[10:11]
	v_fma_f64 v[12:13], v[10:11], s[34:35], v[2:3]
	v_cvt_i32_f64_e32 v25, v[10:11]
	s_delay_alu instid0(VALU_DEP_2) | instskip(NEXT) | instid1(VALU_DEP_1)
	v_fma_f64 v[12:13], v[10:11], s[36:37], v[12:13]
	v_fma_f64 v[23:24], v[12:13], s[40:41], s[38:39]
	s_delay_alu instid0(VALU_DEP_1) | instskip(NEXT) | instid1(VALU_DEP_1)
	v_fma_f64 v[23:24], v[12:13], v[23:24], s[42:43]
	v_fma_f64 v[23:24], v[12:13], v[23:24], s[44:45]
	s_delay_alu instid0(VALU_DEP_1) | instskip(NEXT) | instid1(VALU_DEP_1)
	;; [unrolled: 3-line block ×5, first 2 shown]
	v_fma_f64 v[23:24], v[12:13], v[23:24], 1.0
	v_fma_f64 v[10:11], v[12:13], v[23:24], 1.0
	v_dual_mov_b32 v13, v5 :: v_dual_mov_b32 v12, v4
	s_delay_alu instid0(VALU_DEP_2) | instskip(NEXT) | instid1(VALU_DEP_1)
	v_ldexp_f64 v[10:11], v[10:11], v25
	v_cndmask_b32_e64 v11, 0x7ff00000, v11, s3
	s_and_b32 s3, s4, s3
	s_delay_alu instid0(VALU_DEP_2) | instid1(SALU_CYCLE_1)
	v_cndmask_b32_e64 v10, 0, v10, s3
	s_delay_alu instid0(VALU_DEP_2) | instskip(SKIP_2) | instid1(SALU_CYCLE_1)
	v_cndmask_b32_e64 v11, 0, v11, s4
	s_or_b32 exec_lo, exec_lo, s5
	s_and_saveexec_b32 s3, vcc_lo
	s_xor_b32 s3, exec_lo, s3
	s_cbranch_execnz .LBB132_373
.LBB132_333:                            ;   in Loop: Header=BB132_185 Depth=1
	s_or_b32 exec_lo, exec_lo, s3
	s_and_saveexec_b32 s3, s0
	s_cbranch_execz .LBB132_374
.LBB132_334:                            ;   in Loop: Header=BB132_185 Depth=1
	v_add_co_u32 v2, vcc_lo, v31, s8
	v_add_co_ci_u32_e32 v3, vcc_lo, s9, v32, vcc_lo
	global_store_b128 v[2:3], v[14:17], off
	s_or_b32 exec_lo, exec_lo, s3
	s_and_saveexec_b32 s0, s1
	s_cbranch_execnz .LBB132_375
.LBB132_335:                            ;   in Loop: Header=BB132_185 Depth=1
	s_or_b32 exec_lo, exec_lo, s0
	s_and_saveexec_b32 s0, s2
	s_cbranch_execz .LBB132_184
	s_branch .LBB132_376
.LBB132_336:                            ;   in Loop: Header=BB132_185 Depth=1
	s_and_not1_saveexec_b32 s3, s6
	s_cbranch_execz .LBB132_338
.LBB132_337:                            ;   in Loop: Header=BB132_185 Depth=1
	v_mul_f64 v[10:11], |v[4:5]|, s[24:25]
	s_mov_b32 s20, s26
	s_delay_alu instid0(VALU_DEP_1) | instskip(NEXT) | instid1(VALU_DEP_1)
	v_rndne_f64_e32 v[23:24], v[10:11]
	v_fma_f64 v[10:11], v[23:24], s[18:19], |v[4:5]|
	v_mul_f64 v[12:13], v[23:24], s[26:27]
	s_delay_alu instid0(VALU_DEP_2) | instskip(NEXT) | instid1(VALU_DEP_2)
	v_fma_f64 v[44:45], v[23:24], s[26:27], v[10:11]
	v_add_f64 v[25:26], v[10:11], v[12:13]
	s_delay_alu instid0(VALU_DEP_1) | instskip(NEXT) | instid1(VALU_DEP_3)
	v_add_f64 v[10:11], v[10:11], -v[25:26]
	v_add_f64 v[25:26], v[25:26], -v[44:45]
	s_delay_alu instid0(VALU_DEP_2) | instskip(SKIP_1) | instid1(VALU_DEP_2)
	v_add_f64 v[10:11], v[10:11], v[12:13]
	v_fma_f64 v[12:13], v[23:24], s[20:21], v[12:13]
	v_add_f64 v[10:11], v[25:26], v[10:11]
	s_delay_alu instid0(VALU_DEP_1) | instskip(NEXT) | instid1(VALU_DEP_1)
	v_add_f64 v[10:11], v[10:11], -v[12:13]
	v_fma_f64 v[12:13], v[23:24], s[28:29], v[10:11]
	s_delay_alu instid0(VALU_DEP_1) | instskip(NEXT) | instid1(VALU_DEP_1)
	v_add_f64 v[10:11], v[44:45], v[12:13]
	v_add_f64 v[25:26], v[10:11], -v[44:45]
	v_cvt_i32_f64_e32 v44, v[23:24]
	s_delay_alu instid0(VALU_DEP_2)
	v_add_f64 v[12:13], v[12:13], -v[25:26]
.LBB132_338:                            ;   in Loop: Header=BB132_185 Depth=1
	s_or_b32 exec_lo, exec_lo, s3
                                        ; implicit-def: $vgpr45
                                        ; implicit-def: $vgpr23_vgpr24
                                        ; implicit-def: $vgpr25_vgpr26
	s_and_saveexec_b32 s3, s5
	s_delay_alu instid0(SALU_CYCLE_1)
	s_xor_b32 s5, exec_lo, s3
	s_cbranch_execz .LBB132_340
; %bb.339:                              ;   in Loop: Header=BB132_185 Depth=1
	v_ldexp_f64 v[23:24], |v[4:5]|, 0xffffff80
	v_cmp_le_f64_e64 s3, 0x7b000000, |v[4:5]|
	v_trig_preop_f64 v[25:26], |v[4:5]|, 0
	v_trig_preop_f64 v[55:56], |v[4:5]|, 2
	s_mov_b32 s16, s18
	s_mov_b32 s23, s21
	s_delay_alu instid0(VALU_DEP_3) | instskip(SKIP_2) | instid1(VALU_DEP_2)
	v_cndmask_b32_e64 v46, v43, v24, s3
	v_cndmask_b32_e64 v45, v4, v23, s3
	v_trig_preop_f64 v[23:24], |v[4:5]|, 1
	v_mul_f64 v[47:48], v[25:26], v[45:46]
	v_mul_f64 v[61:62], v[55:56], v[45:46]
	s_delay_alu instid0(VALU_DEP_3) | instskip(NEXT) | instid1(VALU_DEP_3)
	v_mul_f64 v[49:50], v[23:24], v[45:46]
	v_fma_f64 v[25:26], v[25:26], v[45:46], -v[47:48]
	s_delay_alu instid0(VALU_DEP_2) | instskip(NEXT) | instid1(VALU_DEP_4)
	v_fma_f64 v[63:64], v[23:24], v[45:46], -v[49:50]
	v_fma_f64 v[45:46], v[55:56], v[45:46], -v[61:62]
	s_delay_alu instid0(VALU_DEP_3) | instskip(NEXT) | instid1(VALU_DEP_1)
	v_add_f64 v[51:52], v[49:50], v[25:26]
	v_add_f64 v[53:54], v[51:52], -v[49:50]
	v_add_f64 v[59:60], v[47:48], v[51:52]
	s_delay_alu instid0(VALU_DEP_2) | instskip(SKIP_2) | instid1(VALU_DEP_4)
	v_add_f64 v[57:58], v[51:52], -v[53:54]
	v_add_f64 v[23:24], v[25:26], -v[53:54]
	v_add_f64 v[53:54], v[61:62], v[63:64]
	v_add_f64 v[47:48], v[59:60], -v[47:48]
	s_delay_alu instid0(VALU_DEP_4) | instskip(SKIP_1) | instid1(VALU_DEP_3)
	v_add_f64 v[25:26], v[49:50], -v[57:58]
	v_ldexp_f64 v[49:50], v[59:60], -2
	v_add_f64 v[47:48], v[51:52], -v[47:48]
	s_delay_alu instid0(VALU_DEP_3) | instskip(NEXT) | instid1(VALU_DEP_3)
	v_add_f64 v[24:25], v[23:24], v[25:26]
	v_fract_f64_e32 v[57:58], v[49:50]
	v_cmp_neq_f64_e64 s3, 0x7ff00000, |v[49:50]|
	s_delay_alu instid0(VALU_DEP_3) | instskip(NEXT) | instid1(VALU_DEP_2)
	v_add_f64 v[49:50], v[53:54], v[24:25]
	v_cndmask_b32_e64 v52, 0, v58, s3
	s_delay_alu instid0(VALU_DEP_4) | instskip(NEXT) | instid1(VALU_DEP_1)
	v_cndmask_b32_e64 v51, 0, v57, s3
	v_ldexp_f64 v[51:52], v[51:52], 2
	s_delay_alu instid0(VALU_DEP_4) | instskip(SKIP_1) | instid1(VALU_DEP_2)
	v_add_f64 v[57:58], v[47:48], v[49:50]
	v_add_f64 v[65:66], v[49:50], -v[53:54]
	v_add_f64 v[59:60], v[57:58], v[51:52]
	s_delay_alu instid0(VALU_DEP_2) | instskip(SKIP_1) | instid1(VALU_DEP_3)
	v_add_f64 v[71:72], v[49:50], -v[65:66]
	v_add_f64 v[47:48], v[57:58], -v[47:48]
	v_cmp_gt_f64_e64 s3, 0, v[59:60]
	v_add_f64 v[59:60], v[53:54], -v[61:62]
	s_delay_alu instid0(VALU_DEP_3) | instskip(NEXT) | instid1(VALU_DEP_3)
	v_add_f64 v[47:48], v[49:50], -v[47:48]
	v_cndmask_b32_e64 v23, 0, 0x40100000, s3
	s_delay_alu instid0(VALU_DEP_3) | instskip(SKIP_1) | instid1(VALU_DEP_3)
	v_add_f64 v[69:70], v[53:54], -v[59:60]
	v_add_f64 v[59:60], v[63:64], -v[59:60]
	v_add_f64 v[51:52], v[51:52], v[22:23]
	v_add_f64 v[23:24], v[24:25], -v[65:66]
	v_add_f64 v[25:26], v[53:54], -v[71:72]
	;; [unrolled: 1-line block ×3, first 2 shown]
	s_delay_alu instid0(VALU_DEP_4) | instskip(NEXT) | instid1(VALU_DEP_3)
	v_add_f64 v[67:68], v[57:58], v[51:52]
	v_add_f64 v[23:24], v[23:24], v[25:26]
	s_delay_alu instid0(VALU_DEP_3) | instskip(NEXT) | instid1(VALU_DEP_3)
	v_add_f64 v[59:60], v[59:60], v[63:64]
	v_cvt_i32_f64_e32 v43, v[67:68]
	s_delay_alu instid0(VALU_DEP_2) | instskip(NEXT) | instid1(VALU_DEP_2)
	v_add_f64 v[23:24], v[59:60], v[23:24]
	v_cvt_f64_i32_e32 v[53:54], v43
	s_delay_alu instid0(VALU_DEP_2) | instskip(NEXT) | instid1(VALU_DEP_2)
	v_add_f64 v[23:24], v[45:46], v[23:24]
	v_add_f64 v[25:26], v[51:52], -v[53:54]
	s_delay_alu instid0(VALU_DEP_2) | instskip(NEXT) | instid1(VALU_DEP_2)
	v_add_f64 v[46:47], v[47:48], v[23:24]
	v_add_f64 v[51:52], v[57:58], v[25:26]
	s_delay_alu instid0(VALU_DEP_1) | instskip(SKIP_1) | instid1(VALU_DEP_2)
	v_add_f64 v[25:26], v[51:52], -v[25:26]
	v_cmp_le_f64_e64 s3, 0.5, v[51:52]
	v_add_f64 v[24:25], v[57:58], -v[25:26]
	s_delay_alu instid0(VALU_DEP_2) | instskip(SKIP_1) | instid1(VALU_DEP_3)
	v_cndmask_b32_e64 v23, 0, 0x3ff00000, s3
	v_add_co_ci_u32_e64 v45, s4, 0, v43, s3
	v_add_f64 v[24:25], v[46:47], v[24:25]
	s_delay_alu instid0(VALU_DEP_3) | instskip(NEXT) | instid1(VALU_DEP_1)
	v_add_f64 v[46:47], v[51:52], -v[22:23]
	v_add_f64 v[48:49], v[46:47], v[24:25]
	s_delay_alu instid0(VALU_DEP_1) | instskip(SKIP_1) | instid1(VALU_DEP_2)
	v_mul_f64 v[50:51], v[48:49], s[16:17]
	v_add_f64 v[46:47], v[48:49], -v[46:47]
	v_fma_f64 v[52:53], v[48:49], s[16:17], -v[50:51]
	s_delay_alu instid0(VALU_DEP_2) | instskip(NEXT) | instid1(VALU_DEP_2)
	v_add_f64 v[23:24], v[24:25], -v[46:47]
	v_fma_f64 v[25:26], v[48:49], s[22:23], v[52:53]
	s_delay_alu instid0(VALU_DEP_1) | instskip(NEXT) | instid1(VALU_DEP_1)
	v_fma_f64 v[25:26], v[23:24], s[16:17], v[25:26]
	v_add_f64 v[23:24], v[50:51], v[25:26]
	s_delay_alu instid0(VALU_DEP_1) | instskip(NEXT) | instid1(VALU_DEP_1)
	v_add_f64 v[46:47], v[23:24], -v[50:51]
	v_add_f64 v[25:26], v[25:26], -v[46:47]
	s_and_not1_saveexec_b32 s3, s5
	s_cbranch_execnz .LBB132_341
	s_branch .LBB132_342
.LBB132_340:                            ;   in Loop: Header=BB132_185 Depth=1
	s_and_not1_saveexec_b32 s3, s5
	s_cbranch_execz .LBB132_342
.LBB132_341:                            ;   in Loop: Header=BB132_185 Depth=1
	v_mul_f64 v[23:24], |v[4:5]|, s[24:25]
	s_mov_b32 s20, s26
	s_delay_alu instid0(VALU_DEP_1) | instskip(NEXT) | instid1(VALU_DEP_1)
	v_rndne_f64_e32 v[45:46], v[23:24]
	v_fma_f64 v[23:24], v[45:46], s[18:19], |v[4:5]|
	v_mul_f64 v[25:26], v[45:46], s[26:27]
	s_delay_alu instid0(VALU_DEP_2) | instskip(NEXT) | instid1(VALU_DEP_2)
	v_fma_f64 v[49:50], v[45:46], s[26:27], v[23:24]
	v_add_f64 v[47:48], v[23:24], v[25:26]
	s_delay_alu instid0(VALU_DEP_1) | instskip(NEXT) | instid1(VALU_DEP_3)
	v_add_f64 v[23:24], v[23:24], -v[47:48]
	v_add_f64 v[47:48], v[47:48], -v[49:50]
	s_delay_alu instid0(VALU_DEP_2) | instskip(SKIP_1) | instid1(VALU_DEP_2)
	v_add_f64 v[23:24], v[23:24], v[25:26]
	v_fma_f64 v[25:26], v[45:46], s[20:21], v[25:26]
	v_add_f64 v[23:24], v[47:48], v[23:24]
	s_delay_alu instid0(VALU_DEP_1) | instskip(NEXT) | instid1(VALU_DEP_1)
	v_add_f64 v[23:24], v[23:24], -v[25:26]
	v_fma_f64 v[25:26], v[45:46], s[28:29], v[23:24]
	v_cvt_i32_f64_e32 v45, v[45:46]
	s_delay_alu instid0(VALU_DEP_2) | instskip(NEXT) | instid1(VALU_DEP_1)
	v_add_f64 v[23:24], v[49:50], v[25:26]
	v_add_f64 v[47:48], v[23:24], -v[49:50]
	s_delay_alu instid0(VALU_DEP_1)
	v_add_f64 v[25:26], v[25:26], -v[47:48]
.LBB132_342:                            ;   in Loop: Header=BB132_185 Depth=1
	s_or_b32 exec_lo, exec_lo, s3
	v_mul_f64 v[46:47], v[2:3], s[30:31]
	v_mul_f64 v[52:53], v[10:11], v[10:11]
	;; [unrolled: 1-line block ×3, first 2 shown]
	s_mov_b32 s53, s51
	s_mov_b32 s81, s55
	s_delay_alu instid0(VALU_DEP_4)
	v_mul_f64 v[72:73], v[12:13], 0.5
	v_mul_f64 v[78:79], v[25:26], 0.5
	s_mov_b32 s82, s54
	v_cmp_nlt_f64_e64 s5, 0x40900000, v[2:3]
	v_cmp_ngt_f64_e64 s6, 0xc090cc00, v[2:3]
	v_cmp_class_f64_e64 s4, v[4:5], 0x1f8
	v_and_b32_e32 v4, 1, v45
	s_delay_alu instid0(VALU_DEP_1)
	v_cmp_eq_u32_e64 s7, 0, v4
	v_rndne_f64_e32 v[46:47], v[46:47]
	v_fma_f64 v[56:57], v[52:53], s[72:73], s[70:71]
	v_fma_f64 v[58:59], v[54:55], s[72:73], s[70:71]
	v_mul_f64 v[62:63], v[52:53], 0.5
	v_fma_f64 v[60:61], v[52:53], s[62:63], s[60:61]
	v_fma_f64 v[64:65], v[54:55], s[62:63], s[60:61]
	v_mul_f64 v[66:67], v[54:55], 0.5
	v_mul_f64 v[74:75], v[10:11], -v[52:53]
	v_mul_f64 v[80:81], v[23:24], -v[54:55]
	v_fma_f64 v[48:49], v[46:47], s[34:35], v[2:3]
	v_fma_f64 v[56:57], v[52:53], v[56:57], s[74:75]
	v_fma_f64 v[58:59], v[54:55], v[58:59], s[74:75]
	v_add_f64 v[68:69], -v[62:63], 1.0
	v_fma_f64 v[60:61], v[52:53], v[60:61], s[64:65]
	v_fma_f64 v[64:65], v[54:55], v[64:65], s[64:65]
	v_add_f64 v[70:71], -v[66:67], 1.0
	v_cvt_i32_f64_e32 v43, v[46:47]
	v_lshlrev_b32_e32 v2, 30, v45
	v_lshlrev_b32_e32 v3, 30, v44
	s_delay_alu instid0(VALU_DEP_2) | instskip(NEXT) | instid1(VALU_DEP_2)
	v_xor_b32_e32 v2, v2, v5
	v_and_b32_e32 v3, 0x80000000, v3
	s_delay_alu instid0(VALU_DEP_2)
	v_and_b32_e32 v5, 0x80000000, v2
	v_fma_f64 v[48:49], v[46:47], s[36:37], v[48:49]
	v_fma_f64 v[56:57], v[52:53], v[56:57], s[76:77]
	;; [unrolled: 1-line block ×3, first 2 shown]
	v_add_f64 v[76:77], -v[68:69], 1.0
	v_fma_f64 v[60:61], v[52:53], v[60:61], s[66:67]
	v_fma_f64 v[64:65], v[54:55], v[64:65], s[66:67]
	v_add_f64 v[82:83], -v[70:71], 1.0
	v_fma_f64 v[50:51], v[48:49], s[40:41], s[38:39]
	v_fma_f64 v[56:57], v[52:53], v[56:57], s[50:51]
	;; [unrolled: 1-line block ×3, first 2 shown]
	v_add_f64 v[62:63], v[76:77], -v[62:63]
	v_fma_f64 v[60:61], v[52:53], v[60:61], s[68:69]
	v_fma_f64 v[64:65], v[54:55], v[64:65], s[68:69]
	v_add_f64 v[66:67], v[82:83], -v[66:67]
	v_fma_f64 v[50:51], v[48:49], v[50:51], s[42:43]
	v_fma_f64 v[56:57], v[74:75], v[56:57], v[72:73]
	;; [unrolled: 1-line block ×3, first 2 shown]
	v_fma_f64 v[62:63], v[10:11], -v[12:13], v[62:63]
	v_mul_f64 v[72:73], v[52:53], v[52:53]
	v_fma_f64 v[60:61], v[52:53], v[60:61], s[54:55]
	v_fma_f64 v[50:51], v[48:49], v[50:51], s[44:45]
	v_fma_f64 v[12:13], v[52:53], v[56:57], -v[12:13]
	v_mul_f64 v[52:53], v[54:55], v[54:55]
	v_fma_f64 v[56:57], v[54:55], v[64:65], s[54:55]
	v_fma_f64 v[64:65], v[23:24], -v[25:26], v[66:67]
	v_fma_f64 v[25:26], v[54:55], v[58:59], -v[25:26]
	v_fma_f64 v[54:55], v[72:73], v[60:61], v[62:63]
	v_fma_f64 v[50:51], v[48:49], v[50:51], s[46:47]
	;; [unrolled: 1-line block ×3, first 2 shown]
	s_delay_alu instid0(VALU_DEP_4) | instskip(NEXT) | instid1(VALU_DEP_3)
	v_fma_f64 v[25:26], v[80:81], s[82:83], v[25:26]
	v_fma_f64 v[50:51], v[48:49], v[50:51], s[48:49]
	s_delay_alu instid0(VALU_DEP_3) | instskip(NEXT) | instid1(VALU_DEP_3)
	v_add_f64 v[10:11], v[10:11], -v[12:13]
	v_add_f64 v[23:24], v[23:24], -v[25:26]
	v_and_b32_e32 v25, 1, v44
	s_delay_alu instid0(VALU_DEP_1) | instskip(SKIP_2) | instid1(VALU_DEP_2)
	v_cmp_eq_u32_e64 s3, 0, v25
	v_fma_f64 v[50:51], v[48:49], v[50:51], s[52:53]
	v_xor_b32_e32 v11, 0x80000000, v11
	v_fma_f64 v[50:51], v[48:49], v[50:51], s[80:81]
	s_delay_alu instid0(VALU_DEP_1) | instskip(NEXT) | instid1(VALU_DEP_1)
	v_fma_f64 v[50:51], v[48:49], v[50:51], s[56:57]
	v_fma_f64 v[50:51], v[48:49], v[50:51], s[58:59]
	s_delay_alu instid0(VALU_DEP_1) | instskip(NEXT) | instid1(VALU_DEP_1)
	v_fma_f64 v[50:51], v[48:49], v[50:51], 1.0
	v_fma_f64 v[46:47], v[48:49], v[50:51], 1.0
	v_fma_f64 v[48:49], v[52:53], v[56:57], v[64:65]
	v_add_f64 v[50:51], v[68:69], v[54:55]
	s_delay_alu instid0(VALU_DEP_3) | instskip(NEXT) | instid1(VALU_DEP_3)
	v_ldexp_f64 v[12:13], v[46:47], v43
	v_add_f64 v[46:47], v[70:71], v[48:49]
	s_delay_alu instid0(VALU_DEP_3) | instskip(NEXT) | instid1(VALU_DEP_4)
	v_cndmask_b32_e64 v4, v11, v51, s3
	v_cndmask_b32_e64 v10, v10, v50, s3
	s_and_b32 s3, s6, s5
                                        ; implicit-def: $vgpr43
	s_delay_alu instid0(VALU_DEP_2) | instskip(NEXT) | instid1(VALU_DEP_2)
	v_xor_b32_e32 v3, v4, v3
	v_cndmask_b32_e64 v2, 0, v10, s4
	s_delay_alu instid0(VALU_DEP_2) | instskip(SKIP_4) | instid1(VALU_DEP_4)
	v_cndmask_b32_e64 v3, 0x7ff80000, v3, s4
	v_cndmask_b32_e64 v13, 0x7ff00000, v13, s5
	v_cndmask_b32_e64 v11, v46, v23, s7
	v_cndmask_b32_e64 v23, v47, v24, s7
	v_cndmask_b32_e64 v12, 0, v12, s3
	v_cndmask_b32_e64 v13, 0, v13, s6
	s_delay_alu instid0(VALU_DEP_4) | instskip(NEXT) | instid1(VALU_DEP_4)
	v_cndmask_b32_e64 v4, 0, v11, s4
	v_xor_b32_e32 v5, v23, v5
	s_delay_alu instid0(VALU_DEP_3) | instskip(NEXT) | instid1(VALU_DEP_2)
	v_mul_f64 v[10:11], v[12:13], v[2:3]
	v_cndmask_b32_e64 v5, 0x7ff80000, v5, s4
	s_delay_alu instid0(VALU_DEP_1)
	v_mul_f64 v[12:13], v[12:13], v[4:5]
                                        ; implicit-def: $vgpr4_vgpr5
.LBB132_343:                            ;   in Loop: Header=BB132_185 Depth=1
	s_and_not1_saveexec_b32 s92, s92
	s_cbranch_execz .LBB132_353
; %bb.344:                              ;   in Loop: Header=BB132_185 Depth=1
	v_cmp_ngt_f64_e64 s5, 0x41d00000, |v[4:5]|
                                        ; implicit-def: $vgpr44
                                        ; implicit-def: $vgpr10_vgpr11
                                        ; implicit-def: $vgpr12_vgpr13
	s_delay_alu instid0(VALU_DEP_1) | instskip(NEXT) | instid1(SALU_CYCLE_1)
	s_and_saveexec_b32 s3, s5
	s_xor_b32 s6, exec_lo, s3
	s_cbranch_execz .LBB132_346
; %bb.345:                              ;   in Loop: Header=BB132_185 Depth=1
	v_ldexp_f64 v[10:11], |v[4:5]|, 0xffffff80
	v_cmp_le_f64_e64 s3, 0x7b000000, |v[4:5]|
	v_trig_preop_f64 v[12:13], |v[4:5]|, 0
	v_trig_preop_f64 v[23:24], |v[4:5]|, 1
	;; [unrolled: 1-line block ×3, first 2 shown]
	s_mov_b32 s16, s18
	s_mov_b32 s23, s21
	s_delay_alu instid0(VALU_DEP_4) | instskip(SKIP_1) | instid1(VALU_DEP_1)
	v_cndmask_b32_e64 v11, v43, v11, s3
	v_cndmask_b32_e64 v10, v4, v10, s3
	v_mul_f64 v[25:26], v[12:13], v[10:11]
	v_mul_f64 v[44:45], v[23:24], v[10:11]
	;; [unrolled: 1-line block ×3, first 2 shown]
	s_delay_alu instid0(VALU_DEP_3) | instskip(NEXT) | instid1(VALU_DEP_3)
	v_fma_f64 v[12:13], v[12:13], v[10:11], -v[25:26]
	v_fma_f64 v[58:59], v[23:24], v[10:11], -v[44:45]
	s_delay_alu instid0(VALU_DEP_3) | instskip(NEXT) | instid1(VALU_DEP_3)
	v_fma_f64 v[10:11], v[50:51], v[10:11], -v[56:57]
	v_add_f64 v[46:47], v[44:45], v[12:13]
	s_delay_alu instid0(VALU_DEP_1) | instskip(SKIP_1) | instid1(VALU_DEP_2)
	v_add_f64 v[48:49], v[46:47], -v[44:45]
	v_add_f64 v[54:55], v[25:26], v[46:47]
	v_add_f64 v[52:53], v[46:47], -v[48:49]
	v_add_f64 v[12:13], v[12:13], -v[48:49]
	v_add_f64 v[48:49], v[56:57], v[58:59]
	s_delay_alu instid0(VALU_DEP_4) | instskip(NEXT) | instid1(VALU_DEP_4)
	v_add_f64 v[25:26], v[54:55], -v[25:26]
	v_add_f64 v[23:24], v[44:45], -v[52:53]
	v_ldexp_f64 v[44:45], v[54:55], -2
	s_delay_alu instid0(VALU_DEP_3) | instskip(NEXT) | instid1(VALU_DEP_3)
	v_add_f64 v[25:26], v[46:47], -v[25:26]
	v_add_f64 v[12:13], v[12:13], v[23:24]
	s_delay_alu instid0(VALU_DEP_3) | instskip(SKIP_1) | instid1(VALU_DEP_3)
	v_fract_f64_e32 v[23:24], v[44:45]
	v_cmp_neq_f64_e64 s3, 0x7ff00000, |v[44:45]|
	v_add_f64 v[44:45], v[48:49], v[12:13]
	s_delay_alu instid0(VALU_DEP_2) | instskip(NEXT) | instid1(VALU_DEP_4)
	v_cndmask_b32_e64 v24, 0, v24, s3
	v_cndmask_b32_e64 v23, 0, v23, s3
	s_delay_alu instid0(VALU_DEP_1) | instskip(NEXT) | instid1(VALU_DEP_4)
	v_ldexp_f64 v[46:47], v[23:24], 2
	v_add_f64 v[52:53], v[25:26], v[44:45]
	v_add_f64 v[54:55], v[44:45], -v[48:49]
	s_delay_alu instid0(VALU_DEP_2) | instskip(NEXT) | instid1(VALU_DEP_2)
	v_add_f64 v[23:24], v[52:53], v[46:47]
	v_add_f64 v[64:65], v[44:45], -v[54:55]
	v_add_f64 v[12:13], v[12:13], -v[54:55]
	;; [unrolled: 1-line block ×3, first 2 shown]
	s_delay_alu instid0(VALU_DEP_4) | instskip(NEXT) | instid1(VALU_DEP_2)
	v_cmp_gt_f64_e64 s3, 0, v[23:24]
	v_add_f64 v[25:26], v[44:45], -v[25:26]
	s_delay_alu instid0(VALU_DEP_2) | instskip(NEXT) | instid1(VALU_DEP_1)
	v_cndmask_b32_e64 v23, 0, 0x40100000, s3
	v_add_f64 v[23:24], v[46:47], v[22:23]
	v_add_f64 v[46:47], v[48:49], -v[56:57]
	s_delay_alu instid0(VALU_DEP_2) | instskip(NEXT) | instid1(VALU_DEP_2)
	v_add_f64 v[60:61], v[52:53], v[23:24]
	v_add_f64 v[62:63], v[48:49], -v[46:47]
	v_add_f64 v[46:47], v[58:59], -v[46:47]
	;; [unrolled: 1-line block ×3, first 2 shown]
	s_delay_alu instid0(VALU_DEP_4) | instskip(NEXT) | instid1(VALU_DEP_4)
	v_cvt_i32_f64_e32 v60, v[60:61]
	v_add_f64 v[58:59], v[56:57], -v[62:63]
	s_delay_alu instid0(VALU_DEP_3) | instskip(NEXT) | instid1(VALU_DEP_3)
	v_add_f64 v[12:13], v[12:13], v[48:49]
	v_cvt_f64_i32_e32 v[54:55], v60
	s_delay_alu instid0(VALU_DEP_3) | instskip(NEXT) | instid1(VALU_DEP_2)
	v_add_f64 v[46:47], v[46:47], v[58:59]
	v_add_f64 v[23:24], v[23:24], -v[54:55]
	s_delay_alu instid0(VALU_DEP_2) | instskip(NEXT) | instid1(VALU_DEP_2)
	v_add_f64 v[12:13], v[46:47], v[12:13]
	v_add_f64 v[46:47], v[52:53], v[23:24]
	s_delay_alu instid0(VALU_DEP_2) | instskip(NEXT) | instid1(VALU_DEP_2)
	v_add_f64 v[10:11], v[10:11], v[12:13]
	v_add_f64 v[12:13], v[46:47], -v[23:24]
	v_cmp_le_f64_e64 s3, 0.5, v[46:47]
	s_delay_alu instid0(VALU_DEP_3) | instskip(NEXT) | instid1(VALU_DEP_3)
	v_add_f64 v[10:11], v[25:26], v[10:11]
	v_add_f64 v[12:13], v[52:53], -v[12:13]
	s_delay_alu instid0(VALU_DEP_3) | instskip(SKIP_1) | instid1(VALU_DEP_3)
	v_cndmask_b32_e64 v23, 0, 0x3ff00000, s3
	v_add_co_ci_u32_e64 v44, s4, 0, v60, s3
	v_add_f64 v[10:11], v[10:11], v[12:13]
	s_delay_alu instid0(VALU_DEP_3) | instskip(NEXT) | instid1(VALU_DEP_1)
	v_add_f64 v[12:13], v[46:47], -v[22:23]
	v_add_f64 v[23:24], v[12:13], v[10:11]
	s_delay_alu instid0(VALU_DEP_1) | instskip(SKIP_1) | instid1(VALU_DEP_2)
	v_mul_f64 v[25:26], v[23:24], s[16:17]
	v_add_f64 v[12:13], v[23:24], -v[12:13]
	v_fma_f64 v[45:46], v[23:24], s[16:17], -v[25:26]
	s_delay_alu instid0(VALU_DEP_2) | instskip(NEXT) | instid1(VALU_DEP_2)
	v_add_f64 v[10:11], v[10:11], -v[12:13]
	v_fma_f64 v[12:13], v[23:24], s[22:23], v[45:46]
	s_delay_alu instid0(VALU_DEP_1) | instskip(NEXT) | instid1(VALU_DEP_1)
	v_fma_f64 v[12:13], v[10:11], s[16:17], v[12:13]
	v_add_f64 v[10:11], v[25:26], v[12:13]
	s_delay_alu instid0(VALU_DEP_1) | instskip(NEXT) | instid1(VALU_DEP_1)
	v_add_f64 v[23:24], v[10:11], -v[25:26]
	v_add_f64 v[12:13], v[12:13], -v[23:24]
	s_and_not1_saveexec_b32 s3, s6
	s_cbranch_execz .LBB132_348
	s_branch .LBB132_347
.LBB132_346:                            ;   in Loop: Header=BB132_185 Depth=1
	s_and_not1_saveexec_b32 s3, s6
	s_cbranch_execz .LBB132_348
.LBB132_347:                            ;   in Loop: Header=BB132_185 Depth=1
	v_mul_f64 v[10:11], |v[4:5]|, s[24:25]
	s_mov_b32 s20, s26
	s_delay_alu instid0(VALU_DEP_1) | instskip(NEXT) | instid1(VALU_DEP_1)
	v_rndne_f64_e32 v[23:24], v[10:11]
	v_fma_f64 v[10:11], v[23:24], s[18:19], |v[4:5]|
	v_mul_f64 v[12:13], v[23:24], s[26:27]
	s_delay_alu instid0(VALU_DEP_2) | instskip(NEXT) | instid1(VALU_DEP_2)
	v_fma_f64 v[44:45], v[23:24], s[26:27], v[10:11]
	v_add_f64 v[25:26], v[10:11], v[12:13]
	s_delay_alu instid0(VALU_DEP_1) | instskip(NEXT) | instid1(VALU_DEP_3)
	v_add_f64 v[10:11], v[10:11], -v[25:26]
	v_add_f64 v[25:26], v[25:26], -v[44:45]
	s_delay_alu instid0(VALU_DEP_2) | instskip(SKIP_1) | instid1(VALU_DEP_2)
	v_add_f64 v[10:11], v[10:11], v[12:13]
	v_fma_f64 v[12:13], v[23:24], s[20:21], v[12:13]
	v_add_f64 v[10:11], v[25:26], v[10:11]
	s_delay_alu instid0(VALU_DEP_1) | instskip(NEXT) | instid1(VALU_DEP_1)
	v_add_f64 v[10:11], v[10:11], -v[12:13]
	v_fma_f64 v[12:13], v[23:24], s[28:29], v[10:11]
	s_delay_alu instid0(VALU_DEP_1) | instskip(NEXT) | instid1(VALU_DEP_1)
	v_add_f64 v[10:11], v[44:45], v[12:13]
	v_add_f64 v[25:26], v[10:11], -v[44:45]
	v_cvt_i32_f64_e32 v44, v[23:24]
	s_delay_alu instid0(VALU_DEP_2)
	v_add_f64 v[12:13], v[12:13], -v[25:26]
.LBB132_348:                            ;   in Loop: Header=BB132_185 Depth=1
	s_or_b32 exec_lo, exec_lo, s3
                                        ; implicit-def: $vgpr45
                                        ; implicit-def: $vgpr23_vgpr24
                                        ; implicit-def: $vgpr25_vgpr26
	s_and_saveexec_b32 s3, s5
	s_delay_alu instid0(SALU_CYCLE_1)
	s_xor_b32 s5, exec_lo, s3
	s_cbranch_execz .LBB132_350
; %bb.349:                              ;   in Loop: Header=BB132_185 Depth=1
	v_ldexp_f64 v[23:24], |v[4:5]|, 0xffffff80
	v_cmp_le_f64_e64 s3, 0x7b000000, |v[4:5]|
	v_trig_preop_f64 v[25:26], |v[4:5]|, 0
	v_trig_preop_f64 v[55:56], |v[4:5]|, 2
	s_mov_b32 s16, s18
	s_mov_b32 s23, s21
	s_delay_alu instid0(VALU_DEP_3) | instskip(SKIP_2) | instid1(VALU_DEP_2)
	v_cndmask_b32_e64 v46, v43, v24, s3
	v_cndmask_b32_e64 v45, v4, v23, s3
	v_trig_preop_f64 v[23:24], |v[4:5]|, 1
	v_mul_f64 v[47:48], v[25:26], v[45:46]
	v_mul_f64 v[61:62], v[55:56], v[45:46]
	s_delay_alu instid0(VALU_DEP_3) | instskip(NEXT) | instid1(VALU_DEP_3)
	v_mul_f64 v[49:50], v[23:24], v[45:46]
	v_fma_f64 v[25:26], v[25:26], v[45:46], -v[47:48]
	s_delay_alu instid0(VALU_DEP_2) | instskip(NEXT) | instid1(VALU_DEP_4)
	v_fma_f64 v[63:64], v[23:24], v[45:46], -v[49:50]
	v_fma_f64 v[45:46], v[55:56], v[45:46], -v[61:62]
	s_delay_alu instid0(VALU_DEP_3) | instskip(NEXT) | instid1(VALU_DEP_1)
	v_add_f64 v[51:52], v[49:50], v[25:26]
	v_add_f64 v[53:54], v[51:52], -v[49:50]
	v_add_f64 v[59:60], v[47:48], v[51:52]
	s_delay_alu instid0(VALU_DEP_2) | instskip(SKIP_2) | instid1(VALU_DEP_4)
	v_add_f64 v[57:58], v[51:52], -v[53:54]
	v_add_f64 v[23:24], v[25:26], -v[53:54]
	v_add_f64 v[53:54], v[61:62], v[63:64]
	v_add_f64 v[47:48], v[59:60], -v[47:48]
	s_delay_alu instid0(VALU_DEP_4) | instskip(SKIP_1) | instid1(VALU_DEP_3)
	v_add_f64 v[25:26], v[49:50], -v[57:58]
	v_ldexp_f64 v[49:50], v[59:60], -2
	v_add_f64 v[47:48], v[51:52], -v[47:48]
	s_delay_alu instid0(VALU_DEP_3) | instskip(NEXT) | instid1(VALU_DEP_3)
	v_add_f64 v[24:25], v[23:24], v[25:26]
	v_fract_f64_e32 v[57:58], v[49:50]
	v_cmp_neq_f64_e64 s3, 0x7ff00000, |v[49:50]|
	s_delay_alu instid0(VALU_DEP_3) | instskip(NEXT) | instid1(VALU_DEP_2)
	v_add_f64 v[49:50], v[53:54], v[24:25]
	v_cndmask_b32_e64 v52, 0, v58, s3
	s_delay_alu instid0(VALU_DEP_4) | instskip(NEXT) | instid1(VALU_DEP_1)
	v_cndmask_b32_e64 v51, 0, v57, s3
	v_ldexp_f64 v[51:52], v[51:52], 2
	s_delay_alu instid0(VALU_DEP_4) | instskip(SKIP_1) | instid1(VALU_DEP_2)
	v_add_f64 v[57:58], v[47:48], v[49:50]
	v_add_f64 v[65:66], v[49:50], -v[53:54]
	v_add_f64 v[59:60], v[57:58], v[51:52]
	s_delay_alu instid0(VALU_DEP_2) | instskip(SKIP_1) | instid1(VALU_DEP_3)
	v_add_f64 v[71:72], v[49:50], -v[65:66]
	v_add_f64 v[47:48], v[57:58], -v[47:48]
	v_cmp_gt_f64_e64 s3, 0, v[59:60]
	v_add_f64 v[59:60], v[53:54], -v[61:62]
	s_delay_alu instid0(VALU_DEP_3) | instskip(NEXT) | instid1(VALU_DEP_3)
	v_add_f64 v[47:48], v[49:50], -v[47:48]
	v_cndmask_b32_e64 v23, 0, 0x40100000, s3
	s_delay_alu instid0(VALU_DEP_3) | instskip(SKIP_1) | instid1(VALU_DEP_3)
	v_add_f64 v[69:70], v[53:54], -v[59:60]
	v_add_f64 v[59:60], v[63:64], -v[59:60]
	v_add_f64 v[51:52], v[51:52], v[22:23]
	v_add_f64 v[23:24], v[24:25], -v[65:66]
	v_add_f64 v[25:26], v[53:54], -v[71:72]
	;; [unrolled: 1-line block ×3, first 2 shown]
	s_delay_alu instid0(VALU_DEP_4) | instskip(NEXT) | instid1(VALU_DEP_3)
	v_add_f64 v[67:68], v[57:58], v[51:52]
	v_add_f64 v[23:24], v[23:24], v[25:26]
	s_delay_alu instid0(VALU_DEP_3) | instskip(NEXT) | instid1(VALU_DEP_3)
	v_add_f64 v[59:60], v[59:60], v[63:64]
	v_cvt_i32_f64_e32 v43, v[67:68]
	s_delay_alu instid0(VALU_DEP_2) | instskip(NEXT) | instid1(VALU_DEP_2)
	v_add_f64 v[23:24], v[59:60], v[23:24]
	v_cvt_f64_i32_e32 v[53:54], v43
	s_delay_alu instid0(VALU_DEP_2) | instskip(NEXT) | instid1(VALU_DEP_2)
	v_add_f64 v[23:24], v[45:46], v[23:24]
	v_add_f64 v[25:26], v[51:52], -v[53:54]
	s_delay_alu instid0(VALU_DEP_2) | instskip(NEXT) | instid1(VALU_DEP_2)
	v_add_f64 v[46:47], v[47:48], v[23:24]
	v_add_f64 v[51:52], v[57:58], v[25:26]
	s_delay_alu instid0(VALU_DEP_1) | instskip(SKIP_1) | instid1(VALU_DEP_2)
	v_add_f64 v[25:26], v[51:52], -v[25:26]
	v_cmp_le_f64_e64 s3, 0.5, v[51:52]
	v_add_f64 v[24:25], v[57:58], -v[25:26]
	s_delay_alu instid0(VALU_DEP_2) | instskip(SKIP_1) | instid1(VALU_DEP_3)
	v_cndmask_b32_e64 v23, 0, 0x3ff00000, s3
	v_add_co_ci_u32_e64 v45, s4, 0, v43, s3
	v_add_f64 v[24:25], v[46:47], v[24:25]
	s_delay_alu instid0(VALU_DEP_3) | instskip(NEXT) | instid1(VALU_DEP_1)
	v_add_f64 v[46:47], v[51:52], -v[22:23]
	v_add_f64 v[48:49], v[46:47], v[24:25]
	s_delay_alu instid0(VALU_DEP_1) | instskip(SKIP_1) | instid1(VALU_DEP_2)
	v_mul_f64 v[50:51], v[48:49], s[16:17]
	v_add_f64 v[46:47], v[48:49], -v[46:47]
	v_fma_f64 v[52:53], v[48:49], s[16:17], -v[50:51]
	s_delay_alu instid0(VALU_DEP_2) | instskip(NEXT) | instid1(VALU_DEP_2)
	v_add_f64 v[23:24], v[24:25], -v[46:47]
	v_fma_f64 v[25:26], v[48:49], s[22:23], v[52:53]
	s_delay_alu instid0(VALU_DEP_1) | instskip(NEXT) | instid1(VALU_DEP_1)
	v_fma_f64 v[25:26], v[23:24], s[16:17], v[25:26]
	v_add_f64 v[23:24], v[50:51], v[25:26]
	s_delay_alu instid0(VALU_DEP_1) | instskip(NEXT) | instid1(VALU_DEP_1)
	v_add_f64 v[46:47], v[23:24], -v[50:51]
	v_add_f64 v[25:26], v[25:26], -v[46:47]
	s_and_not1_saveexec_b32 s3, s5
	s_cbranch_execnz .LBB132_351
	s_branch .LBB132_352
.LBB132_350:                            ;   in Loop: Header=BB132_185 Depth=1
	s_and_not1_saveexec_b32 s3, s5
	s_cbranch_execz .LBB132_352
.LBB132_351:                            ;   in Loop: Header=BB132_185 Depth=1
	v_mul_f64 v[23:24], |v[4:5]|, s[24:25]
	s_mov_b32 s20, s26
	s_delay_alu instid0(VALU_DEP_1) | instskip(NEXT) | instid1(VALU_DEP_1)
	v_rndne_f64_e32 v[45:46], v[23:24]
	v_fma_f64 v[23:24], v[45:46], s[18:19], |v[4:5]|
	v_mul_f64 v[25:26], v[45:46], s[26:27]
	s_delay_alu instid0(VALU_DEP_2) | instskip(NEXT) | instid1(VALU_DEP_2)
	v_fma_f64 v[49:50], v[45:46], s[26:27], v[23:24]
	v_add_f64 v[47:48], v[23:24], v[25:26]
	s_delay_alu instid0(VALU_DEP_1) | instskip(NEXT) | instid1(VALU_DEP_3)
	v_add_f64 v[23:24], v[23:24], -v[47:48]
	v_add_f64 v[47:48], v[47:48], -v[49:50]
	s_delay_alu instid0(VALU_DEP_2) | instskip(SKIP_1) | instid1(VALU_DEP_2)
	v_add_f64 v[23:24], v[23:24], v[25:26]
	v_fma_f64 v[25:26], v[45:46], s[20:21], v[25:26]
	v_add_f64 v[23:24], v[47:48], v[23:24]
	s_delay_alu instid0(VALU_DEP_1) | instskip(NEXT) | instid1(VALU_DEP_1)
	v_add_f64 v[23:24], v[23:24], -v[25:26]
	v_fma_f64 v[25:26], v[45:46], s[28:29], v[23:24]
	v_cvt_i32_f64_e32 v45, v[45:46]
	s_delay_alu instid0(VALU_DEP_2) | instskip(NEXT) | instid1(VALU_DEP_1)
	v_add_f64 v[23:24], v[49:50], v[25:26]
	v_add_f64 v[47:48], v[23:24], -v[49:50]
	s_delay_alu instid0(VALU_DEP_1)
	v_add_f64 v[25:26], v[25:26], -v[47:48]
.LBB132_352:                            ;   in Loop: Header=BB132_185 Depth=1
	s_or_b32 exec_lo, exec_lo, s3
	v_add_f64 v[2:3], v[2:3], s[78:79]
	v_mul_f64 v[52:53], v[10:11], v[10:11]
	v_mul_f64 v[54:55], v[23:24], v[23:24]
	s_mov_b32 s53, s51
	s_mov_b32 s81, s55
	s_delay_alu instid0(VALU_DEP_4)
	v_mul_f64 v[72:73], v[12:13], 0.5
	v_mul_f64 v[78:79], v[25:26], 0.5
	s_mov_b32 s82, s54
	v_cmp_class_f64_e64 s4, v[4:5], 0x1f8
	v_mul_f64 v[46:47], v[2:3], s[30:31]
	v_fma_f64 v[56:57], v[52:53], s[72:73], s[70:71]
	v_fma_f64 v[58:59], v[54:55], s[72:73], s[70:71]
	v_mul_f64 v[62:63], v[52:53], 0.5
	v_fma_f64 v[60:61], v[52:53], s[62:63], s[60:61]
	v_fma_f64 v[64:65], v[54:55], s[62:63], s[60:61]
	v_mul_f64 v[66:67], v[54:55], 0.5
	v_mul_f64 v[74:75], v[10:11], -v[52:53]
	v_mul_f64 v[80:81], v[23:24], -v[54:55]
	v_cmp_nlt_f64_e64 s5, 0x40900000, v[2:3]
	v_cmp_ngt_f64_e64 s6, 0xc090cc00, v[2:3]
	v_rndne_f64_e32 v[46:47], v[46:47]
	v_fma_f64 v[56:57], v[52:53], v[56:57], s[74:75]
	v_fma_f64 v[58:59], v[54:55], v[58:59], s[74:75]
	v_add_f64 v[68:69], -v[62:63], 1.0
	v_fma_f64 v[60:61], v[52:53], v[60:61], s[64:65]
	v_fma_f64 v[64:65], v[54:55], v[64:65], s[64:65]
	v_add_f64 v[70:71], -v[66:67], 1.0
	v_fma_f64 v[48:49], v[46:47], s[34:35], v[2:3]
	v_fma_f64 v[56:57], v[52:53], v[56:57], s[76:77]
	;; [unrolled: 1-line block ×3, first 2 shown]
	v_add_f64 v[76:77], -v[68:69], 1.0
	v_fma_f64 v[60:61], v[52:53], v[60:61], s[66:67]
	v_fma_f64 v[64:65], v[54:55], v[64:65], s[66:67]
	v_add_f64 v[82:83], -v[70:71], 1.0
	v_cvt_i32_f64_e32 v43, v[46:47]
	v_lshlrev_b32_e32 v2, 30, v45
	v_lshlrev_b32_e32 v3, 30, v44
	s_delay_alu instid0(VALU_DEP_2) | instskip(NEXT) | instid1(VALU_DEP_2)
	v_xor_b32_e32 v2, v2, v5
	v_and_b32_e32 v3, 0x80000000, v3
	v_fma_f64 v[48:49], v[46:47], s[36:37], v[48:49]
	v_fma_f64 v[56:57], v[52:53], v[56:57], s[50:51]
	;; [unrolled: 1-line block ×3, first 2 shown]
	v_add_f64 v[62:63], v[76:77], -v[62:63]
	v_fma_f64 v[60:61], v[52:53], v[60:61], s[68:69]
	v_fma_f64 v[64:65], v[54:55], v[64:65], s[68:69]
	v_add_f64 v[66:67], v[82:83], -v[66:67]
	v_fma_f64 v[50:51], v[48:49], s[40:41], s[38:39]
	v_fma_f64 v[56:57], v[74:75], v[56:57], v[72:73]
	v_fma_f64 v[58:59], v[80:81], v[58:59], v[78:79]
	v_fma_f64 v[62:63], v[10:11], -v[12:13], v[62:63]
	v_mul_f64 v[72:73], v[52:53], v[52:53]
	v_fma_f64 v[60:61], v[52:53], v[60:61], s[54:55]
	v_fma_f64 v[50:51], v[48:49], v[50:51], s[42:43]
	v_fma_f64 v[12:13], v[52:53], v[56:57], -v[12:13]
	v_mul_f64 v[52:53], v[54:55], v[54:55]
	v_fma_f64 v[56:57], v[54:55], v[64:65], s[54:55]
	v_fma_f64 v[64:65], v[23:24], -v[25:26], v[66:67]
	v_fma_f64 v[25:26], v[54:55], v[58:59], -v[25:26]
	v_fma_f64 v[54:55], v[72:73], v[60:61], v[62:63]
	v_fma_f64 v[50:51], v[48:49], v[50:51], s[44:45]
	;; [unrolled: 1-line block ×3, first 2 shown]
	s_delay_alu instid0(VALU_DEP_4) | instskip(NEXT) | instid1(VALU_DEP_3)
	v_fma_f64 v[25:26], v[80:81], s[82:83], v[25:26]
	v_fma_f64 v[50:51], v[48:49], v[50:51], s[46:47]
	s_delay_alu instid0(VALU_DEP_3) | instskip(NEXT) | instid1(VALU_DEP_3)
	v_add_f64 v[10:11], v[10:11], -v[12:13]
	v_add_f64 v[23:24], v[23:24], -v[25:26]
	v_and_b32_e32 v25, 1, v44
	s_delay_alu instid0(VALU_DEP_1) | instskip(SKIP_2) | instid1(VALU_DEP_2)
	v_cmp_eq_u32_e64 s3, 0, v25
	v_fma_f64 v[50:51], v[48:49], v[50:51], s[48:49]
	v_xor_b32_e32 v11, 0x80000000, v11
	v_fma_f64 v[50:51], v[48:49], v[50:51], s[52:53]
	s_delay_alu instid0(VALU_DEP_1) | instskip(NEXT) | instid1(VALU_DEP_1)
	v_fma_f64 v[50:51], v[48:49], v[50:51], s[80:81]
	v_fma_f64 v[50:51], v[48:49], v[50:51], s[56:57]
	s_delay_alu instid0(VALU_DEP_1) | instskip(NEXT) | instid1(VALU_DEP_1)
	v_fma_f64 v[50:51], v[48:49], v[50:51], s[58:59]
	v_fma_f64 v[50:51], v[48:49], v[50:51], 1.0
	s_delay_alu instid0(VALU_DEP_1) | instskip(SKIP_2) | instid1(VALU_DEP_3)
	v_fma_f64 v[46:47], v[48:49], v[50:51], 1.0
	v_fma_f64 v[48:49], v[52:53], v[56:57], v[64:65]
	v_add_f64 v[50:51], v[68:69], v[54:55]
	v_ldexp_f64 v[12:13], v[46:47], v43
	s_delay_alu instid0(VALU_DEP_3) | instskip(NEXT) | instid1(VALU_DEP_3)
	v_add_f64 v[46:47], v[70:71], v[48:49]
	v_cndmask_b32_e64 v5, v11, v51, s3
	v_and_b32_e32 v11, 0x80000000, v2
	v_cndmask_b32_e64 v10, v10, v50, s3
	s_and_b32 s3, s6, s5
	s_delay_alu instid0(VALU_DEP_3) | instskip(NEXT) | instid1(VALU_DEP_2)
	v_xor_b32_e32 v3, v5, v3
	v_cndmask_b32_e64 v2, 0, v10, s4
	s_delay_alu instid0(VALU_DEP_2) | instskip(SKIP_4) | instid1(VALU_DEP_3)
	v_cndmask_b32_e64 v3, 0x7ff80000, v3, s4
	v_cndmask_b32_e64 v4, 0x7ff00000, v13, s5
	v_and_b32_e32 v13, 1, v45
	v_cndmask_b32_e64 v10, 0, v12, s3
	v_mov_b32_e32 v12, v22
	v_cmp_eq_u32_e64 s7, 0, v13
	s_delay_alu instid0(VALU_DEP_1) | instskip(SKIP_2) | instid1(VALU_DEP_3)
	v_cndmask_b32_e64 v13, v46, v23, s7
	v_cndmask_b32_e64 v23, v47, v24, s7
	;; [unrolled: 1-line block ×4, first 2 shown]
	s_delay_alu instid0(VALU_DEP_3) | instskip(NEXT) | instid1(VALU_DEP_3)
	v_xor_b32_e32 v5, v23, v11
	v_and_or_b32 v11, v24, s89, 0x7fe00000
	s_delay_alu instid0(VALU_DEP_2) | instskip(NEXT) | instid1(VALU_DEP_2)
	v_cndmask_b32_e64 v5, 0x7ff80000, v5, s4
	v_mul_f64 v[2:3], v[10:11], v[2:3]
	s_delay_alu instid0(VALU_DEP_2) | instskip(SKIP_1) | instid1(VALU_DEP_1)
	v_mul_f64 v[4:5], v[10:11], v[4:5]
	v_lshrrev_b32_e32 v10, 20, v24
	v_add_nc_u32_e32 v10, 0xffffff09, v10
	s_delay_alu instid0(VALU_DEP_1) | instskip(NEXT) | instid1(VALU_DEP_1)
	v_lshrrev_b16 v11, 15, v10
	v_add_nc_u16 v11, v10, v11
	s_delay_alu instid0(VALU_DEP_1) | instskip(NEXT) | instid1(VALU_DEP_1)
	v_ashrrev_i16 v11, 1, v11
	v_bfe_i32 v11, v11, 0, 16
	s_delay_alu instid0(VALU_DEP_1) | instskip(SKIP_1) | instid1(VALU_DEP_2)
	v_lshl_add_u32 v23, v11, 20, 0x3ff00000
	v_sub_nc_u32_e32 v10, v10, v11
	v_mul_f64 v[2:3], v[2:3], v[22:23]
	s_delay_alu instid0(VALU_DEP_2) | instskip(SKIP_1) | instid1(VALU_DEP_2)
	v_lshl_add_u32 v13, v10, 20, 0x3ff00000
	v_mul_f64 v[4:5], v[4:5], v[22:23]
	v_mul_f64 v[10:11], v[2:3], v[12:13]
	s_delay_alu instid0(VALU_DEP_2)
	v_mul_f64 v[12:13], v[4:5], v[12:13]
.LBB132_353:                            ;   in Loop: Header=BB132_185 Depth=1
	s_or_b32 exec_lo, exec_lo, s92
                                        ; implicit-def: $vgpr2_vgpr3
                                        ; implicit-def: $vgpr23
.LBB132_354:                            ;   in Loop: Header=BB132_185 Depth=1
	s_and_not1_saveexec_b32 s5, s91
	s_cbranch_execz .LBB132_360
; %bb.355:                              ;   in Loop: Header=BB132_185 Depth=1
	v_cmp_ne_u32_e64 s3, 0, v2
	v_cmp_ne_u32_e64 s4, 0x7ff00000, v23
                                        ; implicit-def: $vgpr12_vgpr13
	s_delay_alu instid0(VALU_DEP_1) | instskip(NEXT) | instid1(SALU_CYCLE_1)
	s_or_b32 s3, s3, s4
	s_and_saveexec_b32 s4, s3
	s_delay_alu instid0(SALU_CYCLE_1)
	s_xor_b32 s3, exec_lo, s4
; %bb.356:                              ;   in Loop: Header=BB132_185 Depth=1
	v_add_f64 v[12:13], v[4:5], -v[4:5]
                                        ; implicit-def: $vgpr2_vgpr3
; %bb.357:                              ;   in Loop: Header=BB132_185 Depth=1
	s_or_saveexec_b32 s4, s3
	s_delay_alu instid0(VALU_DEP_1)
	v_dual_mov_b32 v10, v12 :: v_dual_mov_b32 v11, v13
	s_xor_b32 exec_lo, exec_lo, s4
; %bb.358:                              ;   in Loop: Header=BB132_185 Depth=1
	v_add_f64 v[4:5], v[4:5], -v[4:5]
	v_cmp_lt_i64_e64 s3, -1, v[2:3]
	s_delay_alu instid0(VALU_DEP_1) | instskip(SKIP_1) | instid1(VALU_DEP_4)
	v_cndmask_b32_e64 v11, 0, v3, s3
	v_cndmask_b32_e64 v10, 0, v2, s3
	;; [unrolled: 1-line block ×4, first 2 shown]
; %bb.359:                              ;   in Loop: Header=BB132_185 Depth=1
	s_or_b32 exec_lo, exec_lo, s4
.LBB132_360:                            ;   in Loop: Header=BB132_185 Depth=1
	s_delay_alu instid0(SALU_CYCLE_1)
	s_or_b32 exec_lo, exec_lo, s5
                                        ; implicit-def: $vgpr4_vgpr5
                                        ; implicit-def: $vgpr43
.LBB132_361:                            ;   in Loop: Header=BB132_185 Depth=1
	s_and_not1_saveexec_b32 s6, s90
	s_cbranch_execz .LBB132_371
; %bb.362:                              ;   in Loop: Header=BB132_185 Depth=1
	v_cmp_ngt_f64_e64 s5, 0x41d00000, |v[4:5]|
                                        ; implicit-def: $vgpr25
                                        ; implicit-def: $vgpr2_vgpr3
                                        ; implicit-def: $vgpr10_vgpr11
	s_delay_alu instid0(VALU_DEP_1) | instskip(NEXT) | instid1(SALU_CYCLE_1)
	s_and_saveexec_b32 s3, s5
	s_xor_b32 s7, exec_lo, s3
	s_cbranch_execz .LBB132_364
; %bb.363:                              ;   in Loop: Header=BB132_185 Depth=1
	v_ldexp_f64 v[2:3], |v[4:5]|, 0xffffff80
	v_cmp_le_f64_e64 s3, 0x7b000000, |v[4:5]|
	v_trig_preop_f64 v[10:11], |v[4:5]|, 0
	v_trig_preop_f64 v[12:13], |v[4:5]|, 1
	v_trig_preop_f64 v[48:49], |v[4:5]|, 2
	s_mov_b32 s16, s18
	s_mov_b32 s23, s21
	s_delay_alu instid0(VALU_DEP_4) | instskip(SKIP_1) | instid1(VALU_DEP_1)
	v_cndmask_b32_e64 v3, v43, v3, s3
	v_cndmask_b32_e64 v2, v4, v2, s3
	v_mul_f64 v[23:24], v[10:11], v[2:3]
	v_mul_f64 v[25:26], v[12:13], v[2:3]
	;; [unrolled: 1-line block ×3, first 2 shown]
	s_delay_alu instid0(VALU_DEP_3) | instskip(NEXT) | instid1(VALU_DEP_3)
	v_fma_f64 v[10:11], v[10:11], v[2:3], -v[23:24]
	v_fma_f64 v[12:13], v[12:13], v[2:3], -v[25:26]
	s_delay_alu instid0(VALU_DEP_3) | instskip(NEXT) | instid1(VALU_DEP_3)
	v_fma_f64 v[2:3], v[48:49], v[2:3], -v[54:55]
	v_add_f64 v[44:45], v[25:26], v[10:11]
	s_delay_alu instid0(VALU_DEP_1) | instskip(SKIP_1) | instid1(VALU_DEP_2)
	v_add_f64 v[46:47], v[44:45], -v[25:26]
	v_add_f64 v[52:53], v[23:24], v[44:45]
	v_add_f64 v[50:51], v[44:45], -v[46:47]
	v_add_f64 v[10:11], v[10:11], -v[46:47]
	s_delay_alu instid0(VALU_DEP_3) | instskip(SKIP_1) | instid1(VALU_DEP_4)
	v_ldexp_f64 v[46:47], v[52:53], -2
	v_add_f64 v[23:24], v[52:53], -v[23:24]
	v_add_f64 v[25:26], v[25:26], -v[50:51]
	v_add_f64 v[50:51], v[54:55], v[12:13]
	s_delay_alu instid0(VALU_DEP_4) | instskip(NEXT) | instid1(VALU_DEP_4)
	v_cmp_neq_f64_e64 s3, 0x7ff00000, |v[46:47]|
	v_add_f64 v[44:45], v[44:45], -v[23:24]
	s_delay_alu instid0(VALU_DEP_4) | instskip(SKIP_1) | instid1(VALU_DEP_2)
	v_add_f64 v[10:11], v[10:11], v[25:26]
	v_fract_f64_e32 v[25:26], v[46:47]
	v_add_f64 v[46:47], v[50:51], v[10:11]
	s_delay_alu instid0(VALU_DEP_2) | instskip(NEXT) | instid1(VALU_DEP_3)
	v_cndmask_b32_e64 v24, 0, v26, s3
	v_cndmask_b32_e64 v23, 0, v25, s3
	s_delay_alu instid0(VALU_DEP_1) | instskip(NEXT) | instid1(VALU_DEP_4)
	v_ldexp_f64 v[24:25], v[23:24], 2
	v_add_f64 v[52:53], v[44:45], v[46:47]
	s_delay_alu instid0(VALU_DEP_1) | instskip(NEXT) | instid1(VALU_DEP_1)
	v_add_f64 v[56:57], v[52:53], v[24:25]
	v_cmp_gt_f64_e64 s3, 0, v[56:57]
	v_add_f64 v[56:57], v[46:47], -v[50:51]
	s_delay_alu instid0(VALU_DEP_2) | instskip(NEXT) | instid1(VALU_DEP_2)
	v_cndmask_b32_e64 v23, 0, 0x40100000, s3
	v_add_f64 v[62:63], v[46:47], -v[56:57]
	v_add_f64 v[10:11], v[10:11], -v[56:57]
	s_delay_alu instid0(VALU_DEP_3) | instskip(SKIP_1) | instid1(VALU_DEP_2)
	v_add_f64 v[23:24], v[24:25], v[22:23]
	v_add_f64 v[25:26], v[50:51], -v[54:55]
	v_add_f64 v[58:59], v[52:53], v[23:24]
	s_delay_alu instid0(VALU_DEP_2) | instskip(SKIP_2) | instid1(VALU_DEP_4)
	v_add_f64 v[60:61], v[50:51], -v[25:26]
	v_add_f64 v[12:13], v[12:13], -v[25:26]
	;; [unrolled: 1-line block ×3, first 2 shown]
	v_cvt_i32_f64_e32 v58, v[58:59]
	s_delay_alu instid0(VALU_DEP_4) | instskip(NEXT) | instid1(VALU_DEP_3)
	v_add_f64 v[25:26], v[54:55], -v[60:61]
	v_add_f64 v[10:11], v[10:11], v[50:51]
	s_delay_alu instid0(VALU_DEP_3) | instskip(NEXT) | instid1(VALU_DEP_3)
	v_cvt_f64_i32_e32 v[56:57], v58
	v_add_f64 v[12:13], v[12:13], v[25:26]
	v_add_f64 v[25:26], v[52:53], -v[44:45]
	s_delay_alu instid0(VALU_DEP_3) | instskip(NEXT) | instid1(VALU_DEP_3)
	v_add_f64 v[23:24], v[23:24], -v[56:57]
	v_add_f64 v[10:11], v[12:13], v[10:11]
	s_delay_alu instid0(VALU_DEP_3) | instskip(NEXT) | instid1(VALU_DEP_3)
	v_add_f64 v[25:26], v[46:47], -v[25:26]
	v_add_f64 v[12:13], v[52:53], v[23:24]
	s_delay_alu instid0(VALU_DEP_3) | instskip(NEXT) | instid1(VALU_DEP_2)
	v_add_f64 v[2:3], v[2:3], v[10:11]
	v_add_f64 v[10:11], v[12:13], -v[23:24]
	v_cmp_le_f64_e64 s3, 0.5, v[12:13]
	s_delay_alu instid0(VALU_DEP_3) | instskip(NEXT) | instid1(VALU_DEP_3)
	v_add_f64 v[2:3], v[25:26], v[2:3]
	v_add_f64 v[10:11], v[52:53], -v[10:11]
	s_delay_alu instid0(VALU_DEP_3) | instskip(SKIP_1) | instid1(VALU_DEP_3)
	v_cndmask_b32_e64 v23, 0, 0x3ff00000, s3
	v_add_co_ci_u32_e64 v25, s4, 0, v58, s3
	v_add_f64 v[2:3], v[2:3], v[10:11]
	s_delay_alu instid0(VALU_DEP_3) | instskip(NEXT) | instid1(VALU_DEP_1)
	v_add_f64 v[10:11], v[12:13], -v[22:23]
	v_add_f64 v[12:13], v[10:11], v[2:3]
	s_delay_alu instid0(VALU_DEP_1) | instskip(SKIP_1) | instid1(VALU_DEP_2)
	v_mul_f64 v[23:24], v[12:13], s[16:17]
	v_add_f64 v[10:11], v[12:13], -v[10:11]
	v_fma_f64 v[44:45], v[12:13], s[16:17], -v[23:24]
	s_delay_alu instid0(VALU_DEP_2) | instskip(NEXT) | instid1(VALU_DEP_2)
	v_add_f64 v[2:3], v[2:3], -v[10:11]
	v_fma_f64 v[10:11], v[12:13], s[22:23], v[44:45]
	s_delay_alu instid0(VALU_DEP_1) | instskip(NEXT) | instid1(VALU_DEP_1)
	v_fma_f64 v[10:11], v[2:3], s[16:17], v[10:11]
	v_add_f64 v[2:3], v[23:24], v[10:11]
	s_delay_alu instid0(VALU_DEP_1) | instskip(NEXT) | instid1(VALU_DEP_1)
	v_add_f64 v[12:13], v[2:3], -v[23:24]
	v_add_f64 v[10:11], v[10:11], -v[12:13]
	s_and_not1_saveexec_b32 s3, s7
	s_cbranch_execz .LBB132_366
	s_branch .LBB132_365
.LBB132_364:                            ;   in Loop: Header=BB132_185 Depth=1
	s_and_not1_saveexec_b32 s3, s7
	s_cbranch_execz .LBB132_366
.LBB132_365:                            ;   in Loop: Header=BB132_185 Depth=1
	v_mul_f64 v[2:3], |v[4:5]|, s[24:25]
	s_mov_b32 s20, s26
	s_delay_alu instid0(VALU_DEP_1) | instskip(NEXT) | instid1(VALU_DEP_1)
	v_rndne_f64_e32 v[12:13], v[2:3]
	v_fma_f64 v[2:3], v[12:13], s[18:19], |v[4:5]|
	v_mul_f64 v[10:11], v[12:13], s[26:27]
	s_delay_alu instid0(VALU_DEP_2) | instskip(NEXT) | instid1(VALU_DEP_2)
	v_fma_f64 v[25:26], v[12:13], s[26:27], v[2:3]
	v_add_f64 v[23:24], v[2:3], v[10:11]
	s_delay_alu instid0(VALU_DEP_1) | instskip(NEXT) | instid1(VALU_DEP_3)
	v_add_f64 v[2:3], v[2:3], -v[23:24]
	v_add_f64 v[23:24], v[23:24], -v[25:26]
	s_delay_alu instid0(VALU_DEP_2) | instskip(SKIP_1) | instid1(VALU_DEP_2)
	v_add_f64 v[2:3], v[2:3], v[10:11]
	v_fma_f64 v[10:11], v[12:13], s[20:21], v[10:11]
	v_add_f64 v[2:3], v[23:24], v[2:3]
	s_delay_alu instid0(VALU_DEP_1) | instskip(NEXT) | instid1(VALU_DEP_1)
	v_add_f64 v[2:3], v[2:3], -v[10:11]
	v_fma_f64 v[10:11], v[12:13], s[28:29], v[2:3]
	s_delay_alu instid0(VALU_DEP_1) | instskip(NEXT) | instid1(VALU_DEP_1)
	v_add_f64 v[2:3], v[25:26], v[10:11]
	v_add_f64 v[23:24], v[2:3], -v[25:26]
	v_cvt_i32_f64_e32 v25, v[12:13]
	s_delay_alu instid0(VALU_DEP_2)
	v_add_f64 v[10:11], v[10:11], -v[23:24]
.LBB132_366:                            ;   in Loop: Header=BB132_185 Depth=1
	s_or_b32 exec_lo, exec_lo, s3
                                        ; implicit-def: $vgpr26
                                        ; implicit-def: $vgpr12_vgpr13
                                        ; implicit-def: $vgpr23_vgpr24
	s_and_saveexec_b32 s3, s5
	s_delay_alu instid0(SALU_CYCLE_1)
	s_xor_b32 s5, exec_lo, s3
	s_cbranch_execz .LBB132_368
; %bb.367:                              ;   in Loop: Header=BB132_185 Depth=1
	v_ldexp_f64 v[12:13], |v[4:5]|, 0xffffff80
	v_cmp_le_f64_e64 s3, 0x7b000000, |v[4:5]|
	v_trig_preop_f64 v[23:24], |v[4:5]|, 0
	v_trig_preop_f64 v[53:54], |v[4:5]|, 2
	s_mov_b32 s16, s18
	s_mov_b32 s23, s21
	s_delay_alu instid0(VALU_DEP_3) | instskip(SKIP_2) | instid1(VALU_DEP_2)
	v_cndmask_b32_e64 v13, v43, v13, s3
	v_cndmask_b32_e64 v12, v4, v12, s3
	v_trig_preop_f64 v[43:44], |v[4:5]|, 1
	v_mul_f64 v[45:46], v[23:24], v[12:13]
	v_mul_f64 v[59:60], v[53:54], v[12:13]
	s_delay_alu instid0(VALU_DEP_3) | instskip(NEXT) | instid1(VALU_DEP_3)
	v_mul_f64 v[47:48], v[43:44], v[12:13]
	v_fma_f64 v[23:24], v[23:24], v[12:13], -v[45:46]
	s_delay_alu instid0(VALU_DEP_2) | instskip(NEXT) | instid1(VALU_DEP_4)
	v_fma_f64 v[43:44], v[43:44], v[12:13], -v[47:48]
	v_fma_f64 v[12:13], v[53:54], v[12:13], -v[59:60]
	s_delay_alu instid0(VALU_DEP_3) | instskip(NEXT) | instid1(VALU_DEP_1)
	v_add_f64 v[49:50], v[47:48], v[23:24]
	v_add_f64 v[51:52], v[49:50], -v[47:48]
	v_add_f64 v[57:58], v[45:46], v[49:50]
	s_delay_alu instid0(VALU_DEP_2) | instskip(SKIP_1) | instid1(VALU_DEP_3)
	v_add_f64 v[55:56], v[49:50], -v[51:52]
	v_add_f64 v[23:24], v[23:24], -v[51:52]
	v_ldexp_f64 v[51:52], v[57:58], -2
	v_add_f64 v[45:46], v[57:58], -v[45:46]
	s_delay_alu instid0(VALU_DEP_4) | instskip(SKIP_1) | instid1(VALU_DEP_4)
	v_add_f64 v[47:48], v[47:48], -v[55:56]
	v_add_f64 v[55:56], v[59:60], v[43:44]
	v_cmp_neq_f64_e64 s3, 0x7ff00000, |v[51:52]|
	s_delay_alu instid0(VALU_DEP_4) | instskip(NEXT) | instid1(VALU_DEP_4)
	v_add_f64 v[45:46], v[49:50], -v[45:46]
	v_add_f64 v[47:48], v[23:24], v[47:48]
	v_fract_f64_e32 v[23:24], v[51:52]
	s_delay_alu instid0(VALU_DEP_2) | instskip(NEXT) | instid1(VALU_DEP_2)
	v_add_f64 v[49:50], v[55:56], v[47:48]
	v_cndmask_b32_e64 v24, 0, v24, s3
	s_delay_alu instid0(VALU_DEP_3) | instskip(NEXT) | instid1(VALU_DEP_1)
	v_cndmask_b32_e64 v23, 0, v23, s3
	v_ldexp_f64 v[51:52], v[23:24], 2
	s_delay_alu instid0(VALU_DEP_4) | instskip(SKIP_1) | instid1(VALU_DEP_2)
	v_add_f64 v[57:58], v[45:46], v[49:50]
	v_add_f64 v[61:62], v[49:50], -v[55:56]
	v_add_f64 v[23:24], v[57:58], v[51:52]
	s_delay_alu instid0(VALU_DEP_2) | instskip(SKIP_2) | instid1(VALU_DEP_4)
	v_add_f64 v[67:68], v[49:50], -v[61:62]
	v_add_f64 v[47:48], v[47:48], -v[61:62]
	;; [unrolled: 1-line block ×3, first 2 shown]
	v_cmp_gt_f64_e64 s3, 0, v[23:24]
	s_delay_alu instid0(VALU_DEP_2) | instskip(NEXT) | instid1(VALU_DEP_2)
	v_add_f64 v[45:46], v[49:50], -v[45:46]
	v_cndmask_b32_e64 v23, 0, 0x40100000, s3
	s_delay_alu instid0(VALU_DEP_1) | instskip(SKIP_1) | instid1(VALU_DEP_2)
	v_add_f64 v[23:24], v[51:52], v[22:23]
	v_add_f64 v[51:52], v[55:56], -v[59:60]
	v_add_f64 v[63:64], v[57:58], v[23:24]
	s_delay_alu instid0(VALU_DEP_2) | instskip(SKIP_2) | instid1(VALU_DEP_4)
	v_add_f64 v[65:66], v[55:56], -v[51:52]
	v_add_f64 v[43:44], v[43:44], -v[51:52]
	;; [unrolled: 1-line block ×3, first 2 shown]
	v_cvt_i32_f64_e32 v26, v[63:64]
	s_delay_alu instid0(VALU_DEP_4) | instskip(NEXT) | instid1(VALU_DEP_3)
	v_add_f64 v[51:52], v[59:60], -v[65:66]
	v_add_f64 v[47:48], v[47:48], v[55:56]
	s_delay_alu instid0(VALU_DEP_3) | instskip(NEXT) | instid1(VALU_DEP_3)
	v_cvt_f64_i32_e32 v[61:62], v26
	v_add_f64 v[43:44], v[43:44], v[51:52]
	s_delay_alu instid0(VALU_DEP_2) | instskip(NEXT) | instid1(VALU_DEP_2)
	v_add_f64 v[23:24], v[23:24], -v[61:62]
	v_add_f64 v[43:44], v[43:44], v[47:48]
	s_delay_alu instid0(VALU_DEP_2) | instskip(NEXT) | instid1(VALU_DEP_2)
	v_add_f64 v[47:48], v[57:58], v[23:24]
	v_add_f64 v[12:13], v[12:13], v[43:44]
	s_delay_alu instid0(VALU_DEP_2) | instskip(SKIP_1) | instid1(VALU_DEP_3)
	v_add_f64 v[23:24], v[47:48], -v[23:24]
	v_cmp_le_f64_e64 s3, 0.5, v[47:48]
	v_add_f64 v[12:13], v[45:46], v[12:13]
	s_delay_alu instid0(VALU_DEP_3) | instskip(NEXT) | instid1(VALU_DEP_3)
	v_add_f64 v[43:44], v[57:58], -v[23:24]
	v_cndmask_b32_e64 v23, 0, 0x3ff00000, s3
	v_add_co_ci_u32_e64 v26, s4, 0, v26, s3
	s_delay_alu instid0(VALU_DEP_2) | instskip(NEXT) | instid1(VALU_DEP_4)
	v_add_f64 v[23:24], v[47:48], -v[22:23]
	v_add_f64 v[12:13], v[12:13], v[43:44]
	s_delay_alu instid0(VALU_DEP_1) | instskip(NEXT) | instid1(VALU_DEP_1)
	v_add_f64 v[43:44], v[23:24], v[12:13]
	v_mul_f64 v[45:46], v[43:44], s[16:17]
	v_add_f64 v[23:24], v[43:44], -v[23:24]
	s_delay_alu instid0(VALU_DEP_2) | instskip(NEXT) | instid1(VALU_DEP_2)
	v_fma_f64 v[47:48], v[43:44], s[16:17], -v[45:46]
	v_add_f64 v[12:13], v[12:13], -v[23:24]
	s_delay_alu instid0(VALU_DEP_2) | instskip(NEXT) | instid1(VALU_DEP_1)
	v_fma_f64 v[23:24], v[43:44], s[22:23], v[47:48]
	v_fma_f64 v[23:24], v[12:13], s[16:17], v[23:24]
	s_delay_alu instid0(VALU_DEP_1) | instskip(NEXT) | instid1(VALU_DEP_1)
	v_add_f64 v[12:13], v[45:46], v[23:24]
	v_add_f64 v[43:44], v[12:13], -v[45:46]
	s_delay_alu instid0(VALU_DEP_1)
	v_add_f64 v[23:24], v[23:24], -v[43:44]
	s_and_not1_saveexec_b32 s3, s5
	s_cbranch_execnz .LBB132_369
	s_branch .LBB132_370
.LBB132_368:                            ;   in Loop: Header=BB132_185 Depth=1
	s_and_not1_saveexec_b32 s3, s5
	s_cbranch_execz .LBB132_370
.LBB132_369:                            ;   in Loop: Header=BB132_185 Depth=1
	v_mul_f64 v[12:13], |v[4:5]|, s[24:25]
	s_mov_b32 s20, s26
	s_delay_alu instid0(VALU_DEP_1) | instskip(NEXT) | instid1(VALU_DEP_1)
	v_rndne_f64_e32 v[43:44], v[12:13]
	v_fma_f64 v[12:13], v[43:44], s[18:19], |v[4:5]|
	v_mul_f64 v[23:24], v[43:44], s[26:27]
	v_cvt_i32_f64_e32 v26, v[43:44]
	s_delay_alu instid0(VALU_DEP_3) | instskip(NEXT) | instid1(VALU_DEP_3)
	v_fma_f64 v[47:48], v[43:44], s[26:27], v[12:13]
	v_add_f64 v[45:46], v[12:13], v[23:24]
	s_delay_alu instid0(VALU_DEP_1) | instskip(NEXT) | instid1(VALU_DEP_3)
	v_add_f64 v[12:13], v[12:13], -v[45:46]
	v_add_f64 v[45:46], v[45:46], -v[47:48]
	s_delay_alu instid0(VALU_DEP_2) | instskip(SKIP_1) | instid1(VALU_DEP_2)
	v_add_f64 v[12:13], v[12:13], v[23:24]
	v_fma_f64 v[23:24], v[43:44], s[20:21], v[23:24]
	v_add_f64 v[12:13], v[45:46], v[12:13]
	s_delay_alu instid0(VALU_DEP_1) | instskip(NEXT) | instid1(VALU_DEP_1)
	v_add_f64 v[12:13], v[12:13], -v[23:24]
	v_fma_f64 v[23:24], v[43:44], s[28:29], v[12:13]
	s_delay_alu instid0(VALU_DEP_1) | instskip(NEXT) | instid1(VALU_DEP_1)
	v_add_f64 v[12:13], v[47:48], v[23:24]
	v_add_f64 v[45:46], v[12:13], -v[47:48]
	s_delay_alu instid0(VALU_DEP_1)
	v_add_f64 v[23:24], v[23:24], -v[45:46]
.LBB132_370:                            ;   in Loop: Header=BB132_185 Depth=1
	s_or_b32 exec_lo, exec_lo, s3
	v_mul_f64 v[43:44], v[2:3], v[2:3]
	s_delay_alu instid0(VALU_DEP_3) | instskip(NEXT) | instid1(VALU_DEP_3)
	v_mul_f64 v[45:46], v[12:13], v[12:13]
	v_mul_f64 v[63:64], v[10:11], 0.5
	s_delay_alu instid0(VALU_DEP_4) | instskip(SKIP_3) | instid1(VALU_DEP_1)
	v_mul_f64 v[69:70], v[23:24], 0.5
	s_mov_b32 s82, s54
	v_cmp_class_f64_e64 s4, v[4:5], 0x1f8
	v_lshlrev_b32_e32 v4, 30, v26
	v_xor_b32_e32 v4, v4, v5
	s_delay_alu instid0(VALU_DEP_1)
	v_and_b32_e32 v4, 0x80000000, v4
	v_fma_f64 v[47:48], v[43:44], s[72:73], s[70:71]
	v_fma_f64 v[49:50], v[45:46], s[72:73], s[70:71]
	v_mul_f64 v[53:54], v[43:44], 0.5
	v_fma_f64 v[51:52], v[43:44], s[62:63], s[60:61]
	v_fma_f64 v[55:56], v[45:46], s[62:63], s[60:61]
	v_mul_f64 v[57:58], v[45:46], 0.5
	v_mul_f64 v[65:66], v[2:3], -v[43:44]
	v_mul_f64 v[71:72], v[12:13], -v[45:46]
	v_fma_f64 v[47:48], v[43:44], v[47:48], s[74:75]
	v_fma_f64 v[49:50], v[45:46], v[49:50], s[74:75]
	v_add_f64 v[59:60], -v[53:54], 1.0
	v_fma_f64 v[51:52], v[43:44], v[51:52], s[64:65]
	v_fma_f64 v[55:56], v[45:46], v[55:56], s[64:65]
	v_add_f64 v[61:62], -v[57:58], 1.0
	;; [unrolled: 3-line block ×4, first 2 shown]
	v_fma_f64 v[47:48], v[43:44], v[47:48], s[50:51]
	v_fma_f64 v[49:50], v[45:46], v[49:50], s[50:51]
	v_add_f64 v[53:54], v[67:68], -v[53:54]
	v_fma_f64 v[51:52], v[43:44], v[51:52], s[68:69]
	v_fma_f64 v[55:56], v[45:46], v[55:56], s[68:69]
	v_add_f64 v[57:58], v[73:74], -v[57:58]
	v_fma_f64 v[47:48], v[65:66], v[47:48], v[63:64]
	v_fma_f64 v[49:50], v[71:72], v[49:50], v[69:70]
	v_fma_f64 v[53:54], v[2:3], -v[10:11], v[53:54]
	v_mul_f64 v[63:64], v[43:44], v[43:44]
	v_fma_f64 v[51:52], v[43:44], v[51:52], s[54:55]
	v_fma_f64 v[10:11], v[43:44], v[47:48], -v[10:11]
	v_mul_f64 v[43:44], v[45:46], v[45:46]
	v_fma_f64 v[47:48], v[45:46], v[55:56], s[54:55]
	v_fma_f64 v[55:56], v[12:13], -v[23:24], v[57:58]
	v_fma_f64 v[23:24], v[45:46], v[49:50], -v[23:24]
	v_fma_f64 v[45:46], v[63:64], v[51:52], v[53:54]
	v_fma_f64 v[10:11], v[65:66], s[82:83], v[10:11]
	s_delay_alu instid0(VALU_DEP_4) | instskip(NEXT) | instid1(VALU_DEP_4)
	v_fma_f64 v[43:44], v[43:44], v[47:48], v[55:56]
	v_fma_f64 v[23:24], v[71:72], s[82:83], v[23:24]
	s_delay_alu instid0(VALU_DEP_4) | instskip(NEXT) | instid1(VALU_DEP_4)
	v_add_f64 v[45:46], v[59:60], v[45:46]
	v_add_f64 v[2:3], v[2:3], -v[10:11]
	s_delay_alu instid0(VALU_DEP_4) | instskip(NEXT) | instid1(VALU_DEP_4)
	v_add_f64 v[10:11], v[61:62], v[43:44]
	v_add_f64 v[12:13], v[12:13], -v[23:24]
	v_and_b32_e32 v23, 1, v25
	v_lshlrev_b32_e32 v24, 30, v25
	s_delay_alu instid0(VALU_DEP_2) | instskip(SKIP_1) | instid1(VALU_DEP_3)
	v_cmp_eq_u32_e64 s3, 0, v23
	v_and_b32_e32 v23, 1, v26
	v_and_b32_e32 v5, 0x80000000, v24
	s_delay_alu instid0(VALU_DEP_2) | instskip(SKIP_2) | instid1(VALU_DEP_3)
	v_cmp_eq_u32_e64 s5, 0, v23
	v_xor_b32_e32 v3, 0x80000000, v3
	v_cndmask_b32_e64 v2, v2, v45, s3
	v_cndmask_b32_e64 v12, v10, v12, s5
	s_delay_alu instid0(VALU_DEP_3) | instskip(SKIP_1) | instid1(VALU_DEP_3)
	v_cndmask_b32_e64 v3, v3, v46, s3
	v_cndmask_b32_e64 v10, v11, v13, s5
	;; [unrolled: 1-line block ×3, first 2 shown]
	s_delay_alu instid0(VALU_DEP_3) | instskip(NEXT) | instid1(VALU_DEP_3)
	v_xor_b32_e32 v3, v3, v5
	v_xor_b32_e32 v4, v10, v4
	v_cndmask_b32_e64 v10, 0, v2, s4
	s_delay_alu instid0(VALU_DEP_3) | instskip(NEXT) | instid1(VALU_DEP_3)
	v_cndmask_b32_e64 v11, 0x7ff80000, v3, s4
	v_cndmask_b32_e64 v13, 0x7ff80000, v4, s4
.LBB132_371:                            ;   in Loop: Header=BB132_185 Depth=1
	s_or_b32 exec_lo, exec_lo, s6
                                        ; implicit-def: $vgpr2_vgpr3
	s_and_not1_saveexec_b32 s5, s13
	s_cbranch_execnz .LBB132_332
.LBB132_372:                            ;   in Loop: Header=BB132_185 Depth=1
	s_or_b32 exec_lo, exec_lo, s5
	s_and_saveexec_b32 s3, vcc_lo
	s_delay_alu instid0(SALU_CYCLE_1)
	s_xor_b32 s3, exec_lo, s3
	s_cbranch_execz .LBB132_333
.LBB132_373:                            ;   in Loop: Header=BB132_185 Depth=1
	v_add_co_u32 v2, vcc_lo, v29, s8
	v_add_co_ci_u32_e32 v3, vcc_lo, s9, v30, vcc_lo
	global_store_b128 v[2:3], v[6:9], off offset:-8
	s_or_b32 exec_lo, exec_lo, s3
	s_and_saveexec_b32 s3, s0
	s_cbranch_execnz .LBB132_334
.LBB132_374:                            ;   in Loop: Header=BB132_185 Depth=1
	s_or_b32 exec_lo, exec_lo, s3
	s_and_saveexec_b32 s0, s1
	s_cbranch_execz .LBB132_335
.LBB132_375:                            ;   in Loop: Header=BB132_185 Depth=1
	v_add_co_u32 v2, vcc_lo, v41, s8
	v_add_co_ci_u32_e32 v3, vcc_lo, s9, v42, vcc_lo
	global_store_b128 v[2:3], v[18:21], off offset:-8
	s_or_b32 exec_lo, exec_lo, s0
	s_and_saveexec_b32 s0, s2
	s_cbranch_execz .LBB132_184
.LBB132_376:                            ;   in Loop: Header=BB132_185 Depth=1
	v_add_co_u32 v2, vcc_lo, v37, s8
	v_add_co_ci_u32_e32 v3, vcc_lo, s9, v38, vcc_lo
	global_store_b128 v[2:3], v[10:13], off offset:-8
	s_branch .LBB132_184
.LBB132_377:
	s_nop 0
	s_sendmsg sendmsg(MSG_DEALLOC_VGPRS)
	s_endpgm
	.section	.rodata,"a",@progbits
	.p2align	6, 0x0
	.amdhsa_kernel _ZN2at6native12_GLOBAL__N_125multi_tensor_apply_kernelINS1_18TensorListMetadataILi2EEENS1_14UnaryOpFunctorIN3c107complexIdEELi2ELi1ELi1EEEJNS0_3ExpIS8_EEEEEvT_T0_DpT1_
		.amdhsa_group_segment_fixed_size 0
		.amdhsa_private_segment_fixed_size 0
		.amdhsa_kernarg_size 3408
		.amdhsa_user_sgpr_count 15
		.amdhsa_user_sgpr_dispatch_ptr 0
		.amdhsa_user_sgpr_queue_ptr 0
		.amdhsa_user_sgpr_kernarg_segment_ptr 1
		.amdhsa_user_sgpr_dispatch_id 0
		.amdhsa_user_sgpr_private_segment_size 0
		.amdhsa_wavefront_size32 1
		.amdhsa_uses_dynamic_stack 0
		.amdhsa_enable_private_segment 0
		.amdhsa_system_sgpr_workgroup_id_x 1
		.amdhsa_system_sgpr_workgroup_id_y 0
		.amdhsa_system_sgpr_workgroup_id_z 0
		.amdhsa_system_sgpr_workgroup_info 0
		.amdhsa_system_vgpr_workitem_id 0
		.amdhsa_next_free_vgpr 84
		.amdhsa_next_free_sgpr 94
		.amdhsa_reserve_vcc 1
		.amdhsa_float_round_mode_32 0
		.amdhsa_float_round_mode_16_64 0
		.amdhsa_float_denorm_mode_32 3
		.amdhsa_float_denorm_mode_16_64 3
		.amdhsa_dx10_clamp 1
		.amdhsa_ieee_mode 1
		.amdhsa_fp16_overflow 0
		.amdhsa_workgroup_processor_mode 1
		.amdhsa_memory_ordered 1
		.amdhsa_forward_progress 0
		.amdhsa_shared_vgpr_count 0
		.amdhsa_exception_fp_ieee_invalid_op 0
		.amdhsa_exception_fp_denorm_src 0
		.amdhsa_exception_fp_ieee_div_zero 0
		.amdhsa_exception_fp_ieee_overflow 0
		.amdhsa_exception_fp_ieee_underflow 0
		.amdhsa_exception_fp_ieee_inexact 0
		.amdhsa_exception_int_div_zero 0
	.end_amdhsa_kernel
	.section	.text._ZN2at6native12_GLOBAL__N_125multi_tensor_apply_kernelINS1_18TensorListMetadataILi2EEENS1_14UnaryOpFunctorIN3c107complexIdEELi2ELi1ELi1EEEJNS0_3ExpIS8_EEEEEvT_T0_DpT1_,"axG",@progbits,_ZN2at6native12_GLOBAL__N_125multi_tensor_apply_kernelINS1_18TensorListMetadataILi2EEENS1_14UnaryOpFunctorIN3c107complexIdEELi2ELi1ELi1EEEJNS0_3ExpIS8_EEEEEvT_T0_DpT1_,comdat
.Lfunc_end132:
	.size	_ZN2at6native12_GLOBAL__N_125multi_tensor_apply_kernelINS1_18TensorListMetadataILi2EEENS1_14UnaryOpFunctorIN3c107complexIdEELi2ELi1ELi1EEEJNS0_3ExpIS8_EEEEEvT_T0_DpT1_, .Lfunc_end132-_ZN2at6native12_GLOBAL__N_125multi_tensor_apply_kernelINS1_18TensorListMetadataILi2EEENS1_14UnaryOpFunctorIN3c107complexIdEELi2ELi1ELi1EEEJNS0_3ExpIS8_EEEEEvT_T0_DpT1_
                                        ; -- End function
	.section	.AMDGPU.csdata,"",@progbits
; Kernel info:
; codeLenInByte = 67560
; NumSgprs: 96
; NumVgprs: 84
; ScratchSize: 0
; MemoryBound: 1
; FloatMode: 240
; IeeeMode: 1
; LDSByteSize: 0 bytes/workgroup (compile time only)
; SGPRBlocks: 11
; VGPRBlocks: 10
; NumSGPRsForWavesPerEU: 96
; NumVGPRsForWavesPerEU: 84
; Occupancy: 16
; WaveLimiterHint : 0
; COMPUTE_PGM_RSRC2:SCRATCH_EN: 0
; COMPUTE_PGM_RSRC2:USER_SGPR: 15
; COMPUTE_PGM_RSRC2:TRAP_HANDLER: 0
; COMPUTE_PGM_RSRC2:TGID_X_EN: 1
; COMPUTE_PGM_RSRC2:TGID_Y_EN: 0
; COMPUTE_PGM_RSRC2:TGID_Z_EN: 0
; COMPUTE_PGM_RSRC2:TIDIG_COMP_CNT: 0
	.section	.text._ZN2at6native12_GLOBAL__N_125multi_tensor_apply_kernelINS1_18TensorListMetadataILi2EEENS1_14UnaryOpFunctorIN3c107complexIfEELi2ELi1ELi1EEEJNS0_3ExpIS8_EEEEEvT_T0_DpT1_,"axG",@progbits,_ZN2at6native12_GLOBAL__N_125multi_tensor_apply_kernelINS1_18TensorListMetadataILi2EEENS1_14UnaryOpFunctorIN3c107complexIfEELi2ELi1ELi1EEEJNS0_3ExpIS8_EEEEEvT_T0_DpT1_,comdat
	.globl	_ZN2at6native12_GLOBAL__N_125multi_tensor_apply_kernelINS1_18TensorListMetadataILi2EEENS1_14UnaryOpFunctorIN3c107complexIfEELi2ELi1ELi1EEEJNS0_3ExpIS8_EEEEEvT_T0_DpT1_ ; -- Begin function _ZN2at6native12_GLOBAL__N_125multi_tensor_apply_kernelINS1_18TensorListMetadataILi2EEENS1_14UnaryOpFunctorIN3c107complexIfEELi2ELi1ELi1EEEJNS0_3ExpIS8_EEEEEvT_T0_DpT1_
	.p2align	8
	.type	_ZN2at6native12_GLOBAL__N_125multi_tensor_apply_kernelINS1_18TensorListMetadataILi2EEENS1_14UnaryOpFunctorIN3c107complexIfEELi2ELi1ELi1EEEJNS0_3ExpIS8_EEEEEvT_T0_DpT1_,@function
_ZN2at6native12_GLOBAL__N_125multi_tensor_apply_kernelINS1_18TensorListMetadataILi2EEENS1_14UnaryOpFunctorIN3c107complexIfEELi2ELi1ELi1EEEJNS0_3ExpIS8_EEEEEvT_T0_DpT1_: ; @_ZN2at6native12_GLOBAL__N_125multi_tensor_apply_kernelINS1_18TensorListMetadataILi2EEENS1_14UnaryOpFunctorIN3c107complexIfEELi2ELi1ELi1EEEJNS0_3ExpIS8_EEEEEvT_T0_DpT1_
; %bb.0:
	v_mov_b32_e32 v1, s15
	s_add_u32 s2, s0, s15
	s_mul_hi_u32 s3, s15, 3
	s_mul_i32 s15, s15, 3
	s_addc_u32 s4, s1, 0
	global_load_u8 v1, v1, s[0:1] offset:1536
	s_add_u32 s2, s2, s15
	s_addc_u32 s3, s4, s3
	s_mov_b32 s19, 0
	s_load_b32 s2, s[2:3], 0x740
	s_mov_b32 s21, s19
	s_mov_b32 s23, s19
	s_waitcnt vmcnt(0)
	v_readfirstlane_b32 s5, v1
	s_delay_alu instid0(VALU_DEP_1)
	s_lshl_b32 s3, s5, 3
	s_clause 0x2
	s_load_b64 s[6:7], s[0:1], s3 offset:0x0
	s_load_b64 s[16:17], s[0:1], s3 offset:0x200
	;; [unrolled: 1-line block ×3, first 2 shown]
	s_waitcnt lgkmcnt(0)
	s_ashr_i32 s3, s2, 31
	s_delay_alu instid0(SALU_CYCLE_1) | instskip(NEXT) | instid1(SALU_CYCLE_1)
	s_lshl_b64 s[8:9], s[2:3], 19
	s_add_u32 s5, s6, s8
	s_addc_u32 s12, s7, s9
	s_add_u32 s13, s16, s8
	s_addc_u32 s14, s17, s9
	s_and_b32 s20, s5, 31
	s_and_b32 s22, s10, 3
	;; [unrolled: 1-line block ×3, first 2 shown]
	s_or_b64 s[20:21], s[20:21], s[22:23]
	s_lshl_b64 s[2:3], s[2:3], 16
	s_or_b64 s[18:19], s[18:19], s[20:21]
	s_sub_u32 s10, s10, s2
	s_subb_u32 s11, s11, s3
	s_cmp_eq_u64 s[18:19], 0
	s_mov_b32 s2, -1
	s_cbranch_scc0 .LBB133_177
; %bb.1:
	v_dual_mov_b32 v14, 0 :: v_dual_lshlrev_b32 v13, 2, v0
	s_mov_b32 s15, exec_lo
	s_delay_alu instid0(VALU_DEP_1)
	v_cmpx_gt_i64_e64 s[10:11], v[13:14]
	s_cbranch_execz .LBB133_176
; %bb.2:
	s_load_b32 s2, s[0:1], 0xc5c
	s_mov_b32 s18, 0
	s_mov_b32 s21, 0x7fffff
	;; [unrolled: 1-line block ×5, first 2 shown]
	s_waitcnt lgkmcnt(0)
	s_and_b32 s2, s2, 0xffff
	s_delay_alu instid0(SALU_CYCLE_1) | instskip(SKIP_3) | instid1(VALU_DEP_2)
	v_add_lshl_u32 v13, v0, s2, 2
	v_dual_mov_b32 v16, v14 :: v_dual_lshlrev_b32 v17, 5, v0
	s_lshl_b32 s19, s2, 2
	s_lshl_b32 s20, s2, 5
	v_mov_b32_e32 v15, v13
	s_branch .LBB133_4
.LBB133_3:                              ;   in Loop: Header=BB133_4 Depth=1
	s_or_b32 exec_lo, exec_lo, s2
	v_cmp_le_i64_e32 vcc_lo, s[10:11], v[15:16]
	v_cmp_lt_u64_e64 s2, 0xffff, v[15:16]
	v_add_co_u32 v1, s3, s13, v17
	s_delay_alu instid0(VALU_DEP_1)
	v_add_co_ci_u32_e64 v2, null, s14, 0, s3
	s_clause 0x1
	global_store_b128 v[1:2], v[5:8], off
	global_store_b128 v[1:2], v[9:12], off offset:16
	s_or_b32 s2, vcc_lo, s2
	s_add_u32 s5, s5, s20
	v_add_co_u32 v15, vcc_lo, v15, s19
	s_addc_u32 s12, s12, 0
	s_add_u32 s13, s13, s20
	v_add_co_ci_u32_e32 v16, vcc_lo, 0, v16, vcc_lo
	s_addc_u32 s14, s14, 0
	s_and_b32 s2, exec_lo, s2
	s_delay_alu instid0(SALU_CYCLE_1) | instskip(NEXT) | instid1(SALU_CYCLE_1)
	s_or_b32 s18, s2, s18
	s_and_not1_b32 exec_lo, exec_lo, s18
	s_cbranch_execz .LBB133_176
.LBB133_4:                              ; =>This Inner Loop Header: Depth=1
	v_add_co_u32 v1, s2, s5, v17
	s_delay_alu instid0(VALU_DEP_1)
	v_add_co_ci_u32_e64 v2, null, s12, 0, s2
                                        ; implicit-def: $vgpr6
	s_mov_b32 s2, exec_lo
	s_clause 0x1
	global_load_b128 v[9:12], v[1:2], off
	global_load_b128 v[1:4], v[1:2], off offset:16
	s_waitcnt vmcnt(1)
	v_and_b32_e32 v7, 0x7fffffff, v10
	s_delay_alu instid0(VALU_DEP_1)
	v_cmpx_ne_u32_e32 0, v7
	s_xor_b32 s25, exec_lo, s2
	s_cbranch_execz .LBB133_44
; %bb.5:                                ;   in Loop: Header=BB133_4 Depth=1
	v_and_b32_e32 v8, 0x7fffffff, v9
                                        ; implicit-def: $vgpr6
	s_mov_b32 s2, exec_lo
	s_delay_alu instid0(VALU_DEP_1)
	v_cmpx_ne_u32_e32 0, v8
	s_xor_b32 s26, exec_lo, s2
	s_cbranch_execz .LBB133_33
; %bb.6:                                ;   in Loop: Header=BB133_4 Depth=1
                                        ; implicit-def: $vgpr6
	s_mov_b32 s2, exec_lo
	v_cmpx_gt_u32_e32 0x7f800000, v7
	s_xor_b32 s27, exec_lo, s2
	s_cbranch_execz .LBB133_28
; %bb.7:                                ;   in Loop: Header=BB133_4 Depth=1
	v_add_nc_u32_e32 v5, 0xbd4e8de8, v9
                                        ; implicit-def: $vgpr6
	s_mov_b32 s2, exec_lo
	s_delay_alu instid0(VALU_DEP_1)
	v_cmpx_lt_u32_e32 0x8e8e5c, v5
	s_xor_b32 s28, exec_lo, s2
	s_cbranch_execz .LBB133_17
; %bb.8:                                ;   in Loop: Header=BB133_4 Depth=1
	v_cmp_ngt_f32_e64 s29, 0x48000000, |v10|
                                        ; implicit-def: $vgpr6
                                        ; implicit-def: $vgpr5
	s_delay_alu instid0(VALU_DEP_1) | instskip(NEXT) | instid1(SALU_CYCLE_1)
	s_and_saveexec_b32 s2, s29
	s_xor_b32 s30, exec_lo, s2
	s_cbranch_execz .LBB133_10
; %bb.9:                                ;   in Loop: Header=BB133_4 Depth=1
	v_and_or_b32 v8, v7, s21, 0x800000
	s_delay_alu instid0(VALU_DEP_1) | instskip(NEXT) | instid1(VALU_DEP_1)
	v_mad_u64_u32 v[5:6], null, 0xfe5163ab, v8, 0
	v_mov_b32_e32 v13, v6
	v_lshrrev_b32_e32 v6, 23, v7
	s_delay_alu instid0(VALU_DEP_1) | instskip(NEXT) | instid1(VALU_DEP_3)
	v_add_nc_u32_e32 v6, 0xffffff88, v6
	v_mad_u64_u32 v[18:19], null, 0x3c439041, v8, v[13:14]
	s_delay_alu instid0(VALU_DEP_2) | instskip(SKIP_1) | instid1(VALU_DEP_1)
	v_cmp_lt_u32_e32 vcc_lo, 63, v6
	v_cndmask_b32_e64 v23, 0, 0xffffffc0, vcc_lo
	v_add_nc_u32_e32 v6, v23, v6
	s_delay_alu instid0(VALU_DEP_1) | instskip(NEXT) | instid1(VALU_DEP_1)
	v_cmp_lt_u32_e64 s2, 31, v6
	v_cndmask_b32_e64 v24, 0, 0xffffffe0, s2
	s_delay_alu instid0(VALU_DEP_1) | instskip(NEXT) | instid1(VALU_DEP_1)
	v_dual_mov_b32 v13, v19 :: v_dual_add_nc_u32 v6, v24, v6
	v_mad_u64_u32 v[19:20], null, 0xdb629599, v8, v[13:14]
	s_delay_alu instid0(VALU_DEP_2) | instskip(NEXT) | instid1(VALU_DEP_2)
	v_cmp_lt_u32_e64 s3, 31, v6
	v_mov_b32_e32 v13, v20
	s_delay_alu instid0(VALU_DEP_3) | instskip(NEXT) | instid1(VALU_DEP_2)
	v_cndmask_b32_e32 v5, v19, v5, vcc_lo
	v_mad_u64_u32 v[20:21], null, 0xf534ddc0, v8, v[13:14]
	s_delay_alu instid0(VALU_DEP_1) | instskip(NEXT) | instid1(VALU_DEP_1)
	v_mov_b32_e32 v13, v21
	v_mad_u64_u32 v[21:22], null, 0xfc2757d1, v8, v[13:14]
	s_delay_alu instid0(VALU_DEP_1) | instskip(NEXT) | instid1(VALU_DEP_1)
	v_mov_b32_e32 v13, v22
	;; [unrolled: 3-line block ×3, first 2 shown]
	v_mad_u64_u32 v[23:24], null, 0xa2f9836e, v8, v[13:14]
	v_cndmask_b32_e64 v8, 0, 0xffffffe0, s3
	s_delay_alu instid0(VALU_DEP_1) | instskip(NEXT) | instid1(VALU_DEP_3)
	v_dual_cndmask_b32 v13, v22, v20 :: v_dual_add_nc_u32 v6, v8, v6
	v_dual_cndmask_b32 v8, v20, v18 :: v_dual_cndmask_b32 v23, v23, v21
	s_delay_alu instid0(VALU_DEP_4) | instskip(NEXT) | instid1(VALU_DEP_3)
	v_dual_cndmask_b32 v22, v24, v22 :: v_dual_cndmask_b32 v21, v21, v19
	v_cmp_eq_u32_e64 s4, 0, v6
	s_delay_alu instid0(VALU_DEP_3) | instskip(NEXT) | instid1(VALU_DEP_4)
	v_cndmask_b32_e64 v5, v8, v5, s2
	v_cndmask_b32_e64 v18, v23, v13, s2
	s_delay_alu instid0(VALU_DEP_4) | instskip(SKIP_3) | instid1(VALU_DEP_4)
	v_cndmask_b32_e64 v20, v22, v23, s2
	v_cndmask_b32_e64 v13, v13, v21, s2
	v_sub_nc_u32_e32 v22, 32, v6
	v_cndmask_b32_e64 v21, v21, v8, s2
	v_cndmask_b32_e64 v20, v20, v18, s3
	s_delay_alu instid0(VALU_DEP_4) | instskip(NEXT) | instid1(VALU_DEP_3)
	v_cndmask_b32_e64 v18, v18, v13, s3
	v_cndmask_b32_e64 v13, v13, v21, s3
	;; [unrolled: 1-line block ×3, first 2 shown]
	s_delay_alu instid0(VALU_DEP_3) | instskip(NEXT) | instid1(VALU_DEP_3)
	v_alignbit_b32 v23, v20, v18, v22
	v_alignbit_b32 v24, v18, v13, v22
	s_delay_alu instid0(VALU_DEP_3) | instskip(NEXT) | instid1(VALU_DEP_3)
	v_alignbit_b32 v22, v13, v5, v22
	v_cndmask_b32_e64 v6, v23, v20, s4
	s_delay_alu instid0(VALU_DEP_3) | instskip(NEXT) | instid1(VALU_DEP_3)
	v_cndmask_b32_e64 v18, v24, v18, s4
	v_cndmask_b32_e64 v13, v22, v13, s4
	s_delay_alu instid0(VALU_DEP_3) | instskip(NEXT) | instid1(VALU_DEP_3)
	v_bfe_u32 v19, v6, 29, 1
	v_alignbit_b32 v8, v6, v18, 30
	s_delay_alu instid0(VALU_DEP_3) | instskip(SKIP_1) | instid1(VALU_DEP_4)
	v_alignbit_b32 v18, v18, v13, 30
	v_alignbit_b32 v5, v13, v5, 30
	v_sub_nc_u32_e32 v20, 0, v19
	s_delay_alu instid0(VALU_DEP_1) | instskip(SKIP_3) | instid1(VALU_DEP_4)
	v_xor_b32_e32 v21, v8, v20
	v_cmp_ne_u32_e32 vcc_lo, v8, v20
	v_xor_b32_e32 v13, v18, v20
	v_xor_b32_e32 v5, v5, v20
	v_clz_i32_u32_e32 v23, v21
	s_delay_alu instid0(VALU_DEP_1) | instskip(NEXT) | instid1(VALU_DEP_1)
	v_add_nc_u32_e32 v22, 1, v23
	v_cndmask_b32_e32 v8, 33, v22, vcc_lo
	s_delay_alu instid0(VALU_DEP_1) | instskip(NEXT) | instid1(VALU_DEP_1)
	v_sub_nc_u32_e32 v18, 32, v8
	v_alignbit_b32 v20, v21, v13, v18
	v_alignbit_b32 v5, v13, v5, v18
	v_lshrrev_b32_e32 v13, 29, v6
	v_lshrrev_b32_e32 v6, 30, v6
	s_delay_alu instid0(VALU_DEP_3) | instskip(NEXT) | instid1(VALU_DEP_3)
	v_alignbit_b32 v18, v20, v5, 9
	v_lshlrev_b32_e32 v13, 31, v13
	s_delay_alu instid0(VALU_DEP_3) | instskip(SKIP_1) | instid1(VALU_DEP_4)
	v_add_nc_u32_e32 v6, v19, v6
	v_alignbit_b32 v20, v8, v20, 9
	v_clz_i32_u32_e32 v21, v18
	s_delay_alu instid0(VALU_DEP_2) | instskip(SKIP_1) | instid1(VALU_DEP_3)
	v_or_b32_e32 v20, v20, v13
	v_or_b32_e32 v13, 0x33800000, v13
	v_min_u32_e32 v21, 32, v21
	s_delay_alu instid0(VALU_DEP_3) | instskip(NEXT) | instid1(VALU_DEP_2)
	v_xor_b32_e32 v20, 1.0, v20
	v_sub_nc_u32_e32 v22, 31, v21
	v_add_lshl_u32 v8, v21, v8, 23
	s_delay_alu instid0(VALU_DEP_3) | instskip(NEXT) | instid1(VALU_DEP_3)
	v_mul_f32_e32 v21, 0x3fc90fda, v20
	v_alignbit_b32 v5, v18, v5, v22
	s_delay_alu instid0(VALU_DEP_3) | instskip(NEXT) | instid1(VALU_DEP_3)
	v_sub_nc_u32_e32 v8, v13, v8
	v_fma_f32 v13, 0x3fc90fda, v20, -v21
	s_delay_alu instid0(VALU_DEP_3) | instskip(NEXT) | instid1(VALU_DEP_2)
	v_lshrrev_b32_e32 v5, 9, v5
	v_fmac_f32_e32 v13, 0x33a22168, v20
	s_delay_alu instid0(VALU_DEP_2) | instskip(NEXT) | instid1(VALU_DEP_1)
	v_or_b32_e32 v5, v8, v5
	v_fmac_f32_e32 v13, 0x3fc90fda, v5
	s_delay_alu instid0(VALU_DEP_1)
	v_add_f32_e32 v5, v21, v13
	s_and_not1_saveexec_b32 s2, s30
	s_branch .LBB133_11
.LBB133_10:                             ;   in Loop: Header=BB133_4 Depth=1
	s_and_not1_saveexec_b32 s2, s30
.LBB133_11:                             ;   in Loop: Header=BB133_4 Depth=1
	v_mul_f32_e64 v5, 0x3f22f983, |v10|
	s_delay_alu instid0(VALU_DEP_1) | instskip(NEXT) | instid1(VALU_DEP_1)
	v_rndne_f32_e32 v6, v5
	v_fma_f32 v5, 0xbfc90fda, v6, |v10|
	s_delay_alu instid0(VALU_DEP_1) | instskip(NEXT) | instid1(VALU_DEP_1)
	v_fmac_f32_e32 v5, 0xb3a22168, v6
	v_fmac_f32_e32 v5, 0xa7c234c4, v6
	v_cvt_i32_f32_e32 v6, v6
; %bb.12:                               ;   in Loop: Header=BB133_4 Depth=1
	s_or_b32 exec_lo, exec_lo, s2
                                        ; implicit-def: $vgpr13
                                        ; implicit-def: $vgpr8
	s_and_saveexec_b32 s2, s29
	s_delay_alu instid0(SALU_CYCLE_1)
	s_xor_b32 s29, exec_lo, s2
	s_cbranch_execz .LBB133_14
; %bb.13:                               ;   in Loop: Header=BB133_4 Depth=1
	v_and_or_b32 v8, v7, s21, 0x800000
	v_lshrrev_b32_e32 v23, 23, v7
	s_delay_alu instid0(VALU_DEP_2) | instskip(NEXT) | instid1(VALU_DEP_2)
	v_mad_u64_u32 v[18:19], null, 0xfe5163ab, v8, 0
	v_add_nc_u32_e32 v24, 0xffffff88, v23
	s_delay_alu instid0(VALU_DEP_1) | instskip(NEXT) | instid1(VALU_DEP_3)
	v_cmp_lt_u32_e32 vcc_lo, 63, v24
	v_mov_b32_e32 v13, v19
	v_cndmask_b32_e64 v25, 0, 0xffffffc0, vcc_lo
	s_delay_alu instid0(VALU_DEP_2) | instskip(NEXT) | instid1(VALU_DEP_2)
	v_mad_u64_u32 v[19:20], null, 0x3c439041, v8, v[13:14]
	v_add_nc_u32_e32 v25, v25, v24
	s_delay_alu instid0(VALU_DEP_1) | instskip(NEXT) | instid1(VALU_DEP_1)
	v_cmp_lt_u32_e64 s2, 31, v25
	v_cndmask_b32_e64 v26, 0, 0xffffffe0, s2
	s_delay_alu instid0(VALU_DEP_1) | instskip(NEXT) | instid1(VALU_DEP_1)
	v_dual_mov_b32 v13, v20 :: v_dual_add_nc_u32 v26, v26, v25
	v_mad_u64_u32 v[20:21], null, 0xdb629599, v8, v[13:14]
	s_delay_alu instid0(VALU_DEP_2) | instskip(NEXT) | instid1(VALU_DEP_2)
	v_cmp_lt_u32_e64 s3, 31, v26
	v_dual_mov_b32 v13, v21 :: v_dual_cndmask_b32 v18, v20, v18
	s_delay_alu instid0(VALU_DEP_1) | instskip(NEXT) | instid1(VALU_DEP_1)
	v_mad_u64_u32 v[21:22], null, 0xf534ddc0, v8, v[13:14]
	v_mov_b32_e32 v13, v22
	s_delay_alu instid0(VALU_DEP_2) | instskip(NEXT) | instid1(VALU_DEP_2)
	v_cndmask_b32_e32 v19, v21, v19, vcc_lo
	v_mad_u64_u32 v[22:23], null, 0xfc2757d1, v8, v[13:14]
	s_delay_alu instid0(VALU_DEP_2) | instskip(NEXT) | instid1(VALU_DEP_2)
	v_cndmask_b32_e64 v18, v19, v18, s2
	v_mov_b32_e32 v13, v23
	s_delay_alu instid0(VALU_DEP_1) | instskip(NEXT) | instid1(VALU_DEP_1)
	v_mad_u64_u32 v[23:24], null, 0x4e441529, v8, v[13:14]
	v_mov_b32_e32 v13, v24
	s_delay_alu instid0(VALU_DEP_1) | instskip(SKIP_1) | instid1(VALU_DEP_1)
	v_mad_u64_u32 v[24:25], null, 0xa2f9836e, v8, v[13:14]
	v_cndmask_b32_e64 v8, 0, 0xffffffe0, s3
	v_dual_cndmask_b32 v13, v23, v21 :: v_dual_add_nc_u32 v8, v8, v26
	s_delay_alu instid0(VALU_DEP_3) | instskip(SKIP_1) | instid1(VALU_DEP_3)
	v_dual_cndmask_b32 v24, v24, v22 :: v_dual_cndmask_b32 v23, v25, v23
	v_cndmask_b32_e32 v22, v22, v20, vcc_lo
	v_cmp_eq_u32_e64 s4, 0, v8
	s_delay_alu instid0(VALU_DEP_3) | instskip(NEXT) | instid1(VALU_DEP_4)
	v_cndmask_b32_e64 v21, v24, v13, s2
	v_cndmask_b32_e64 v23, v23, v24, s2
	s_delay_alu instid0(VALU_DEP_4) | instskip(SKIP_2) | instid1(VALU_DEP_4)
	v_cndmask_b32_e64 v13, v13, v22, s2
	v_sub_nc_u32_e32 v24, 32, v8
	v_cndmask_b32_e64 v22, v22, v19, s2
	v_cndmask_b32_e64 v23, v23, v21, s3
	s_delay_alu instid0(VALU_DEP_4) | instskip(NEXT) | instid1(VALU_DEP_3)
	v_cndmask_b32_e64 v21, v21, v13, s3
	v_cndmask_b32_e64 v13, v13, v22, s3
	;; [unrolled: 1-line block ×3, first 2 shown]
	s_delay_alu instid0(VALU_DEP_3) | instskip(NEXT) | instid1(VALU_DEP_3)
	v_alignbit_b32 v25, v23, v21, v24
	v_alignbit_b32 v26, v21, v13, v24
	s_delay_alu instid0(VALU_DEP_3) | instskip(NEXT) | instid1(VALU_DEP_3)
	v_alignbit_b32 v24, v13, v18, v24
	v_cndmask_b32_e64 v8, v25, v23, s4
	s_delay_alu instid0(VALU_DEP_3) | instskip(NEXT) | instid1(VALU_DEP_3)
	v_cndmask_b32_e64 v20, v26, v21, s4
	v_cndmask_b32_e64 v13, v24, v13, s4
	s_delay_alu instid0(VALU_DEP_3) | instskip(NEXT) | instid1(VALU_DEP_3)
	v_bfe_u32 v21, v8, 29, 1
	v_alignbit_b32 v19, v8, v20, 30
	s_delay_alu instid0(VALU_DEP_3) | instskip(SKIP_1) | instid1(VALU_DEP_4)
	v_alignbit_b32 v20, v20, v13, 30
	v_alignbit_b32 v13, v13, v18, 30
	v_sub_nc_u32_e32 v23, 0, v21
	s_delay_alu instid0(VALU_DEP_1) | instskip(SKIP_3) | instid1(VALU_DEP_4)
	v_xor_b32_e32 v22, v19, v23
	v_cmp_ne_u32_e32 vcc_lo, v19, v23
	v_xor_b32_e32 v18, v20, v23
	v_xor_b32_e32 v13, v13, v23
	v_clz_i32_u32_e32 v25, v22
	s_delay_alu instid0(VALU_DEP_1) | instskip(NEXT) | instid1(VALU_DEP_1)
	v_add_nc_u32_e32 v24, 1, v25
	v_cndmask_b32_e32 v19, 33, v24, vcc_lo
	s_delay_alu instid0(VALU_DEP_1) | instskip(NEXT) | instid1(VALU_DEP_1)
	v_sub_nc_u32_e32 v20, 32, v19
	v_alignbit_b32 v22, v22, v18, v20
	v_alignbit_b32 v13, v18, v13, v20
	v_lshrrev_b32_e32 v18, 29, v8
	s_delay_alu instid0(VALU_DEP_2) | instskip(NEXT) | instid1(VALU_DEP_2)
	v_alignbit_b32 v20, v22, v13, 9
	v_lshlrev_b32_e32 v18, 31, v18
	v_alignbit_b32 v22, v19, v22, 9
	s_delay_alu instid0(VALU_DEP_3) | instskip(NEXT) | instid1(VALU_DEP_2)
	v_clz_i32_u32_e32 v23, v20
	v_or_b32_e32 v22, v22, v18
	v_or_b32_e32 v18, 0x33800000, v18
	s_delay_alu instid0(VALU_DEP_3) | instskip(NEXT) | instid1(VALU_DEP_3)
	v_min_u32_e32 v23, 32, v23
	v_xor_b32_e32 v22, 1.0, v22
	s_delay_alu instid0(VALU_DEP_2) | instskip(SKIP_1) | instid1(VALU_DEP_3)
	v_sub_nc_u32_e32 v24, 31, v23
	v_add_lshl_u32 v19, v23, v19, 23
	v_mul_f32_e32 v23, 0x3fc90fda, v22
	s_delay_alu instid0(VALU_DEP_3) | instskip(NEXT) | instid1(VALU_DEP_3)
	v_alignbit_b32 v13, v20, v13, v24
	v_sub_nc_u32_e32 v18, v18, v19
	s_delay_alu instid0(VALU_DEP_3) | instskip(NEXT) | instid1(VALU_DEP_3)
	v_fma_f32 v19, 0x3fc90fda, v22, -v23
	v_lshrrev_b32_e32 v13, 9, v13
	s_delay_alu instid0(VALU_DEP_2) | instskip(NEXT) | instid1(VALU_DEP_2)
	v_fmac_f32_e32 v19, 0x33a22168, v22
	v_or_b32_e32 v13, v18, v13
	s_delay_alu instid0(VALU_DEP_1) | instskip(SKIP_1) | instid1(VALU_DEP_1)
	v_fmac_f32_e32 v19, 0x3fc90fda, v13
	v_lshrrev_b32_e32 v13, 30, v8
	v_dual_add_f32 v8, v23, v19 :: v_dual_add_nc_u32 v13, v21, v13
	s_and_not1_saveexec_b32 s2, s29
	s_cbranch_execnz .LBB133_15
	s_branch .LBB133_16
.LBB133_14:                             ;   in Loop: Header=BB133_4 Depth=1
	s_and_not1_saveexec_b32 s2, s29
.LBB133_15:                             ;   in Loop: Header=BB133_4 Depth=1
	v_mul_f32_e64 v8, 0x3f22f983, |v10|
	s_delay_alu instid0(VALU_DEP_1) | instskip(NEXT) | instid1(VALU_DEP_1)
	v_rndne_f32_e32 v13, v8
	v_fma_f32 v8, 0xbfc90fda, v13, |v10|
	s_delay_alu instid0(VALU_DEP_1) | instskip(NEXT) | instid1(VALU_DEP_1)
	v_fmac_f32_e32 v8, 0xb3a22168, v13
	v_fmac_f32_e32 v8, 0xa7c234c4, v13
	v_cvt_i32_f32_e32 v13, v13
.LBB133_16:                             ;   in Loop: Header=BB133_4 Depth=1
	s_or_b32 exec_lo, exec_lo, s2
	s_delay_alu instid0(VALU_DEP_1) | instskip(SKIP_2) | instid1(VALU_DEP_3)
	v_dual_mul_f32 v18, 0x3fb8aa3b, v9 :: v_dual_mul_f32 v23, v8, v8
	v_dual_mul_f32 v19, v5, v5 :: v_dual_and_b32 v20, 1, v6
	v_lshlrev_b32_e32 v6, 30, v6
	v_rndne_f32_e32 v21, v18
	v_fma_f32 v22, 0x3fb8aa3b, v9, -v18
	s_delay_alu instid0(VALU_DEP_4)
	v_dual_fmaak_f32 v25, s22, v19, 0x3c0881c4 :: v_dual_and_b32 v24, 1, v13
	v_fmaak_f32 v27, s22, v23, 0x3c0881c4
	v_dual_fmaak_f32 v26, s23, v19, 0xbab64f3b :: v_dual_lshlrev_b32 v13, 30, v13
	v_sub_f32_e32 v18, v18, v21
	v_fmac_f32_e32 v22, 0x32a5705f, v9
	v_cmp_eq_u32_e32 vcc_lo, 0, v20
	v_cvt_i32_f32_e32 v21, v21
	v_and_b32_e32 v6, 0x80000000, v6
	v_and_or_b32 v7, 0x80000000, v13, v7
	v_add_f32_e32 v18, v18, v22
	v_fmaak_f32 v22, v19, v25, 0xbe2aaa9d
	v_fmaak_f32 v25, v19, v26, 0x3d2aabf7
	;; [unrolled: 1-line block ×3, first 2 shown]
	v_cmp_nlt_f32_e64 s2, 0x42b17218, v9
	s_delay_alu instid0(VALU_DEP_4) | instskip(SKIP_1) | instid1(VALU_DEP_4)
	v_mul_f32_e32 v22, v19, v22
	v_fmaak_f32 v28, s23, v23, 0xbab64f3b
	v_mul_f32_e32 v26, v23, v26
	v_fmaak_f32 v25, v19, v25, 0xbf000004
	s_delay_alu instid0(VALU_DEP_4) | instskip(NEXT) | instid1(VALU_DEP_3)
	v_fmac_f32_e32 v5, v5, v22
	v_dual_fmaak_f32 v27, v23, v28, 0x3d2aabf7 :: v_dual_fmac_f32 v8, v8, v26
	s_delay_alu instid0(VALU_DEP_3) | instskip(SKIP_1) | instid1(VALU_DEP_1)
	v_fma_f32 v19, v19, v25, 1.0
	v_exp_f32_e32 v18, v18
	v_cndmask_b32_e64 v5, -v5, v19, vcc_lo
	v_cmp_eq_u32_e32 vcc_lo, 0, v24
	v_fmaak_f32 v27, v23, v27, 0xbf000004
	s_delay_alu instid0(VALU_DEP_3) | instskip(SKIP_3) | instid1(VALU_DEP_1)
	v_xor_b32_e32 v5, v6, v5
	s_waitcnt_depctr 0xfff
	v_ldexp_f32 v18, v18, v21
	v_fma_f32 v22, v23, v27, 1.0
	v_cndmask_b32_e32 v8, v22, v8, vcc_lo
	v_cmp_ngt_f32_e32 vcc_lo, 0xc2ce8ed0, v9
	s_delay_alu instid0(VALU_DEP_2) | instskip(SKIP_2) | instid1(VALU_DEP_2)
	v_xor3_b32 v6, v7, v8, v10
	v_cndmask_b32_e32 v13, 0, v18, vcc_lo
	v_cmp_class_f32_e64 vcc_lo, v10, 0x1f8
	v_cndmask_b32_e64 v7, 0x7f800000, v13, s2
	v_cndmask_b32_e32 v5, 0x7fc00000, v5, vcc_lo
	s_delay_alu instid0(VALU_DEP_1) | instskip(NEXT) | instid1(VALU_DEP_1)
	v_dual_cndmask_b32 v6, 0x7fc00000, v6 :: v_dual_mul_f32 v5, v7, v5
	v_mul_f32_e32 v6, v7, v6
                                        ; implicit-def: $vgpr7
.LBB133_17:                             ;   in Loop: Header=BB133_4 Depth=1
	s_and_not1_saveexec_b32 s28, s28
	s_cbranch_execz .LBB133_20
; %bb.18:                               ;   in Loop: Header=BB133_4 Depth=1
	v_cmp_ngt_f32_e64 s29, 0x48000000, |v10|
                                        ; implicit-def: $vgpr6
                                        ; implicit-def: $vgpr5
	s_delay_alu instid0(VALU_DEP_1) | instskip(NEXT) | instid1(SALU_CYCLE_1)
	s_and_saveexec_b32 s2, s29
	s_xor_b32 s30, exec_lo, s2
	s_cbranch_execz .LBB133_21
; %bb.19:                               ;   in Loop: Header=BB133_4 Depth=1
	v_and_or_b32 v8, v7, s21, 0x800000
	s_delay_alu instid0(VALU_DEP_1) | instskip(NEXT) | instid1(VALU_DEP_1)
	v_mad_u64_u32 v[5:6], null, 0xfe5163ab, v8, 0
	v_mov_b32_e32 v13, v6
	v_lshrrev_b32_e32 v6, 23, v7
	s_delay_alu instid0(VALU_DEP_1) | instskip(NEXT) | instid1(VALU_DEP_3)
	v_add_nc_u32_e32 v6, 0xffffff88, v6
	v_mad_u64_u32 v[18:19], null, 0x3c439041, v8, v[13:14]
	s_delay_alu instid0(VALU_DEP_2) | instskip(SKIP_1) | instid1(VALU_DEP_1)
	v_cmp_lt_u32_e32 vcc_lo, 63, v6
	v_cndmask_b32_e64 v23, 0, 0xffffffc0, vcc_lo
	v_add_nc_u32_e32 v6, v23, v6
	s_delay_alu instid0(VALU_DEP_1) | instskip(NEXT) | instid1(VALU_DEP_1)
	v_cmp_lt_u32_e64 s2, 31, v6
	v_cndmask_b32_e64 v24, 0, 0xffffffe0, s2
	s_delay_alu instid0(VALU_DEP_1) | instskip(NEXT) | instid1(VALU_DEP_1)
	v_dual_mov_b32 v13, v19 :: v_dual_add_nc_u32 v6, v24, v6
	v_mad_u64_u32 v[19:20], null, 0xdb629599, v8, v[13:14]
	s_delay_alu instid0(VALU_DEP_2) | instskip(NEXT) | instid1(VALU_DEP_2)
	v_cmp_lt_u32_e64 s3, 31, v6
	v_mov_b32_e32 v13, v20
	s_delay_alu instid0(VALU_DEP_3) | instskip(NEXT) | instid1(VALU_DEP_2)
	v_cndmask_b32_e32 v5, v19, v5, vcc_lo
	v_mad_u64_u32 v[20:21], null, 0xf534ddc0, v8, v[13:14]
	s_delay_alu instid0(VALU_DEP_1) | instskip(NEXT) | instid1(VALU_DEP_1)
	v_mov_b32_e32 v13, v21
	v_mad_u64_u32 v[21:22], null, 0xfc2757d1, v8, v[13:14]
	s_delay_alu instid0(VALU_DEP_1) | instskip(NEXT) | instid1(VALU_DEP_1)
	v_mov_b32_e32 v13, v22
	;; [unrolled: 3-line block ×3, first 2 shown]
	v_mad_u64_u32 v[23:24], null, 0xa2f9836e, v8, v[13:14]
	v_cndmask_b32_e64 v8, 0, 0xffffffe0, s3
	s_delay_alu instid0(VALU_DEP_1) | instskip(NEXT) | instid1(VALU_DEP_3)
	v_dual_cndmask_b32 v13, v22, v20 :: v_dual_add_nc_u32 v6, v8, v6
	v_dual_cndmask_b32 v8, v20, v18 :: v_dual_cndmask_b32 v23, v23, v21
	s_delay_alu instid0(VALU_DEP_4) | instskip(NEXT) | instid1(VALU_DEP_3)
	v_dual_cndmask_b32 v22, v24, v22 :: v_dual_cndmask_b32 v21, v21, v19
	v_cmp_eq_u32_e64 s4, 0, v6
	s_delay_alu instid0(VALU_DEP_3) | instskip(NEXT) | instid1(VALU_DEP_4)
	v_cndmask_b32_e64 v5, v8, v5, s2
	v_cndmask_b32_e64 v18, v23, v13, s2
	s_delay_alu instid0(VALU_DEP_4) | instskip(SKIP_3) | instid1(VALU_DEP_4)
	v_cndmask_b32_e64 v20, v22, v23, s2
	v_cndmask_b32_e64 v13, v13, v21, s2
	v_sub_nc_u32_e32 v22, 32, v6
	v_cndmask_b32_e64 v21, v21, v8, s2
	v_cndmask_b32_e64 v20, v20, v18, s3
	s_delay_alu instid0(VALU_DEP_4) | instskip(NEXT) | instid1(VALU_DEP_3)
	v_cndmask_b32_e64 v18, v18, v13, s3
	v_cndmask_b32_e64 v13, v13, v21, s3
	;; [unrolled: 1-line block ×3, first 2 shown]
	s_delay_alu instid0(VALU_DEP_3) | instskip(NEXT) | instid1(VALU_DEP_3)
	v_alignbit_b32 v23, v20, v18, v22
	v_alignbit_b32 v24, v18, v13, v22
	s_delay_alu instid0(VALU_DEP_3) | instskip(NEXT) | instid1(VALU_DEP_3)
	v_alignbit_b32 v22, v13, v5, v22
	v_cndmask_b32_e64 v6, v23, v20, s4
	s_delay_alu instid0(VALU_DEP_3) | instskip(NEXT) | instid1(VALU_DEP_3)
	v_cndmask_b32_e64 v18, v24, v18, s4
	v_cndmask_b32_e64 v13, v22, v13, s4
	s_delay_alu instid0(VALU_DEP_3) | instskip(NEXT) | instid1(VALU_DEP_3)
	v_bfe_u32 v19, v6, 29, 1
	v_alignbit_b32 v8, v6, v18, 30
	s_delay_alu instid0(VALU_DEP_3) | instskip(SKIP_1) | instid1(VALU_DEP_4)
	v_alignbit_b32 v18, v18, v13, 30
	v_alignbit_b32 v5, v13, v5, 30
	v_sub_nc_u32_e32 v20, 0, v19
	s_delay_alu instid0(VALU_DEP_1) | instskip(SKIP_3) | instid1(VALU_DEP_4)
	v_xor_b32_e32 v21, v8, v20
	v_cmp_ne_u32_e32 vcc_lo, v8, v20
	v_xor_b32_e32 v13, v18, v20
	v_xor_b32_e32 v5, v5, v20
	v_clz_i32_u32_e32 v23, v21
	s_delay_alu instid0(VALU_DEP_1) | instskip(NEXT) | instid1(VALU_DEP_1)
	v_add_nc_u32_e32 v22, 1, v23
	v_cndmask_b32_e32 v8, 33, v22, vcc_lo
	s_delay_alu instid0(VALU_DEP_1) | instskip(NEXT) | instid1(VALU_DEP_1)
	v_sub_nc_u32_e32 v18, 32, v8
	v_alignbit_b32 v20, v21, v13, v18
	v_alignbit_b32 v5, v13, v5, v18
	v_lshrrev_b32_e32 v13, 29, v6
	v_lshrrev_b32_e32 v6, 30, v6
	s_delay_alu instid0(VALU_DEP_3) | instskip(NEXT) | instid1(VALU_DEP_3)
	v_alignbit_b32 v18, v20, v5, 9
	v_lshlrev_b32_e32 v13, 31, v13
	s_delay_alu instid0(VALU_DEP_3) | instskip(SKIP_1) | instid1(VALU_DEP_4)
	v_add_nc_u32_e32 v6, v19, v6
	v_alignbit_b32 v20, v8, v20, 9
	v_clz_i32_u32_e32 v21, v18
	s_delay_alu instid0(VALU_DEP_2) | instskip(SKIP_1) | instid1(VALU_DEP_3)
	v_or_b32_e32 v20, v20, v13
	v_or_b32_e32 v13, 0x33800000, v13
	v_min_u32_e32 v21, 32, v21
	s_delay_alu instid0(VALU_DEP_3) | instskip(NEXT) | instid1(VALU_DEP_2)
	v_xor_b32_e32 v20, 1.0, v20
	v_sub_nc_u32_e32 v22, 31, v21
	v_add_lshl_u32 v8, v21, v8, 23
	s_delay_alu instid0(VALU_DEP_3) | instskip(NEXT) | instid1(VALU_DEP_3)
	v_mul_f32_e32 v21, 0x3fc90fda, v20
	v_alignbit_b32 v5, v18, v5, v22
	s_delay_alu instid0(VALU_DEP_3) | instskip(NEXT) | instid1(VALU_DEP_3)
	v_sub_nc_u32_e32 v8, v13, v8
	v_fma_f32 v13, 0x3fc90fda, v20, -v21
	s_delay_alu instid0(VALU_DEP_3) | instskip(NEXT) | instid1(VALU_DEP_2)
	v_lshrrev_b32_e32 v5, 9, v5
	v_fmac_f32_e32 v13, 0x33a22168, v20
	s_delay_alu instid0(VALU_DEP_2) | instskip(NEXT) | instid1(VALU_DEP_1)
	v_or_b32_e32 v5, v8, v5
	v_fmac_f32_e32 v13, 0x3fc90fda, v5
	s_delay_alu instid0(VALU_DEP_1)
	v_add_f32_e32 v5, v21, v13
	s_and_not1_saveexec_b32 s2, s30
	s_branch .LBB133_22
.LBB133_20:                             ;   in Loop: Header=BB133_4 Depth=1
	s_or_b32 exec_lo, exec_lo, s28
                                        ; implicit-def: $vgpr8
	s_and_not1_saveexec_b32 s2, s27
	s_cbranch_execnz .LBB133_29
	s_branch .LBB133_32
.LBB133_21:                             ;   in Loop: Header=BB133_4 Depth=1
	s_and_not1_saveexec_b32 s2, s30
.LBB133_22:                             ;   in Loop: Header=BB133_4 Depth=1
	v_mul_f32_e64 v5, 0x3f22f983, |v10|
	s_delay_alu instid0(VALU_DEP_1) | instskip(NEXT) | instid1(VALU_DEP_1)
	v_rndne_f32_e32 v6, v5
	v_fma_f32 v5, 0xbfc90fda, v6, |v10|
	s_delay_alu instid0(VALU_DEP_1) | instskip(NEXT) | instid1(VALU_DEP_1)
	v_fmac_f32_e32 v5, 0xb3a22168, v6
	v_fmac_f32_e32 v5, 0xa7c234c4, v6
	v_cvt_i32_f32_e32 v6, v6
; %bb.23:                               ;   in Loop: Header=BB133_4 Depth=1
	s_or_b32 exec_lo, exec_lo, s2
                                        ; implicit-def: $vgpr13
                                        ; implicit-def: $vgpr8
	s_and_saveexec_b32 s2, s29
	s_delay_alu instid0(SALU_CYCLE_1)
	s_xor_b32 s29, exec_lo, s2
	s_cbranch_execz .LBB133_25
; %bb.24:                               ;   in Loop: Header=BB133_4 Depth=1
	v_and_or_b32 v8, v7, s21, 0x800000
	v_lshrrev_b32_e32 v23, 23, v7
	s_delay_alu instid0(VALU_DEP_2) | instskip(NEXT) | instid1(VALU_DEP_2)
	v_mad_u64_u32 v[18:19], null, 0xfe5163ab, v8, 0
	v_add_nc_u32_e32 v24, 0xffffff88, v23
	s_delay_alu instid0(VALU_DEP_1) | instskip(NEXT) | instid1(VALU_DEP_3)
	v_cmp_lt_u32_e32 vcc_lo, 63, v24
	v_mov_b32_e32 v13, v19
	v_cndmask_b32_e64 v25, 0, 0xffffffc0, vcc_lo
	s_delay_alu instid0(VALU_DEP_2) | instskip(NEXT) | instid1(VALU_DEP_2)
	v_mad_u64_u32 v[19:20], null, 0x3c439041, v8, v[13:14]
	v_add_nc_u32_e32 v25, v25, v24
	s_delay_alu instid0(VALU_DEP_1) | instskip(NEXT) | instid1(VALU_DEP_1)
	v_cmp_lt_u32_e64 s2, 31, v25
	v_cndmask_b32_e64 v26, 0, 0xffffffe0, s2
	s_delay_alu instid0(VALU_DEP_1) | instskip(NEXT) | instid1(VALU_DEP_1)
	v_dual_mov_b32 v13, v20 :: v_dual_add_nc_u32 v26, v26, v25
	v_mad_u64_u32 v[20:21], null, 0xdb629599, v8, v[13:14]
	s_delay_alu instid0(VALU_DEP_2) | instskip(NEXT) | instid1(VALU_DEP_2)
	v_cmp_lt_u32_e64 s3, 31, v26
	v_dual_mov_b32 v13, v21 :: v_dual_cndmask_b32 v18, v20, v18
	s_delay_alu instid0(VALU_DEP_1) | instskip(NEXT) | instid1(VALU_DEP_1)
	v_mad_u64_u32 v[21:22], null, 0xf534ddc0, v8, v[13:14]
	v_mov_b32_e32 v13, v22
	s_delay_alu instid0(VALU_DEP_2) | instskip(NEXT) | instid1(VALU_DEP_2)
	v_cndmask_b32_e32 v19, v21, v19, vcc_lo
	v_mad_u64_u32 v[22:23], null, 0xfc2757d1, v8, v[13:14]
	s_delay_alu instid0(VALU_DEP_2) | instskip(NEXT) | instid1(VALU_DEP_2)
	v_cndmask_b32_e64 v18, v19, v18, s2
	v_mov_b32_e32 v13, v23
	s_delay_alu instid0(VALU_DEP_1) | instskip(NEXT) | instid1(VALU_DEP_1)
	v_mad_u64_u32 v[23:24], null, 0x4e441529, v8, v[13:14]
	v_mov_b32_e32 v13, v24
	s_delay_alu instid0(VALU_DEP_1) | instskip(SKIP_1) | instid1(VALU_DEP_1)
	v_mad_u64_u32 v[24:25], null, 0xa2f9836e, v8, v[13:14]
	v_cndmask_b32_e64 v8, 0, 0xffffffe0, s3
	v_dual_cndmask_b32 v13, v23, v21 :: v_dual_add_nc_u32 v8, v8, v26
	s_delay_alu instid0(VALU_DEP_3) | instskip(SKIP_1) | instid1(VALU_DEP_3)
	v_dual_cndmask_b32 v24, v24, v22 :: v_dual_cndmask_b32 v23, v25, v23
	v_cndmask_b32_e32 v22, v22, v20, vcc_lo
	v_cmp_eq_u32_e64 s4, 0, v8
	s_delay_alu instid0(VALU_DEP_3) | instskip(NEXT) | instid1(VALU_DEP_4)
	v_cndmask_b32_e64 v21, v24, v13, s2
	v_cndmask_b32_e64 v23, v23, v24, s2
	s_delay_alu instid0(VALU_DEP_4) | instskip(SKIP_2) | instid1(VALU_DEP_4)
	v_cndmask_b32_e64 v13, v13, v22, s2
	v_sub_nc_u32_e32 v24, 32, v8
	v_cndmask_b32_e64 v22, v22, v19, s2
	v_cndmask_b32_e64 v23, v23, v21, s3
	s_delay_alu instid0(VALU_DEP_4) | instskip(NEXT) | instid1(VALU_DEP_3)
	v_cndmask_b32_e64 v21, v21, v13, s3
	v_cndmask_b32_e64 v13, v13, v22, s3
	;; [unrolled: 1-line block ×3, first 2 shown]
	s_delay_alu instid0(VALU_DEP_3) | instskip(NEXT) | instid1(VALU_DEP_3)
	v_alignbit_b32 v25, v23, v21, v24
	v_alignbit_b32 v26, v21, v13, v24
	s_delay_alu instid0(VALU_DEP_3) | instskip(NEXT) | instid1(VALU_DEP_3)
	v_alignbit_b32 v24, v13, v18, v24
	v_cndmask_b32_e64 v8, v25, v23, s4
	s_delay_alu instid0(VALU_DEP_3) | instskip(NEXT) | instid1(VALU_DEP_3)
	v_cndmask_b32_e64 v20, v26, v21, s4
	v_cndmask_b32_e64 v13, v24, v13, s4
	s_delay_alu instid0(VALU_DEP_3) | instskip(NEXT) | instid1(VALU_DEP_3)
	v_bfe_u32 v21, v8, 29, 1
	v_alignbit_b32 v19, v8, v20, 30
	s_delay_alu instid0(VALU_DEP_3) | instskip(SKIP_1) | instid1(VALU_DEP_4)
	v_alignbit_b32 v20, v20, v13, 30
	v_alignbit_b32 v13, v13, v18, 30
	v_sub_nc_u32_e32 v23, 0, v21
	s_delay_alu instid0(VALU_DEP_1) | instskip(SKIP_3) | instid1(VALU_DEP_4)
	v_xor_b32_e32 v22, v19, v23
	v_cmp_ne_u32_e32 vcc_lo, v19, v23
	v_xor_b32_e32 v18, v20, v23
	v_xor_b32_e32 v13, v13, v23
	v_clz_i32_u32_e32 v25, v22
	s_delay_alu instid0(VALU_DEP_1) | instskip(NEXT) | instid1(VALU_DEP_1)
	v_add_nc_u32_e32 v24, 1, v25
	v_cndmask_b32_e32 v19, 33, v24, vcc_lo
	s_delay_alu instid0(VALU_DEP_1) | instskip(NEXT) | instid1(VALU_DEP_1)
	v_sub_nc_u32_e32 v20, 32, v19
	v_alignbit_b32 v22, v22, v18, v20
	v_alignbit_b32 v13, v18, v13, v20
	v_lshrrev_b32_e32 v18, 29, v8
	s_delay_alu instid0(VALU_DEP_2) | instskip(NEXT) | instid1(VALU_DEP_2)
	v_alignbit_b32 v20, v22, v13, 9
	v_lshlrev_b32_e32 v18, 31, v18
	v_alignbit_b32 v22, v19, v22, 9
	s_delay_alu instid0(VALU_DEP_3) | instskip(NEXT) | instid1(VALU_DEP_2)
	v_clz_i32_u32_e32 v23, v20
	v_or_b32_e32 v22, v22, v18
	v_or_b32_e32 v18, 0x33800000, v18
	s_delay_alu instid0(VALU_DEP_3) | instskip(NEXT) | instid1(VALU_DEP_3)
	v_min_u32_e32 v23, 32, v23
	v_xor_b32_e32 v22, 1.0, v22
	s_delay_alu instid0(VALU_DEP_2) | instskip(SKIP_1) | instid1(VALU_DEP_3)
	v_sub_nc_u32_e32 v24, 31, v23
	v_add_lshl_u32 v19, v23, v19, 23
	v_mul_f32_e32 v23, 0x3fc90fda, v22
	s_delay_alu instid0(VALU_DEP_3) | instskip(NEXT) | instid1(VALU_DEP_3)
	v_alignbit_b32 v13, v20, v13, v24
	v_sub_nc_u32_e32 v18, v18, v19
	s_delay_alu instid0(VALU_DEP_3) | instskip(NEXT) | instid1(VALU_DEP_3)
	v_fma_f32 v19, 0x3fc90fda, v22, -v23
	v_lshrrev_b32_e32 v13, 9, v13
	s_delay_alu instid0(VALU_DEP_2) | instskip(NEXT) | instid1(VALU_DEP_2)
	v_fmac_f32_e32 v19, 0x33a22168, v22
	v_or_b32_e32 v13, v18, v13
	s_delay_alu instid0(VALU_DEP_1) | instskip(SKIP_1) | instid1(VALU_DEP_1)
	v_fmac_f32_e32 v19, 0x3fc90fda, v13
	v_lshrrev_b32_e32 v13, 30, v8
	v_dual_add_f32 v8, v23, v19 :: v_dual_add_nc_u32 v13, v21, v13
	s_and_not1_saveexec_b32 s2, s29
	s_cbranch_execnz .LBB133_26
	s_branch .LBB133_27
.LBB133_25:                             ;   in Loop: Header=BB133_4 Depth=1
	s_and_not1_saveexec_b32 s2, s29
.LBB133_26:                             ;   in Loop: Header=BB133_4 Depth=1
	v_mul_f32_e64 v8, 0x3f22f983, |v10|
	s_delay_alu instid0(VALU_DEP_1) | instskip(NEXT) | instid1(VALU_DEP_1)
	v_rndne_f32_e32 v13, v8
	v_fma_f32 v8, 0xbfc90fda, v13, |v10|
	s_delay_alu instid0(VALU_DEP_1) | instskip(NEXT) | instid1(VALU_DEP_1)
	v_fmac_f32_e32 v8, 0xb3a22168, v13
	v_fmac_f32_e32 v8, 0xa7c234c4, v13
	v_cvt_i32_f32_e32 v13, v13
.LBB133_27:                             ;   in Loop: Header=BB133_4 Depth=1
	s_or_b32 exec_lo, exec_lo, s2
	s_delay_alu instid0(VALU_DEP_1) | instskip(NEXT) | instid1(VALU_DEP_1)
	v_dual_add_f32 v18, 0xc322e3bc, v9 :: v_dual_mul_f32 v23, v8, v8
	v_dual_mul_f32 v22, v5, v5 :: v_dual_mul_f32 v19, 0x3fb8aa3b, v18
	s_delay_alu instid0(VALU_DEP_1) | instskip(SKIP_1) | instid1(VALU_DEP_3)
	v_fmaak_f32 v25, s22, v22, 0x3c0881c4
	v_fmaak_f32 v24, s23, v22, 0xbab64f3b
	v_fma_f32 v20, 0x3fb8aa3b, v18, -v19
	v_rndne_f32_e32 v21, v19
	s_delay_alu instid0(VALU_DEP_1) | instskip(NEXT) | instid1(VALU_DEP_1)
	v_dual_fmac_f32 v20, 0x32a5705f, v18 :: v_dual_sub_f32 v19, v19, v21
	v_add_f32_e32 v19, v19, v20
	v_cvt_i32_f32_e32 v20, v21
	v_cmp_ngt_f32_e32 vcc_lo, 0xc2ce8ed0, v18
	s_delay_alu instid0(VALU_DEP_3)
	v_exp_f32_e32 v19, v19
	s_waitcnt_depctr 0xfff
	v_ldexp_f32 v19, v19, v20
	v_and_b32_e32 v20, 1, v13
	v_lshlrev_b32_e32 v13, 30, v13
	v_dual_fmaak_f32 v26, s22, v23, 0x3c0881c4 :: v_dual_lshlrev_b32 v21, 30, v6
	s_delay_alu instid0(VALU_DEP_4) | instskip(SKIP_1) | instid1(VALU_DEP_4)
	v_dual_cndmask_b32 v19, 0, v19 :: v_dual_and_b32 v6, 1, v6
	v_cmp_nlt_f32_e32 vcc_lo, 0x42b17218, v18
	v_and_or_b32 v7, 0x80000000, v13, v7
	v_fmaak_f32 v13, v22, v24, 0x3d2aabf7
	v_fmaak_f32 v24, v22, v25, 0xbe2aaa9d
	v_and_b32_e32 v21, 0x80000000, v21
	v_fmaak_f32 v26, v23, v26, 0xbe2aaa9d
	s_delay_alu instid0(VALU_DEP_3) | instskip(SKIP_1) | instid1(VALU_DEP_3)
	v_mul_f32_e32 v24, v22, v24
	v_cndmask_b32_e32 v18, 0x7f800000, v19, vcc_lo
	v_dual_fmaak_f32 v19, s23, v23, 0xbab64f3b :: v_dual_mul_f32 v26, v23, v26
	v_cmp_eq_u32_e32 vcc_lo, 0, v6
	s_delay_alu instid0(VALU_DEP_4) | instskip(NEXT) | instid1(VALU_DEP_4)
	v_fmac_f32_e32 v5, v5, v24
	v_lshrrev_b32_e32 v25, 23, v18
	s_delay_alu instid0(VALU_DEP_4) | instskip(NEXT) | instid1(VALU_DEP_2)
	v_dual_fmaak_f32 v19, v23, v19, 0x3d2aabf7 :: v_dual_fmac_f32 v8, v8, v26
	v_subrev_nc_u32_e32 v25, 19, v25
	s_delay_alu instid0(VALU_DEP_2) | instskip(NEXT) | instid1(VALU_DEP_1)
	v_fmaak_f32 v19, v23, v19, 0xbf000004
	v_fma_f32 v19, v23, v19, 1.0
	v_fmaak_f32 v13, v22, v13, 0xbf000004
	s_delay_alu instid0(VALU_DEP_1) | instskip(SKIP_1) | instid1(VALU_DEP_2)
	v_fma_f32 v13, v22, v13, 1.0
	v_lshrrev_b16 v22, 15, v25
	v_cndmask_b32_e64 v5, -v5, v13, vcc_lo
	v_cmp_eq_u32_e32 vcc_lo, 0, v20
	s_delay_alu instid0(VALU_DEP_3) | instskip(NEXT) | instid1(VALU_DEP_3)
	v_add_nc_u16 v6, v25, v22
	v_xor_b32_e32 v5, v21, v5
	v_cndmask_b32_e32 v8, v19, v8, vcc_lo
	s_delay_alu instid0(VALU_DEP_3) | instskip(SKIP_1) | instid1(VALU_DEP_3)
	v_ashrrev_i16 v6, 1, v6
	v_cmp_class_f32_e64 vcc_lo, v10, 0x1f8
	v_xor3_b32 v7, v7, v8, v10
	v_and_or_b32 v8, 0x7fffff, v18, s24
	s_delay_alu instid0(VALU_DEP_4) | instskip(NEXT) | instid1(VALU_DEP_3)
	v_bfe_i32 v6, v6, 0, 16
	v_cndmask_b32_e32 v7, 0x7fc00000, v7, vcc_lo
	s_delay_alu instid0(VALU_DEP_2) | instskip(SKIP_1) | instid1(VALU_DEP_3)
	v_lshl_add_u32 v13, v6, 23, 1.0
	v_sub_nc_u32_e32 v6, v25, v6
	v_mul_f32_e32 v7, v7, v8
	s_delay_alu instid0(VALU_DEP_2) | instskip(NEXT) | instid1(VALU_DEP_2)
	v_lshl_add_u32 v6, v6, 23, 1.0
	v_mul_f32_e32 v7, v7, v13
	v_cndmask_b32_e32 v5, 0x7fc00000, v5, vcc_lo
	s_delay_alu instid0(VALU_DEP_1) | instskip(NEXT) | instid1(VALU_DEP_1)
	v_mul_f32_e32 v5, v5, v8
	v_mul_f32_e32 v5, v5, v13
	s_delay_alu instid0(VALU_DEP_1)
	v_mul_f32_e32 v5, v5, v6
	v_mul_f32_e32 v6, v7, v6
	s_or_b32 exec_lo, exec_lo, s28
                                        ; implicit-def: $vgpr8
.LBB133_28:                             ;   in Loop: Header=BB133_4 Depth=1
	s_and_not1_saveexec_b32 s2, s27
	s_cbranch_execz .LBB133_32
.LBB133_29:                             ;   in Loop: Header=BB133_4 Depth=1
	v_sub_f32_e32 v6, v10, v10
	s_mov_b32 s3, exec_lo
	v_cmpx_ne_u32_e32 0x7f800000, v8
	s_xor_b32 s3, exec_lo, s3
	s_delay_alu instid0(SALU_CYCLE_1)
	s_or_saveexec_b32 s3, s3
	v_mov_b32_e32 v5, v6
	s_xor_b32 exec_lo, exec_lo, s3
; %bb.30:                               ;   in Loop: Header=BB133_4 Depth=1
	v_cmp_lt_i32_e32 vcc_lo, -1, v9
	v_dual_cndmask_b32 v5, 0, v9 :: v_dual_cndmask_b32 v6, 0, v6
; %bb.31:                               ;   in Loop: Header=BB133_4 Depth=1
	s_or_b32 exec_lo, exec_lo, s3
.LBB133_32:                             ;   in Loop: Header=BB133_4 Depth=1
	s_delay_alu instid0(SALU_CYCLE_1)
	s_or_b32 exec_lo, exec_lo, s2
                                        ; implicit-def: $vgpr7
.LBB133_33:                             ;   in Loop: Header=BB133_4 Depth=1
	s_and_not1_saveexec_b32 s26, s26
	s_cbranch_execz .LBB133_43
; %bb.34:                               ;   in Loop: Header=BB133_4 Depth=1
	v_lshrrev_b32_e32 v5, 23, v7
	v_cmp_ngt_f32_e64 s27, 0x48000000, |v10|
	v_and_or_b32 v8, v7, s21, 0x800000
                                        ; implicit-def: $vgpr6
	s_delay_alu instid0(VALU_DEP_3) | instskip(NEXT) | instid1(VALU_DEP_3)
	v_add_nc_u32_e32 v18, 0xffffff88, v5
                                        ; implicit-def: $vgpr5
	s_and_saveexec_b32 s2, s27
	s_delay_alu instid0(SALU_CYCLE_1)
	s_xor_b32 s28, exec_lo, s2
	s_cbranch_execz .LBB133_36
; %bb.35:                               ;   in Loop: Header=BB133_4 Depth=1
	v_mad_u64_u32 v[5:6], null, 0xfe5163ab, v8, 0
	v_cmp_lt_u32_e32 vcc_lo, 63, v18
	s_delay_alu instid0(VALU_DEP_2) | instskip(SKIP_1) | instid1(VALU_DEP_1)
	v_mov_b32_e32 v13, v6
	v_cndmask_b32_e64 v6, 0, 0xffffffc0, vcc_lo
	v_add_nc_u32_e32 v6, v6, v18
	s_delay_alu instid0(VALU_DEP_1) | instskip(NEXT) | instid1(VALU_DEP_1)
	v_cmp_lt_u32_e64 s2, 31, v6
	v_cndmask_b32_e64 v25, 0, 0xffffffe0, s2
	s_delay_alu instid0(VALU_DEP_1) | instskip(SKIP_1) | instid1(VALU_DEP_2)
	v_add_nc_u32_e32 v6, v25, v6
	v_mad_u64_u32 v[19:20], null, 0x3c439041, v8, v[13:14]
	v_cmp_lt_u32_e64 s3, 31, v6
	s_delay_alu instid0(VALU_DEP_2) | instskip(NEXT) | instid1(VALU_DEP_1)
	v_mov_b32_e32 v13, v20
	v_mad_u64_u32 v[20:21], null, 0xdb629599, v8, v[13:14]
	s_delay_alu instid0(VALU_DEP_1) | instskip(NEXT) | instid1(VALU_DEP_2)
	v_mov_b32_e32 v13, v21
	v_cndmask_b32_e32 v5, v20, v5, vcc_lo
	s_delay_alu instid0(VALU_DEP_2) | instskip(NEXT) | instid1(VALU_DEP_1)
	v_mad_u64_u32 v[21:22], null, 0xf534ddc0, v8, v[13:14]
	v_mov_b32_e32 v13, v22
	s_delay_alu instid0(VALU_DEP_1) | instskip(NEXT) | instid1(VALU_DEP_1)
	v_mad_u64_u32 v[22:23], null, 0xfc2757d1, v8, v[13:14]
	v_mov_b32_e32 v13, v23
	s_delay_alu instid0(VALU_DEP_1) | instskip(NEXT) | instid1(VALU_DEP_1)
	v_mad_u64_u32 v[23:24], null, 0x4e441529, v8, v[13:14]
	v_dual_mov_b32 v13, v24 :: v_dual_cndmask_b32 v26, v23, v21
	s_delay_alu instid0(VALU_DEP_1) | instskip(SKIP_1) | instid1(VALU_DEP_1)
	v_mad_u64_u32 v[24:25], null, 0xa2f9836e, v8, v[13:14]
	v_cndmask_b32_e64 v13, 0, 0xffffffe0, s3
	v_add_nc_u32_e32 v6, v13, v6
	s_delay_alu instid0(VALU_DEP_3) | instskip(SKIP_1) | instid1(VALU_DEP_3)
	v_dual_cndmask_b32 v24, v24, v22 :: v_dual_cndmask_b32 v23, v25, v23
	v_dual_cndmask_b32 v22, v22, v20 :: v_dual_cndmask_b32 v13, v21, v19
	v_cmp_eq_u32_e64 s4, 0, v6
	s_delay_alu instid0(VALU_DEP_3) | instskip(NEXT) | instid1(VALU_DEP_4)
	v_cndmask_b32_e64 v19, v24, v26, s2
	v_cndmask_b32_e64 v21, v23, v24, s2
	s_delay_alu instid0(VALU_DEP_4)
	v_cndmask_b32_e64 v23, v26, v22, s2
	v_sub_nc_u32_e32 v24, 32, v6
	v_cndmask_b32_e64 v22, v22, v13, s2
	v_cndmask_b32_e64 v5, v13, v5, s2
	v_cndmask_b32_e64 v21, v21, v19, s3
	v_cndmask_b32_e64 v19, v19, v23, s3
	s_delay_alu instid0(VALU_DEP_4) | instskip(NEXT) | instid1(VALU_DEP_4)
	v_cndmask_b32_e64 v23, v23, v22, s3
	v_cndmask_b32_e64 v5, v22, v5, s3
	s_delay_alu instid0(VALU_DEP_3) | instskip(NEXT) | instid1(VALU_DEP_3)
	v_alignbit_b32 v25, v21, v19, v24
	v_alignbit_b32 v26, v19, v23, v24
	s_delay_alu instid0(VALU_DEP_3) | instskip(NEXT) | instid1(VALU_DEP_3)
	v_alignbit_b32 v24, v23, v5, v24
	v_cndmask_b32_e64 v6, v25, v21, s4
	s_delay_alu instid0(VALU_DEP_3) | instskip(NEXT) | instid1(VALU_DEP_3)
	v_cndmask_b32_e64 v19, v26, v19, s4
	v_cndmask_b32_e64 v23, v24, v23, s4
	s_delay_alu instid0(VALU_DEP_3) | instskip(NEXT) | instid1(VALU_DEP_3)
	v_bfe_u32 v20, v6, 29, 1
	v_alignbit_b32 v13, v6, v19, 30
	s_delay_alu instid0(VALU_DEP_3) | instskip(SKIP_1) | instid1(VALU_DEP_4)
	v_alignbit_b32 v19, v19, v23, 30
	v_alignbit_b32 v5, v23, v5, 30
	v_sub_nc_u32_e32 v21, 0, v20
	s_delay_alu instid0(VALU_DEP_1) | instskip(SKIP_3) | instid1(VALU_DEP_4)
	v_xor_b32_e32 v22, v13, v21
	v_cmp_ne_u32_e32 vcc_lo, v13, v21
	v_xor_b32_e32 v19, v19, v21
	v_xor_b32_e32 v5, v5, v21
	v_clz_i32_u32_e32 v25, v22
	s_delay_alu instid0(VALU_DEP_1) | instskip(NEXT) | instid1(VALU_DEP_1)
	v_add_nc_u32_e32 v24, 1, v25
	v_cndmask_b32_e32 v13, 33, v24, vcc_lo
	s_delay_alu instid0(VALU_DEP_1) | instskip(NEXT) | instid1(VALU_DEP_1)
	v_sub_nc_u32_e32 v23, 32, v13
	v_alignbit_b32 v21, v22, v19, v23
	v_alignbit_b32 v5, v19, v5, v23
	v_lshrrev_b32_e32 v19, 29, v6
	v_lshrrev_b32_e32 v6, 30, v6
	s_delay_alu instid0(VALU_DEP_3) | instskip(NEXT) | instid1(VALU_DEP_3)
	v_alignbit_b32 v22, v21, v5, 9
	v_lshlrev_b32_e32 v19, 31, v19
	s_delay_alu instid0(VALU_DEP_3) | instskip(SKIP_1) | instid1(VALU_DEP_4)
	v_add_nc_u32_e32 v6, v20, v6
	v_alignbit_b32 v21, v13, v21, 9
	v_clz_i32_u32_e32 v23, v22
	s_delay_alu instid0(VALU_DEP_2) | instskip(SKIP_1) | instid1(VALU_DEP_3)
	v_or_b32_e32 v21, v21, v19
	v_or_b32_e32 v19, 0x33800000, v19
	v_min_u32_e32 v23, 32, v23
	s_delay_alu instid0(VALU_DEP_3) | instskip(NEXT) | instid1(VALU_DEP_2)
	v_xor_b32_e32 v21, 1.0, v21
	v_sub_nc_u32_e32 v24, 31, v23
	v_add_lshl_u32 v13, v23, v13, 23
	s_delay_alu instid0(VALU_DEP_3) | instskip(NEXT) | instid1(VALU_DEP_3)
	v_mul_f32_e32 v23, 0x3fc90fda, v21
	v_alignbit_b32 v5, v22, v5, v24
	s_delay_alu instid0(VALU_DEP_3) | instskip(NEXT) | instid1(VALU_DEP_3)
	v_sub_nc_u32_e32 v13, v19, v13
	v_fma_f32 v19, 0x3fc90fda, v21, -v23
	s_delay_alu instid0(VALU_DEP_3) | instskip(NEXT) | instid1(VALU_DEP_2)
	v_lshrrev_b32_e32 v5, 9, v5
	v_fmac_f32_e32 v19, 0x33a22168, v21
	s_delay_alu instid0(VALU_DEP_2) | instskip(NEXT) | instid1(VALU_DEP_1)
	v_or_b32_e32 v5, v13, v5
	v_fmac_f32_e32 v19, 0x3fc90fda, v5
	s_delay_alu instid0(VALU_DEP_1)
	v_add_f32_e32 v5, v23, v19
.LBB133_36:                             ;   in Loop: Header=BB133_4 Depth=1
	s_or_saveexec_b32 s2, s28
	v_mul_f32_e64 v13, 0x3f22f983, |v10|
	s_delay_alu instid0(VALU_DEP_1)
	v_rndne_f32_e32 v20, v13
	s_xor_b32 exec_lo, exec_lo, s2
; %bb.37:                               ;   in Loop: Header=BB133_4 Depth=1
	s_delay_alu instid0(VALU_DEP_1) | instskip(SKIP_1) | instid1(VALU_DEP_2)
	v_fma_f32 v5, 0xbfc90fda, v20, |v10|
	v_cvt_i32_f32_e32 v6, v20
	v_fmac_f32_e32 v5, 0xb3a22168, v20
	s_delay_alu instid0(VALU_DEP_1)
	v_fmac_f32_e32 v5, 0xa7c234c4, v20
; %bb.38:                               ;   in Loop: Header=BB133_4 Depth=1
	s_or_b32 exec_lo, exec_lo, s2
                                        ; implicit-def: $vgpr19
                                        ; implicit-def: $vgpr13
	s_and_saveexec_b32 s2, s27
	s_delay_alu instid0(SALU_CYCLE_1)
	s_xor_b32 s27, exec_lo, s2
	s_cbranch_execz .LBB133_40
; %bb.39:                               ;   in Loop: Header=BB133_4 Depth=1
	v_mad_u64_u32 v[19:20], null, 0xfe5163ab, v8, 0
	v_cmp_lt_u32_e32 vcc_lo, 63, v18
	v_cndmask_b32_e64 v25, 0, 0xffffffc0, vcc_lo
	s_delay_alu instid0(VALU_DEP_1) | instskip(NEXT) | instid1(VALU_DEP_1)
	v_dual_mov_b32 v13, v20 :: v_dual_add_nc_u32 v18, v25, v18
	v_mad_u64_u32 v[20:21], null, 0x3c439041, v8, v[13:14]
	s_delay_alu instid0(VALU_DEP_2) | instskip(NEXT) | instid1(VALU_DEP_1)
	v_cmp_lt_u32_e64 s2, 31, v18
	v_cndmask_b32_e64 v26, 0, 0xffffffe0, s2
	s_delay_alu instid0(VALU_DEP_1) | instskip(NEXT) | instid1(VALU_DEP_1)
	v_dual_mov_b32 v13, v21 :: v_dual_add_nc_u32 v18, v26, v18
	v_mad_u64_u32 v[21:22], null, 0xdb629599, v8, v[13:14]
	s_delay_alu instid0(VALU_DEP_2) | instskip(NEXT) | instid1(VALU_DEP_2)
	v_cmp_lt_u32_e64 s3, 31, v18
	v_mov_b32_e32 v13, v22
	s_delay_alu instid0(VALU_DEP_3) | instskip(NEXT) | instid1(VALU_DEP_2)
	v_cndmask_b32_e32 v19, v21, v19, vcc_lo
	v_mad_u64_u32 v[22:23], null, 0xf534ddc0, v8, v[13:14]
	s_delay_alu instid0(VALU_DEP_1) | instskip(NEXT) | instid1(VALU_DEP_1)
	v_mov_b32_e32 v13, v23
	v_mad_u64_u32 v[23:24], null, 0xfc2757d1, v8, v[13:14]
	s_delay_alu instid0(VALU_DEP_1) | instskip(NEXT) | instid1(VALU_DEP_1)
	v_mov_b32_e32 v13, v24
	;; [unrolled: 3-line block ×3, first 2 shown]
	v_mad_u64_u32 v[25:26], null, 0xa2f9836e, v8, v[13:14]
	v_cndmask_b32_e64 v8, 0, 0xffffffe0, s3
	s_delay_alu instid0(VALU_DEP_4) | instskip(NEXT) | instid1(VALU_DEP_2)
	v_cndmask_b32_e32 v13, v24, v22, vcc_lo
	v_dual_cndmask_b32 v25, v25, v23 :: v_dual_add_nc_u32 v8, v8, v18
	s_delay_alu instid0(VALU_DEP_4) | instskip(SKIP_1) | instid1(VALU_DEP_3)
	v_dual_cndmask_b32 v24, v26, v24 :: v_dual_cndmask_b32 v23, v23, v21
	v_cndmask_b32_e32 v18, v22, v20, vcc_lo
	v_cmp_eq_u32_e64 s4, 0, v8
	s_delay_alu instid0(VALU_DEP_4) | instskip(NEXT) | instid1(VALU_DEP_4)
	v_cndmask_b32_e64 v20, v25, v13, s2
	v_cndmask_b32_e64 v22, v24, v25, s2
	;; [unrolled: 1-line block ×3, first 2 shown]
	v_sub_nc_u32_e32 v24, 32, v8
	v_cndmask_b32_e64 v23, v23, v18, s2
	v_cndmask_b32_e64 v18, v18, v19, s2
	;; [unrolled: 1-line block ×4, first 2 shown]
	s_delay_alu instid0(VALU_DEP_4) | instskip(NEXT) | instid1(VALU_DEP_4)
	v_cndmask_b32_e64 v13, v13, v23, s3
	v_cndmask_b32_e64 v18, v23, v18, s3
	s_delay_alu instid0(VALU_DEP_3) | instskip(NEXT) | instid1(VALU_DEP_3)
	v_alignbit_b32 v25, v22, v20, v24
	v_alignbit_b32 v26, v20, v13, v24
	s_delay_alu instid0(VALU_DEP_3) | instskip(NEXT) | instid1(VALU_DEP_3)
	v_alignbit_b32 v24, v13, v18, v24
	v_cndmask_b32_e64 v8, v25, v22, s4
	s_delay_alu instid0(VALU_DEP_3) | instskip(NEXT) | instid1(VALU_DEP_3)
	v_cndmask_b32_e64 v20, v26, v20, s4
	v_cndmask_b32_e64 v13, v24, v13, s4
	s_delay_alu instid0(VALU_DEP_3) | instskip(NEXT) | instid1(VALU_DEP_3)
	v_bfe_u32 v21, v8, 29, 1
	v_alignbit_b32 v19, v8, v20, 30
	s_delay_alu instid0(VALU_DEP_3) | instskip(SKIP_1) | instid1(VALU_DEP_4)
	v_alignbit_b32 v20, v20, v13, 30
	v_alignbit_b32 v13, v13, v18, 30
	v_sub_nc_u32_e32 v22, 0, v21
	s_delay_alu instid0(VALU_DEP_1) | instskip(SKIP_3) | instid1(VALU_DEP_4)
	v_xor_b32_e32 v23, v19, v22
	v_cmp_ne_u32_e32 vcc_lo, v19, v22
	v_xor_b32_e32 v18, v20, v22
	v_xor_b32_e32 v13, v13, v22
	v_clz_i32_u32_e32 v25, v23
	s_delay_alu instid0(VALU_DEP_1) | instskip(NEXT) | instid1(VALU_DEP_1)
	v_add_nc_u32_e32 v24, 1, v25
	v_cndmask_b32_e32 v19, 33, v24, vcc_lo
	s_delay_alu instid0(VALU_DEP_1) | instskip(NEXT) | instid1(VALU_DEP_1)
	v_sub_nc_u32_e32 v20, 32, v19
	v_alignbit_b32 v22, v23, v18, v20
	v_alignbit_b32 v13, v18, v13, v20
	v_lshrrev_b32_e32 v18, 29, v8
	v_lshrrev_b32_e32 v8, 30, v8
	s_delay_alu instid0(VALU_DEP_3) | instskip(NEXT) | instid1(VALU_DEP_3)
	v_alignbit_b32 v20, v22, v13, 9
	v_lshlrev_b32_e32 v18, 31, v18
	v_alignbit_b32 v22, v19, v22, 9
	s_delay_alu instid0(VALU_DEP_3) | instskip(NEXT) | instid1(VALU_DEP_2)
	v_clz_i32_u32_e32 v23, v20
	v_or_b32_e32 v22, v22, v18
	v_or_b32_e32 v18, 0x33800000, v18
	s_delay_alu instid0(VALU_DEP_3) | instskip(NEXT) | instid1(VALU_DEP_3)
	v_min_u32_e32 v23, 32, v23
	v_xor_b32_e32 v22, 1.0, v22
	s_delay_alu instid0(VALU_DEP_2) | instskip(SKIP_1) | instid1(VALU_DEP_3)
	v_sub_nc_u32_e32 v24, 31, v23
	v_add_lshl_u32 v19, v23, v19, 23
	v_mul_f32_e32 v23, 0x3fc90fda, v22
	s_delay_alu instid0(VALU_DEP_3) | instskip(NEXT) | instid1(VALU_DEP_3)
	v_alignbit_b32 v13, v20, v13, v24
	v_sub_nc_u32_e32 v18, v18, v19
	s_delay_alu instid0(VALU_DEP_3) | instskip(NEXT) | instid1(VALU_DEP_3)
	v_fma_f32 v19, 0x3fc90fda, v22, -v23
                                        ; implicit-def: $vgpr20
	v_lshrrev_b32_e32 v13, 9, v13
	s_delay_alu instid0(VALU_DEP_2) | instskip(NEXT) | instid1(VALU_DEP_2)
	v_fmac_f32_e32 v19, 0x33a22168, v22
	v_or_b32_e32 v13, v18, v13
	s_delay_alu instid0(VALU_DEP_1) | instskip(NEXT) | instid1(VALU_DEP_1)
	v_fmac_f32_e32 v19, 0x3fc90fda, v13
	v_add_f32_e32 v13, v23, v19
	v_add_nc_u32_e32 v19, v21, v8
	s_and_not1_saveexec_b32 s2, s27
	s_cbranch_execnz .LBB133_41
	s_branch .LBB133_42
.LBB133_40:                             ;   in Loop: Header=BB133_4 Depth=1
	s_and_not1_saveexec_b32 s2, s27
.LBB133_41:                             ;   in Loop: Header=BB133_4 Depth=1
	v_fma_f32 v13, 0xbfc90fda, v20, |v10|
	v_cvt_i32_f32_e32 v19, v20
	s_delay_alu instid0(VALU_DEP_2) | instskip(NEXT) | instid1(VALU_DEP_1)
	v_fmac_f32_e32 v13, 0xb3a22168, v20
	v_fmac_f32_e32 v13, 0xa7c234c4, v20
.LBB133_42:                             ;   in Loop: Header=BB133_4 Depth=1
	s_or_b32 exec_lo, exec_lo, s2
	s_delay_alu instid0(VALU_DEP_1) | instskip(SKIP_2) | instid1(VALU_DEP_3)
	v_mul_f32_e32 v18, v13, v13
	v_dual_mul_f32 v8, v5, v5 :: v_dual_and_b32 v25, 1, v19
	v_lshlrev_b32_e32 v19, 30, v19
	v_fmaak_f32 v23, s22, v18, 0x3c0881c4
	s_delay_alu instid0(VALU_DEP_3) | instskip(SKIP_2) | instid1(VALU_DEP_4)
	v_fmaak_f32 v21, s22, v8, 0x3c0881c4
	v_fmaak_f32 v22, s23, v8, 0xbab64f3b
	v_and_b32_e32 v20, 1, v6
	v_dual_fmaak_f32 v23, v18, v23, 0xbe2aaa9d :: v_dual_lshlrev_b32 v6, 30, v6
	v_fmaak_f32 v24, s23, v18, 0xbab64f3b
	v_fmaak_f32 v21, v8, v21, 0xbe2aaa9d
	;; [unrolled: 1-line block ×3, first 2 shown]
	v_cmp_eq_u32_e32 vcc_lo, 0, v20
	v_mul_f32_e32 v23, v18, v23
	s_delay_alu instid0(VALU_DEP_4) | instskip(NEXT) | instid1(VALU_DEP_4)
	v_dual_fmaak_f32 v24, v18, v24, 0x3d2aabf7 :: v_dual_mul_f32 v21, v8, v21
	v_fmaak_f32 v22, v8, v22, 0xbf000004
	s_delay_alu instid0(VALU_DEP_3) | instskip(NEXT) | instid1(VALU_DEP_3)
	v_dual_fmac_f32 v13, v13, v23 :: v_dual_and_b32 v6, 0x80000000, v6
	v_dual_fmaak_f32 v24, v18, v24, 0xbf000004 :: v_dual_fmac_f32 v5, v5, v21
	s_delay_alu instid0(VALU_DEP_3) | instskip(SKIP_1) | instid1(VALU_DEP_3)
	v_fma_f32 v8, v8, v22, 1.0
	v_and_or_b32 v7, 0x80000000, v19, v7
	v_fma_f32 v18, v18, v24, 1.0
	s_delay_alu instid0(VALU_DEP_3) | instskip(SKIP_1) | instid1(VALU_DEP_2)
	v_cndmask_b32_e64 v5, -v5, v8, vcc_lo
	v_cmp_eq_u32_e32 vcc_lo, 0, v25
	v_xor_b32_e32 v5, v6, v5
	s_delay_alu instid0(VALU_DEP_4) | instskip(SKIP_1) | instid1(VALU_DEP_2)
	v_cndmask_b32_e32 v8, v18, v13, vcc_lo
	v_cmp_class_f32_e64 vcc_lo, v10, 0x1f8
	v_xor3_b32 v6, v7, v8, v10
	s_delay_alu instid0(VALU_DEP_4) | instskip(NEXT) | instid1(VALU_DEP_2)
	v_cndmask_b32_e32 v5, 0x7fc00000, v5, vcc_lo
	v_cndmask_b32_e32 v6, 0x7fc00000, v6, vcc_lo
.LBB133_43:                             ;   in Loop: Header=BB133_4 Depth=1
	s_or_b32 exec_lo, exec_lo, s26
.LBB133_44:                             ;   in Loop: Header=BB133_4 Depth=1
	s_and_not1_saveexec_b32 s2, s25
	s_cbranch_execz .LBB133_46
; %bb.45:                               ;   in Loop: Header=BB133_4 Depth=1
	v_mul_f32_e32 v5, 0x3fb8aa3b, v9
	v_cmp_ngt_f32_e32 vcc_lo, 0xc2ce8ed0, v9
	s_delay_alu instid0(VALU_DEP_2) | instskip(SKIP_1) | instid1(VALU_DEP_2)
	v_rndne_f32_e32 v6, v5
	v_fma_f32 v7, 0x3fb8aa3b, v9, -v5
	v_sub_f32_e32 v5, v5, v6
	s_delay_alu instid0(VALU_DEP_2) | instskip(SKIP_1) | instid1(VALU_DEP_2)
	v_fmac_f32_e32 v7, 0x32a5705f, v9
	v_cvt_i32_f32_e32 v6, v6
	v_add_f32_e32 v5, v5, v7
	s_delay_alu instid0(VALU_DEP_1) | instskip(SKIP_2) | instid1(VALU_DEP_1)
	v_exp_f32_e32 v5, v5
	s_waitcnt_depctr 0xfff
	v_ldexp_f32 v5, v5, v6
	v_dual_mov_b32 v6, v10 :: v_dual_cndmask_b32 v5, 0, v5
	v_cmp_nlt_f32_e32 vcc_lo, 0x42b17218, v9
	s_delay_alu instid0(VALU_DEP_2)
	v_cndmask_b32_e32 v5, 0x7f800000, v5, vcc_lo
.LBB133_46:                             ;   in Loop: Header=BB133_4 Depth=1
	s_or_b32 exec_lo, exec_lo, s2
	v_and_b32_e32 v9, 0x7fffffff, v12
	s_mov_b32 s2, exec_lo
	s_delay_alu instid0(VALU_DEP_1)
	v_cmpx_ne_u32_e32 0, v9
	s_xor_b32 s25, exec_lo, s2
	s_cbranch_execz .LBB133_88
; %bb.47:                               ;   in Loop: Header=BB133_4 Depth=1
	v_and_b32_e32 v10, 0x7fffffff, v11
	s_mov_b32 s2, exec_lo
	s_delay_alu instid0(VALU_DEP_1)
	v_cmpx_ne_u32_e32 0, v10
	s_xor_b32 s26, exec_lo, s2
	s_cbranch_execz .LBB133_77
; %bb.48:                               ;   in Loop: Header=BB133_4 Depth=1
	s_mov_b32 s2, exec_lo
	v_cmpx_gt_u32_e32 0x7f800000, v9
	s_xor_b32 s27, exec_lo, s2
	s_cbranch_execz .LBB133_70
; %bb.49:                               ;   in Loop: Header=BB133_4 Depth=1
	v_add_nc_u32_e32 v7, 0xbd4e8de8, v11
	s_mov_b32 s2, exec_lo
	s_delay_alu instid0(VALU_DEP_1)
	v_cmpx_lt_u32_e32 0x8e8e5c, v7
	s_xor_b32 s28, exec_lo, s2
	s_cbranch_execz .LBB133_59
; %bb.50:                               ;   in Loop: Header=BB133_4 Depth=1
	v_cmp_ngt_f32_e64 s29, 0x48000000, |v12|
                                        ; implicit-def: $vgpr8
                                        ; implicit-def: $vgpr7
	s_delay_alu instid0(VALU_DEP_1) | instskip(NEXT) | instid1(SALU_CYCLE_1)
	s_and_saveexec_b32 s2, s29
	s_xor_b32 s30, exec_lo, s2
	s_cbranch_execz .LBB133_52
; %bb.51:                               ;   in Loop: Header=BB133_4 Depth=1
	v_and_or_b32 v10, v9, s21, 0x800000
	s_delay_alu instid0(VALU_DEP_1) | instskip(NEXT) | instid1(VALU_DEP_1)
	v_mad_u64_u32 v[7:8], null, 0xfe5163ab, v10, 0
	v_mov_b32_e32 v13, v8
	v_lshrrev_b32_e32 v8, 23, v9
	s_delay_alu instid0(VALU_DEP_1) | instskip(NEXT) | instid1(VALU_DEP_3)
	v_add_nc_u32_e32 v8, 0xffffff88, v8
	v_mad_u64_u32 v[18:19], null, 0x3c439041, v10, v[13:14]
	s_delay_alu instid0(VALU_DEP_2) | instskip(SKIP_1) | instid1(VALU_DEP_1)
	v_cmp_lt_u32_e32 vcc_lo, 63, v8
	v_cndmask_b32_e64 v23, 0, 0xffffffc0, vcc_lo
	v_add_nc_u32_e32 v8, v23, v8
	s_delay_alu instid0(VALU_DEP_1) | instskip(NEXT) | instid1(VALU_DEP_1)
	v_cmp_lt_u32_e64 s2, 31, v8
	v_cndmask_b32_e64 v24, 0, 0xffffffe0, s2
	s_delay_alu instid0(VALU_DEP_1) | instskip(NEXT) | instid1(VALU_DEP_1)
	v_dual_mov_b32 v13, v19 :: v_dual_add_nc_u32 v8, v24, v8
	v_mad_u64_u32 v[19:20], null, 0xdb629599, v10, v[13:14]
	s_delay_alu instid0(VALU_DEP_2) | instskip(NEXT) | instid1(VALU_DEP_2)
	v_cmp_lt_u32_e64 s3, 31, v8
	v_mov_b32_e32 v13, v20
	s_delay_alu instid0(VALU_DEP_3) | instskip(NEXT) | instid1(VALU_DEP_2)
	v_cndmask_b32_e32 v7, v19, v7, vcc_lo
	v_mad_u64_u32 v[20:21], null, 0xf534ddc0, v10, v[13:14]
	s_delay_alu instid0(VALU_DEP_1) | instskip(NEXT) | instid1(VALU_DEP_1)
	v_mov_b32_e32 v13, v21
	v_mad_u64_u32 v[21:22], null, 0xfc2757d1, v10, v[13:14]
	s_delay_alu instid0(VALU_DEP_1) | instskip(NEXT) | instid1(VALU_DEP_1)
	v_mov_b32_e32 v13, v22
	v_mad_u64_u32 v[22:23], null, 0x4e441529, v10, v[13:14]
	s_delay_alu instid0(VALU_DEP_1) | instskip(NEXT) | instid1(VALU_DEP_1)
	v_mov_b32_e32 v13, v23
	v_mad_u64_u32 v[23:24], null, 0xa2f9836e, v10, v[13:14]
	v_cndmask_b32_e64 v10, 0, 0xffffffe0, s3
	s_delay_alu instid0(VALU_DEP_4) | instskip(NEXT) | instid1(VALU_DEP_2)
	v_cndmask_b32_e32 v13, v22, v20, vcc_lo
	v_dual_cndmask_b32 v23, v23, v21 :: v_dual_add_nc_u32 v8, v10, v8
	s_delay_alu instid0(VALU_DEP_4) | instskip(SKIP_1) | instid1(VALU_DEP_3)
	v_dual_cndmask_b32 v22, v24, v22 :: v_dual_cndmask_b32 v21, v21, v19
	v_cndmask_b32_e32 v10, v20, v18, vcc_lo
	v_cmp_eq_u32_e64 s4, 0, v8
	s_delay_alu instid0(VALU_DEP_4) | instskip(NEXT) | instid1(VALU_DEP_4)
	v_cndmask_b32_e64 v18, v23, v13, s2
	v_cndmask_b32_e64 v20, v22, v23, s2
	;; [unrolled: 1-line block ×3, first 2 shown]
	v_sub_nc_u32_e32 v22, 32, v8
	v_cndmask_b32_e64 v21, v21, v10, s2
	v_cndmask_b32_e64 v7, v10, v7, s2
	;; [unrolled: 1-line block ×4, first 2 shown]
	s_delay_alu instid0(VALU_DEP_4) | instskip(NEXT) | instid1(VALU_DEP_4)
	v_cndmask_b32_e64 v13, v13, v21, s3
	v_cndmask_b32_e64 v7, v21, v7, s3
	s_delay_alu instid0(VALU_DEP_3) | instskip(NEXT) | instid1(VALU_DEP_3)
	v_alignbit_b32 v23, v20, v18, v22
	v_alignbit_b32 v24, v18, v13, v22
	s_delay_alu instid0(VALU_DEP_3) | instskip(NEXT) | instid1(VALU_DEP_3)
	v_alignbit_b32 v22, v13, v7, v22
	v_cndmask_b32_e64 v8, v23, v20, s4
	s_delay_alu instid0(VALU_DEP_3) | instskip(NEXT) | instid1(VALU_DEP_3)
	v_cndmask_b32_e64 v18, v24, v18, s4
	v_cndmask_b32_e64 v13, v22, v13, s4
	s_delay_alu instid0(VALU_DEP_3) | instskip(NEXT) | instid1(VALU_DEP_3)
	v_bfe_u32 v19, v8, 29, 1
	v_alignbit_b32 v10, v8, v18, 30
	s_delay_alu instid0(VALU_DEP_3) | instskip(SKIP_1) | instid1(VALU_DEP_4)
	v_alignbit_b32 v18, v18, v13, 30
	v_alignbit_b32 v7, v13, v7, 30
	v_sub_nc_u32_e32 v20, 0, v19
	s_delay_alu instid0(VALU_DEP_1) | instskip(SKIP_3) | instid1(VALU_DEP_4)
	v_xor_b32_e32 v21, v10, v20
	v_cmp_ne_u32_e32 vcc_lo, v10, v20
	v_xor_b32_e32 v13, v18, v20
	v_xor_b32_e32 v7, v7, v20
	v_clz_i32_u32_e32 v23, v21
	s_delay_alu instid0(VALU_DEP_1) | instskip(NEXT) | instid1(VALU_DEP_1)
	v_add_nc_u32_e32 v22, 1, v23
	v_cndmask_b32_e32 v10, 33, v22, vcc_lo
	s_delay_alu instid0(VALU_DEP_1) | instskip(NEXT) | instid1(VALU_DEP_1)
	v_sub_nc_u32_e32 v18, 32, v10
	v_alignbit_b32 v20, v21, v13, v18
	v_alignbit_b32 v7, v13, v7, v18
	v_lshrrev_b32_e32 v13, 29, v8
	v_lshrrev_b32_e32 v8, 30, v8
	s_delay_alu instid0(VALU_DEP_3) | instskip(NEXT) | instid1(VALU_DEP_3)
	v_alignbit_b32 v18, v20, v7, 9
	v_lshlrev_b32_e32 v13, 31, v13
	v_alignbit_b32 v20, v10, v20, 9
	s_delay_alu instid0(VALU_DEP_4) | instskip(NEXT) | instid1(VALU_DEP_4)
	v_add_nc_u32_e32 v8, v19, v8
	v_clz_i32_u32_e32 v21, v18
	s_delay_alu instid0(VALU_DEP_3) | instskip(SKIP_1) | instid1(VALU_DEP_3)
	v_or_b32_e32 v20, v20, v13
	v_or_b32_e32 v13, 0x33800000, v13
	v_min_u32_e32 v21, 32, v21
	s_delay_alu instid0(VALU_DEP_3) | instskip(NEXT) | instid1(VALU_DEP_2)
	v_xor_b32_e32 v20, 1.0, v20
	v_sub_nc_u32_e32 v22, 31, v21
	v_add_lshl_u32 v10, v21, v10, 23
	s_delay_alu instid0(VALU_DEP_3) | instskip(NEXT) | instid1(VALU_DEP_3)
	v_mul_f32_e32 v21, 0x3fc90fda, v20
	v_alignbit_b32 v7, v18, v7, v22
	s_delay_alu instid0(VALU_DEP_3) | instskip(NEXT) | instid1(VALU_DEP_3)
	v_sub_nc_u32_e32 v10, v13, v10
	v_fma_f32 v13, 0x3fc90fda, v20, -v21
	s_delay_alu instid0(VALU_DEP_3) | instskip(NEXT) | instid1(VALU_DEP_2)
	v_lshrrev_b32_e32 v7, 9, v7
	v_fmac_f32_e32 v13, 0x33a22168, v20
	s_delay_alu instid0(VALU_DEP_2) | instskip(NEXT) | instid1(VALU_DEP_1)
	v_or_b32_e32 v7, v10, v7
	v_fmac_f32_e32 v13, 0x3fc90fda, v7
	s_delay_alu instid0(VALU_DEP_1)
	v_add_f32_e32 v7, v21, v13
	s_and_not1_saveexec_b32 s2, s30
	s_branch .LBB133_53
.LBB133_52:                             ;   in Loop: Header=BB133_4 Depth=1
	s_and_not1_saveexec_b32 s2, s30
.LBB133_53:                             ;   in Loop: Header=BB133_4 Depth=1
	v_mul_f32_e64 v7, 0x3f22f983, |v12|
	s_delay_alu instid0(VALU_DEP_1) | instskip(NEXT) | instid1(VALU_DEP_1)
	v_rndne_f32_e32 v8, v7
	v_fma_f32 v7, 0xbfc90fda, v8, |v12|
	s_delay_alu instid0(VALU_DEP_1) | instskip(NEXT) | instid1(VALU_DEP_1)
	v_fmac_f32_e32 v7, 0xb3a22168, v8
	v_fmac_f32_e32 v7, 0xa7c234c4, v8
	v_cvt_i32_f32_e32 v8, v8
; %bb.54:                               ;   in Loop: Header=BB133_4 Depth=1
	s_or_b32 exec_lo, exec_lo, s2
                                        ; implicit-def: $vgpr13
                                        ; implicit-def: $vgpr10
	s_and_saveexec_b32 s2, s29
	s_delay_alu instid0(SALU_CYCLE_1)
	s_xor_b32 s29, exec_lo, s2
	s_cbranch_execz .LBB133_56
; %bb.55:                               ;   in Loop: Header=BB133_4 Depth=1
	v_and_or_b32 v10, v9, s21, 0x800000
	v_lshrrev_b32_e32 v23, 23, v9
	s_delay_alu instid0(VALU_DEP_2) | instskip(NEXT) | instid1(VALU_DEP_2)
	v_mad_u64_u32 v[18:19], null, 0xfe5163ab, v10, 0
	v_add_nc_u32_e32 v24, 0xffffff88, v23
	s_delay_alu instid0(VALU_DEP_1) | instskip(NEXT) | instid1(VALU_DEP_3)
	v_cmp_lt_u32_e32 vcc_lo, 63, v24
	v_mov_b32_e32 v13, v19
	v_cndmask_b32_e64 v25, 0, 0xffffffc0, vcc_lo
	s_delay_alu instid0(VALU_DEP_2) | instskip(NEXT) | instid1(VALU_DEP_2)
	v_mad_u64_u32 v[19:20], null, 0x3c439041, v10, v[13:14]
	v_add_nc_u32_e32 v25, v25, v24
	s_delay_alu instid0(VALU_DEP_1) | instskip(NEXT) | instid1(VALU_DEP_1)
	v_cmp_lt_u32_e64 s2, 31, v25
	v_cndmask_b32_e64 v26, 0, 0xffffffe0, s2
	s_delay_alu instid0(VALU_DEP_1) | instskip(NEXT) | instid1(VALU_DEP_1)
	v_dual_mov_b32 v13, v20 :: v_dual_add_nc_u32 v26, v26, v25
	v_mad_u64_u32 v[20:21], null, 0xdb629599, v10, v[13:14]
	s_delay_alu instid0(VALU_DEP_2) | instskip(NEXT) | instid1(VALU_DEP_2)
	v_cmp_lt_u32_e64 s3, 31, v26
	v_dual_mov_b32 v13, v21 :: v_dual_cndmask_b32 v18, v20, v18
	s_delay_alu instid0(VALU_DEP_1) | instskip(NEXT) | instid1(VALU_DEP_1)
	v_mad_u64_u32 v[21:22], null, 0xf534ddc0, v10, v[13:14]
	v_mov_b32_e32 v13, v22
	s_delay_alu instid0(VALU_DEP_2) | instskip(NEXT) | instid1(VALU_DEP_2)
	v_cndmask_b32_e32 v19, v21, v19, vcc_lo
	v_mad_u64_u32 v[22:23], null, 0xfc2757d1, v10, v[13:14]
	s_delay_alu instid0(VALU_DEP_2) | instskip(NEXT) | instid1(VALU_DEP_2)
	v_cndmask_b32_e64 v18, v19, v18, s2
	v_mov_b32_e32 v13, v23
	s_delay_alu instid0(VALU_DEP_1) | instskip(NEXT) | instid1(VALU_DEP_1)
	v_mad_u64_u32 v[23:24], null, 0x4e441529, v10, v[13:14]
	v_mov_b32_e32 v13, v24
	s_delay_alu instid0(VALU_DEP_1) | instskip(SKIP_1) | instid1(VALU_DEP_1)
	v_mad_u64_u32 v[24:25], null, 0xa2f9836e, v10, v[13:14]
	v_cndmask_b32_e64 v10, 0, 0xffffffe0, s3
	v_dual_cndmask_b32 v13, v23, v21 :: v_dual_add_nc_u32 v10, v10, v26
	s_delay_alu instid0(VALU_DEP_3) | instskip(SKIP_1) | instid1(VALU_DEP_3)
	v_dual_cndmask_b32 v24, v24, v22 :: v_dual_cndmask_b32 v23, v25, v23
	v_cndmask_b32_e32 v22, v22, v20, vcc_lo
	v_cmp_eq_u32_e64 s4, 0, v10
	s_delay_alu instid0(VALU_DEP_3) | instskip(NEXT) | instid1(VALU_DEP_4)
	v_cndmask_b32_e64 v21, v24, v13, s2
	v_cndmask_b32_e64 v23, v23, v24, s2
	s_delay_alu instid0(VALU_DEP_4) | instskip(SKIP_2) | instid1(VALU_DEP_4)
	v_cndmask_b32_e64 v13, v13, v22, s2
	v_sub_nc_u32_e32 v24, 32, v10
	v_cndmask_b32_e64 v22, v22, v19, s2
	v_cndmask_b32_e64 v23, v23, v21, s3
	s_delay_alu instid0(VALU_DEP_4) | instskip(NEXT) | instid1(VALU_DEP_3)
	v_cndmask_b32_e64 v21, v21, v13, s3
	v_cndmask_b32_e64 v13, v13, v22, s3
	;; [unrolled: 1-line block ×3, first 2 shown]
	s_delay_alu instid0(VALU_DEP_3) | instskip(NEXT) | instid1(VALU_DEP_3)
	v_alignbit_b32 v25, v23, v21, v24
	v_alignbit_b32 v26, v21, v13, v24
	s_delay_alu instid0(VALU_DEP_3) | instskip(NEXT) | instid1(VALU_DEP_3)
	v_alignbit_b32 v24, v13, v18, v24
	v_cndmask_b32_e64 v10, v25, v23, s4
	s_delay_alu instid0(VALU_DEP_3) | instskip(NEXT) | instid1(VALU_DEP_3)
	v_cndmask_b32_e64 v20, v26, v21, s4
	v_cndmask_b32_e64 v13, v24, v13, s4
	s_delay_alu instid0(VALU_DEP_3) | instskip(NEXT) | instid1(VALU_DEP_3)
	v_bfe_u32 v21, v10, 29, 1
	v_alignbit_b32 v19, v10, v20, 30
	s_delay_alu instid0(VALU_DEP_3) | instskip(SKIP_1) | instid1(VALU_DEP_4)
	v_alignbit_b32 v20, v20, v13, 30
	v_alignbit_b32 v13, v13, v18, 30
	v_sub_nc_u32_e32 v23, 0, v21
	s_delay_alu instid0(VALU_DEP_1) | instskip(SKIP_3) | instid1(VALU_DEP_4)
	v_xor_b32_e32 v22, v19, v23
	v_cmp_ne_u32_e32 vcc_lo, v19, v23
	v_xor_b32_e32 v18, v20, v23
	v_xor_b32_e32 v13, v13, v23
	v_clz_i32_u32_e32 v25, v22
	s_delay_alu instid0(VALU_DEP_1) | instskip(NEXT) | instid1(VALU_DEP_1)
	v_add_nc_u32_e32 v24, 1, v25
	v_cndmask_b32_e32 v19, 33, v24, vcc_lo
	s_delay_alu instid0(VALU_DEP_1) | instskip(NEXT) | instid1(VALU_DEP_1)
	v_sub_nc_u32_e32 v20, 32, v19
	v_alignbit_b32 v22, v22, v18, v20
	v_alignbit_b32 v13, v18, v13, v20
	v_lshrrev_b32_e32 v18, 29, v10
	s_delay_alu instid0(VALU_DEP_2) | instskip(NEXT) | instid1(VALU_DEP_2)
	v_alignbit_b32 v20, v22, v13, 9
	v_lshlrev_b32_e32 v18, 31, v18
	v_alignbit_b32 v22, v19, v22, 9
	s_delay_alu instid0(VALU_DEP_3) | instskip(NEXT) | instid1(VALU_DEP_2)
	v_clz_i32_u32_e32 v23, v20
	v_or_b32_e32 v22, v22, v18
	v_or_b32_e32 v18, 0x33800000, v18
	s_delay_alu instid0(VALU_DEP_3) | instskip(NEXT) | instid1(VALU_DEP_3)
	v_min_u32_e32 v23, 32, v23
	v_xor_b32_e32 v22, 1.0, v22
	s_delay_alu instid0(VALU_DEP_2) | instskip(SKIP_1) | instid1(VALU_DEP_3)
	v_sub_nc_u32_e32 v24, 31, v23
	v_add_lshl_u32 v19, v23, v19, 23
	v_mul_f32_e32 v23, 0x3fc90fda, v22
	s_delay_alu instid0(VALU_DEP_3) | instskip(NEXT) | instid1(VALU_DEP_3)
	v_alignbit_b32 v13, v20, v13, v24
	v_sub_nc_u32_e32 v18, v18, v19
	s_delay_alu instid0(VALU_DEP_3) | instskip(NEXT) | instid1(VALU_DEP_3)
	v_fma_f32 v19, 0x3fc90fda, v22, -v23
	v_lshrrev_b32_e32 v13, 9, v13
	s_delay_alu instid0(VALU_DEP_2) | instskip(NEXT) | instid1(VALU_DEP_2)
	v_fmac_f32_e32 v19, 0x33a22168, v22
	v_or_b32_e32 v13, v18, v13
	s_delay_alu instid0(VALU_DEP_1) | instskip(SKIP_1) | instid1(VALU_DEP_1)
	v_fmac_f32_e32 v19, 0x3fc90fda, v13
	v_lshrrev_b32_e32 v13, 30, v10
	v_dual_add_f32 v10, v23, v19 :: v_dual_add_nc_u32 v13, v21, v13
	s_and_not1_saveexec_b32 s2, s29
	s_cbranch_execnz .LBB133_57
	s_branch .LBB133_58
.LBB133_56:                             ;   in Loop: Header=BB133_4 Depth=1
	s_and_not1_saveexec_b32 s2, s29
.LBB133_57:                             ;   in Loop: Header=BB133_4 Depth=1
	v_mul_f32_e64 v10, 0x3f22f983, |v12|
	s_delay_alu instid0(VALU_DEP_1) | instskip(NEXT) | instid1(VALU_DEP_1)
	v_rndne_f32_e32 v13, v10
	v_fma_f32 v10, 0xbfc90fda, v13, |v12|
	s_delay_alu instid0(VALU_DEP_1) | instskip(NEXT) | instid1(VALU_DEP_1)
	v_fmac_f32_e32 v10, 0xb3a22168, v13
	v_fmac_f32_e32 v10, 0xa7c234c4, v13
	v_cvt_i32_f32_e32 v13, v13
.LBB133_58:                             ;   in Loop: Header=BB133_4 Depth=1
	s_or_b32 exec_lo, exec_lo, s2
	s_delay_alu instid0(VALU_DEP_1) | instskip(SKIP_2) | instid1(VALU_DEP_3)
	v_dual_mul_f32 v18, 0x3fb8aa3b, v11 :: v_dual_mul_f32 v23, v10, v10
	v_dual_mul_f32 v19, v7, v7 :: v_dual_and_b32 v20, 1, v8
	v_lshlrev_b32_e32 v8, 30, v8
	v_rndne_f32_e32 v21, v18
	v_fma_f32 v22, 0x3fb8aa3b, v11, -v18
	s_delay_alu instid0(VALU_DEP_4) | instskip(SKIP_1) | instid1(VALU_DEP_3)
	v_dual_fmaak_f32 v25, s22, v19, 0x3c0881c4 :: v_dual_and_b32 v24, 1, v13
	v_fmaak_f32 v27, s22, v23, 0x3c0881c4
	v_dual_fmac_f32 v22, 0x32a5705f, v11 :: v_dual_lshlrev_b32 v13, 30, v13
	v_fmaak_f32 v26, s23, v19, 0xbab64f3b
	v_sub_f32_e32 v18, v18, v21
	v_fmaak_f32 v28, s23, v23, 0xbab64f3b
	v_cmp_eq_u32_e32 vcc_lo, 0, v20
	v_cvt_i32_f32_e32 v21, v21
	v_and_b32_e32 v8, 0x80000000, v8
	v_add_f32_e32 v18, v18, v22
	v_fmaak_f32 v22, v19, v25, 0xbe2aaa9d
	v_and_or_b32 v9, 0x80000000, v13, v9
	v_cmp_nlt_f32_e64 s2, 0x42b17218, v11
	s_delay_alu instid0(VALU_DEP_3) | instskip(NEXT) | instid1(VALU_DEP_1)
	v_mul_f32_e32 v22, v19, v22
	v_fmac_f32_e32 v7, v7, v22
	v_fmaak_f32 v25, v19, v26, 0x3d2aabf7
	v_fmaak_f32 v26, v23, v27, 0xbe2aaa9d
	;; [unrolled: 1-line block ×3, first 2 shown]
	v_exp_f32_e32 v18, v18
	s_delay_alu instid0(VALU_DEP_2) | instskip(NEXT) | instid1(VALU_DEP_1)
	v_mul_f32_e32 v26, v23, v26
	v_dual_fmaak_f32 v25, v19, v25, 0xbf000004 :: v_dual_fmac_f32 v10, v10, v26
	s_delay_alu instid0(VALU_DEP_1)
	v_fma_f32 v19, v19, v25, 1.0
	s_waitcnt_depctr 0xfff
	v_ldexp_f32 v18, v18, v21
	v_cndmask_b32_e64 v7, -v7, v19, vcc_lo
	v_cmp_eq_u32_e32 vcc_lo, 0, v24
	v_fmaak_f32 v27, v23, v27, 0xbf000004
	s_delay_alu instid0(VALU_DEP_3) | instskip(NEXT) | instid1(VALU_DEP_2)
	v_xor_b32_e32 v7, v8, v7
	v_fma_f32 v22, v23, v27, 1.0
	s_delay_alu instid0(VALU_DEP_1) | instskip(SKIP_1) | instid1(VALU_DEP_2)
	v_cndmask_b32_e32 v10, v22, v10, vcc_lo
	v_cmp_ngt_f32_e32 vcc_lo, 0xc2ce8ed0, v11
	v_xor3_b32 v8, v9, v10, v12
	v_cndmask_b32_e32 v13, 0, v18, vcc_lo
	v_cmp_class_f32_e64 vcc_lo, v12, 0x1f8
	s_delay_alu instid0(VALU_DEP_2) | instskip(SKIP_1) | instid1(VALU_DEP_1)
	v_cndmask_b32_e64 v9, 0x7f800000, v13, s2
	v_cndmask_b32_e32 v7, 0x7fc00000, v7, vcc_lo
	v_dual_cndmask_b32 v8, 0x7fc00000, v8 :: v_dual_mul_f32 v7, v9, v7
	s_delay_alu instid0(VALU_DEP_1)
	v_mul_f32_e32 v8, v9, v8
                                        ; implicit-def: $vgpr9_vgpr10_vgpr11_vgpr12
                                        ; implicit-def: $vgpr9
.LBB133_59:                             ;   in Loop: Header=BB133_4 Depth=1
	s_and_not1_saveexec_b32 s28, s28
	s_cbranch_execz .LBB133_69
; %bb.60:                               ;   in Loop: Header=BB133_4 Depth=1
	v_cmp_ngt_f32_e64 s29, 0x48000000, |v12|
                                        ; implicit-def: $vgpr8
                                        ; implicit-def: $vgpr7
	s_delay_alu instid0(VALU_DEP_1) | instskip(NEXT) | instid1(SALU_CYCLE_1)
	s_and_saveexec_b32 s2, s29
	s_xor_b32 s30, exec_lo, s2
	s_cbranch_execz .LBB133_62
; %bb.61:                               ;   in Loop: Header=BB133_4 Depth=1
	v_and_or_b32 v10, v9, s21, 0x800000
	s_delay_alu instid0(VALU_DEP_1) | instskip(NEXT) | instid1(VALU_DEP_1)
	v_mad_u64_u32 v[7:8], null, 0xfe5163ab, v10, 0
	v_mov_b32_e32 v13, v8
	v_lshrrev_b32_e32 v8, 23, v9
	s_delay_alu instid0(VALU_DEP_1) | instskip(NEXT) | instid1(VALU_DEP_3)
	v_add_nc_u32_e32 v8, 0xffffff88, v8
	v_mad_u64_u32 v[18:19], null, 0x3c439041, v10, v[13:14]
	s_delay_alu instid0(VALU_DEP_2) | instskip(SKIP_1) | instid1(VALU_DEP_1)
	v_cmp_lt_u32_e32 vcc_lo, 63, v8
	v_cndmask_b32_e64 v23, 0, 0xffffffc0, vcc_lo
	v_add_nc_u32_e32 v8, v23, v8
	s_delay_alu instid0(VALU_DEP_1) | instskip(NEXT) | instid1(VALU_DEP_1)
	v_cmp_lt_u32_e64 s2, 31, v8
	v_cndmask_b32_e64 v24, 0, 0xffffffe0, s2
	s_delay_alu instid0(VALU_DEP_1) | instskip(NEXT) | instid1(VALU_DEP_1)
	v_dual_mov_b32 v13, v19 :: v_dual_add_nc_u32 v8, v24, v8
	v_mad_u64_u32 v[19:20], null, 0xdb629599, v10, v[13:14]
	s_delay_alu instid0(VALU_DEP_2) | instskip(NEXT) | instid1(VALU_DEP_2)
	v_cmp_lt_u32_e64 s3, 31, v8
	v_mov_b32_e32 v13, v20
	s_delay_alu instid0(VALU_DEP_3) | instskip(NEXT) | instid1(VALU_DEP_2)
	v_cndmask_b32_e32 v7, v19, v7, vcc_lo
	v_mad_u64_u32 v[20:21], null, 0xf534ddc0, v10, v[13:14]
	s_delay_alu instid0(VALU_DEP_1) | instskip(NEXT) | instid1(VALU_DEP_1)
	v_mov_b32_e32 v13, v21
	v_mad_u64_u32 v[21:22], null, 0xfc2757d1, v10, v[13:14]
	s_delay_alu instid0(VALU_DEP_1) | instskip(NEXT) | instid1(VALU_DEP_1)
	v_mov_b32_e32 v13, v22
	;; [unrolled: 3-line block ×3, first 2 shown]
	v_mad_u64_u32 v[23:24], null, 0xa2f9836e, v10, v[13:14]
	v_cndmask_b32_e64 v10, 0, 0xffffffe0, s3
	s_delay_alu instid0(VALU_DEP_4) | instskip(NEXT) | instid1(VALU_DEP_2)
	v_cndmask_b32_e32 v13, v22, v20, vcc_lo
	v_dual_cndmask_b32 v23, v23, v21 :: v_dual_add_nc_u32 v8, v10, v8
	s_delay_alu instid0(VALU_DEP_4) | instskip(SKIP_1) | instid1(VALU_DEP_3)
	v_dual_cndmask_b32 v22, v24, v22 :: v_dual_cndmask_b32 v21, v21, v19
	v_cndmask_b32_e32 v10, v20, v18, vcc_lo
	v_cmp_eq_u32_e64 s4, 0, v8
	s_delay_alu instid0(VALU_DEP_4) | instskip(NEXT) | instid1(VALU_DEP_4)
	v_cndmask_b32_e64 v18, v23, v13, s2
	v_cndmask_b32_e64 v20, v22, v23, s2
	v_cndmask_b32_e64 v13, v13, v21, s2
	v_sub_nc_u32_e32 v22, 32, v8
	v_cndmask_b32_e64 v21, v21, v10, s2
	v_cndmask_b32_e64 v7, v10, v7, s2
	;; [unrolled: 1-line block ×4, first 2 shown]
	s_delay_alu instid0(VALU_DEP_4) | instskip(NEXT) | instid1(VALU_DEP_4)
	v_cndmask_b32_e64 v13, v13, v21, s3
	v_cndmask_b32_e64 v7, v21, v7, s3
	s_delay_alu instid0(VALU_DEP_3) | instskip(NEXT) | instid1(VALU_DEP_3)
	v_alignbit_b32 v23, v20, v18, v22
	v_alignbit_b32 v24, v18, v13, v22
	s_delay_alu instid0(VALU_DEP_3) | instskip(NEXT) | instid1(VALU_DEP_3)
	v_alignbit_b32 v22, v13, v7, v22
	v_cndmask_b32_e64 v8, v23, v20, s4
	s_delay_alu instid0(VALU_DEP_3) | instskip(NEXT) | instid1(VALU_DEP_3)
	v_cndmask_b32_e64 v18, v24, v18, s4
	v_cndmask_b32_e64 v13, v22, v13, s4
	s_delay_alu instid0(VALU_DEP_3) | instskip(NEXT) | instid1(VALU_DEP_3)
	v_bfe_u32 v19, v8, 29, 1
	v_alignbit_b32 v10, v8, v18, 30
	s_delay_alu instid0(VALU_DEP_3) | instskip(SKIP_1) | instid1(VALU_DEP_4)
	v_alignbit_b32 v18, v18, v13, 30
	v_alignbit_b32 v7, v13, v7, 30
	v_sub_nc_u32_e32 v20, 0, v19
	s_delay_alu instid0(VALU_DEP_1) | instskip(SKIP_3) | instid1(VALU_DEP_4)
	v_xor_b32_e32 v21, v10, v20
	v_cmp_ne_u32_e32 vcc_lo, v10, v20
	v_xor_b32_e32 v13, v18, v20
	v_xor_b32_e32 v7, v7, v20
	v_clz_i32_u32_e32 v23, v21
	s_delay_alu instid0(VALU_DEP_1) | instskip(NEXT) | instid1(VALU_DEP_1)
	v_add_nc_u32_e32 v22, 1, v23
	v_cndmask_b32_e32 v10, 33, v22, vcc_lo
	s_delay_alu instid0(VALU_DEP_1) | instskip(NEXT) | instid1(VALU_DEP_1)
	v_sub_nc_u32_e32 v18, 32, v10
	v_alignbit_b32 v20, v21, v13, v18
	v_alignbit_b32 v7, v13, v7, v18
	v_lshrrev_b32_e32 v13, 29, v8
	v_lshrrev_b32_e32 v8, 30, v8
	s_delay_alu instid0(VALU_DEP_3) | instskip(NEXT) | instid1(VALU_DEP_3)
	v_alignbit_b32 v18, v20, v7, 9
	v_lshlrev_b32_e32 v13, 31, v13
	v_alignbit_b32 v20, v10, v20, 9
	s_delay_alu instid0(VALU_DEP_4) | instskip(NEXT) | instid1(VALU_DEP_4)
	v_add_nc_u32_e32 v8, v19, v8
	v_clz_i32_u32_e32 v21, v18
	s_delay_alu instid0(VALU_DEP_3) | instskip(SKIP_1) | instid1(VALU_DEP_3)
	v_or_b32_e32 v20, v20, v13
	v_or_b32_e32 v13, 0x33800000, v13
	v_min_u32_e32 v21, 32, v21
	s_delay_alu instid0(VALU_DEP_3) | instskip(NEXT) | instid1(VALU_DEP_2)
	v_xor_b32_e32 v20, 1.0, v20
	v_sub_nc_u32_e32 v22, 31, v21
	v_add_lshl_u32 v10, v21, v10, 23
	s_delay_alu instid0(VALU_DEP_3) | instskip(NEXT) | instid1(VALU_DEP_3)
	v_mul_f32_e32 v21, 0x3fc90fda, v20
	v_alignbit_b32 v7, v18, v7, v22
	s_delay_alu instid0(VALU_DEP_3) | instskip(NEXT) | instid1(VALU_DEP_3)
	v_sub_nc_u32_e32 v10, v13, v10
	v_fma_f32 v13, 0x3fc90fda, v20, -v21
	s_delay_alu instid0(VALU_DEP_3) | instskip(NEXT) | instid1(VALU_DEP_2)
	v_lshrrev_b32_e32 v7, 9, v7
	v_fmac_f32_e32 v13, 0x33a22168, v20
	s_delay_alu instid0(VALU_DEP_2) | instskip(NEXT) | instid1(VALU_DEP_1)
	v_or_b32_e32 v7, v10, v7
	v_fmac_f32_e32 v13, 0x3fc90fda, v7
	s_delay_alu instid0(VALU_DEP_1)
	v_add_f32_e32 v7, v21, v13
	s_and_not1_saveexec_b32 s2, s30
	s_branch .LBB133_63
.LBB133_62:                             ;   in Loop: Header=BB133_4 Depth=1
	s_and_not1_saveexec_b32 s2, s30
.LBB133_63:                             ;   in Loop: Header=BB133_4 Depth=1
	v_mul_f32_e64 v7, 0x3f22f983, |v12|
	s_delay_alu instid0(VALU_DEP_1) | instskip(NEXT) | instid1(VALU_DEP_1)
	v_rndne_f32_e32 v8, v7
	v_fma_f32 v7, 0xbfc90fda, v8, |v12|
	s_delay_alu instid0(VALU_DEP_1) | instskip(NEXT) | instid1(VALU_DEP_1)
	v_fmac_f32_e32 v7, 0xb3a22168, v8
	v_fmac_f32_e32 v7, 0xa7c234c4, v8
	v_cvt_i32_f32_e32 v8, v8
; %bb.64:                               ;   in Loop: Header=BB133_4 Depth=1
	s_or_b32 exec_lo, exec_lo, s2
                                        ; implicit-def: $vgpr13
                                        ; implicit-def: $vgpr10
	s_and_saveexec_b32 s2, s29
	s_delay_alu instid0(SALU_CYCLE_1)
	s_xor_b32 s29, exec_lo, s2
	s_cbranch_execz .LBB133_66
; %bb.65:                               ;   in Loop: Header=BB133_4 Depth=1
	v_and_or_b32 v10, v9, s21, 0x800000
	v_lshrrev_b32_e32 v23, 23, v9
	s_delay_alu instid0(VALU_DEP_2) | instskip(NEXT) | instid1(VALU_DEP_2)
	v_mad_u64_u32 v[18:19], null, 0xfe5163ab, v10, 0
	v_add_nc_u32_e32 v24, 0xffffff88, v23
	s_delay_alu instid0(VALU_DEP_1) | instskip(NEXT) | instid1(VALU_DEP_3)
	v_cmp_lt_u32_e32 vcc_lo, 63, v24
	v_mov_b32_e32 v13, v19
	v_cndmask_b32_e64 v25, 0, 0xffffffc0, vcc_lo
	s_delay_alu instid0(VALU_DEP_2) | instskip(NEXT) | instid1(VALU_DEP_2)
	v_mad_u64_u32 v[19:20], null, 0x3c439041, v10, v[13:14]
	v_add_nc_u32_e32 v25, v25, v24
	s_delay_alu instid0(VALU_DEP_1) | instskip(NEXT) | instid1(VALU_DEP_1)
	v_cmp_lt_u32_e64 s2, 31, v25
	v_cndmask_b32_e64 v26, 0, 0xffffffe0, s2
	s_delay_alu instid0(VALU_DEP_1) | instskip(NEXT) | instid1(VALU_DEP_1)
	v_dual_mov_b32 v13, v20 :: v_dual_add_nc_u32 v26, v26, v25
	v_mad_u64_u32 v[20:21], null, 0xdb629599, v10, v[13:14]
	s_delay_alu instid0(VALU_DEP_2) | instskip(NEXT) | instid1(VALU_DEP_2)
	v_cmp_lt_u32_e64 s3, 31, v26
	v_dual_mov_b32 v13, v21 :: v_dual_cndmask_b32 v18, v20, v18
	s_delay_alu instid0(VALU_DEP_1) | instskip(NEXT) | instid1(VALU_DEP_1)
	v_mad_u64_u32 v[21:22], null, 0xf534ddc0, v10, v[13:14]
	v_mov_b32_e32 v13, v22
	s_delay_alu instid0(VALU_DEP_2) | instskip(NEXT) | instid1(VALU_DEP_2)
	v_cndmask_b32_e32 v19, v21, v19, vcc_lo
	v_mad_u64_u32 v[22:23], null, 0xfc2757d1, v10, v[13:14]
	s_delay_alu instid0(VALU_DEP_2) | instskip(NEXT) | instid1(VALU_DEP_2)
	v_cndmask_b32_e64 v18, v19, v18, s2
	v_mov_b32_e32 v13, v23
	s_delay_alu instid0(VALU_DEP_1) | instskip(NEXT) | instid1(VALU_DEP_1)
	v_mad_u64_u32 v[23:24], null, 0x4e441529, v10, v[13:14]
	v_mov_b32_e32 v13, v24
	s_delay_alu instid0(VALU_DEP_1) | instskip(SKIP_1) | instid1(VALU_DEP_1)
	v_mad_u64_u32 v[24:25], null, 0xa2f9836e, v10, v[13:14]
	v_cndmask_b32_e64 v10, 0, 0xffffffe0, s3
	v_dual_cndmask_b32 v13, v23, v21 :: v_dual_add_nc_u32 v10, v10, v26
	s_delay_alu instid0(VALU_DEP_3) | instskip(SKIP_1) | instid1(VALU_DEP_3)
	v_dual_cndmask_b32 v24, v24, v22 :: v_dual_cndmask_b32 v23, v25, v23
	v_cndmask_b32_e32 v22, v22, v20, vcc_lo
	v_cmp_eq_u32_e64 s4, 0, v10
	s_delay_alu instid0(VALU_DEP_3) | instskip(NEXT) | instid1(VALU_DEP_4)
	v_cndmask_b32_e64 v21, v24, v13, s2
	v_cndmask_b32_e64 v23, v23, v24, s2
	s_delay_alu instid0(VALU_DEP_4) | instskip(SKIP_2) | instid1(VALU_DEP_4)
	v_cndmask_b32_e64 v13, v13, v22, s2
	v_sub_nc_u32_e32 v24, 32, v10
	v_cndmask_b32_e64 v22, v22, v19, s2
	v_cndmask_b32_e64 v23, v23, v21, s3
	s_delay_alu instid0(VALU_DEP_4) | instskip(NEXT) | instid1(VALU_DEP_3)
	v_cndmask_b32_e64 v21, v21, v13, s3
	v_cndmask_b32_e64 v13, v13, v22, s3
	;; [unrolled: 1-line block ×3, first 2 shown]
	s_delay_alu instid0(VALU_DEP_3) | instskip(NEXT) | instid1(VALU_DEP_3)
	v_alignbit_b32 v25, v23, v21, v24
	v_alignbit_b32 v26, v21, v13, v24
	s_delay_alu instid0(VALU_DEP_3) | instskip(NEXT) | instid1(VALU_DEP_3)
	v_alignbit_b32 v24, v13, v18, v24
	v_cndmask_b32_e64 v10, v25, v23, s4
	s_delay_alu instid0(VALU_DEP_3) | instskip(NEXT) | instid1(VALU_DEP_3)
	v_cndmask_b32_e64 v20, v26, v21, s4
	v_cndmask_b32_e64 v13, v24, v13, s4
	s_delay_alu instid0(VALU_DEP_3) | instskip(NEXT) | instid1(VALU_DEP_3)
	v_bfe_u32 v21, v10, 29, 1
	v_alignbit_b32 v19, v10, v20, 30
	s_delay_alu instid0(VALU_DEP_3) | instskip(SKIP_1) | instid1(VALU_DEP_4)
	v_alignbit_b32 v20, v20, v13, 30
	v_alignbit_b32 v13, v13, v18, 30
	v_sub_nc_u32_e32 v23, 0, v21
	s_delay_alu instid0(VALU_DEP_1) | instskip(SKIP_3) | instid1(VALU_DEP_4)
	v_xor_b32_e32 v22, v19, v23
	v_cmp_ne_u32_e32 vcc_lo, v19, v23
	v_xor_b32_e32 v18, v20, v23
	v_xor_b32_e32 v13, v13, v23
	v_clz_i32_u32_e32 v25, v22
	s_delay_alu instid0(VALU_DEP_1) | instskip(NEXT) | instid1(VALU_DEP_1)
	v_add_nc_u32_e32 v24, 1, v25
	v_cndmask_b32_e32 v19, 33, v24, vcc_lo
	s_delay_alu instid0(VALU_DEP_1) | instskip(NEXT) | instid1(VALU_DEP_1)
	v_sub_nc_u32_e32 v20, 32, v19
	v_alignbit_b32 v22, v22, v18, v20
	v_alignbit_b32 v13, v18, v13, v20
	v_lshrrev_b32_e32 v18, 29, v10
	s_delay_alu instid0(VALU_DEP_2) | instskip(NEXT) | instid1(VALU_DEP_2)
	v_alignbit_b32 v20, v22, v13, 9
	v_lshlrev_b32_e32 v18, 31, v18
	v_alignbit_b32 v22, v19, v22, 9
	s_delay_alu instid0(VALU_DEP_3) | instskip(NEXT) | instid1(VALU_DEP_2)
	v_clz_i32_u32_e32 v23, v20
	v_or_b32_e32 v22, v22, v18
	v_or_b32_e32 v18, 0x33800000, v18
	s_delay_alu instid0(VALU_DEP_3) | instskip(NEXT) | instid1(VALU_DEP_3)
	v_min_u32_e32 v23, 32, v23
	v_xor_b32_e32 v22, 1.0, v22
	s_delay_alu instid0(VALU_DEP_2) | instskip(SKIP_1) | instid1(VALU_DEP_3)
	v_sub_nc_u32_e32 v24, 31, v23
	v_add_lshl_u32 v19, v23, v19, 23
	v_mul_f32_e32 v23, 0x3fc90fda, v22
	s_delay_alu instid0(VALU_DEP_3) | instskip(NEXT) | instid1(VALU_DEP_3)
	v_alignbit_b32 v13, v20, v13, v24
	v_sub_nc_u32_e32 v18, v18, v19
	s_delay_alu instid0(VALU_DEP_3) | instskip(NEXT) | instid1(VALU_DEP_3)
	v_fma_f32 v19, 0x3fc90fda, v22, -v23
	v_lshrrev_b32_e32 v13, 9, v13
	s_delay_alu instid0(VALU_DEP_2) | instskip(NEXT) | instid1(VALU_DEP_2)
	v_fmac_f32_e32 v19, 0x33a22168, v22
	v_or_b32_e32 v13, v18, v13
	s_delay_alu instid0(VALU_DEP_1) | instskip(SKIP_1) | instid1(VALU_DEP_1)
	v_fmac_f32_e32 v19, 0x3fc90fda, v13
	v_lshrrev_b32_e32 v13, 30, v10
	v_dual_add_f32 v10, v23, v19 :: v_dual_add_nc_u32 v13, v21, v13
	s_and_not1_saveexec_b32 s2, s29
	s_cbranch_execnz .LBB133_67
	s_branch .LBB133_68
.LBB133_66:                             ;   in Loop: Header=BB133_4 Depth=1
	s_and_not1_saveexec_b32 s2, s29
.LBB133_67:                             ;   in Loop: Header=BB133_4 Depth=1
	v_mul_f32_e64 v10, 0x3f22f983, |v12|
	s_delay_alu instid0(VALU_DEP_1) | instskip(NEXT) | instid1(VALU_DEP_1)
	v_rndne_f32_e32 v13, v10
	v_fma_f32 v10, 0xbfc90fda, v13, |v12|
	s_delay_alu instid0(VALU_DEP_1) | instskip(NEXT) | instid1(VALU_DEP_1)
	v_fmac_f32_e32 v10, 0xb3a22168, v13
	v_fmac_f32_e32 v10, 0xa7c234c4, v13
	v_cvt_i32_f32_e32 v13, v13
.LBB133_68:                             ;   in Loop: Header=BB133_4 Depth=1
	s_or_b32 exec_lo, exec_lo, s2
	v_add_f32_e32 v11, 0xc322e3bc, v11
	s_delay_alu instid0(VALU_DEP_2) | instskip(NEXT) | instid1(VALU_DEP_2)
	v_dual_mul_f32 v21, v7, v7 :: v_dual_mul_f32 v22, v10, v10
	v_mul_f32_e32 v18, 0x3fb8aa3b, v11
	s_delay_alu instid0(VALU_DEP_2) | instskip(NEXT) | instid1(VALU_DEP_3)
	v_fmaak_f32 v23, s23, v21, 0xbab64f3b
	v_dual_fmaak_f32 v24, s22, v21, 0x3c0881c4 :: v_dual_fmaak_f32 v25, s22, v22, 0x3c0881c4
	s_delay_alu instid0(VALU_DEP_3) | instskip(SKIP_1) | instid1(VALU_DEP_3)
	v_fma_f32 v19, 0x3fb8aa3b, v11, -v18
	v_rndne_f32_e32 v20, v18
	v_fmaak_f32 v25, v22, v25, 0xbe2aaa9d
	s_delay_alu instid0(VALU_DEP_2) | instskip(SKIP_1) | instid1(VALU_DEP_3)
	v_dual_sub_f32 v18, v18, v20 :: v_dual_fmac_f32 v19, 0x32a5705f, v11
	v_cmp_ngt_f32_e32 vcc_lo, 0xc2ce8ed0, v11
	v_mul_f32_e32 v25, v22, v25
	s_delay_alu instid0(VALU_DEP_3)
	v_add_f32_e32 v18, v18, v19
	v_cvt_i32_f32_e32 v19, v20
	v_lshlrev_b32_e32 v20, 30, v8
	v_and_b32_e32 v8, 1, v8
	v_fmac_f32_e32 v10, v10, v25
	v_exp_f32_e32 v18, v18
	s_waitcnt_depctr 0xfff
	v_ldexp_f32 v18, v18, v19
	v_and_b32_e32 v19, 1, v13
	s_delay_alu instid0(VALU_DEP_2) | instskip(SKIP_1) | instid1(VALU_DEP_2)
	v_dual_cndmask_b32 v18, 0, v18 :: v_dual_lshlrev_b32 v13, 30, v13
	v_cmp_nlt_f32_e32 vcc_lo, 0x42b17218, v11
	v_and_or_b32 v9, 0x80000000, v13, v9
	v_fmaak_f32 v13, v21, v23, 0x3d2aabf7
	v_fmaak_f32 v23, v21, v24, 0xbe2aaa9d
	v_and_b32_e32 v20, 0x80000000, v20
	v_cndmask_b32_e32 v11, 0x7f800000, v18, vcc_lo
	v_cmp_eq_u32_e32 vcc_lo, 0, v8
	s_delay_alu instid0(VALU_DEP_4) | instskip(NEXT) | instid1(VALU_DEP_3)
	v_dual_mul_f32 v23, v21, v23 :: v_dual_fmaak_f32 v18, s23, v22, 0xbab64f3b
	v_lshrrev_b32_e32 v24, 23, v11
	s_delay_alu instid0(VALU_DEP_2) | instskip(SKIP_1) | instid1(VALU_DEP_3)
	v_dual_fmac_f32 v7, v7, v23 :: v_dual_fmaak_f32 v18, v22, v18, 0x3d2aabf7
	v_fmaak_f32 v13, v21, v13, 0xbf000004
	v_subrev_nc_u32_e32 v24, 19, v24
	s_delay_alu instid0(VALU_DEP_3) | instskip(NEXT) | instid1(VALU_DEP_3)
	v_fmaak_f32 v18, v22, v18, 0xbf000004
	v_fma_f32 v13, v21, v13, 1.0
	s_delay_alu instid0(VALU_DEP_3) | instskip(NEXT) | instid1(VALU_DEP_3)
	v_lshrrev_b16 v21, 15, v24
	v_fma_f32 v18, v22, v18, 1.0
	s_delay_alu instid0(VALU_DEP_3) | instskip(SKIP_1) | instid1(VALU_DEP_4)
	v_cndmask_b32_e64 v7, -v7, v13, vcc_lo
	v_cmp_eq_u32_e32 vcc_lo, 0, v19
	v_add_nc_u16 v8, v24, v21
	s_delay_alu instid0(VALU_DEP_3) | instskip(SKIP_1) | instid1(VALU_DEP_3)
	v_xor_b32_e32 v7, v20, v7
	v_cndmask_b32_e32 v10, v18, v10, vcc_lo
	v_ashrrev_i16 v8, 1, v8
	v_cmp_class_f32_e64 vcc_lo, v12, 0x1f8
	s_delay_alu instid0(VALU_DEP_3) | instskip(SKIP_3) | instid1(VALU_DEP_4)
	v_xor3_b32 v9, v9, v10, v12
	v_and_or_b32 v10, 0x7fffff, v11, s24
	v_cndmask_b32_e32 v7, 0x7fc00000, v7, vcc_lo
	v_bfe_i32 v8, v8, 0, 16
	v_cndmask_b32_e32 v9, 0x7fc00000, v9, vcc_lo
	s_delay_alu instid0(VALU_DEP_3) | instskip(NEXT) | instid1(VALU_DEP_3)
	v_mul_f32_e32 v7, v7, v10
	v_lshl_add_u32 v11, v8, 23, 1.0
	v_sub_nc_u32_e32 v8, v24, v8
	s_delay_alu instid0(VALU_DEP_4) | instskip(NEXT) | instid1(VALU_DEP_3)
	v_mul_f32_e32 v9, v9, v10
	v_mul_f32_e32 v7, v7, v11
	s_delay_alu instid0(VALU_DEP_3) | instskip(NEXT) | instid1(VALU_DEP_3)
	v_lshl_add_u32 v8, v8, 23, 1.0
	v_mul_f32_e32 v9, v9, v11
	s_delay_alu instid0(VALU_DEP_2) | instskip(NEXT) | instid1(VALU_DEP_2)
	v_mul_f32_e32 v7, v7, v8
	v_mul_f32_e32 v8, v9, v8
.LBB133_69:                             ;   in Loop: Header=BB133_4 Depth=1
	s_or_b32 exec_lo, exec_lo, s28
                                        ; implicit-def: $vgpr9_vgpr10_vgpr11_vgpr12
                                        ; implicit-def: $vgpr10
.LBB133_70:                             ;   in Loop: Header=BB133_4 Depth=1
	s_and_not1_saveexec_b32 s2, s27
	s_cbranch_execz .LBB133_76
; %bb.71:                               ;   in Loop: Header=BB133_4 Depth=1
	v_sub_f32_e32 v8, v12, v12
	s_mov_b32 s3, exec_lo
	v_cmpx_ne_u32_e32 0x7f800000, v10
	s_xor_b32 s3, exec_lo, s3
; %bb.72:                               ;   in Loop: Header=BB133_4 Depth=1
                                        ; implicit-def: $vgpr9_vgpr10_vgpr11_vgpr12
; %bb.73:                               ;   in Loop: Header=BB133_4 Depth=1
	s_delay_alu instid0(SALU_CYCLE_1)
	s_or_saveexec_b32 s3, s3
	v_mov_b32_e32 v7, v8
	s_xor_b32 exec_lo, exec_lo, s3
; %bb.74:                               ;   in Loop: Header=BB133_4 Depth=1
	v_cmp_lt_i32_e32 vcc_lo, -1, v11
	v_dual_cndmask_b32 v7, 0, v11 :: v_dual_cndmask_b32 v8, 0, v8
; %bb.75:                               ;   in Loop: Header=BB133_4 Depth=1
	s_or_b32 exec_lo, exec_lo, s3
.LBB133_76:                             ;   in Loop: Header=BB133_4 Depth=1
	s_delay_alu instid0(SALU_CYCLE_1)
	s_or_b32 exec_lo, exec_lo, s2
                                        ; implicit-def: $vgpr9_vgpr10_vgpr11_vgpr12
                                        ; implicit-def: $vgpr9
.LBB133_77:                             ;   in Loop: Header=BB133_4 Depth=1
	s_and_not1_saveexec_b32 s26, s26
	s_cbranch_execz .LBB133_87
; %bb.78:                               ;   in Loop: Header=BB133_4 Depth=1
	v_lshrrev_b32_e32 v7, 23, v9
	v_cmp_ngt_f32_e64 s27, 0x48000000, |v12|
	v_and_or_b32 v10, v9, s21, 0x800000
                                        ; implicit-def: $vgpr8
	s_delay_alu instid0(VALU_DEP_3) | instskip(NEXT) | instid1(VALU_DEP_3)
	v_add_nc_u32_e32 v11, 0xffffff88, v7
                                        ; implicit-def: $vgpr7
	s_and_saveexec_b32 s2, s27
	s_delay_alu instid0(SALU_CYCLE_1)
	s_xor_b32 s28, exec_lo, s2
	s_cbranch_execz .LBB133_80
; %bb.79:                               ;   in Loop: Header=BB133_4 Depth=1
	v_mad_u64_u32 v[7:8], null, 0xfe5163ab, v10, 0
	v_cmp_lt_u32_e32 vcc_lo, 63, v11
	s_delay_alu instid0(VALU_DEP_2) | instskip(SKIP_1) | instid1(VALU_DEP_2)
	v_mov_b32_e32 v13, v8
	v_cndmask_b32_e64 v8, 0, 0xffffffc0, vcc_lo
	v_mad_u64_u32 v[18:19], null, 0x3c439041, v10, v[13:14]
	s_delay_alu instid0(VALU_DEP_2) | instskip(NEXT) | instid1(VALU_DEP_1)
	v_add_nc_u32_e32 v8, v8, v11
	v_cmp_lt_u32_e64 s2, 31, v8
	s_delay_alu instid0(VALU_DEP_3) | instskip(NEXT) | instid1(VALU_DEP_2)
	v_mov_b32_e32 v13, v19
	v_cndmask_b32_e64 v24, 0, 0xffffffe0, s2
	s_delay_alu instid0(VALU_DEP_2) | instskip(NEXT) | instid1(VALU_DEP_2)
	v_mad_u64_u32 v[19:20], null, 0xdb629599, v10, v[13:14]
	v_add_nc_u32_e32 v8, v24, v8
	s_delay_alu instid0(VALU_DEP_2) | instskip(NEXT) | instid1(VALU_DEP_3)
	v_mov_b32_e32 v13, v20
	v_cndmask_b32_e32 v7, v19, v7, vcc_lo
	s_delay_alu instid0(VALU_DEP_3) | instskip(NEXT) | instid1(VALU_DEP_3)
	v_cmp_lt_u32_e64 s3, 31, v8
	v_mad_u64_u32 v[20:21], null, 0xf534ddc0, v10, v[13:14]
	s_delay_alu instid0(VALU_DEP_1) | instskip(NEXT) | instid1(VALU_DEP_1)
	v_mov_b32_e32 v13, v21
	v_mad_u64_u32 v[21:22], null, 0xfc2757d1, v10, v[13:14]
	s_delay_alu instid0(VALU_DEP_1) | instskip(NEXT) | instid1(VALU_DEP_1)
	v_mov_b32_e32 v13, v22
	v_mad_u64_u32 v[22:23], null, 0x4e441529, v10, v[13:14]
	s_delay_alu instid0(VALU_DEP_1) | instskip(NEXT) | instid1(VALU_DEP_2)
	v_mov_b32_e32 v13, v23
	v_cndmask_b32_e32 v25, v22, v20, vcc_lo
	s_delay_alu instid0(VALU_DEP_2) | instskip(SKIP_1) | instid1(VALU_DEP_1)
	v_mad_u64_u32 v[23:24], null, 0xa2f9836e, v10, v[13:14]
	v_cndmask_b32_e64 v13, 0, 0xffffffe0, s3
	v_dual_cndmask_b32 v23, v23, v21 :: v_dual_add_nc_u32 v8, v13, v8
	s_delay_alu instid0(VALU_DEP_3) | instskip(SKIP_1) | instid1(VALU_DEP_3)
	v_dual_cndmask_b32 v22, v24, v22 :: v_dual_cndmask_b32 v21, v21, v19
	v_cndmask_b32_e32 v13, v20, v18, vcc_lo
	v_cmp_eq_u32_e64 s4, 0, v8
	s_delay_alu instid0(VALU_DEP_4) | instskip(NEXT) | instid1(VALU_DEP_4)
	v_cndmask_b32_e64 v18, v23, v25, s2
	v_cndmask_b32_e64 v20, v22, v23, s2
	;; [unrolled: 1-line block ×3, first 2 shown]
	v_sub_nc_u32_e32 v23, 32, v8
	v_cndmask_b32_e64 v21, v21, v13, s2
	v_cndmask_b32_e64 v7, v13, v7, s2
	;; [unrolled: 1-line block ×4, first 2 shown]
	s_delay_alu instid0(VALU_DEP_4) | instskip(NEXT) | instid1(VALU_DEP_4)
	v_cndmask_b32_e64 v22, v22, v21, s3
	v_cndmask_b32_e64 v7, v21, v7, s3
	s_delay_alu instid0(VALU_DEP_3) | instskip(NEXT) | instid1(VALU_DEP_3)
	v_alignbit_b32 v24, v20, v18, v23
	v_alignbit_b32 v25, v18, v22, v23
	s_delay_alu instid0(VALU_DEP_3) | instskip(NEXT) | instid1(VALU_DEP_3)
	v_alignbit_b32 v23, v22, v7, v23
	v_cndmask_b32_e64 v8, v24, v20, s4
	s_delay_alu instid0(VALU_DEP_3) | instskip(NEXT) | instid1(VALU_DEP_3)
	v_cndmask_b32_e64 v18, v25, v18, s4
	v_cndmask_b32_e64 v22, v23, v22, s4
	s_delay_alu instid0(VALU_DEP_3) | instskip(NEXT) | instid1(VALU_DEP_3)
	v_bfe_u32 v19, v8, 29, 1
	v_alignbit_b32 v13, v8, v18, 30
	s_delay_alu instid0(VALU_DEP_3) | instskip(SKIP_1) | instid1(VALU_DEP_4)
	v_alignbit_b32 v18, v18, v22, 30
	v_alignbit_b32 v7, v22, v7, 30
	v_sub_nc_u32_e32 v20, 0, v19
	s_delay_alu instid0(VALU_DEP_1) | instskip(SKIP_3) | instid1(VALU_DEP_4)
	v_xor_b32_e32 v21, v13, v20
	v_cmp_ne_u32_e32 vcc_lo, v13, v20
	v_xor_b32_e32 v18, v18, v20
	v_xor_b32_e32 v7, v7, v20
	v_clz_i32_u32_e32 v24, v21
	s_delay_alu instid0(VALU_DEP_1) | instskip(NEXT) | instid1(VALU_DEP_1)
	v_add_nc_u32_e32 v23, 1, v24
	v_cndmask_b32_e32 v13, 33, v23, vcc_lo
	s_delay_alu instid0(VALU_DEP_1) | instskip(NEXT) | instid1(VALU_DEP_1)
	v_sub_nc_u32_e32 v22, 32, v13
	v_alignbit_b32 v20, v21, v18, v22
	v_alignbit_b32 v7, v18, v7, v22
	v_lshrrev_b32_e32 v18, 29, v8
	v_lshrrev_b32_e32 v8, 30, v8
	s_delay_alu instid0(VALU_DEP_3) | instskip(NEXT) | instid1(VALU_DEP_3)
	v_alignbit_b32 v21, v20, v7, 9
	v_lshlrev_b32_e32 v18, 31, v18
	s_delay_alu instid0(VALU_DEP_3) | instskip(SKIP_1) | instid1(VALU_DEP_4)
	v_add_nc_u32_e32 v8, v19, v8
	v_alignbit_b32 v20, v13, v20, 9
	v_clz_i32_u32_e32 v22, v21
	s_delay_alu instid0(VALU_DEP_2) | instskip(SKIP_1) | instid1(VALU_DEP_3)
	v_or_b32_e32 v20, v20, v18
	v_or_b32_e32 v18, 0x33800000, v18
	v_min_u32_e32 v22, 32, v22
	s_delay_alu instid0(VALU_DEP_3) | instskip(NEXT) | instid1(VALU_DEP_2)
	v_xor_b32_e32 v20, 1.0, v20
	v_sub_nc_u32_e32 v23, 31, v22
	v_add_lshl_u32 v13, v22, v13, 23
	s_delay_alu instid0(VALU_DEP_3) | instskip(NEXT) | instid1(VALU_DEP_3)
	v_mul_f32_e32 v22, 0x3fc90fda, v20
	v_alignbit_b32 v7, v21, v7, v23
	s_delay_alu instid0(VALU_DEP_3) | instskip(NEXT) | instid1(VALU_DEP_3)
	v_sub_nc_u32_e32 v13, v18, v13
	v_fma_f32 v18, 0x3fc90fda, v20, -v22
	s_delay_alu instid0(VALU_DEP_3) | instskip(NEXT) | instid1(VALU_DEP_2)
	v_lshrrev_b32_e32 v7, 9, v7
	v_fmac_f32_e32 v18, 0x33a22168, v20
	s_delay_alu instid0(VALU_DEP_2) | instskip(NEXT) | instid1(VALU_DEP_1)
	v_or_b32_e32 v7, v13, v7
	v_fmac_f32_e32 v18, 0x3fc90fda, v7
	s_delay_alu instid0(VALU_DEP_1)
	v_add_f32_e32 v7, v22, v18
.LBB133_80:                             ;   in Loop: Header=BB133_4 Depth=1
	s_or_saveexec_b32 s2, s28
	v_mul_f32_e64 v13, 0x3f22f983, |v12|
	s_delay_alu instid0(VALU_DEP_1)
	v_rndne_f32_e32 v19, v13
	s_xor_b32 exec_lo, exec_lo, s2
; %bb.81:                               ;   in Loop: Header=BB133_4 Depth=1
	s_delay_alu instid0(VALU_DEP_1) | instskip(SKIP_1) | instid1(VALU_DEP_2)
	v_fma_f32 v7, 0xbfc90fda, v19, |v12|
	v_cvt_i32_f32_e32 v8, v19
	v_fmac_f32_e32 v7, 0xb3a22168, v19
	s_delay_alu instid0(VALU_DEP_1)
	v_fmac_f32_e32 v7, 0xa7c234c4, v19
; %bb.82:                               ;   in Loop: Header=BB133_4 Depth=1
	s_or_b32 exec_lo, exec_lo, s2
                                        ; implicit-def: $vgpr18
                                        ; implicit-def: $vgpr13
	s_and_saveexec_b32 s2, s27
	s_delay_alu instid0(SALU_CYCLE_1)
	s_xor_b32 s27, exec_lo, s2
	s_cbranch_execz .LBB133_84
; %bb.83:                               ;   in Loop: Header=BB133_4 Depth=1
	v_mad_u64_u32 v[18:19], null, 0xfe5163ab, v10, 0
	v_cmp_lt_u32_e32 vcc_lo, 63, v11
	v_cndmask_b32_e64 v24, 0, 0xffffffc0, vcc_lo
	s_delay_alu instid0(VALU_DEP_3) | instskip(NEXT) | instid1(VALU_DEP_2)
	v_mov_b32_e32 v13, v19
	v_add_nc_u32_e32 v11, v24, v11
	s_delay_alu instid0(VALU_DEP_2) | instskip(NEXT) | instid1(VALU_DEP_2)
	v_mad_u64_u32 v[19:20], null, 0x3c439041, v10, v[13:14]
	v_cmp_lt_u32_e64 s2, 31, v11
	s_delay_alu instid0(VALU_DEP_2) | instskip(NEXT) | instid1(VALU_DEP_2)
	v_mov_b32_e32 v13, v20
	v_cndmask_b32_e64 v25, 0, 0xffffffe0, s2
	s_delay_alu instid0(VALU_DEP_2) | instskip(NEXT) | instid1(VALU_DEP_2)
	v_mad_u64_u32 v[20:21], null, 0xdb629599, v10, v[13:14]
	v_add_nc_u32_e32 v11, v25, v11
	s_delay_alu instid0(VALU_DEP_1) | instskip(NEXT) | instid1(VALU_DEP_3)
	v_cmp_lt_u32_e64 s3, 31, v11
	v_dual_mov_b32 v13, v21 :: v_dual_cndmask_b32 v18, v20, v18
	s_delay_alu instid0(VALU_DEP_1) | instskip(NEXT) | instid1(VALU_DEP_1)
	v_mad_u64_u32 v[21:22], null, 0xf534ddc0, v10, v[13:14]
	v_mov_b32_e32 v13, v22
	s_delay_alu instid0(VALU_DEP_1) | instskip(NEXT) | instid1(VALU_DEP_1)
	v_mad_u64_u32 v[22:23], null, 0xfc2757d1, v10, v[13:14]
	v_mov_b32_e32 v13, v23
	;; [unrolled: 3-line block ×3, first 2 shown]
	s_delay_alu instid0(VALU_DEP_1) | instskip(SKIP_1) | instid1(VALU_DEP_1)
	v_mad_u64_u32 v[24:25], null, 0xa2f9836e, v10, v[13:14]
	v_cndmask_b32_e64 v10, 0, 0xffffffe0, s3
	v_dual_cndmask_b32 v13, v23, v21 :: v_dual_add_nc_u32 v10, v10, v11
	s_delay_alu instid0(VALU_DEP_3) | instskip(SKIP_1) | instid1(VALU_DEP_3)
	v_dual_cndmask_b32 v24, v24, v22 :: v_dual_cndmask_b32 v23, v25, v23
	v_dual_cndmask_b32 v22, v22, v20 :: v_dual_cndmask_b32 v11, v21, v19
	v_cmp_eq_u32_e64 s4, 0, v10
	s_delay_alu instid0(VALU_DEP_3) | instskip(NEXT) | instid1(VALU_DEP_4)
	v_cndmask_b32_e64 v19, v24, v13, s2
	v_cndmask_b32_e64 v21, v23, v24, s2
	s_delay_alu instid0(VALU_DEP_4)
	v_cndmask_b32_e64 v13, v13, v22, s2
	v_sub_nc_u32_e32 v23, 32, v10
	v_cndmask_b32_e64 v22, v22, v11, s2
	v_cndmask_b32_e64 v11, v11, v18, s2
	;; [unrolled: 1-line block ×4, first 2 shown]
	s_delay_alu instid0(VALU_DEP_4) | instskip(NEXT) | instid1(VALU_DEP_4)
	v_cndmask_b32_e64 v13, v13, v22, s3
	v_cndmask_b32_e64 v11, v22, v11, s3
	s_delay_alu instid0(VALU_DEP_3) | instskip(NEXT) | instid1(VALU_DEP_3)
	v_alignbit_b32 v24, v21, v19, v23
	v_alignbit_b32 v25, v19, v13, v23
	s_delay_alu instid0(VALU_DEP_3) | instskip(NEXT) | instid1(VALU_DEP_3)
	v_alignbit_b32 v23, v13, v11, v23
	v_cndmask_b32_e64 v10, v24, v21, s4
	s_delay_alu instid0(VALU_DEP_3) | instskip(NEXT) | instid1(VALU_DEP_3)
	v_cndmask_b32_e64 v19, v25, v19, s4
	v_cndmask_b32_e64 v13, v23, v13, s4
	s_delay_alu instid0(VALU_DEP_3) | instskip(NEXT) | instid1(VALU_DEP_3)
	v_bfe_u32 v20, v10, 29, 1
	v_alignbit_b32 v18, v10, v19, 30
	s_delay_alu instid0(VALU_DEP_3) | instskip(SKIP_1) | instid1(VALU_DEP_4)
	v_alignbit_b32 v19, v19, v13, 30
	v_alignbit_b32 v11, v13, v11, 30
	v_sub_nc_u32_e32 v21, 0, v20
	s_delay_alu instid0(VALU_DEP_1) | instskip(SKIP_3) | instid1(VALU_DEP_4)
	v_xor_b32_e32 v22, v18, v21
	v_cmp_ne_u32_e32 vcc_lo, v18, v21
	v_xor_b32_e32 v13, v19, v21
	v_xor_b32_e32 v11, v11, v21
	v_clz_i32_u32_e32 v24, v22
	s_delay_alu instid0(VALU_DEP_1) | instskip(NEXT) | instid1(VALU_DEP_1)
	v_add_nc_u32_e32 v23, 1, v24
	v_cndmask_b32_e32 v18, 33, v23, vcc_lo
	s_delay_alu instid0(VALU_DEP_1) | instskip(NEXT) | instid1(VALU_DEP_1)
	v_sub_nc_u32_e32 v19, 32, v18
	v_alignbit_b32 v21, v22, v13, v19
	v_alignbit_b32 v11, v13, v11, v19
	v_lshrrev_b32_e32 v13, 29, v10
	v_lshrrev_b32_e32 v10, 30, v10
	s_delay_alu instid0(VALU_DEP_3) | instskip(NEXT) | instid1(VALU_DEP_3)
	v_alignbit_b32 v19, v21, v11, 9
	v_lshlrev_b32_e32 v13, 31, v13
	v_alignbit_b32 v21, v18, v21, 9
	s_delay_alu instid0(VALU_DEP_3) | instskip(NEXT) | instid1(VALU_DEP_2)
	v_clz_i32_u32_e32 v22, v19
	v_or_b32_e32 v21, v21, v13
	v_or_b32_e32 v13, 0x33800000, v13
	s_delay_alu instid0(VALU_DEP_3) | instskip(NEXT) | instid1(VALU_DEP_3)
	v_min_u32_e32 v22, 32, v22
	v_xor_b32_e32 v21, 1.0, v21
	s_delay_alu instid0(VALU_DEP_2) | instskip(SKIP_1) | instid1(VALU_DEP_3)
	v_sub_nc_u32_e32 v23, 31, v22
	v_add_lshl_u32 v18, v22, v18, 23
	v_mul_f32_e32 v22, 0x3fc90fda, v21
	s_delay_alu instid0(VALU_DEP_3) | instskip(NEXT) | instid1(VALU_DEP_3)
	v_alignbit_b32 v11, v19, v11, v23
	v_sub_nc_u32_e32 v13, v13, v18
	s_delay_alu instid0(VALU_DEP_3) | instskip(NEXT) | instid1(VALU_DEP_3)
	v_fma_f32 v18, 0x3fc90fda, v21, -v22
                                        ; implicit-def: $vgpr19
	v_lshrrev_b32_e32 v11, 9, v11
	s_delay_alu instid0(VALU_DEP_2) | instskip(NEXT) | instid1(VALU_DEP_2)
	v_fmac_f32_e32 v18, 0x33a22168, v21
	v_or_b32_e32 v11, v13, v11
	s_delay_alu instid0(VALU_DEP_1) | instskip(NEXT) | instid1(VALU_DEP_1)
	v_fmac_f32_e32 v18, 0x3fc90fda, v11
	v_add_f32_e32 v13, v22, v18
	v_add_nc_u32_e32 v18, v20, v10
	s_and_not1_saveexec_b32 s2, s27
	s_cbranch_execnz .LBB133_85
	s_branch .LBB133_86
.LBB133_84:                             ;   in Loop: Header=BB133_4 Depth=1
	s_and_not1_saveexec_b32 s2, s27
.LBB133_85:                             ;   in Loop: Header=BB133_4 Depth=1
	v_fma_f32 v13, 0xbfc90fda, v19, |v12|
	v_cvt_i32_f32_e32 v18, v19
	s_delay_alu instid0(VALU_DEP_2) | instskip(NEXT) | instid1(VALU_DEP_1)
	v_fmac_f32_e32 v13, 0xb3a22168, v19
	v_fmac_f32_e32 v13, 0xa7c234c4, v19
.LBB133_86:                             ;   in Loop: Header=BB133_4 Depth=1
	s_or_b32 exec_lo, exec_lo, s2
	s_delay_alu instid0(VALU_DEP_1) | instskip(SKIP_3) | instid1(VALU_DEP_4)
	v_dual_mul_f32 v10, v7, v7 :: v_dual_mul_f32 v11, v13, v13
	v_and_b32_e32 v19, 1, v8
	v_lshlrev_b32_e32 v8, 30, v8
	v_and_b32_e32 v24, 1, v18
	v_fmaak_f32 v21, s23, v10, 0xbab64f3b
	v_fmaak_f32 v20, s22, v10, 0x3c0881c4
	;; [unrolled: 1-line block ×3, first 2 shown]
	v_cmp_eq_u32_e32 vcc_lo, 0, v19
	v_and_b32_e32 v8, 0x80000000, v8
	v_dual_fmaak_f32 v21, v10, v21, 0x3d2aabf7 :: v_dual_lshlrev_b32 v18, 30, v18
	v_fmaak_f32 v20, v10, v20, 0xbe2aaa9d
	v_fmaak_f32 v23, v11, v23, 0x3d2aabf7
	s_delay_alu instid0(VALU_DEP_3) | instskip(NEXT) | instid1(VALU_DEP_3)
	v_and_or_b32 v9, 0x80000000, v18, v9
	v_mul_f32_e32 v20, v10, v20
	v_fmaak_f32 v22, s22, v11, 0x3c0881c4
	s_delay_alu instid0(VALU_DEP_4) | instskip(NEXT) | instid1(VALU_DEP_3)
	v_fmaak_f32 v23, v11, v23, 0xbf000004
	v_fmac_f32_e32 v7, v7, v20
	s_delay_alu instid0(VALU_DEP_3) | instskip(NEXT) | instid1(VALU_DEP_1)
	v_fmaak_f32 v22, v11, v22, 0xbe2aaa9d
	v_dual_fmaak_f32 v21, v10, v21, 0xbf000004 :: v_dual_mul_f32 v22, v11, v22
	s_delay_alu instid0(VALU_DEP_1) | instskip(SKIP_1) | instid1(VALU_DEP_3)
	v_fma_f32 v10, v10, v21, 1.0
	v_fma_f32 v11, v11, v23, 1.0
	v_fmac_f32_e32 v13, v13, v22
	s_delay_alu instid0(VALU_DEP_3) | instskip(SKIP_1) | instid1(VALU_DEP_2)
	v_cndmask_b32_e64 v7, -v7, v10, vcc_lo
	v_cmp_eq_u32_e32 vcc_lo, 0, v24
	v_xor_b32_e32 v7, v8, v7
	s_delay_alu instid0(VALU_DEP_4) | instskip(SKIP_1) | instid1(VALU_DEP_2)
	v_cndmask_b32_e32 v10, v11, v13, vcc_lo
	v_cmp_class_f32_e64 vcc_lo, v12, 0x1f8
	v_xor3_b32 v8, v9, v10, v12
	s_delay_alu instid0(VALU_DEP_4) | instskip(NEXT) | instid1(VALU_DEP_2)
	v_cndmask_b32_e32 v7, 0x7fc00000, v7, vcc_lo
	v_cndmask_b32_e32 v8, 0x7fc00000, v8, vcc_lo
.LBB133_87:                             ;   in Loop: Header=BB133_4 Depth=1
	s_or_b32 exec_lo, exec_lo, s26
                                        ; implicit-def: $vgpr9_vgpr10_vgpr11_vgpr12
.LBB133_88:                             ;   in Loop: Header=BB133_4 Depth=1
	s_and_not1_saveexec_b32 s2, s25
	s_cbranch_execz .LBB133_90
; %bb.89:                               ;   in Loop: Header=BB133_4 Depth=1
	v_mul_f32_e32 v7, 0x3fb8aa3b, v11
	v_cmp_ngt_f32_e32 vcc_lo, 0xc2ce8ed0, v11
	s_delay_alu instid0(VALU_DEP_2) | instskip(SKIP_1) | instid1(VALU_DEP_2)
	v_rndne_f32_e32 v8, v7
	v_fma_f32 v9, 0x3fb8aa3b, v11, -v7
	v_sub_f32_e32 v7, v7, v8
	s_delay_alu instid0(VALU_DEP_2) | instskip(SKIP_1) | instid1(VALU_DEP_2)
	v_fmac_f32_e32 v9, 0x32a5705f, v11
	v_cvt_i32_f32_e32 v8, v8
	v_add_f32_e32 v7, v7, v9
	s_delay_alu instid0(VALU_DEP_1) | instskip(SKIP_2) | instid1(VALU_DEP_1)
	v_exp_f32_e32 v7, v7
	s_waitcnt_depctr 0xfff
	v_ldexp_f32 v7, v7, v8
	v_dual_mov_b32 v8, v12 :: v_dual_cndmask_b32 v7, 0, v7
	v_cmp_nlt_f32_e32 vcc_lo, 0x42b17218, v11
	s_delay_alu instid0(VALU_DEP_2)
	v_cndmask_b32_e32 v7, 0x7f800000, v7, vcc_lo
.LBB133_90:                             ;   in Loop: Header=BB133_4 Depth=1
	s_or_b32 exec_lo, exec_lo, s2
	s_waitcnt vmcnt(0)
	v_and_b32_e32 v11, 0x7fffffff, v2
                                        ; implicit-def: $vgpr10
	s_mov_b32 s2, exec_lo
	s_delay_alu instid0(VALU_DEP_1)
	v_cmpx_ne_u32_e32 0, v11
	s_xor_b32 s25, exec_lo, s2
	s_cbranch_execz .LBB133_130
; %bb.91:                               ;   in Loop: Header=BB133_4 Depth=1
	v_and_b32_e32 v12, 0x7fffffff, v1
                                        ; implicit-def: $vgpr10
	s_mov_b32 s2, exec_lo
	s_delay_alu instid0(VALU_DEP_1)
	v_cmpx_ne_u32_e32 0, v12
	s_xor_b32 s26, exec_lo, s2
	s_cbranch_execz .LBB133_119
; %bb.92:                               ;   in Loop: Header=BB133_4 Depth=1
                                        ; implicit-def: $vgpr10
	s_mov_b32 s2, exec_lo
	v_cmpx_gt_u32_e32 0x7f800000, v11
	s_xor_b32 s27, exec_lo, s2
	s_cbranch_execz .LBB133_114
; %bb.93:                               ;   in Loop: Header=BB133_4 Depth=1
	v_add_nc_u32_e32 v9, 0xbd4e8de8, v1
                                        ; implicit-def: $vgpr10
	s_mov_b32 s2, exec_lo
	s_delay_alu instid0(VALU_DEP_1)
	v_cmpx_lt_u32_e32 0x8e8e5c, v9
	s_xor_b32 s28, exec_lo, s2
	s_cbranch_execz .LBB133_103
; %bb.94:                               ;   in Loop: Header=BB133_4 Depth=1
	v_cmp_ngt_f32_e64 s29, 0x48000000, |v2|
                                        ; implicit-def: $vgpr10
                                        ; implicit-def: $vgpr9
	s_delay_alu instid0(VALU_DEP_1) | instskip(NEXT) | instid1(SALU_CYCLE_1)
	s_and_saveexec_b32 s2, s29
	s_xor_b32 s30, exec_lo, s2
	s_cbranch_execz .LBB133_96
; %bb.95:                               ;   in Loop: Header=BB133_4 Depth=1
	v_and_or_b32 v12, v11, s21, 0x800000
	s_delay_alu instid0(VALU_DEP_1) | instskip(NEXT) | instid1(VALU_DEP_1)
	v_mad_u64_u32 v[9:10], null, 0xfe5163ab, v12, 0
	v_mov_b32_e32 v13, v10
	v_lshrrev_b32_e32 v10, 23, v11
	s_delay_alu instid0(VALU_DEP_1) | instskip(NEXT) | instid1(VALU_DEP_3)
	v_add_nc_u32_e32 v10, 0xffffff88, v10
	v_mad_u64_u32 v[18:19], null, 0x3c439041, v12, v[13:14]
	s_delay_alu instid0(VALU_DEP_2) | instskip(SKIP_1) | instid1(VALU_DEP_1)
	v_cmp_lt_u32_e32 vcc_lo, 63, v10
	v_cndmask_b32_e64 v23, 0, 0xffffffc0, vcc_lo
	v_add_nc_u32_e32 v10, v23, v10
	s_delay_alu instid0(VALU_DEP_1) | instskip(NEXT) | instid1(VALU_DEP_1)
	v_cmp_lt_u32_e64 s2, 31, v10
	v_cndmask_b32_e64 v24, 0, 0xffffffe0, s2
	s_delay_alu instid0(VALU_DEP_1) | instskip(NEXT) | instid1(VALU_DEP_1)
	v_dual_mov_b32 v13, v19 :: v_dual_add_nc_u32 v10, v24, v10
	v_mad_u64_u32 v[19:20], null, 0xdb629599, v12, v[13:14]
	s_delay_alu instid0(VALU_DEP_2) | instskip(NEXT) | instid1(VALU_DEP_2)
	v_cmp_lt_u32_e64 s3, 31, v10
	v_mov_b32_e32 v13, v20
	s_delay_alu instid0(VALU_DEP_3) | instskip(NEXT) | instid1(VALU_DEP_2)
	v_cndmask_b32_e32 v9, v19, v9, vcc_lo
	v_mad_u64_u32 v[20:21], null, 0xf534ddc0, v12, v[13:14]
	s_delay_alu instid0(VALU_DEP_1) | instskip(NEXT) | instid1(VALU_DEP_1)
	v_mov_b32_e32 v13, v21
	v_mad_u64_u32 v[21:22], null, 0xfc2757d1, v12, v[13:14]
	s_delay_alu instid0(VALU_DEP_1) | instskip(NEXT) | instid1(VALU_DEP_1)
	v_mov_b32_e32 v13, v22
	;; [unrolled: 3-line block ×3, first 2 shown]
	v_mad_u64_u32 v[23:24], null, 0xa2f9836e, v12, v[13:14]
	v_cndmask_b32_e64 v12, 0, 0xffffffe0, s3
	s_delay_alu instid0(VALU_DEP_1) | instskip(NEXT) | instid1(VALU_DEP_3)
	v_dual_cndmask_b32 v13, v22, v20 :: v_dual_add_nc_u32 v10, v12, v10
	v_dual_cndmask_b32 v12, v20, v18 :: v_dual_cndmask_b32 v23, v23, v21
	s_delay_alu instid0(VALU_DEP_4) | instskip(NEXT) | instid1(VALU_DEP_3)
	v_dual_cndmask_b32 v22, v24, v22 :: v_dual_cndmask_b32 v21, v21, v19
	v_cmp_eq_u32_e64 s4, 0, v10
	s_delay_alu instid0(VALU_DEP_3) | instskip(NEXT) | instid1(VALU_DEP_4)
	v_cndmask_b32_e64 v9, v12, v9, s2
	v_cndmask_b32_e64 v18, v23, v13, s2
	s_delay_alu instid0(VALU_DEP_4) | instskip(SKIP_3) | instid1(VALU_DEP_4)
	v_cndmask_b32_e64 v20, v22, v23, s2
	v_cndmask_b32_e64 v13, v13, v21, s2
	v_sub_nc_u32_e32 v22, 32, v10
	v_cndmask_b32_e64 v21, v21, v12, s2
	v_cndmask_b32_e64 v20, v20, v18, s3
	s_delay_alu instid0(VALU_DEP_4) | instskip(NEXT) | instid1(VALU_DEP_3)
	v_cndmask_b32_e64 v18, v18, v13, s3
	v_cndmask_b32_e64 v13, v13, v21, s3
	;; [unrolled: 1-line block ×3, first 2 shown]
	s_delay_alu instid0(VALU_DEP_3) | instskip(NEXT) | instid1(VALU_DEP_3)
	v_alignbit_b32 v23, v20, v18, v22
	v_alignbit_b32 v24, v18, v13, v22
	s_delay_alu instid0(VALU_DEP_3) | instskip(NEXT) | instid1(VALU_DEP_3)
	v_alignbit_b32 v22, v13, v9, v22
	v_cndmask_b32_e64 v10, v23, v20, s4
	s_delay_alu instid0(VALU_DEP_3) | instskip(NEXT) | instid1(VALU_DEP_3)
	v_cndmask_b32_e64 v18, v24, v18, s4
	v_cndmask_b32_e64 v13, v22, v13, s4
	s_delay_alu instid0(VALU_DEP_3) | instskip(NEXT) | instid1(VALU_DEP_3)
	v_bfe_u32 v19, v10, 29, 1
	v_alignbit_b32 v12, v10, v18, 30
	s_delay_alu instid0(VALU_DEP_3) | instskip(SKIP_1) | instid1(VALU_DEP_4)
	v_alignbit_b32 v18, v18, v13, 30
	v_alignbit_b32 v9, v13, v9, 30
	v_sub_nc_u32_e32 v20, 0, v19
	s_delay_alu instid0(VALU_DEP_1) | instskip(SKIP_3) | instid1(VALU_DEP_4)
	v_xor_b32_e32 v21, v12, v20
	v_cmp_ne_u32_e32 vcc_lo, v12, v20
	v_xor_b32_e32 v13, v18, v20
	v_xor_b32_e32 v9, v9, v20
	v_clz_i32_u32_e32 v23, v21
	s_delay_alu instid0(VALU_DEP_1) | instskip(NEXT) | instid1(VALU_DEP_1)
	v_add_nc_u32_e32 v22, 1, v23
	v_cndmask_b32_e32 v12, 33, v22, vcc_lo
	s_delay_alu instid0(VALU_DEP_1) | instskip(NEXT) | instid1(VALU_DEP_1)
	v_sub_nc_u32_e32 v18, 32, v12
	v_alignbit_b32 v20, v21, v13, v18
	v_alignbit_b32 v9, v13, v9, v18
	v_lshrrev_b32_e32 v13, 29, v10
	v_lshrrev_b32_e32 v10, 30, v10
	s_delay_alu instid0(VALU_DEP_3) | instskip(NEXT) | instid1(VALU_DEP_3)
	v_alignbit_b32 v18, v20, v9, 9
	v_lshlrev_b32_e32 v13, 31, v13
	s_delay_alu instid0(VALU_DEP_3) | instskip(SKIP_1) | instid1(VALU_DEP_4)
	v_add_nc_u32_e32 v10, v19, v10
	v_alignbit_b32 v20, v12, v20, 9
	v_clz_i32_u32_e32 v21, v18
	s_delay_alu instid0(VALU_DEP_2) | instskip(SKIP_1) | instid1(VALU_DEP_3)
	v_or_b32_e32 v20, v20, v13
	v_or_b32_e32 v13, 0x33800000, v13
	v_min_u32_e32 v21, 32, v21
	s_delay_alu instid0(VALU_DEP_3) | instskip(NEXT) | instid1(VALU_DEP_2)
	v_xor_b32_e32 v20, 1.0, v20
	v_sub_nc_u32_e32 v22, 31, v21
	v_add_lshl_u32 v12, v21, v12, 23
	s_delay_alu instid0(VALU_DEP_3) | instskip(NEXT) | instid1(VALU_DEP_3)
	v_mul_f32_e32 v21, 0x3fc90fda, v20
	v_alignbit_b32 v9, v18, v9, v22
	s_delay_alu instid0(VALU_DEP_3) | instskip(NEXT) | instid1(VALU_DEP_3)
	v_sub_nc_u32_e32 v12, v13, v12
	v_fma_f32 v13, 0x3fc90fda, v20, -v21
	s_delay_alu instid0(VALU_DEP_3) | instskip(NEXT) | instid1(VALU_DEP_2)
	v_lshrrev_b32_e32 v9, 9, v9
	v_fmac_f32_e32 v13, 0x33a22168, v20
	s_delay_alu instid0(VALU_DEP_2) | instskip(NEXT) | instid1(VALU_DEP_1)
	v_or_b32_e32 v9, v12, v9
	v_fmac_f32_e32 v13, 0x3fc90fda, v9
	s_delay_alu instid0(VALU_DEP_1)
	v_add_f32_e32 v9, v21, v13
	s_and_not1_saveexec_b32 s2, s30
	s_branch .LBB133_97
.LBB133_96:                             ;   in Loop: Header=BB133_4 Depth=1
	s_and_not1_saveexec_b32 s2, s30
.LBB133_97:                             ;   in Loop: Header=BB133_4 Depth=1
	v_mul_f32_e64 v9, 0x3f22f983, |v2|
	s_delay_alu instid0(VALU_DEP_1) | instskip(NEXT) | instid1(VALU_DEP_1)
	v_rndne_f32_e32 v10, v9
	v_fma_f32 v9, 0xbfc90fda, v10, |v2|
	s_delay_alu instid0(VALU_DEP_1) | instskip(NEXT) | instid1(VALU_DEP_1)
	v_fmac_f32_e32 v9, 0xb3a22168, v10
	v_fmac_f32_e32 v9, 0xa7c234c4, v10
	v_cvt_i32_f32_e32 v10, v10
; %bb.98:                               ;   in Loop: Header=BB133_4 Depth=1
	s_or_b32 exec_lo, exec_lo, s2
                                        ; implicit-def: $vgpr13
                                        ; implicit-def: $vgpr12
	s_and_saveexec_b32 s2, s29
	s_delay_alu instid0(SALU_CYCLE_1)
	s_xor_b32 s29, exec_lo, s2
	s_cbranch_execz .LBB133_100
; %bb.99:                               ;   in Loop: Header=BB133_4 Depth=1
	v_and_or_b32 v25, v11, s21, 0x800000
	v_lshrrev_b32_e32 v22, 23, v11
	s_delay_alu instid0(VALU_DEP_2) | instskip(NEXT) | instid1(VALU_DEP_2)
	v_mad_u64_u32 v[12:13], null, 0xfe5163ab, v25, 0
	v_add_nc_u32_e32 v23, 0xffffff88, v22
	s_delay_alu instid0(VALU_DEP_1) | instskip(NEXT) | instid1(VALU_DEP_3)
	v_cmp_lt_u32_e32 vcc_lo, 63, v23
	v_mad_u64_u32 v[18:19], null, 0x3c439041, v25, v[13:14]
	v_cndmask_b32_e64 v24, 0, 0xffffffc0, vcc_lo
	s_delay_alu instid0(VALU_DEP_1) | instskip(NEXT) | instid1(VALU_DEP_1)
	v_dual_mov_b32 v13, v19 :: v_dual_add_nc_u32 v24, v24, v23
	v_mad_u64_u32 v[19:20], null, 0xdb629599, v25, v[13:14]
	s_delay_alu instid0(VALU_DEP_2) | instskip(NEXT) | instid1(VALU_DEP_1)
	v_cmp_lt_u32_e64 s2, 31, v24
	v_cndmask_b32_e64 v26, 0, 0xffffffe0, s2
	s_delay_alu instid0(VALU_DEP_3) | instskip(NEXT) | instid1(VALU_DEP_2)
	v_dual_mov_b32 v13, v20 :: v_dual_cndmask_b32 v12, v19, v12
	v_add_nc_u32_e32 v26, v26, v24
	s_delay_alu instid0(VALU_DEP_2) | instskip(NEXT) | instid1(VALU_DEP_2)
	v_mad_u64_u32 v[20:21], null, 0xf534ddc0, v25, v[13:14]
	v_cmp_lt_u32_e64 s3, 31, v26
	s_delay_alu instid0(VALU_DEP_2) | instskip(NEXT) | instid1(VALU_DEP_1)
	v_dual_mov_b32 v13, v21 :: v_dual_cndmask_b32 v18, v20, v18
	v_mad_u64_u32 v[21:22], null, 0xfc2757d1, v25, v[13:14]
	s_delay_alu instid0(VALU_DEP_2) | instskip(NEXT) | instid1(VALU_DEP_2)
	v_cndmask_b32_e64 v12, v18, v12, s2
	v_mov_b32_e32 v13, v22
	s_delay_alu instid0(VALU_DEP_1) | instskip(NEXT) | instid1(VALU_DEP_1)
	v_mad_u64_u32 v[22:23], null, 0x4e441529, v25, v[13:14]
	v_mov_b32_e32 v13, v23
	s_delay_alu instid0(VALU_DEP_1) | instskip(SKIP_1) | instid1(VALU_DEP_4)
	v_mad_u64_u32 v[23:24], null, 0xa2f9836e, v25, v[13:14]
	v_cndmask_b32_e64 v13, 0, 0xffffffe0, s3
	v_cndmask_b32_e32 v25, v22, v20, vcc_lo
	s_delay_alu instid0(VALU_DEP_2) | instskip(NEXT) | instid1(VALU_DEP_4)
	v_add_nc_u32_e32 v13, v13, v26
	v_dual_cndmask_b32 v23, v23, v21 :: v_dual_cndmask_b32 v22, v24, v22
	v_cndmask_b32_e32 v21, v21, v19, vcc_lo
	s_delay_alu instid0(VALU_DEP_3) | instskip(NEXT) | instid1(VALU_DEP_3)
	v_sub_nc_u32_e32 v24, 32, v13
	v_cndmask_b32_e64 v20, v23, v25, s2
	s_delay_alu instid0(VALU_DEP_4) | instskip(NEXT) | instid1(VALU_DEP_4)
	v_cndmask_b32_e64 v22, v22, v23, s2
	v_cndmask_b32_e64 v23, v25, v21, s2
	;; [unrolled: 1-line block ×3, first 2 shown]
	v_cmp_eq_u32_e64 s4, 0, v13
	s_delay_alu instid0(VALU_DEP_4) | instskip(NEXT) | instid1(VALU_DEP_4)
	v_cndmask_b32_e64 v22, v22, v20, s3
	v_cndmask_b32_e64 v20, v20, v23, s3
	s_delay_alu instid0(VALU_DEP_4) | instskip(SKIP_1) | instid1(VALU_DEP_3)
	v_cndmask_b32_e64 v23, v23, v21, s3
	v_cndmask_b32_e64 v12, v21, v12, s3
	v_alignbit_b32 v25, v22, v20, v24
	s_delay_alu instid0(VALU_DEP_3) | instskip(NEXT) | instid1(VALU_DEP_3)
	v_alignbit_b32 v26, v20, v23, v24
	v_alignbit_b32 v24, v23, v12, v24
	s_delay_alu instid0(VALU_DEP_3) | instskip(NEXT) | instid1(VALU_DEP_3)
	v_cndmask_b32_e64 v13, v25, v22, s4
	v_cndmask_b32_e64 v19, v26, v20, s4
	s_delay_alu instid0(VALU_DEP_3) | instskip(NEXT) | instid1(VALU_DEP_3)
	v_cndmask_b32_e64 v23, v24, v23, s4
	v_bfe_u32 v20, v13, 29, 1
	s_delay_alu instid0(VALU_DEP_3) | instskip(NEXT) | instid1(VALU_DEP_3)
	v_alignbit_b32 v18, v13, v19, 30
	v_alignbit_b32 v19, v19, v23, 30
	;; [unrolled: 1-line block ×3, first 2 shown]
	s_delay_alu instid0(VALU_DEP_4) | instskip(NEXT) | instid1(VALU_DEP_1)
	v_sub_nc_u32_e32 v22, 0, v20
	v_xor_b32_e32 v21, v18, v22
	v_cmp_ne_u32_e32 vcc_lo, v18, v22
	v_xor_b32_e32 v19, v19, v22
	v_xor_b32_e32 v12, v12, v22
	s_delay_alu instid0(VALU_DEP_4) | instskip(NEXT) | instid1(VALU_DEP_1)
	v_clz_i32_u32_e32 v25, v21
	v_add_nc_u32_e32 v24, 1, v25
	s_delay_alu instid0(VALU_DEP_1) | instskip(NEXT) | instid1(VALU_DEP_1)
	v_cndmask_b32_e32 v18, 33, v24, vcc_lo
	v_sub_nc_u32_e32 v23, 32, v18
	s_delay_alu instid0(VALU_DEP_1) | instskip(SKIP_3) | instid1(VALU_DEP_3)
	v_alignbit_b32 v21, v21, v19, v23
	v_alignbit_b32 v12, v19, v12, v23
	v_lshrrev_b32_e32 v19, 29, v13
	v_lshrrev_b32_e32 v13, 30, v13
	v_alignbit_b32 v22, v21, v12, 9
	s_delay_alu instid0(VALU_DEP_3) | instskip(SKIP_1) | instid1(VALU_DEP_4)
	v_lshlrev_b32_e32 v19, 31, v19
	v_alignbit_b32 v21, v18, v21, 9
	v_add_nc_u32_e32 v13, v20, v13
	s_delay_alu instid0(VALU_DEP_4) | instskip(NEXT) | instid1(VALU_DEP_3)
	v_clz_i32_u32_e32 v23, v22
	v_or_b32_e32 v21, v21, v19
	v_or_b32_e32 v19, 0x33800000, v19
	s_delay_alu instid0(VALU_DEP_3) | instskip(NEXT) | instid1(VALU_DEP_3)
	v_min_u32_e32 v23, 32, v23
	v_xor_b32_e32 v21, 1.0, v21
	s_delay_alu instid0(VALU_DEP_2) | instskip(SKIP_1) | instid1(VALU_DEP_3)
	v_sub_nc_u32_e32 v24, 31, v23
	v_add_lshl_u32 v18, v23, v18, 23
	v_mul_f32_e32 v23, 0x3fc90fda, v21
	s_delay_alu instid0(VALU_DEP_3) | instskip(NEXT) | instid1(VALU_DEP_3)
	v_alignbit_b32 v12, v22, v12, v24
	v_sub_nc_u32_e32 v18, v19, v18
	s_delay_alu instid0(VALU_DEP_3) | instskip(NEXT) | instid1(VALU_DEP_3)
	v_fma_f32 v19, 0x3fc90fda, v21, -v23
	v_lshrrev_b32_e32 v12, 9, v12
	s_delay_alu instid0(VALU_DEP_2) | instskip(NEXT) | instid1(VALU_DEP_2)
	v_fmac_f32_e32 v19, 0x33a22168, v21
	v_or_b32_e32 v12, v18, v12
	s_delay_alu instid0(VALU_DEP_1) | instskip(NEXT) | instid1(VALU_DEP_1)
	v_fmac_f32_e32 v19, 0x3fc90fda, v12
	v_add_f32_e32 v12, v23, v19
	s_and_not1_saveexec_b32 s2, s29
	s_cbranch_execnz .LBB133_101
	s_branch .LBB133_102
.LBB133_100:                            ;   in Loop: Header=BB133_4 Depth=1
	s_and_not1_saveexec_b32 s2, s29
.LBB133_101:                            ;   in Loop: Header=BB133_4 Depth=1
	v_mul_f32_e64 v12, 0x3f22f983, |v2|
	s_delay_alu instid0(VALU_DEP_1) | instskip(NEXT) | instid1(VALU_DEP_1)
	v_rndne_f32_e32 v13, v12
	v_fma_f32 v12, 0xbfc90fda, v13, |v2|
	s_delay_alu instid0(VALU_DEP_1) | instskip(NEXT) | instid1(VALU_DEP_1)
	v_fmac_f32_e32 v12, 0xb3a22168, v13
	v_fmac_f32_e32 v12, 0xa7c234c4, v13
	v_cvt_i32_f32_e32 v13, v13
.LBB133_102:                            ;   in Loop: Header=BB133_4 Depth=1
	s_or_b32 exec_lo, exec_lo, s2
	s_delay_alu instid0(VALU_DEP_1) | instskip(SKIP_2) | instid1(VALU_DEP_3)
	v_dual_mul_f32 v18, 0x3fb8aa3b, v1 :: v_dual_mul_f32 v23, v12, v12
	v_dual_mul_f32 v19, v9, v9 :: v_dual_and_b32 v20, 1, v10
	v_lshlrev_b32_e32 v10, 30, v10
	v_rndne_f32_e32 v21, v18
	v_fma_f32 v22, 0x3fb8aa3b, v1, -v18
	s_delay_alu instid0(VALU_DEP_4)
	v_dual_fmaak_f32 v25, s22, v19, 0x3c0881c4 :: v_dual_and_b32 v24, 1, v13
	v_fmaak_f32 v27, s22, v23, 0x3c0881c4
	v_dual_fmaak_f32 v26, s23, v19, 0xbab64f3b :: v_dual_lshlrev_b32 v13, 30, v13
	v_sub_f32_e32 v18, v18, v21
	v_fmac_f32_e32 v22, 0x32a5705f, v1
	v_cmp_eq_u32_e32 vcc_lo, 0, v20
	v_cvt_i32_f32_e32 v21, v21
	v_and_b32_e32 v10, 0x80000000, v10
	v_and_or_b32 v11, 0x80000000, v13, v11
	v_add_f32_e32 v18, v18, v22
	v_fmaak_f32 v22, v19, v25, 0xbe2aaa9d
	v_fmaak_f32 v25, v19, v26, 0x3d2aabf7
	;; [unrolled: 1-line block ×3, first 2 shown]
	v_cmp_nlt_f32_e64 s2, 0x42b17218, v1
	s_delay_alu instid0(VALU_DEP_4) | instskip(SKIP_1) | instid1(VALU_DEP_4)
	v_mul_f32_e32 v22, v19, v22
	v_fmaak_f32 v28, s23, v23, 0xbab64f3b
	v_mul_f32_e32 v26, v23, v26
	v_fmaak_f32 v25, v19, v25, 0xbf000004
	s_delay_alu instid0(VALU_DEP_4) | instskip(NEXT) | instid1(VALU_DEP_3)
	v_fmac_f32_e32 v9, v9, v22
	v_dual_fmaak_f32 v27, v23, v28, 0x3d2aabf7 :: v_dual_fmac_f32 v12, v12, v26
	s_delay_alu instid0(VALU_DEP_3) | instskip(SKIP_1) | instid1(VALU_DEP_1)
	v_fma_f32 v19, v19, v25, 1.0
	v_exp_f32_e32 v18, v18
	v_cndmask_b32_e64 v9, -v9, v19, vcc_lo
	v_cmp_eq_u32_e32 vcc_lo, 0, v24
	v_fmaak_f32 v27, v23, v27, 0xbf000004
	s_delay_alu instid0(VALU_DEP_3) | instskip(SKIP_3) | instid1(VALU_DEP_1)
	v_xor_b32_e32 v9, v10, v9
	s_waitcnt_depctr 0xfff
	v_ldexp_f32 v18, v18, v21
	v_fma_f32 v22, v23, v27, 1.0
	v_cndmask_b32_e32 v12, v22, v12, vcc_lo
	v_cmp_ngt_f32_e32 vcc_lo, 0xc2ce8ed0, v1
	s_delay_alu instid0(VALU_DEP_2) | instskip(SKIP_2) | instid1(VALU_DEP_2)
	v_xor3_b32 v10, v11, v12, v2
	v_cndmask_b32_e32 v13, 0, v18, vcc_lo
	v_cmp_class_f32_e64 vcc_lo, v2, 0x1f8
	v_cndmask_b32_e64 v11, 0x7f800000, v13, s2
	v_cndmask_b32_e32 v9, 0x7fc00000, v9, vcc_lo
	s_delay_alu instid0(VALU_DEP_1) | instskip(NEXT) | instid1(VALU_DEP_1)
	v_dual_cndmask_b32 v10, 0x7fc00000, v10 :: v_dual_mul_f32 v9, v11, v9
	v_mul_f32_e32 v10, v11, v10
                                        ; implicit-def: $vgpr11
.LBB133_103:                            ;   in Loop: Header=BB133_4 Depth=1
	s_and_not1_saveexec_b32 s28, s28
	s_cbranch_execz .LBB133_113
; %bb.104:                              ;   in Loop: Header=BB133_4 Depth=1
	v_cmp_ngt_f32_e64 s29, 0x48000000, |v2|
                                        ; implicit-def: $vgpr10
                                        ; implicit-def: $vgpr9
	s_delay_alu instid0(VALU_DEP_1) | instskip(NEXT) | instid1(SALU_CYCLE_1)
	s_and_saveexec_b32 s2, s29
	s_xor_b32 s30, exec_lo, s2
	s_cbranch_execz .LBB133_106
; %bb.105:                              ;   in Loop: Header=BB133_4 Depth=1
	v_and_or_b32 v12, v11, s21, 0x800000
	s_delay_alu instid0(VALU_DEP_1) | instskip(NEXT) | instid1(VALU_DEP_1)
	v_mad_u64_u32 v[9:10], null, 0xfe5163ab, v12, 0
	v_mov_b32_e32 v13, v10
	v_lshrrev_b32_e32 v10, 23, v11
	s_delay_alu instid0(VALU_DEP_1) | instskip(NEXT) | instid1(VALU_DEP_3)
	v_add_nc_u32_e32 v10, 0xffffff88, v10
	v_mad_u64_u32 v[18:19], null, 0x3c439041, v12, v[13:14]
	s_delay_alu instid0(VALU_DEP_2) | instskip(SKIP_1) | instid1(VALU_DEP_1)
	v_cmp_lt_u32_e32 vcc_lo, 63, v10
	v_cndmask_b32_e64 v23, 0, 0xffffffc0, vcc_lo
	v_add_nc_u32_e32 v10, v23, v10
	s_delay_alu instid0(VALU_DEP_1) | instskip(NEXT) | instid1(VALU_DEP_1)
	v_cmp_lt_u32_e64 s2, 31, v10
	v_cndmask_b32_e64 v24, 0, 0xffffffe0, s2
	s_delay_alu instid0(VALU_DEP_1) | instskip(NEXT) | instid1(VALU_DEP_1)
	v_dual_mov_b32 v13, v19 :: v_dual_add_nc_u32 v10, v24, v10
	v_mad_u64_u32 v[19:20], null, 0xdb629599, v12, v[13:14]
	s_delay_alu instid0(VALU_DEP_2) | instskip(NEXT) | instid1(VALU_DEP_2)
	v_cmp_lt_u32_e64 s3, 31, v10
	v_mov_b32_e32 v13, v20
	s_delay_alu instid0(VALU_DEP_3) | instskip(NEXT) | instid1(VALU_DEP_2)
	v_cndmask_b32_e32 v9, v19, v9, vcc_lo
	v_mad_u64_u32 v[20:21], null, 0xf534ddc0, v12, v[13:14]
	s_delay_alu instid0(VALU_DEP_1) | instskip(NEXT) | instid1(VALU_DEP_1)
	v_mov_b32_e32 v13, v21
	v_mad_u64_u32 v[21:22], null, 0xfc2757d1, v12, v[13:14]
	s_delay_alu instid0(VALU_DEP_1) | instskip(NEXT) | instid1(VALU_DEP_1)
	v_mov_b32_e32 v13, v22
	;; [unrolled: 3-line block ×3, first 2 shown]
	v_mad_u64_u32 v[23:24], null, 0xa2f9836e, v12, v[13:14]
	v_cndmask_b32_e64 v12, 0, 0xffffffe0, s3
	s_delay_alu instid0(VALU_DEP_1) | instskip(NEXT) | instid1(VALU_DEP_3)
	v_dual_cndmask_b32 v13, v22, v20 :: v_dual_add_nc_u32 v10, v12, v10
	v_dual_cndmask_b32 v12, v20, v18 :: v_dual_cndmask_b32 v23, v23, v21
	s_delay_alu instid0(VALU_DEP_4) | instskip(NEXT) | instid1(VALU_DEP_3)
	v_dual_cndmask_b32 v22, v24, v22 :: v_dual_cndmask_b32 v21, v21, v19
	v_cmp_eq_u32_e64 s4, 0, v10
	s_delay_alu instid0(VALU_DEP_3) | instskip(NEXT) | instid1(VALU_DEP_4)
	v_cndmask_b32_e64 v9, v12, v9, s2
	v_cndmask_b32_e64 v18, v23, v13, s2
	s_delay_alu instid0(VALU_DEP_4) | instskip(SKIP_3) | instid1(VALU_DEP_4)
	v_cndmask_b32_e64 v20, v22, v23, s2
	v_cndmask_b32_e64 v13, v13, v21, s2
	v_sub_nc_u32_e32 v22, 32, v10
	v_cndmask_b32_e64 v21, v21, v12, s2
	v_cndmask_b32_e64 v20, v20, v18, s3
	s_delay_alu instid0(VALU_DEP_4) | instskip(NEXT) | instid1(VALU_DEP_3)
	v_cndmask_b32_e64 v18, v18, v13, s3
	v_cndmask_b32_e64 v13, v13, v21, s3
	;; [unrolled: 1-line block ×3, first 2 shown]
	s_delay_alu instid0(VALU_DEP_3) | instskip(NEXT) | instid1(VALU_DEP_3)
	v_alignbit_b32 v23, v20, v18, v22
	v_alignbit_b32 v24, v18, v13, v22
	s_delay_alu instid0(VALU_DEP_3) | instskip(NEXT) | instid1(VALU_DEP_3)
	v_alignbit_b32 v22, v13, v9, v22
	v_cndmask_b32_e64 v10, v23, v20, s4
	s_delay_alu instid0(VALU_DEP_3) | instskip(NEXT) | instid1(VALU_DEP_3)
	v_cndmask_b32_e64 v18, v24, v18, s4
	v_cndmask_b32_e64 v13, v22, v13, s4
	s_delay_alu instid0(VALU_DEP_3) | instskip(NEXT) | instid1(VALU_DEP_3)
	v_bfe_u32 v19, v10, 29, 1
	v_alignbit_b32 v12, v10, v18, 30
	s_delay_alu instid0(VALU_DEP_3) | instskip(SKIP_1) | instid1(VALU_DEP_4)
	v_alignbit_b32 v18, v18, v13, 30
	v_alignbit_b32 v9, v13, v9, 30
	v_sub_nc_u32_e32 v20, 0, v19
	s_delay_alu instid0(VALU_DEP_1) | instskip(SKIP_3) | instid1(VALU_DEP_4)
	v_xor_b32_e32 v21, v12, v20
	v_cmp_ne_u32_e32 vcc_lo, v12, v20
	v_xor_b32_e32 v13, v18, v20
	v_xor_b32_e32 v9, v9, v20
	v_clz_i32_u32_e32 v23, v21
	s_delay_alu instid0(VALU_DEP_1) | instskip(NEXT) | instid1(VALU_DEP_1)
	v_add_nc_u32_e32 v22, 1, v23
	v_cndmask_b32_e32 v12, 33, v22, vcc_lo
	s_delay_alu instid0(VALU_DEP_1) | instskip(NEXT) | instid1(VALU_DEP_1)
	v_sub_nc_u32_e32 v18, 32, v12
	v_alignbit_b32 v20, v21, v13, v18
	v_alignbit_b32 v9, v13, v9, v18
	v_lshrrev_b32_e32 v13, 29, v10
	v_lshrrev_b32_e32 v10, 30, v10
	s_delay_alu instid0(VALU_DEP_3) | instskip(NEXT) | instid1(VALU_DEP_3)
	v_alignbit_b32 v18, v20, v9, 9
	v_lshlrev_b32_e32 v13, 31, v13
	s_delay_alu instid0(VALU_DEP_3) | instskip(SKIP_1) | instid1(VALU_DEP_4)
	v_add_nc_u32_e32 v10, v19, v10
	v_alignbit_b32 v20, v12, v20, 9
	v_clz_i32_u32_e32 v21, v18
	s_delay_alu instid0(VALU_DEP_2) | instskip(SKIP_1) | instid1(VALU_DEP_3)
	v_or_b32_e32 v20, v20, v13
	v_or_b32_e32 v13, 0x33800000, v13
	v_min_u32_e32 v21, 32, v21
	s_delay_alu instid0(VALU_DEP_3) | instskip(NEXT) | instid1(VALU_DEP_2)
	v_xor_b32_e32 v20, 1.0, v20
	v_sub_nc_u32_e32 v22, 31, v21
	v_add_lshl_u32 v12, v21, v12, 23
	s_delay_alu instid0(VALU_DEP_3) | instskip(NEXT) | instid1(VALU_DEP_3)
	v_mul_f32_e32 v21, 0x3fc90fda, v20
	v_alignbit_b32 v9, v18, v9, v22
	s_delay_alu instid0(VALU_DEP_3) | instskip(NEXT) | instid1(VALU_DEP_3)
	v_sub_nc_u32_e32 v12, v13, v12
	v_fma_f32 v13, 0x3fc90fda, v20, -v21
	s_delay_alu instid0(VALU_DEP_3) | instskip(NEXT) | instid1(VALU_DEP_2)
	v_lshrrev_b32_e32 v9, 9, v9
	v_fmac_f32_e32 v13, 0x33a22168, v20
	s_delay_alu instid0(VALU_DEP_2) | instskip(NEXT) | instid1(VALU_DEP_1)
	v_or_b32_e32 v9, v12, v9
	v_fmac_f32_e32 v13, 0x3fc90fda, v9
	s_delay_alu instid0(VALU_DEP_1)
	v_add_f32_e32 v9, v21, v13
	s_and_not1_saveexec_b32 s2, s30
	s_branch .LBB133_107
.LBB133_106:                            ;   in Loop: Header=BB133_4 Depth=1
	s_and_not1_saveexec_b32 s2, s30
.LBB133_107:                            ;   in Loop: Header=BB133_4 Depth=1
	v_mul_f32_e64 v9, 0x3f22f983, |v2|
	s_delay_alu instid0(VALU_DEP_1) | instskip(NEXT) | instid1(VALU_DEP_1)
	v_rndne_f32_e32 v10, v9
	v_fma_f32 v9, 0xbfc90fda, v10, |v2|
	s_delay_alu instid0(VALU_DEP_1) | instskip(NEXT) | instid1(VALU_DEP_1)
	v_fmac_f32_e32 v9, 0xb3a22168, v10
	v_fmac_f32_e32 v9, 0xa7c234c4, v10
	v_cvt_i32_f32_e32 v10, v10
; %bb.108:                              ;   in Loop: Header=BB133_4 Depth=1
	s_or_b32 exec_lo, exec_lo, s2
                                        ; implicit-def: $vgpr13
                                        ; implicit-def: $vgpr12
	s_and_saveexec_b32 s2, s29
	s_delay_alu instid0(SALU_CYCLE_1)
	s_xor_b32 s29, exec_lo, s2
	s_cbranch_execz .LBB133_110
; %bb.109:                              ;   in Loop: Header=BB133_4 Depth=1
	v_and_or_b32 v25, v11, s21, 0x800000
	v_lshrrev_b32_e32 v22, 23, v11
	s_delay_alu instid0(VALU_DEP_2) | instskip(NEXT) | instid1(VALU_DEP_2)
	v_mad_u64_u32 v[12:13], null, 0xfe5163ab, v25, 0
	v_add_nc_u32_e32 v23, 0xffffff88, v22
	s_delay_alu instid0(VALU_DEP_1) | instskip(NEXT) | instid1(VALU_DEP_3)
	v_cmp_lt_u32_e32 vcc_lo, 63, v23
	v_mad_u64_u32 v[18:19], null, 0x3c439041, v25, v[13:14]
	v_cndmask_b32_e64 v24, 0, 0xffffffc0, vcc_lo
	s_delay_alu instid0(VALU_DEP_1) | instskip(NEXT) | instid1(VALU_DEP_1)
	v_dual_mov_b32 v13, v19 :: v_dual_add_nc_u32 v24, v24, v23
	v_mad_u64_u32 v[19:20], null, 0xdb629599, v25, v[13:14]
	s_delay_alu instid0(VALU_DEP_2) | instskip(NEXT) | instid1(VALU_DEP_1)
	v_cmp_lt_u32_e64 s2, 31, v24
	v_cndmask_b32_e64 v26, 0, 0xffffffe0, s2
	s_delay_alu instid0(VALU_DEP_3) | instskip(NEXT) | instid1(VALU_DEP_2)
	v_dual_mov_b32 v13, v20 :: v_dual_cndmask_b32 v12, v19, v12
	v_add_nc_u32_e32 v26, v26, v24
	s_delay_alu instid0(VALU_DEP_2) | instskip(NEXT) | instid1(VALU_DEP_2)
	v_mad_u64_u32 v[20:21], null, 0xf534ddc0, v25, v[13:14]
	v_cmp_lt_u32_e64 s3, 31, v26
	s_delay_alu instid0(VALU_DEP_2) | instskip(NEXT) | instid1(VALU_DEP_1)
	v_dual_mov_b32 v13, v21 :: v_dual_cndmask_b32 v18, v20, v18
	v_mad_u64_u32 v[21:22], null, 0xfc2757d1, v25, v[13:14]
	s_delay_alu instid0(VALU_DEP_2) | instskip(NEXT) | instid1(VALU_DEP_2)
	v_cndmask_b32_e64 v12, v18, v12, s2
	v_mov_b32_e32 v13, v22
	s_delay_alu instid0(VALU_DEP_1) | instskip(NEXT) | instid1(VALU_DEP_1)
	v_mad_u64_u32 v[22:23], null, 0x4e441529, v25, v[13:14]
	v_mov_b32_e32 v13, v23
	s_delay_alu instid0(VALU_DEP_1) | instskip(SKIP_1) | instid1(VALU_DEP_4)
	v_mad_u64_u32 v[23:24], null, 0xa2f9836e, v25, v[13:14]
	v_cndmask_b32_e64 v13, 0, 0xffffffe0, s3
	v_cndmask_b32_e32 v25, v22, v20, vcc_lo
	s_delay_alu instid0(VALU_DEP_2) | instskip(NEXT) | instid1(VALU_DEP_4)
	v_add_nc_u32_e32 v13, v13, v26
	v_dual_cndmask_b32 v23, v23, v21 :: v_dual_cndmask_b32 v22, v24, v22
	v_cndmask_b32_e32 v21, v21, v19, vcc_lo
	s_delay_alu instid0(VALU_DEP_3) | instskip(NEXT) | instid1(VALU_DEP_3)
	v_sub_nc_u32_e32 v24, 32, v13
	v_cndmask_b32_e64 v20, v23, v25, s2
	s_delay_alu instid0(VALU_DEP_4) | instskip(NEXT) | instid1(VALU_DEP_4)
	v_cndmask_b32_e64 v22, v22, v23, s2
	v_cndmask_b32_e64 v23, v25, v21, s2
	;; [unrolled: 1-line block ×3, first 2 shown]
	v_cmp_eq_u32_e64 s4, 0, v13
	s_delay_alu instid0(VALU_DEP_4) | instskip(NEXT) | instid1(VALU_DEP_4)
	v_cndmask_b32_e64 v22, v22, v20, s3
	v_cndmask_b32_e64 v20, v20, v23, s3
	s_delay_alu instid0(VALU_DEP_4) | instskip(SKIP_1) | instid1(VALU_DEP_3)
	v_cndmask_b32_e64 v23, v23, v21, s3
	v_cndmask_b32_e64 v12, v21, v12, s3
	v_alignbit_b32 v25, v22, v20, v24
	s_delay_alu instid0(VALU_DEP_3) | instskip(NEXT) | instid1(VALU_DEP_3)
	v_alignbit_b32 v26, v20, v23, v24
	v_alignbit_b32 v24, v23, v12, v24
	s_delay_alu instid0(VALU_DEP_3) | instskip(NEXT) | instid1(VALU_DEP_3)
	v_cndmask_b32_e64 v13, v25, v22, s4
	v_cndmask_b32_e64 v19, v26, v20, s4
	s_delay_alu instid0(VALU_DEP_3) | instskip(NEXT) | instid1(VALU_DEP_3)
	v_cndmask_b32_e64 v23, v24, v23, s4
	v_bfe_u32 v20, v13, 29, 1
	s_delay_alu instid0(VALU_DEP_3) | instskip(NEXT) | instid1(VALU_DEP_3)
	v_alignbit_b32 v18, v13, v19, 30
	v_alignbit_b32 v19, v19, v23, 30
	v_alignbit_b32 v12, v23, v12, 30
	s_delay_alu instid0(VALU_DEP_4) | instskip(NEXT) | instid1(VALU_DEP_1)
	v_sub_nc_u32_e32 v22, 0, v20
	v_xor_b32_e32 v21, v18, v22
	v_cmp_ne_u32_e32 vcc_lo, v18, v22
	v_xor_b32_e32 v19, v19, v22
	v_xor_b32_e32 v12, v12, v22
	s_delay_alu instid0(VALU_DEP_4) | instskip(NEXT) | instid1(VALU_DEP_1)
	v_clz_i32_u32_e32 v25, v21
	v_add_nc_u32_e32 v24, 1, v25
	s_delay_alu instid0(VALU_DEP_1) | instskip(NEXT) | instid1(VALU_DEP_1)
	v_cndmask_b32_e32 v18, 33, v24, vcc_lo
	v_sub_nc_u32_e32 v23, 32, v18
	s_delay_alu instid0(VALU_DEP_1) | instskip(SKIP_3) | instid1(VALU_DEP_3)
	v_alignbit_b32 v21, v21, v19, v23
	v_alignbit_b32 v12, v19, v12, v23
	v_lshrrev_b32_e32 v19, 29, v13
	v_lshrrev_b32_e32 v13, 30, v13
	v_alignbit_b32 v22, v21, v12, 9
	s_delay_alu instid0(VALU_DEP_3) | instskip(SKIP_1) | instid1(VALU_DEP_4)
	v_lshlrev_b32_e32 v19, 31, v19
	v_alignbit_b32 v21, v18, v21, 9
	v_add_nc_u32_e32 v13, v20, v13
	s_delay_alu instid0(VALU_DEP_4) | instskip(NEXT) | instid1(VALU_DEP_3)
	v_clz_i32_u32_e32 v23, v22
	v_or_b32_e32 v21, v21, v19
	v_or_b32_e32 v19, 0x33800000, v19
	s_delay_alu instid0(VALU_DEP_3) | instskip(NEXT) | instid1(VALU_DEP_3)
	v_min_u32_e32 v23, 32, v23
	v_xor_b32_e32 v21, 1.0, v21
	s_delay_alu instid0(VALU_DEP_2) | instskip(SKIP_1) | instid1(VALU_DEP_3)
	v_sub_nc_u32_e32 v24, 31, v23
	v_add_lshl_u32 v18, v23, v18, 23
	v_mul_f32_e32 v23, 0x3fc90fda, v21
	s_delay_alu instid0(VALU_DEP_3) | instskip(NEXT) | instid1(VALU_DEP_3)
	v_alignbit_b32 v12, v22, v12, v24
	v_sub_nc_u32_e32 v18, v19, v18
	s_delay_alu instid0(VALU_DEP_3) | instskip(NEXT) | instid1(VALU_DEP_3)
	v_fma_f32 v19, 0x3fc90fda, v21, -v23
	v_lshrrev_b32_e32 v12, 9, v12
	s_delay_alu instid0(VALU_DEP_2) | instskip(NEXT) | instid1(VALU_DEP_2)
	v_fmac_f32_e32 v19, 0x33a22168, v21
	v_or_b32_e32 v12, v18, v12
	s_delay_alu instid0(VALU_DEP_1) | instskip(NEXT) | instid1(VALU_DEP_1)
	v_fmac_f32_e32 v19, 0x3fc90fda, v12
	v_add_f32_e32 v12, v23, v19
	s_and_not1_saveexec_b32 s2, s29
	s_cbranch_execnz .LBB133_111
	s_branch .LBB133_112
.LBB133_110:                            ;   in Loop: Header=BB133_4 Depth=1
	s_and_not1_saveexec_b32 s2, s29
.LBB133_111:                            ;   in Loop: Header=BB133_4 Depth=1
	v_mul_f32_e64 v12, 0x3f22f983, |v2|
	s_delay_alu instid0(VALU_DEP_1) | instskip(NEXT) | instid1(VALU_DEP_1)
	v_rndne_f32_e32 v13, v12
	v_fma_f32 v12, 0xbfc90fda, v13, |v2|
	s_delay_alu instid0(VALU_DEP_1) | instskip(NEXT) | instid1(VALU_DEP_1)
	v_fmac_f32_e32 v12, 0xb3a22168, v13
	v_fmac_f32_e32 v12, 0xa7c234c4, v13
	v_cvt_i32_f32_e32 v13, v13
.LBB133_112:                            ;   in Loop: Header=BB133_4 Depth=1
	s_or_b32 exec_lo, exec_lo, s2
	s_delay_alu instid0(VALU_DEP_1) | instskip(NEXT) | instid1(VALU_DEP_1)
	v_dual_add_f32 v18, 0xc322e3bc, v1 :: v_dual_mul_f32 v23, v12, v12
	v_dual_mul_f32 v22, v9, v9 :: v_dual_mul_f32 v19, 0x3fb8aa3b, v18
	s_delay_alu instid0(VALU_DEP_1) | instskip(SKIP_1) | instid1(VALU_DEP_3)
	v_fmaak_f32 v25, s22, v22, 0x3c0881c4
	v_fmaak_f32 v24, s23, v22, 0xbab64f3b
	v_fma_f32 v20, 0x3fb8aa3b, v18, -v19
	v_rndne_f32_e32 v21, v19
	s_delay_alu instid0(VALU_DEP_1) | instskip(NEXT) | instid1(VALU_DEP_1)
	v_dual_fmac_f32 v20, 0x32a5705f, v18 :: v_dual_sub_f32 v19, v19, v21
	v_add_f32_e32 v19, v19, v20
	v_cvt_i32_f32_e32 v20, v21
	v_cmp_ngt_f32_e32 vcc_lo, 0xc2ce8ed0, v18
	s_delay_alu instid0(VALU_DEP_3)
	v_exp_f32_e32 v19, v19
	s_waitcnt_depctr 0xfff
	v_ldexp_f32 v19, v19, v20
	v_and_b32_e32 v20, 1, v13
	v_lshlrev_b32_e32 v13, 30, v13
	v_dual_fmaak_f32 v26, s22, v23, 0x3c0881c4 :: v_dual_lshlrev_b32 v21, 30, v10
	s_delay_alu instid0(VALU_DEP_4) | instskip(SKIP_1) | instid1(VALU_DEP_4)
	v_dual_cndmask_b32 v19, 0, v19 :: v_dual_and_b32 v10, 1, v10
	v_cmp_nlt_f32_e32 vcc_lo, 0x42b17218, v18
	v_and_or_b32 v11, 0x80000000, v13, v11
	v_fmaak_f32 v13, v22, v24, 0x3d2aabf7
	v_fmaak_f32 v24, v22, v25, 0xbe2aaa9d
	v_and_b32_e32 v21, 0x80000000, v21
	v_fmaak_f32 v26, v23, v26, 0xbe2aaa9d
	s_delay_alu instid0(VALU_DEP_3) | instskip(SKIP_1) | instid1(VALU_DEP_3)
	v_mul_f32_e32 v24, v22, v24
	v_cndmask_b32_e32 v18, 0x7f800000, v19, vcc_lo
	v_dual_fmaak_f32 v19, s23, v23, 0xbab64f3b :: v_dual_mul_f32 v26, v23, v26
	v_cmp_eq_u32_e32 vcc_lo, 0, v10
	s_delay_alu instid0(VALU_DEP_4) | instskip(NEXT) | instid1(VALU_DEP_4)
	v_fmac_f32_e32 v9, v9, v24
	v_lshrrev_b32_e32 v25, 23, v18
	s_delay_alu instid0(VALU_DEP_4) | instskip(NEXT) | instid1(VALU_DEP_2)
	v_dual_fmaak_f32 v19, v23, v19, 0x3d2aabf7 :: v_dual_fmac_f32 v12, v12, v26
	v_subrev_nc_u32_e32 v25, 19, v25
	s_delay_alu instid0(VALU_DEP_2) | instskip(NEXT) | instid1(VALU_DEP_1)
	v_fmaak_f32 v19, v23, v19, 0xbf000004
	v_fma_f32 v19, v23, v19, 1.0
	v_fmaak_f32 v13, v22, v13, 0xbf000004
	s_delay_alu instid0(VALU_DEP_1) | instskip(SKIP_1) | instid1(VALU_DEP_2)
	v_fma_f32 v13, v22, v13, 1.0
	v_lshrrev_b16 v22, 15, v25
	v_cndmask_b32_e64 v9, -v9, v13, vcc_lo
	v_cmp_eq_u32_e32 vcc_lo, 0, v20
	s_delay_alu instid0(VALU_DEP_3) | instskip(NEXT) | instid1(VALU_DEP_3)
	v_add_nc_u16 v10, v25, v22
	v_xor_b32_e32 v9, v21, v9
	v_cndmask_b32_e32 v12, v19, v12, vcc_lo
	s_delay_alu instid0(VALU_DEP_3) | instskip(SKIP_1) | instid1(VALU_DEP_3)
	v_ashrrev_i16 v10, 1, v10
	v_cmp_class_f32_e64 vcc_lo, v2, 0x1f8
	v_xor3_b32 v11, v11, v12, v2
	v_and_or_b32 v12, 0x7fffff, v18, s24
	s_delay_alu instid0(VALU_DEP_4) | instskip(NEXT) | instid1(VALU_DEP_3)
	v_bfe_i32 v10, v10, 0, 16
	v_cndmask_b32_e32 v11, 0x7fc00000, v11, vcc_lo
	s_delay_alu instid0(VALU_DEP_2) | instskip(SKIP_1) | instid1(VALU_DEP_3)
	v_lshl_add_u32 v13, v10, 23, 1.0
	v_sub_nc_u32_e32 v10, v25, v10
	v_mul_f32_e32 v11, v11, v12
	s_delay_alu instid0(VALU_DEP_2) | instskip(NEXT) | instid1(VALU_DEP_2)
	v_lshl_add_u32 v10, v10, 23, 1.0
	v_mul_f32_e32 v11, v11, v13
	v_cndmask_b32_e32 v9, 0x7fc00000, v9, vcc_lo
	s_delay_alu instid0(VALU_DEP_1) | instskip(NEXT) | instid1(VALU_DEP_1)
	v_mul_f32_e32 v9, v9, v12
	v_mul_f32_e32 v9, v9, v13
	s_delay_alu instid0(VALU_DEP_1)
	v_mul_f32_e32 v9, v9, v10
	v_mul_f32_e32 v10, v11, v10
.LBB133_113:                            ;   in Loop: Header=BB133_4 Depth=1
	s_or_b32 exec_lo, exec_lo, s28
                                        ; implicit-def: $vgpr12
.LBB133_114:                            ;   in Loop: Header=BB133_4 Depth=1
	s_and_not1_saveexec_b32 s2, s27
	s_cbranch_execz .LBB133_118
; %bb.115:                              ;   in Loop: Header=BB133_4 Depth=1
	v_sub_f32_e32 v10, v2, v2
	s_mov_b32 s3, exec_lo
	v_cmpx_ne_u32_e32 0x7f800000, v12
	s_xor_b32 s3, exec_lo, s3
	s_delay_alu instid0(SALU_CYCLE_1)
	s_or_saveexec_b32 s3, s3
	v_mov_b32_e32 v9, v10
	s_xor_b32 exec_lo, exec_lo, s3
; %bb.116:                              ;   in Loop: Header=BB133_4 Depth=1
	v_cmp_lt_i32_e32 vcc_lo, -1, v1
	v_dual_cndmask_b32 v9, 0, v1 :: v_dual_cndmask_b32 v10, 0, v10
; %bb.117:                              ;   in Loop: Header=BB133_4 Depth=1
	s_or_b32 exec_lo, exec_lo, s3
.LBB133_118:                            ;   in Loop: Header=BB133_4 Depth=1
	s_delay_alu instid0(SALU_CYCLE_1)
	s_or_b32 exec_lo, exec_lo, s2
                                        ; implicit-def: $vgpr11
.LBB133_119:                            ;   in Loop: Header=BB133_4 Depth=1
	s_and_not1_saveexec_b32 s26, s26
	s_cbranch_execz .LBB133_129
; %bb.120:                              ;   in Loop: Header=BB133_4 Depth=1
	v_lshrrev_b32_e32 v9, 23, v11
	v_cmp_ngt_f32_e64 s27, 0x48000000, |v2|
	v_and_or_b32 v12, v11, s21, 0x800000
                                        ; implicit-def: $vgpr10
	s_delay_alu instid0(VALU_DEP_3) | instskip(NEXT) | instid1(VALU_DEP_3)
	v_add_nc_u32_e32 v18, 0xffffff88, v9
                                        ; implicit-def: $vgpr9
	s_and_saveexec_b32 s2, s27
	s_delay_alu instid0(SALU_CYCLE_1)
	s_xor_b32 s28, exec_lo, s2
	s_cbranch_execz .LBB133_122
; %bb.121:                              ;   in Loop: Header=BB133_4 Depth=1
	v_mad_u64_u32 v[9:10], null, 0xfe5163ab, v12, 0
	v_cmp_lt_u32_e32 vcc_lo, 63, v18
	s_delay_alu instid0(VALU_DEP_2) | instskip(SKIP_1) | instid1(VALU_DEP_1)
	v_mov_b32_e32 v13, v10
	v_cndmask_b32_e64 v10, 0, 0xffffffc0, vcc_lo
	v_add_nc_u32_e32 v10, v10, v18
	s_delay_alu instid0(VALU_DEP_1) | instskip(NEXT) | instid1(VALU_DEP_1)
	v_cmp_lt_u32_e64 s2, 31, v10
	v_cndmask_b32_e64 v25, 0, 0xffffffe0, s2
	s_delay_alu instid0(VALU_DEP_1) | instskip(SKIP_1) | instid1(VALU_DEP_2)
	v_add_nc_u32_e32 v10, v25, v10
	v_mad_u64_u32 v[19:20], null, 0x3c439041, v12, v[13:14]
	v_cmp_lt_u32_e64 s3, 31, v10
	s_delay_alu instid0(VALU_DEP_2) | instskip(NEXT) | instid1(VALU_DEP_1)
	v_mov_b32_e32 v13, v20
	v_mad_u64_u32 v[20:21], null, 0xdb629599, v12, v[13:14]
	s_delay_alu instid0(VALU_DEP_1) | instskip(NEXT) | instid1(VALU_DEP_2)
	v_mov_b32_e32 v13, v21
	v_cndmask_b32_e32 v9, v20, v9, vcc_lo
	s_delay_alu instid0(VALU_DEP_2) | instskip(NEXT) | instid1(VALU_DEP_1)
	v_mad_u64_u32 v[21:22], null, 0xf534ddc0, v12, v[13:14]
	v_mov_b32_e32 v13, v22
	s_delay_alu instid0(VALU_DEP_1) | instskip(NEXT) | instid1(VALU_DEP_1)
	v_mad_u64_u32 v[22:23], null, 0xfc2757d1, v12, v[13:14]
	v_mov_b32_e32 v13, v23
	s_delay_alu instid0(VALU_DEP_1) | instskip(NEXT) | instid1(VALU_DEP_1)
	v_mad_u64_u32 v[23:24], null, 0x4e441529, v12, v[13:14]
	v_dual_mov_b32 v13, v24 :: v_dual_cndmask_b32 v26, v23, v21
	s_delay_alu instid0(VALU_DEP_1) | instskip(SKIP_1) | instid1(VALU_DEP_1)
	v_mad_u64_u32 v[24:25], null, 0xa2f9836e, v12, v[13:14]
	v_cndmask_b32_e64 v13, 0, 0xffffffe0, s3
	v_add_nc_u32_e32 v10, v13, v10
	s_delay_alu instid0(VALU_DEP_3) | instskip(SKIP_1) | instid1(VALU_DEP_3)
	v_dual_cndmask_b32 v24, v24, v22 :: v_dual_cndmask_b32 v23, v25, v23
	v_dual_cndmask_b32 v22, v22, v20 :: v_dual_cndmask_b32 v13, v21, v19
	v_cmp_eq_u32_e64 s4, 0, v10
	s_delay_alu instid0(VALU_DEP_3) | instskip(NEXT) | instid1(VALU_DEP_4)
	v_cndmask_b32_e64 v19, v24, v26, s2
	v_cndmask_b32_e64 v21, v23, v24, s2
	s_delay_alu instid0(VALU_DEP_4)
	v_cndmask_b32_e64 v23, v26, v22, s2
	v_sub_nc_u32_e32 v24, 32, v10
	v_cndmask_b32_e64 v22, v22, v13, s2
	v_cndmask_b32_e64 v9, v13, v9, s2
	;; [unrolled: 1-line block ×4, first 2 shown]
	s_delay_alu instid0(VALU_DEP_4) | instskip(NEXT) | instid1(VALU_DEP_4)
	v_cndmask_b32_e64 v23, v23, v22, s3
	v_cndmask_b32_e64 v9, v22, v9, s3
	s_delay_alu instid0(VALU_DEP_3) | instskip(NEXT) | instid1(VALU_DEP_3)
	v_alignbit_b32 v25, v21, v19, v24
	v_alignbit_b32 v26, v19, v23, v24
	s_delay_alu instid0(VALU_DEP_3) | instskip(NEXT) | instid1(VALU_DEP_3)
	v_alignbit_b32 v24, v23, v9, v24
	v_cndmask_b32_e64 v10, v25, v21, s4
	s_delay_alu instid0(VALU_DEP_3) | instskip(NEXT) | instid1(VALU_DEP_3)
	v_cndmask_b32_e64 v19, v26, v19, s4
	v_cndmask_b32_e64 v23, v24, v23, s4
	s_delay_alu instid0(VALU_DEP_3) | instskip(NEXT) | instid1(VALU_DEP_3)
	v_bfe_u32 v20, v10, 29, 1
	v_alignbit_b32 v13, v10, v19, 30
	s_delay_alu instid0(VALU_DEP_3) | instskip(SKIP_1) | instid1(VALU_DEP_4)
	v_alignbit_b32 v19, v19, v23, 30
	v_alignbit_b32 v9, v23, v9, 30
	v_sub_nc_u32_e32 v21, 0, v20
	s_delay_alu instid0(VALU_DEP_1) | instskip(SKIP_3) | instid1(VALU_DEP_4)
	v_xor_b32_e32 v22, v13, v21
	v_cmp_ne_u32_e32 vcc_lo, v13, v21
	v_xor_b32_e32 v19, v19, v21
	v_xor_b32_e32 v9, v9, v21
	v_clz_i32_u32_e32 v25, v22
	s_delay_alu instid0(VALU_DEP_1) | instskip(NEXT) | instid1(VALU_DEP_1)
	v_add_nc_u32_e32 v24, 1, v25
	v_cndmask_b32_e32 v13, 33, v24, vcc_lo
	s_delay_alu instid0(VALU_DEP_1) | instskip(NEXT) | instid1(VALU_DEP_1)
	v_sub_nc_u32_e32 v23, 32, v13
	v_alignbit_b32 v21, v22, v19, v23
	v_alignbit_b32 v9, v19, v9, v23
	v_lshrrev_b32_e32 v19, 29, v10
	v_lshrrev_b32_e32 v10, 30, v10
	s_delay_alu instid0(VALU_DEP_3) | instskip(NEXT) | instid1(VALU_DEP_3)
	v_alignbit_b32 v22, v21, v9, 9
	v_lshlrev_b32_e32 v19, 31, v19
	s_delay_alu instid0(VALU_DEP_3) | instskip(SKIP_1) | instid1(VALU_DEP_4)
	v_add_nc_u32_e32 v10, v20, v10
	v_alignbit_b32 v21, v13, v21, 9
	v_clz_i32_u32_e32 v23, v22
	s_delay_alu instid0(VALU_DEP_2) | instskip(SKIP_1) | instid1(VALU_DEP_3)
	v_or_b32_e32 v21, v21, v19
	v_or_b32_e32 v19, 0x33800000, v19
	v_min_u32_e32 v23, 32, v23
	s_delay_alu instid0(VALU_DEP_3) | instskip(NEXT) | instid1(VALU_DEP_2)
	v_xor_b32_e32 v21, 1.0, v21
	v_sub_nc_u32_e32 v24, 31, v23
	v_add_lshl_u32 v13, v23, v13, 23
	s_delay_alu instid0(VALU_DEP_3) | instskip(NEXT) | instid1(VALU_DEP_3)
	v_mul_f32_e32 v23, 0x3fc90fda, v21
	v_alignbit_b32 v9, v22, v9, v24
	s_delay_alu instid0(VALU_DEP_3) | instskip(NEXT) | instid1(VALU_DEP_3)
	v_sub_nc_u32_e32 v13, v19, v13
	v_fma_f32 v19, 0x3fc90fda, v21, -v23
	s_delay_alu instid0(VALU_DEP_3) | instskip(NEXT) | instid1(VALU_DEP_2)
	v_lshrrev_b32_e32 v9, 9, v9
	v_fmac_f32_e32 v19, 0x33a22168, v21
	s_delay_alu instid0(VALU_DEP_2) | instskip(NEXT) | instid1(VALU_DEP_1)
	v_or_b32_e32 v9, v13, v9
	v_fmac_f32_e32 v19, 0x3fc90fda, v9
	s_delay_alu instid0(VALU_DEP_1)
	v_add_f32_e32 v9, v23, v19
.LBB133_122:                            ;   in Loop: Header=BB133_4 Depth=1
	s_or_saveexec_b32 s2, s28
	v_mul_f32_e64 v13, 0x3f22f983, |v2|
	s_delay_alu instid0(VALU_DEP_1)
	v_rndne_f32_e32 v20, v13
	s_xor_b32 exec_lo, exec_lo, s2
; %bb.123:                              ;   in Loop: Header=BB133_4 Depth=1
	s_delay_alu instid0(VALU_DEP_1) | instskip(SKIP_1) | instid1(VALU_DEP_2)
	v_fma_f32 v9, 0xbfc90fda, v20, |v2|
	v_cvt_i32_f32_e32 v10, v20
	v_fmac_f32_e32 v9, 0xb3a22168, v20
	s_delay_alu instid0(VALU_DEP_1)
	v_fmac_f32_e32 v9, 0xa7c234c4, v20
; %bb.124:                              ;   in Loop: Header=BB133_4 Depth=1
	s_or_b32 exec_lo, exec_lo, s2
                                        ; implicit-def: $vgpr19
                                        ; implicit-def: $vgpr13
	s_and_saveexec_b32 s2, s27
	s_delay_alu instid0(SALU_CYCLE_1)
	s_xor_b32 s27, exec_lo, s2
	s_cbranch_execz .LBB133_126
; %bb.125:                              ;   in Loop: Header=BB133_4 Depth=1
	v_mad_u64_u32 v[19:20], null, 0xfe5163ab, v12, 0
	v_cmp_lt_u32_e32 vcc_lo, 63, v18
	v_cndmask_b32_e64 v25, 0, 0xffffffc0, vcc_lo
	s_delay_alu instid0(VALU_DEP_1) | instskip(NEXT) | instid1(VALU_DEP_1)
	v_dual_mov_b32 v13, v20 :: v_dual_add_nc_u32 v18, v25, v18
	v_mad_u64_u32 v[20:21], null, 0x3c439041, v12, v[13:14]
	s_delay_alu instid0(VALU_DEP_2) | instskip(NEXT) | instid1(VALU_DEP_1)
	v_cmp_lt_u32_e64 s2, 31, v18
	v_cndmask_b32_e64 v26, 0, 0xffffffe0, s2
	s_delay_alu instid0(VALU_DEP_1) | instskip(NEXT) | instid1(VALU_DEP_1)
	v_dual_mov_b32 v13, v21 :: v_dual_add_nc_u32 v18, v26, v18
	v_mad_u64_u32 v[21:22], null, 0xdb629599, v12, v[13:14]
	s_delay_alu instid0(VALU_DEP_2) | instskip(NEXT) | instid1(VALU_DEP_2)
	v_cmp_lt_u32_e64 s3, 31, v18
	v_mov_b32_e32 v13, v22
	s_delay_alu instid0(VALU_DEP_3) | instskip(NEXT) | instid1(VALU_DEP_2)
	v_cndmask_b32_e32 v19, v21, v19, vcc_lo
	v_mad_u64_u32 v[22:23], null, 0xf534ddc0, v12, v[13:14]
	s_delay_alu instid0(VALU_DEP_1) | instskip(NEXT) | instid1(VALU_DEP_1)
	v_mov_b32_e32 v13, v23
	v_mad_u64_u32 v[23:24], null, 0xfc2757d1, v12, v[13:14]
	s_delay_alu instid0(VALU_DEP_1) | instskip(NEXT) | instid1(VALU_DEP_1)
	v_mov_b32_e32 v13, v24
	;; [unrolled: 3-line block ×3, first 2 shown]
	v_mad_u64_u32 v[25:26], null, 0xa2f9836e, v12, v[13:14]
	v_cndmask_b32_e64 v12, 0, 0xffffffe0, s3
	s_delay_alu instid0(VALU_DEP_4) | instskip(NEXT) | instid1(VALU_DEP_2)
	v_cndmask_b32_e32 v13, v24, v22, vcc_lo
	v_dual_cndmask_b32 v25, v25, v23 :: v_dual_add_nc_u32 v12, v12, v18
	s_delay_alu instid0(VALU_DEP_4) | instskip(SKIP_1) | instid1(VALU_DEP_3)
	v_dual_cndmask_b32 v24, v26, v24 :: v_dual_cndmask_b32 v23, v23, v21
	v_cndmask_b32_e32 v18, v22, v20, vcc_lo
	v_cmp_eq_u32_e64 s4, 0, v12
	s_delay_alu instid0(VALU_DEP_4) | instskip(NEXT) | instid1(VALU_DEP_4)
	v_cndmask_b32_e64 v20, v25, v13, s2
	v_cndmask_b32_e64 v22, v24, v25, s2
	;; [unrolled: 1-line block ×3, first 2 shown]
	v_sub_nc_u32_e32 v24, 32, v12
	v_cndmask_b32_e64 v23, v23, v18, s2
	v_cndmask_b32_e64 v18, v18, v19, s2
	;; [unrolled: 1-line block ×4, first 2 shown]
	s_delay_alu instid0(VALU_DEP_4) | instskip(NEXT) | instid1(VALU_DEP_4)
	v_cndmask_b32_e64 v13, v13, v23, s3
	v_cndmask_b32_e64 v18, v23, v18, s3
	s_delay_alu instid0(VALU_DEP_3) | instskip(NEXT) | instid1(VALU_DEP_3)
	v_alignbit_b32 v25, v22, v20, v24
	v_alignbit_b32 v26, v20, v13, v24
	s_delay_alu instid0(VALU_DEP_3) | instskip(NEXT) | instid1(VALU_DEP_3)
	v_alignbit_b32 v24, v13, v18, v24
	v_cndmask_b32_e64 v12, v25, v22, s4
	s_delay_alu instid0(VALU_DEP_3) | instskip(NEXT) | instid1(VALU_DEP_3)
	v_cndmask_b32_e64 v20, v26, v20, s4
	v_cndmask_b32_e64 v13, v24, v13, s4
	s_delay_alu instid0(VALU_DEP_3) | instskip(NEXT) | instid1(VALU_DEP_3)
	v_bfe_u32 v21, v12, 29, 1
	v_alignbit_b32 v19, v12, v20, 30
	s_delay_alu instid0(VALU_DEP_3) | instskip(SKIP_1) | instid1(VALU_DEP_4)
	v_alignbit_b32 v20, v20, v13, 30
	v_alignbit_b32 v13, v13, v18, 30
	v_sub_nc_u32_e32 v22, 0, v21
	s_delay_alu instid0(VALU_DEP_1) | instskip(SKIP_3) | instid1(VALU_DEP_4)
	v_xor_b32_e32 v23, v19, v22
	v_cmp_ne_u32_e32 vcc_lo, v19, v22
	v_xor_b32_e32 v18, v20, v22
	v_xor_b32_e32 v13, v13, v22
	v_clz_i32_u32_e32 v25, v23
	s_delay_alu instid0(VALU_DEP_1) | instskip(NEXT) | instid1(VALU_DEP_1)
	v_add_nc_u32_e32 v24, 1, v25
	v_cndmask_b32_e32 v19, 33, v24, vcc_lo
	s_delay_alu instid0(VALU_DEP_1) | instskip(NEXT) | instid1(VALU_DEP_1)
	v_sub_nc_u32_e32 v20, 32, v19
	v_alignbit_b32 v22, v23, v18, v20
	v_alignbit_b32 v13, v18, v13, v20
	v_lshrrev_b32_e32 v18, 29, v12
	v_lshrrev_b32_e32 v12, 30, v12
	s_delay_alu instid0(VALU_DEP_3) | instskip(NEXT) | instid1(VALU_DEP_3)
	v_alignbit_b32 v20, v22, v13, 9
	v_lshlrev_b32_e32 v18, 31, v18
	v_alignbit_b32 v22, v19, v22, 9
	s_delay_alu instid0(VALU_DEP_3) | instskip(NEXT) | instid1(VALU_DEP_2)
	v_clz_i32_u32_e32 v23, v20
	v_or_b32_e32 v22, v22, v18
	v_or_b32_e32 v18, 0x33800000, v18
	s_delay_alu instid0(VALU_DEP_3) | instskip(NEXT) | instid1(VALU_DEP_3)
	v_min_u32_e32 v23, 32, v23
	v_xor_b32_e32 v22, 1.0, v22
	s_delay_alu instid0(VALU_DEP_2) | instskip(SKIP_1) | instid1(VALU_DEP_3)
	v_sub_nc_u32_e32 v24, 31, v23
	v_add_lshl_u32 v19, v23, v19, 23
	v_mul_f32_e32 v23, 0x3fc90fda, v22
	s_delay_alu instid0(VALU_DEP_3) | instskip(NEXT) | instid1(VALU_DEP_3)
	v_alignbit_b32 v13, v20, v13, v24
	v_sub_nc_u32_e32 v18, v18, v19
	s_delay_alu instid0(VALU_DEP_3) | instskip(NEXT) | instid1(VALU_DEP_3)
	v_fma_f32 v19, 0x3fc90fda, v22, -v23
                                        ; implicit-def: $vgpr20
	v_lshrrev_b32_e32 v13, 9, v13
	s_delay_alu instid0(VALU_DEP_2) | instskip(NEXT) | instid1(VALU_DEP_2)
	v_fmac_f32_e32 v19, 0x33a22168, v22
	v_or_b32_e32 v13, v18, v13
	s_delay_alu instid0(VALU_DEP_1) | instskip(NEXT) | instid1(VALU_DEP_1)
	v_fmac_f32_e32 v19, 0x3fc90fda, v13
	v_add_f32_e32 v13, v23, v19
	v_add_nc_u32_e32 v19, v21, v12
	s_and_not1_saveexec_b32 s2, s27
	s_cbranch_execnz .LBB133_127
	s_branch .LBB133_128
.LBB133_126:                            ;   in Loop: Header=BB133_4 Depth=1
	s_and_not1_saveexec_b32 s2, s27
.LBB133_127:                            ;   in Loop: Header=BB133_4 Depth=1
	v_fma_f32 v13, 0xbfc90fda, v20, |v2|
	v_cvt_i32_f32_e32 v19, v20
	s_delay_alu instid0(VALU_DEP_2) | instskip(NEXT) | instid1(VALU_DEP_1)
	v_fmac_f32_e32 v13, 0xb3a22168, v20
	v_fmac_f32_e32 v13, 0xa7c234c4, v20
.LBB133_128:                            ;   in Loop: Header=BB133_4 Depth=1
	s_or_b32 exec_lo, exec_lo, s2
	s_delay_alu instid0(VALU_DEP_1) | instskip(SKIP_2) | instid1(VALU_DEP_3)
	v_mul_f32_e32 v18, v13, v13
	v_dual_mul_f32 v12, v9, v9 :: v_dual_and_b32 v25, 1, v19
	v_lshlrev_b32_e32 v19, 30, v19
	v_fmaak_f32 v23, s22, v18, 0x3c0881c4
	s_delay_alu instid0(VALU_DEP_3) | instskip(SKIP_2) | instid1(VALU_DEP_4)
	v_fmaak_f32 v21, s22, v12, 0x3c0881c4
	v_fmaak_f32 v22, s23, v12, 0xbab64f3b
	v_and_b32_e32 v20, 1, v10
	v_dual_fmaak_f32 v23, v18, v23, 0xbe2aaa9d :: v_dual_lshlrev_b32 v10, 30, v10
	v_fmaak_f32 v24, s23, v18, 0xbab64f3b
	v_fmaak_f32 v21, v12, v21, 0xbe2aaa9d
	;; [unrolled: 1-line block ×3, first 2 shown]
	v_cmp_eq_u32_e32 vcc_lo, 0, v20
	v_mul_f32_e32 v23, v18, v23
	s_delay_alu instid0(VALU_DEP_4) | instskip(NEXT) | instid1(VALU_DEP_4)
	v_dual_fmaak_f32 v24, v18, v24, 0x3d2aabf7 :: v_dual_mul_f32 v21, v12, v21
	v_fmaak_f32 v22, v12, v22, 0xbf000004
	s_delay_alu instid0(VALU_DEP_3) | instskip(NEXT) | instid1(VALU_DEP_3)
	v_dual_fmac_f32 v13, v13, v23 :: v_dual_and_b32 v10, 0x80000000, v10
	v_dual_fmaak_f32 v24, v18, v24, 0xbf000004 :: v_dual_fmac_f32 v9, v9, v21
	s_delay_alu instid0(VALU_DEP_3) | instskip(SKIP_1) | instid1(VALU_DEP_3)
	v_fma_f32 v12, v12, v22, 1.0
	v_and_or_b32 v11, 0x80000000, v19, v11
	v_fma_f32 v18, v18, v24, 1.0
	s_delay_alu instid0(VALU_DEP_3) | instskip(SKIP_1) | instid1(VALU_DEP_2)
	v_cndmask_b32_e64 v9, -v9, v12, vcc_lo
	v_cmp_eq_u32_e32 vcc_lo, 0, v25
	v_xor_b32_e32 v9, v10, v9
	s_delay_alu instid0(VALU_DEP_4) | instskip(SKIP_1) | instid1(VALU_DEP_2)
	v_cndmask_b32_e32 v12, v18, v13, vcc_lo
	v_cmp_class_f32_e64 vcc_lo, v2, 0x1f8
	v_xor3_b32 v10, v11, v12, v2
	s_delay_alu instid0(VALU_DEP_4) | instskip(NEXT) | instid1(VALU_DEP_2)
	v_cndmask_b32_e32 v9, 0x7fc00000, v9, vcc_lo
	v_cndmask_b32_e32 v10, 0x7fc00000, v10, vcc_lo
.LBB133_129:                            ;   in Loop: Header=BB133_4 Depth=1
	s_or_b32 exec_lo, exec_lo, s26
.LBB133_130:                            ;   in Loop: Header=BB133_4 Depth=1
	s_and_not1_saveexec_b32 s2, s25
	s_cbranch_execz .LBB133_132
; %bb.131:                              ;   in Loop: Header=BB133_4 Depth=1
	v_mul_f32_e32 v9, 0x3fb8aa3b, v1
	v_cmp_ngt_f32_e32 vcc_lo, 0xc2ce8ed0, v1
	s_delay_alu instid0(VALU_DEP_2) | instskip(SKIP_1) | instid1(VALU_DEP_2)
	v_rndne_f32_e32 v10, v9
	v_fma_f32 v11, 0x3fb8aa3b, v1, -v9
	v_sub_f32_e32 v9, v9, v10
	s_delay_alu instid0(VALU_DEP_2) | instskip(SKIP_1) | instid1(VALU_DEP_2)
	v_fmac_f32_e32 v11, 0x32a5705f, v1
	v_cvt_i32_f32_e32 v10, v10
	v_add_f32_e32 v9, v9, v11
	s_delay_alu instid0(VALU_DEP_1) | instskip(SKIP_2) | instid1(VALU_DEP_1)
	v_exp_f32_e32 v9, v9
	s_waitcnt_depctr 0xfff
	v_ldexp_f32 v9, v9, v10
	v_dual_mov_b32 v10, v2 :: v_dual_cndmask_b32 v9, 0, v9
	v_cmp_nlt_f32_e32 vcc_lo, 0x42b17218, v1
	s_delay_alu instid0(VALU_DEP_2)
	v_cndmask_b32_e32 v9, 0x7f800000, v9, vcc_lo
.LBB133_132:                            ;   in Loop: Header=BB133_4 Depth=1
	s_or_b32 exec_lo, exec_lo, s2
	v_and_b32_e32 v1, 0x7fffffff, v4
	s_mov_b32 s2, exec_lo
	s_delay_alu instid0(VALU_DEP_1)
	v_cmpx_ne_u32_e32 0, v1
	s_xor_b32 s25, exec_lo, s2
	s_cbranch_execz .LBB133_174
; %bb.133:                              ;   in Loop: Header=BB133_4 Depth=1
	v_and_b32_e32 v2, 0x7fffffff, v3
	s_mov_b32 s2, exec_lo
	s_delay_alu instid0(VALU_DEP_1)
	v_cmpx_ne_u32_e32 0, v2
	s_xor_b32 s26, exec_lo, s2
	s_cbranch_execz .LBB133_163
; %bb.134:                              ;   in Loop: Header=BB133_4 Depth=1
	s_mov_b32 s2, exec_lo
	v_cmpx_gt_u32_e32 0x7f800000, v1
	s_xor_b32 s27, exec_lo, s2
	s_cbranch_execz .LBB133_156
; %bb.135:                              ;   in Loop: Header=BB133_4 Depth=1
	v_add_nc_u32_e32 v2, 0xbd4e8de8, v3
	s_mov_b32 s2, exec_lo
	s_delay_alu instid0(VALU_DEP_1)
	v_cmpx_lt_u32_e32 0x8e8e5c, v2
	s_xor_b32 s28, exec_lo, s2
	s_cbranch_execz .LBB133_145
; %bb.136:                              ;   in Loop: Header=BB133_4 Depth=1
	v_cmp_ngt_f32_e64 s29, 0x48000000, |v4|
                                        ; implicit-def: $vgpr11
                                        ; implicit-def: $vgpr2
	s_delay_alu instid0(VALU_DEP_1) | instskip(NEXT) | instid1(SALU_CYCLE_1)
	s_and_saveexec_b32 s2, s29
	s_xor_b32 s30, exec_lo, s2
	s_cbranch_execz .LBB133_138
; %bb.137:                              ;   in Loop: Header=BB133_4 Depth=1
	v_and_or_b32 v2, v1, s21, 0x800000
	s_delay_alu instid0(VALU_DEP_1) | instskip(NEXT) | instid1(VALU_DEP_1)
	v_mad_u64_u32 v[11:12], null, 0xfe5163ab, v2, 0
	v_mov_b32_e32 v13, v12
	v_lshrrev_b32_e32 v12, 23, v1
	s_delay_alu instid0(VALU_DEP_1) | instskip(NEXT) | instid1(VALU_DEP_3)
	v_add_nc_u32_e32 v12, 0xffffff88, v12
	v_mad_u64_u32 v[18:19], null, 0x3c439041, v2, v[13:14]
	s_delay_alu instid0(VALU_DEP_2) | instskip(SKIP_1) | instid1(VALU_DEP_1)
	v_cmp_lt_u32_e32 vcc_lo, 63, v12
	v_cndmask_b32_e64 v23, 0, 0xffffffc0, vcc_lo
	v_add_nc_u32_e32 v12, v23, v12
	s_delay_alu instid0(VALU_DEP_1) | instskip(NEXT) | instid1(VALU_DEP_1)
	v_cmp_lt_u32_e64 s2, 31, v12
	v_cndmask_b32_e64 v24, 0, 0xffffffe0, s2
	s_delay_alu instid0(VALU_DEP_1) | instskip(NEXT) | instid1(VALU_DEP_1)
	v_dual_mov_b32 v13, v19 :: v_dual_add_nc_u32 v12, v24, v12
	v_mad_u64_u32 v[19:20], null, 0xdb629599, v2, v[13:14]
	s_delay_alu instid0(VALU_DEP_2) | instskip(NEXT) | instid1(VALU_DEP_2)
	v_cmp_lt_u32_e64 s3, 31, v12
	v_mov_b32_e32 v13, v20
	s_delay_alu instid0(VALU_DEP_3) | instskip(NEXT) | instid1(VALU_DEP_2)
	v_cndmask_b32_e32 v11, v19, v11, vcc_lo
	v_mad_u64_u32 v[20:21], null, 0xf534ddc0, v2, v[13:14]
	s_delay_alu instid0(VALU_DEP_1) | instskip(NEXT) | instid1(VALU_DEP_1)
	v_mov_b32_e32 v13, v21
	v_mad_u64_u32 v[21:22], null, 0xfc2757d1, v2, v[13:14]
	s_delay_alu instid0(VALU_DEP_1) | instskip(NEXT) | instid1(VALU_DEP_1)
	v_mov_b32_e32 v13, v22
	;; [unrolled: 3-line block ×3, first 2 shown]
	v_mad_u64_u32 v[23:24], null, 0xa2f9836e, v2, v[13:14]
	v_cndmask_b32_e64 v2, 0, 0xffffffe0, s3
	s_delay_alu instid0(VALU_DEP_4) | instskip(NEXT) | instid1(VALU_DEP_2)
	v_cndmask_b32_e32 v13, v22, v20, vcc_lo
	v_dual_cndmask_b32 v23, v23, v21 :: v_dual_add_nc_u32 v2, v2, v12
	s_delay_alu instid0(VALU_DEP_4) | instskip(SKIP_1) | instid1(VALU_DEP_3)
	v_dual_cndmask_b32 v22, v24, v22 :: v_dual_cndmask_b32 v21, v21, v19
	v_cndmask_b32_e32 v12, v20, v18, vcc_lo
	v_cmp_eq_u32_e64 s4, 0, v2
	s_delay_alu instid0(VALU_DEP_4) | instskip(NEXT) | instid1(VALU_DEP_4)
	v_cndmask_b32_e64 v18, v23, v13, s2
	v_cndmask_b32_e64 v20, v22, v23, s2
	;; [unrolled: 1-line block ×3, first 2 shown]
	v_sub_nc_u32_e32 v22, 32, v2
	v_cndmask_b32_e64 v21, v21, v12, s2
	v_cndmask_b32_e64 v11, v12, v11, s2
	;; [unrolled: 1-line block ×4, first 2 shown]
	s_delay_alu instid0(VALU_DEP_4) | instskip(NEXT) | instid1(VALU_DEP_4)
	v_cndmask_b32_e64 v13, v13, v21, s3
	v_cndmask_b32_e64 v11, v21, v11, s3
	s_delay_alu instid0(VALU_DEP_3) | instskip(NEXT) | instid1(VALU_DEP_3)
	v_alignbit_b32 v23, v20, v18, v22
	v_alignbit_b32 v24, v18, v13, v22
	s_delay_alu instid0(VALU_DEP_3) | instskip(NEXT) | instid1(VALU_DEP_3)
	v_alignbit_b32 v22, v13, v11, v22
	v_cndmask_b32_e64 v2, v23, v20, s4
	s_delay_alu instid0(VALU_DEP_3) | instskip(NEXT) | instid1(VALU_DEP_3)
	v_cndmask_b32_e64 v18, v24, v18, s4
	v_cndmask_b32_e64 v13, v22, v13, s4
	s_delay_alu instid0(VALU_DEP_3) | instskip(NEXT) | instid1(VALU_DEP_3)
	v_bfe_u32 v19, v2, 29, 1
	v_alignbit_b32 v12, v2, v18, 30
	s_delay_alu instid0(VALU_DEP_3) | instskip(SKIP_1) | instid1(VALU_DEP_4)
	v_alignbit_b32 v18, v18, v13, 30
	v_alignbit_b32 v11, v13, v11, 30
	v_sub_nc_u32_e32 v20, 0, v19
	s_delay_alu instid0(VALU_DEP_1) | instskip(SKIP_3) | instid1(VALU_DEP_4)
	v_xor_b32_e32 v21, v12, v20
	v_cmp_ne_u32_e32 vcc_lo, v12, v20
	v_xor_b32_e32 v13, v18, v20
	v_xor_b32_e32 v11, v11, v20
	v_clz_i32_u32_e32 v23, v21
	s_delay_alu instid0(VALU_DEP_1) | instskip(NEXT) | instid1(VALU_DEP_1)
	v_add_nc_u32_e32 v22, 1, v23
	v_cndmask_b32_e32 v12, 33, v22, vcc_lo
	s_delay_alu instid0(VALU_DEP_1) | instskip(NEXT) | instid1(VALU_DEP_1)
	v_sub_nc_u32_e32 v18, 32, v12
	v_alignbit_b32 v20, v21, v13, v18
	v_alignbit_b32 v11, v13, v11, v18
	v_lshrrev_b32_e32 v13, 29, v2
	s_delay_alu instid0(VALU_DEP_2) | instskip(NEXT) | instid1(VALU_DEP_2)
	v_alignbit_b32 v18, v20, v11, 9
	v_lshlrev_b32_e32 v13, 31, v13
	v_alignbit_b32 v20, v12, v20, 9
	s_delay_alu instid0(VALU_DEP_3) | instskip(NEXT) | instid1(VALU_DEP_2)
	v_clz_i32_u32_e32 v21, v18
	v_or_b32_e32 v20, v20, v13
	v_or_b32_e32 v13, 0x33800000, v13
	s_delay_alu instid0(VALU_DEP_3) | instskip(NEXT) | instid1(VALU_DEP_3)
	v_min_u32_e32 v21, 32, v21
	v_xor_b32_e32 v20, 1.0, v20
	s_delay_alu instid0(VALU_DEP_2) | instskip(SKIP_1) | instid1(VALU_DEP_3)
	v_sub_nc_u32_e32 v22, 31, v21
	v_add_lshl_u32 v12, v21, v12, 23
	v_mul_f32_e32 v21, 0x3fc90fda, v20
	s_delay_alu instid0(VALU_DEP_3) | instskip(NEXT) | instid1(VALU_DEP_3)
	v_alignbit_b32 v11, v18, v11, v22
	v_sub_nc_u32_e32 v12, v13, v12
	s_delay_alu instid0(VALU_DEP_3) | instskip(NEXT) | instid1(VALU_DEP_3)
	v_fma_f32 v13, 0x3fc90fda, v20, -v21
	v_lshrrev_b32_e32 v11, 9, v11
	s_delay_alu instid0(VALU_DEP_2) | instskip(NEXT) | instid1(VALU_DEP_2)
	v_fmac_f32_e32 v13, 0x33a22168, v20
	v_or_b32_e32 v11, v12, v11
	s_delay_alu instid0(VALU_DEP_1) | instskip(SKIP_1) | instid1(VALU_DEP_1)
	v_fmac_f32_e32 v13, 0x3fc90fda, v11
	v_lshrrev_b32_e32 v11, 30, v2
	v_dual_add_f32 v2, v21, v13 :: v_dual_add_nc_u32 v11, v19, v11
	s_and_not1_saveexec_b32 s2, s30
	s_branch .LBB133_139
.LBB133_138:                            ;   in Loop: Header=BB133_4 Depth=1
	s_and_not1_saveexec_b32 s2, s30
.LBB133_139:                            ;   in Loop: Header=BB133_4 Depth=1
	v_mul_f32_e64 v2, 0x3f22f983, |v4|
	s_delay_alu instid0(VALU_DEP_1) | instskip(NEXT) | instid1(VALU_DEP_1)
	v_rndne_f32_e32 v11, v2
	v_fma_f32 v2, 0xbfc90fda, v11, |v4|
	s_delay_alu instid0(VALU_DEP_1) | instskip(NEXT) | instid1(VALU_DEP_1)
	v_fmac_f32_e32 v2, 0xb3a22168, v11
	v_fmac_f32_e32 v2, 0xa7c234c4, v11
	v_cvt_i32_f32_e32 v11, v11
; %bb.140:                              ;   in Loop: Header=BB133_4 Depth=1
	s_or_b32 exec_lo, exec_lo, s2
                                        ; implicit-def: $vgpr13
                                        ; implicit-def: $vgpr12
	s_and_saveexec_b32 s2, s29
	s_delay_alu instid0(SALU_CYCLE_1)
	s_xor_b32 s29, exec_lo, s2
	s_cbranch_execz .LBB133_142
; %bb.141:                              ;   in Loop: Header=BB133_4 Depth=1
	v_and_or_b32 v25, v1, s21, 0x800000
	v_lshrrev_b32_e32 v22, 23, v1
	s_delay_alu instid0(VALU_DEP_2) | instskip(NEXT) | instid1(VALU_DEP_2)
	v_mad_u64_u32 v[12:13], null, 0xfe5163ab, v25, 0
	v_add_nc_u32_e32 v23, 0xffffff88, v22
	s_delay_alu instid0(VALU_DEP_1) | instskip(NEXT) | instid1(VALU_DEP_3)
	v_cmp_lt_u32_e32 vcc_lo, 63, v23
	v_mad_u64_u32 v[18:19], null, 0x3c439041, v25, v[13:14]
	v_cndmask_b32_e64 v24, 0, 0xffffffc0, vcc_lo
	s_delay_alu instid0(VALU_DEP_1) | instskip(NEXT) | instid1(VALU_DEP_1)
	v_dual_mov_b32 v13, v19 :: v_dual_add_nc_u32 v24, v24, v23
	v_mad_u64_u32 v[19:20], null, 0xdb629599, v25, v[13:14]
	s_delay_alu instid0(VALU_DEP_2) | instskip(NEXT) | instid1(VALU_DEP_1)
	v_cmp_lt_u32_e64 s2, 31, v24
	v_cndmask_b32_e64 v26, 0, 0xffffffe0, s2
	s_delay_alu instid0(VALU_DEP_3) | instskip(NEXT) | instid1(VALU_DEP_2)
	v_dual_mov_b32 v13, v20 :: v_dual_cndmask_b32 v12, v19, v12
	v_add_nc_u32_e32 v26, v26, v24
	s_delay_alu instid0(VALU_DEP_2) | instskip(NEXT) | instid1(VALU_DEP_2)
	v_mad_u64_u32 v[20:21], null, 0xf534ddc0, v25, v[13:14]
	v_cmp_lt_u32_e64 s3, 31, v26
	s_delay_alu instid0(VALU_DEP_2) | instskip(NEXT) | instid1(VALU_DEP_1)
	v_dual_mov_b32 v13, v21 :: v_dual_cndmask_b32 v18, v20, v18
	v_mad_u64_u32 v[21:22], null, 0xfc2757d1, v25, v[13:14]
	s_delay_alu instid0(VALU_DEP_2) | instskip(NEXT) | instid1(VALU_DEP_2)
	v_cndmask_b32_e64 v12, v18, v12, s2
	v_mov_b32_e32 v13, v22
	s_delay_alu instid0(VALU_DEP_1) | instskip(NEXT) | instid1(VALU_DEP_1)
	v_mad_u64_u32 v[22:23], null, 0x4e441529, v25, v[13:14]
	v_mov_b32_e32 v13, v23
	s_delay_alu instid0(VALU_DEP_1) | instskip(SKIP_1) | instid1(VALU_DEP_4)
	v_mad_u64_u32 v[23:24], null, 0xa2f9836e, v25, v[13:14]
	v_cndmask_b32_e64 v13, 0, 0xffffffe0, s3
	v_cndmask_b32_e32 v25, v22, v20, vcc_lo
	s_delay_alu instid0(VALU_DEP_2) | instskip(NEXT) | instid1(VALU_DEP_4)
	v_add_nc_u32_e32 v13, v13, v26
	v_dual_cndmask_b32 v23, v23, v21 :: v_dual_cndmask_b32 v22, v24, v22
	v_cndmask_b32_e32 v21, v21, v19, vcc_lo
	s_delay_alu instid0(VALU_DEP_3) | instskip(NEXT) | instid1(VALU_DEP_3)
	v_sub_nc_u32_e32 v24, 32, v13
	v_cndmask_b32_e64 v20, v23, v25, s2
	s_delay_alu instid0(VALU_DEP_4) | instskip(NEXT) | instid1(VALU_DEP_4)
	v_cndmask_b32_e64 v22, v22, v23, s2
	v_cndmask_b32_e64 v23, v25, v21, s2
	;; [unrolled: 1-line block ×3, first 2 shown]
	v_cmp_eq_u32_e64 s4, 0, v13
	s_delay_alu instid0(VALU_DEP_4) | instskip(NEXT) | instid1(VALU_DEP_4)
	v_cndmask_b32_e64 v22, v22, v20, s3
	v_cndmask_b32_e64 v20, v20, v23, s3
	s_delay_alu instid0(VALU_DEP_4) | instskip(SKIP_1) | instid1(VALU_DEP_3)
	v_cndmask_b32_e64 v23, v23, v21, s3
	v_cndmask_b32_e64 v12, v21, v12, s3
	v_alignbit_b32 v25, v22, v20, v24
	s_delay_alu instid0(VALU_DEP_3) | instskip(NEXT) | instid1(VALU_DEP_3)
	v_alignbit_b32 v26, v20, v23, v24
	v_alignbit_b32 v24, v23, v12, v24
	s_delay_alu instid0(VALU_DEP_3) | instskip(NEXT) | instid1(VALU_DEP_3)
	v_cndmask_b32_e64 v13, v25, v22, s4
	v_cndmask_b32_e64 v19, v26, v20, s4
	s_delay_alu instid0(VALU_DEP_3) | instskip(NEXT) | instid1(VALU_DEP_3)
	v_cndmask_b32_e64 v23, v24, v23, s4
	v_bfe_u32 v20, v13, 29, 1
	s_delay_alu instid0(VALU_DEP_3) | instskip(NEXT) | instid1(VALU_DEP_3)
	v_alignbit_b32 v18, v13, v19, 30
	v_alignbit_b32 v19, v19, v23, 30
	;; [unrolled: 1-line block ×3, first 2 shown]
	s_delay_alu instid0(VALU_DEP_4) | instskip(NEXT) | instid1(VALU_DEP_1)
	v_sub_nc_u32_e32 v22, 0, v20
	v_xor_b32_e32 v21, v18, v22
	v_cmp_ne_u32_e32 vcc_lo, v18, v22
	v_xor_b32_e32 v19, v19, v22
	v_xor_b32_e32 v12, v12, v22
	s_delay_alu instid0(VALU_DEP_4) | instskip(NEXT) | instid1(VALU_DEP_1)
	v_clz_i32_u32_e32 v25, v21
	v_add_nc_u32_e32 v24, 1, v25
	s_delay_alu instid0(VALU_DEP_1) | instskip(NEXT) | instid1(VALU_DEP_1)
	v_cndmask_b32_e32 v18, 33, v24, vcc_lo
	v_sub_nc_u32_e32 v23, 32, v18
	s_delay_alu instid0(VALU_DEP_1) | instskip(SKIP_3) | instid1(VALU_DEP_3)
	v_alignbit_b32 v21, v21, v19, v23
	v_alignbit_b32 v12, v19, v12, v23
	v_lshrrev_b32_e32 v19, 29, v13
	v_lshrrev_b32_e32 v13, 30, v13
	v_alignbit_b32 v22, v21, v12, 9
	s_delay_alu instid0(VALU_DEP_3) | instskip(SKIP_1) | instid1(VALU_DEP_4)
	v_lshlrev_b32_e32 v19, 31, v19
	v_alignbit_b32 v21, v18, v21, 9
	v_add_nc_u32_e32 v13, v20, v13
	s_delay_alu instid0(VALU_DEP_4) | instskip(NEXT) | instid1(VALU_DEP_3)
	v_clz_i32_u32_e32 v23, v22
	v_or_b32_e32 v21, v21, v19
	v_or_b32_e32 v19, 0x33800000, v19
	s_delay_alu instid0(VALU_DEP_3) | instskip(NEXT) | instid1(VALU_DEP_3)
	v_min_u32_e32 v23, 32, v23
	v_xor_b32_e32 v21, 1.0, v21
	s_delay_alu instid0(VALU_DEP_2) | instskip(SKIP_1) | instid1(VALU_DEP_3)
	v_sub_nc_u32_e32 v24, 31, v23
	v_add_lshl_u32 v18, v23, v18, 23
	v_mul_f32_e32 v23, 0x3fc90fda, v21
	s_delay_alu instid0(VALU_DEP_3) | instskip(NEXT) | instid1(VALU_DEP_3)
	v_alignbit_b32 v12, v22, v12, v24
	v_sub_nc_u32_e32 v18, v19, v18
	s_delay_alu instid0(VALU_DEP_3) | instskip(NEXT) | instid1(VALU_DEP_3)
	v_fma_f32 v19, 0x3fc90fda, v21, -v23
	v_lshrrev_b32_e32 v12, 9, v12
	s_delay_alu instid0(VALU_DEP_2) | instskip(NEXT) | instid1(VALU_DEP_2)
	v_fmac_f32_e32 v19, 0x33a22168, v21
	v_or_b32_e32 v12, v18, v12
	s_delay_alu instid0(VALU_DEP_1) | instskip(NEXT) | instid1(VALU_DEP_1)
	v_fmac_f32_e32 v19, 0x3fc90fda, v12
	v_add_f32_e32 v12, v23, v19
	s_and_not1_saveexec_b32 s2, s29
	s_cbranch_execnz .LBB133_143
	s_branch .LBB133_144
.LBB133_142:                            ;   in Loop: Header=BB133_4 Depth=1
	s_and_not1_saveexec_b32 s2, s29
.LBB133_143:                            ;   in Loop: Header=BB133_4 Depth=1
	v_mul_f32_e64 v12, 0x3f22f983, |v4|
	s_delay_alu instid0(VALU_DEP_1) | instskip(NEXT) | instid1(VALU_DEP_1)
	v_rndne_f32_e32 v13, v12
	v_fma_f32 v12, 0xbfc90fda, v13, |v4|
	s_delay_alu instid0(VALU_DEP_1) | instskip(NEXT) | instid1(VALU_DEP_1)
	v_fmac_f32_e32 v12, 0xb3a22168, v13
	v_fmac_f32_e32 v12, 0xa7c234c4, v13
	v_cvt_i32_f32_e32 v13, v13
.LBB133_144:                            ;   in Loop: Header=BB133_4 Depth=1
	s_or_b32 exec_lo, exec_lo, s2
	v_dual_mul_f32 v18, 0x3fb8aa3b, v3 :: v_dual_mul_f32 v19, v2, v2
	s_delay_alu instid0(VALU_DEP_2) | instskip(NEXT) | instid1(VALU_DEP_3)
	v_dual_mul_f32 v23, v12, v12 :: v_dual_and_b32 v20, 1, v11
	v_and_b32_e32 v24, 1, v13
	s_delay_alu instid0(VALU_DEP_3) | instskip(NEXT) | instid1(VALU_DEP_4)
	v_rndne_f32_e32 v21, v18
	v_fmaak_f32 v25, s22, v19, 0x3c0881c4
	v_fma_f32 v22, 0x3fb8aa3b, v3, -v18
	v_lshlrev_b32_e32 v11, 30, v11
	v_lshlrev_b32_e32 v13, 30, v13
	v_sub_f32_e32 v18, v18, v21
	v_fmaak_f32 v26, s23, v19, 0xbab64f3b
	v_fmac_f32_e32 v22, 0x32a5705f, v3
	v_fmaak_f32 v27, s22, v23, 0x3c0881c4
	v_cvt_i32_f32_e32 v21, v21
	v_fmaak_f32 v28, s23, v23, 0xbab64f3b
	v_cmp_eq_u32_e32 vcc_lo, 0, v20
	v_add_f32_e32 v18, v18, v22
	v_and_or_b32 v1, 0x80000000, v13, v1
	v_cmp_nlt_f32_e64 s2, 0x42b17218, v3
	v_and_b32_e32 v11, 0x80000000, v11
	s_delay_alu instid0(VALU_DEP_4)
	v_exp_f32_e32 v18, v18
	s_waitcnt_depctr 0xfff
	v_ldexp_f32 v18, v18, v21
	v_fmaak_f32 v22, v19, v25, 0xbe2aaa9d
	v_fmaak_f32 v25, v19, v26, 0x3d2aabf7
	;; [unrolled: 1-line block ×3, first 2 shown]
	s_delay_alu instid0(VALU_DEP_3) | instskip(SKIP_1) | instid1(VALU_DEP_3)
	v_mul_f32_e32 v22, v19, v22
	v_fmaak_f32 v27, v23, v28, 0x3d2aabf7
	v_mul_f32_e32 v26, v23, v26
	s_delay_alu instid0(VALU_DEP_3) | instskip(NEXT) | instid1(VALU_DEP_2)
	v_dual_fmaak_f32 v25, v19, v25, 0xbf000004 :: v_dual_fmac_f32 v2, v2, v22
	v_dual_fmaak_f32 v27, v23, v27, 0xbf000004 :: v_dual_fmac_f32 v12, v12, v26
	s_delay_alu instid0(VALU_DEP_2) | instskip(NEXT) | instid1(VALU_DEP_2)
	v_fma_f32 v19, v19, v25, 1.0
	v_fma_f32 v22, v23, v27, 1.0
	s_delay_alu instid0(VALU_DEP_2) | instskip(SKIP_1) | instid1(VALU_DEP_2)
	v_cndmask_b32_e64 v2, -v2, v19, vcc_lo
	v_cmp_eq_u32_e32 vcc_lo, 0, v24
	v_xor_b32_e32 v2, v11, v2
	s_delay_alu instid0(VALU_DEP_4) | instskip(SKIP_1) | instid1(VALU_DEP_2)
	v_cndmask_b32_e32 v12, v22, v12, vcc_lo
	v_cmp_ngt_f32_e32 vcc_lo, 0xc2ce8ed0, v3
	v_xor3_b32 v1, v1, v12, v4
	v_cndmask_b32_e32 v13, 0, v18, vcc_lo
	v_cmp_class_f32_e64 vcc_lo, v4, 0x1f8
	s_delay_alu instid0(VALU_DEP_2) | instskip(SKIP_2) | instid1(VALU_DEP_2)
	v_cndmask_b32_e64 v3, 0x7f800000, v13, s2
	v_cndmask_b32_e32 v2, 0x7fc00000, v2, vcc_lo
	v_cndmask_b32_e32 v1, 0x7fc00000, v1, vcc_lo
	v_mul_f32_e32 v11, v3, v2
	s_delay_alu instid0(VALU_DEP_2)
	v_mul_f32_e32 v12, v3, v1
                                        ; implicit-def: $vgpr1_vgpr2_vgpr3_vgpr4
                                        ; implicit-def: $vgpr1
.LBB133_145:                            ;   in Loop: Header=BB133_4 Depth=1
	s_and_not1_saveexec_b32 s28, s28
	s_cbranch_execz .LBB133_155
; %bb.146:                              ;   in Loop: Header=BB133_4 Depth=1
	v_cmp_ngt_f32_e64 s29, 0x48000000, |v4|
                                        ; implicit-def: $vgpr11
                                        ; implicit-def: $vgpr2
	s_delay_alu instid0(VALU_DEP_1) | instskip(NEXT) | instid1(SALU_CYCLE_1)
	s_and_saveexec_b32 s2, s29
	s_xor_b32 s30, exec_lo, s2
	s_cbranch_execz .LBB133_148
; %bb.147:                              ;   in Loop: Header=BB133_4 Depth=1
	v_and_or_b32 v2, v1, s21, 0x800000
	s_delay_alu instid0(VALU_DEP_1) | instskip(NEXT) | instid1(VALU_DEP_1)
	v_mad_u64_u32 v[11:12], null, 0xfe5163ab, v2, 0
	v_mov_b32_e32 v13, v12
	v_lshrrev_b32_e32 v12, 23, v1
	s_delay_alu instid0(VALU_DEP_1) | instskip(NEXT) | instid1(VALU_DEP_3)
	v_add_nc_u32_e32 v12, 0xffffff88, v12
	v_mad_u64_u32 v[18:19], null, 0x3c439041, v2, v[13:14]
	s_delay_alu instid0(VALU_DEP_2) | instskip(SKIP_1) | instid1(VALU_DEP_1)
	v_cmp_lt_u32_e32 vcc_lo, 63, v12
	v_cndmask_b32_e64 v23, 0, 0xffffffc0, vcc_lo
	v_add_nc_u32_e32 v12, v23, v12
	s_delay_alu instid0(VALU_DEP_1) | instskip(NEXT) | instid1(VALU_DEP_1)
	v_cmp_lt_u32_e64 s2, 31, v12
	v_cndmask_b32_e64 v24, 0, 0xffffffe0, s2
	s_delay_alu instid0(VALU_DEP_1) | instskip(NEXT) | instid1(VALU_DEP_1)
	v_dual_mov_b32 v13, v19 :: v_dual_add_nc_u32 v12, v24, v12
	v_mad_u64_u32 v[19:20], null, 0xdb629599, v2, v[13:14]
	s_delay_alu instid0(VALU_DEP_2) | instskip(NEXT) | instid1(VALU_DEP_2)
	v_cmp_lt_u32_e64 s3, 31, v12
	v_mov_b32_e32 v13, v20
	s_delay_alu instid0(VALU_DEP_3) | instskip(NEXT) | instid1(VALU_DEP_2)
	v_cndmask_b32_e32 v11, v19, v11, vcc_lo
	v_mad_u64_u32 v[20:21], null, 0xf534ddc0, v2, v[13:14]
	s_delay_alu instid0(VALU_DEP_1) | instskip(NEXT) | instid1(VALU_DEP_1)
	v_mov_b32_e32 v13, v21
	v_mad_u64_u32 v[21:22], null, 0xfc2757d1, v2, v[13:14]
	s_delay_alu instid0(VALU_DEP_1) | instskip(NEXT) | instid1(VALU_DEP_1)
	v_mov_b32_e32 v13, v22
	;; [unrolled: 3-line block ×3, first 2 shown]
	v_mad_u64_u32 v[23:24], null, 0xa2f9836e, v2, v[13:14]
	v_cndmask_b32_e64 v2, 0, 0xffffffe0, s3
	s_delay_alu instid0(VALU_DEP_4) | instskip(NEXT) | instid1(VALU_DEP_2)
	v_cndmask_b32_e32 v13, v22, v20, vcc_lo
	v_dual_cndmask_b32 v23, v23, v21 :: v_dual_add_nc_u32 v2, v2, v12
	s_delay_alu instid0(VALU_DEP_4) | instskip(SKIP_1) | instid1(VALU_DEP_3)
	v_dual_cndmask_b32 v22, v24, v22 :: v_dual_cndmask_b32 v21, v21, v19
	v_cndmask_b32_e32 v12, v20, v18, vcc_lo
	v_cmp_eq_u32_e64 s4, 0, v2
	s_delay_alu instid0(VALU_DEP_4) | instskip(NEXT) | instid1(VALU_DEP_4)
	v_cndmask_b32_e64 v18, v23, v13, s2
	v_cndmask_b32_e64 v20, v22, v23, s2
	;; [unrolled: 1-line block ×3, first 2 shown]
	v_sub_nc_u32_e32 v22, 32, v2
	v_cndmask_b32_e64 v21, v21, v12, s2
	v_cndmask_b32_e64 v11, v12, v11, s2
	v_cndmask_b32_e64 v20, v20, v18, s3
	v_cndmask_b32_e64 v18, v18, v13, s3
	s_delay_alu instid0(VALU_DEP_4) | instskip(NEXT) | instid1(VALU_DEP_4)
	v_cndmask_b32_e64 v13, v13, v21, s3
	v_cndmask_b32_e64 v11, v21, v11, s3
	s_delay_alu instid0(VALU_DEP_3) | instskip(NEXT) | instid1(VALU_DEP_3)
	v_alignbit_b32 v23, v20, v18, v22
	v_alignbit_b32 v24, v18, v13, v22
	s_delay_alu instid0(VALU_DEP_3) | instskip(NEXT) | instid1(VALU_DEP_3)
	v_alignbit_b32 v22, v13, v11, v22
	v_cndmask_b32_e64 v2, v23, v20, s4
	s_delay_alu instid0(VALU_DEP_3) | instskip(NEXT) | instid1(VALU_DEP_3)
	v_cndmask_b32_e64 v18, v24, v18, s4
	v_cndmask_b32_e64 v13, v22, v13, s4
	s_delay_alu instid0(VALU_DEP_3) | instskip(NEXT) | instid1(VALU_DEP_3)
	v_bfe_u32 v19, v2, 29, 1
	v_alignbit_b32 v12, v2, v18, 30
	s_delay_alu instid0(VALU_DEP_3) | instskip(SKIP_1) | instid1(VALU_DEP_4)
	v_alignbit_b32 v18, v18, v13, 30
	v_alignbit_b32 v11, v13, v11, 30
	v_sub_nc_u32_e32 v20, 0, v19
	s_delay_alu instid0(VALU_DEP_1) | instskip(SKIP_3) | instid1(VALU_DEP_4)
	v_xor_b32_e32 v21, v12, v20
	v_cmp_ne_u32_e32 vcc_lo, v12, v20
	v_xor_b32_e32 v13, v18, v20
	v_xor_b32_e32 v11, v11, v20
	v_clz_i32_u32_e32 v23, v21
	s_delay_alu instid0(VALU_DEP_1) | instskip(NEXT) | instid1(VALU_DEP_1)
	v_add_nc_u32_e32 v22, 1, v23
	v_cndmask_b32_e32 v12, 33, v22, vcc_lo
	s_delay_alu instid0(VALU_DEP_1) | instskip(NEXT) | instid1(VALU_DEP_1)
	v_sub_nc_u32_e32 v18, 32, v12
	v_alignbit_b32 v20, v21, v13, v18
	v_alignbit_b32 v11, v13, v11, v18
	v_lshrrev_b32_e32 v13, 29, v2
	s_delay_alu instid0(VALU_DEP_2) | instskip(NEXT) | instid1(VALU_DEP_2)
	v_alignbit_b32 v18, v20, v11, 9
	v_lshlrev_b32_e32 v13, 31, v13
	v_alignbit_b32 v20, v12, v20, 9
	s_delay_alu instid0(VALU_DEP_3) | instskip(NEXT) | instid1(VALU_DEP_2)
	v_clz_i32_u32_e32 v21, v18
	v_or_b32_e32 v20, v20, v13
	v_or_b32_e32 v13, 0x33800000, v13
	s_delay_alu instid0(VALU_DEP_3) | instskip(NEXT) | instid1(VALU_DEP_3)
	v_min_u32_e32 v21, 32, v21
	v_xor_b32_e32 v20, 1.0, v20
	s_delay_alu instid0(VALU_DEP_2) | instskip(SKIP_1) | instid1(VALU_DEP_3)
	v_sub_nc_u32_e32 v22, 31, v21
	v_add_lshl_u32 v12, v21, v12, 23
	v_mul_f32_e32 v21, 0x3fc90fda, v20
	s_delay_alu instid0(VALU_DEP_3) | instskip(NEXT) | instid1(VALU_DEP_3)
	v_alignbit_b32 v11, v18, v11, v22
	v_sub_nc_u32_e32 v12, v13, v12
	s_delay_alu instid0(VALU_DEP_3) | instskip(NEXT) | instid1(VALU_DEP_3)
	v_fma_f32 v13, 0x3fc90fda, v20, -v21
	v_lshrrev_b32_e32 v11, 9, v11
	s_delay_alu instid0(VALU_DEP_2) | instskip(NEXT) | instid1(VALU_DEP_2)
	v_fmac_f32_e32 v13, 0x33a22168, v20
	v_or_b32_e32 v11, v12, v11
	s_delay_alu instid0(VALU_DEP_1) | instskip(SKIP_1) | instid1(VALU_DEP_1)
	v_fmac_f32_e32 v13, 0x3fc90fda, v11
	v_lshrrev_b32_e32 v11, 30, v2
	v_dual_add_f32 v2, v21, v13 :: v_dual_add_nc_u32 v11, v19, v11
	s_and_not1_saveexec_b32 s2, s30
	s_branch .LBB133_149
.LBB133_148:                            ;   in Loop: Header=BB133_4 Depth=1
	s_and_not1_saveexec_b32 s2, s30
.LBB133_149:                            ;   in Loop: Header=BB133_4 Depth=1
	v_mul_f32_e64 v2, 0x3f22f983, |v4|
	s_delay_alu instid0(VALU_DEP_1) | instskip(NEXT) | instid1(VALU_DEP_1)
	v_rndne_f32_e32 v11, v2
	v_fma_f32 v2, 0xbfc90fda, v11, |v4|
	s_delay_alu instid0(VALU_DEP_1) | instskip(NEXT) | instid1(VALU_DEP_1)
	v_fmac_f32_e32 v2, 0xb3a22168, v11
	v_fmac_f32_e32 v2, 0xa7c234c4, v11
	v_cvt_i32_f32_e32 v11, v11
; %bb.150:                              ;   in Loop: Header=BB133_4 Depth=1
	s_or_b32 exec_lo, exec_lo, s2
                                        ; implicit-def: $vgpr13
                                        ; implicit-def: $vgpr12
	s_and_saveexec_b32 s2, s29
	s_delay_alu instid0(SALU_CYCLE_1)
	s_xor_b32 s29, exec_lo, s2
	s_cbranch_execz .LBB133_152
; %bb.151:                              ;   in Loop: Header=BB133_4 Depth=1
	v_and_or_b32 v25, v1, s21, 0x800000
	v_lshrrev_b32_e32 v22, 23, v1
	s_delay_alu instid0(VALU_DEP_2) | instskip(NEXT) | instid1(VALU_DEP_2)
	v_mad_u64_u32 v[12:13], null, 0xfe5163ab, v25, 0
	v_add_nc_u32_e32 v23, 0xffffff88, v22
	s_delay_alu instid0(VALU_DEP_1) | instskip(NEXT) | instid1(VALU_DEP_3)
	v_cmp_lt_u32_e32 vcc_lo, 63, v23
	v_mad_u64_u32 v[18:19], null, 0x3c439041, v25, v[13:14]
	v_cndmask_b32_e64 v24, 0, 0xffffffc0, vcc_lo
	s_delay_alu instid0(VALU_DEP_1) | instskip(NEXT) | instid1(VALU_DEP_1)
	v_dual_mov_b32 v13, v19 :: v_dual_add_nc_u32 v24, v24, v23
	v_mad_u64_u32 v[19:20], null, 0xdb629599, v25, v[13:14]
	s_delay_alu instid0(VALU_DEP_2) | instskip(NEXT) | instid1(VALU_DEP_1)
	v_cmp_lt_u32_e64 s2, 31, v24
	v_cndmask_b32_e64 v26, 0, 0xffffffe0, s2
	s_delay_alu instid0(VALU_DEP_3) | instskip(NEXT) | instid1(VALU_DEP_2)
	v_dual_mov_b32 v13, v20 :: v_dual_cndmask_b32 v12, v19, v12
	v_add_nc_u32_e32 v26, v26, v24
	s_delay_alu instid0(VALU_DEP_2) | instskip(NEXT) | instid1(VALU_DEP_2)
	v_mad_u64_u32 v[20:21], null, 0xf534ddc0, v25, v[13:14]
	v_cmp_lt_u32_e64 s3, 31, v26
	s_delay_alu instid0(VALU_DEP_2) | instskip(NEXT) | instid1(VALU_DEP_1)
	v_dual_mov_b32 v13, v21 :: v_dual_cndmask_b32 v18, v20, v18
	v_mad_u64_u32 v[21:22], null, 0xfc2757d1, v25, v[13:14]
	s_delay_alu instid0(VALU_DEP_2) | instskip(NEXT) | instid1(VALU_DEP_2)
	v_cndmask_b32_e64 v12, v18, v12, s2
	v_mov_b32_e32 v13, v22
	s_delay_alu instid0(VALU_DEP_1) | instskip(NEXT) | instid1(VALU_DEP_1)
	v_mad_u64_u32 v[22:23], null, 0x4e441529, v25, v[13:14]
	v_mov_b32_e32 v13, v23
	s_delay_alu instid0(VALU_DEP_1) | instskip(SKIP_1) | instid1(VALU_DEP_4)
	v_mad_u64_u32 v[23:24], null, 0xa2f9836e, v25, v[13:14]
	v_cndmask_b32_e64 v13, 0, 0xffffffe0, s3
	v_cndmask_b32_e32 v25, v22, v20, vcc_lo
	s_delay_alu instid0(VALU_DEP_2) | instskip(NEXT) | instid1(VALU_DEP_4)
	v_add_nc_u32_e32 v13, v13, v26
	v_dual_cndmask_b32 v23, v23, v21 :: v_dual_cndmask_b32 v22, v24, v22
	v_cndmask_b32_e32 v21, v21, v19, vcc_lo
	s_delay_alu instid0(VALU_DEP_3) | instskip(NEXT) | instid1(VALU_DEP_3)
	v_sub_nc_u32_e32 v24, 32, v13
	v_cndmask_b32_e64 v20, v23, v25, s2
	s_delay_alu instid0(VALU_DEP_4) | instskip(NEXT) | instid1(VALU_DEP_4)
	v_cndmask_b32_e64 v22, v22, v23, s2
	v_cndmask_b32_e64 v23, v25, v21, s2
	;; [unrolled: 1-line block ×3, first 2 shown]
	v_cmp_eq_u32_e64 s4, 0, v13
	s_delay_alu instid0(VALU_DEP_4) | instskip(NEXT) | instid1(VALU_DEP_4)
	v_cndmask_b32_e64 v22, v22, v20, s3
	v_cndmask_b32_e64 v20, v20, v23, s3
	s_delay_alu instid0(VALU_DEP_4) | instskip(SKIP_1) | instid1(VALU_DEP_3)
	v_cndmask_b32_e64 v23, v23, v21, s3
	v_cndmask_b32_e64 v12, v21, v12, s3
	v_alignbit_b32 v25, v22, v20, v24
	s_delay_alu instid0(VALU_DEP_3) | instskip(NEXT) | instid1(VALU_DEP_3)
	v_alignbit_b32 v26, v20, v23, v24
	v_alignbit_b32 v24, v23, v12, v24
	s_delay_alu instid0(VALU_DEP_3) | instskip(NEXT) | instid1(VALU_DEP_3)
	v_cndmask_b32_e64 v13, v25, v22, s4
	v_cndmask_b32_e64 v19, v26, v20, s4
	s_delay_alu instid0(VALU_DEP_3) | instskip(NEXT) | instid1(VALU_DEP_3)
	v_cndmask_b32_e64 v23, v24, v23, s4
	v_bfe_u32 v20, v13, 29, 1
	s_delay_alu instid0(VALU_DEP_3) | instskip(NEXT) | instid1(VALU_DEP_3)
	v_alignbit_b32 v18, v13, v19, 30
	v_alignbit_b32 v19, v19, v23, 30
	v_alignbit_b32 v12, v23, v12, 30
	s_delay_alu instid0(VALU_DEP_4) | instskip(NEXT) | instid1(VALU_DEP_1)
	v_sub_nc_u32_e32 v22, 0, v20
	v_xor_b32_e32 v21, v18, v22
	v_cmp_ne_u32_e32 vcc_lo, v18, v22
	v_xor_b32_e32 v19, v19, v22
	v_xor_b32_e32 v12, v12, v22
	s_delay_alu instid0(VALU_DEP_4) | instskip(NEXT) | instid1(VALU_DEP_1)
	v_clz_i32_u32_e32 v25, v21
	v_add_nc_u32_e32 v24, 1, v25
	s_delay_alu instid0(VALU_DEP_1) | instskip(NEXT) | instid1(VALU_DEP_1)
	v_cndmask_b32_e32 v18, 33, v24, vcc_lo
	v_sub_nc_u32_e32 v23, 32, v18
	s_delay_alu instid0(VALU_DEP_1) | instskip(SKIP_3) | instid1(VALU_DEP_3)
	v_alignbit_b32 v21, v21, v19, v23
	v_alignbit_b32 v12, v19, v12, v23
	v_lshrrev_b32_e32 v19, 29, v13
	v_lshrrev_b32_e32 v13, 30, v13
	v_alignbit_b32 v22, v21, v12, 9
	s_delay_alu instid0(VALU_DEP_3) | instskip(SKIP_1) | instid1(VALU_DEP_4)
	v_lshlrev_b32_e32 v19, 31, v19
	v_alignbit_b32 v21, v18, v21, 9
	v_add_nc_u32_e32 v13, v20, v13
	s_delay_alu instid0(VALU_DEP_4) | instskip(NEXT) | instid1(VALU_DEP_3)
	v_clz_i32_u32_e32 v23, v22
	v_or_b32_e32 v21, v21, v19
	v_or_b32_e32 v19, 0x33800000, v19
	s_delay_alu instid0(VALU_DEP_3) | instskip(NEXT) | instid1(VALU_DEP_3)
	v_min_u32_e32 v23, 32, v23
	v_xor_b32_e32 v21, 1.0, v21
	s_delay_alu instid0(VALU_DEP_2) | instskip(SKIP_1) | instid1(VALU_DEP_3)
	v_sub_nc_u32_e32 v24, 31, v23
	v_add_lshl_u32 v18, v23, v18, 23
	v_mul_f32_e32 v23, 0x3fc90fda, v21
	s_delay_alu instid0(VALU_DEP_3) | instskip(NEXT) | instid1(VALU_DEP_3)
	v_alignbit_b32 v12, v22, v12, v24
	v_sub_nc_u32_e32 v18, v19, v18
	s_delay_alu instid0(VALU_DEP_3) | instskip(NEXT) | instid1(VALU_DEP_3)
	v_fma_f32 v19, 0x3fc90fda, v21, -v23
	v_lshrrev_b32_e32 v12, 9, v12
	s_delay_alu instid0(VALU_DEP_2) | instskip(NEXT) | instid1(VALU_DEP_2)
	v_fmac_f32_e32 v19, 0x33a22168, v21
	v_or_b32_e32 v12, v18, v12
	s_delay_alu instid0(VALU_DEP_1) | instskip(NEXT) | instid1(VALU_DEP_1)
	v_fmac_f32_e32 v19, 0x3fc90fda, v12
	v_add_f32_e32 v12, v23, v19
	s_and_not1_saveexec_b32 s2, s29
	s_cbranch_execnz .LBB133_153
	s_branch .LBB133_154
.LBB133_152:                            ;   in Loop: Header=BB133_4 Depth=1
	s_and_not1_saveexec_b32 s2, s29
.LBB133_153:                            ;   in Loop: Header=BB133_4 Depth=1
	v_mul_f32_e64 v12, 0x3f22f983, |v4|
	s_delay_alu instid0(VALU_DEP_1) | instskip(NEXT) | instid1(VALU_DEP_1)
	v_rndne_f32_e32 v13, v12
	v_fma_f32 v12, 0xbfc90fda, v13, |v4|
	s_delay_alu instid0(VALU_DEP_1) | instskip(NEXT) | instid1(VALU_DEP_1)
	v_fmac_f32_e32 v12, 0xb3a22168, v13
	v_fmac_f32_e32 v12, 0xa7c234c4, v13
	v_cvt_i32_f32_e32 v13, v13
.LBB133_154:                            ;   in Loop: Header=BB133_4 Depth=1
	s_or_b32 exec_lo, exec_lo, s2
	v_add_f32_e32 v3, 0xc322e3bc, v3
	s_delay_alu instid0(VALU_DEP_2) | instskip(NEXT) | instid1(VALU_DEP_2)
	v_dual_mul_f32 v21, v2, v2 :: v_dual_mul_f32 v22, v12, v12
	v_mul_f32_e32 v18, 0x3fb8aa3b, v3
	s_delay_alu instid0(VALU_DEP_2) | instskip(SKIP_1) | instid1(VALU_DEP_3)
	v_dual_fmaak_f32 v24, s22, v21, 0x3c0881c4 :: v_dual_fmaak_f32 v25, s22, v22, 0x3c0881c4
	v_fmaak_f32 v23, s23, v21, 0xbab64f3b
	v_fma_f32 v19, 0x3fb8aa3b, v3, -v18
	v_rndne_f32_e32 v20, v18
	s_delay_alu instid0(VALU_DEP_4) | instskip(NEXT) | instid1(VALU_DEP_2)
	v_fmaak_f32 v25, v22, v25, 0xbe2aaa9d
	v_dual_sub_f32 v18, v18, v20 :: v_dual_fmac_f32 v19, 0x32a5705f, v3
	v_cmp_ngt_f32_e32 vcc_lo, 0xc2ce8ed0, v3
	s_delay_alu instid0(VALU_DEP_3) | instskip(NEXT) | instid1(VALU_DEP_3)
	v_mul_f32_e32 v25, v22, v25
	v_add_f32_e32 v18, v18, v19
	v_cvt_i32_f32_e32 v19, v20
	v_lshlrev_b32_e32 v20, 30, v11
	s_delay_alu instid0(VALU_DEP_4) | instskip(NEXT) | instid1(VALU_DEP_4)
	v_fmac_f32_e32 v12, v12, v25
	v_exp_f32_e32 v18, v18
	s_waitcnt_depctr 0xfff
	v_ldexp_f32 v18, v18, v19
	v_and_b32_e32 v11, 1, v11
	v_and_b32_e32 v19, 1, v13
	s_delay_alu instid0(VALU_DEP_3) | instskip(SKIP_1) | instid1(VALU_DEP_2)
	v_dual_cndmask_b32 v18, 0, v18 :: v_dual_lshlrev_b32 v13, 30, v13
	v_cmp_nlt_f32_e32 vcc_lo, 0x42b17218, v3
	v_cndmask_b32_e32 v3, 0x7f800000, v18, vcc_lo
	v_fmaak_f32 v18, s23, v22, 0xbab64f3b
	s_delay_alu instid0(VALU_DEP_4)
	v_and_or_b32 v1, 0x80000000, v13, v1
	v_fmaak_f32 v13, v21, v23, 0x3d2aabf7
	v_fmaak_f32 v23, v21, v24, 0xbe2aaa9d
	v_and_b32_e32 v20, 0x80000000, v20
	v_fmaak_f32 v18, v22, v18, 0x3d2aabf7
	v_cmp_eq_u32_e32 vcc_lo, 0, v11
	v_fmaak_f32 v13, v21, v13, 0xbf000004
	s_delay_alu instid0(VALU_DEP_3) | instskip(NEXT) | instid1(VALU_DEP_2)
	v_dual_mul_f32 v23, v21, v23 :: v_dual_fmaak_f32 v18, v22, v18, 0xbf000004
	v_fma_f32 v13, v21, v13, 1.0
	s_delay_alu instid0(VALU_DEP_2) | instskip(SKIP_1) | instid1(VALU_DEP_4)
	v_fmac_f32_e32 v2, v2, v23
	v_lshrrev_b32_e32 v24, 23, v3
	v_fma_f32 v18, v22, v18, 1.0
	v_and_or_b32 v3, 0x7fffff, v3, s24
	s_delay_alu instid0(VALU_DEP_4) | instskip(NEXT) | instid1(VALU_DEP_4)
	v_cndmask_b32_e64 v2, -v2, v13, vcc_lo
	v_subrev_nc_u32_e32 v24, 19, v24
	v_cmp_eq_u32_e32 vcc_lo, 0, v19
	s_delay_alu instid0(VALU_DEP_3) | instskip(NEXT) | instid1(VALU_DEP_3)
	v_xor_b32_e32 v2, v20, v2
	v_lshrrev_b16 v21, 15, v24
	v_cndmask_b32_e32 v12, v18, v12, vcc_lo
	v_cmp_class_f32_e64 vcc_lo, v4, 0x1f8
	s_delay_alu instid0(VALU_DEP_3) | instskip(NEXT) | instid1(VALU_DEP_3)
	v_add_nc_u16 v11, v24, v21
	v_xor3_b32 v1, v1, v12, v4
	v_cndmask_b32_e32 v2, 0x7fc00000, v2, vcc_lo
	s_delay_alu instid0(VALU_DEP_3) | instskip(NEXT) | instid1(VALU_DEP_2)
	v_ashrrev_i16 v11, 1, v11
	v_dual_cndmask_b32 v1, 0x7fc00000, v1 :: v_dual_mul_f32 v2, v2, v3
	s_delay_alu instid0(VALU_DEP_2) | instskip(NEXT) | instid1(VALU_DEP_2)
	v_bfe_i32 v4, v11, 0, 16
	v_mul_f32_e32 v1, v1, v3
	s_delay_alu instid0(VALU_DEP_2) | instskip(SKIP_1) | instid1(VALU_DEP_2)
	v_lshl_add_u32 v11, v4, 23, 1.0
	v_sub_nc_u32_e32 v4, v24, v4
	v_mul_f32_e32 v2, v2, v11
	s_delay_alu instid0(VALU_DEP_2) | instskip(SKIP_1) | instid1(VALU_DEP_2)
	v_lshl_add_u32 v3, v4, 23, 1.0
	v_mul_f32_e32 v1, v1, v11
	v_mul_f32_e32 v11, v2, v3
	s_delay_alu instid0(VALU_DEP_2)
	v_mul_f32_e32 v12, v1, v3
.LBB133_155:                            ;   in Loop: Header=BB133_4 Depth=1
	s_or_b32 exec_lo, exec_lo, s28
                                        ; implicit-def: $vgpr1_vgpr2_vgpr3_vgpr4
                                        ; implicit-def: $vgpr2
.LBB133_156:                            ;   in Loop: Header=BB133_4 Depth=1
	s_and_not1_saveexec_b32 s2, s27
	s_cbranch_execz .LBB133_162
; %bb.157:                              ;   in Loop: Header=BB133_4 Depth=1
	v_sub_f32_e32 v12, v4, v4
	s_mov_b32 s3, exec_lo
	v_cmpx_ne_u32_e32 0x7f800000, v2
	s_xor_b32 s3, exec_lo, s3
; %bb.158:                              ;   in Loop: Header=BB133_4 Depth=1
                                        ; implicit-def: $vgpr1_vgpr2_vgpr3_vgpr4
; %bb.159:                              ;   in Loop: Header=BB133_4 Depth=1
	s_delay_alu instid0(SALU_CYCLE_1)
	s_or_saveexec_b32 s3, s3
	v_mov_b32_e32 v11, v12
	s_xor_b32 exec_lo, exec_lo, s3
; %bb.160:                              ;   in Loop: Header=BB133_4 Depth=1
	v_cmp_lt_i32_e32 vcc_lo, -1, v3
	v_dual_cndmask_b32 v11, 0, v3 :: v_dual_cndmask_b32 v12, 0, v12
; %bb.161:                              ;   in Loop: Header=BB133_4 Depth=1
	s_or_b32 exec_lo, exec_lo, s3
.LBB133_162:                            ;   in Loop: Header=BB133_4 Depth=1
	s_delay_alu instid0(SALU_CYCLE_1)
	s_or_b32 exec_lo, exec_lo, s2
                                        ; implicit-def: $vgpr1_vgpr2_vgpr3_vgpr4
                                        ; implicit-def: $vgpr1
.LBB133_163:                            ;   in Loop: Header=BB133_4 Depth=1
	s_and_not1_saveexec_b32 s26, s26
	s_cbranch_execz .LBB133_173
; %bb.164:                              ;   in Loop: Header=BB133_4 Depth=1
	v_lshrrev_b32_e32 v2, 23, v1
	v_cmp_ngt_f32_e64 s27, 0x48000000, |v4|
	v_and_or_b32 v11, v1, s21, 0x800000
                                        ; implicit-def: $vgpr3
	s_delay_alu instid0(VALU_DEP_3) | instskip(NEXT) | instid1(VALU_DEP_3)
	v_add_nc_u32_e32 v12, 0xffffff88, v2
                                        ; implicit-def: $vgpr2
	s_and_saveexec_b32 s2, s27
	s_delay_alu instid0(SALU_CYCLE_1)
	s_xor_b32 s28, exec_lo, s2
	s_cbranch_execz .LBB133_166
; %bb.165:                              ;   in Loop: Header=BB133_4 Depth=1
	v_mad_u64_u32 v[2:3], null, 0xfe5163ab, v11, 0
	v_cmp_lt_u32_e32 vcc_lo, 63, v12
	s_delay_alu instid0(VALU_DEP_2) | instskip(SKIP_1) | instid1(VALU_DEP_2)
	v_mov_b32_e32 v13, v3
	v_cndmask_b32_e64 v3, 0, 0xffffffc0, vcc_lo
	v_mad_u64_u32 v[18:19], null, 0x3c439041, v11, v[13:14]
	s_delay_alu instid0(VALU_DEP_2) | instskip(NEXT) | instid1(VALU_DEP_1)
	v_add_nc_u32_e32 v3, v3, v12
	v_cmp_lt_u32_e64 s2, 31, v3
	s_delay_alu instid0(VALU_DEP_3) | instskip(NEXT) | instid1(VALU_DEP_2)
	v_mov_b32_e32 v13, v19
	v_cndmask_b32_e64 v24, 0, 0xffffffe0, s2
	s_delay_alu instid0(VALU_DEP_2) | instskip(NEXT) | instid1(VALU_DEP_2)
	v_mad_u64_u32 v[19:20], null, 0xdb629599, v11, v[13:14]
	v_add_nc_u32_e32 v3, v24, v3
	s_delay_alu instid0(VALU_DEP_2) | instskip(NEXT) | instid1(VALU_DEP_2)
	v_dual_mov_b32 v13, v20 :: v_dual_cndmask_b32 v2, v19, v2
	v_cmp_lt_u32_e64 s3, 31, v3
	s_delay_alu instid0(VALU_DEP_2) | instskip(NEXT) | instid1(VALU_DEP_1)
	v_mad_u64_u32 v[20:21], null, 0xf534ddc0, v11, v[13:14]
	v_mov_b32_e32 v13, v21
	s_delay_alu instid0(VALU_DEP_1) | instskip(NEXT) | instid1(VALU_DEP_1)
	v_mad_u64_u32 v[21:22], null, 0xfc2757d1, v11, v[13:14]
	v_mov_b32_e32 v13, v22
	s_delay_alu instid0(VALU_DEP_1) | instskip(NEXT) | instid1(VALU_DEP_1)
	v_mad_u64_u32 v[22:23], null, 0x4e441529, v11, v[13:14]
	v_mov_b32_e32 v13, v23
	s_delay_alu instid0(VALU_DEP_2) | instskip(NEXT) | instid1(VALU_DEP_2)
	v_cndmask_b32_e32 v25, v22, v20, vcc_lo
	v_mad_u64_u32 v[23:24], null, 0xa2f9836e, v11, v[13:14]
	v_cndmask_b32_e64 v13, 0, 0xffffffe0, s3
	s_delay_alu instid0(VALU_DEP_1) | instskip(NEXT) | instid1(VALU_DEP_3)
	v_add_nc_u32_e32 v3, v13, v3
	v_dual_cndmask_b32 v23, v23, v21 :: v_dual_cndmask_b32 v22, v24, v22
	v_cndmask_b32_e32 v21, v21, v19, vcc_lo
	v_cndmask_b32_e32 v13, v20, v18, vcc_lo
	s_delay_alu instid0(VALU_DEP_4) | instskip(NEXT) | instid1(VALU_DEP_4)
	v_cmp_eq_u32_e64 s4, 0, v3
	v_cndmask_b32_e64 v18, v23, v25, s2
	v_cndmask_b32_e64 v20, v22, v23, s2
	;; [unrolled: 1-line block ×3, first 2 shown]
	v_sub_nc_u32_e32 v23, 32, v3
	v_cndmask_b32_e64 v21, v21, v13, s2
	v_cndmask_b32_e64 v2, v13, v2, s2
	;; [unrolled: 1-line block ×4, first 2 shown]
	s_delay_alu instid0(VALU_DEP_4) | instskip(NEXT) | instid1(VALU_DEP_4)
	v_cndmask_b32_e64 v22, v22, v21, s3
	v_cndmask_b32_e64 v2, v21, v2, s3
	s_delay_alu instid0(VALU_DEP_3) | instskip(NEXT) | instid1(VALU_DEP_3)
	v_alignbit_b32 v24, v20, v18, v23
	v_alignbit_b32 v25, v18, v22, v23
	s_delay_alu instid0(VALU_DEP_3) | instskip(NEXT) | instid1(VALU_DEP_3)
	v_alignbit_b32 v23, v22, v2, v23
	v_cndmask_b32_e64 v3, v24, v20, s4
	s_delay_alu instid0(VALU_DEP_3) | instskip(NEXT) | instid1(VALU_DEP_3)
	v_cndmask_b32_e64 v18, v25, v18, s4
	v_cndmask_b32_e64 v22, v23, v22, s4
	s_delay_alu instid0(VALU_DEP_3) | instskip(NEXT) | instid1(VALU_DEP_3)
	v_bfe_u32 v19, v3, 29, 1
	v_alignbit_b32 v13, v3, v18, 30
	s_delay_alu instid0(VALU_DEP_3) | instskip(SKIP_1) | instid1(VALU_DEP_4)
	v_alignbit_b32 v18, v18, v22, 30
	v_alignbit_b32 v2, v22, v2, 30
	v_sub_nc_u32_e32 v20, 0, v19
	s_delay_alu instid0(VALU_DEP_1) | instskip(SKIP_3) | instid1(VALU_DEP_4)
	v_xor_b32_e32 v21, v13, v20
	v_cmp_ne_u32_e32 vcc_lo, v13, v20
	v_xor_b32_e32 v18, v18, v20
	v_xor_b32_e32 v2, v2, v20
	v_clz_i32_u32_e32 v24, v21
	s_delay_alu instid0(VALU_DEP_1) | instskip(NEXT) | instid1(VALU_DEP_1)
	v_add_nc_u32_e32 v23, 1, v24
	v_cndmask_b32_e32 v13, 33, v23, vcc_lo
	s_delay_alu instid0(VALU_DEP_1) | instskip(NEXT) | instid1(VALU_DEP_1)
	v_sub_nc_u32_e32 v22, 32, v13
	v_alignbit_b32 v20, v21, v18, v22
	v_alignbit_b32 v2, v18, v2, v22
	v_lshrrev_b32_e32 v18, 29, v3
	v_lshrrev_b32_e32 v3, 30, v3
	s_delay_alu instid0(VALU_DEP_3) | instskip(NEXT) | instid1(VALU_DEP_3)
	v_alignbit_b32 v21, v20, v2, 9
	v_lshlrev_b32_e32 v18, 31, v18
	v_alignbit_b32 v20, v13, v20, 9
	s_delay_alu instid0(VALU_DEP_4) | instskip(NEXT) | instid1(VALU_DEP_4)
	v_add_nc_u32_e32 v3, v19, v3
	v_clz_i32_u32_e32 v22, v21
	s_delay_alu instid0(VALU_DEP_3) | instskip(SKIP_1) | instid1(VALU_DEP_3)
	v_or_b32_e32 v20, v20, v18
	v_or_b32_e32 v18, 0x33800000, v18
	v_min_u32_e32 v22, 32, v22
	s_delay_alu instid0(VALU_DEP_3) | instskip(NEXT) | instid1(VALU_DEP_2)
	v_xor_b32_e32 v20, 1.0, v20
	v_sub_nc_u32_e32 v23, 31, v22
	v_add_lshl_u32 v13, v22, v13, 23
	s_delay_alu instid0(VALU_DEP_3) | instskip(NEXT) | instid1(VALU_DEP_3)
	v_mul_f32_e32 v22, 0x3fc90fda, v20
	v_alignbit_b32 v2, v21, v2, v23
	s_delay_alu instid0(VALU_DEP_3) | instskip(NEXT) | instid1(VALU_DEP_3)
	v_sub_nc_u32_e32 v13, v18, v13
	v_fma_f32 v18, 0x3fc90fda, v20, -v22
	s_delay_alu instid0(VALU_DEP_3) | instskip(NEXT) | instid1(VALU_DEP_2)
	v_lshrrev_b32_e32 v2, 9, v2
	v_fmac_f32_e32 v18, 0x33a22168, v20
	s_delay_alu instid0(VALU_DEP_2) | instskip(NEXT) | instid1(VALU_DEP_1)
	v_or_b32_e32 v2, v13, v2
	v_fmac_f32_e32 v18, 0x3fc90fda, v2
	s_delay_alu instid0(VALU_DEP_1)
	v_add_f32_e32 v2, v22, v18
.LBB133_166:                            ;   in Loop: Header=BB133_4 Depth=1
	s_or_saveexec_b32 s2, s28
	v_mul_f32_e64 v13, 0x3f22f983, |v4|
	s_delay_alu instid0(VALU_DEP_1)
	v_rndne_f32_e32 v19, v13
	s_xor_b32 exec_lo, exec_lo, s2
; %bb.167:                              ;   in Loop: Header=BB133_4 Depth=1
	s_delay_alu instid0(VALU_DEP_1) | instskip(SKIP_1) | instid1(VALU_DEP_2)
	v_fma_f32 v2, 0xbfc90fda, v19, |v4|
	v_cvt_i32_f32_e32 v3, v19
	v_fmac_f32_e32 v2, 0xb3a22168, v19
	s_delay_alu instid0(VALU_DEP_1)
	v_fmac_f32_e32 v2, 0xa7c234c4, v19
; %bb.168:                              ;   in Loop: Header=BB133_4 Depth=1
	s_or_b32 exec_lo, exec_lo, s2
                                        ; implicit-def: $vgpr18
                                        ; implicit-def: $vgpr13
	s_and_saveexec_b32 s2, s27
	s_delay_alu instid0(SALU_CYCLE_1)
	s_xor_b32 s27, exec_lo, s2
	s_cbranch_execz .LBB133_170
; %bb.169:                              ;   in Loop: Header=BB133_4 Depth=1
	v_mad_u64_u32 v[18:19], null, 0xfe5163ab, v11, 0
	v_cmp_lt_u32_e32 vcc_lo, 63, v12
	v_cndmask_b32_e64 v24, 0, 0xffffffc0, vcc_lo
	s_delay_alu instid0(VALU_DEP_1) | instskip(NEXT) | instid1(VALU_DEP_1)
	v_dual_mov_b32 v13, v19 :: v_dual_add_nc_u32 v12, v24, v12
	v_mad_u64_u32 v[19:20], null, 0x3c439041, v11, v[13:14]
	s_delay_alu instid0(VALU_DEP_2) | instskip(NEXT) | instid1(VALU_DEP_1)
	v_cmp_lt_u32_e64 s2, 31, v12
	v_cndmask_b32_e64 v25, 0, 0xffffffe0, s2
	s_delay_alu instid0(VALU_DEP_1) | instskip(NEXT) | instid1(VALU_DEP_1)
	v_dual_mov_b32 v13, v20 :: v_dual_add_nc_u32 v12, v25, v12
	v_mad_u64_u32 v[20:21], null, 0xdb629599, v11, v[13:14]
	s_delay_alu instid0(VALU_DEP_2) | instskip(NEXT) | instid1(VALU_DEP_2)
	v_cmp_lt_u32_e64 s3, 31, v12
	v_dual_mov_b32 v13, v21 :: v_dual_cndmask_b32 v18, v20, v18
	s_delay_alu instid0(VALU_DEP_1) | instskip(NEXT) | instid1(VALU_DEP_1)
	v_mad_u64_u32 v[21:22], null, 0xf534ddc0, v11, v[13:14]
	v_mov_b32_e32 v13, v22
	s_delay_alu instid0(VALU_DEP_1) | instskip(NEXT) | instid1(VALU_DEP_1)
	v_mad_u64_u32 v[22:23], null, 0xfc2757d1, v11, v[13:14]
	v_mov_b32_e32 v13, v23
	s_delay_alu instid0(VALU_DEP_1) | instskip(NEXT) | instid1(VALU_DEP_1)
	v_mad_u64_u32 v[23:24], null, 0x4e441529, v11, v[13:14]
	v_mov_b32_e32 v13, v24
	s_delay_alu instid0(VALU_DEP_1) | instskip(SKIP_1) | instid1(VALU_DEP_4)
	v_mad_u64_u32 v[24:25], null, 0xa2f9836e, v11, v[13:14]
	v_cndmask_b32_e64 v11, 0, 0xffffffe0, s3
	v_cndmask_b32_e32 v13, v23, v21, vcc_lo
	s_delay_alu instid0(VALU_DEP_2) | instskip(NEXT) | instid1(VALU_DEP_4)
	v_dual_cndmask_b32 v24, v24, v22 :: v_dual_add_nc_u32 v11, v11, v12
	v_dual_cndmask_b32 v23, v25, v23 :: v_dual_cndmask_b32 v22, v22, v20
	v_cndmask_b32_e32 v12, v21, v19, vcc_lo
	s_delay_alu instid0(VALU_DEP_3) | instskip(NEXT) | instid1(VALU_DEP_4)
	v_cmp_eq_u32_e64 s4, 0, v11
	v_cndmask_b32_e64 v19, v24, v13, s2
	s_delay_alu instid0(VALU_DEP_4)
	v_cndmask_b32_e64 v21, v23, v24, s2
	v_cndmask_b32_e64 v13, v13, v22, s2
	v_sub_nc_u32_e32 v23, 32, v11
	v_cndmask_b32_e64 v22, v22, v12, s2
	v_cndmask_b32_e64 v12, v12, v18, s2
	;; [unrolled: 1-line block ×4, first 2 shown]
	s_delay_alu instid0(VALU_DEP_4) | instskip(NEXT) | instid1(VALU_DEP_4)
	v_cndmask_b32_e64 v13, v13, v22, s3
	v_cndmask_b32_e64 v12, v22, v12, s3
	s_delay_alu instid0(VALU_DEP_3) | instskip(NEXT) | instid1(VALU_DEP_3)
	v_alignbit_b32 v24, v21, v19, v23
	v_alignbit_b32 v25, v19, v13, v23
	s_delay_alu instid0(VALU_DEP_3) | instskip(NEXT) | instid1(VALU_DEP_3)
	v_alignbit_b32 v23, v13, v12, v23
	v_cndmask_b32_e64 v11, v24, v21, s4
	s_delay_alu instid0(VALU_DEP_3) | instskip(NEXT) | instid1(VALU_DEP_3)
	v_cndmask_b32_e64 v19, v25, v19, s4
	v_cndmask_b32_e64 v13, v23, v13, s4
	s_delay_alu instid0(VALU_DEP_3) | instskip(NEXT) | instid1(VALU_DEP_3)
	v_bfe_u32 v20, v11, 29, 1
	v_alignbit_b32 v18, v11, v19, 30
	s_delay_alu instid0(VALU_DEP_3) | instskip(SKIP_1) | instid1(VALU_DEP_4)
	v_alignbit_b32 v19, v19, v13, 30
	v_alignbit_b32 v12, v13, v12, 30
	v_sub_nc_u32_e32 v21, 0, v20
	s_delay_alu instid0(VALU_DEP_1) | instskip(SKIP_3) | instid1(VALU_DEP_4)
	v_xor_b32_e32 v22, v18, v21
	v_cmp_ne_u32_e32 vcc_lo, v18, v21
	v_xor_b32_e32 v13, v19, v21
	v_xor_b32_e32 v12, v12, v21
	v_clz_i32_u32_e32 v24, v22
	s_delay_alu instid0(VALU_DEP_1) | instskip(NEXT) | instid1(VALU_DEP_1)
	v_add_nc_u32_e32 v23, 1, v24
	v_cndmask_b32_e32 v18, 33, v23, vcc_lo
	s_delay_alu instid0(VALU_DEP_1) | instskip(NEXT) | instid1(VALU_DEP_1)
	v_sub_nc_u32_e32 v19, 32, v18
	v_alignbit_b32 v21, v22, v13, v19
	v_alignbit_b32 v12, v13, v12, v19
	v_lshrrev_b32_e32 v13, 29, v11
	v_lshrrev_b32_e32 v11, 30, v11
	s_delay_alu instid0(VALU_DEP_3) | instskip(NEXT) | instid1(VALU_DEP_3)
	v_alignbit_b32 v19, v21, v12, 9
	v_lshlrev_b32_e32 v13, 31, v13
	v_alignbit_b32 v21, v18, v21, 9
	s_delay_alu instid0(VALU_DEP_3) | instskip(NEXT) | instid1(VALU_DEP_2)
	v_clz_i32_u32_e32 v22, v19
	v_or_b32_e32 v21, v21, v13
	v_or_b32_e32 v13, 0x33800000, v13
	s_delay_alu instid0(VALU_DEP_3) | instskip(NEXT) | instid1(VALU_DEP_3)
	v_min_u32_e32 v22, 32, v22
	v_xor_b32_e32 v21, 1.0, v21
	s_delay_alu instid0(VALU_DEP_2) | instskip(SKIP_1) | instid1(VALU_DEP_3)
	v_sub_nc_u32_e32 v23, 31, v22
	v_add_lshl_u32 v18, v22, v18, 23
	v_mul_f32_e32 v22, 0x3fc90fda, v21
	s_delay_alu instid0(VALU_DEP_3) | instskip(NEXT) | instid1(VALU_DEP_3)
	v_alignbit_b32 v12, v19, v12, v23
	v_sub_nc_u32_e32 v13, v13, v18
	s_delay_alu instid0(VALU_DEP_3) | instskip(NEXT) | instid1(VALU_DEP_3)
	v_fma_f32 v18, 0x3fc90fda, v21, -v22
                                        ; implicit-def: $vgpr19
	v_lshrrev_b32_e32 v12, 9, v12
	s_delay_alu instid0(VALU_DEP_2) | instskip(NEXT) | instid1(VALU_DEP_2)
	v_fmac_f32_e32 v18, 0x33a22168, v21
	v_or_b32_e32 v12, v13, v12
	s_delay_alu instid0(VALU_DEP_1) | instskip(NEXT) | instid1(VALU_DEP_1)
	v_fmac_f32_e32 v18, 0x3fc90fda, v12
	v_dual_add_f32 v13, v22, v18 :: v_dual_add_nc_u32 v18, v20, v11
	s_and_not1_saveexec_b32 s2, s27
	s_cbranch_execnz .LBB133_171
	s_branch .LBB133_172
.LBB133_170:                            ;   in Loop: Header=BB133_4 Depth=1
	s_and_not1_saveexec_b32 s2, s27
.LBB133_171:                            ;   in Loop: Header=BB133_4 Depth=1
	v_fma_f32 v13, 0xbfc90fda, v19, |v4|
	v_cvt_i32_f32_e32 v18, v19
	s_delay_alu instid0(VALU_DEP_2) | instskip(NEXT) | instid1(VALU_DEP_1)
	v_fmac_f32_e32 v13, 0xb3a22168, v19
	v_fmac_f32_e32 v13, 0xa7c234c4, v19
.LBB133_172:                            ;   in Loop: Header=BB133_4 Depth=1
	s_or_b32 exec_lo, exec_lo, s2
	s_delay_alu instid0(VALU_DEP_1) | instskip(SKIP_2) | instid1(VALU_DEP_3)
	v_dual_mul_f32 v11, v2, v2 :: v_dual_mul_f32 v12, v13, v13
	v_and_b32_e32 v19, 1, v3
	v_and_b32_e32 v24, 1, v18
	v_dual_fmaak_f32 v21, s23, v11, 0xbab64f3b :: v_dual_lshlrev_b32 v18, 30, v18
	s_delay_alu instid0(VALU_DEP_4) | instskip(SKIP_2) | instid1(VALU_DEP_4)
	v_fmaak_f32 v22, s22, v12, 0x3c0881c4
	v_fmaak_f32 v23, s23, v12, 0xbab64f3b
	v_cmp_eq_u32_e32 vcc_lo, 0, v19
	v_and_or_b32 v1, 0x80000000, v18, v1
	s_delay_alu instid0(VALU_DEP_4) | instskip(NEXT) | instid1(VALU_DEP_1)
	v_fmaak_f32 v22, v12, v22, 0xbe2aaa9d
	v_dual_fmaak_f32 v21, v11, v21, 0x3d2aabf7 :: v_dual_mul_f32 v22, v12, v22
	s_delay_alu instid0(VALU_DEP_1) | instskip(NEXT) | instid1(VALU_DEP_1)
	v_dual_fmaak_f32 v20, s22, v11, 0x3c0881c4 :: v_dual_fmac_f32 v13, v13, v22
	v_dual_fmaak_f32 v20, v11, v20, 0xbe2aaa9d :: v_dual_lshlrev_b32 v3, 30, v3
	v_fmaak_f32 v23, v12, v23, 0x3d2aabf7
	s_delay_alu instid0(VALU_DEP_2) | instskip(SKIP_1) | instid1(VALU_DEP_2)
	v_dual_mul_f32 v20, v11, v20 :: v_dual_and_b32 v3, 0x80000000, v3
	v_fmaak_f32 v21, v11, v21, 0xbf000004
	v_dual_fmaak_f32 v23, v12, v23, 0xbf000004 :: v_dual_fmac_f32 v2, v2, v20
	s_delay_alu instid0(VALU_DEP_2) | instskip(NEXT) | instid1(VALU_DEP_2)
	v_fma_f32 v11, v11, v21, 1.0
	v_fma_f32 v12, v12, v23, 1.0
	s_delay_alu instid0(VALU_DEP_2) | instskip(SKIP_1) | instid1(VALU_DEP_2)
	v_cndmask_b32_e64 v2, -v2, v11, vcc_lo
	v_cmp_eq_u32_e32 vcc_lo, 0, v24
	v_xor_b32_e32 v2, v3, v2
	s_delay_alu instid0(VALU_DEP_4) | instskip(SKIP_1) | instid1(VALU_DEP_2)
	v_cndmask_b32_e32 v11, v12, v13, vcc_lo
	v_cmp_class_f32_e64 vcc_lo, v4, 0x1f8
	v_xor3_b32 v1, v1, v11, v4
	s_delay_alu instid0(VALU_DEP_4) | instskip(NEXT) | instid1(VALU_DEP_2)
	v_cndmask_b32_e32 v11, 0x7fc00000, v2, vcc_lo
	v_cndmask_b32_e32 v12, 0x7fc00000, v1, vcc_lo
.LBB133_173:                            ;   in Loop: Header=BB133_4 Depth=1
	s_or_b32 exec_lo, exec_lo, s26
                                        ; implicit-def: $vgpr1_vgpr2_vgpr3_vgpr4
.LBB133_174:                            ;   in Loop: Header=BB133_4 Depth=1
	s_and_not1_saveexec_b32 s2, s25
	s_cbranch_execz .LBB133_3
; %bb.175:                              ;   in Loop: Header=BB133_4 Depth=1
	v_dual_mul_f32 v1, 0x3fb8aa3b, v3 :: v_dual_mov_b32 v12, v4
	v_cmp_ngt_f32_e32 vcc_lo, 0xc2ce8ed0, v3
	s_delay_alu instid0(VALU_DEP_2) | instskip(SKIP_1) | instid1(VALU_DEP_2)
	v_rndne_f32_e32 v2, v1
	v_fma_f32 v11, 0x3fb8aa3b, v3, -v1
	v_sub_f32_e32 v1, v1, v2
	s_delay_alu instid0(VALU_DEP_2) | instskip(SKIP_1) | instid1(VALU_DEP_2)
	v_fmac_f32_e32 v11, 0x32a5705f, v3
	v_cvt_i32_f32_e32 v2, v2
	v_add_f32_e32 v1, v1, v11
	s_delay_alu instid0(VALU_DEP_1) | instskip(SKIP_2) | instid1(VALU_DEP_1)
	v_exp_f32_e32 v1, v1
	s_waitcnt_depctr 0xfff
	v_ldexp_f32 v1, v1, v2
	v_cndmask_b32_e32 v1, 0, v1, vcc_lo
	v_cmp_nlt_f32_e32 vcc_lo, 0x42b17218, v3
	s_delay_alu instid0(VALU_DEP_2)
	v_cndmask_b32_e32 v11, 0x7f800000, v1, vcc_lo
	s_branch .LBB133_3
.LBB133_176:
	s_or_b32 exec_lo, exec_lo, s15
	s_mov_b32 s2, 0
.LBB133_177:
	s_delay_alu instid0(SALU_CYCLE_1)
	s_and_not1_b32 vcc_lo, exec_lo, s2
	s_cbranch_vccnz .LBB133_373
; %bb.178:
	v_cmp_lt_i64_e64 s2, s[10:11], 1
	s_delay_alu instid0(VALU_DEP_1)
	s_and_b32 vcc_lo, exec_lo, s2
	s_cbranch_vccnz .LBB133_373
; %bb.179:
	s_load_b32 s0, s[0:1], 0xc5c
	v_mov_b32_e32 v1, 0
	v_lshl_or_b32 v2, v0, 3, 4
	v_cmp_gt_u64_e64 s1, 0x10000, s[10:11]
	s_mov_b32 s13, 0
	s_mov_b32 s22, 0xb94c1982
	v_mov_b32_e32 v3, v1
	v_add_co_u32 v14, s2, s6, v2
	s_delay_alu instid0(VALU_DEP_1) | instskip(SKIP_1) | instid1(VALU_DEP_1)
	v_add_co_ci_u32_e64 v15, null, s7, 0, s2
	v_add_co_u32 v16, s2, s16, v2
	v_add_co_ci_u32_e64 v17, null, s17, 0, s2
	s_mov_b32 s23, 0x37d75334
	s_mov_b32 s24, 0x7f000000
	s_waitcnt lgkmcnt(0)
	s_and_b32 s18, s0, 0xffff
	s_and_b32 s0, s1, exec_lo
	v_add_lshl_u32 v6, v0, s18, 3
	v_mad_u64_u32 v[4:5], null, s18, 24, v[2:3]
	s_cselect_b32 s15, s11, 0
	s_cselect_b32 s14, s10, 0x10000
	s_delay_alu instid0(VALU_DEP_2) | instskip(NEXT) | instid1(VALU_DEP_1)
	v_add_co_u32 v18, s0, s16, v6
	v_add_co_ci_u32_e64 v19, null, s17, 0, s0
	v_add_co_u32 v22, s0, s6, v6
	s_delay_alu instid0(VALU_DEP_1)
	v_add_co_ci_u32_e64 v23, null, s7, 0, s0
	s_lshl_b32 s0, s18, 4
	v_add_co_u32 v20, vcc_lo, s6, v4
	v_add_co_u32 v2, s0, v2, s0
	v_add_co_ci_u32_e32 v21, vcc_lo, s7, v5, vcc_lo
	v_add_co_ci_u32_e64 v3, null, 0, 0, s0
	v_add_co_u32 v24, vcc_lo, s16, v4
	v_add_co_ci_u32_e32 v25, vcc_lo, s17, v5, vcc_lo
	v_add_co_u32 v26, vcc_lo, s6, v2
	s_delay_alu instid0(VALU_DEP_4)
	v_add_co_ci_u32_e32 v27, vcc_lo, s7, v3, vcc_lo
	v_add_co_u32 v28, vcc_lo, s16, v2
	v_add_co_ci_u32_e32 v29, vcc_lo, s17, v3, vcc_lo
	v_dual_mov_b32 v3, v1 :: v_dual_mov_b32 v2, v0
	s_lshl_b32 s12, s18, 2
	s_lshl_b32 s19, s18, 1
	s_mul_i32 s20, s18, 3
	s_lshl_b32 s21, s18, 5
	s_mov_b32 s7, 0x7fffff
	s_mov_b64 s[16:17], s[12:13]
	s_branch .LBB133_181
.LBB133_180:                            ;   in Loop: Header=BB133_181 Depth=1
	s_or_b32 exec_lo, exec_lo, s0
	v_add_co_u32 v2, vcc_lo, v2, s12
	v_add_co_ci_u32_e32 v3, vcc_lo, 0, v3, vcc_lo
	v_add_co_u32 v14, vcc_lo, v14, s21
	v_add_co_ci_u32_e32 v15, vcc_lo, 0, v15, vcc_lo
	v_add_co_u32 v16, vcc_lo, v16, s21
	v_add_co_ci_u32_e32 v17, vcc_lo, 0, v17, vcc_lo
	v_add_co_u32 v18, vcc_lo, v18, s21
	v_add_co_ci_u32_e32 v19, vcc_lo, 0, v19, vcc_lo
	v_add_co_u32 v20, vcc_lo, v20, s21
	v_add_co_ci_u32_e32 v21, vcc_lo, 0, v21, vcc_lo
	v_add_co_u32 v22, vcc_lo, v22, s21
	v_add_co_ci_u32_e32 v23, vcc_lo, 0, v23, vcc_lo
	v_add_co_u32 v24, vcc_lo, v24, s21
	v_add_co_ci_u32_e32 v25, vcc_lo, 0, v25, vcc_lo
	v_cmp_ge_i64_e64 s0, s[16:17], s[10:11]
	v_cmp_lt_u64_e64 s1, 0xffff, s[16:17]
	v_add_co_u32 v26, vcc_lo, v26, s21
	v_add_co_ci_u32_e32 v27, vcc_lo, 0, v27, vcc_lo
	v_add_co_u32 v28, vcc_lo, v28, s21
	v_add_co_ci_u32_e32 v29, vcc_lo, 0, v29, vcc_lo
	s_or_b32 s0, s0, s1
	s_add_u32 s16, s16, s12
	s_addc_u32 s17, s17, 0
	s_and_b32 vcc_lo, exec_lo, s0
	s_cbranch_vccnz .LBB133_373
.LBB133_181:                            ; =>This Inner Loop Header: Depth=1
	v_cmp_gt_u64_e32 vcc_lo, s[14:15], v[2:3]
	v_dual_mov_b32 v11, 0 :: v_dual_mov_b32 v10, 0
	s_and_saveexec_b32 s1, vcc_lo
	s_cbranch_execz .LBB133_183
; %bb.182:                              ;   in Loop: Header=BB133_181 Depth=1
	v_add_co_u32 v4, s0, v14, s8
	s_delay_alu instid0(VALU_DEP_1)
	v_add_co_ci_u32_e64 v5, s0, s9, v15, s0
	global_load_b64 v[10:11], v[4:5], off offset:-4
.LBB133_183:                            ;   in Loop: Header=BB133_181 Depth=1
	s_or_b32 exec_lo, exec_lo, s1
	v_add_co_u32 v4, s0, s18, v2
	s_delay_alu instid0(VALU_DEP_1) | instskip(SKIP_2) | instid1(VALU_DEP_3)
	v_add_co_ci_u32_e64 v5, s0, 0, v3, s0
	v_dual_mov_b32 v9, 0 :: v_dual_mov_b32 v12, 0
	v_mov_b32_e32 v13, 0
	v_cmp_gt_u64_e64 s0, s[14:15], v[4:5]
	s_delay_alu instid0(VALU_DEP_1)
	s_and_saveexec_b32 s2, s0
	s_cbranch_execz .LBB133_185
; %bb.184:                              ;   in Loop: Header=BB133_181 Depth=1
	v_add_co_u32 v4, s1, v22, s8
	s_delay_alu instid0(VALU_DEP_1)
	v_add_co_ci_u32_e64 v5, s1, s9, v23, s1
	global_load_b64 v[12:13], v[4:5], off
.LBB133_185:                            ;   in Loop: Header=BB133_181 Depth=1
	s_or_b32 exec_lo, exec_lo, s2
	v_add_co_u32 v4, s1, s19, v2
	s_delay_alu instid0(VALU_DEP_1) | instskip(SKIP_1) | instid1(VALU_DEP_2)
	v_add_co_ci_u32_e64 v5, s1, 0, v3, s1
	v_mov_b32_e32 v8, 0
	v_cmp_gt_u64_e64 s1, s[14:15], v[4:5]
	s_delay_alu instid0(VALU_DEP_1)
	s_and_saveexec_b32 s3, s1
	s_cbranch_execz .LBB133_187
; %bb.186:                              ;   in Loop: Header=BB133_181 Depth=1
	v_add_co_u32 v4, s2, v26, s8
	s_delay_alu instid0(VALU_DEP_1)
	v_add_co_ci_u32_e64 v5, s2, s9, v27, s2
	global_load_b64 v[8:9], v[4:5], off offset:-4
.LBB133_187:                            ;   in Loop: Header=BB133_181 Depth=1
	s_or_b32 exec_lo, exec_lo, s3
	v_add_co_u32 v4, s2, s20, v2
	s_delay_alu instid0(VALU_DEP_1) | instskip(NEXT) | instid1(VALU_DEP_1)
	v_add_co_ci_u32_e64 v5, s2, 0, v3, s2
	v_cmp_gt_u64_e64 s2, s[14:15], v[4:5]
	v_dual_mov_b32 v5, 0 :: v_dual_mov_b32 v4, 0
	s_delay_alu instid0(VALU_DEP_2)
	s_and_saveexec_b32 s4, s2
	s_cbranch_execz .LBB133_189
; %bb.188:                              ;   in Loop: Header=BB133_181 Depth=1
	v_add_co_u32 v4, s3, v20, s8
	s_delay_alu instid0(VALU_DEP_1)
	v_add_co_ci_u32_e64 v5, s3, s9, v21, s3
	global_load_b64 v[4:5], v[4:5], off offset:-4
.LBB133_189:                            ;   in Loop: Header=BB133_181 Depth=1
	s_or_b32 exec_lo, exec_lo, s4
	s_waitcnt vmcnt(0)
	v_and_b32_e32 v30, 0x7fffffff, v11
                                        ; implicit-def: $vgpr7
	s_mov_b32 s4, exec_lo
	s_delay_alu instid0(VALU_DEP_1)
	v_cmpx_ne_u32_e32 0, v30
	s_xor_b32 s13, exec_lo, s4
	s_cbranch_execz .LBB133_230
; %bb.190:                              ;   in Loop: Header=BB133_181 Depth=1
	v_and_b32_e32 v0, 0x7fffffff, v10
                                        ; implicit-def: $vgpr7
	s_mov_b32 s4, exec_lo
	s_delay_alu instid0(VALU_DEP_1)
	v_cmpx_ne_u32_e32 0, v0
	s_xor_b32 s25, exec_lo, s4
	s_cbranch_execz .LBB133_219
; %bb.191:                              ;   in Loop: Header=BB133_181 Depth=1
                                        ; implicit-def: $vgpr7
	s_mov_b32 s4, exec_lo
	v_cmpx_gt_u32_e32 0x7f800000, v30
	s_xor_b32 s26, exec_lo, s4
	s_cbranch_execz .LBB133_212
; %bb.192:                              ;   in Loop: Header=BB133_181 Depth=1
	v_add_nc_u32_e32 v0, 0xbd4e8de8, v10
                                        ; implicit-def: $vgpr7
	s_mov_b32 s4, exec_lo
	s_delay_alu instid0(VALU_DEP_1)
	v_cmpx_lt_u32_e32 0x8e8e5c, v0
	s_xor_b32 s27, exec_lo, s4
	s_cbranch_execz .LBB133_202
; %bb.193:                              ;   in Loop: Header=BB133_181 Depth=1
	v_cmp_ngt_f32_e64 s28, 0x48000000, |v11|
                                        ; implicit-def: $vgpr7
                                        ; implicit-def: $vgpr6
	s_delay_alu instid0(VALU_DEP_1) | instskip(NEXT) | instid1(SALU_CYCLE_1)
	s_and_saveexec_b32 s3, s28
	s_xor_b32 s29, exec_lo, s3
	s_cbranch_execz .LBB133_195
; %bb.194:                              ;   in Loop: Header=BB133_181 Depth=1
	v_and_or_b32 v38, v30, s7, 0x800000
	s_delay_alu instid0(VALU_DEP_1) | instskip(NEXT) | instid1(VALU_DEP_1)
	v_mad_u64_u32 v[6:7], null, 0xfe5163ab, v38, 0
	v_mov_b32_e32 v0, v7
	v_lshrrev_b32_e32 v7, 23, v30
	s_delay_alu instid0(VALU_DEP_1) | instskip(NEXT) | instid1(VALU_DEP_3)
	v_add_nc_u32_e32 v7, 0xffffff88, v7
	v_mad_u64_u32 v[31:32], null, 0x3c439041, v38, v[0:1]
	s_delay_alu instid0(VALU_DEP_2) | instskip(NEXT) | instid1(VALU_DEP_1)
	v_cmp_lt_u32_e64 s3, 63, v7
	v_cndmask_b32_e64 v36, 0, 0xffffffc0, s3
	s_delay_alu instid0(VALU_DEP_1) | instskip(NEXT) | instid1(VALU_DEP_1)
	v_add_nc_u32_e32 v7, v36, v7
	v_cmp_lt_u32_e64 s4, 31, v7
	s_delay_alu instid0(VALU_DEP_1) | instskip(NEXT) | instid1(VALU_DEP_1)
	v_cndmask_b32_e64 v37, 0, 0xffffffe0, s4
	v_dual_mov_b32 v0, v32 :: v_dual_add_nc_u32 v7, v37, v7
	s_delay_alu instid0(VALU_DEP_1) | instskip(NEXT) | instid1(VALU_DEP_2)
	v_mad_u64_u32 v[32:33], null, 0xdb629599, v38, v[0:1]
	v_cmp_lt_u32_e64 s5, 31, v7
	s_delay_alu instid0(VALU_DEP_2) | instskip(NEXT) | instid1(VALU_DEP_3)
	v_mov_b32_e32 v0, v33
	v_cndmask_b32_e64 v6, v32, v6, s3
	s_delay_alu instid0(VALU_DEP_2) | instskip(NEXT) | instid1(VALU_DEP_1)
	v_mad_u64_u32 v[33:34], null, 0xf534ddc0, v38, v[0:1]
	v_mov_b32_e32 v0, v34
	s_delay_alu instid0(VALU_DEP_1) | instskip(NEXT) | instid1(VALU_DEP_1)
	v_mad_u64_u32 v[34:35], null, 0xfc2757d1, v38, v[0:1]
	v_mov_b32_e32 v0, v35
	s_delay_alu instid0(VALU_DEP_1) | instskip(NEXT) | instid1(VALU_DEP_1)
	v_mad_u64_u32 v[35:36], null, 0x4e441529, v38, v[0:1]
	v_mov_b32_e32 v0, v36
	s_delay_alu instid0(VALU_DEP_1) | instskip(SKIP_1) | instid1(VALU_DEP_4)
	v_mad_u64_u32 v[36:37], null, 0xa2f9836e, v38, v[0:1]
	v_cndmask_b32_e64 v0, 0, 0xffffffe0, s5
	v_cndmask_b32_e64 v38, v35, v33, s3
	s_delay_alu instid0(VALU_DEP_2) | instskip(NEXT) | instid1(VALU_DEP_4)
	v_add_nc_u32_e32 v0, v0, v7
	v_cndmask_b32_e64 v36, v36, v34, s3
	v_cndmask_b32_e64 v35, v37, v35, s3
	;; [unrolled: 1-line block ×4, first 2 shown]
	v_cmp_eq_u32_e64 s6, 0, v0
	v_cndmask_b32_e64 v31, v36, v38, s4
	v_cndmask_b32_e64 v33, v35, v36, s4
	;; [unrolled: 1-line block ×3, first 2 shown]
	v_sub_nc_u32_e32 v36, 32, v0
	v_cndmask_b32_e64 v34, v34, v7, s4
	v_cndmask_b32_e64 v6, v7, v6, s4
	;; [unrolled: 1-line block ×4, first 2 shown]
	s_delay_alu instid0(VALU_DEP_4) | instskip(NEXT) | instid1(VALU_DEP_4)
	v_cndmask_b32_e64 v35, v35, v34, s5
	v_cndmask_b32_e64 v6, v34, v6, s5
	s_delay_alu instid0(VALU_DEP_3) | instskip(NEXT) | instid1(VALU_DEP_3)
	v_alignbit_b32 v37, v33, v31, v36
	v_alignbit_b32 v38, v31, v35, v36
	s_delay_alu instid0(VALU_DEP_3) | instskip(NEXT) | instid1(VALU_DEP_3)
	v_alignbit_b32 v36, v35, v6, v36
	v_cndmask_b32_e64 v0, v37, v33, s6
	s_delay_alu instid0(VALU_DEP_3) | instskip(NEXT) | instid1(VALU_DEP_3)
	v_cndmask_b32_e64 v31, v38, v31, s6
	v_cndmask_b32_e64 v35, v36, v35, s6
	s_delay_alu instid0(VALU_DEP_3) | instskip(NEXT) | instid1(VALU_DEP_3)
	v_bfe_u32 v32, v0, 29, 1
	v_alignbit_b32 v7, v0, v31, 30
	s_delay_alu instid0(VALU_DEP_3) | instskip(SKIP_1) | instid1(VALU_DEP_4)
	v_alignbit_b32 v31, v31, v35, 30
	v_alignbit_b32 v6, v35, v6, 30
	v_sub_nc_u32_e32 v33, 0, v32
	s_delay_alu instid0(VALU_DEP_1) | instskip(SKIP_3) | instid1(VALU_DEP_4)
	v_xor_b32_e32 v34, v7, v33
	v_cmp_ne_u32_e64 s3, v7, v33
	v_xor_b32_e32 v31, v31, v33
	v_xor_b32_e32 v6, v6, v33
	v_clz_i32_u32_e32 v37, v34
	s_delay_alu instid0(VALU_DEP_1) | instskip(NEXT) | instid1(VALU_DEP_1)
	v_add_nc_u32_e32 v36, 1, v37
	v_cndmask_b32_e64 v7, 33, v36, s3
	s_delay_alu instid0(VALU_DEP_1) | instskip(NEXT) | instid1(VALU_DEP_1)
	v_sub_nc_u32_e32 v35, 32, v7
	v_alignbit_b32 v33, v34, v31, v35
	v_alignbit_b32 v6, v31, v6, v35
	v_lshrrev_b32_e32 v31, 29, v0
	v_lshrrev_b32_e32 v0, 30, v0
	s_delay_alu instid0(VALU_DEP_3) | instskip(NEXT) | instid1(VALU_DEP_3)
	v_alignbit_b32 v34, v33, v6, 9
	v_lshlrev_b32_e32 v31, 31, v31
	v_alignbit_b32 v33, v7, v33, 9
	s_delay_alu instid0(VALU_DEP_3) | instskip(NEXT) | instid1(VALU_DEP_2)
	v_clz_i32_u32_e32 v35, v34
	v_or_b32_e32 v33, v33, v31
	v_or_b32_e32 v31, 0x33800000, v31
	s_delay_alu instid0(VALU_DEP_3) | instskip(NEXT) | instid1(VALU_DEP_3)
	v_min_u32_e32 v35, 32, v35
	v_xor_b32_e32 v33, 1.0, v33
	s_delay_alu instid0(VALU_DEP_2) | instskip(SKIP_1) | instid1(VALU_DEP_3)
	v_sub_nc_u32_e32 v36, 31, v35
	v_add_lshl_u32 v7, v35, v7, 23
	v_mul_f32_e32 v35, 0x3fc90fda, v33
	s_delay_alu instid0(VALU_DEP_3) | instskip(NEXT) | instid1(VALU_DEP_3)
	v_alignbit_b32 v6, v34, v6, v36
	v_sub_nc_u32_e32 v7, v31, v7
	s_delay_alu instid0(VALU_DEP_3) | instskip(NEXT) | instid1(VALU_DEP_3)
	v_fma_f32 v31, 0x3fc90fda, v33, -v35
	v_lshrrev_b32_e32 v6, 9, v6
	s_delay_alu instid0(VALU_DEP_2) | instskip(NEXT) | instid1(VALU_DEP_2)
	v_fmac_f32_e32 v31, 0x33a22168, v33
	v_or_b32_e32 v6, v7, v6
	v_add_nc_u32_e32 v7, v32, v0
	s_delay_alu instid0(VALU_DEP_2) | instskip(NEXT) | instid1(VALU_DEP_1)
	v_fmac_f32_e32 v31, 0x3fc90fda, v6
	v_add_f32_e32 v6, v35, v31
	s_and_not1_saveexec_b32 s3, s29
	s_branch .LBB133_196
.LBB133_195:                            ;   in Loop: Header=BB133_181 Depth=1
	s_and_not1_saveexec_b32 s3, s29
.LBB133_196:                            ;   in Loop: Header=BB133_181 Depth=1
	v_mul_f32_e64 v0, 0x3f22f983, |v11|
	s_delay_alu instid0(VALU_DEP_1) | instskip(NEXT) | instid1(VALU_DEP_1)
	v_rndne_f32_e32 v0, v0
	v_fma_f32 v6, 0xbfc90fda, v0, |v11|
	v_cvt_i32_f32_e32 v7, v0
	s_delay_alu instid0(VALU_DEP_2) | instskip(NEXT) | instid1(VALU_DEP_1)
	v_fmac_f32_e32 v6, 0xb3a22168, v0
	v_fmac_f32_e32 v6, 0xa7c234c4, v0
; %bb.197:                              ;   in Loop: Header=BB133_181 Depth=1
	s_or_b32 exec_lo, exec_lo, s3
                                        ; implicit-def: $vgpr31
                                        ; implicit-def: $vgpr0
	s_and_saveexec_b32 s3, s28
	s_delay_alu instid0(SALU_CYCLE_1)
	s_xor_b32 s28, exec_lo, s3
	s_cbranch_execz .LBB133_199
; %bb.198:                              ;   in Loop: Header=BB133_181 Depth=1
	v_and_or_b32 v39, v30, s7, 0x800000
	v_lshrrev_b32_e32 v36, 23, v30
	s_delay_alu instid0(VALU_DEP_2) | instskip(NEXT) | instid1(VALU_DEP_2)
	v_mad_u64_u32 v[31:32], null, 0xfe5163ab, v39, 0
	v_add_nc_u32_e32 v37, 0xffffff88, v36
	s_delay_alu instid0(VALU_DEP_1) | instskip(NEXT) | instid1(VALU_DEP_3)
	v_cmp_lt_u32_e64 s3, 63, v37
	v_mov_b32_e32 v0, v32
	s_delay_alu instid0(VALU_DEP_2) | instskip(NEXT) | instid1(VALU_DEP_2)
	v_cndmask_b32_e64 v38, 0, 0xffffffc0, s3
	v_mad_u64_u32 v[32:33], null, 0x3c439041, v39, v[0:1]
	s_delay_alu instid0(VALU_DEP_2) | instskip(NEXT) | instid1(VALU_DEP_2)
	v_add_nc_u32_e32 v38, v38, v37
	v_mov_b32_e32 v0, v33
	s_delay_alu instid0(VALU_DEP_2) | instskip(NEXT) | instid1(VALU_DEP_2)
	v_cmp_lt_u32_e64 s4, 31, v38
	v_mad_u64_u32 v[33:34], null, 0xdb629599, v39, v[0:1]
	s_delay_alu instid0(VALU_DEP_2) | instskip(NEXT) | instid1(VALU_DEP_1)
	v_cndmask_b32_e64 v40, 0, 0xffffffe0, s4
	v_add_nc_u32_e32 v40, v40, v38
	s_delay_alu instid0(VALU_DEP_3) | instskip(NEXT) | instid1(VALU_DEP_4)
	v_mov_b32_e32 v0, v34
	v_cndmask_b32_e64 v31, v33, v31, s3
	s_delay_alu instid0(VALU_DEP_3) | instskip(NEXT) | instid1(VALU_DEP_3)
	v_cmp_lt_u32_e64 s5, 31, v40
	v_mad_u64_u32 v[34:35], null, 0xf534ddc0, v39, v[0:1]
	s_delay_alu instid0(VALU_DEP_1) | instskip(NEXT) | instid1(VALU_DEP_2)
	v_mov_b32_e32 v0, v35
	v_cndmask_b32_e64 v32, v34, v32, s3
	s_delay_alu instid0(VALU_DEP_2) | instskip(NEXT) | instid1(VALU_DEP_2)
	v_mad_u64_u32 v[35:36], null, 0xfc2757d1, v39, v[0:1]
	v_cndmask_b32_e64 v31, v32, v31, s4
	s_delay_alu instid0(VALU_DEP_2) | instskip(NEXT) | instid1(VALU_DEP_1)
	v_mov_b32_e32 v0, v36
	v_mad_u64_u32 v[36:37], null, 0x4e441529, v39, v[0:1]
	s_delay_alu instid0(VALU_DEP_1) | instskip(NEXT) | instid1(VALU_DEP_1)
	v_mov_b32_e32 v0, v37
	v_mad_u64_u32 v[37:38], null, 0xa2f9836e, v39, v[0:1]
	v_cndmask_b32_e64 v0, 0, 0xffffffe0, s5
	s_delay_alu instid0(VALU_DEP_4) | instskip(NEXT) | instid1(VALU_DEP_2)
	v_cndmask_b32_e64 v39, v36, v34, s3
	v_add_nc_u32_e32 v0, v0, v40
	s_delay_alu instid0(VALU_DEP_4) | instskip(SKIP_2) | instid1(VALU_DEP_4)
	v_cndmask_b32_e64 v37, v37, v35, s3
	v_cndmask_b32_e64 v36, v38, v36, s3
	;; [unrolled: 1-line block ×3, first 2 shown]
	v_sub_nc_u32_e32 v38, 32, v0
	s_delay_alu instid0(VALU_DEP_4) | instskip(NEXT) | instid1(VALU_DEP_4)
	v_cndmask_b32_e64 v34, v37, v39, s4
	v_cndmask_b32_e64 v36, v36, v37, s4
	s_delay_alu instid0(VALU_DEP_4) | instskip(SKIP_2) | instid1(VALU_DEP_4)
	v_cndmask_b32_e64 v37, v39, v35, s4
	v_cndmask_b32_e64 v35, v35, v32, s4
	v_cmp_eq_u32_e64 s6, 0, v0
	v_cndmask_b32_e64 v36, v36, v34, s5
	s_delay_alu instid0(VALU_DEP_4) | instskip(NEXT) | instid1(VALU_DEP_4)
	v_cndmask_b32_e64 v34, v34, v37, s5
	v_cndmask_b32_e64 v37, v37, v35, s5
	;; [unrolled: 1-line block ×3, first 2 shown]
	s_delay_alu instid0(VALU_DEP_3) | instskip(NEXT) | instid1(VALU_DEP_3)
	v_alignbit_b32 v39, v36, v34, v38
	v_alignbit_b32 v40, v34, v37, v38
	s_delay_alu instid0(VALU_DEP_3) | instskip(NEXT) | instid1(VALU_DEP_3)
	v_alignbit_b32 v38, v37, v31, v38
	v_cndmask_b32_e64 v0, v39, v36, s6
	s_delay_alu instid0(VALU_DEP_3) | instskip(NEXT) | instid1(VALU_DEP_3)
	v_cndmask_b32_e64 v33, v40, v34, s6
	v_cndmask_b32_e64 v37, v38, v37, s6
	s_delay_alu instid0(VALU_DEP_3) | instskip(NEXT) | instid1(VALU_DEP_3)
	v_bfe_u32 v34, v0, 29, 1
	v_alignbit_b32 v32, v0, v33, 30
	s_delay_alu instid0(VALU_DEP_3) | instskip(SKIP_1) | instid1(VALU_DEP_4)
	v_alignbit_b32 v33, v33, v37, 30
	v_alignbit_b32 v31, v37, v31, 30
	v_sub_nc_u32_e32 v36, 0, v34
	s_delay_alu instid0(VALU_DEP_1) | instskip(SKIP_3) | instid1(VALU_DEP_4)
	v_xor_b32_e32 v35, v32, v36
	v_cmp_ne_u32_e64 s3, v32, v36
	v_xor_b32_e32 v33, v33, v36
	v_xor_b32_e32 v31, v31, v36
	v_clz_i32_u32_e32 v39, v35
	s_delay_alu instid0(VALU_DEP_1) | instskip(NEXT) | instid1(VALU_DEP_1)
	v_add_nc_u32_e32 v38, 1, v39
	v_cndmask_b32_e64 v32, 33, v38, s3
	s_delay_alu instid0(VALU_DEP_1) | instskip(NEXT) | instid1(VALU_DEP_1)
	v_sub_nc_u32_e32 v37, 32, v32
	v_alignbit_b32 v35, v35, v33, v37
	v_alignbit_b32 v31, v33, v31, v37
	v_lshrrev_b32_e32 v33, 29, v0
	s_delay_alu instid0(VALU_DEP_2) | instskip(NEXT) | instid1(VALU_DEP_2)
	v_alignbit_b32 v36, v35, v31, 9
	v_lshlrev_b32_e32 v33, 31, v33
	v_alignbit_b32 v35, v32, v35, 9
	s_delay_alu instid0(VALU_DEP_3) | instskip(NEXT) | instid1(VALU_DEP_2)
	v_clz_i32_u32_e32 v37, v36
	v_or_b32_e32 v35, v35, v33
	v_or_b32_e32 v33, 0x33800000, v33
	s_delay_alu instid0(VALU_DEP_3) | instskip(NEXT) | instid1(VALU_DEP_3)
	v_min_u32_e32 v37, 32, v37
	v_xor_b32_e32 v35, 1.0, v35
	s_delay_alu instid0(VALU_DEP_2) | instskip(SKIP_1) | instid1(VALU_DEP_3)
	v_sub_nc_u32_e32 v38, 31, v37
	v_add_lshl_u32 v32, v37, v32, 23
	v_mul_f32_e32 v37, 0x3fc90fda, v35
	s_delay_alu instid0(VALU_DEP_3) | instskip(NEXT) | instid1(VALU_DEP_3)
	v_alignbit_b32 v31, v36, v31, v38
	v_sub_nc_u32_e32 v32, v33, v32
	s_delay_alu instid0(VALU_DEP_3) | instskip(NEXT) | instid1(VALU_DEP_3)
	v_fma_f32 v33, 0x3fc90fda, v35, -v37
	v_lshrrev_b32_e32 v31, 9, v31
	s_delay_alu instid0(VALU_DEP_2) | instskip(NEXT) | instid1(VALU_DEP_2)
	v_fmac_f32_e32 v33, 0x33a22168, v35
	v_or_b32_e32 v31, v32, v31
	s_delay_alu instid0(VALU_DEP_1) | instskip(SKIP_1) | instid1(VALU_DEP_1)
	v_fmac_f32_e32 v33, 0x3fc90fda, v31
	v_lshrrev_b32_e32 v31, 30, v0
	v_dual_add_f32 v0, v37, v33 :: v_dual_add_nc_u32 v31, v34, v31
	s_and_not1_saveexec_b32 s3, s28
	s_cbranch_execnz .LBB133_200
	s_branch .LBB133_201
.LBB133_199:                            ;   in Loop: Header=BB133_181 Depth=1
	s_and_not1_saveexec_b32 s3, s28
.LBB133_200:                            ;   in Loop: Header=BB133_181 Depth=1
	v_mul_f32_e64 v0, 0x3f22f983, |v11|
	s_delay_alu instid0(VALU_DEP_1) | instskip(NEXT) | instid1(VALU_DEP_1)
	v_rndne_f32_e32 v31, v0
	v_fma_f32 v0, 0xbfc90fda, v31, |v11|
	s_delay_alu instid0(VALU_DEP_1) | instskip(NEXT) | instid1(VALU_DEP_1)
	v_fmac_f32_e32 v0, 0xb3a22168, v31
	v_fmac_f32_e32 v0, 0xa7c234c4, v31
	v_cvt_i32_f32_e32 v31, v31
.LBB133_201:                            ;   in Loop: Header=BB133_181 Depth=1
	s_or_b32 exec_lo, exec_lo, s3
	v_mul_f32_e32 v32, 0x3fb8aa3b, v10
	v_dual_mul_f32 v33, v6, v6 :: v_dual_and_b32 v34, 1, v7
	v_lshlrev_b32_e32 v7, 30, v7
	v_dual_mul_f32 v37, v0, v0 :: v_dual_and_b32 v38, 1, v31
	s_delay_alu instid0(VALU_DEP_4) | instskip(SKIP_2) | instid1(VALU_DEP_3)
	v_rndne_f32_e32 v35, v32
	v_fma_f32 v36, 0x3fb8aa3b, v10, -v32
	v_dual_fmaak_f32 v40, s23, v33, 0xbab64f3b :: v_dual_lshlrev_b32 v31, 30, v31
	v_dual_fmaak_f32 v39, s22, v33, 0x3c0881c4 :: v_dual_sub_f32 v32, v32, v35
	s_delay_alu instid0(VALU_DEP_3)
	v_fmac_f32_e32 v36, 0x32a5705f, v10
	v_fmaak_f32 v41, s22, v37, 0x3c0881c4
	v_fmaak_f32 v42, s23, v37, 0xbab64f3b
	v_cmp_eq_u32_e64 s3, 0, v34
	v_cvt_i32_f32_e32 v35, v35
	v_add_f32_e32 v32, v32, v36
	v_fmaak_f32 v36, v33, v39, 0xbe2aaa9d
	v_fmaak_f32 v39, v33, v40, 0x3d2aabf7
	v_fmaak_f32 v40, v37, v41, 0xbe2aaa9d
	v_and_b32_e32 v7, 0x80000000, v7
	v_exp_f32_e32 v32, v32
	v_mul_f32_e32 v36, v33, v36
	v_fmaak_f32 v41, v37, v42, 0x3d2aabf7
	v_mul_f32_e32 v40, v37, v40
	v_fmaak_f32 v39, v33, v39, 0xbf000004
	v_and_or_b32 v30, 0x80000000, v31, v30
	s_delay_alu instid0(VALU_DEP_4) | instskip(NEXT) | instid1(VALU_DEP_4)
	v_dual_fmac_f32 v6, v6, v36 :: v_dual_fmaak_f32 v41, v37, v41, 0xbf000004
	v_fmac_f32_e32 v0, v0, v40
	s_delay_alu instid0(VALU_DEP_4) | instskip(NEXT) | instid1(TRANS32_DEP_1)
	v_fma_f32 v33, v33, v39, 1.0
	v_ldexp_f32 v32, v32, v35
	v_cmp_nlt_f32_e64 s4, 0x42b17218, v10
	v_fma_f32 v36, v37, v41, 1.0
	s_delay_alu instid0(VALU_DEP_4) | instskip(SKIP_1) | instid1(VALU_DEP_2)
	v_cndmask_b32_e64 v6, -v6, v33, s3
	v_cmp_eq_u32_e64 s3, 0, v38
	v_xor_b32_e32 v6, v7, v6
	s_delay_alu instid0(VALU_DEP_2) | instskip(SKIP_1) | instid1(VALU_DEP_2)
	v_cndmask_b32_e64 v0, v36, v0, s3
	v_cmp_ngt_f32_e64 s3, 0xc2ce8ed0, v10
	v_xor3_b32 v0, v30, v0, v11
	s_delay_alu instid0(VALU_DEP_2) | instskip(SKIP_1) | instid1(VALU_DEP_2)
	v_cndmask_b32_e64 v31, 0, v32, s3
	v_cmp_class_f32_e64 s3, v11, 0x1f8
                                        ; implicit-def: $vgpr11
                                        ; implicit-def: $vgpr30
	v_cndmask_b32_e64 v7, 0x7f800000, v31, s4
	s_delay_alu instid0(VALU_DEP_2) | instskip(SKIP_1) | instid1(VALU_DEP_2)
	v_cndmask_b32_e64 v6, 0x7fc00000, v6, s3
	v_cndmask_b32_e64 v0, 0x7fc00000, v0, s3
	v_mul_f32_e32 v6, v7, v6
	s_delay_alu instid0(VALU_DEP_2)
	v_mul_f32_e32 v7, v7, v0
.LBB133_202:                            ;   in Loop: Header=BB133_181 Depth=1
	s_and_not1_saveexec_b32 s27, s27
	s_cbranch_execz .LBB133_238
; %bb.203:                              ;   in Loop: Header=BB133_181 Depth=1
	v_cmp_ngt_f32_e64 s28, 0x48000000, |v11|
                                        ; implicit-def: $vgpr7
                                        ; implicit-def: $vgpr6
	s_delay_alu instid0(VALU_DEP_1) | instskip(NEXT) | instid1(SALU_CYCLE_1)
	s_and_saveexec_b32 s3, s28
	s_xor_b32 s29, exec_lo, s3
	s_cbranch_execz .LBB133_205
; %bb.204:                              ;   in Loop: Header=BB133_181 Depth=1
	v_and_or_b32 v38, v30, s7, 0x800000
	s_delay_alu instid0(VALU_DEP_1) | instskip(NEXT) | instid1(VALU_DEP_1)
	v_mad_u64_u32 v[6:7], null, 0xfe5163ab, v38, 0
	v_mov_b32_e32 v0, v7
	v_lshrrev_b32_e32 v7, 23, v30
	s_delay_alu instid0(VALU_DEP_1) | instskip(NEXT) | instid1(VALU_DEP_3)
	v_add_nc_u32_e32 v7, 0xffffff88, v7
	v_mad_u64_u32 v[31:32], null, 0x3c439041, v38, v[0:1]
	s_delay_alu instid0(VALU_DEP_2) | instskip(NEXT) | instid1(VALU_DEP_1)
	v_cmp_lt_u32_e64 s3, 63, v7
	v_cndmask_b32_e64 v36, 0, 0xffffffc0, s3
	s_delay_alu instid0(VALU_DEP_1) | instskip(NEXT) | instid1(VALU_DEP_1)
	v_add_nc_u32_e32 v7, v36, v7
	v_cmp_lt_u32_e64 s4, 31, v7
	s_delay_alu instid0(VALU_DEP_1) | instskip(NEXT) | instid1(VALU_DEP_1)
	v_cndmask_b32_e64 v37, 0, 0xffffffe0, s4
	v_dual_mov_b32 v0, v32 :: v_dual_add_nc_u32 v7, v37, v7
	s_delay_alu instid0(VALU_DEP_1) | instskip(NEXT) | instid1(VALU_DEP_2)
	v_mad_u64_u32 v[32:33], null, 0xdb629599, v38, v[0:1]
	v_cmp_lt_u32_e64 s5, 31, v7
	s_delay_alu instid0(VALU_DEP_2) | instskip(NEXT) | instid1(VALU_DEP_3)
	v_mov_b32_e32 v0, v33
	v_cndmask_b32_e64 v6, v32, v6, s3
	s_delay_alu instid0(VALU_DEP_2) | instskip(NEXT) | instid1(VALU_DEP_1)
	v_mad_u64_u32 v[33:34], null, 0xf534ddc0, v38, v[0:1]
	v_mov_b32_e32 v0, v34
	s_delay_alu instid0(VALU_DEP_1) | instskip(NEXT) | instid1(VALU_DEP_1)
	v_mad_u64_u32 v[34:35], null, 0xfc2757d1, v38, v[0:1]
	v_mov_b32_e32 v0, v35
	s_delay_alu instid0(VALU_DEP_1) | instskip(NEXT) | instid1(VALU_DEP_1)
	v_mad_u64_u32 v[35:36], null, 0x4e441529, v38, v[0:1]
	v_mov_b32_e32 v0, v36
	s_delay_alu instid0(VALU_DEP_1) | instskip(SKIP_1) | instid1(VALU_DEP_4)
	v_mad_u64_u32 v[36:37], null, 0xa2f9836e, v38, v[0:1]
	v_cndmask_b32_e64 v0, 0, 0xffffffe0, s5
	v_cndmask_b32_e64 v38, v35, v33, s3
	s_delay_alu instid0(VALU_DEP_2) | instskip(NEXT) | instid1(VALU_DEP_4)
	v_add_nc_u32_e32 v0, v0, v7
	v_cndmask_b32_e64 v36, v36, v34, s3
	v_cndmask_b32_e64 v35, v37, v35, s3
	;; [unrolled: 1-line block ×4, first 2 shown]
	v_cmp_eq_u32_e64 s6, 0, v0
	v_cndmask_b32_e64 v31, v36, v38, s4
	v_cndmask_b32_e64 v33, v35, v36, s4
	;; [unrolled: 1-line block ×3, first 2 shown]
	v_sub_nc_u32_e32 v36, 32, v0
	v_cndmask_b32_e64 v34, v34, v7, s4
	v_cndmask_b32_e64 v6, v7, v6, s4
	v_cndmask_b32_e64 v33, v33, v31, s5
	v_cndmask_b32_e64 v31, v31, v35, s5
	s_delay_alu instid0(VALU_DEP_4) | instskip(NEXT) | instid1(VALU_DEP_4)
	v_cndmask_b32_e64 v35, v35, v34, s5
	v_cndmask_b32_e64 v6, v34, v6, s5
	s_delay_alu instid0(VALU_DEP_3) | instskip(NEXT) | instid1(VALU_DEP_3)
	v_alignbit_b32 v37, v33, v31, v36
	v_alignbit_b32 v38, v31, v35, v36
	s_delay_alu instid0(VALU_DEP_3) | instskip(NEXT) | instid1(VALU_DEP_3)
	v_alignbit_b32 v36, v35, v6, v36
	v_cndmask_b32_e64 v0, v37, v33, s6
	s_delay_alu instid0(VALU_DEP_3) | instskip(NEXT) | instid1(VALU_DEP_3)
	v_cndmask_b32_e64 v31, v38, v31, s6
	v_cndmask_b32_e64 v35, v36, v35, s6
	s_delay_alu instid0(VALU_DEP_3) | instskip(NEXT) | instid1(VALU_DEP_3)
	v_bfe_u32 v32, v0, 29, 1
	v_alignbit_b32 v7, v0, v31, 30
	s_delay_alu instid0(VALU_DEP_3) | instskip(SKIP_1) | instid1(VALU_DEP_4)
	v_alignbit_b32 v31, v31, v35, 30
	v_alignbit_b32 v6, v35, v6, 30
	v_sub_nc_u32_e32 v33, 0, v32
	s_delay_alu instid0(VALU_DEP_1) | instskip(SKIP_3) | instid1(VALU_DEP_4)
	v_xor_b32_e32 v34, v7, v33
	v_cmp_ne_u32_e64 s3, v7, v33
	v_xor_b32_e32 v31, v31, v33
	v_xor_b32_e32 v6, v6, v33
	v_clz_i32_u32_e32 v37, v34
	s_delay_alu instid0(VALU_DEP_1) | instskip(NEXT) | instid1(VALU_DEP_1)
	v_add_nc_u32_e32 v36, 1, v37
	v_cndmask_b32_e64 v7, 33, v36, s3
	s_delay_alu instid0(VALU_DEP_1) | instskip(NEXT) | instid1(VALU_DEP_1)
	v_sub_nc_u32_e32 v35, 32, v7
	v_alignbit_b32 v33, v34, v31, v35
	v_alignbit_b32 v6, v31, v6, v35
	v_lshrrev_b32_e32 v31, 29, v0
	v_lshrrev_b32_e32 v0, 30, v0
	s_delay_alu instid0(VALU_DEP_3) | instskip(NEXT) | instid1(VALU_DEP_3)
	v_alignbit_b32 v34, v33, v6, 9
	v_lshlrev_b32_e32 v31, 31, v31
	v_alignbit_b32 v33, v7, v33, 9
	s_delay_alu instid0(VALU_DEP_3) | instskip(NEXT) | instid1(VALU_DEP_2)
	v_clz_i32_u32_e32 v35, v34
	v_or_b32_e32 v33, v33, v31
	v_or_b32_e32 v31, 0x33800000, v31
	s_delay_alu instid0(VALU_DEP_3) | instskip(NEXT) | instid1(VALU_DEP_3)
	v_min_u32_e32 v35, 32, v35
	v_xor_b32_e32 v33, 1.0, v33
	s_delay_alu instid0(VALU_DEP_2) | instskip(SKIP_1) | instid1(VALU_DEP_3)
	v_sub_nc_u32_e32 v36, 31, v35
	v_add_lshl_u32 v7, v35, v7, 23
	v_mul_f32_e32 v35, 0x3fc90fda, v33
	s_delay_alu instid0(VALU_DEP_3) | instskip(NEXT) | instid1(VALU_DEP_3)
	v_alignbit_b32 v6, v34, v6, v36
	v_sub_nc_u32_e32 v7, v31, v7
	s_delay_alu instid0(VALU_DEP_3) | instskip(NEXT) | instid1(VALU_DEP_3)
	v_fma_f32 v31, 0x3fc90fda, v33, -v35
	v_lshrrev_b32_e32 v6, 9, v6
	s_delay_alu instid0(VALU_DEP_2) | instskip(NEXT) | instid1(VALU_DEP_2)
	v_fmac_f32_e32 v31, 0x33a22168, v33
	v_or_b32_e32 v6, v7, v6
	v_add_nc_u32_e32 v7, v32, v0
	s_delay_alu instid0(VALU_DEP_2) | instskip(NEXT) | instid1(VALU_DEP_1)
	v_fmac_f32_e32 v31, 0x3fc90fda, v6
	v_add_f32_e32 v6, v35, v31
	s_and_not1_saveexec_b32 s3, s29
	s_branch .LBB133_206
.LBB133_205:                            ;   in Loop: Header=BB133_181 Depth=1
	s_and_not1_saveexec_b32 s3, s29
.LBB133_206:                            ;   in Loop: Header=BB133_181 Depth=1
	v_mul_f32_e64 v0, 0x3f22f983, |v11|
	s_delay_alu instid0(VALU_DEP_1) | instskip(NEXT) | instid1(VALU_DEP_1)
	v_rndne_f32_e32 v0, v0
	v_fma_f32 v6, 0xbfc90fda, v0, |v11|
	v_cvt_i32_f32_e32 v7, v0
	s_delay_alu instid0(VALU_DEP_2) | instskip(NEXT) | instid1(VALU_DEP_1)
	v_fmac_f32_e32 v6, 0xb3a22168, v0
	v_fmac_f32_e32 v6, 0xa7c234c4, v0
; %bb.207:                              ;   in Loop: Header=BB133_181 Depth=1
	s_or_b32 exec_lo, exec_lo, s3
                                        ; implicit-def: $vgpr31
                                        ; implicit-def: $vgpr0
	s_and_saveexec_b32 s3, s28
	s_delay_alu instid0(SALU_CYCLE_1)
	s_xor_b32 s28, exec_lo, s3
	s_cbranch_execz .LBB133_209
; %bb.208:                              ;   in Loop: Header=BB133_181 Depth=1
	v_and_or_b32 v39, v30, s7, 0x800000
	v_lshrrev_b32_e32 v36, 23, v30
	s_delay_alu instid0(VALU_DEP_2) | instskip(NEXT) | instid1(VALU_DEP_2)
	v_mad_u64_u32 v[31:32], null, 0xfe5163ab, v39, 0
	v_add_nc_u32_e32 v37, 0xffffff88, v36
	s_delay_alu instid0(VALU_DEP_1) | instskip(NEXT) | instid1(VALU_DEP_3)
	v_cmp_lt_u32_e64 s3, 63, v37
	v_mov_b32_e32 v0, v32
	s_delay_alu instid0(VALU_DEP_2) | instskip(NEXT) | instid1(VALU_DEP_2)
	v_cndmask_b32_e64 v38, 0, 0xffffffc0, s3
	v_mad_u64_u32 v[32:33], null, 0x3c439041, v39, v[0:1]
	s_delay_alu instid0(VALU_DEP_2) | instskip(NEXT) | instid1(VALU_DEP_2)
	v_add_nc_u32_e32 v38, v38, v37
	v_mov_b32_e32 v0, v33
	s_delay_alu instid0(VALU_DEP_2) | instskip(NEXT) | instid1(VALU_DEP_2)
	v_cmp_lt_u32_e64 s4, 31, v38
	v_mad_u64_u32 v[33:34], null, 0xdb629599, v39, v[0:1]
	s_delay_alu instid0(VALU_DEP_2) | instskip(NEXT) | instid1(VALU_DEP_1)
	v_cndmask_b32_e64 v40, 0, 0xffffffe0, s4
	v_add_nc_u32_e32 v40, v40, v38
	s_delay_alu instid0(VALU_DEP_3) | instskip(NEXT) | instid1(VALU_DEP_4)
	v_mov_b32_e32 v0, v34
	v_cndmask_b32_e64 v31, v33, v31, s3
	s_delay_alu instid0(VALU_DEP_3) | instskip(NEXT) | instid1(VALU_DEP_3)
	v_cmp_lt_u32_e64 s5, 31, v40
	v_mad_u64_u32 v[34:35], null, 0xf534ddc0, v39, v[0:1]
	s_delay_alu instid0(VALU_DEP_1) | instskip(NEXT) | instid1(VALU_DEP_2)
	v_mov_b32_e32 v0, v35
	v_cndmask_b32_e64 v32, v34, v32, s3
	s_delay_alu instid0(VALU_DEP_2) | instskip(NEXT) | instid1(VALU_DEP_2)
	v_mad_u64_u32 v[35:36], null, 0xfc2757d1, v39, v[0:1]
	v_cndmask_b32_e64 v31, v32, v31, s4
	s_delay_alu instid0(VALU_DEP_2) | instskip(NEXT) | instid1(VALU_DEP_1)
	v_mov_b32_e32 v0, v36
	v_mad_u64_u32 v[36:37], null, 0x4e441529, v39, v[0:1]
	s_delay_alu instid0(VALU_DEP_1) | instskip(NEXT) | instid1(VALU_DEP_1)
	v_mov_b32_e32 v0, v37
	v_mad_u64_u32 v[37:38], null, 0xa2f9836e, v39, v[0:1]
	v_cndmask_b32_e64 v0, 0, 0xffffffe0, s5
	s_delay_alu instid0(VALU_DEP_4) | instskip(NEXT) | instid1(VALU_DEP_2)
	v_cndmask_b32_e64 v39, v36, v34, s3
	v_add_nc_u32_e32 v0, v0, v40
	s_delay_alu instid0(VALU_DEP_4) | instskip(SKIP_2) | instid1(VALU_DEP_4)
	v_cndmask_b32_e64 v37, v37, v35, s3
	v_cndmask_b32_e64 v36, v38, v36, s3
	v_cndmask_b32_e64 v35, v35, v33, s3
	v_sub_nc_u32_e32 v38, 32, v0
	s_delay_alu instid0(VALU_DEP_4) | instskip(NEXT) | instid1(VALU_DEP_4)
	v_cndmask_b32_e64 v34, v37, v39, s4
	v_cndmask_b32_e64 v36, v36, v37, s4
	s_delay_alu instid0(VALU_DEP_4) | instskip(SKIP_2) | instid1(VALU_DEP_4)
	v_cndmask_b32_e64 v37, v39, v35, s4
	v_cndmask_b32_e64 v35, v35, v32, s4
	v_cmp_eq_u32_e64 s6, 0, v0
	v_cndmask_b32_e64 v36, v36, v34, s5
	s_delay_alu instid0(VALU_DEP_4) | instskip(NEXT) | instid1(VALU_DEP_4)
	v_cndmask_b32_e64 v34, v34, v37, s5
	v_cndmask_b32_e64 v37, v37, v35, s5
	;; [unrolled: 1-line block ×3, first 2 shown]
	s_delay_alu instid0(VALU_DEP_3) | instskip(NEXT) | instid1(VALU_DEP_3)
	v_alignbit_b32 v39, v36, v34, v38
	v_alignbit_b32 v40, v34, v37, v38
	s_delay_alu instid0(VALU_DEP_3) | instskip(NEXT) | instid1(VALU_DEP_3)
	v_alignbit_b32 v38, v37, v31, v38
	v_cndmask_b32_e64 v0, v39, v36, s6
	s_delay_alu instid0(VALU_DEP_3) | instskip(NEXT) | instid1(VALU_DEP_3)
	v_cndmask_b32_e64 v33, v40, v34, s6
	v_cndmask_b32_e64 v37, v38, v37, s6
	s_delay_alu instid0(VALU_DEP_3) | instskip(NEXT) | instid1(VALU_DEP_3)
	v_bfe_u32 v34, v0, 29, 1
	v_alignbit_b32 v32, v0, v33, 30
	s_delay_alu instid0(VALU_DEP_3) | instskip(SKIP_1) | instid1(VALU_DEP_4)
	v_alignbit_b32 v33, v33, v37, 30
	v_alignbit_b32 v31, v37, v31, 30
	v_sub_nc_u32_e32 v36, 0, v34
	s_delay_alu instid0(VALU_DEP_1) | instskip(SKIP_3) | instid1(VALU_DEP_4)
	v_xor_b32_e32 v35, v32, v36
	v_cmp_ne_u32_e64 s3, v32, v36
	v_xor_b32_e32 v33, v33, v36
	v_xor_b32_e32 v31, v31, v36
	v_clz_i32_u32_e32 v39, v35
	s_delay_alu instid0(VALU_DEP_1) | instskip(NEXT) | instid1(VALU_DEP_1)
	v_add_nc_u32_e32 v38, 1, v39
	v_cndmask_b32_e64 v32, 33, v38, s3
	s_delay_alu instid0(VALU_DEP_1) | instskip(NEXT) | instid1(VALU_DEP_1)
	v_sub_nc_u32_e32 v37, 32, v32
	v_alignbit_b32 v35, v35, v33, v37
	v_alignbit_b32 v31, v33, v31, v37
	v_lshrrev_b32_e32 v33, 29, v0
	s_delay_alu instid0(VALU_DEP_2) | instskip(NEXT) | instid1(VALU_DEP_2)
	v_alignbit_b32 v36, v35, v31, 9
	v_lshlrev_b32_e32 v33, 31, v33
	v_alignbit_b32 v35, v32, v35, 9
	s_delay_alu instid0(VALU_DEP_3) | instskip(NEXT) | instid1(VALU_DEP_2)
	v_clz_i32_u32_e32 v37, v36
	v_or_b32_e32 v35, v35, v33
	v_or_b32_e32 v33, 0x33800000, v33
	s_delay_alu instid0(VALU_DEP_3) | instskip(NEXT) | instid1(VALU_DEP_3)
	v_min_u32_e32 v37, 32, v37
	v_xor_b32_e32 v35, 1.0, v35
	s_delay_alu instid0(VALU_DEP_2) | instskip(SKIP_1) | instid1(VALU_DEP_3)
	v_sub_nc_u32_e32 v38, 31, v37
	v_add_lshl_u32 v32, v37, v32, 23
	v_mul_f32_e32 v37, 0x3fc90fda, v35
	s_delay_alu instid0(VALU_DEP_3) | instskip(NEXT) | instid1(VALU_DEP_3)
	v_alignbit_b32 v31, v36, v31, v38
	v_sub_nc_u32_e32 v32, v33, v32
	s_delay_alu instid0(VALU_DEP_3) | instskip(NEXT) | instid1(VALU_DEP_3)
	v_fma_f32 v33, 0x3fc90fda, v35, -v37
	v_lshrrev_b32_e32 v31, 9, v31
	s_delay_alu instid0(VALU_DEP_2) | instskip(NEXT) | instid1(VALU_DEP_2)
	v_fmac_f32_e32 v33, 0x33a22168, v35
	v_or_b32_e32 v31, v32, v31
	s_delay_alu instid0(VALU_DEP_1) | instskip(SKIP_1) | instid1(VALU_DEP_1)
	v_fmac_f32_e32 v33, 0x3fc90fda, v31
	v_lshrrev_b32_e32 v31, 30, v0
	v_dual_add_f32 v0, v37, v33 :: v_dual_add_nc_u32 v31, v34, v31
	s_and_not1_saveexec_b32 s3, s28
	s_cbranch_execnz .LBB133_210
	s_branch .LBB133_211
.LBB133_209:                            ;   in Loop: Header=BB133_181 Depth=1
	s_and_not1_saveexec_b32 s3, s28
.LBB133_210:                            ;   in Loop: Header=BB133_181 Depth=1
	v_mul_f32_e64 v0, 0x3f22f983, |v11|
	s_delay_alu instid0(VALU_DEP_1) | instskip(NEXT) | instid1(VALU_DEP_1)
	v_rndne_f32_e32 v31, v0
	v_fma_f32 v0, 0xbfc90fda, v31, |v11|
	s_delay_alu instid0(VALU_DEP_1) | instskip(NEXT) | instid1(VALU_DEP_1)
	v_fmac_f32_e32 v0, 0xb3a22168, v31
	v_fmac_f32_e32 v0, 0xa7c234c4, v31
	v_cvt_i32_f32_e32 v31, v31
.LBB133_211:                            ;   in Loop: Header=BB133_181 Depth=1
	s_or_b32 exec_lo, exec_lo, s3
	v_add_f32_e32 v10, 0xc322e3bc, v10
	s_delay_alu instid0(VALU_DEP_2) | instskip(NEXT) | instid1(VALU_DEP_2)
	v_dual_mul_f32 v35, v6, v6 :: v_dual_mul_f32 v36, v0, v0
	v_mul_f32_e32 v32, 0x3fb8aa3b, v10
	s_delay_alu instid0(VALU_DEP_2) | instskip(NEXT) | instid1(VALU_DEP_3)
	v_fmaak_f32 v37, s23, v35, 0xbab64f3b
	v_dual_fmaak_f32 v38, s22, v35, 0x3c0881c4 :: v_dual_fmaak_f32 v39, s22, v36, 0x3c0881c4
	s_delay_alu instid0(VALU_DEP_3) | instskip(SKIP_1) | instid1(VALU_DEP_3)
	v_fma_f32 v33, 0x3fb8aa3b, v10, -v32
	v_rndne_f32_e32 v34, v32
	v_fmaak_f32 v39, v36, v39, 0xbe2aaa9d
	s_delay_alu instid0(VALU_DEP_3) | instskip(NEXT) | instid1(VALU_DEP_3)
	v_fmac_f32_e32 v33, 0x32a5705f, v10
	v_sub_f32_e32 v32, v32, v34
	s_delay_alu instid0(VALU_DEP_3) | instskip(NEXT) | instid1(VALU_DEP_2)
	v_mul_f32_e32 v39, v36, v39
	v_add_f32_e32 v32, v32, v33
	v_cvt_i32_f32_e32 v33, v34
	v_lshlrev_b32_e32 v34, 30, v7
	v_and_b32_e32 v7, 1, v7
	v_cmp_ngt_f32_e64 s3, 0xc2ce8ed0, v10
	v_exp_f32_e32 v32, v32
	v_fmac_f32_e32 v0, v0, v39
	s_waitcnt_depctr 0xfff
	v_ldexp_f32 v32, v32, v33
	v_and_b32_e32 v33, 1, v31
	v_lshlrev_b32_e32 v31, 30, v31
	s_delay_alu instid0(VALU_DEP_3) | instskip(SKIP_1) | instid1(VALU_DEP_3)
	v_cndmask_b32_e64 v32, 0, v32, s3
	v_cmp_nlt_f32_e64 s3, 0x42b17218, v10
	v_and_or_b32 v30, 0x80000000, v31, v30
	s_delay_alu instid0(VALU_DEP_2)
	v_cndmask_b32_e64 v10, 0x7f800000, v32, s3
	v_fmaak_f32 v32, s23, v36, 0xbab64f3b
	v_fmaak_f32 v31, v35, v37, 0x3d2aabf7
	;; [unrolled: 1-line block ×3, first 2 shown]
	v_and_b32_e32 v34, 0x80000000, v34
	v_lshrrev_b32_e32 v38, 23, v10
	v_fmaak_f32 v32, v36, v32, 0x3d2aabf7
	v_fmaak_f32 v31, v35, v31, 0xbf000004
	v_mul_f32_e32 v37, v35, v37
	v_cmp_eq_u32_e64 s3, 0, v7
	v_subrev_nc_u32_e32 v38, 19, v38
	v_fmaak_f32 v32, v36, v32, 0xbf000004
	v_fma_f32 v31, v35, v31, 1.0
	v_fmac_f32_e32 v6, v6, v37
	v_and_or_b32 v10, 0x7fffff, v10, s24
	v_lshrrev_b16 v35, 15, v38
	v_fma_f32 v32, v36, v32, 1.0
	s_delay_alu instid0(VALU_DEP_4) | instskip(SKIP_1) | instid1(VALU_DEP_4)
	v_cndmask_b32_e64 v6, -v6, v31, s3
	v_cmp_eq_u32_e64 s3, 0, v33
	v_add_nc_u16 v7, v38, v35
	s_delay_alu instid0(VALU_DEP_3) | instskip(NEXT) | instid1(VALU_DEP_3)
	v_xor_b32_e32 v6, v34, v6
	v_cndmask_b32_e64 v0, v32, v0, s3
	s_delay_alu instid0(VALU_DEP_3) | instskip(SKIP_1) | instid1(VALU_DEP_3)
	v_ashrrev_i16 v7, 1, v7
	v_cmp_class_f32_e64 s3, v11, 0x1f8
	v_xor3_b32 v0, v30, v0, v11
	s_delay_alu instid0(VALU_DEP_3) | instskip(NEXT) | instid1(VALU_DEP_3)
	v_bfe_i32 v7, v7, 0, 16
	v_cndmask_b32_e64 v6, 0x7fc00000, v6, s3
	s_delay_alu instid0(VALU_DEP_3) | instskip(NEXT) | instid1(VALU_DEP_3)
	v_cndmask_b32_e64 v0, 0x7fc00000, v0, s3
	v_lshl_add_u32 v11, v7, 23, 1.0
	v_sub_nc_u32_e32 v7, v38, v7
	s_delay_alu instid0(VALU_DEP_3) | instskip(NEXT) | instid1(VALU_DEP_2)
	v_mul_f32_e32 v0, v0, v10
	v_lshl_add_u32 v7, v7, 23, 1.0
	s_delay_alu instid0(VALU_DEP_2) | instskip(SKIP_1) | instid1(VALU_DEP_1)
	v_mul_f32_e32 v0, v0, v11
	v_mul_f32_e32 v6, v6, v10
	;; [unrolled: 1-line block ×3, first 2 shown]
	s_delay_alu instid0(VALU_DEP_1) | instskip(NEXT) | instid1(VALU_DEP_4)
	v_mul_f32_e32 v6, v6, v7
	v_mul_f32_e32 v7, v0, v7
	s_or_b32 exec_lo, exec_lo, s27
                                        ; implicit-def: $vgpr10
                                        ; implicit-def: $vgpr0
.LBB133_212:                            ;   in Loop: Header=BB133_181 Depth=1
	s_and_not1_saveexec_b32 s4, s26
	s_cbranch_execz .LBB133_218
.LBB133_213:                            ;   in Loop: Header=BB133_181 Depth=1
	v_cmp_ne_u32_e64 s3, 0x7f800000, v0
                                        ; implicit-def: $vgpr7
	s_delay_alu instid0(VALU_DEP_1) | instskip(NEXT) | instid1(SALU_CYCLE_1)
	s_and_saveexec_b32 s5, s3
	s_xor_b32 s3, exec_lo, s5
; %bb.214:                              ;   in Loop: Header=BB133_181 Depth=1
	v_sub_f32_e32 v7, v11, v11
                                        ; implicit-def: $vgpr10
; %bb.215:                              ;   in Loop: Header=BB133_181 Depth=1
	s_or_saveexec_b32 s5, s3
	s_delay_alu instid0(VALU_DEP_1)
	v_mov_b32_e32 v6, v7
	s_xor_b32 exec_lo, exec_lo, s5
; %bb.216:                              ;   in Loop: Header=BB133_181 Depth=1
	v_sub_f32_e32 v0, v11, v11
	v_cmp_lt_i32_e64 s3, -1, v10
	s_delay_alu instid0(VALU_DEP_1) | instskip(NEXT) | instid1(VALU_DEP_3)
	v_cndmask_b32_e64 v6, 0, v10, s3
	v_cndmask_b32_e64 v7, 0, v0, s3
; %bb.217:                              ;   in Loop: Header=BB133_181 Depth=1
	s_or_b32 exec_lo, exec_lo, s5
.LBB133_218:                            ;   in Loop: Header=BB133_181 Depth=1
	s_delay_alu instid0(SALU_CYCLE_1)
	s_or_b32 exec_lo, exec_lo, s4
                                        ; implicit-def: $vgpr11
                                        ; implicit-def: $vgpr30
.LBB133_219:                            ;   in Loop: Header=BB133_181 Depth=1
	s_and_not1_saveexec_b32 s25, s25
	s_cbranch_execz .LBB133_229
; %bb.220:                              ;   in Loop: Header=BB133_181 Depth=1
	v_cmp_ngt_f32_e64 s26, 0x48000000, |v11|
                                        ; implicit-def: $vgpr7
                                        ; implicit-def: $vgpr6
	s_delay_alu instid0(VALU_DEP_1) | instskip(NEXT) | instid1(SALU_CYCLE_1)
	s_and_saveexec_b32 s3, s26
	s_xor_b32 s27, exec_lo, s3
	s_cbranch_execz .LBB133_222
; %bb.221:                              ;   in Loop: Header=BB133_181 Depth=1
	v_and_or_b32 v10, v30, s7, 0x800000
	s_delay_alu instid0(VALU_DEP_1) | instskip(NEXT) | instid1(VALU_DEP_1)
	v_mad_u64_u32 v[6:7], null, 0xfe5163ab, v10, 0
	v_mov_b32_e32 v0, v7
	v_lshrrev_b32_e32 v7, 23, v30
	s_delay_alu instid0(VALU_DEP_1) | instskip(NEXT) | instid1(VALU_DEP_3)
	v_add_nc_u32_e32 v7, 0xffffff88, v7
	v_mad_u64_u32 v[31:32], null, 0x3c439041, v10, v[0:1]
	s_delay_alu instid0(VALU_DEP_2) | instskip(NEXT) | instid1(VALU_DEP_1)
	v_cmp_lt_u32_e64 s3, 63, v7
	v_cndmask_b32_e64 v36, 0, 0xffffffc0, s3
	s_delay_alu instid0(VALU_DEP_1) | instskip(NEXT) | instid1(VALU_DEP_1)
	v_add_nc_u32_e32 v7, v36, v7
	v_cmp_lt_u32_e64 s4, 31, v7
	s_delay_alu instid0(VALU_DEP_1) | instskip(NEXT) | instid1(VALU_DEP_1)
	v_cndmask_b32_e64 v37, 0, 0xffffffe0, s4
	v_dual_mov_b32 v0, v32 :: v_dual_add_nc_u32 v7, v37, v7
	s_delay_alu instid0(VALU_DEP_1) | instskip(NEXT) | instid1(VALU_DEP_2)
	v_mad_u64_u32 v[32:33], null, 0xdb629599, v10, v[0:1]
	v_cmp_lt_u32_e64 s5, 31, v7
	s_delay_alu instid0(VALU_DEP_2) | instskip(NEXT) | instid1(VALU_DEP_3)
	v_mov_b32_e32 v0, v33
	v_cndmask_b32_e64 v6, v32, v6, s3
	s_delay_alu instid0(VALU_DEP_2) | instskip(NEXT) | instid1(VALU_DEP_1)
	v_mad_u64_u32 v[33:34], null, 0xf534ddc0, v10, v[0:1]
	v_mov_b32_e32 v0, v34
	s_delay_alu instid0(VALU_DEP_1) | instskip(NEXT) | instid1(VALU_DEP_1)
	v_mad_u64_u32 v[34:35], null, 0xfc2757d1, v10, v[0:1]
	v_mov_b32_e32 v0, v35
	s_delay_alu instid0(VALU_DEP_1) | instskip(NEXT) | instid1(VALU_DEP_1)
	v_mad_u64_u32 v[35:36], null, 0x4e441529, v10, v[0:1]
	v_mov_b32_e32 v0, v36
	s_delay_alu instid0(VALU_DEP_1) | instskip(SKIP_1) | instid1(VALU_DEP_4)
	v_mad_u64_u32 v[36:37], null, 0xa2f9836e, v10, v[0:1]
	v_cndmask_b32_e64 v0, 0, 0xffffffe0, s5
	v_cndmask_b32_e64 v10, v35, v33, s3
	s_delay_alu instid0(VALU_DEP_2) | instskip(NEXT) | instid1(VALU_DEP_4)
	v_add_nc_u32_e32 v0, v0, v7
	v_cndmask_b32_e64 v36, v36, v34, s3
	v_cndmask_b32_e64 v35, v37, v35, s3
	;; [unrolled: 1-line block ×4, first 2 shown]
	v_cmp_eq_u32_e64 s6, 0, v0
	v_cndmask_b32_e64 v31, v36, v10, s4
	v_cndmask_b32_e64 v33, v35, v36, s4
	;; [unrolled: 1-line block ×3, first 2 shown]
	v_sub_nc_u32_e32 v35, 32, v0
	v_cndmask_b32_e64 v34, v34, v7, s4
	v_cndmask_b32_e64 v6, v7, v6, s4
	;; [unrolled: 1-line block ×4, first 2 shown]
	s_delay_alu instid0(VALU_DEP_4) | instskip(NEXT) | instid1(VALU_DEP_4)
	v_cndmask_b32_e64 v10, v10, v34, s5
	v_cndmask_b32_e64 v6, v34, v6, s5
	s_delay_alu instid0(VALU_DEP_3) | instskip(NEXT) | instid1(VALU_DEP_3)
	v_alignbit_b32 v36, v33, v31, v35
	v_alignbit_b32 v37, v31, v10, v35
	s_delay_alu instid0(VALU_DEP_3) | instskip(NEXT) | instid1(VALU_DEP_3)
	v_alignbit_b32 v35, v10, v6, v35
	v_cndmask_b32_e64 v0, v36, v33, s6
	s_delay_alu instid0(VALU_DEP_3) | instskip(NEXT) | instid1(VALU_DEP_3)
	v_cndmask_b32_e64 v31, v37, v31, s6
	v_cndmask_b32_e64 v10, v35, v10, s6
	s_delay_alu instid0(VALU_DEP_3) | instskip(NEXT) | instid1(VALU_DEP_3)
	v_bfe_u32 v32, v0, 29, 1
	v_alignbit_b32 v7, v0, v31, 30
	s_delay_alu instid0(VALU_DEP_3) | instskip(SKIP_1) | instid1(VALU_DEP_4)
	v_alignbit_b32 v31, v31, v10, 30
	v_alignbit_b32 v6, v10, v6, 30
	v_sub_nc_u32_e32 v33, 0, v32
	s_delay_alu instid0(VALU_DEP_1) | instskip(SKIP_3) | instid1(VALU_DEP_4)
	v_xor_b32_e32 v34, v7, v33
	v_cmp_ne_u32_e64 s3, v7, v33
	v_xor_b32_e32 v10, v31, v33
	v_xor_b32_e32 v6, v6, v33
	v_clz_i32_u32_e32 v36, v34
	s_delay_alu instid0(VALU_DEP_1) | instskip(NEXT) | instid1(VALU_DEP_1)
	v_add_nc_u32_e32 v35, 1, v36
	v_cndmask_b32_e64 v7, 33, v35, s3
	s_delay_alu instid0(VALU_DEP_1) | instskip(NEXT) | instid1(VALU_DEP_1)
	v_sub_nc_u32_e32 v31, 32, v7
	v_alignbit_b32 v33, v34, v10, v31
	v_alignbit_b32 v6, v10, v6, v31
	v_lshrrev_b32_e32 v10, 29, v0
	v_lshrrev_b32_e32 v0, 30, v0
	s_delay_alu instid0(VALU_DEP_3) | instskip(NEXT) | instid1(VALU_DEP_3)
	v_alignbit_b32 v31, v33, v6, 9
	v_lshlrev_b32_e32 v10, 31, v10
	v_alignbit_b32 v33, v7, v33, 9
	s_delay_alu instid0(VALU_DEP_3) | instskip(NEXT) | instid1(VALU_DEP_2)
	v_clz_i32_u32_e32 v34, v31
	v_or_b32_e32 v33, v33, v10
	v_or_b32_e32 v10, 0x33800000, v10
	s_delay_alu instid0(VALU_DEP_3) | instskip(NEXT) | instid1(VALU_DEP_3)
	v_min_u32_e32 v34, 32, v34
	v_xor_b32_e32 v33, 1.0, v33
	s_delay_alu instid0(VALU_DEP_2) | instskip(SKIP_1) | instid1(VALU_DEP_3)
	v_sub_nc_u32_e32 v35, 31, v34
	v_add_lshl_u32 v7, v34, v7, 23
	v_mul_f32_e32 v34, 0x3fc90fda, v33
	s_delay_alu instid0(VALU_DEP_3) | instskip(NEXT) | instid1(VALU_DEP_3)
	v_alignbit_b32 v6, v31, v6, v35
	v_sub_nc_u32_e32 v7, v10, v7
	s_delay_alu instid0(VALU_DEP_3) | instskip(NEXT) | instid1(VALU_DEP_3)
	v_fma_f32 v10, 0x3fc90fda, v33, -v34
	v_lshrrev_b32_e32 v6, 9, v6
	s_delay_alu instid0(VALU_DEP_2) | instskip(NEXT) | instid1(VALU_DEP_2)
	v_fmac_f32_e32 v10, 0x33a22168, v33
	v_or_b32_e32 v6, v7, v6
	s_delay_alu instid0(VALU_DEP_1) | instskip(NEXT) | instid1(VALU_DEP_1)
	v_dual_fmac_f32 v10, 0x3fc90fda, v6 :: v_dual_add_nc_u32 v7, v32, v0
	v_add_f32_e32 v6, v34, v10
	s_and_not1_saveexec_b32 s3, s27
	s_branch .LBB133_223
.LBB133_222:                            ;   in Loop: Header=BB133_181 Depth=1
	s_and_not1_saveexec_b32 s3, s27
.LBB133_223:                            ;   in Loop: Header=BB133_181 Depth=1
	v_mul_f32_e64 v0, 0x3f22f983, |v11|
	s_delay_alu instid0(VALU_DEP_1) | instskip(NEXT) | instid1(VALU_DEP_1)
	v_rndne_f32_e32 v0, v0
	v_fma_f32 v6, 0xbfc90fda, v0, |v11|
	v_cvt_i32_f32_e32 v7, v0
	s_delay_alu instid0(VALU_DEP_2) | instskip(NEXT) | instid1(VALU_DEP_1)
	v_fmac_f32_e32 v6, 0xb3a22168, v0
	v_fmac_f32_e32 v6, 0xa7c234c4, v0
; %bb.224:                              ;   in Loop: Header=BB133_181 Depth=1
	s_or_b32 exec_lo, exec_lo, s3
                                        ; implicit-def: $vgpr10
                                        ; implicit-def: $vgpr0
	s_and_saveexec_b32 s3, s26
	s_delay_alu instid0(SALU_CYCLE_1)
	s_xor_b32 s26, exec_lo, s3
	s_cbranch_execz .LBB133_226
; %bb.225:                              ;   in Loop: Header=BB133_181 Depth=1
	v_and_or_b32 v10, v30, s7, 0x800000
	v_lshrrev_b32_e32 v36, 23, v30
	s_delay_alu instid0(VALU_DEP_2) | instskip(NEXT) | instid1(VALU_DEP_2)
	v_mad_u64_u32 v[31:32], null, 0xfe5163ab, v10, 0
	v_add_nc_u32_e32 v37, 0xffffff88, v36
	s_delay_alu instid0(VALU_DEP_1) | instskip(NEXT) | instid1(VALU_DEP_3)
	v_cmp_lt_u32_e64 s3, 63, v37
	v_mov_b32_e32 v0, v32
	s_delay_alu instid0(VALU_DEP_2) | instskip(NEXT) | instid1(VALU_DEP_2)
	v_cndmask_b32_e64 v38, 0, 0xffffffc0, s3
	v_mad_u64_u32 v[32:33], null, 0x3c439041, v10, v[0:1]
	s_delay_alu instid0(VALU_DEP_2) | instskip(NEXT) | instid1(VALU_DEP_1)
	v_add_nc_u32_e32 v38, v38, v37
	v_cmp_lt_u32_e64 s4, 31, v38
	s_delay_alu instid0(VALU_DEP_1) | instskip(NEXT) | instid1(VALU_DEP_1)
	v_cndmask_b32_e64 v39, 0, 0xffffffe0, s4
	v_dual_mov_b32 v0, v33 :: v_dual_add_nc_u32 v39, v39, v38
	s_delay_alu instid0(VALU_DEP_1) | instskip(NEXT) | instid1(VALU_DEP_2)
	v_mad_u64_u32 v[33:34], null, 0xdb629599, v10, v[0:1]
	v_cmp_lt_u32_e64 s5, 31, v39
	s_delay_alu instid0(VALU_DEP_2) | instskip(NEXT) | instid1(VALU_DEP_3)
	v_mov_b32_e32 v0, v34
	v_cndmask_b32_e64 v31, v33, v31, s3
	s_delay_alu instid0(VALU_DEP_2) | instskip(NEXT) | instid1(VALU_DEP_1)
	v_mad_u64_u32 v[34:35], null, 0xf534ddc0, v10, v[0:1]
	v_mov_b32_e32 v0, v35
	s_delay_alu instid0(VALU_DEP_2) | instskip(NEXT) | instid1(VALU_DEP_2)
	v_cndmask_b32_e64 v32, v34, v32, s3
	v_mad_u64_u32 v[35:36], null, 0xfc2757d1, v10, v[0:1]
	s_delay_alu instid0(VALU_DEP_2) | instskip(NEXT) | instid1(VALU_DEP_2)
	v_cndmask_b32_e64 v31, v32, v31, s4
	v_mov_b32_e32 v0, v36
	s_delay_alu instid0(VALU_DEP_1) | instskip(NEXT) | instid1(VALU_DEP_1)
	v_mad_u64_u32 v[36:37], null, 0x4e441529, v10, v[0:1]
	v_mov_b32_e32 v0, v37
	s_delay_alu instid0(VALU_DEP_1) | instskip(SKIP_1) | instid1(VALU_DEP_4)
	v_mad_u64_u32 v[37:38], null, 0xa2f9836e, v10, v[0:1]
	v_cndmask_b32_e64 v0, 0, 0xffffffe0, s5
	v_cndmask_b32_e64 v10, v36, v34, s3
	s_delay_alu instid0(VALU_DEP_2) | instskip(NEXT) | instid1(VALU_DEP_4)
	v_add_nc_u32_e32 v0, v0, v39
	v_cndmask_b32_e64 v37, v37, v35, s3
	v_cndmask_b32_e64 v36, v38, v36, s3
	;; [unrolled: 1-line block ×3, first 2 shown]
	s_delay_alu instid0(VALU_DEP_4) | instskip(NEXT) | instid1(VALU_DEP_4)
	v_cmp_eq_u32_e64 s6, 0, v0
	v_cndmask_b32_e64 v34, v37, v10, s4
	s_delay_alu instid0(VALU_DEP_4) | instskip(NEXT) | instid1(VALU_DEP_4)
	v_cndmask_b32_e64 v36, v36, v37, s4
	v_cndmask_b32_e64 v10, v10, v35, s4
	v_sub_nc_u32_e32 v37, 32, v0
	v_cndmask_b32_e64 v35, v35, v32, s4
	s_delay_alu instid0(VALU_DEP_4) | instskip(NEXT) | instid1(VALU_DEP_4)
	v_cndmask_b32_e64 v36, v36, v34, s5
	v_cndmask_b32_e64 v34, v34, v10, s5
	s_delay_alu instid0(VALU_DEP_3) | instskip(SKIP_1) | instid1(VALU_DEP_3)
	v_cndmask_b32_e64 v10, v10, v35, s5
	v_cndmask_b32_e64 v31, v35, v31, s5
	v_alignbit_b32 v38, v36, v34, v37
	s_delay_alu instid0(VALU_DEP_3) | instskip(NEXT) | instid1(VALU_DEP_3)
	v_alignbit_b32 v39, v34, v10, v37
	v_alignbit_b32 v37, v10, v31, v37
	s_delay_alu instid0(VALU_DEP_3) | instskip(NEXT) | instid1(VALU_DEP_3)
	v_cndmask_b32_e64 v0, v38, v36, s6
	v_cndmask_b32_e64 v33, v39, v34, s6
	s_delay_alu instid0(VALU_DEP_3) | instskip(NEXT) | instid1(VALU_DEP_3)
	v_cndmask_b32_e64 v10, v37, v10, s6
	v_bfe_u32 v34, v0, 29, 1
	s_delay_alu instid0(VALU_DEP_3) | instskip(NEXT) | instid1(VALU_DEP_3)
	v_alignbit_b32 v32, v0, v33, 30
	v_alignbit_b32 v33, v33, v10, 30
	;; [unrolled: 1-line block ×3, first 2 shown]
	s_delay_alu instid0(VALU_DEP_4) | instskip(NEXT) | instid1(VALU_DEP_1)
	v_sub_nc_u32_e32 v36, 0, v34
	v_xor_b32_e32 v35, v32, v36
	v_cmp_ne_u32_e64 s3, v32, v36
	v_xor_b32_e32 v31, v33, v36
	v_xor_b32_e32 v10, v10, v36
	s_delay_alu instid0(VALU_DEP_4) | instskip(NEXT) | instid1(VALU_DEP_1)
	v_clz_i32_u32_e32 v38, v35
	v_add_nc_u32_e32 v37, 1, v38
	s_delay_alu instid0(VALU_DEP_1) | instskip(NEXT) | instid1(VALU_DEP_1)
	v_cndmask_b32_e64 v32, 33, v37, s3
	v_sub_nc_u32_e32 v33, 32, v32
	s_delay_alu instid0(VALU_DEP_1) | instskip(SKIP_2) | instid1(VALU_DEP_2)
	v_alignbit_b32 v35, v35, v31, v33
	v_alignbit_b32 v10, v31, v10, v33
	v_lshrrev_b32_e32 v31, 29, v0
	v_alignbit_b32 v33, v35, v10, 9
	s_delay_alu instid0(VALU_DEP_2) | instskip(SKIP_1) | instid1(VALU_DEP_3)
	v_lshlrev_b32_e32 v31, 31, v31
	v_alignbit_b32 v35, v32, v35, 9
	v_clz_i32_u32_e32 v36, v33
	s_delay_alu instid0(VALU_DEP_2) | instskip(SKIP_1) | instid1(VALU_DEP_3)
	v_or_b32_e32 v35, v35, v31
	v_or_b32_e32 v31, 0x33800000, v31
	v_min_u32_e32 v36, 32, v36
	s_delay_alu instid0(VALU_DEP_3) | instskip(NEXT) | instid1(VALU_DEP_2)
	v_xor_b32_e32 v35, 1.0, v35
	v_sub_nc_u32_e32 v37, 31, v36
	v_add_lshl_u32 v32, v36, v32, 23
	s_delay_alu instid0(VALU_DEP_3) | instskip(NEXT) | instid1(VALU_DEP_3)
	v_mul_f32_e32 v36, 0x3fc90fda, v35
	v_alignbit_b32 v10, v33, v10, v37
	s_delay_alu instid0(VALU_DEP_3) | instskip(NEXT) | instid1(VALU_DEP_3)
	v_sub_nc_u32_e32 v31, v31, v32
	v_fma_f32 v32, 0x3fc90fda, v35, -v36
	s_delay_alu instid0(VALU_DEP_3) | instskip(NEXT) | instid1(VALU_DEP_2)
	v_lshrrev_b32_e32 v10, 9, v10
	v_fmac_f32_e32 v32, 0x33a22168, v35
	s_delay_alu instid0(VALU_DEP_2) | instskip(NEXT) | instid1(VALU_DEP_1)
	v_or_b32_e32 v10, v31, v10
	v_fmac_f32_e32 v32, 0x3fc90fda, v10
	v_lshrrev_b32_e32 v10, 30, v0
	s_delay_alu instid0(VALU_DEP_2) | instskip(NEXT) | instid1(VALU_DEP_2)
	v_add_f32_e32 v0, v36, v32
	v_add_nc_u32_e32 v10, v34, v10
	s_and_not1_saveexec_b32 s3, s26
	s_cbranch_execnz .LBB133_227
	s_branch .LBB133_228
.LBB133_226:                            ;   in Loop: Header=BB133_181 Depth=1
	s_and_not1_saveexec_b32 s3, s26
.LBB133_227:                            ;   in Loop: Header=BB133_181 Depth=1
	v_mul_f32_e64 v0, 0x3f22f983, |v11|
	s_delay_alu instid0(VALU_DEP_1) | instskip(NEXT) | instid1(VALU_DEP_1)
	v_rndne_f32_e32 v10, v0
	v_fma_f32 v0, 0xbfc90fda, v10, |v11|
	s_delay_alu instid0(VALU_DEP_1) | instskip(NEXT) | instid1(VALU_DEP_1)
	v_fmac_f32_e32 v0, 0xb3a22168, v10
	v_fmac_f32_e32 v0, 0xa7c234c4, v10
	v_cvt_i32_f32_e32 v10, v10
.LBB133_228:                            ;   in Loop: Header=BB133_181 Depth=1
	s_or_b32 exec_lo, exec_lo, s3
	s_delay_alu instid0(VALU_DEP_2) | instskip(SKIP_1) | instid1(VALU_DEP_3)
	v_dual_mul_f32 v31, v6, v6 :: v_dual_mul_f32 v32, v0, v0
	v_and_b32_e32 v33, 1, v7
	v_and_b32_e32 v38, 1, v10
	v_lshlrev_b32_e32 v10, 30, v10
	s_delay_alu instid0(VALU_DEP_4)
	v_fmaak_f32 v34, s22, v31, 0x3c0881c4
	v_fmaak_f32 v36, s22, v32, 0x3c0881c4
	v_fmaak_f32 v35, s23, v31, 0xbab64f3b
	v_lshlrev_b32_e32 v7, 30, v7
	v_fmaak_f32 v37, s23, v32, 0xbab64f3b
	v_fmaak_f32 v34, v31, v34, 0xbe2aaa9d
	;; [unrolled: 1-line block ×4, first 2 shown]
	v_cmp_eq_u32_e64 s3, 0, v33
	s_delay_alu instid0(VALU_DEP_4) | instskip(NEXT) | instid1(VALU_DEP_3)
	v_dual_fmaak_f32 v37, v32, v37, 0x3d2aabf7 :: v_dual_mul_f32 v34, v31, v34
	v_dual_mul_f32 v36, v32, v36 :: v_dual_fmaak_f32 v35, v31, v35, 0xbf000004
	v_and_b32_e32 v7, 0x80000000, v7
	s_delay_alu instid0(VALU_DEP_3) | instskip(NEXT) | instid1(VALU_DEP_3)
	v_dual_fmaak_f32 v37, v32, v37, 0xbf000004 :: v_dual_fmac_f32 v6, v6, v34
	v_fmac_f32_e32 v0, v0, v36
	s_delay_alu instid0(VALU_DEP_4) | instskip(SKIP_1) | instid1(VALU_DEP_4)
	v_fma_f32 v31, v31, v35, 1.0
	v_and_or_b32 v10, 0x80000000, v10, v30
	v_fma_f32 v32, v32, v37, 1.0
	s_delay_alu instid0(VALU_DEP_3) | instskip(SKIP_1) | instid1(VALU_DEP_2)
	v_cndmask_b32_e64 v6, -v6, v31, s3
	v_cmp_eq_u32_e64 s3, 0, v38
	v_xor_b32_e32 v6, v7, v6
	s_delay_alu instid0(VALU_DEP_2) | instskip(SKIP_1) | instid1(VALU_DEP_2)
	v_cndmask_b32_e64 v0, v32, v0, s3
	v_cmp_class_f32_e64 s3, v11, 0x1f8
	v_xor3_b32 v0, v10, v0, v11
	s_delay_alu instid0(VALU_DEP_2) | instskip(NEXT) | instid1(VALU_DEP_2)
	v_cndmask_b32_e64 v6, 0x7fc00000, v6, s3
	v_cndmask_b32_e64 v7, 0x7fc00000, v0, s3
.LBB133_229:                            ;   in Loop: Header=BB133_181 Depth=1
	s_or_b32 exec_lo, exec_lo, s25
                                        ; implicit-def: $vgpr10
.LBB133_230:                            ;   in Loop: Header=BB133_181 Depth=1
	s_and_not1_saveexec_b32 s4, s13
	s_cbranch_execz .LBB133_232
; %bb.231:                              ;   in Loop: Header=BB133_181 Depth=1
	v_mul_f32_e32 v0, 0x3fb8aa3b, v10
	v_cmp_ngt_f32_e64 s3, 0xc2ce8ed0, v10
	s_delay_alu instid0(VALU_DEP_2) | instskip(SKIP_1) | instid1(VALU_DEP_2)
	v_rndne_f32_e32 v6, v0
	v_fma_f32 v7, 0x3fb8aa3b, v10, -v0
	v_sub_f32_e32 v0, v0, v6
	s_delay_alu instid0(VALU_DEP_2) | instskip(SKIP_1) | instid1(VALU_DEP_2)
	v_fmac_f32_e32 v7, 0x32a5705f, v10
	v_cvt_i32_f32_e32 v6, v6
	v_dual_add_f32 v0, v0, v7 :: v_dual_mov_b32 v7, v11
	s_delay_alu instid0(VALU_DEP_1) | instskip(SKIP_2) | instid1(VALU_DEP_1)
	v_exp_f32_e32 v0, v0
	s_waitcnt_depctr 0xfff
	v_ldexp_f32 v0, v0, v6
	v_cndmask_b32_e64 v0, 0, v0, s3
	v_cmp_nlt_f32_e64 s3, 0x42b17218, v10
	s_delay_alu instid0(VALU_DEP_1)
	v_cndmask_b32_e64 v6, 0x7f800000, v0, s3
.LBB133_232:                            ;   in Loop: Header=BB133_181 Depth=1
	s_or_b32 exec_lo, exec_lo, s4
	v_and_b32_e32 v30, 0x7fffffff, v13
                                        ; implicit-def: $vgpr11
	s_mov_b32 s4, exec_lo
	s_delay_alu instid0(VALU_DEP_1)
	v_cmpx_ne_u32_e32 0, v30
	s_xor_b32 s13, exec_lo, s4
	s_cbranch_execz .LBB133_275
; %bb.233:                              ;   in Loop: Header=BB133_181 Depth=1
	v_and_b32_e32 v0, 0x7fffffff, v12
                                        ; implicit-def: $vgpr11
	s_mov_b32 s4, exec_lo
	s_delay_alu instid0(VALU_DEP_1)
	v_cmpx_ne_u32_e32 0, v0
	s_xor_b32 s25, exec_lo, s4
	s_cbranch_execz .LBB133_264
; %bb.234:                              ;   in Loop: Header=BB133_181 Depth=1
                                        ; implicit-def: $vgpr11
	s_mov_b32 s4, exec_lo
	v_cmpx_gt_u32_e32 0x7f800000, v30
	s_xor_b32 s26, exec_lo, s4
	s_cbranch_execz .LBB133_257
; %bb.235:                              ;   in Loop: Header=BB133_181 Depth=1
	v_add_nc_u32_e32 v0, 0xbd4e8de8, v12
                                        ; implicit-def: $vgpr11
	s_mov_b32 s4, exec_lo
	s_delay_alu instid0(VALU_DEP_1)
	v_cmpx_lt_u32_e32 0x8e8e5c, v0
	s_xor_b32 s27, exec_lo, s4
	s_cbranch_execz .LBB133_246
; %bb.236:                              ;   in Loop: Header=BB133_181 Depth=1
	v_cmp_ngt_f32_e64 s28, 0x48000000, |v13|
                                        ; implicit-def: $vgpr11
                                        ; implicit-def: $vgpr10
	s_delay_alu instid0(VALU_DEP_1) | instskip(NEXT) | instid1(SALU_CYCLE_1)
	s_and_saveexec_b32 s3, s28
	s_xor_b32 s29, exec_lo, s3
	s_cbranch_execz .LBB133_239
; %bb.237:                              ;   in Loop: Header=BB133_181 Depth=1
	v_and_or_b32 v38, v30, s7, 0x800000
	s_delay_alu instid0(VALU_DEP_1) | instskip(NEXT) | instid1(VALU_DEP_1)
	v_mad_u64_u32 v[10:11], null, 0xfe5163ab, v38, 0
	v_mov_b32_e32 v0, v11
	v_lshrrev_b32_e32 v11, 23, v30
	s_delay_alu instid0(VALU_DEP_1) | instskip(NEXT) | instid1(VALU_DEP_3)
	v_add_nc_u32_e32 v11, 0xffffff88, v11
	v_mad_u64_u32 v[31:32], null, 0x3c439041, v38, v[0:1]
	s_delay_alu instid0(VALU_DEP_2) | instskip(NEXT) | instid1(VALU_DEP_1)
	v_cmp_lt_u32_e64 s3, 63, v11
	v_cndmask_b32_e64 v36, 0, 0xffffffc0, s3
	s_delay_alu instid0(VALU_DEP_1) | instskip(NEXT) | instid1(VALU_DEP_1)
	v_add_nc_u32_e32 v11, v36, v11
	v_cmp_lt_u32_e64 s4, 31, v11
	s_delay_alu instid0(VALU_DEP_1) | instskip(NEXT) | instid1(VALU_DEP_1)
	v_cndmask_b32_e64 v37, 0, 0xffffffe0, s4
	v_dual_mov_b32 v0, v32 :: v_dual_add_nc_u32 v11, v37, v11
	s_delay_alu instid0(VALU_DEP_1) | instskip(NEXT) | instid1(VALU_DEP_2)
	v_mad_u64_u32 v[32:33], null, 0xdb629599, v38, v[0:1]
	v_cmp_lt_u32_e64 s5, 31, v11
	s_delay_alu instid0(VALU_DEP_2) | instskip(NEXT) | instid1(VALU_DEP_3)
	v_mov_b32_e32 v0, v33
	v_cndmask_b32_e64 v10, v32, v10, s3
	s_delay_alu instid0(VALU_DEP_2) | instskip(NEXT) | instid1(VALU_DEP_1)
	v_mad_u64_u32 v[33:34], null, 0xf534ddc0, v38, v[0:1]
	v_mov_b32_e32 v0, v34
	s_delay_alu instid0(VALU_DEP_1) | instskip(NEXT) | instid1(VALU_DEP_1)
	v_mad_u64_u32 v[34:35], null, 0xfc2757d1, v38, v[0:1]
	v_mov_b32_e32 v0, v35
	s_delay_alu instid0(VALU_DEP_1) | instskip(NEXT) | instid1(VALU_DEP_1)
	v_mad_u64_u32 v[35:36], null, 0x4e441529, v38, v[0:1]
	v_mov_b32_e32 v0, v36
	s_delay_alu instid0(VALU_DEP_1) | instskip(SKIP_1) | instid1(VALU_DEP_4)
	v_mad_u64_u32 v[36:37], null, 0xa2f9836e, v38, v[0:1]
	v_cndmask_b32_e64 v0, 0, 0xffffffe0, s5
	v_cndmask_b32_e64 v38, v35, v33, s3
	s_delay_alu instid0(VALU_DEP_2) | instskip(NEXT) | instid1(VALU_DEP_4)
	v_add_nc_u32_e32 v0, v0, v11
	v_cndmask_b32_e64 v36, v36, v34, s3
	v_cndmask_b32_e64 v35, v37, v35, s3
	;; [unrolled: 1-line block ×4, first 2 shown]
	v_cmp_eq_u32_e64 s6, 0, v0
	v_cndmask_b32_e64 v31, v36, v38, s4
	v_cndmask_b32_e64 v33, v35, v36, s4
	;; [unrolled: 1-line block ×3, first 2 shown]
	v_sub_nc_u32_e32 v36, 32, v0
	v_cndmask_b32_e64 v34, v34, v11, s4
	v_cndmask_b32_e64 v10, v11, v10, s4
	v_cndmask_b32_e64 v33, v33, v31, s5
	v_cndmask_b32_e64 v31, v31, v35, s5
	s_delay_alu instid0(VALU_DEP_4) | instskip(NEXT) | instid1(VALU_DEP_4)
	v_cndmask_b32_e64 v35, v35, v34, s5
	v_cndmask_b32_e64 v10, v34, v10, s5
	s_delay_alu instid0(VALU_DEP_3) | instskip(NEXT) | instid1(VALU_DEP_3)
	v_alignbit_b32 v37, v33, v31, v36
	v_alignbit_b32 v38, v31, v35, v36
	s_delay_alu instid0(VALU_DEP_3) | instskip(NEXT) | instid1(VALU_DEP_3)
	v_alignbit_b32 v36, v35, v10, v36
	v_cndmask_b32_e64 v0, v37, v33, s6
	s_delay_alu instid0(VALU_DEP_3) | instskip(NEXT) | instid1(VALU_DEP_3)
	v_cndmask_b32_e64 v31, v38, v31, s6
	v_cndmask_b32_e64 v35, v36, v35, s6
	s_delay_alu instid0(VALU_DEP_3) | instskip(NEXT) | instid1(VALU_DEP_3)
	v_bfe_u32 v32, v0, 29, 1
	v_alignbit_b32 v11, v0, v31, 30
	s_delay_alu instid0(VALU_DEP_3) | instskip(SKIP_1) | instid1(VALU_DEP_4)
	v_alignbit_b32 v31, v31, v35, 30
	v_alignbit_b32 v10, v35, v10, 30
	v_sub_nc_u32_e32 v33, 0, v32
	s_delay_alu instid0(VALU_DEP_1) | instskip(SKIP_3) | instid1(VALU_DEP_4)
	v_xor_b32_e32 v34, v11, v33
	v_cmp_ne_u32_e64 s3, v11, v33
	v_xor_b32_e32 v31, v31, v33
	v_xor_b32_e32 v10, v10, v33
	v_clz_i32_u32_e32 v37, v34
	s_delay_alu instid0(VALU_DEP_1) | instskip(NEXT) | instid1(VALU_DEP_1)
	v_add_nc_u32_e32 v36, 1, v37
	v_cndmask_b32_e64 v11, 33, v36, s3
	s_delay_alu instid0(VALU_DEP_1) | instskip(NEXT) | instid1(VALU_DEP_1)
	v_sub_nc_u32_e32 v35, 32, v11
	v_alignbit_b32 v33, v34, v31, v35
	v_alignbit_b32 v10, v31, v10, v35
	v_lshrrev_b32_e32 v31, 29, v0
	v_lshrrev_b32_e32 v0, 30, v0
	s_delay_alu instid0(VALU_DEP_3) | instskip(NEXT) | instid1(VALU_DEP_3)
	v_alignbit_b32 v34, v33, v10, 9
	v_lshlrev_b32_e32 v31, 31, v31
	v_alignbit_b32 v33, v11, v33, 9
	s_delay_alu instid0(VALU_DEP_3) | instskip(NEXT) | instid1(VALU_DEP_2)
	v_clz_i32_u32_e32 v35, v34
	v_or_b32_e32 v33, v33, v31
	v_or_b32_e32 v31, 0x33800000, v31
	s_delay_alu instid0(VALU_DEP_3) | instskip(NEXT) | instid1(VALU_DEP_3)
	v_min_u32_e32 v35, 32, v35
	v_xor_b32_e32 v33, 1.0, v33
	s_delay_alu instid0(VALU_DEP_2) | instskip(SKIP_1) | instid1(VALU_DEP_3)
	v_sub_nc_u32_e32 v36, 31, v35
	v_add_lshl_u32 v11, v35, v11, 23
	v_mul_f32_e32 v35, 0x3fc90fda, v33
	s_delay_alu instid0(VALU_DEP_3) | instskip(NEXT) | instid1(VALU_DEP_3)
	v_alignbit_b32 v10, v34, v10, v36
	v_sub_nc_u32_e32 v11, v31, v11
	s_delay_alu instid0(VALU_DEP_3) | instskip(NEXT) | instid1(VALU_DEP_3)
	v_fma_f32 v31, 0x3fc90fda, v33, -v35
	v_lshrrev_b32_e32 v10, 9, v10
	s_delay_alu instid0(VALU_DEP_2) | instskip(NEXT) | instid1(VALU_DEP_2)
	v_fmac_f32_e32 v31, 0x33a22168, v33
	v_or_b32_e32 v10, v11, v10
	v_add_nc_u32_e32 v11, v32, v0
	s_delay_alu instid0(VALU_DEP_2) | instskip(NEXT) | instid1(VALU_DEP_1)
	v_fmac_f32_e32 v31, 0x3fc90fda, v10
	v_add_f32_e32 v10, v35, v31
	s_and_not1_saveexec_b32 s3, s29
	s_branch .LBB133_240
.LBB133_238:                            ;   in Loop: Header=BB133_181 Depth=1
	s_or_b32 exec_lo, exec_lo, s27
                                        ; implicit-def: $vgpr10
                                        ; implicit-def: $vgpr0
	s_and_not1_saveexec_b32 s4, s26
	s_cbranch_execnz .LBB133_213
	s_branch .LBB133_218
.LBB133_239:                            ;   in Loop: Header=BB133_181 Depth=1
	s_and_not1_saveexec_b32 s3, s29
.LBB133_240:                            ;   in Loop: Header=BB133_181 Depth=1
	v_mul_f32_e64 v0, 0x3f22f983, |v13|
	s_delay_alu instid0(VALU_DEP_1) | instskip(NEXT) | instid1(VALU_DEP_1)
	v_rndne_f32_e32 v0, v0
	v_fma_f32 v10, 0xbfc90fda, v0, |v13|
	v_cvt_i32_f32_e32 v11, v0
	s_delay_alu instid0(VALU_DEP_2) | instskip(NEXT) | instid1(VALU_DEP_1)
	v_fmac_f32_e32 v10, 0xb3a22168, v0
	v_fmac_f32_e32 v10, 0xa7c234c4, v0
; %bb.241:                              ;   in Loop: Header=BB133_181 Depth=1
	s_or_b32 exec_lo, exec_lo, s3
                                        ; implicit-def: $vgpr31
                                        ; implicit-def: $vgpr0
	s_and_saveexec_b32 s3, s28
	s_delay_alu instid0(SALU_CYCLE_1)
	s_xor_b32 s28, exec_lo, s3
	s_cbranch_execz .LBB133_243
; %bb.242:                              ;   in Loop: Header=BB133_181 Depth=1
	v_and_or_b32 v39, v30, s7, 0x800000
	v_lshrrev_b32_e32 v36, 23, v30
	s_delay_alu instid0(VALU_DEP_2) | instskip(NEXT) | instid1(VALU_DEP_2)
	v_mad_u64_u32 v[31:32], null, 0xfe5163ab, v39, 0
	v_add_nc_u32_e32 v37, 0xffffff88, v36
	s_delay_alu instid0(VALU_DEP_1) | instskip(NEXT) | instid1(VALU_DEP_3)
	v_cmp_lt_u32_e64 s3, 63, v37
	v_mov_b32_e32 v0, v32
	s_delay_alu instid0(VALU_DEP_2) | instskip(NEXT) | instid1(VALU_DEP_2)
	v_cndmask_b32_e64 v38, 0, 0xffffffc0, s3
	v_mad_u64_u32 v[32:33], null, 0x3c439041, v39, v[0:1]
	s_delay_alu instid0(VALU_DEP_2) | instskip(NEXT) | instid1(VALU_DEP_2)
	v_add_nc_u32_e32 v38, v38, v37
	v_mov_b32_e32 v0, v33
	s_delay_alu instid0(VALU_DEP_2) | instskip(NEXT) | instid1(VALU_DEP_2)
	v_cmp_lt_u32_e64 s4, 31, v38
	v_mad_u64_u32 v[33:34], null, 0xdb629599, v39, v[0:1]
	s_delay_alu instid0(VALU_DEP_2) | instskip(NEXT) | instid1(VALU_DEP_1)
	v_cndmask_b32_e64 v40, 0, 0xffffffe0, s4
	v_add_nc_u32_e32 v40, v40, v38
	s_delay_alu instid0(VALU_DEP_3) | instskip(NEXT) | instid1(VALU_DEP_4)
	v_mov_b32_e32 v0, v34
	v_cndmask_b32_e64 v31, v33, v31, s3
	s_delay_alu instid0(VALU_DEP_3) | instskip(NEXT) | instid1(VALU_DEP_3)
	v_cmp_lt_u32_e64 s5, 31, v40
	v_mad_u64_u32 v[34:35], null, 0xf534ddc0, v39, v[0:1]
	s_delay_alu instid0(VALU_DEP_1) | instskip(NEXT) | instid1(VALU_DEP_2)
	v_mov_b32_e32 v0, v35
	v_cndmask_b32_e64 v32, v34, v32, s3
	s_delay_alu instid0(VALU_DEP_2) | instskip(NEXT) | instid1(VALU_DEP_2)
	v_mad_u64_u32 v[35:36], null, 0xfc2757d1, v39, v[0:1]
	v_cndmask_b32_e64 v31, v32, v31, s4
	s_delay_alu instid0(VALU_DEP_2) | instskip(NEXT) | instid1(VALU_DEP_1)
	v_mov_b32_e32 v0, v36
	v_mad_u64_u32 v[36:37], null, 0x4e441529, v39, v[0:1]
	s_delay_alu instid0(VALU_DEP_1) | instskip(NEXT) | instid1(VALU_DEP_1)
	v_mov_b32_e32 v0, v37
	v_mad_u64_u32 v[37:38], null, 0xa2f9836e, v39, v[0:1]
	v_cndmask_b32_e64 v0, 0, 0xffffffe0, s5
	s_delay_alu instid0(VALU_DEP_4) | instskip(NEXT) | instid1(VALU_DEP_2)
	v_cndmask_b32_e64 v39, v36, v34, s3
	v_add_nc_u32_e32 v0, v0, v40
	s_delay_alu instid0(VALU_DEP_4) | instskip(SKIP_2) | instid1(VALU_DEP_4)
	v_cndmask_b32_e64 v37, v37, v35, s3
	v_cndmask_b32_e64 v36, v38, v36, s3
	;; [unrolled: 1-line block ×3, first 2 shown]
	v_sub_nc_u32_e32 v38, 32, v0
	s_delay_alu instid0(VALU_DEP_4) | instskip(NEXT) | instid1(VALU_DEP_4)
	v_cndmask_b32_e64 v34, v37, v39, s4
	v_cndmask_b32_e64 v36, v36, v37, s4
	s_delay_alu instid0(VALU_DEP_4) | instskip(SKIP_2) | instid1(VALU_DEP_4)
	v_cndmask_b32_e64 v37, v39, v35, s4
	v_cndmask_b32_e64 v35, v35, v32, s4
	v_cmp_eq_u32_e64 s6, 0, v0
	v_cndmask_b32_e64 v36, v36, v34, s5
	s_delay_alu instid0(VALU_DEP_4) | instskip(NEXT) | instid1(VALU_DEP_4)
	v_cndmask_b32_e64 v34, v34, v37, s5
	v_cndmask_b32_e64 v37, v37, v35, s5
	;; [unrolled: 1-line block ×3, first 2 shown]
	s_delay_alu instid0(VALU_DEP_3) | instskip(NEXT) | instid1(VALU_DEP_3)
	v_alignbit_b32 v39, v36, v34, v38
	v_alignbit_b32 v40, v34, v37, v38
	s_delay_alu instid0(VALU_DEP_3) | instskip(NEXT) | instid1(VALU_DEP_3)
	v_alignbit_b32 v38, v37, v31, v38
	v_cndmask_b32_e64 v0, v39, v36, s6
	s_delay_alu instid0(VALU_DEP_3) | instskip(NEXT) | instid1(VALU_DEP_3)
	v_cndmask_b32_e64 v33, v40, v34, s6
	v_cndmask_b32_e64 v37, v38, v37, s6
	s_delay_alu instid0(VALU_DEP_3) | instskip(NEXT) | instid1(VALU_DEP_3)
	v_bfe_u32 v34, v0, 29, 1
	v_alignbit_b32 v32, v0, v33, 30
	s_delay_alu instid0(VALU_DEP_3) | instskip(SKIP_1) | instid1(VALU_DEP_4)
	v_alignbit_b32 v33, v33, v37, 30
	v_alignbit_b32 v31, v37, v31, 30
	v_sub_nc_u32_e32 v36, 0, v34
	s_delay_alu instid0(VALU_DEP_1) | instskip(SKIP_3) | instid1(VALU_DEP_4)
	v_xor_b32_e32 v35, v32, v36
	v_cmp_ne_u32_e64 s3, v32, v36
	v_xor_b32_e32 v33, v33, v36
	v_xor_b32_e32 v31, v31, v36
	v_clz_i32_u32_e32 v39, v35
	s_delay_alu instid0(VALU_DEP_1) | instskip(NEXT) | instid1(VALU_DEP_1)
	v_add_nc_u32_e32 v38, 1, v39
	v_cndmask_b32_e64 v32, 33, v38, s3
	s_delay_alu instid0(VALU_DEP_1) | instskip(NEXT) | instid1(VALU_DEP_1)
	v_sub_nc_u32_e32 v37, 32, v32
	v_alignbit_b32 v35, v35, v33, v37
	v_alignbit_b32 v31, v33, v31, v37
	v_lshrrev_b32_e32 v33, 29, v0
	s_delay_alu instid0(VALU_DEP_2) | instskip(NEXT) | instid1(VALU_DEP_2)
	v_alignbit_b32 v36, v35, v31, 9
	v_lshlrev_b32_e32 v33, 31, v33
	v_alignbit_b32 v35, v32, v35, 9
	s_delay_alu instid0(VALU_DEP_3) | instskip(NEXT) | instid1(VALU_DEP_2)
	v_clz_i32_u32_e32 v37, v36
	v_or_b32_e32 v35, v35, v33
	v_or_b32_e32 v33, 0x33800000, v33
	s_delay_alu instid0(VALU_DEP_3) | instskip(NEXT) | instid1(VALU_DEP_3)
	v_min_u32_e32 v37, 32, v37
	v_xor_b32_e32 v35, 1.0, v35
	s_delay_alu instid0(VALU_DEP_2) | instskip(SKIP_1) | instid1(VALU_DEP_3)
	v_sub_nc_u32_e32 v38, 31, v37
	v_add_lshl_u32 v32, v37, v32, 23
	v_mul_f32_e32 v37, 0x3fc90fda, v35
	s_delay_alu instid0(VALU_DEP_3) | instskip(NEXT) | instid1(VALU_DEP_3)
	v_alignbit_b32 v31, v36, v31, v38
	v_sub_nc_u32_e32 v32, v33, v32
	s_delay_alu instid0(VALU_DEP_3) | instskip(NEXT) | instid1(VALU_DEP_3)
	v_fma_f32 v33, 0x3fc90fda, v35, -v37
	v_lshrrev_b32_e32 v31, 9, v31
	s_delay_alu instid0(VALU_DEP_2) | instskip(NEXT) | instid1(VALU_DEP_2)
	v_fmac_f32_e32 v33, 0x33a22168, v35
	v_or_b32_e32 v31, v32, v31
	s_delay_alu instid0(VALU_DEP_1) | instskip(SKIP_1) | instid1(VALU_DEP_1)
	v_fmac_f32_e32 v33, 0x3fc90fda, v31
	v_lshrrev_b32_e32 v31, 30, v0
	v_dual_add_f32 v0, v37, v33 :: v_dual_add_nc_u32 v31, v34, v31
	s_and_not1_saveexec_b32 s3, s28
	s_cbranch_execnz .LBB133_244
	s_branch .LBB133_245
.LBB133_243:                            ;   in Loop: Header=BB133_181 Depth=1
	s_and_not1_saveexec_b32 s3, s28
.LBB133_244:                            ;   in Loop: Header=BB133_181 Depth=1
	v_mul_f32_e64 v0, 0x3f22f983, |v13|
	s_delay_alu instid0(VALU_DEP_1) | instskip(NEXT) | instid1(VALU_DEP_1)
	v_rndne_f32_e32 v31, v0
	v_fma_f32 v0, 0xbfc90fda, v31, |v13|
	s_delay_alu instid0(VALU_DEP_1) | instskip(NEXT) | instid1(VALU_DEP_1)
	v_fmac_f32_e32 v0, 0xb3a22168, v31
	v_fmac_f32_e32 v0, 0xa7c234c4, v31
	v_cvt_i32_f32_e32 v31, v31
.LBB133_245:                            ;   in Loop: Header=BB133_181 Depth=1
	s_or_b32 exec_lo, exec_lo, s3
	v_dual_mul_f32 v32, 0x3fb8aa3b, v12 :: v_dual_mul_f32 v33, v10, v10
	s_delay_alu instid0(VALU_DEP_2) | instskip(NEXT) | instid1(VALU_DEP_3)
	v_dual_mul_f32 v37, v0, v0 :: v_dual_and_b32 v34, 1, v11
	v_and_b32_e32 v38, 1, v31
	s_delay_alu instid0(VALU_DEP_3) | instskip(NEXT) | instid1(VALU_DEP_4)
	v_rndne_f32_e32 v35, v32
	v_fmaak_f32 v39, s22, v33, 0x3c0881c4
	v_fma_f32 v36, 0x3fb8aa3b, v12, -v32
	v_lshlrev_b32_e32 v11, 30, v11
	v_dual_fmaak_f32 v40, s23, v33, 0xbab64f3b :: v_dual_lshlrev_b32 v31, 30, v31
	v_dual_sub_f32 v32, v32, v35 :: v_dual_fmaak_f32 v41, s22, v37, 0x3c0881c4
	s_delay_alu instid0(VALU_DEP_4)
	v_fmac_f32_e32 v36, 0x32a5705f, v12
	v_fmaak_f32 v42, s23, v37, 0xbab64f3b
	v_cmp_eq_u32_e64 s3, 0, v34
	v_cvt_i32_f32_e32 v35, v35
	v_and_or_b32 v30, 0x80000000, v31, v30
	v_add_f32_e32 v32, v32, v36
	v_fmaak_f32 v36, v33, v39, 0xbe2aaa9d
	v_fmaak_f32 v39, v33, v40, 0x3d2aabf7
	;; [unrolled: 1-line block ×4, first 2 shown]
	s_delay_alu instid0(VALU_DEP_4) | instskip(NEXT) | instid1(VALU_DEP_4)
	v_dual_mul_f32 v36, v33, v36 :: v_dual_and_b32 v11, 0x80000000, v11
	v_fmaak_f32 v39, v33, v39, 0xbf000004
	v_exp_f32_e32 v32, v32
	v_mul_f32_e32 v40, v37, v40
	s_delay_alu instid0(VALU_DEP_3) | instskip(NEXT) | instid1(VALU_DEP_3)
	v_dual_fmaak_f32 v41, v37, v41, 0xbf000004 :: v_dual_fmac_f32 v10, v10, v36
	v_fma_f32 v33, v33, v39, 1.0
	v_cmp_nlt_f32_e64 s4, 0x42b17218, v12
	s_delay_alu instid0(VALU_DEP_4) | instskip(NEXT) | instid1(VALU_DEP_4)
	v_fmac_f32_e32 v0, v0, v40
	v_fma_f32 v36, v37, v41, 1.0
	s_delay_alu instid0(VALU_DEP_4) | instskip(SKIP_1) | instid1(TRANS32_DEP_1)
	v_cndmask_b32_e64 v10, -v10, v33, s3
	v_cmp_eq_u32_e64 s3, 0, v38
	v_ldexp_f32 v32, v32, v35
	s_delay_alu instid0(VALU_DEP_3) | instskip(NEXT) | instid1(VALU_DEP_3)
	v_xor_b32_e32 v10, v11, v10
	v_cndmask_b32_e64 v0, v36, v0, s3
	v_cmp_ngt_f32_e64 s3, 0xc2ce8ed0, v12
	s_delay_alu instid0(VALU_DEP_2) | instskip(NEXT) | instid1(VALU_DEP_2)
	v_xor3_b32 v0, v30, v0, v13
	v_cndmask_b32_e64 v31, 0, v32, s3
	v_cmp_class_f32_e64 s3, v13, 0x1f8
                                        ; implicit-def: $vgpr13
                                        ; implicit-def: $vgpr30
	s_delay_alu instid0(VALU_DEP_2) | instskip(NEXT) | instid1(VALU_DEP_2)
	v_cndmask_b32_e64 v11, 0x7f800000, v31, s4
	v_cndmask_b32_e64 v10, 0x7fc00000, v10, s3
	;; [unrolled: 1-line block ×3, first 2 shown]
	s_delay_alu instid0(VALU_DEP_2) | instskip(NEXT) | instid1(VALU_DEP_2)
	v_mul_f32_e32 v10, v11, v10
	v_mul_f32_e32 v11, v11, v0
.LBB133_246:                            ;   in Loop: Header=BB133_181 Depth=1
	s_and_not1_saveexec_b32 s27, s27
	s_cbranch_execz .LBB133_256
; %bb.247:                              ;   in Loop: Header=BB133_181 Depth=1
	v_cmp_ngt_f32_e64 s28, 0x48000000, |v13|
                                        ; implicit-def: $vgpr11
                                        ; implicit-def: $vgpr10
	s_delay_alu instid0(VALU_DEP_1) | instskip(NEXT) | instid1(SALU_CYCLE_1)
	s_and_saveexec_b32 s3, s28
	s_xor_b32 s29, exec_lo, s3
	s_cbranch_execz .LBB133_249
; %bb.248:                              ;   in Loop: Header=BB133_181 Depth=1
	v_and_or_b32 v38, v30, s7, 0x800000
	s_delay_alu instid0(VALU_DEP_1) | instskip(NEXT) | instid1(VALU_DEP_1)
	v_mad_u64_u32 v[10:11], null, 0xfe5163ab, v38, 0
	v_mov_b32_e32 v0, v11
	v_lshrrev_b32_e32 v11, 23, v30
	s_delay_alu instid0(VALU_DEP_1) | instskip(NEXT) | instid1(VALU_DEP_3)
	v_add_nc_u32_e32 v11, 0xffffff88, v11
	v_mad_u64_u32 v[31:32], null, 0x3c439041, v38, v[0:1]
	s_delay_alu instid0(VALU_DEP_2) | instskip(NEXT) | instid1(VALU_DEP_1)
	v_cmp_lt_u32_e64 s3, 63, v11
	v_cndmask_b32_e64 v36, 0, 0xffffffc0, s3
	s_delay_alu instid0(VALU_DEP_1) | instskip(NEXT) | instid1(VALU_DEP_1)
	v_add_nc_u32_e32 v11, v36, v11
	v_cmp_lt_u32_e64 s4, 31, v11
	s_delay_alu instid0(VALU_DEP_1) | instskip(NEXT) | instid1(VALU_DEP_1)
	v_cndmask_b32_e64 v37, 0, 0xffffffe0, s4
	v_dual_mov_b32 v0, v32 :: v_dual_add_nc_u32 v11, v37, v11
	s_delay_alu instid0(VALU_DEP_1) | instskip(NEXT) | instid1(VALU_DEP_2)
	v_mad_u64_u32 v[32:33], null, 0xdb629599, v38, v[0:1]
	v_cmp_lt_u32_e64 s5, 31, v11
	s_delay_alu instid0(VALU_DEP_2) | instskip(NEXT) | instid1(VALU_DEP_3)
	v_mov_b32_e32 v0, v33
	v_cndmask_b32_e64 v10, v32, v10, s3
	s_delay_alu instid0(VALU_DEP_2) | instskip(NEXT) | instid1(VALU_DEP_1)
	v_mad_u64_u32 v[33:34], null, 0xf534ddc0, v38, v[0:1]
	v_mov_b32_e32 v0, v34
	s_delay_alu instid0(VALU_DEP_1) | instskip(NEXT) | instid1(VALU_DEP_1)
	v_mad_u64_u32 v[34:35], null, 0xfc2757d1, v38, v[0:1]
	v_mov_b32_e32 v0, v35
	s_delay_alu instid0(VALU_DEP_1) | instskip(NEXT) | instid1(VALU_DEP_1)
	v_mad_u64_u32 v[35:36], null, 0x4e441529, v38, v[0:1]
	v_mov_b32_e32 v0, v36
	s_delay_alu instid0(VALU_DEP_1) | instskip(SKIP_1) | instid1(VALU_DEP_4)
	v_mad_u64_u32 v[36:37], null, 0xa2f9836e, v38, v[0:1]
	v_cndmask_b32_e64 v0, 0, 0xffffffe0, s5
	v_cndmask_b32_e64 v38, v35, v33, s3
	s_delay_alu instid0(VALU_DEP_2) | instskip(NEXT) | instid1(VALU_DEP_4)
	v_add_nc_u32_e32 v0, v0, v11
	v_cndmask_b32_e64 v36, v36, v34, s3
	v_cndmask_b32_e64 v35, v37, v35, s3
	v_cndmask_b32_e64 v34, v34, v32, s3
	v_cndmask_b32_e64 v11, v33, v31, s3
	v_cmp_eq_u32_e64 s6, 0, v0
	v_cndmask_b32_e64 v31, v36, v38, s4
	v_cndmask_b32_e64 v33, v35, v36, s4
	;; [unrolled: 1-line block ×3, first 2 shown]
	v_sub_nc_u32_e32 v36, 32, v0
	v_cndmask_b32_e64 v34, v34, v11, s4
	v_cndmask_b32_e64 v10, v11, v10, s4
	;; [unrolled: 1-line block ×4, first 2 shown]
	s_delay_alu instid0(VALU_DEP_4) | instskip(NEXT) | instid1(VALU_DEP_4)
	v_cndmask_b32_e64 v35, v35, v34, s5
	v_cndmask_b32_e64 v10, v34, v10, s5
	s_delay_alu instid0(VALU_DEP_3) | instskip(NEXT) | instid1(VALU_DEP_3)
	v_alignbit_b32 v37, v33, v31, v36
	v_alignbit_b32 v38, v31, v35, v36
	s_delay_alu instid0(VALU_DEP_3) | instskip(NEXT) | instid1(VALU_DEP_3)
	v_alignbit_b32 v36, v35, v10, v36
	v_cndmask_b32_e64 v0, v37, v33, s6
	s_delay_alu instid0(VALU_DEP_3) | instskip(NEXT) | instid1(VALU_DEP_3)
	v_cndmask_b32_e64 v31, v38, v31, s6
	v_cndmask_b32_e64 v35, v36, v35, s6
	s_delay_alu instid0(VALU_DEP_3) | instskip(NEXT) | instid1(VALU_DEP_3)
	v_bfe_u32 v32, v0, 29, 1
	v_alignbit_b32 v11, v0, v31, 30
	s_delay_alu instid0(VALU_DEP_3) | instskip(SKIP_1) | instid1(VALU_DEP_4)
	v_alignbit_b32 v31, v31, v35, 30
	v_alignbit_b32 v10, v35, v10, 30
	v_sub_nc_u32_e32 v33, 0, v32
	s_delay_alu instid0(VALU_DEP_1) | instskip(SKIP_3) | instid1(VALU_DEP_4)
	v_xor_b32_e32 v34, v11, v33
	v_cmp_ne_u32_e64 s3, v11, v33
	v_xor_b32_e32 v31, v31, v33
	v_xor_b32_e32 v10, v10, v33
	v_clz_i32_u32_e32 v37, v34
	s_delay_alu instid0(VALU_DEP_1) | instskip(NEXT) | instid1(VALU_DEP_1)
	v_add_nc_u32_e32 v36, 1, v37
	v_cndmask_b32_e64 v11, 33, v36, s3
	s_delay_alu instid0(VALU_DEP_1) | instskip(NEXT) | instid1(VALU_DEP_1)
	v_sub_nc_u32_e32 v35, 32, v11
	v_alignbit_b32 v33, v34, v31, v35
	v_alignbit_b32 v10, v31, v10, v35
	v_lshrrev_b32_e32 v31, 29, v0
	v_lshrrev_b32_e32 v0, 30, v0
	s_delay_alu instid0(VALU_DEP_3) | instskip(NEXT) | instid1(VALU_DEP_3)
	v_alignbit_b32 v34, v33, v10, 9
	v_lshlrev_b32_e32 v31, 31, v31
	v_alignbit_b32 v33, v11, v33, 9
	s_delay_alu instid0(VALU_DEP_3) | instskip(NEXT) | instid1(VALU_DEP_2)
	v_clz_i32_u32_e32 v35, v34
	v_or_b32_e32 v33, v33, v31
	v_or_b32_e32 v31, 0x33800000, v31
	s_delay_alu instid0(VALU_DEP_3) | instskip(NEXT) | instid1(VALU_DEP_3)
	v_min_u32_e32 v35, 32, v35
	v_xor_b32_e32 v33, 1.0, v33
	s_delay_alu instid0(VALU_DEP_2) | instskip(SKIP_1) | instid1(VALU_DEP_3)
	v_sub_nc_u32_e32 v36, 31, v35
	v_add_lshl_u32 v11, v35, v11, 23
	v_mul_f32_e32 v35, 0x3fc90fda, v33
	s_delay_alu instid0(VALU_DEP_3) | instskip(NEXT) | instid1(VALU_DEP_3)
	v_alignbit_b32 v10, v34, v10, v36
	v_sub_nc_u32_e32 v11, v31, v11
	s_delay_alu instid0(VALU_DEP_3) | instskip(NEXT) | instid1(VALU_DEP_3)
	v_fma_f32 v31, 0x3fc90fda, v33, -v35
	v_lshrrev_b32_e32 v10, 9, v10
	s_delay_alu instid0(VALU_DEP_2) | instskip(NEXT) | instid1(VALU_DEP_2)
	v_fmac_f32_e32 v31, 0x33a22168, v33
	v_or_b32_e32 v10, v11, v10
	v_add_nc_u32_e32 v11, v32, v0
	s_delay_alu instid0(VALU_DEP_2) | instskip(NEXT) | instid1(VALU_DEP_1)
	v_fmac_f32_e32 v31, 0x3fc90fda, v10
	v_add_f32_e32 v10, v35, v31
	s_and_not1_saveexec_b32 s3, s29
	s_branch .LBB133_250
.LBB133_249:                            ;   in Loop: Header=BB133_181 Depth=1
	s_and_not1_saveexec_b32 s3, s29
.LBB133_250:                            ;   in Loop: Header=BB133_181 Depth=1
	v_mul_f32_e64 v0, 0x3f22f983, |v13|
	s_delay_alu instid0(VALU_DEP_1) | instskip(NEXT) | instid1(VALU_DEP_1)
	v_rndne_f32_e32 v0, v0
	v_fma_f32 v10, 0xbfc90fda, v0, |v13|
	v_cvt_i32_f32_e32 v11, v0
	s_delay_alu instid0(VALU_DEP_2) | instskip(NEXT) | instid1(VALU_DEP_1)
	v_fmac_f32_e32 v10, 0xb3a22168, v0
	v_fmac_f32_e32 v10, 0xa7c234c4, v0
; %bb.251:                              ;   in Loop: Header=BB133_181 Depth=1
	s_or_b32 exec_lo, exec_lo, s3
                                        ; implicit-def: $vgpr31
                                        ; implicit-def: $vgpr0
	s_and_saveexec_b32 s3, s28
	s_delay_alu instid0(SALU_CYCLE_1)
	s_xor_b32 s28, exec_lo, s3
	s_cbranch_execz .LBB133_253
; %bb.252:                              ;   in Loop: Header=BB133_181 Depth=1
	v_and_or_b32 v39, v30, s7, 0x800000
	v_lshrrev_b32_e32 v36, 23, v30
	s_delay_alu instid0(VALU_DEP_2) | instskip(NEXT) | instid1(VALU_DEP_2)
	v_mad_u64_u32 v[31:32], null, 0xfe5163ab, v39, 0
	v_add_nc_u32_e32 v37, 0xffffff88, v36
	s_delay_alu instid0(VALU_DEP_1) | instskip(NEXT) | instid1(VALU_DEP_3)
	v_cmp_lt_u32_e64 s3, 63, v37
	v_mov_b32_e32 v0, v32
	s_delay_alu instid0(VALU_DEP_2) | instskip(NEXT) | instid1(VALU_DEP_2)
	v_cndmask_b32_e64 v38, 0, 0xffffffc0, s3
	v_mad_u64_u32 v[32:33], null, 0x3c439041, v39, v[0:1]
	s_delay_alu instid0(VALU_DEP_2) | instskip(NEXT) | instid1(VALU_DEP_2)
	v_add_nc_u32_e32 v38, v38, v37
	v_mov_b32_e32 v0, v33
	s_delay_alu instid0(VALU_DEP_2) | instskip(NEXT) | instid1(VALU_DEP_2)
	v_cmp_lt_u32_e64 s4, 31, v38
	v_mad_u64_u32 v[33:34], null, 0xdb629599, v39, v[0:1]
	s_delay_alu instid0(VALU_DEP_2) | instskip(NEXT) | instid1(VALU_DEP_1)
	v_cndmask_b32_e64 v40, 0, 0xffffffe0, s4
	v_add_nc_u32_e32 v40, v40, v38
	s_delay_alu instid0(VALU_DEP_3) | instskip(NEXT) | instid1(VALU_DEP_4)
	v_mov_b32_e32 v0, v34
	v_cndmask_b32_e64 v31, v33, v31, s3
	s_delay_alu instid0(VALU_DEP_3) | instskip(NEXT) | instid1(VALU_DEP_3)
	v_cmp_lt_u32_e64 s5, 31, v40
	v_mad_u64_u32 v[34:35], null, 0xf534ddc0, v39, v[0:1]
	s_delay_alu instid0(VALU_DEP_1) | instskip(NEXT) | instid1(VALU_DEP_2)
	v_mov_b32_e32 v0, v35
	v_cndmask_b32_e64 v32, v34, v32, s3
	s_delay_alu instid0(VALU_DEP_2) | instskip(NEXT) | instid1(VALU_DEP_2)
	v_mad_u64_u32 v[35:36], null, 0xfc2757d1, v39, v[0:1]
	v_cndmask_b32_e64 v31, v32, v31, s4
	s_delay_alu instid0(VALU_DEP_2) | instskip(NEXT) | instid1(VALU_DEP_1)
	v_mov_b32_e32 v0, v36
	v_mad_u64_u32 v[36:37], null, 0x4e441529, v39, v[0:1]
	s_delay_alu instid0(VALU_DEP_1) | instskip(NEXT) | instid1(VALU_DEP_1)
	v_mov_b32_e32 v0, v37
	v_mad_u64_u32 v[37:38], null, 0xa2f9836e, v39, v[0:1]
	v_cndmask_b32_e64 v0, 0, 0xffffffe0, s5
	s_delay_alu instid0(VALU_DEP_4) | instskip(NEXT) | instid1(VALU_DEP_2)
	v_cndmask_b32_e64 v39, v36, v34, s3
	v_add_nc_u32_e32 v0, v0, v40
	s_delay_alu instid0(VALU_DEP_4) | instskip(SKIP_2) | instid1(VALU_DEP_4)
	v_cndmask_b32_e64 v37, v37, v35, s3
	v_cndmask_b32_e64 v36, v38, v36, s3
	;; [unrolled: 1-line block ×3, first 2 shown]
	v_sub_nc_u32_e32 v38, 32, v0
	s_delay_alu instid0(VALU_DEP_4) | instskip(NEXT) | instid1(VALU_DEP_4)
	v_cndmask_b32_e64 v34, v37, v39, s4
	v_cndmask_b32_e64 v36, v36, v37, s4
	s_delay_alu instid0(VALU_DEP_4) | instskip(SKIP_2) | instid1(VALU_DEP_4)
	v_cndmask_b32_e64 v37, v39, v35, s4
	v_cndmask_b32_e64 v35, v35, v32, s4
	v_cmp_eq_u32_e64 s6, 0, v0
	v_cndmask_b32_e64 v36, v36, v34, s5
	s_delay_alu instid0(VALU_DEP_4) | instskip(NEXT) | instid1(VALU_DEP_4)
	v_cndmask_b32_e64 v34, v34, v37, s5
	v_cndmask_b32_e64 v37, v37, v35, s5
	;; [unrolled: 1-line block ×3, first 2 shown]
	s_delay_alu instid0(VALU_DEP_3) | instskip(NEXT) | instid1(VALU_DEP_3)
	v_alignbit_b32 v39, v36, v34, v38
	v_alignbit_b32 v40, v34, v37, v38
	s_delay_alu instid0(VALU_DEP_3) | instskip(NEXT) | instid1(VALU_DEP_3)
	v_alignbit_b32 v38, v37, v31, v38
	v_cndmask_b32_e64 v0, v39, v36, s6
	s_delay_alu instid0(VALU_DEP_3) | instskip(NEXT) | instid1(VALU_DEP_3)
	v_cndmask_b32_e64 v33, v40, v34, s6
	v_cndmask_b32_e64 v37, v38, v37, s6
	s_delay_alu instid0(VALU_DEP_3) | instskip(NEXT) | instid1(VALU_DEP_3)
	v_bfe_u32 v34, v0, 29, 1
	v_alignbit_b32 v32, v0, v33, 30
	s_delay_alu instid0(VALU_DEP_3) | instskip(SKIP_1) | instid1(VALU_DEP_4)
	v_alignbit_b32 v33, v33, v37, 30
	v_alignbit_b32 v31, v37, v31, 30
	v_sub_nc_u32_e32 v36, 0, v34
	s_delay_alu instid0(VALU_DEP_1) | instskip(SKIP_3) | instid1(VALU_DEP_4)
	v_xor_b32_e32 v35, v32, v36
	v_cmp_ne_u32_e64 s3, v32, v36
	v_xor_b32_e32 v33, v33, v36
	v_xor_b32_e32 v31, v31, v36
	v_clz_i32_u32_e32 v39, v35
	s_delay_alu instid0(VALU_DEP_1) | instskip(NEXT) | instid1(VALU_DEP_1)
	v_add_nc_u32_e32 v38, 1, v39
	v_cndmask_b32_e64 v32, 33, v38, s3
	s_delay_alu instid0(VALU_DEP_1) | instskip(NEXT) | instid1(VALU_DEP_1)
	v_sub_nc_u32_e32 v37, 32, v32
	v_alignbit_b32 v35, v35, v33, v37
	v_alignbit_b32 v31, v33, v31, v37
	v_lshrrev_b32_e32 v33, 29, v0
	s_delay_alu instid0(VALU_DEP_2) | instskip(NEXT) | instid1(VALU_DEP_2)
	v_alignbit_b32 v36, v35, v31, 9
	v_lshlrev_b32_e32 v33, 31, v33
	v_alignbit_b32 v35, v32, v35, 9
	s_delay_alu instid0(VALU_DEP_3) | instskip(NEXT) | instid1(VALU_DEP_2)
	v_clz_i32_u32_e32 v37, v36
	v_or_b32_e32 v35, v35, v33
	v_or_b32_e32 v33, 0x33800000, v33
	s_delay_alu instid0(VALU_DEP_3) | instskip(NEXT) | instid1(VALU_DEP_3)
	v_min_u32_e32 v37, 32, v37
	v_xor_b32_e32 v35, 1.0, v35
	s_delay_alu instid0(VALU_DEP_2) | instskip(SKIP_1) | instid1(VALU_DEP_3)
	v_sub_nc_u32_e32 v38, 31, v37
	v_add_lshl_u32 v32, v37, v32, 23
	v_mul_f32_e32 v37, 0x3fc90fda, v35
	s_delay_alu instid0(VALU_DEP_3) | instskip(NEXT) | instid1(VALU_DEP_3)
	v_alignbit_b32 v31, v36, v31, v38
	v_sub_nc_u32_e32 v32, v33, v32
	s_delay_alu instid0(VALU_DEP_3) | instskip(NEXT) | instid1(VALU_DEP_3)
	v_fma_f32 v33, 0x3fc90fda, v35, -v37
	v_lshrrev_b32_e32 v31, 9, v31
	s_delay_alu instid0(VALU_DEP_2) | instskip(NEXT) | instid1(VALU_DEP_2)
	v_fmac_f32_e32 v33, 0x33a22168, v35
	v_or_b32_e32 v31, v32, v31
	s_delay_alu instid0(VALU_DEP_1) | instskip(SKIP_1) | instid1(VALU_DEP_1)
	v_fmac_f32_e32 v33, 0x3fc90fda, v31
	v_lshrrev_b32_e32 v31, 30, v0
	v_dual_add_f32 v0, v37, v33 :: v_dual_add_nc_u32 v31, v34, v31
	s_and_not1_saveexec_b32 s3, s28
	s_cbranch_execnz .LBB133_254
	s_branch .LBB133_255
.LBB133_253:                            ;   in Loop: Header=BB133_181 Depth=1
	s_and_not1_saveexec_b32 s3, s28
.LBB133_254:                            ;   in Loop: Header=BB133_181 Depth=1
	v_mul_f32_e64 v0, 0x3f22f983, |v13|
	s_delay_alu instid0(VALU_DEP_1) | instskip(NEXT) | instid1(VALU_DEP_1)
	v_rndne_f32_e32 v31, v0
	v_fma_f32 v0, 0xbfc90fda, v31, |v13|
	s_delay_alu instid0(VALU_DEP_1) | instskip(NEXT) | instid1(VALU_DEP_1)
	v_fmac_f32_e32 v0, 0xb3a22168, v31
	v_fmac_f32_e32 v0, 0xa7c234c4, v31
	v_cvt_i32_f32_e32 v31, v31
.LBB133_255:                            ;   in Loop: Header=BB133_181 Depth=1
	s_or_b32 exec_lo, exec_lo, s3
	v_add_f32_e32 v12, 0xc322e3bc, v12
	s_delay_alu instid0(VALU_DEP_2) | instskip(NEXT) | instid1(VALU_DEP_2)
	v_dual_mul_f32 v36, v0, v0 :: v_dual_mul_f32 v35, v10, v10
	v_mul_f32_e32 v32, 0x3fb8aa3b, v12
	s_delay_alu instid0(VALU_DEP_2) | instskip(NEXT) | instid1(VALU_DEP_2)
	v_fmaak_f32 v38, s22, v35, 0x3c0881c4
	v_fma_f32 v33, 0x3fb8aa3b, v12, -v32
	v_rndne_f32_e32 v34, v32
	s_delay_alu instid0(VALU_DEP_1) | instskip(NEXT) | instid1(VALU_DEP_1)
	v_dual_fmac_f32 v33, 0x32a5705f, v12 :: v_dual_sub_f32 v32, v32, v34
	v_add_f32_e32 v32, v32, v33
	v_cvt_i32_f32_e32 v33, v34
	s_delay_alu instid0(VALU_DEP_2)
	v_exp_f32_e32 v32, v32
	s_waitcnt_depctr 0xfff
	v_ldexp_f32 v32, v32, v33
	v_and_b32_e32 v33, 1, v31
	v_lshlrev_b32_e32 v31, 30, v31
	v_dual_fmaak_f32 v39, s22, v36, 0x3c0881c4 :: v_dual_lshlrev_b32 v34, 30, v11
	v_and_b32_e32 v11, 1, v11
	v_cmp_ngt_f32_e64 s3, 0xc2ce8ed0, v12
	v_fmaak_f32 v37, s23, v35, 0xbab64f3b
	v_and_or_b32 v30, 0x80000000, v31, v30
	v_fmaak_f32 v39, v36, v39, 0xbe2aaa9d
	s_delay_alu instid0(VALU_DEP_4) | instskip(SKIP_1) | instid1(VALU_DEP_3)
	v_cndmask_b32_e64 v32, 0, v32, s3
	v_cmp_nlt_f32_e64 s3, 0x42b17218, v12
	v_mul_f32_e32 v39, v36, v39
	s_delay_alu instid0(VALU_DEP_2) | instskip(SKIP_2) | instid1(VALU_DEP_4)
	v_cndmask_b32_e64 v12, 0x7f800000, v32, s3
	v_fmaak_f32 v32, s23, v36, 0xbab64f3b
	v_fmaak_f32 v31, v35, v37, 0x3d2aabf7
	v_dual_fmaak_f32 v37, v35, v38, 0xbe2aaa9d :: v_dual_fmac_f32 v0, v0, v39
	v_and_b32_e32 v34, 0x80000000, v34
	v_lshrrev_b32_e32 v38, 23, v12
	s_delay_alu instid0(VALU_DEP_3) | instskip(SKIP_2) | instid1(VALU_DEP_4)
	v_dual_fmaak_f32 v32, v36, v32, 0x3d2aabf7 :: v_dual_mul_f32 v37, v35, v37
	v_fmaak_f32 v31, v35, v31, 0xbf000004
	v_cmp_eq_u32_e64 s3, 0, v11
	v_subrev_nc_u32_e32 v38, 19, v38
	s_delay_alu instid0(VALU_DEP_4)
	v_fmaak_f32 v32, v36, v32, 0xbf000004
	v_fmac_f32_e32 v10, v10, v37
	v_fma_f32 v31, v35, v31, 1.0
	v_and_or_b32 v12, 0x7fffff, v12, s24
	v_lshrrev_b16 v35, 15, v38
	v_fma_f32 v32, v36, v32, 1.0
	s_delay_alu instid0(VALU_DEP_4) | instskip(SKIP_1) | instid1(VALU_DEP_4)
	v_cndmask_b32_e64 v10, -v10, v31, s3
	v_cmp_eq_u32_e64 s3, 0, v33
	v_add_nc_u16 v11, v38, v35
	s_delay_alu instid0(VALU_DEP_3) | instskip(NEXT) | instid1(VALU_DEP_3)
	v_xor_b32_e32 v10, v34, v10
	v_cndmask_b32_e64 v0, v32, v0, s3
	s_delay_alu instid0(VALU_DEP_3) | instskip(SKIP_1) | instid1(VALU_DEP_3)
	v_ashrrev_i16 v11, 1, v11
	v_cmp_class_f32_e64 s3, v13, 0x1f8
	v_xor3_b32 v0, v30, v0, v13
	s_delay_alu instid0(VALU_DEP_3) | instskip(NEXT) | instid1(VALU_DEP_3)
	v_bfe_i32 v11, v11, 0, 16
	v_cndmask_b32_e64 v10, 0x7fc00000, v10, s3
	s_delay_alu instid0(VALU_DEP_3) | instskip(NEXT) | instid1(VALU_DEP_3)
	v_cndmask_b32_e64 v0, 0x7fc00000, v0, s3
	v_lshl_add_u32 v13, v11, 23, 1.0
	s_delay_alu instid0(VALU_DEP_3) | instskip(SKIP_1) | instid1(VALU_DEP_4)
	v_mul_f32_e32 v10, v10, v12
	v_sub_nc_u32_e32 v11, v38, v11
	v_mul_f32_e32 v0, v0, v12
	s_delay_alu instid0(VALU_DEP_2) | instskip(NEXT) | instid1(VALU_DEP_2)
	v_lshl_add_u32 v11, v11, 23, 1.0
	v_mul_f32_e32 v0, v0, v13
	v_mul_f32_e32 v10, v10, v13
	s_delay_alu instid0(VALU_DEP_1) | instskip(NEXT) | instid1(VALU_DEP_3)
	v_mul_f32_e32 v10, v10, v11
	v_mul_f32_e32 v11, v0, v11
.LBB133_256:                            ;   in Loop: Header=BB133_181 Depth=1
	s_or_b32 exec_lo, exec_lo, s27
                                        ; implicit-def: $vgpr12
                                        ; implicit-def: $vgpr0
.LBB133_257:                            ;   in Loop: Header=BB133_181 Depth=1
	s_and_not1_saveexec_b32 s4, s26
	s_cbranch_execz .LBB133_263
; %bb.258:                              ;   in Loop: Header=BB133_181 Depth=1
	v_cmp_ne_u32_e64 s3, 0x7f800000, v0
                                        ; implicit-def: $vgpr11
	s_delay_alu instid0(VALU_DEP_1) | instskip(NEXT) | instid1(SALU_CYCLE_1)
	s_and_saveexec_b32 s5, s3
	s_xor_b32 s3, exec_lo, s5
; %bb.259:                              ;   in Loop: Header=BB133_181 Depth=1
	v_sub_f32_e32 v11, v13, v13
                                        ; implicit-def: $vgpr12
; %bb.260:                              ;   in Loop: Header=BB133_181 Depth=1
	s_or_saveexec_b32 s5, s3
	s_delay_alu instid0(VALU_DEP_1)
	v_mov_b32_e32 v10, v11
	s_xor_b32 exec_lo, exec_lo, s5
; %bb.261:                              ;   in Loop: Header=BB133_181 Depth=1
	v_sub_f32_e32 v0, v13, v13
	v_cmp_lt_i32_e64 s3, -1, v12
	s_delay_alu instid0(VALU_DEP_1) | instskip(NEXT) | instid1(VALU_DEP_3)
	v_cndmask_b32_e64 v10, 0, v12, s3
	v_cndmask_b32_e64 v11, 0, v0, s3
; %bb.262:                              ;   in Loop: Header=BB133_181 Depth=1
	s_or_b32 exec_lo, exec_lo, s5
.LBB133_263:                            ;   in Loop: Header=BB133_181 Depth=1
	s_delay_alu instid0(SALU_CYCLE_1)
	s_or_b32 exec_lo, exec_lo, s4
                                        ; implicit-def: $vgpr13
                                        ; implicit-def: $vgpr30
.LBB133_264:                            ;   in Loop: Header=BB133_181 Depth=1
	s_and_not1_saveexec_b32 s25, s25
	s_cbranch_execz .LBB133_274
; %bb.265:                              ;   in Loop: Header=BB133_181 Depth=1
	v_cmp_ngt_f32_e64 s26, 0x48000000, |v13|
                                        ; implicit-def: $vgpr11
                                        ; implicit-def: $vgpr10
	s_delay_alu instid0(VALU_DEP_1) | instskip(NEXT) | instid1(SALU_CYCLE_1)
	s_and_saveexec_b32 s3, s26
	s_xor_b32 s27, exec_lo, s3
	s_cbranch_execz .LBB133_267
; %bb.266:                              ;   in Loop: Header=BB133_181 Depth=1
	v_and_or_b32 v37, v30, s7, 0x800000
	s_delay_alu instid0(VALU_DEP_1) | instskip(NEXT) | instid1(VALU_DEP_1)
	v_mad_u64_u32 v[10:11], null, 0xfe5163ab, v37, 0
	v_mov_b32_e32 v0, v11
	s_delay_alu instid0(VALU_DEP_1) | instskip(NEXT) | instid1(VALU_DEP_1)
	v_mad_u64_u32 v[11:12], null, 0x3c439041, v37, v[0:1]
	v_mov_b32_e32 v0, v12
	v_lshrrev_b32_e32 v12, 23, v30
	s_delay_alu instid0(VALU_DEP_2) | instskip(NEXT) | instid1(VALU_DEP_2)
	v_mad_u64_u32 v[31:32], null, 0xdb629599, v37, v[0:1]
	v_add_nc_u32_e32 v12, 0xffffff88, v12
	s_delay_alu instid0(VALU_DEP_1) | instskip(NEXT) | instid1(VALU_DEP_3)
	v_cmp_lt_u32_e64 s3, 63, v12
	v_mov_b32_e32 v0, v32
	s_delay_alu instid0(VALU_DEP_2) | instskip(NEXT) | instid1(VALU_DEP_2)
	v_cndmask_b32_e64 v35, 0, 0xffffffc0, s3
	v_mad_u64_u32 v[32:33], null, 0xf534ddc0, v37, v[0:1]
	v_cndmask_b32_e64 v10, v31, v10, s3
	s_delay_alu instid0(VALU_DEP_3) | instskip(NEXT) | instid1(VALU_DEP_3)
	v_add_nc_u32_e32 v12, v35, v12
	v_mov_b32_e32 v0, v33
	s_delay_alu instid0(VALU_DEP_2) | instskip(SKIP_1) | instid1(VALU_DEP_3)
	v_cmp_lt_u32_e64 s4, 31, v12
	v_cndmask_b32_e64 v11, v32, v11, s3
	v_mad_u64_u32 v[33:34], null, 0xfc2757d1, v37, v[0:1]
	s_delay_alu instid0(VALU_DEP_3) | instskip(NEXT) | instid1(VALU_DEP_3)
	v_cndmask_b32_e64 v36, 0, 0xffffffe0, s4
	v_cndmask_b32_e64 v10, v11, v10, s4
	s_delay_alu instid0(VALU_DEP_2) | instskip(NEXT) | instid1(VALU_DEP_4)
	v_add_nc_u32_e32 v12, v36, v12
	v_mov_b32_e32 v0, v34
	s_delay_alu instid0(VALU_DEP_2) | instskip(NEXT) | instid1(VALU_DEP_2)
	v_cmp_lt_u32_e64 s5, 31, v12
	v_mad_u64_u32 v[34:35], null, 0x4e441529, v37, v[0:1]
	s_delay_alu instid0(VALU_DEP_1) | instskip(NEXT) | instid1(VALU_DEP_1)
	v_mov_b32_e32 v0, v35
	v_mad_u64_u32 v[35:36], null, 0xa2f9836e, v37, v[0:1]
	s_delay_alu instid0(VALU_DEP_4) | instskip(NEXT) | instid1(VALU_DEP_4)
	v_cndmask_b32_e64 v0, 0, 0xffffffe0, s5
	v_cndmask_b32_e64 v37, v34, v32, s3
	s_delay_alu instid0(VALU_DEP_2) | instskip(NEXT) | instid1(VALU_DEP_4)
	v_add_nc_u32_e32 v0, v0, v12
	v_cndmask_b32_e64 v35, v35, v33, s3
	v_cndmask_b32_e64 v34, v36, v34, s3
	;; [unrolled: 1-line block ×3, first 2 shown]
	s_delay_alu instid0(VALU_DEP_4) | instskip(NEXT) | instid1(VALU_DEP_4)
	v_cmp_eq_u32_e64 s6, 0, v0
	v_cndmask_b32_e64 v12, v35, v37, s4
	s_delay_alu instid0(VALU_DEP_4) | instskip(NEXT) | instid1(VALU_DEP_4)
	v_cndmask_b32_e64 v32, v34, v35, s4
	v_cndmask_b32_e64 v34, v37, v33, s4
	v_sub_nc_u32_e32 v35, 32, v0
	v_cndmask_b32_e64 v33, v33, v11, s4
	s_delay_alu instid0(VALU_DEP_4) | instskip(NEXT) | instid1(VALU_DEP_4)
	v_cndmask_b32_e64 v32, v32, v12, s5
	v_cndmask_b32_e64 v12, v12, v34, s5
	s_delay_alu instid0(VALU_DEP_3) | instskip(SKIP_1) | instid1(VALU_DEP_3)
	v_cndmask_b32_e64 v34, v34, v33, s5
	v_cndmask_b32_e64 v10, v33, v10, s5
	v_alignbit_b32 v36, v32, v12, v35
	s_delay_alu instid0(VALU_DEP_3) | instskip(NEXT) | instid1(VALU_DEP_3)
	v_alignbit_b32 v37, v12, v34, v35
	v_alignbit_b32 v35, v34, v10, v35
	s_delay_alu instid0(VALU_DEP_3) | instskip(NEXT) | instid1(VALU_DEP_3)
	v_cndmask_b32_e64 v0, v36, v32, s6
	v_cndmask_b32_e64 v12, v37, v12, s6
	s_delay_alu instid0(VALU_DEP_3) | instskip(NEXT) | instid1(VALU_DEP_3)
	v_cndmask_b32_e64 v34, v35, v34, s6
	v_bfe_u32 v31, v0, 29, 1
	s_delay_alu instid0(VALU_DEP_3) | instskip(NEXT) | instid1(VALU_DEP_3)
	v_alignbit_b32 v11, v0, v12, 30
	v_alignbit_b32 v12, v12, v34, 30
	;; [unrolled: 1-line block ×3, first 2 shown]
	s_delay_alu instid0(VALU_DEP_4) | instskip(NEXT) | instid1(VALU_DEP_1)
	v_sub_nc_u32_e32 v32, 0, v31
	v_xor_b32_e32 v33, v11, v32
	v_cmp_ne_u32_e64 s3, v11, v32
	v_xor_b32_e32 v12, v12, v32
	v_xor_b32_e32 v10, v10, v32
	s_delay_alu instid0(VALU_DEP_4) | instskip(NEXT) | instid1(VALU_DEP_1)
	v_clz_i32_u32_e32 v36, v33
	v_add_nc_u32_e32 v35, 1, v36
	s_delay_alu instid0(VALU_DEP_1) | instskip(NEXT) | instid1(VALU_DEP_1)
	v_cndmask_b32_e64 v11, 33, v35, s3
	v_sub_nc_u32_e32 v34, 32, v11
	s_delay_alu instid0(VALU_DEP_1) | instskip(SKIP_3) | instid1(VALU_DEP_3)
	v_alignbit_b32 v32, v33, v12, v34
	v_alignbit_b32 v10, v12, v10, v34
	v_lshrrev_b32_e32 v12, 29, v0
	v_lshrrev_b32_e32 v0, 30, v0
	v_alignbit_b32 v33, v32, v10, 9
	s_delay_alu instid0(VALU_DEP_3) | instskip(SKIP_1) | instid1(VALU_DEP_3)
	v_lshlrev_b32_e32 v12, 31, v12
	v_alignbit_b32 v32, v11, v32, 9
	v_clz_i32_u32_e32 v34, v33
	s_delay_alu instid0(VALU_DEP_2) | instskip(SKIP_1) | instid1(VALU_DEP_3)
	v_or_b32_e32 v32, v32, v12
	v_or_b32_e32 v12, 0x33800000, v12
	v_min_u32_e32 v34, 32, v34
	s_delay_alu instid0(VALU_DEP_3) | instskip(NEXT) | instid1(VALU_DEP_2)
	v_xor_b32_e32 v32, 1.0, v32
	v_sub_nc_u32_e32 v35, 31, v34
	v_add_lshl_u32 v11, v34, v11, 23
	s_delay_alu instid0(VALU_DEP_3) | instskip(NEXT) | instid1(VALU_DEP_3)
	v_mul_f32_e32 v34, 0x3fc90fda, v32
	v_alignbit_b32 v10, v33, v10, v35
	s_delay_alu instid0(VALU_DEP_3) | instskip(NEXT) | instid1(VALU_DEP_3)
	v_sub_nc_u32_e32 v11, v12, v11
	v_fma_f32 v12, 0x3fc90fda, v32, -v34
	s_delay_alu instid0(VALU_DEP_3) | instskip(NEXT) | instid1(VALU_DEP_2)
	v_lshrrev_b32_e32 v10, 9, v10
	v_fmac_f32_e32 v12, 0x33a22168, v32
	s_delay_alu instid0(VALU_DEP_2) | instskip(NEXT) | instid1(VALU_DEP_1)
	v_or_b32_e32 v10, v11, v10
	v_dual_fmac_f32 v12, 0x3fc90fda, v10 :: v_dual_add_nc_u32 v11, v31, v0
	s_delay_alu instid0(VALU_DEP_1)
	v_add_f32_e32 v10, v34, v12
	s_and_not1_saveexec_b32 s3, s27
	s_branch .LBB133_268
.LBB133_267:                            ;   in Loop: Header=BB133_181 Depth=1
	s_and_not1_saveexec_b32 s3, s27
.LBB133_268:                            ;   in Loop: Header=BB133_181 Depth=1
	v_mul_f32_e64 v0, 0x3f22f983, |v13|
	s_delay_alu instid0(VALU_DEP_1) | instskip(NEXT) | instid1(VALU_DEP_1)
	v_rndne_f32_e32 v0, v0
	v_fma_f32 v10, 0xbfc90fda, v0, |v13|
	v_cvt_i32_f32_e32 v11, v0
	s_delay_alu instid0(VALU_DEP_2) | instskip(NEXT) | instid1(VALU_DEP_1)
	v_fmac_f32_e32 v10, 0xb3a22168, v0
	v_fmac_f32_e32 v10, 0xa7c234c4, v0
; %bb.269:                              ;   in Loop: Header=BB133_181 Depth=1
	s_or_b32 exec_lo, exec_lo, s3
                                        ; implicit-def: $vgpr12
                                        ; implicit-def: $vgpr0
	s_and_saveexec_b32 s3, s26
	s_delay_alu instid0(SALU_CYCLE_1)
	s_xor_b32 s26, exec_lo, s3
	s_cbranch_execz .LBB133_271
; %bb.270:                              ;   in Loop: Header=BB133_181 Depth=1
	v_and_or_b32 v12, v30, s7, 0x800000
	v_lshrrev_b32_e32 v36, 23, v30
	s_delay_alu instid0(VALU_DEP_2) | instskip(NEXT) | instid1(VALU_DEP_2)
	v_mad_u64_u32 v[31:32], null, 0xfe5163ab, v12, 0
	v_add_nc_u32_e32 v37, 0xffffff88, v36
	s_delay_alu instid0(VALU_DEP_1) | instskip(NEXT) | instid1(VALU_DEP_3)
	v_cmp_lt_u32_e64 s3, 63, v37
	v_mov_b32_e32 v0, v32
	s_delay_alu instid0(VALU_DEP_2) | instskip(NEXT) | instid1(VALU_DEP_2)
	v_cndmask_b32_e64 v38, 0, 0xffffffc0, s3
	v_mad_u64_u32 v[32:33], null, 0x3c439041, v12, v[0:1]
	s_delay_alu instid0(VALU_DEP_2) | instskip(NEXT) | instid1(VALU_DEP_1)
	v_add_nc_u32_e32 v38, v38, v37
	v_cmp_lt_u32_e64 s4, 31, v38
	s_delay_alu instid0(VALU_DEP_1) | instskip(NEXT) | instid1(VALU_DEP_1)
	v_cndmask_b32_e64 v39, 0, 0xffffffe0, s4
	v_dual_mov_b32 v0, v33 :: v_dual_add_nc_u32 v39, v39, v38
	s_delay_alu instid0(VALU_DEP_1) | instskip(NEXT) | instid1(VALU_DEP_2)
	v_mad_u64_u32 v[33:34], null, 0xdb629599, v12, v[0:1]
	v_cmp_lt_u32_e64 s5, 31, v39
	s_delay_alu instid0(VALU_DEP_2) | instskip(NEXT) | instid1(VALU_DEP_3)
	v_mov_b32_e32 v0, v34
	v_cndmask_b32_e64 v31, v33, v31, s3
	s_delay_alu instid0(VALU_DEP_2) | instskip(NEXT) | instid1(VALU_DEP_1)
	v_mad_u64_u32 v[34:35], null, 0xf534ddc0, v12, v[0:1]
	v_mov_b32_e32 v0, v35
	s_delay_alu instid0(VALU_DEP_2) | instskip(NEXT) | instid1(VALU_DEP_2)
	v_cndmask_b32_e64 v32, v34, v32, s3
	v_mad_u64_u32 v[35:36], null, 0xfc2757d1, v12, v[0:1]
	s_delay_alu instid0(VALU_DEP_2) | instskip(NEXT) | instid1(VALU_DEP_2)
	v_cndmask_b32_e64 v31, v32, v31, s4
	v_mov_b32_e32 v0, v36
	s_delay_alu instid0(VALU_DEP_1) | instskip(NEXT) | instid1(VALU_DEP_1)
	v_mad_u64_u32 v[36:37], null, 0x4e441529, v12, v[0:1]
	v_mov_b32_e32 v0, v37
	s_delay_alu instid0(VALU_DEP_1) | instskip(SKIP_1) | instid1(VALU_DEP_4)
	v_mad_u64_u32 v[37:38], null, 0xa2f9836e, v12, v[0:1]
	v_cndmask_b32_e64 v0, 0, 0xffffffe0, s5
	v_cndmask_b32_e64 v12, v36, v34, s3
	s_delay_alu instid0(VALU_DEP_2) | instskip(NEXT) | instid1(VALU_DEP_4)
	v_add_nc_u32_e32 v0, v0, v39
	v_cndmask_b32_e64 v37, v37, v35, s3
	v_cndmask_b32_e64 v36, v38, v36, s3
	;; [unrolled: 1-line block ×3, first 2 shown]
	s_delay_alu instid0(VALU_DEP_4) | instskip(NEXT) | instid1(VALU_DEP_4)
	v_cmp_eq_u32_e64 s6, 0, v0
	v_cndmask_b32_e64 v34, v37, v12, s4
	s_delay_alu instid0(VALU_DEP_4) | instskip(NEXT) | instid1(VALU_DEP_4)
	v_cndmask_b32_e64 v36, v36, v37, s4
	v_cndmask_b32_e64 v12, v12, v35, s4
	v_sub_nc_u32_e32 v37, 32, v0
	v_cndmask_b32_e64 v35, v35, v32, s4
	s_delay_alu instid0(VALU_DEP_4) | instskip(NEXT) | instid1(VALU_DEP_4)
	v_cndmask_b32_e64 v36, v36, v34, s5
	v_cndmask_b32_e64 v34, v34, v12, s5
	s_delay_alu instid0(VALU_DEP_3) | instskip(SKIP_1) | instid1(VALU_DEP_3)
	v_cndmask_b32_e64 v12, v12, v35, s5
	v_cndmask_b32_e64 v31, v35, v31, s5
	v_alignbit_b32 v38, v36, v34, v37
	s_delay_alu instid0(VALU_DEP_3) | instskip(NEXT) | instid1(VALU_DEP_3)
	v_alignbit_b32 v39, v34, v12, v37
	v_alignbit_b32 v37, v12, v31, v37
	s_delay_alu instid0(VALU_DEP_3) | instskip(NEXT) | instid1(VALU_DEP_3)
	v_cndmask_b32_e64 v0, v38, v36, s6
	v_cndmask_b32_e64 v33, v39, v34, s6
	s_delay_alu instid0(VALU_DEP_3) | instskip(NEXT) | instid1(VALU_DEP_3)
	v_cndmask_b32_e64 v12, v37, v12, s6
	v_bfe_u32 v34, v0, 29, 1
	s_delay_alu instid0(VALU_DEP_3) | instskip(NEXT) | instid1(VALU_DEP_3)
	v_alignbit_b32 v32, v0, v33, 30
	v_alignbit_b32 v33, v33, v12, 30
	;; [unrolled: 1-line block ×3, first 2 shown]
	s_delay_alu instid0(VALU_DEP_4) | instskip(NEXT) | instid1(VALU_DEP_1)
	v_sub_nc_u32_e32 v36, 0, v34
	v_xor_b32_e32 v35, v32, v36
	v_cmp_ne_u32_e64 s3, v32, v36
	v_xor_b32_e32 v31, v33, v36
	v_xor_b32_e32 v12, v12, v36
	s_delay_alu instid0(VALU_DEP_4) | instskip(NEXT) | instid1(VALU_DEP_1)
	v_clz_i32_u32_e32 v38, v35
	v_add_nc_u32_e32 v37, 1, v38
	s_delay_alu instid0(VALU_DEP_1) | instskip(NEXT) | instid1(VALU_DEP_1)
	v_cndmask_b32_e64 v32, 33, v37, s3
	v_sub_nc_u32_e32 v33, 32, v32
	s_delay_alu instid0(VALU_DEP_1) | instskip(SKIP_2) | instid1(VALU_DEP_2)
	v_alignbit_b32 v35, v35, v31, v33
	v_alignbit_b32 v12, v31, v12, v33
	v_lshrrev_b32_e32 v31, 29, v0
	v_alignbit_b32 v33, v35, v12, 9
	s_delay_alu instid0(VALU_DEP_2) | instskip(SKIP_1) | instid1(VALU_DEP_3)
	v_lshlrev_b32_e32 v31, 31, v31
	v_alignbit_b32 v35, v32, v35, 9
	v_clz_i32_u32_e32 v36, v33
	s_delay_alu instid0(VALU_DEP_2) | instskip(SKIP_1) | instid1(VALU_DEP_3)
	v_or_b32_e32 v35, v35, v31
	v_or_b32_e32 v31, 0x33800000, v31
	v_min_u32_e32 v36, 32, v36
	s_delay_alu instid0(VALU_DEP_3) | instskip(NEXT) | instid1(VALU_DEP_2)
	v_xor_b32_e32 v35, 1.0, v35
	v_sub_nc_u32_e32 v37, 31, v36
	v_add_lshl_u32 v32, v36, v32, 23
	s_delay_alu instid0(VALU_DEP_3) | instskip(NEXT) | instid1(VALU_DEP_3)
	v_mul_f32_e32 v36, 0x3fc90fda, v35
	v_alignbit_b32 v12, v33, v12, v37
	s_delay_alu instid0(VALU_DEP_3) | instskip(NEXT) | instid1(VALU_DEP_3)
	v_sub_nc_u32_e32 v31, v31, v32
	v_fma_f32 v32, 0x3fc90fda, v35, -v36
	s_delay_alu instid0(VALU_DEP_3) | instskip(NEXT) | instid1(VALU_DEP_2)
	v_lshrrev_b32_e32 v12, 9, v12
	v_fmac_f32_e32 v32, 0x33a22168, v35
	s_delay_alu instid0(VALU_DEP_2) | instskip(NEXT) | instid1(VALU_DEP_1)
	v_or_b32_e32 v12, v31, v12
	v_fmac_f32_e32 v32, 0x3fc90fda, v12
	v_lshrrev_b32_e32 v12, 30, v0
	s_delay_alu instid0(VALU_DEP_2) | instskip(NEXT) | instid1(VALU_DEP_2)
	v_add_f32_e32 v0, v36, v32
	v_add_nc_u32_e32 v12, v34, v12
	s_and_not1_saveexec_b32 s3, s26
	s_cbranch_execnz .LBB133_272
	s_branch .LBB133_273
.LBB133_271:                            ;   in Loop: Header=BB133_181 Depth=1
	s_and_not1_saveexec_b32 s3, s26
.LBB133_272:                            ;   in Loop: Header=BB133_181 Depth=1
	v_mul_f32_e64 v0, 0x3f22f983, |v13|
	s_delay_alu instid0(VALU_DEP_1) | instskip(NEXT) | instid1(VALU_DEP_1)
	v_rndne_f32_e32 v12, v0
	v_fma_f32 v0, 0xbfc90fda, v12, |v13|
	s_delay_alu instid0(VALU_DEP_1) | instskip(NEXT) | instid1(VALU_DEP_1)
	v_fmac_f32_e32 v0, 0xb3a22168, v12
	v_fmac_f32_e32 v0, 0xa7c234c4, v12
	v_cvt_i32_f32_e32 v12, v12
.LBB133_273:                            ;   in Loop: Header=BB133_181 Depth=1
	s_or_b32 exec_lo, exec_lo, s3
	s_delay_alu instid0(VALU_DEP_2) | instskip(SKIP_1) | instid1(VALU_DEP_3)
	v_dual_mul_f32 v31, v10, v10 :: v_dual_mul_f32 v32, v0, v0
	v_and_b32_e32 v33, 1, v11
	v_and_b32_e32 v38, 1, v12
	v_lshlrev_b32_e32 v12, 30, v12
	s_delay_alu instid0(VALU_DEP_4)
	v_fmaak_f32 v34, s22, v31, 0x3c0881c4
	v_fmaak_f32 v36, s22, v32, 0x3c0881c4
	;; [unrolled: 1-line block ×3, first 2 shown]
	v_lshlrev_b32_e32 v11, 30, v11
	v_cmp_eq_u32_e64 s3, 0, v33
	v_fmaak_f32 v34, v31, v34, 0xbe2aaa9d
	v_fmaak_f32 v37, s23, v32, 0xbab64f3b
	;; [unrolled: 1-line block ×4, first 2 shown]
	v_and_or_b32 v12, 0x80000000, v12, v30
	s_delay_alu instid0(VALU_DEP_4) | instskip(NEXT) | instid1(VALU_DEP_3)
	v_dual_mul_f32 v34, v31, v34 :: v_dual_fmaak_f32 v37, v32, v37, 0x3d2aabf7
	v_dual_fmaak_f32 v35, v31, v35, 0xbf000004 :: v_dual_mul_f32 v36, v32, v36
	s_delay_alu instid0(VALU_DEP_2) | instskip(NEXT) | instid1(VALU_DEP_3)
	v_dual_fmac_f32 v10, v10, v34 :: v_dual_and_b32 v11, 0x80000000, v11
	v_fmaak_f32 v37, v32, v37, 0xbf000004
	s_delay_alu instid0(VALU_DEP_3) | instskip(NEXT) | instid1(VALU_DEP_4)
	v_fma_f32 v31, v31, v35, 1.0
	v_fmac_f32_e32 v0, v0, v36
	s_delay_alu instid0(VALU_DEP_3) | instskip(NEXT) | instid1(VALU_DEP_3)
	v_fma_f32 v32, v32, v37, 1.0
	v_cndmask_b32_e64 v10, -v10, v31, s3
	v_cmp_eq_u32_e64 s3, 0, v38
	s_delay_alu instid0(VALU_DEP_2) | instskip(NEXT) | instid1(VALU_DEP_2)
	v_xor_b32_e32 v10, v11, v10
	v_cndmask_b32_e64 v0, v32, v0, s3
	v_cmp_class_f32_e64 s3, v13, 0x1f8
	s_delay_alu instid0(VALU_DEP_2) | instskip(NEXT) | instid1(VALU_DEP_2)
	v_xor3_b32 v0, v12, v0, v13
	v_cndmask_b32_e64 v10, 0x7fc00000, v10, s3
	s_delay_alu instid0(VALU_DEP_2)
	v_cndmask_b32_e64 v11, 0x7fc00000, v0, s3
.LBB133_274:                            ;   in Loop: Header=BB133_181 Depth=1
	s_or_b32 exec_lo, exec_lo, s25
                                        ; implicit-def: $vgpr12
.LBB133_275:                            ;   in Loop: Header=BB133_181 Depth=1
	s_and_not1_saveexec_b32 s4, s13
	s_cbranch_execz .LBB133_277
; %bb.276:                              ;   in Loop: Header=BB133_181 Depth=1
	v_mul_f32_e32 v0, 0x3fb8aa3b, v12
	v_cmp_ngt_f32_e64 s3, 0xc2ce8ed0, v12
	s_delay_alu instid0(VALU_DEP_2) | instskip(SKIP_1) | instid1(VALU_DEP_1)
	v_rndne_f32_e32 v10, v0
	v_fma_f32 v11, 0x3fb8aa3b, v12, -v0
	v_dual_sub_f32 v0, v0, v10 :: v_dual_fmac_f32 v11, 0x32a5705f, v12
	v_cvt_i32_f32_e32 v10, v10
	s_delay_alu instid0(VALU_DEP_2) | instskip(NEXT) | instid1(VALU_DEP_1)
	v_dual_add_f32 v0, v0, v11 :: v_dual_mov_b32 v11, v13
	v_exp_f32_e32 v0, v0
	s_waitcnt_depctr 0xfff
	v_ldexp_f32 v0, v0, v10
	s_delay_alu instid0(VALU_DEP_1) | instskip(SKIP_1) | instid1(VALU_DEP_1)
	v_cndmask_b32_e64 v0, 0, v0, s3
	v_cmp_nlt_f32_e64 s3, 0x42b17218, v12
	v_cndmask_b32_e64 v10, 0x7f800000, v0, s3
.LBB133_277:                            ;   in Loop: Header=BB133_181 Depth=1
	s_or_b32 exec_lo, exec_lo, s4
	v_and_b32_e32 v30, 0x7fffffff, v9
                                        ; implicit-def: $vgpr13
	s_mov_b32 s4, exec_lo
	s_delay_alu instid0(VALU_DEP_1)
	v_cmpx_ne_u32_e32 0, v30
	s_xor_b32 s13, exec_lo, s4
	s_cbranch_execz .LBB133_319
; %bb.278:                              ;   in Loop: Header=BB133_181 Depth=1
	v_and_b32_e32 v0, 0x7fffffff, v8
                                        ; implicit-def: $vgpr13
	s_mov_b32 s4, exec_lo
	s_delay_alu instid0(VALU_DEP_1)
	v_cmpx_ne_u32_e32 0, v0
	s_xor_b32 s25, exec_lo, s4
	s_cbranch_execz .LBB133_308
; %bb.279:                              ;   in Loop: Header=BB133_181 Depth=1
                                        ; implicit-def: $vgpr13
	s_mov_b32 s4, exec_lo
	v_cmpx_gt_u32_e32 0x7f800000, v30
	s_xor_b32 s26, exec_lo, s4
	s_cbranch_execz .LBB133_301
; %bb.280:                              ;   in Loop: Header=BB133_181 Depth=1
	v_add_nc_u32_e32 v0, 0xbd4e8de8, v8
                                        ; implicit-def: $vgpr13
	s_mov_b32 s4, exec_lo
	s_delay_alu instid0(VALU_DEP_1)
	v_cmpx_lt_u32_e32 0x8e8e5c, v0
	s_xor_b32 s27, exec_lo, s4
	s_cbranch_execz .LBB133_290
; %bb.281:                              ;   in Loop: Header=BB133_181 Depth=1
	v_cmp_ngt_f32_e64 s28, 0x48000000, |v9|
                                        ; implicit-def: $vgpr13
                                        ; implicit-def: $vgpr12
	s_delay_alu instid0(VALU_DEP_1) | instskip(NEXT) | instid1(SALU_CYCLE_1)
	s_and_saveexec_b32 s3, s28
	s_xor_b32 s29, exec_lo, s3
	s_cbranch_execz .LBB133_283
; %bb.282:                              ;   in Loop: Header=BB133_181 Depth=1
	v_and_or_b32 v38, v30, s7, 0x800000
	s_delay_alu instid0(VALU_DEP_1) | instskip(NEXT) | instid1(VALU_DEP_1)
	v_mad_u64_u32 v[12:13], null, 0xfe5163ab, v38, 0
	v_mov_b32_e32 v0, v13
	v_lshrrev_b32_e32 v13, 23, v30
	s_delay_alu instid0(VALU_DEP_1) | instskip(NEXT) | instid1(VALU_DEP_3)
	v_add_nc_u32_e32 v13, 0xffffff88, v13
	v_mad_u64_u32 v[31:32], null, 0x3c439041, v38, v[0:1]
	s_delay_alu instid0(VALU_DEP_2) | instskip(NEXT) | instid1(VALU_DEP_1)
	v_cmp_lt_u32_e64 s3, 63, v13
	v_cndmask_b32_e64 v36, 0, 0xffffffc0, s3
	s_delay_alu instid0(VALU_DEP_1) | instskip(NEXT) | instid1(VALU_DEP_1)
	v_add_nc_u32_e32 v13, v36, v13
	v_cmp_lt_u32_e64 s4, 31, v13
	s_delay_alu instid0(VALU_DEP_1) | instskip(NEXT) | instid1(VALU_DEP_1)
	v_cndmask_b32_e64 v37, 0, 0xffffffe0, s4
	v_dual_mov_b32 v0, v32 :: v_dual_add_nc_u32 v13, v37, v13
	s_delay_alu instid0(VALU_DEP_1) | instskip(NEXT) | instid1(VALU_DEP_2)
	v_mad_u64_u32 v[32:33], null, 0xdb629599, v38, v[0:1]
	v_cmp_lt_u32_e64 s5, 31, v13
	s_delay_alu instid0(VALU_DEP_2) | instskip(NEXT) | instid1(VALU_DEP_3)
	v_mov_b32_e32 v0, v33
	v_cndmask_b32_e64 v12, v32, v12, s3
	s_delay_alu instid0(VALU_DEP_2) | instskip(NEXT) | instid1(VALU_DEP_1)
	v_mad_u64_u32 v[33:34], null, 0xf534ddc0, v38, v[0:1]
	v_mov_b32_e32 v0, v34
	s_delay_alu instid0(VALU_DEP_1) | instskip(NEXT) | instid1(VALU_DEP_1)
	v_mad_u64_u32 v[34:35], null, 0xfc2757d1, v38, v[0:1]
	v_mov_b32_e32 v0, v35
	s_delay_alu instid0(VALU_DEP_1) | instskip(NEXT) | instid1(VALU_DEP_1)
	v_mad_u64_u32 v[35:36], null, 0x4e441529, v38, v[0:1]
	v_mov_b32_e32 v0, v36
	s_delay_alu instid0(VALU_DEP_1) | instskip(SKIP_1) | instid1(VALU_DEP_4)
	v_mad_u64_u32 v[36:37], null, 0xa2f9836e, v38, v[0:1]
	v_cndmask_b32_e64 v0, 0, 0xffffffe0, s5
	v_cndmask_b32_e64 v38, v35, v33, s3
	s_delay_alu instid0(VALU_DEP_2) | instskip(NEXT) | instid1(VALU_DEP_4)
	v_add_nc_u32_e32 v0, v0, v13
	v_cndmask_b32_e64 v36, v36, v34, s3
	v_cndmask_b32_e64 v35, v37, v35, s3
	;; [unrolled: 1-line block ×4, first 2 shown]
	v_cmp_eq_u32_e64 s6, 0, v0
	v_cndmask_b32_e64 v31, v36, v38, s4
	v_cndmask_b32_e64 v33, v35, v36, s4
	v_cndmask_b32_e64 v35, v38, v34, s4
	v_sub_nc_u32_e32 v36, 32, v0
	v_cndmask_b32_e64 v34, v34, v13, s4
	v_cndmask_b32_e64 v12, v13, v12, s4
	v_cndmask_b32_e64 v33, v33, v31, s5
	v_cndmask_b32_e64 v31, v31, v35, s5
	s_delay_alu instid0(VALU_DEP_4) | instskip(NEXT) | instid1(VALU_DEP_4)
	v_cndmask_b32_e64 v35, v35, v34, s5
	v_cndmask_b32_e64 v12, v34, v12, s5
	s_delay_alu instid0(VALU_DEP_3) | instskip(NEXT) | instid1(VALU_DEP_3)
	v_alignbit_b32 v37, v33, v31, v36
	v_alignbit_b32 v38, v31, v35, v36
	s_delay_alu instid0(VALU_DEP_3) | instskip(NEXT) | instid1(VALU_DEP_3)
	v_alignbit_b32 v36, v35, v12, v36
	v_cndmask_b32_e64 v0, v37, v33, s6
	s_delay_alu instid0(VALU_DEP_3) | instskip(NEXT) | instid1(VALU_DEP_3)
	v_cndmask_b32_e64 v31, v38, v31, s6
	v_cndmask_b32_e64 v35, v36, v35, s6
	s_delay_alu instid0(VALU_DEP_3) | instskip(NEXT) | instid1(VALU_DEP_3)
	v_bfe_u32 v32, v0, 29, 1
	v_alignbit_b32 v13, v0, v31, 30
	s_delay_alu instid0(VALU_DEP_3) | instskip(SKIP_1) | instid1(VALU_DEP_4)
	v_alignbit_b32 v31, v31, v35, 30
	v_alignbit_b32 v12, v35, v12, 30
	v_sub_nc_u32_e32 v33, 0, v32
	s_delay_alu instid0(VALU_DEP_1) | instskip(SKIP_3) | instid1(VALU_DEP_4)
	v_xor_b32_e32 v34, v13, v33
	v_cmp_ne_u32_e64 s3, v13, v33
	v_xor_b32_e32 v31, v31, v33
	v_xor_b32_e32 v12, v12, v33
	v_clz_i32_u32_e32 v37, v34
	s_delay_alu instid0(VALU_DEP_1) | instskip(NEXT) | instid1(VALU_DEP_1)
	v_add_nc_u32_e32 v36, 1, v37
	v_cndmask_b32_e64 v13, 33, v36, s3
	s_delay_alu instid0(VALU_DEP_1) | instskip(NEXT) | instid1(VALU_DEP_1)
	v_sub_nc_u32_e32 v35, 32, v13
	v_alignbit_b32 v33, v34, v31, v35
	v_alignbit_b32 v12, v31, v12, v35
	v_lshrrev_b32_e32 v31, 29, v0
	v_lshrrev_b32_e32 v0, 30, v0
	s_delay_alu instid0(VALU_DEP_3) | instskip(NEXT) | instid1(VALU_DEP_3)
	v_alignbit_b32 v34, v33, v12, 9
	v_lshlrev_b32_e32 v31, 31, v31
	v_alignbit_b32 v33, v13, v33, 9
	s_delay_alu instid0(VALU_DEP_3) | instskip(NEXT) | instid1(VALU_DEP_2)
	v_clz_i32_u32_e32 v35, v34
	v_or_b32_e32 v33, v33, v31
	v_or_b32_e32 v31, 0x33800000, v31
	s_delay_alu instid0(VALU_DEP_3) | instskip(NEXT) | instid1(VALU_DEP_3)
	v_min_u32_e32 v35, 32, v35
	v_xor_b32_e32 v33, 1.0, v33
	s_delay_alu instid0(VALU_DEP_2) | instskip(SKIP_1) | instid1(VALU_DEP_3)
	v_sub_nc_u32_e32 v36, 31, v35
	v_add_lshl_u32 v13, v35, v13, 23
	v_mul_f32_e32 v35, 0x3fc90fda, v33
	s_delay_alu instid0(VALU_DEP_3) | instskip(NEXT) | instid1(VALU_DEP_3)
	v_alignbit_b32 v12, v34, v12, v36
	v_sub_nc_u32_e32 v13, v31, v13
	s_delay_alu instid0(VALU_DEP_3) | instskip(NEXT) | instid1(VALU_DEP_3)
	v_fma_f32 v31, 0x3fc90fda, v33, -v35
	v_lshrrev_b32_e32 v12, 9, v12
	s_delay_alu instid0(VALU_DEP_2) | instskip(NEXT) | instid1(VALU_DEP_2)
	v_fmac_f32_e32 v31, 0x33a22168, v33
	v_or_b32_e32 v12, v13, v12
	v_add_nc_u32_e32 v13, v32, v0
	s_delay_alu instid0(VALU_DEP_2) | instskip(NEXT) | instid1(VALU_DEP_1)
	v_fmac_f32_e32 v31, 0x3fc90fda, v12
	v_add_f32_e32 v12, v35, v31
	s_and_not1_saveexec_b32 s3, s29
	s_branch .LBB133_284
.LBB133_283:                            ;   in Loop: Header=BB133_181 Depth=1
	s_and_not1_saveexec_b32 s3, s29
.LBB133_284:                            ;   in Loop: Header=BB133_181 Depth=1
	v_mul_f32_e64 v0, 0x3f22f983, |v9|
	s_delay_alu instid0(VALU_DEP_1) | instskip(NEXT) | instid1(VALU_DEP_1)
	v_rndne_f32_e32 v0, v0
	v_fma_f32 v12, 0xbfc90fda, v0, |v9|
	v_cvt_i32_f32_e32 v13, v0
	s_delay_alu instid0(VALU_DEP_2) | instskip(NEXT) | instid1(VALU_DEP_1)
	v_fmac_f32_e32 v12, 0xb3a22168, v0
	v_fmac_f32_e32 v12, 0xa7c234c4, v0
; %bb.285:                              ;   in Loop: Header=BB133_181 Depth=1
	s_or_b32 exec_lo, exec_lo, s3
                                        ; implicit-def: $vgpr31
                                        ; implicit-def: $vgpr0
	s_and_saveexec_b32 s3, s28
	s_delay_alu instid0(SALU_CYCLE_1)
	s_xor_b32 s28, exec_lo, s3
	s_cbranch_execz .LBB133_287
; %bb.286:                              ;   in Loop: Header=BB133_181 Depth=1
	v_and_or_b32 v39, v30, s7, 0x800000
	v_lshrrev_b32_e32 v36, 23, v30
	s_delay_alu instid0(VALU_DEP_2) | instskip(NEXT) | instid1(VALU_DEP_2)
	v_mad_u64_u32 v[31:32], null, 0xfe5163ab, v39, 0
	v_add_nc_u32_e32 v37, 0xffffff88, v36
	s_delay_alu instid0(VALU_DEP_1) | instskip(NEXT) | instid1(VALU_DEP_3)
	v_cmp_lt_u32_e64 s3, 63, v37
	v_mov_b32_e32 v0, v32
	s_delay_alu instid0(VALU_DEP_2) | instskip(NEXT) | instid1(VALU_DEP_2)
	v_cndmask_b32_e64 v38, 0, 0xffffffc0, s3
	v_mad_u64_u32 v[32:33], null, 0x3c439041, v39, v[0:1]
	s_delay_alu instid0(VALU_DEP_2) | instskip(NEXT) | instid1(VALU_DEP_2)
	v_add_nc_u32_e32 v38, v38, v37
	v_mov_b32_e32 v0, v33
	s_delay_alu instid0(VALU_DEP_2) | instskip(NEXT) | instid1(VALU_DEP_2)
	v_cmp_lt_u32_e64 s4, 31, v38
	v_mad_u64_u32 v[33:34], null, 0xdb629599, v39, v[0:1]
	s_delay_alu instid0(VALU_DEP_2) | instskip(NEXT) | instid1(VALU_DEP_1)
	v_cndmask_b32_e64 v40, 0, 0xffffffe0, s4
	v_add_nc_u32_e32 v40, v40, v38
	s_delay_alu instid0(VALU_DEP_3) | instskip(NEXT) | instid1(VALU_DEP_4)
	v_mov_b32_e32 v0, v34
	v_cndmask_b32_e64 v31, v33, v31, s3
	s_delay_alu instid0(VALU_DEP_3) | instskip(NEXT) | instid1(VALU_DEP_3)
	v_cmp_lt_u32_e64 s5, 31, v40
	v_mad_u64_u32 v[34:35], null, 0xf534ddc0, v39, v[0:1]
	s_delay_alu instid0(VALU_DEP_1) | instskip(NEXT) | instid1(VALU_DEP_2)
	v_mov_b32_e32 v0, v35
	v_cndmask_b32_e64 v32, v34, v32, s3
	s_delay_alu instid0(VALU_DEP_2) | instskip(NEXT) | instid1(VALU_DEP_2)
	v_mad_u64_u32 v[35:36], null, 0xfc2757d1, v39, v[0:1]
	v_cndmask_b32_e64 v31, v32, v31, s4
	s_delay_alu instid0(VALU_DEP_2) | instskip(NEXT) | instid1(VALU_DEP_1)
	v_mov_b32_e32 v0, v36
	v_mad_u64_u32 v[36:37], null, 0x4e441529, v39, v[0:1]
	s_delay_alu instid0(VALU_DEP_1) | instskip(NEXT) | instid1(VALU_DEP_1)
	v_mov_b32_e32 v0, v37
	v_mad_u64_u32 v[37:38], null, 0xa2f9836e, v39, v[0:1]
	v_cndmask_b32_e64 v0, 0, 0xffffffe0, s5
	s_delay_alu instid0(VALU_DEP_4) | instskip(NEXT) | instid1(VALU_DEP_2)
	v_cndmask_b32_e64 v39, v36, v34, s3
	v_add_nc_u32_e32 v0, v0, v40
	s_delay_alu instid0(VALU_DEP_4) | instskip(SKIP_2) | instid1(VALU_DEP_4)
	v_cndmask_b32_e64 v37, v37, v35, s3
	v_cndmask_b32_e64 v36, v38, v36, s3
	;; [unrolled: 1-line block ×3, first 2 shown]
	v_sub_nc_u32_e32 v38, 32, v0
	s_delay_alu instid0(VALU_DEP_4) | instskip(NEXT) | instid1(VALU_DEP_4)
	v_cndmask_b32_e64 v34, v37, v39, s4
	v_cndmask_b32_e64 v36, v36, v37, s4
	s_delay_alu instid0(VALU_DEP_4) | instskip(SKIP_2) | instid1(VALU_DEP_4)
	v_cndmask_b32_e64 v37, v39, v35, s4
	v_cndmask_b32_e64 v35, v35, v32, s4
	v_cmp_eq_u32_e64 s6, 0, v0
	v_cndmask_b32_e64 v36, v36, v34, s5
	s_delay_alu instid0(VALU_DEP_4) | instskip(NEXT) | instid1(VALU_DEP_4)
	v_cndmask_b32_e64 v34, v34, v37, s5
	v_cndmask_b32_e64 v37, v37, v35, s5
	;; [unrolled: 1-line block ×3, first 2 shown]
	s_delay_alu instid0(VALU_DEP_3) | instskip(NEXT) | instid1(VALU_DEP_3)
	v_alignbit_b32 v39, v36, v34, v38
	v_alignbit_b32 v40, v34, v37, v38
	s_delay_alu instid0(VALU_DEP_3) | instskip(NEXT) | instid1(VALU_DEP_3)
	v_alignbit_b32 v38, v37, v31, v38
	v_cndmask_b32_e64 v0, v39, v36, s6
	s_delay_alu instid0(VALU_DEP_3) | instskip(NEXT) | instid1(VALU_DEP_3)
	v_cndmask_b32_e64 v33, v40, v34, s6
	v_cndmask_b32_e64 v37, v38, v37, s6
	s_delay_alu instid0(VALU_DEP_3) | instskip(NEXT) | instid1(VALU_DEP_3)
	v_bfe_u32 v34, v0, 29, 1
	v_alignbit_b32 v32, v0, v33, 30
	s_delay_alu instid0(VALU_DEP_3) | instskip(SKIP_1) | instid1(VALU_DEP_4)
	v_alignbit_b32 v33, v33, v37, 30
	v_alignbit_b32 v31, v37, v31, 30
	v_sub_nc_u32_e32 v36, 0, v34
	s_delay_alu instid0(VALU_DEP_1) | instskip(SKIP_3) | instid1(VALU_DEP_4)
	v_xor_b32_e32 v35, v32, v36
	v_cmp_ne_u32_e64 s3, v32, v36
	v_xor_b32_e32 v33, v33, v36
	v_xor_b32_e32 v31, v31, v36
	v_clz_i32_u32_e32 v39, v35
	s_delay_alu instid0(VALU_DEP_1) | instskip(NEXT) | instid1(VALU_DEP_1)
	v_add_nc_u32_e32 v38, 1, v39
	v_cndmask_b32_e64 v32, 33, v38, s3
	s_delay_alu instid0(VALU_DEP_1) | instskip(NEXT) | instid1(VALU_DEP_1)
	v_sub_nc_u32_e32 v37, 32, v32
	v_alignbit_b32 v35, v35, v33, v37
	v_alignbit_b32 v31, v33, v31, v37
	v_lshrrev_b32_e32 v33, 29, v0
	s_delay_alu instid0(VALU_DEP_2) | instskip(NEXT) | instid1(VALU_DEP_2)
	v_alignbit_b32 v36, v35, v31, 9
	v_lshlrev_b32_e32 v33, 31, v33
	v_alignbit_b32 v35, v32, v35, 9
	s_delay_alu instid0(VALU_DEP_3) | instskip(NEXT) | instid1(VALU_DEP_2)
	v_clz_i32_u32_e32 v37, v36
	v_or_b32_e32 v35, v35, v33
	v_or_b32_e32 v33, 0x33800000, v33
	s_delay_alu instid0(VALU_DEP_3) | instskip(NEXT) | instid1(VALU_DEP_3)
	v_min_u32_e32 v37, 32, v37
	v_xor_b32_e32 v35, 1.0, v35
	s_delay_alu instid0(VALU_DEP_2) | instskip(SKIP_1) | instid1(VALU_DEP_3)
	v_sub_nc_u32_e32 v38, 31, v37
	v_add_lshl_u32 v32, v37, v32, 23
	v_mul_f32_e32 v37, 0x3fc90fda, v35
	s_delay_alu instid0(VALU_DEP_3) | instskip(NEXT) | instid1(VALU_DEP_3)
	v_alignbit_b32 v31, v36, v31, v38
	v_sub_nc_u32_e32 v32, v33, v32
	s_delay_alu instid0(VALU_DEP_3) | instskip(NEXT) | instid1(VALU_DEP_3)
	v_fma_f32 v33, 0x3fc90fda, v35, -v37
	v_lshrrev_b32_e32 v31, 9, v31
	s_delay_alu instid0(VALU_DEP_2) | instskip(NEXT) | instid1(VALU_DEP_2)
	v_fmac_f32_e32 v33, 0x33a22168, v35
	v_or_b32_e32 v31, v32, v31
	s_delay_alu instid0(VALU_DEP_1) | instskip(SKIP_1) | instid1(VALU_DEP_1)
	v_fmac_f32_e32 v33, 0x3fc90fda, v31
	v_lshrrev_b32_e32 v31, 30, v0
	v_dual_add_f32 v0, v37, v33 :: v_dual_add_nc_u32 v31, v34, v31
	s_and_not1_saveexec_b32 s3, s28
	s_cbranch_execnz .LBB133_288
	s_branch .LBB133_289
.LBB133_287:                            ;   in Loop: Header=BB133_181 Depth=1
	s_and_not1_saveexec_b32 s3, s28
.LBB133_288:                            ;   in Loop: Header=BB133_181 Depth=1
	v_mul_f32_e64 v0, 0x3f22f983, |v9|
	s_delay_alu instid0(VALU_DEP_1) | instskip(NEXT) | instid1(VALU_DEP_1)
	v_rndne_f32_e32 v31, v0
	v_fma_f32 v0, 0xbfc90fda, v31, |v9|
	s_delay_alu instid0(VALU_DEP_1) | instskip(NEXT) | instid1(VALU_DEP_1)
	v_fmac_f32_e32 v0, 0xb3a22168, v31
	v_fmac_f32_e32 v0, 0xa7c234c4, v31
	v_cvt_i32_f32_e32 v31, v31
.LBB133_289:                            ;   in Loop: Header=BB133_181 Depth=1
	s_or_b32 exec_lo, exec_lo, s3
	v_mul_f32_e32 v32, 0x3fb8aa3b, v8
	v_dual_mul_f32 v33, v12, v12 :: v_dual_and_b32 v34, 1, v13
	v_lshlrev_b32_e32 v13, 30, v13
	v_dual_mul_f32 v37, v0, v0 :: v_dual_and_b32 v38, 1, v31
	s_delay_alu instid0(VALU_DEP_4) | instskip(SKIP_2) | instid1(VALU_DEP_3)
	v_rndne_f32_e32 v35, v32
	v_fma_f32 v36, 0x3fb8aa3b, v8, -v32
	v_dual_fmaak_f32 v40, s23, v33, 0xbab64f3b :: v_dual_lshlrev_b32 v31, 30, v31
	v_dual_fmaak_f32 v39, s22, v33, 0x3c0881c4 :: v_dual_sub_f32 v32, v32, v35
	s_delay_alu instid0(VALU_DEP_3)
	v_fmac_f32_e32 v36, 0x32a5705f, v8
	v_fmaak_f32 v41, s22, v37, 0x3c0881c4
	v_fmaak_f32 v42, s23, v37, 0xbab64f3b
	v_cmp_eq_u32_e64 s3, 0, v34
	v_cvt_i32_f32_e32 v35, v35
	v_add_f32_e32 v32, v32, v36
	v_fmaak_f32 v36, v33, v39, 0xbe2aaa9d
	v_fmaak_f32 v39, v33, v40, 0x3d2aabf7
	;; [unrolled: 1-line block ×3, first 2 shown]
	v_and_b32_e32 v13, 0x80000000, v13
	v_exp_f32_e32 v32, v32
	v_mul_f32_e32 v36, v33, v36
	v_fmaak_f32 v41, v37, v42, 0x3d2aabf7
	v_mul_f32_e32 v40, v37, v40
	v_fmaak_f32 v39, v33, v39, 0xbf000004
	v_and_or_b32 v30, 0x80000000, v31, v30
	s_delay_alu instid0(VALU_DEP_4) | instskip(NEXT) | instid1(VALU_DEP_4)
	v_dual_fmac_f32 v12, v12, v36 :: v_dual_fmaak_f32 v41, v37, v41, 0xbf000004
	v_fmac_f32_e32 v0, v0, v40
	s_delay_alu instid0(VALU_DEP_4) | instskip(NEXT) | instid1(TRANS32_DEP_1)
	v_fma_f32 v33, v33, v39, 1.0
	v_ldexp_f32 v32, v32, v35
	v_cmp_nlt_f32_e64 s4, 0x42b17218, v8
	v_fma_f32 v36, v37, v41, 1.0
	s_delay_alu instid0(VALU_DEP_4) | instskip(SKIP_1) | instid1(VALU_DEP_2)
	v_cndmask_b32_e64 v12, -v12, v33, s3
	v_cmp_eq_u32_e64 s3, 0, v38
	v_xor_b32_e32 v12, v13, v12
	s_delay_alu instid0(VALU_DEP_2) | instskip(SKIP_1) | instid1(VALU_DEP_2)
	v_cndmask_b32_e64 v0, v36, v0, s3
	v_cmp_ngt_f32_e64 s3, 0xc2ce8ed0, v8
	v_xor3_b32 v0, v30, v0, v9
	s_delay_alu instid0(VALU_DEP_2) | instskip(SKIP_1) | instid1(VALU_DEP_2)
	v_cndmask_b32_e64 v31, 0, v32, s3
	v_cmp_class_f32_e64 s3, v9, 0x1f8
                                        ; implicit-def: $vgpr30
	v_cndmask_b32_e64 v8, 0x7f800000, v31, s4
	s_delay_alu instid0(VALU_DEP_2) | instskip(SKIP_1) | instid1(VALU_DEP_2)
	v_cndmask_b32_e64 v9, 0x7fc00000, v12, s3
	v_cndmask_b32_e64 v0, 0x7fc00000, v0, s3
	v_mul_f32_e32 v12, v8, v9
	s_delay_alu instid0(VALU_DEP_2)
	v_mul_f32_e32 v13, v8, v0
                                        ; implicit-def: $vgpr9
.LBB133_290:                            ;   in Loop: Header=BB133_181 Depth=1
	s_and_not1_saveexec_b32 s27, s27
	s_cbranch_execz .LBB133_300
; %bb.291:                              ;   in Loop: Header=BB133_181 Depth=1
	v_cmp_ngt_f32_e64 s28, 0x48000000, |v9|
                                        ; implicit-def: $vgpr13
                                        ; implicit-def: $vgpr12
	s_delay_alu instid0(VALU_DEP_1) | instskip(NEXT) | instid1(SALU_CYCLE_1)
	s_and_saveexec_b32 s3, s28
	s_xor_b32 s29, exec_lo, s3
	s_cbranch_execz .LBB133_293
; %bb.292:                              ;   in Loop: Header=BB133_181 Depth=1
	v_and_or_b32 v38, v30, s7, 0x800000
	s_delay_alu instid0(VALU_DEP_1) | instskip(NEXT) | instid1(VALU_DEP_1)
	v_mad_u64_u32 v[12:13], null, 0xfe5163ab, v38, 0
	v_mov_b32_e32 v0, v13
	v_lshrrev_b32_e32 v13, 23, v30
	s_delay_alu instid0(VALU_DEP_1) | instskip(NEXT) | instid1(VALU_DEP_3)
	v_add_nc_u32_e32 v13, 0xffffff88, v13
	v_mad_u64_u32 v[31:32], null, 0x3c439041, v38, v[0:1]
	s_delay_alu instid0(VALU_DEP_2) | instskip(NEXT) | instid1(VALU_DEP_1)
	v_cmp_lt_u32_e64 s3, 63, v13
	v_cndmask_b32_e64 v36, 0, 0xffffffc0, s3
	s_delay_alu instid0(VALU_DEP_1) | instskip(NEXT) | instid1(VALU_DEP_1)
	v_add_nc_u32_e32 v13, v36, v13
	v_cmp_lt_u32_e64 s4, 31, v13
	s_delay_alu instid0(VALU_DEP_1) | instskip(NEXT) | instid1(VALU_DEP_1)
	v_cndmask_b32_e64 v37, 0, 0xffffffe0, s4
	v_dual_mov_b32 v0, v32 :: v_dual_add_nc_u32 v13, v37, v13
	s_delay_alu instid0(VALU_DEP_1) | instskip(NEXT) | instid1(VALU_DEP_2)
	v_mad_u64_u32 v[32:33], null, 0xdb629599, v38, v[0:1]
	v_cmp_lt_u32_e64 s5, 31, v13
	s_delay_alu instid0(VALU_DEP_2) | instskip(NEXT) | instid1(VALU_DEP_3)
	v_mov_b32_e32 v0, v33
	v_cndmask_b32_e64 v12, v32, v12, s3
	s_delay_alu instid0(VALU_DEP_2) | instskip(NEXT) | instid1(VALU_DEP_1)
	v_mad_u64_u32 v[33:34], null, 0xf534ddc0, v38, v[0:1]
	v_mov_b32_e32 v0, v34
	s_delay_alu instid0(VALU_DEP_1) | instskip(NEXT) | instid1(VALU_DEP_1)
	v_mad_u64_u32 v[34:35], null, 0xfc2757d1, v38, v[0:1]
	v_mov_b32_e32 v0, v35
	s_delay_alu instid0(VALU_DEP_1) | instskip(NEXT) | instid1(VALU_DEP_1)
	v_mad_u64_u32 v[35:36], null, 0x4e441529, v38, v[0:1]
	v_mov_b32_e32 v0, v36
	s_delay_alu instid0(VALU_DEP_1) | instskip(SKIP_1) | instid1(VALU_DEP_4)
	v_mad_u64_u32 v[36:37], null, 0xa2f9836e, v38, v[0:1]
	v_cndmask_b32_e64 v0, 0, 0xffffffe0, s5
	v_cndmask_b32_e64 v38, v35, v33, s3
	s_delay_alu instid0(VALU_DEP_2) | instskip(NEXT) | instid1(VALU_DEP_4)
	v_add_nc_u32_e32 v0, v0, v13
	v_cndmask_b32_e64 v36, v36, v34, s3
	v_cndmask_b32_e64 v35, v37, v35, s3
	;; [unrolled: 1-line block ×4, first 2 shown]
	v_cmp_eq_u32_e64 s6, 0, v0
	v_cndmask_b32_e64 v31, v36, v38, s4
	v_cndmask_b32_e64 v33, v35, v36, s4
	;; [unrolled: 1-line block ×3, first 2 shown]
	v_sub_nc_u32_e32 v36, 32, v0
	v_cndmask_b32_e64 v34, v34, v13, s4
	v_cndmask_b32_e64 v12, v13, v12, s4
	;; [unrolled: 1-line block ×4, first 2 shown]
	s_delay_alu instid0(VALU_DEP_4) | instskip(NEXT) | instid1(VALU_DEP_4)
	v_cndmask_b32_e64 v35, v35, v34, s5
	v_cndmask_b32_e64 v12, v34, v12, s5
	s_delay_alu instid0(VALU_DEP_3) | instskip(NEXT) | instid1(VALU_DEP_3)
	v_alignbit_b32 v37, v33, v31, v36
	v_alignbit_b32 v38, v31, v35, v36
	s_delay_alu instid0(VALU_DEP_3) | instskip(NEXT) | instid1(VALU_DEP_3)
	v_alignbit_b32 v36, v35, v12, v36
	v_cndmask_b32_e64 v0, v37, v33, s6
	s_delay_alu instid0(VALU_DEP_3) | instskip(NEXT) | instid1(VALU_DEP_3)
	v_cndmask_b32_e64 v31, v38, v31, s6
	v_cndmask_b32_e64 v35, v36, v35, s6
	s_delay_alu instid0(VALU_DEP_3) | instskip(NEXT) | instid1(VALU_DEP_3)
	v_bfe_u32 v32, v0, 29, 1
	v_alignbit_b32 v13, v0, v31, 30
	s_delay_alu instid0(VALU_DEP_3) | instskip(SKIP_1) | instid1(VALU_DEP_4)
	v_alignbit_b32 v31, v31, v35, 30
	v_alignbit_b32 v12, v35, v12, 30
	v_sub_nc_u32_e32 v33, 0, v32
	s_delay_alu instid0(VALU_DEP_1) | instskip(SKIP_3) | instid1(VALU_DEP_4)
	v_xor_b32_e32 v34, v13, v33
	v_cmp_ne_u32_e64 s3, v13, v33
	v_xor_b32_e32 v31, v31, v33
	v_xor_b32_e32 v12, v12, v33
	v_clz_i32_u32_e32 v37, v34
	s_delay_alu instid0(VALU_DEP_1) | instskip(NEXT) | instid1(VALU_DEP_1)
	v_add_nc_u32_e32 v36, 1, v37
	v_cndmask_b32_e64 v13, 33, v36, s3
	s_delay_alu instid0(VALU_DEP_1) | instskip(NEXT) | instid1(VALU_DEP_1)
	v_sub_nc_u32_e32 v35, 32, v13
	v_alignbit_b32 v33, v34, v31, v35
	v_alignbit_b32 v12, v31, v12, v35
	v_lshrrev_b32_e32 v31, 29, v0
	v_lshrrev_b32_e32 v0, 30, v0
	s_delay_alu instid0(VALU_DEP_3) | instskip(NEXT) | instid1(VALU_DEP_3)
	v_alignbit_b32 v34, v33, v12, 9
	v_lshlrev_b32_e32 v31, 31, v31
	v_alignbit_b32 v33, v13, v33, 9
	s_delay_alu instid0(VALU_DEP_3) | instskip(NEXT) | instid1(VALU_DEP_2)
	v_clz_i32_u32_e32 v35, v34
	v_or_b32_e32 v33, v33, v31
	v_or_b32_e32 v31, 0x33800000, v31
	s_delay_alu instid0(VALU_DEP_3) | instskip(NEXT) | instid1(VALU_DEP_3)
	v_min_u32_e32 v35, 32, v35
	v_xor_b32_e32 v33, 1.0, v33
	s_delay_alu instid0(VALU_DEP_2) | instskip(SKIP_1) | instid1(VALU_DEP_3)
	v_sub_nc_u32_e32 v36, 31, v35
	v_add_lshl_u32 v13, v35, v13, 23
	v_mul_f32_e32 v35, 0x3fc90fda, v33
	s_delay_alu instid0(VALU_DEP_3) | instskip(NEXT) | instid1(VALU_DEP_3)
	v_alignbit_b32 v12, v34, v12, v36
	v_sub_nc_u32_e32 v13, v31, v13
	s_delay_alu instid0(VALU_DEP_3) | instskip(NEXT) | instid1(VALU_DEP_3)
	v_fma_f32 v31, 0x3fc90fda, v33, -v35
	v_lshrrev_b32_e32 v12, 9, v12
	s_delay_alu instid0(VALU_DEP_2) | instskip(NEXT) | instid1(VALU_DEP_2)
	v_fmac_f32_e32 v31, 0x33a22168, v33
	v_or_b32_e32 v12, v13, v12
	v_add_nc_u32_e32 v13, v32, v0
	s_delay_alu instid0(VALU_DEP_2) | instskip(NEXT) | instid1(VALU_DEP_1)
	v_fmac_f32_e32 v31, 0x3fc90fda, v12
	v_add_f32_e32 v12, v35, v31
	s_and_not1_saveexec_b32 s3, s29
	s_branch .LBB133_294
.LBB133_293:                            ;   in Loop: Header=BB133_181 Depth=1
	s_and_not1_saveexec_b32 s3, s29
.LBB133_294:                            ;   in Loop: Header=BB133_181 Depth=1
	v_mul_f32_e64 v0, 0x3f22f983, |v9|
	s_delay_alu instid0(VALU_DEP_1) | instskip(NEXT) | instid1(VALU_DEP_1)
	v_rndne_f32_e32 v0, v0
	v_fma_f32 v12, 0xbfc90fda, v0, |v9|
	v_cvt_i32_f32_e32 v13, v0
	s_delay_alu instid0(VALU_DEP_2) | instskip(NEXT) | instid1(VALU_DEP_1)
	v_fmac_f32_e32 v12, 0xb3a22168, v0
	v_fmac_f32_e32 v12, 0xa7c234c4, v0
; %bb.295:                              ;   in Loop: Header=BB133_181 Depth=1
	s_or_b32 exec_lo, exec_lo, s3
                                        ; implicit-def: $vgpr31
                                        ; implicit-def: $vgpr0
	s_and_saveexec_b32 s3, s28
	s_delay_alu instid0(SALU_CYCLE_1)
	s_xor_b32 s28, exec_lo, s3
	s_cbranch_execz .LBB133_297
; %bb.296:                              ;   in Loop: Header=BB133_181 Depth=1
	v_and_or_b32 v39, v30, s7, 0x800000
	v_lshrrev_b32_e32 v36, 23, v30
	s_delay_alu instid0(VALU_DEP_2) | instskip(NEXT) | instid1(VALU_DEP_2)
	v_mad_u64_u32 v[31:32], null, 0xfe5163ab, v39, 0
	v_add_nc_u32_e32 v37, 0xffffff88, v36
	s_delay_alu instid0(VALU_DEP_1) | instskip(NEXT) | instid1(VALU_DEP_3)
	v_cmp_lt_u32_e64 s3, 63, v37
	v_mov_b32_e32 v0, v32
	s_delay_alu instid0(VALU_DEP_2) | instskip(NEXT) | instid1(VALU_DEP_2)
	v_cndmask_b32_e64 v38, 0, 0xffffffc0, s3
	v_mad_u64_u32 v[32:33], null, 0x3c439041, v39, v[0:1]
	s_delay_alu instid0(VALU_DEP_2) | instskip(NEXT) | instid1(VALU_DEP_2)
	v_add_nc_u32_e32 v38, v38, v37
	v_mov_b32_e32 v0, v33
	s_delay_alu instid0(VALU_DEP_2) | instskip(NEXT) | instid1(VALU_DEP_2)
	v_cmp_lt_u32_e64 s4, 31, v38
	v_mad_u64_u32 v[33:34], null, 0xdb629599, v39, v[0:1]
	s_delay_alu instid0(VALU_DEP_2) | instskip(NEXT) | instid1(VALU_DEP_1)
	v_cndmask_b32_e64 v40, 0, 0xffffffe0, s4
	v_add_nc_u32_e32 v40, v40, v38
	s_delay_alu instid0(VALU_DEP_3) | instskip(NEXT) | instid1(VALU_DEP_4)
	v_mov_b32_e32 v0, v34
	v_cndmask_b32_e64 v31, v33, v31, s3
	s_delay_alu instid0(VALU_DEP_3) | instskip(NEXT) | instid1(VALU_DEP_3)
	v_cmp_lt_u32_e64 s5, 31, v40
	v_mad_u64_u32 v[34:35], null, 0xf534ddc0, v39, v[0:1]
	s_delay_alu instid0(VALU_DEP_1) | instskip(NEXT) | instid1(VALU_DEP_2)
	v_mov_b32_e32 v0, v35
	v_cndmask_b32_e64 v32, v34, v32, s3
	s_delay_alu instid0(VALU_DEP_2) | instskip(NEXT) | instid1(VALU_DEP_2)
	v_mad_u64_u32 v[35:36], null, 0xfc2757d1, v39, v[0:1]
	v_cndmask_b32_e64 v31, v32, v31, s4
	s_delay_alu instid0(VALU_DEP_2) | instskip(NEXT) | instid1(VALU_DEP_1)
	v_mov_b32_e32 v0, v36
	v_mad_u64_u32 v[36:37], null, 0x4e441529, v39, v[0:1]
	s_delay_alu instid0(VALU_DEP_1) | instskip(NEXT) | instid1(VALU_DEP_1)
	v_mov_b32_e32 v0, v37
	v_mad_u64_u32 v[37:38], null, 0xa2f9836e, v39, v[0:1]
	v_cndmask_b32_e64 v0, 0, 0xffffffe0, s5
	s_delay_alu instid0(VALU_DEP_4) | instskip(NEXT) | instid1(VALU_DEP_2)
	v_cndmask_b32_e64 v39, v36, v34, s3
	v_add_nc_u32_e32 v0, v0, v40
	s_delay_alu instid0(VALU_DEP_4) | instskip(SKIP_2) | instid1(VALU_DEP_4)
	v_cndmask_b32_e64 v37, v37, v35, s3
	v_cndmask_b32_e64 v36, v38, v36, s3
	;; [unrolled: 1-line block ×3, first 2 shown]
	v_sub_nc_u32_e32 v38, 32, v0
	s_delay_alu instid0(VALU_DEP_4) | instskip(NEXT) | instid1(VALU_DEP_4)
	v_cndmask_b32_e64 v34, v37, v39, s4
	v_cndmask_b32_e64 v36, v36, v37, s4
	s_delay_alu instid0(VALU_DEP_4) | instskip(SKIP_2) | instid1(VALU_DEP_4)
	v_cndmask_b32_e64 v37, v39, v35, s4
	v_cndmask_b32_e64 v35, v35, v32, s4
	v_cmp_eq_u32_e64 s6, 0, v0
	v_cndmask_b32_e64 v36, v36, v34, s5
	s_delay_alu instid0(VALU_DEP_4) | instskip(NEXT) | instid1(VALU_DEP_4)
	v_cndmask_b32_e64 v34, v34, v37, s5
	v_cndmask_b32_e64 v37, v37, v35, s5
	;; [unrolled: 1-line block ×3, first 2 shown]
	s_delay_alu instid0(VALU_DEP_3) | instskip(NEXT) | instid1(VALU_DEP_3)
	v_alignbit_b32 v39, v36, v34, v38
	v_alignbit_b32 v40, v34, v37, v38
	s_delay_alu instid0(VALU_DEP_3) | instskip(NEXT) | instid1(VALU_DEP_3)
	v_alignbit_b32 v38, v37, v31, v38
	v_cndmask_b32_e64 v0, v39, v36, s6
	s_delay_alu instid0(VALU_DEP_3) | instskip(NEXT) | instid1(VALU_DEP_3)
	v_cndmask_b32_e64 v33, v40, v34, s6
	v_cndmask_b32_e64 v37, v38, v37, s6
	s_delay_alu instid0(VALU_DEP_3) | instskip(NEXT) | instid1(VALU_DEP_3)
	v_bfe_u32 v34, v0, 29, 1
	v_alignbit_b32 v32, v0, v33, 30
	s_delay_alu instid0(VALU_DEP_3) | instskip(SKIP_1) | instid1(VALU_DEP_4)
	v_alignbit_b32 v33, v33, v37, 30
	v_alignbit_b32 v31, v37, v31, 30
	v_sub_nc_u32_e32 v36, 0, v34
	s_delay_alu instid0(VALU_DEP_1) | instskip(SKIP_3) | instid1(VALU_DEP_4)
	v_xor_b32_e32 v35, v32, v36
	v_cmp_ne_u32_e64 s3, v32, v36
	v_xor_b32_e32 v33, v33, v36
	v_xor_b32_e32 v31, v31, v36
	v_clz_i32_u32_e32 v39, v35
	s_delay_alu instid0(VALU_DEP_1) | instskip(NEXT) | instid1(VALU_DEP_1)
	v_add_nc_u32_e32 v38, 1, v39
	v_cndmask_b32_e64 v32, 33, v38, s3
	s_delay_alu instid0(VALU_DEP_1) | instskip(NEXT) | instid1(VALU_DEP_1)
	v_sub_nc_u32_e32 v37, 32, v32
	v_alignbit_b32 v35, v35, v33, v37
	v_alignbit_b32 v31, v33, v31, v37
	v_lshrrev_b32_e32 v33, 29, v0
	s_delay_alu instid0(VALU_DEP_2) | instskip(NEXT) | instid1(VALU_DEP_2)
	v_alignbit_b32 v36, v35, v31, 9
	v_lshlrev_b32_e32 v33, 31, v33
	v_alignbit_b32 v35, v32, v35, 9
	s_delay_alu instid0(VALU_DEP_3) | instskip(NEXT) | instid1(VALU_DEP_2)
	v_clz_i32_u32_e32 v37, v36
	v_or_b32_e32 v35, v35, v33
	v_or_b32_e32 v33, 0x33800000, v33
	s_delay_alu instid0(VALU_DEP_3) | instskip(NEXT) | instid1(VALU_DEP_3)
	v_min_u32_e32 v37, 32, v37
	v_xor_b32_e32 v35, 1.0, v35
	s_delay_alu instid0(VALU_DEP_2) | instskip(SKIP_1) | instid1(VALU_DEP_3)
	v_sub_nc_u32_e32 v38, 31, v37
	v_add_lshl_u32 v32, v37, v32, 23
	v_mul_f32_e32 v37, 0x3fc90fda, v35
	s_delay_alu instid0(VALU_DEP_3) | instskip(NEXT) | instid1(VALU_DEP_3)
	v_alignbit_b32 v31, v36, v31, v38
	v_sub_nc_u32_e32 v32, v33, v32
	s_delay_alu instid0(VALU_DEP_3) | instskip(NEXT) | instid1(VALU_DEP_3)
	v_fma_f32 v33, 0x3fc90fda, v35, -v37
	v_lshrrev_b32_e32 v31, 9, v31
	s_delay_alu instid0(VALU_DEP_2) | instskip(NEXT) | instid1(VALU_DEP_2)
	v_fmac_f32_e32 v33, 0x33a22168, v35
	v_or_b32_e32 v31, v32, v31
	s_delay_alu instid0(VALU_DEP_1) | instskip(SKIP_1) | instid1(VALU_DEP_1)
	v_fmac_f32_e32 v33, 0x3fc90fda, v31
	v_lshrrev_b32_e32 v31, 30, v0
	v_dual_add_f32 v0, v37, v33 :: v_dual_add_nc_u32 v31, v34, v31
	s_and_not1_saveexec_b32 s3, s28
	s_cbranch_execnz .LBB133_298
	s_branch .LBB133_299
.LBB133_297:                            ;   in Loop: Header=BB133_181 Depth=1
	s_and_not1_saveexec_b32 s3, s28
.LBB133_298:                            ;   in Loop: Header=BB133_181 Depth=1
	v_mul_f32_e64 v0, 0x3f22f983, |v9|
	s_delay_alu instid0(VALU_DEP_1) | instskip(NEXT) | instid1(VALU_DEP_1)
	v_rndne_f32_e32 v31, v0
	v_fma_f32 v0, 0xbfc90fda, v31, |v9|
	s_delay_alu instid0(VALU_DEP_1) | instskip(NEXT) | instid1(VALU_DEP_1)
	v_fmac_f32_e32 v0, 0xb3a22168, v31
	v_fmac_f32_e32 v0, 0xa7c234c4, v31
	v_cvt_i32_f32_e32 v31, v31
.LBB133_299:                            ;   in Loop: Header=BB133_181 Depth=1
	s_or_b32 exec_lo, exec_lo, s3
	v_add_f32_e32 v8, 0xc322e3bc, v8
	v_mul_f32_e32 v35, v12, v12
	v_mul_f32_e32 v36, v0, v0
	s_delay_alu instid0(VALU_DEP_3) | instskip(NEXT) | instid1(VALU_DEP_3)
	v_mul_f32_e32 v32, 0x3fb8aa3b, v8
	v_fmaak_f32 v37, s23, v35, 0xbab64f3b
	s_delay_alu instid0(VALU_DEP_3) | instskip(NEXT) | instid1(VALU_DEP_3)
	v_dual_fmaak_f32 v38, s22, v35, 0x3c0881c4 :: v_dual_fmaak_f32 v39, s22, v36, 0x3c0881c4
	v_fma_f32 v33, 0x3fb8aa3b, v8, -v32
	v_rndne_f32_e32 v34, v32
	s_delay_alu instid0(VALU_DEP_3) | instskip(NEXT) | instid1(VALU_DEP_2)
	v_fmaak_f32 v39, v36, v39, 0xbe2aaa9d
	v_dual_fmac_f32 v33, 0x32a5705f, v8 :: v_dual_sub_f32 v32, v32, v34
	s_delay_alu instid0(VALU_DEP_2) | instskip(NEXT) | instid1(VALU_DEP_2)
	v_mul_f32_e32 v39, v36, v39
	v_add_f32_e32 v32, v32, v33
	v_cvt_i32_f32_e32 v33, v34
	v_lshlrev_b32_e32 v34, 30, v13
	v_and_b32_e32 v13, 1, v13
	v_cmp_ngt_f32_e64 s3, 0xc2ce8ed0, v8
	v_exp_f32_e32 v32, v32
	v_fmac_f32_e32 v0, v0, v39
	s_waitcnt_depctr 0xfff
	v_ldexp_f32 v32, v32, v33
	v_and_b32_e32 v33, 1, v31
	v_lshlrev_b32_e32 v31, 30, v31
	s_delay_alu instid0(VALU_DEP_3) | instskip(SKIP_1) | instid1(VALU_DEP_3)
	v_cndmask_b32_e64 v32, 0, v32, s3
	v_cmp_nlt_f32_e64 s3, 0x42b17218, v8
	v_and_or_b32 v30, 0x80000000, v31, v30
	s_delay_alu instid0(VALU_DEP_2)
	v_cndmask_b32_e64 v8, 0x7f800000, v32, s3
	v_fmaak_f32 v32, s23, v36, 0xbab64f3b
	v_fmaak_f32 v31, v35, v37, 0x3d2aabf7
	;; [unrolled: 1-line block ×3, first 2 shown]
	v_and_b32_e32 v34, 0x80000000, v34
	v_lshrrev_b32_e32 v38, 23, v8
	v_fmaak_f32 v32, v36, v32, 0x3d2aabf7
	v_fmaak_f32 v31, v35, v31, 0xbf000004
	v_mul_f32_e32 v37, v35, v37
	v_cmp_eq_u32_e64 s3, 0, v13
	v_subrev_nc_u32_e32 v38, 19, v38
	v_fmaak_f32 v32, v36, v32, 0xbf000004
	v_fma_f32 v31, v35, v31, 1.0
	v_and_or_b32 v8, 0x7fffff, v8, s24
	v_fmac_f32_e32 v12, v12, v37
	v_lshrrev_b16 v35, 15, v38
	v_fma_f32 v32, v36, v32, 1.0
	s_delay_alu instid0(VALU_DEP_3) | instskip(SKIP_1) | instid1(VALU_DEP_4)
	v_cndmask_b32_e64 v12, -v12, v31, s3
	v_cmp_eq_u32_e64 s3, 0, v33
	v_add_nc_u16 v13, v38, v35
	s_delay_alu instid0(VALU_DEP_3) | instskip(NEXT) | instid1(VALU_DEP_3)
	v_xor_b32_e32 v12, v34, v12
	v_cndmask_b32_e64 v0, v32, v0, s3
	s_delay_alu instid0(VALU_DEP_3) | instskip(SKIP_1) | instid1(VALU_DEP_3)
	v_ashrrev_i16 v13, 1, v13
	v_cmp_class_f32_e64 s3, v9, 0x1f8
	v_xor3_b32 v0, v30, v0, v9
	s_delay_alu instid0(VALU_DEP_2) | instskip(NEXT) | instid1(VALU_DEP_4)
	v_cndmask_b32_e64 v9, 0x7fc00000, v12, s3
	v_bfe_i32 v12, v13, 0, 16
	s_delay_alu instid0(VALU_DEP_3) | instskip(NEXT) | instid1(VALU_DEP_3)
	v_cndmask_b32_e64 v0, 0x7fc00000, v0, s3
	v_mul_f32_e32 v9, v9, v8
	s_delay_alu instid0(VALU_DEP_3) | instskip(SKIP_1) | instid1(VALU_DEP_4)
	v_lshl_add_u32 v13, v12, 23, 1.0
	v_sub_nc_u32_e32 v12, v38, v12
	v_mul_f32_e32 v0, v0, v8
	s_delay_alu instid0(VALU_DEP_3) | instskip(NEXT) | instid1(VALU_DEP_3)
	v_mul_f32_e32 v8, v9, v13
	v_lshl_add_u32 v9, v12, 23, 1.0
	s_delay_alu instid0(VALU_DEP_3) | instskip(NEXT) | instid1(VALU_DEP_2)
	v_mul_f32_e32 v0, v0, v13
	v_mul_f32_e32 v12, v8, v9
	s_delay_alu instid0(VALU_DEP_2)
	v_mul_f32_e32 v13, v0, v9
.LBB133_300:                            ;   in Loop: Header=BB133_181 Depth=1
	s_or_b32 exec_lo, exec_lo, s27
                                        ; implicit-def: $vgpr8
                                        ; implicit-def: $vgpr0
.LBB133_301:                            ;   in Loop: Header=BB133_181 Depth=1
	s_and_not1_saveexec_b32 s4, s26
	s_cbranch_execz .LBB133_307
; %bb.302:                              ;   in Loop: Header=BB133_181 Depth=1
	v_cmp_ne_u32_e64 s3, 0x7f800000, v0
                                        ; implicit-def: $vgpr13
	s_delay_alu instid0(VALU_DEP_1) | instskip(NEXT) | instid1(SALU_CYCLE_1)
	s_and_saveexec_b32 s5, s3
	s_xor_b32 s3, exec_lo, s5
; %bb.303:                              ;   in Loop: Header=BB133_181 Depth=1
	v_sub_f32_e32 v13, v9, v9
                                        ; implicit-def: $vgpr8
; %bb.304:                              ;   in Loop: Header=BB133_181 Depth=1
	s_or_saveexec_b32 s5, s3
	s_delay_alu instid0(VALU_DEP_1)
	v_mov_b32_e32 v12, v13
	s_xor_b32 exec_lo, exec_lo, s5
; %bb.305:                              ;   in Loop: Header=BB133_181 Depth=1
	v_sub_f32_e32 v0, v9, v9
	v_cmp_lt_i32_e64 s3, -1, v8
	s_delay_alu instid0(VALU_DEP_1) | instskip(NEXT) | instid1(VALU_DEP_3)
	v_cndmask_b32_e64 v12, 0, v8, s3
	v_cndmask_b32_e64 v13, 0, v0, s3
; %bb.306:                              ;   in Loop: Header=BB133_181 Depth=1
	s_or_b32 exec_lo, exec_lo, s5
.LBB133_307:                            ;   in Loop: Header=BB133_181 Depth=1
	s_delay_alu instid0(SALU_CYCLE_1)
	s_or_b32 exec_lo, exec_lo, s4
                                        ; implicit-def: $vgpr9
                                        ; implicit-def: $vgpr30
.LBB133_308:                            ;   in Loop: Header=BB133_181 Depth=1
	s_and_not1_saveexec_b32 s25, s25
	s_cbranch_execz .LBB133_318
; %bb.309:                              ;   in Loop: Header=BB133_181 Depth=1
	v_cmp_ngt_f32_e64 s26, 0x48000000, |v9|
                                        ; implicit-def: $vgpr12
                                        ; implicit-def: $vgpr8
	s_delay_alu instid0(VALU_DEP_1) | instskip(NEXT) | instid1(SALU_CYCLE_1)
	s_and_saveexec_b32 s3, s26
	s_xor_b32 s27, exec_lo, s3
	s_cbranch_execz .LBB133_311
; %bb.310:                              ;   in Loop: Header=BB133_181 Depth=1
	v_and_or_b32 v8, v30, s7, 0x800000
	s_delay_alu instid0(VALU_DEP_1) | instskip(NEXT) | instid1(VALU_DEP_1)
	v_mad_u64_u32 v[12:13], null, 0xfe5163ab, v8, 0
	v_mov_b32_e32 v0, v13
	v_lshrrev_b32_e32 v13, 23, v30
	s_delay_alu instid0(VALU_DEP_1) | instskip(NEXT) | instid1(VALU_DEP_3)
	v_add_nc_u32_e32 v13, 0xffffff88, v13
	v_mad_u64_u32 v[31:32], null, 0x3c439041, v8, v[0:1]
	s_delay_alu instid0(VALU_DEP_2) | instskip(NEXT) | instid1(VALU_DEP_1)
	v_cmp_lt_u32_e64 s3, 63, v13
	v_cndmask_b32_e64 v36, 0, 0xffffffc0, s3
	s_delay_alu instid0(VALU_DEP_1) | instskip(NEXT) | instid1(VALU_DEP_1)
	v_add_nc_u32_e32 v13, v36, v13
	v_cmp_lt_u32_e64 s4, 31, v13
	s_delay_alu instid0(VALU_DEP_1) | instskip(NEXT) | instid1(VALU_DEP_1)
	v_cndmask_b32_e64 v37, 0, 0xffffffe0, s4
	v_dual_mov_b32 v0, v32 :: v_dual_add_nc_u32 v13, v37, v13
	s_delay_alu instid0(VALU_DEP_1) | instskip(NEXT) | instid1(VALU_DEP_2)
	v_mad_u64_u32 v[32:33], null, 0xdb629599, v8, v[0:1]
	v_cmp_lt_u32_e64 s5, 31, v13
	s_delay_alu instid0(VALU_DEP_2) | instskip(NEXT) | instid1(VALU_DEP_3)
	v_mov_b32_e32 v0, v33
	v_cndmask_b32_e64 v12, v32, v12, s3
	s_delay_alu instid0(VALU_DEP_2) | instskip(NEXT) | instid1(VALU_DEP_1)
	v_mad_u64_u32 v[33:34], null, 0xf534ddc0, v8, v[0:1]
	v_mov_b32_e32 v0, v34
	s_delay_alu instid0(VALU_DEP_1) | instskip(NEXT) | instid1(VALU_DEP_1)
	v_mad_u64_u32 v[34:35], null, 0xfc2757d1, v8, v[0:1]
	v_mov_b32_e32 v0, v35
	s_delay_alu instid0(VALU_DEP_1) | instskip(NEXT) | instid1(VALU_DEP_1)
	v_mad_u64_u32 v[35:36], null, 0x4e441529, v8, v[0:1]
	v_mov_b32_e32 v0, v36
	s_delay_alu instid0(VALU_DEP_1) | instskip(SKIP_1) | instid1(VALU_DEP_4)
	v_mad_u64_u32 v[36:37], null, 0xa2f9836e, v8, v[0:1]
	v_cndmask_b32_e64 v0, 0, 0xffffffe0, s5
	v_cndmask_b32_e64 v8, v35, v33, s3
	s_delay_alu instid0(VALU_DEP_2) | instskip(NEXT) | instid1(VALU_DEP_4)
	v_add_nc_u32_e32 v0, v0, v13
	v_cndmask_b32_e64 v36, v36, v34, s3
	v_cndmask_b32_e64 v35, v37, v35, s3
	;; [unrolled: 1-line block ×4, first 2 shown]
	v_cmp_eq_u32_e64 s6, 0, v0
	v_cndmask_b32_e64 v31, v36, v8, s4
	v_cndmask_b32_e64 v33, v35, v36, s4
	;; [unrolled: 1-line block ×3, first 2 shown]
	v_sub_nc_u32_e32 v35, 32, v0
	v_cndmask_b32_e64 v34, v34, v13, s4
	v_cndmask_b32_e64 v12, v13, v12, s4
	v_cndmask_b32_e64 v33, v33, v31, s5
	v_cndmask_b32_e64 v31, v31, v8, s5
	s_delay_alu instid0(VALU_DEP_4) | instskip(NEXT) | instid1(VALU_DEP_4)
	v_cndmask_b32_e64 v8, v8, v34, s5
	v_cndmask_b32_e64 v12, v34, v12, s5
	s_delay_alu instid0(VALU_DEP_3) | instskip(NEXT) | instid1(VALU_DEP_3)
	v_alignbit_b32 v36, v33, v31, v35
	v_alignbit_b32 v37, v31, v8, v35
	s_delay_alu instid0(VALU_DEP_3) | instskip(NEXT) | instid1(VALU_DEP_3)
	v_alignbit_b32 v35, v8, v12, v35
	v_cndmask_b32_e64 v0, v36, v33, s6
	s_delay_alu instid0(VALU_DEP_3) | instskip(NEXT) | instid1(VALU_DEP_3)
	v_cndmask_b32_e64 v31, v37, v31, s6
	v_cndmask_b32_e64 v8, v35, v8, s6
	s_delay_alu instid0(VALU_DEP_3) | instskip(NEXT) | instid1(VALU_DEP_3)
	v_bfe_u32 v32, v0, 29, 1
	v_alignbit_b32 v13, v0, v31, 30
	s_delay_alu instid0(VALU_DEP_3) | instskip(SKIP_1) | instid1(VALU_DEP_4)
	v_alignbit_b32 v31, v31, v8, 30
	v_alignbit_b32 v8, v8, v12, 30
	v_sub_nc_u32_e32 v33, 0, v32
	s_delay_alu instid0(VALU_DEP_1) | instskip(SKIP_3) | instid1(VALU_DEP_4)
	v_xor_b32_e32 v34, v13, v33
	v_cmp_ne_u32_e64 s3, v13, v33
	v_xor_b32_e32 v12, v31, v33
	v_xor_b32_e32 v8, v8, v33
	v_clz_i32_u32_e32 v36, v34
	s_delay_alu instid0(VALU_DEP_1) | instskip(NEXT) | instid1(VALU_DEP_1)
	v_add_nc_u32_e32 v35, 1, v36
	v_cndmask_b32_e64 v13, 33, v35, s3
	s_delay_alu instid0(VALU_DEP_1) | instskip(NEXT) | instid1(VALU_DEP_1)
	v_sub_nc_u32_e32 v31, 32, v13
	v_alignbit_b32 v33, v34, v12, v31
	v_alignbit_b32 v8, v12, v8, v31
	v_lshrrev_b32_e32 v12, 29, v0
	v_lshrrev_b32_e32 v0, 30, v0
	s_delay_alu instid0(VALU_DEP_3) | instskip(NEXT) | instid1(VALU_DEP_3)
	v_alignbit_b32 v31, v33, v8, 9
	v_lshlrev_b32_e32 v12, 31, v12
	v_alignbit_b32 v33, v13, v33, 9
	s_delay_alu instid0(VALU_DEP_3) | instskip(NEXT) | instid1(VALU_DEP_2)
	v_clz_i32_u32_e32 v34, v31
	v_or_b32_e32 v33, v33, v12
	v_or_b32_e32 v12, 0x33800000, v12
	s_delay_alu instid0(VALU_DEP_3) | instskip(NEXT) | instid1(VALU_DEP_3)
	v_min_u32_e32 v34, 32, v34
	v_xor_b32_e32 v33, 1.0, v33
	s_delay_alu instid0(VALU_DEP_2) | instskip(SKIP_1) | instid1(VALU_DEP_3)
	v_sub_nc_u32_e32 v35, 31, v34
	v_add_lshl_u32 v13, v34, v13, 23
	v_mul_f32_e32 v34, 0x3fc90fda, v33
	s_delay_alu instid0(VALU_DEP_3) | instskip(NEXT) | instid1(VALU_DEP_3)
	v_alignbit_b32 v8, v31, v8, v35
	v_sub_nc_u32_e32 v12, v12, v13
	s_delay_alu instid0(VALU_DEP_3) | instskip(NEXT) | instid1(VALU_DEP_3)
	v_fma_f32 v13, 0x3fc90fda, v33, -v34
	v_lshrrev_b32_e32 v8, 9, v8
	s_delay_alu instid0(VALU_DEP_2) | instskip(NEXT) | instid1(VALU_DEP_2)
	v_fmac_f32_e32 v13, 0x33a22168, v33
	v_or_b32_e32 v8, v12, v8
	v_add_nc_u32_e32 v12, v32, v0
	s_delay_alu instid0(VALU_DEP_2) | instskip(NEXT) | instid1(VALU_DEP_1)
	v_fmac_f32_e32 v13, 0x3fc90fda, v8
	v_add_f32_e32 v8, v34, v13
	s_and_not1_saveexec_b32 s3, s27
	s_branch .LBB133_312
.LBB133_311:                            ;   in Loop: Header=BB133_181 Depth=1
	s_and_not1_saveexec_b32 s3, s27
.LBB133_312:                            ;   in Loop: Header=BB133_181 Depth=1
	v_mul_f32_e64 v0, 0x3f22f983, |v9|
	s_delay_alu instid0(VALU_DEP_1) | instskip(NEXT) | instid1(VALU_DEP_1)
	v_rndne_f32_e32 v0, v0
	v_fma_f32 v8, 0xbfc90fda, v0, |v9|
	v_cvt_i32_f32_e32 v12, v0
	s_delay_alu instid0(VALU_DEP_2) | instskip(NEXT) | instid1(VALU_DEP_1)
	v_fmac_f32_e32 v8, 0xb3a22168, v0
	v_fmac_f32_e32 v8, 0xa7c234c4, v0
; %bb.313:                              ;   in Loop: Header=BB133_181 Depth=1
	s_or_b32 exec_lo, exec_lo, s3
                                        ; implicit-def: $vgpr13
                                        ; implicit-def: $vgpr0
	s_and_saveexec_b32 s3, s26
	s_delay_alu instid0(SALU_CYCLE_1)
	s_xor_b32 s26, exec_lo, s3
	s_cbranch_execz .LBB133_315
; %bb.314:                              ;   in Loop: Header=BB133_181 Depth=1
	v_and_or_b32 v13, v30, s7, 0x800000
	v_lshrrev_b32_e32 v36, 23, v30
	s_delay_alu instid0(VALU_DEP_2) | instskip(NEXT) | instid1(VALU_DEP_2)
	v_mad_u64_u32 v[31:32], null, 0xfe5163ab, v13, 0
	v_add_nc_u32_e32 v37, 0xffffff88, v36
	s_delay_alu instid0(VALU_DEP_1) | instskip(NEXT) | instid1(VALU_DEP_3)
	v_cmp_lt_u32_e64 s3, 63, v37
	v_mov_b32_e32 v0, v32
	s_delay_alu instid0(VALU_DEP_2) | instskip(NEXT) | instid1(VALU_DEP_2)
	v_cndmask_b32_e64 v38, 0, 0xffffffc0, s3
	v_mad_u64_u32 v[32:33], null, 0x3c439041, v13, v[0:1]
	s_delay_alu instid0(VALU_DEP_2) | instskip(NEXT) | instid1(VALU_DEP_1)
	v_add_nc_u32_e32 v38, v38, v37
	v_cmp_lt_u32_e64 s4, 31, v38
	s_delay_alu instid0(VALU_DEP_1) | instskip(NEXT) | instid1(VALU_DEP_1)
	v_cndmask_b32_e64 v39, 0, 0xffffffe0, s4
	v_dual_mov_b32 v0, v33 :: v_dual_add_nc_u32 v39, v39, v38
	s_delay_alu instid0(VALU_DEP_1) | instskip(NEXT) | instid1(VALU_DEP_2)
	v_mad_u64_u32 v[33:34], null, 0xdb629599, v13, v[0:1]
	v_cmp_lt_u32_e64 s5, 31, v39
	s_delay_alu instid0(VALU_DEP_2) | instskip(NEXT) | instid1(VALU_DEP_3)
	v_mov_b32_e32 v0, v34
	v_cndmask_b32_e64 v31, v33, v31, s3
	s_delay_alu instid0(VALU_DEP_2) | instskip(NEXT) | instid1(VALU_DEP_1)
	v_mad_u64_u32 v[34:35], null, 0xf534ddc0, v13, v[0:1]
	v_mov_b32_e32 v0, v35
	s_delay_alu instid0(VALU_DEP_2) | instskip(NEXT) | instid1(VALU_DEP_2)
	v_cndmask_b32_e64 v32, v34, v32, s3
	v_mad_u64_u32 v[35:36], null, 0xfc2757d1, v13, v[0:1]
	s_delay_alu instid0(VALU_DEP_2) | instskip(NEXT) | instid1(VALU_DEP_2)
	v_cndmask_b32_e64 v31, v32, v31, s4
	v_mov_b32_e32 v0, v36
	s_delay_alu instid0(VALU_DEP_1) | instskip(NEXT) | instid1(VALU_DEP_1)
	v_mad_u64_u32 v[36:37], null, 0x4e441529, v13, v[0:1]
	v_mov_b32_e32 v0, v37
	s_delay_alu instid0(VALU_DEP_1) | instskip(SKIP_1) | instid1(VALU_DEP_4)
	v_mad_u64_u32 v[37:38], null, 0xa2f9836e, v13, v[0:1]
	v_cndmask_b32_e64 v0, 0, 0xffffffe0, s5
	v_cndmask_b32_e64 v13, v36, v34, s3
	s_delay_alu instid0(VALU_DEP_2) | instskip(NEXT) | instid1(VALU_DEP_4)
	v_add_nc_u32_e32 v0, v0, v39
	v_cndmask_b32_e64 v37, v37, v35, s3
	v_cndmask_b32_e64 v36, v38, v36, s3
	;; [unrolled: 1-line block ×3, first 2 shown]
	s_delay_alu instid0(VALU_DEP_4) | instskip(NEXT) | instid1(VALU_DEP_4)
	v_cmp_eq_u32_e64 s6, 0, v0
	v_cndmask_b32_e64 v34, v37, v13, s4
	s_delay_alu instid0(VALU_DEP_4) | instskip(NEXT) | instid1(VALU_DEP_4)
	v_cndmask_b32_e64 v36, v36, v37, s4
	v_cndmask_b32_e64 v13, v13, v35, s4
	v_sub_nc_u32_e32 v37, 32, v0
	v_cndmask_b32_e64 v35, v35, v32, s4
	s_delay_alu instid0(VALU_DEP_4) | instskip(NEXT) | instid1(VALU_DEP_4)
	v_cndmask_b32_e64 v36, v36, v34, s5
	v_cndmask_b32_e64 v34, v34, v13, s5
	s_delay_alu instid0(VALU_DEP_3) | instskip(SKIP_1) | instid1(VALU_DEP_3)
	v_cndmask_b32_e64 v13, v13, v35, s5
	v_cndmask_b32_e64 v31, v35, v31, s5
	v_alignbit_b32 v38, v36, v34, v37
	s_delay_alu instid0(VALU_DEP_3) | instskip(NEXT) | instid1(VALU_DEP_3)
	v_alignbit_b32 v39, v34, v13, v37
	v_alignbit_b32 v37, v13, v31, v37
	s_delay_alu instid0(VALU_DEP_3) | instskip(NEXT) | instid1(VALU_DEP_3)
	v_cndmask_b32_e64 v0, v38, v36, s6
	v_cndmask_b32_e64 v33, v39, v34, s6
	s_delay_alu instid0(VALU_DEP_3) | instskip(NEXT) | instid1(VALU_DEP_3)
	v_cndmask_b32_e64 v13, v37, v13, s6
	v_bfe_u32 v34, v0, 29, 1
	s_delay_alu instid0(VALU_DEP_3) | instskip(NEXT) | instid1(VALU_DEP_3)
	v_alignbit_b32 v32, v0, v33, 30
	v_alignbit_b32 v33, v33, v13, 30
	;; [unrolled: 1-line block ×3, first 2 shown]
	s_delay_alu instid0(VALU_DEP_4) | instskip(NEXT) | instid1(VALU_DEP_1)
	v_sub_nc_u32_e32 v36, 0, v34
	v_xor_b32_e32 v35, v32, v36
	v_cmp_ne_u32_e64 s3, v32, v36
	v_xor_b32_e32 v31, v33, v36
	v_xor_b32_e32 v13, v13, v36
	s_delay_alu instid0(VALU_DEP_4) | instskip(NEXT) | instid1(VALU_DEP_1)
	v_clz_i32_u32_e32 v38, v35
	v_add_nc_u32_e32 v37, 1, v38
	s_delay_alu instid0(VALU_DEP_1) | instskip(NEXT) | instid1(VALU_DEP_1)
	v_cndmask_b32_e64 v32, 33, v37, s3
	v_sub_nc_u32_e32 v33, 32, v32
	s_delay_alu instid0(VALU_DEP_1) | instskip(SKIP_2) | instid1(VALU_DEP_2)
	v_alignbit_b32 v35, v35, v31, v33
	v_alignbit_b32 v13, v31, v13, v33
	v_lshrrev_b32_e32 v31, 29, v0
	v_alignbit_b32 v33, v35, v13, 9
	s_delay_alu instid0(VALU_DEP_2) | instskip(SKIP_1) | instid1(VALU_DEP_3)
	v_lshlrev_b32_e32 v31, 31, v31
	v_alignbit_b32 v35, v32, v35, 9
	v_clz_i32_u32_e32 v36, v33
	s_delay_alu instid0(VALU_DEP_2) | instskip(SKIP_1) | instid1(VALU_DEP_3)
	v_or_b32_e32 v35, v35, v31
	v_or_b32_e32 v31, 0x33800000, v31
	v_min_u32_e32 v36, 32, v36
	s_delay_alu instid0(VALU_DEP_3) | instskip(NEXT) | instid1(VALU_DEP_2)
	v_xor_b32_e32 v35, 1.0, v35
	v_sub_nc_u32_e32 v37, 31, v36
	v_add_lshl_u32 v32, v36, v32, 23
	s_delay_alu instid0(VALU_DEP_3) | instskip(NEXT) | instid1(VALU_DEP_3)
	v_mul_f32_e32 v36, 0x3fc90fda, v35
	v_alignbit_b32 v13, v33, v13, v37
	s_delay_alu instid0(VALU_DEP_3) | instskip(NEXT) | instid1(VALU_DEP_3)
	v_sub_nc_u32_e32 v31, v31, v32
	v_fma_f32 v32, 0x3fc90fda, v35, -v36
	s_delay_alu instid0(VALU_DEP_3) | instskip(NEXT) | instid1(VALU_DEP_2)
	v_lshrrev_b32_e32 v13, 9, v13
	v_fmac_f32_e32 v32, 0x33a22168, v35
	s_delay_alu instid0(VALU_DEP_2) | instskip(NEXT) | instid1(VALU_DEP_1)
	v_or_b32_e32 v13, v31, v13
	v_fmac_f32_e32 v32, 0x3fc90fda, v13
	v_lshrrev_b32_e32 v13, 30, v0
	s_delay_alu instid0(VALU_DEP_1)
	v_dual_add_f32 v0, v36, v32 :: v_dual_add_nc_u32 v13, v34, v13
	s_and_not1_saveexec_b32 s3, s26
	s_cbranch_execnz .LBB133_316
	s_branch .LBB133_317
.LBB133_315:                            ;   in Loop: Header=BB133_181 Depth=1
	s_and_not1_saveexec_b32 s3, s26
.LBB133_316:                            ;   in Loop: Header=BB133_181 Depth=1
	v_mul_f32_e64 v0, 0x3f22f983, |v9|
	s_delay_alu instid0(VALU_DEP_1) | instskip(NEXT) | instid1(VALU_DEP_1)
	v_rndne_f32_e32 v13, v0
	v_fma_f32 v0, 0xbfc90fda, v13, |v9|
	s_delay_alu instid0(VALU_DEP_1) | instskip(NEXT) | instid1(VALU_DEP_1)
	v_fmac_f32_e32 v0, 0xb3a22168, v13
	v_fmac_f32_e32 v0, 0xa7c234c4, v13
	v_cvt_i32_f32_e32 v13, v13
.LBB133_317:                            ;   in Loop: Header=BB133_181 Depth=1
	s_or_b32 exec_lo, exec_lo, s3
	s_delay_alu instid0(VALU_DEP_1) | instskip(NEXT) | instid1(VALU_DEP_2)
	v_dual_mul_f32 v31, v8, v8 :: v_dual_and_b32 v38, 1, v13
	v_mul_f32_e32 v32, v0, v0
	v_and_b32_e32 v33, 1, v12
	s_delay_alu instid0(VALU_DEP_3) | instskip(SKIP_1) | instid1(VALU_DEP_4)
	v_dual_fmaak_f32 v34, s22, v31, 0x3c0881c4 :: v_dual_lshlrev_b32 v13, 30, v13
	v_dual_fmaak_f32 v35, s23, v31, 0xbab64f3b :: v_dual_lshlrev_b32 v12, 30, v12
	v_fmaak_f32 v36, s22, v32, 0x3c0881c4
	s_delay_alu instid0(VALU_DEP_4) | instskip(NEXT) | instid1(VALU_DEP_4)
	v_cmp_eq_u32_e64 s3, 0, v33
	v_fmaak_f32 v34, v31, v34, 0xbe2aaa9d
	v_fmaak_f32 v37, s23, v32, 0xbab64f3b
	;; [unrolled: 1-line block ×4, first 2 shown]
	v_and_b32_e32 v12, 0x80000000, v12
	s_delay_alu instid0(VALU_DEP_4) | instskip(NEXT) | instid1(VALU_DEP_3)
	v_dual_mul_f32 v34, v31, v34 :: v_dual_fmaak_f32 v37, v32, v37, 0x3d2aabf7
	v_dual_fmaak_f32 v35, v31, v35, 0xbf000004 :: v_dual_mul_f32 v36, v32, v36
	v_and_or_b32 v13, 0x80000000, v13, v30
	s_delay_alu instid0(VALU_DEP_3) | instskip(NEXT) | instid1(VALU_DEP_4)
	v_fmac_f32_e32 v8, v8, v34
	v_fmaak_f32 v37, v32, v37, 0xbf000004
	s_delay_alu instid0(VALU_DEP_4) | instskip(SKIP_1) | instid1(VALU_DEP_3)
	v_fma_f32 v31, v31, v35, 1.0
	v_fmac_f32_e32 v0, v0, v36
	v_fma_f32 v32, v32, v37, 1.0
	s_delay_alu instid0(VALU_DEP_3) | instskip(SKIP_1) | instid1(VALU_DEP_2)
	v_cndmask_b32_e64 v8, -v8, v31, s3
	v_cmp_eq_u32_e64 s3, 0, v38
	v_xor_b32_e32 v8, v12, v8
	s_delay_alu instid0(VALU_DEP_2) | instskip(SKIP_1) | instid1(VALU_DEP_2)
	v_cndmask_b32_e64 v0, v32, v0, s3
	v_cmp_class_f32_e64 s3, v9, 0x1f8
	v_xor3_b32 v0, v13, v0, v9
	s_delay_alu instid0(VALU_DEP_2) | instskip(NEXT) | instid1(VALU_DEP_2)
	v_cndmask_b32_e64 v12, 0x7fc00000, v8, s3
	v_cndmask_b32_e64 v13, 0x7fc00000, v0, s3
.LBB133_318:                            ;   in Loop: Header=BB133_181 Depth=1
	s_or_b32 exec_lo, exec_lo, s25
                                        ; implicit-def: $vgpr8
.LBB133_319:                            ;   in Loop: Header=BB133_181 Depth=1
	s_and_not1_saveexec_b32 s4, s13
	s_cbranch_execz .LBB133_321
; %bb.320:                              ;   in Loop: Header=BB133_181 Depth=1
	v_mul_f32_e32 v0, 0x3fb8aa3b, v8
	v_cmp_ngt_f32_e64 s3, 0xc2ce8ed0, v8
	s_delay_alu instid0(VALU_DEP_2) | instskip(SKIP_1) | instid1(VALU_DEP_2)
	v_rndne_f32_e32 v12, v0
	v_fma_f32 v13, 0x3fb8aa3b, v8, -v0
	v_sub_f32_e32 v0, v0, v12
	s_delay_alu instid0(VALU_DEP_2) | instskip(SKIP_1) | instid1(VALU_DEP_2)
	v_fmac_f32_e32 v13, 0x32a5705f, v8
	v_cvt_i32_f32_e32 v12, v12
	v_dual_add_f32 v0, v0, v13 :: v_dual_mov_b32 v13, v9
	s_delay_alu instid0(VALU_DEP_1) | instskip(SKIP_2) | instid1(VALU_DEP_1)
	v_exp_f32_e32 v0, v0
	s_waitcnt_depctr 0xfff
	v_ldexp_f32 v0, v0, v12
	v_cndmask_b32_e64 v0, 0, v0, s3
	v_cmp_nlt_f32_e64 s3, 0x42b17218, v8
	s_delay_alu instid0(VALU_DEP_1)
	v_cndmask_b32_e64 v12, 0x7f800000, v0, s3
.LBB133_321:                            ;   in Loop: Header=BB133_181 Depth=1
	s_or_b32 exec_lo, exec_lo, s4
	v_and_b32_e32 v30, 0x7fffffff, v5
                                        ; implicit-def: $vgpr9
	s_mov_b32 s4, exec_lo
	s_delay_alu instid0(VALU_DEP_1)
	v_cmpx_ne_u32_e32 0, v30
	s_xor_b32 s13, exec_lo, s4
	s_cbranch_execz .LBB133_327
; %bb.322:                              ;   in Loop: Header=BB133_181 Depth=1
	v_and_b32_e32 v0, 0x7fffffff, v4
                                        ; implicit-def: $vgpr9
	s_mov_b32 s4, exec_lo
	s_delay_alu instid0(VALU_DEP_1)
	v_cmpx_ne_u32_e32 0, v0
	s_xor_b32 s25, exec_lo, s4
	s_cbranch_execz .LBB133_357
; %bb.323:                              ;   in Loop: Header=BB133_181 Depth=1
                                        ; implicit-def: $vgpr9
	s_mov_b32 s4, exec_lo
	v_cmpx_gt_u32_e32 0x7f800000, v30
	s_xor_b32 s26, exec_lo, s4
	s_cbranch_execz .LBB133_350
; %bb.324:                              ;   in Loop: Header=BB133_181 Depth=1
	v_add_nc_u32_e32 v0, 0xbd4e8de8, v4
                                        ; implicit-def: $vgpr9
	s_mov_b32 s4, exec_lo
	s_delay_alu instid0(VALU_DEP_1)
	v_cmpx_lt_u32_e32 0x8e8e5c, v0
	s_xor_b32 s27, exec_lo, s4
	s_cbranch_execz .LBB133_339
; %bb.325:                              ;   in Loop: Header=BB133_181 Depth=1
	v_cmp_ngt_f32_e64 s28, 0x48000000, |v5|
                                        ; implicit-def: $vgpr9
                                        ; implicit-def: $vgpr8
	s_delay_alu instid0(VALU_DEP_1) | instskip(NEXT) | instid1(SALU_CYCLE_1)
	s_and_saveexec_b32 s3, s28
	s_xor_b32 s29, exec_lo, s3
	s_cbranch_execz .LBB133_332
; %bb.326:                              ;   in Loop: Header=BB133_181 Depth=1
	v_and_or_b32 v38, v30, s7, 0x800000
	s_delay_alu instid0(VALU_DEP_1) | instskip(NEXT) | instid1(VALU_DEP_1)
	v_mad_u64_u32 v[8:9], null, 0xfe5163ab, v38, 0
	v_mov_b32_e32 v0, v9
	v_lshrrev_b32_e32 v9, 23, v30
	s_delay_alu instid0(VALU_DEP_1) | instskip(NEXT) | instid1(VALU_DEP_3)
	v_add_nc_u32_e32 v9, 0xffffff88, v9
	v_mad_u64_u32 v[31:32], null, 0x3c439041, v38, v[0:1]
	s_delay_alu instid0(VALU_DEP_2) | instskip(NEXT) | instid1(VALU_DEP_1)
	v_cmp_lt_u32_e64 s3, 63, v9
	v_cndmask_b32_e64 v36, 0, 0xffffffc0, s3
	s_delay_alu instid0(VALU_DEP_1) | instskip(NEXT) | instid1(VALU_DEP_1)
	v_add_nc_u32_e32 v9, v36, v9
	v_cmp_lt_u32_e64 s4, 31, v9
	s_delay_alu instid0(VALU_DEP_1) | instskip(NEXT) | instid1(VALU_DEP_1)
	v_cndmask_b32_e64 v37, 0, 0xffffffe0, s4
	v_dual_mov_b32 v0, v32 :: v_dual_add_nc_u32 v9, v37, v9
	s_delay_alu instid0(VALU_DEP_1) | instskip(NEXT) | instid1(VALU_DEP_2)
	v_mad_u64_u32 v[32:33], null, 0xdb629599, v38, v[0:1]
	v_cmp_lt_u32_e64 s5, 31, v9
	s_delay_alu instid0(VALU_DEP_2) | instskip(NEXT) | instid1(VALU_DEP_3)
	v_mov_b32_e32 v0, v33
	v_cndmask_b32_e64 v8, v32, v8, s3
	s_delay_alu instid0(VALU_DEP_2) | instskip(NEXT) | instid1(VALU_DEP_1)
	v_mad_u64_u32 v[33:34], null, 0xf534ddc0, v38, v[0:1]
	v_mov_b32_e32 v0, v34
	s_delay_alu instid0(VALU_DEP_1) | instskip(NEXT) | instid1(VALU_DEP_1)
	v_mad_u64_u32 v[34:35], null, 0xfc2757d1, v38, v[0:1]
	v_mov_b32_e32 v0, v35
	s_delay_alu instid0(VALU_DEP_1) | instskip(NEXT) | instid1(VALU_DEP_1)
	v_mad_u64_u32 v[35:36], null, 0x4e441529, v38, v[0:1]
	v_mov_b32_e32 v0, v36
	s_delay_alu instid0(VALU_DEP_1) | instskip(SKIP_1) | instid1(VALU_DEP_4)
	v_mad_u64_u32 v[36:37], null, 0xa2f9836e, v38, v[0:1]
	v_cndmask_b32_e64 v0, 0, 0xffffffe0, s5
	v_cndmask_b32_e64 v38, v35, v33, s3
	s_delay_alu instid0(VALU_DEP_2) | instskip(NEXT) | instid1(VALU_DEP_4)
	v_add_nc_u32_e32 v0, v0, v9
	v_cndmask_b32_e64 v36, v36, v34, s3
	v_cndmask_b32_e64 v35, v37, v35, s3
	;; [unrolled: 1-line block ×4, first 2 shown]
	v_cmp_eq_u32_e64 s6, 0, v0
	v_cndmask_b32_e64 v31, v36, v38, s4
	v_cndmask_b32_e64 v33, v35, v36, s4
	;; [unrolled: 1-line block ×3, first 2 shown]
	v_sub_nc_u32_e32 v36, 32, v0
	v_cndmask_b32_e64 v34, v34, v9, s4
	v_cndmask_b32_e64 v8, v9, v8, s4
	;; [unrolled: 1-line block ×4, first 2 shown]
	s_delay_alu instid0(VALU_DEP_4) | instskip(NEXT) | instid1(VALU_DEP_4)
	v_cndmask_b32_e64 v35, v35, v34, s5
	v_cndmask_b32_e64 v8, v34, v8, s5
	s_delay_alu instid0(VALU_DEP_3) | instskip(NEXT) | instid1(VALU_DEP_3)
	v_alignbit_b32 v37, v33, v31, v36
	v_alignbit_b32 v38, v31, v35, v36
	s_delay_alu instid0(VALU_DEP_3) | instskip(NEXT) | instid1(VALU_DEP_3)
	v_alignbit_b32 v36, v35, v8, v36
	v_cndmask_b32_e64 v0, v37, v33, s6
	s_delay_alu instid0(VALU_DEP_3) | instskip(NEXT) | instid1(VALU_DEP_3)
	v_cndmask_b32_e64 v31, v38, v31, s6
	v_cndmask_b32_e64 v35, v36, v35, s6
	s_delay_alu instid0(VALU_DEP_3) | instskip(NEXT) | instid1(VALU_DEP_3)
	v_bfe_u32 v32, v0, 29, 1
	v_alignbit_b32 v9, v0, v31, 30
	s_delay_alu instid0(VALU_DEP_3) | instskip(SKIP_1) | instid1(VALU_DEP_4)
	v_alignbit_b32 v31, v31, v35, 30
	v_alignbit_b32 v8, v35, v8, 30
	v_sub_nc_u32_e32 v33, 0, v32
	s_delay_alu instid0(VALU_DEP_1) | instskip(SKIP_3) | instid1(VALU_DEP_4)
	v_xor_b32_e32 v34, v9, v33
	v_cmp_ne_u32_e64 s3, v9, v33
	v_xor_b32_e32 v31, v31, v33
	v_xor_b32_e32 v8, v8, v33
	v_clz_i32_u32_e32 v37, v34
	s_delay_alu instid0(VALU_DEP_1) | instskip(NEXT) | instid1(VALU_DEP_1)
	v_add_nc_u32_e32 v36, 1, v37
	v_cndmask_b32_e64 v9, 33, v36, s3
	s_delay_alu instid0(VALU_DEP_1) | instskip(NEXT) | instid1(VALU_DEP_1)
	v_sub_nc_u32_e32 v35, 32, v9
	v_alignbit_b32 v33, v34, v31, v35
	v_alignbit_b32 v8, v31, v8, v35
	v_lshrrev_b32_e32 v31, 29, v0
	v_lshrrev_b32_e32 v0, 30, v0
	s_delay_alu instid0(VALU_DEP_3) | instskip(NEXT) | instid1(VALU_DEP_3)
	v_alignbit_b32 v34, v33, v8, 9
	v_lshlrev_b32_e32 v31, 31, v31
	v_alignbit_b32 v33, v9, v33, 9
	s_delay_alu instid0(VALU_DEP_3) | instskip(NEXT) | instid1(VALU_DEP_2)
	v_clz_i32_u32_e32 v35, v34
	v_or_b32_e32 v33, v33, v31
	v_or_b32_e32 v31, 0x33800000, v31
	s_delay_alu instid0(VALU_DEP_3) | instskip(NEXT) | instid1(VALU_DEP_3)
	v_min_u32_e32 v35, 32, v35
	v_xor_b32_e32 v33, 1.0, v33
	s_delay_alu instid0(VALU_DEP_2) | instskip(SKIP_1) | instid1(VALU_DEP_3)
	v_sub_nc_u32_e32 v36, 31, v35
	v_add_lshl_u32 v9, v35, v9, 23
	v_mul_f32_e32 v35, 0x3fc90fda, v33
	s_delay_alu instid0(VALU_DEP_3) | instskip(NEXT) | instid1(VALU_DEP_3)
	v_alignbit_b32 v8, v34, v8, v36
	v_sub_nc_u32_e32 v9, v31, v9
	s_delay_alu instid0(VALU_DEP_3) | instskip(NEXT) | instid1(VALU_DEP_3)
	v_fma_f32 v31, 0x3fc90fda, v33, -v35
	v_lshrrev_b32_e32 v8, 9, v8
	s_delay_alu instid0(VALU_DEP_2) | instskip(NEXT) | instid1(VALU_DEP_2)
	v_fmac_f32_e32 v31, 0x33a22168, v33
	v_or_b32_e32 v8, v9, v8
	v_add_nc_u32_e32 v9, v32, v0
	s_delay_alu instid0(VALU_DEP_2) | instskip(NEXT) | instid1(VALU_DEP_1)
	v_fmac_f32_e32 v31, 0x3fc90fda, v8
	v_add_f32_e32 v8, v35, v31
	s_and_not1_saveexec_b32 s3, s29
	s_branch .LBB133_333
.LBB133_327:                            ;   in Loop: Header=BB133_181 Depth=1
	s_and_not1_saveexec_b32 s4, s13
	s_cbranch_execz .LBB133_368
.LBB133_328:                            ;   in Loop: Header=BB133_181 Depth=1
	v_mul_f32_e32 v0, 0x3fb8aa3b, v4
	v_cmp_ngt_f32_e64 s3, 0xc2ce8ed0, v4
	s_delay_alu instid0(VALU_DEP_2) | instskip(SKIP_1) | instid1(VALU_DEP_2)
	v_rndne_f32_e32 v8, v0
	v_fma_f32 v9, 0x3fb8aa3b, v4, -v0
	v_sub_f32_e32 v0, v0, v8
	s_delay_alu instid0(VALU_DEP_2) | instskip(SKIP_1) | instid1(VALU_DEP_2)
	v_fmac_f32_e32 v9, 0x32a5705f, v4
	v_cvt_i32_f32_e32 v8, v8
	v_dual_add_f32 v0, v0, v9 :: v_dual_mov_b32 v9, v5
	s_delay_alu instid0(VALU_DEP_1) | instskip(SKIP_2) | instid1(VALU_DEP_1)
	v_exp_f32_e32 v0, v0
	s_waitcnt_depctr 0xfff
	v_ldexp_f32 v0, v0, v8
	v_cndmask_b32_e64 v0, 0, v0, s3
	v_cmp_nlt_f32_e64 s3, 0x42b17218, v4
	s_delay_alu instid0(VALU_DEP_1) | instskip(SKIP_2) | instid1(SALU_CYCLE_1)
	v_cndmask_b32_e64 v8, 0x7f800000, v0, s3
	s_or_b32 exec_lo, exec_lo, s4
	s_and_saveexec_b32 s3, vcc_lo
	s_xor_b32 s3, exec_lo, s3
	s_cbranch_execnz .LBB133_369
.LBB133_329:                            ;   in Loop: Header=BB133_181 Depth=1
	s_or_b32 exec_lo, exec_lo, s3
	s_and_saveexec_b32 s3, s0
	s_cbranch_execz .LBB133_370
.LBB133_330:                            ;   in Loop: Header=BB133_181 Depth=1
	v_add_co_u32 v4, vcc_lo, v18, s8
	v_add_co_ci_u32_e32 v5, vcc_lo, s9, v19, vcc_lo
	global_store_b64 v[4:5], v[10:11], off
	s_or_b32 exec_lo, exec_lo, s3
	s_and_saveexec_b32 s0, s1
	s_cbranch_execnz .LBB133_371
.LBB133_331:                            ;   in Loop: Header=BB133_181 Depth=1
	s_or_b32 exec_lo, exec_lo, s0
	s_and_saveexec_b32 s0, s2
	s_cbranch_execz .LBB133_180
	s_branch .LBB133_372
.LBB133_332:                            ;   in Loop: Header=BB133_181 Depth=1
	s_and_not1_saveexec_b32 s3, s29
.LBB133_333:                            ;   in Loop: Header=BB133_181 Depth=1
	v_mul_f32_e64 v0, 0x3f22f983, |v5|
	s_delay_alu instid0(VALU_DEP_1) | instskip(NEXT) | instid1(VALU_DEP_1)
	v_rndne_f32_e32 v0, v0
	v_fma_f32 v8, 0xbfc90fda, v0, |v5|
	v_cvt_i32_f32_e32 v9, v0
	s_delay_alu instid0(VALU_DEP_2) | instskip(NEXT) | instid1(VALU_DEP_1)
	v_fmac_f32_e32 v8, 0xb3a22168, v0
	v_fmac_f32_e32 v8, 0xa7c234c4, v0
; %bb.334:                              ;   in Loop: Header=BB133_181 Depth=1
	s_or_b32 exec_lo, exec_lo, s3
                                        ; implicit-def: $vgpr31
                                        ; implicit-def: $vgpr0
	s_and_saveexec_b32 s3, s28
	s_delay_alu instid0(SALU_CYCLE_1)
	s_xor_b32 s28, exec_lo, s3
	s_cbranch_execz .LBB133_336
; %bb.335:                              ;   in Loop: Header=BB133_181 Depth=1
	v_and_or_b32 v39, v30, s7, 0x800000
	v_lshrrev_b32_e32 v36, 23, v30
	s_delay_alu instid0(VALU_DEP_2) | instskip(NEXT) | instid1(VALU_DEP_2)
	v_mad_u64_u32 v[31:32], null, 0xfe5163ab, v39, 0
	v_add_nc_u32_e32 v37, 0xffffff88, v36
	s_delay_alu instid0(VALU_DEP_1) | instskip(NEXT) | instid1(VALU_DEP_3)
	v_cmp_lt_u32_e64 s3, 63, v37
	v_mov_b32_e32 v0, v32
	s_delay_alu instid0(VALU_DEP_2) | instskip(NEXT) | instid1(VALU_DEP_2)
	v_cndmask_b32_e64 v38, 0, 0xffffffc0, s3
	v_mad_u64_u32 v[32:33], null, 0x3c439041, v39, v[0:1]
	s_delay_alu instid0(VALU_DEP_2) | instskip(NEXT) | instid1(VALU_DEP_2)
	v_add_nc_u32_e32 v38, v38, v37
	v_mov_b32_e32 v0, v33
	s_delay_alu instid0(VALU_DEP_2) | instskip(NEXT) | instid1(VALU_DEP_2)
	v_cmp_lt_u32_e64 s4, 31, v38
	v_mad_u64_u32 v[33:34], null, 0xdb629599, v39, v[0:1]
	s_delay_alu instid0(VALU_DEP_2) | instskip(NEXT) | instid1(VALU_DEP_1)
	v_cndmask_b32_e64 v40, 0, 0xffffffe0, s4
	v_add_nc_u32_e32 v40, v40, v38
	s_delay_alu instid0(VALU_DEP_3) | instskip(NEXT) | instid1(VALU_DEP_4)
	v_mov_b32_e32 v0, v34
	v_cndmask_b32_e64 v31, v33, v31, s3
	s_delay_alu instid0(VALU_DEP_3) | instskip(NEXT) | instid1(VALU_DEP_3)
	v_cmp_lt_u32_e64 s5, 31, v40
	v_mad_u64_u32 v[34:35], null, 0xf534ddc0, v39, v[0:1]
	s_delay_alu instid0(VALU_DEP_1) | instskip(NEXT) | instid1(VALU_DEP_2)
	v_mov_b32_e32 v0, v35
	v_cndmask_b32_e64 v32, v34, v32, s3
	s_delay_alu instid0(VALU_DEP_2) | instskip(NEXT) | instid1(VALU_DEP_2)
	v_mad_u64_u32 v[35:36], null, 0xfc2757d1, v39, v[0:1]
	v_cndmask_b32_e64 v31, v32, v31, s4
	s_delay_alu instid0(VALU_DEP_2) | instskip(NEXT) | instid1(VALU_DEP_1)
	v_mov_b32_e32 v0, v36
	v_mad_u64_u32 v[36:37], null, 0x4e441529, v39, v[0:1]
	s_delay_alu instid0(VALU_DEP_1) | instskip(NEXT) | instid1(VALU_DEP_1)
	v_mov_b32_e32 v0, v37
	v_mad_u64_u32 v[37:38], null, 0xa2f9836e, v39, v[0:1]
	v_cndmask_b32_e64 v0, 0, 0xffffffe0, s5
	s_delay_alu instid0(VALU_DEP_4) | instskip(NEXT) | instid1(VALU_DEP_2)
	v_cndmask_b32_e64 v39, v36, v34, s3
	v_add_nc_u32_e32 v0, v0, v40
	s_delay_alu instid0(VALU_DEP_4) | instskip(SKIP_2) | instid1(VALU_DEP_4)
	v_cndmask_b32_e64 v37, v37, v35, s3
	v_cndmask_b32_e64 v36, v38, v36, s3
	;; [unrolled: 1-line block ×3, first 2 shown]
	v_sub_nc_u32_e32 v38, 32, v0
	s_delay_alu instid0(VALU_DEP_4) | instskip(NEXT) | instid1(VALU_DEP_4)
	v_cndmask_b32_e64 v34, v37, v39, s4
	v_cndmask_b32_e64 v36, v36, v37, s4
	s_delay_alu instid0(VALU_DEP_4) | instskip(SKIP_2) | instid1(VALU_DEP_4)
	v_cndmask_b32_e64 v37, v39, v35, s4
	v_cndmask_b32_e64 v35, v35, v32, s4
	v_cmp_eq_u32_e64 s6, 0, v0
	v_cndmask_b32_e64 v36, v36, v34, s5
	s_delay_alu instid0(VALU_DEP_4) | instskip(NEXT) | instid1(VALU_DEP_4)
	v_cndmask_b32_e64 v34, v34, v37, s5
	v_cndmask_b32_e64 v37, v37, v35, s5
	;; [unrolled: 1-line block ×3, first 2 shown]
	s_delay_alu instid0(VALU_DEP_3) | instskip(NEXT) | instid1(VALU_DEP_3)
	v_alignbit_b32 v39, v36, v34, v38
	v_alignbit_b32 v40, v34, v37, v38
	s_delay_alu instid0(VALU_DEP_3) | instskip(NEXT) | instid1(VALU_DEP_3)
	v_alignbit_b32 v38, v37, v31, v38
	v_cndmask_b32_e64 v0, v39, v36, s6
	s_delay_alu instid0(VALU_DEP_3) | instskip(NEXT) | instid1(VALU_DEP_3)
	v_cndmask_b32_e64 v33, v40, v34, s6
	v_cndmask_b32_e64 v37, v38, v37, s6
	s_delay_alu instid0(VALU_DEP_3) | instskip(NEXT) | instid1(VALU_DEP_3)
	v_bfe_u32 v34, v0, 29, 1
	v_alignbit_b32 v32, v0, v33, 30
	s_delay_alu instid0(VALU_DEP_3) | instskip(SKIP_1) | instid1(VALU_DEP_4)
	v_alignbit_b32 v33, v33, v37, 30
	v_alignbit_b32 v31, v37, v31, 30
	v_sub_nc_u32_e32 v36, 0, v34
	s_delay_alu instid0(VALU_DEP_1) | instskip(SKIP_3) | instid1(VALU_DEP_4)
	v_xor_b32_e32 v35, v32, v36
	v_cmp_ne_u32_e64 s3, v32, v36
	v_xor_b32_e32 v33, v33, v36
	v_xor_b32_e32 v31, v31, v36
	v_clz_i32_u32_e32 v39, v35
	s_delay_alu instid0(VALU_DEP_1) | instskip(NEXT) | instid1(VALU_DEP_1)
	v_add_nc_u32_e32 v38, 1, v39
	v_cndmask_b32_e64 v32, 33, v38, s3
	s_delay_alu instid0(VALU_DEP_1) | instskip(NEXT) | instid1(VALU_DEP_1)
	v_sub_nc_u32_e32 v37, 32, v32
	v_alignbit_b32 v35, v35, v33, v37
	v_alignbit_b32 v31, v33, v31, v37
	v_lshrrev_b32_e32 v33, 29, v0
	s_delay_alu instid0(VALU_DEP_2) | instskip(NEXT) | instid1(VALU_DEP_2)
	v_alignbit_b32 v36, v35, v31, 9
	v_lshlrev_b32_e32 v33, 31, v33
	v_alignbit_b32 v35, v32, v35, 9
	s_delay_alu instid0(VALU_DEP_3) | instskip(NEXT) | instid1(VALU_DEP_2)
	v_clz_i32_u32_e32 v37, v36
	v_or_b32_e32 v35, v35, v33
	v_or_b32_e32 v33, 0x33800000, v33
	s_delay_alu instid0(VALU_DEP_3) | instskip(NEXT) | instid1(VALU_DEP_3)
	v_min_u32_e32 v37, 32, v37
	v_xor_b32_e32 v35, 1.0, v35
	s_delay_alu instid0(VALU_DEP_2) | instskip(SKIP_1) | instid1(VALU_DEP_3)
	v_sub_nc_u32_e32 v38, 31, v37
	v_add_lshl_u32 v32, v37, v32, 23
	v_mul_f32_e32 v37, 0x3fc90fda, v35
	s_delay_alu instid0(VALU_DEP_3) | instskip(NEXT) | instid1(VALU_DEP_3)
	v_alignbit_b32 v31, v36, v31, v38
	v_sub_nc_u32_e32 v32, v33, v32
	s_delay_alu instid0(VALU_DEP_3) | instskip(NEXT) | instid1(VALU_DEP_3)
	v_fma_f32 v33, 0x3fc90fda, v35, -v37
	v_lshrrev_b32_e32 v31, 9, v31
	s_delay_alu instid0(VALU_DEP_2) | instskip(NEXT) | instid1(VALU_DEP_2)
	v_fmac_f32_e32 v33, 0x33a22168, v35
	v_or_b32_e32 v31, v32, v31
	s_delay_alu instid0(VALU_DEP_1) | instskip(SKIP_1) | instid1(VALU_DEP_1)
	v_fmac_f32_e32 v33, 0x3fc90fda, v31
	v_lshrrev_b32_e32 v31, 30, v0
	v_dual_add_f32 v0, v37, v33 :: v_dual_add_nc_u32 v31, v34, v31
	s_and_not1_saveexec_b32 s3, s28
	s_cbranch_execnz .LBB133_337
	s_branch .LBB133_338
.LBB133_336:                            ;   in Loop: Header=BB133_181 Depth=1
	s_and_not1_saveexec_b32 s3, s28
.LBB133_337:                            ;   in Loop: Header=BB133_181 Depth=1
	v_mul_f32_e64 v0, 0x3f22f983, |v5|
	s_delay_alu instid0(VALU_DEP_1) | instskip(NEXT) | instid1(VALU_DEP_1)
	v_rndne_f32_e32 v31, v0
	v_fma_f32 v0, 0xbfc90fda, v31, |v5|
	s_delay_alu instid0(VALU_DEP_1) | instskip(NEXT) | instid1(VALU_DEP_1)
	v_fmac_f32_e32 v0, 0xb3a22168, v31
	v_fmac_f32_e32 v0, 0xa7c234c4, v31
	v_cvt_i32_f32_e32 v31, v31
.LBB133_338:                            ;   in Loop: Header=BB133_181 Depth=1
	s_or_b32 exec_lo, exec_lo, s3
	v_mul_f32_e32 v32, 0x3fb8aa3b, v4
	v_dual_mul_f32 v33, v8, v8 :: v_dual_and_b32 v34, 1, v9
	v_lshlrev_b32_e32 v9, 30, v9
	v_dual_mul_f32 v37, v0, v0 :: v_dual_and_b32 v38, 1, v31
	s_delay_alu instid0(VALU_DEP_4) | instskip(SKIP_2) | instid1(VALU_DEP_3)
	v_rndne_f32_e32 v35, v32
	v_fma_f32 v36, 0x3fb8aa3b, v4, -v32
	v_dual_fmaak_f32 v40, s23, v33, 0xbab64f3b :: v_dual_lshlrev_b32 v31, 30, v31
	v_dual_fmaak_f32 v39, s22, v33, 0x3c0881c4 :: v_dual_sub_f32 v32, v32, v35
	s_delay_alu instid0(VALU_DEP_3)
	v_fmac_f32_e32 v36, 0x32a5705f, v4
	v_fmaak_f32 v41, s22, v37, 0x3c0881c4
	v_fmaak_f32 v42, s23, v37, 0xbab64f3b
	v_cmp_eq_u32_e64 s3, 0, v34
	v_cvt_i32_f32_e32 v35, v35
	v_add_f32_e32 v32, v32, v36
	v_fmaak_f32 v36, v33, v39, 0xbe2aaa9d
	v_fmaak_f32 v39, v33, v40, 0x3d2aabf7
	;; [unrolled: 1-line block ×3, first 2 shown]
	v_and_b32_e32 v9, 0x80000000, v9
	v_exp_f32_e32 v32, v32
	v_mul_f32_e32 v36, v33, v36
	v_fmaak_f32 v41, v37, v42, 0x3d2aabf7
	v_mul_f32_e32 v40, v37, v40
	v_fmaak_f32 v39, v33, v39, 0xbf000004
	v_and_or_b32 v30, 0x80000000, v31, v30
	s_delay_alu instid0(VALU_DEP_4) | instskip(NEXT) | instid1(VALU_DEP_4)
	v_dual_fmac_f32 v8, v8, v36 :: v_dual_fmaak_f32 v41, v37, v41, 0xbf000004
	v_fmac_f32_e32 v0, v0, v40
	s_delay_alu instid0(VALU_DEP_4) | instskip(NEXT) | instid1(TRANS32_DEP_1)
	v_fma_f32 v33, v33, v39, 1.0
	v_ldexp_f32 v32, v32, v35
	v_cmp_nlt_f32_e64 s4, 0x42b17218, v4
	v_fma_f32 v36, v37, v41, 1.0
	s_delay_alu instid0(VALU_DEP_4) | instskip(SKIP_1) | instid1(VALU_DEP_2)
	v_cndmask_b32_e64 v8, -v8, v33, s3
	v_cmp_eq_u32_e64 s3, 0, v38
	v_xor_b32_e32 v8, v9, v8
	s_delay_alu instid0(VALU_DEP_2) | instskip(SKIP_1) | instid1(VALU_DEP_2)
	v_cndmask_b32_e64 v0, v36, v0, s3
	v_cmp_ngt_f32_e64 s3, 0xc2ce8ed0, v4
	v_xor3_b32 v0, v30, v0, v5
	s_delay_alu instid0(VALU_DEP_2) | instskip(SKIP_1) | instid1(VALU_DEP_2)
	v_cndmask_b32_e64 v31, 0, v32, s3
	v_cmp_class_f32_e64 s3, v5, 0x1f8
                                        ; implicit-def: $vgpr30
	v_cndmask_b32_e64 v4, 0x7f800000, v31, s4
	s_delay_alu instid0(VALU_DEP_2) | instskip(SKIP_1) | instid1(VALU_DEP_2)
	v_cndmask_b32_e64 v5, 0x7fc00000, v8, s3
	v_cndmask_b32_e64 v0, 0x7fc00000, v0, s3
	v_mul_f32_e32 v8, v4, v5
	s_delay_alu instid0(VALU_DEP_2)
	v_mul_f32_e32 v9, v4, v0
                                        ; implicit-def: $vgpr5
.LBB133_339:                            ;   in Loop: Header=BB133_181 Depth=1
	s_and_not1_saveexec_b32 s27, s27
	s_cbranch_execz .LBB133_349
; %bb.340:                              ;   in Loop: Header=BB133_181 Depth=1
	v_cmp_ngt_f32_e64 s28, 0x48000000, |v5|
                                        ; implicit-def: $vgpr9
                                        ; implicit-def: $vgpr8
	s_delay_alu instid0(VALU_DEP_1) | instskip(NEXT) | instid1(SALU_CYCLE_1)
	s_and_saveexec_b32 s3, s28
	s_xor_b32 s29, exec_lo, s3
	s_cbranch_execz .LBB133_342
; %bb.341:                              ;   in Loop: Header=BB133_181 Depth=1
	v_and_or_b32 v38, v30, s7, 0x800000
	s_delay_alu instid0(VALU_DEP_1) | instskip(NEXT) | instid1(VALU_DEP_1)
	v_mad_u64_u32 v[8:9], null, 0xfe5163ab, v38, 0
	v_mov_b32_e32 v0, v9
	v_lshrrev_b32_e32 v9, 23, v30
	s_delay_alu instid0(VALU_DEP_1) | instskip(NEXT) | instid1(VALU_DEP_3)
	v_add_nc_u32_e32 v9, 0xffffff88, v9
	v_mad_u64_u32 v[31:32], null, 0x3c439041, v38, v[0:1]
	s_delay_alu instid0(VALU_DEP_2) | instskip(NEXT) | instid1(VALU_DEP_1)
	v_cmp_lt_u32_e64 s3, 63, v9
	v_cndmask_b32_e64 v36, 0, 0xffffffc0, s3
	s_delay_alu instid0(VALU_DEP_1) | instskip(NEXT) | instid1(VALU_DEP_1)
	v_add_nc_u32_e32 v9, v36, v9
	v_cmp_lt_u32_e64 s4, 31, v9
	s_delay_alu instid0(VALU_DEP_1) | instskip(NEXT) | instid1(VALU_DEP_1)
	v_cndmask_b32_e64 v37, 0, 0xffffffe0, s4
	v_dual_mov_b32 v0, v32 :: v_dual_add_nc_u32 v9, v37, v9
	s_delay_alu instid0(VALU_DEP_1) | instskip(NEXT) | instid1(VALU_DEP_2)
	v_mad_u64_u32 v[32:33], null, 0xdb629599, v38, v[0:1]
	v_cmp_lt_u32_e64 s5, 31, v9
	s_delay_alu instid0(VALU_DEP_2) | instskip(NEXT) | instid1(VALU_DEP_3)
	v_mov_b32_e32 v0, v33
	v_cndmask_b32_e64 v8, v32, v8, s3
	s_delay_alu instid0(VALU_DEP_2) | instskip(NEXT) | instid1(VALU_DEP_1)
	v_mad_u64_u32 v[33:34], null, 0xf534ddc0, v38, v[0:1]
	v_mov_b32_e32 v0, v34
	s_delay_alu instid0(VALU_DEP_1) | instskip(NEXT) | instid1(VALU_DEP_1)
	v_mad_u64_u32 v[34:35], null, 0xfc2757d1, v38, v[0:1]
	v_mov_b32_e32 v0, v35
	s_delay_alu instid0(VALU_DEP_1) | instskip(NEXT) | instid1(VALU_DEP_1)
	v_mad_u64_u32 v[35:36], null, 0x4e441529, v38, v[0:1]
	v_mov_b32_e32 v0, v36
	s_delay_alu instid0(VALU_DEP_1) | instskip(SKIP_1) | instid1(VALU_DEP_4)
	v_mad_u64_u32 v[36:37], null, 0xa2f9836e, v38, v[0:1]
	v_cndmask_b32_e64 v0, 0, 0xffffffe0, s5
	v_cndmask_b32_e64 v38, v35, v33, s3
	s_delay_alu instid0(VALU_DEP_2) | instskip(NEXT) | instid1(VALU_DEP_4)
	v_add_nc_u32_e32 v0, v0, v9
	v_cndmask_b32_e64 v36, v36, v34, s3
	v_cndmask_b32_e64 v35, v37, v35, s3
	;; [unrolled: 1-line block ×4, first 2 shown]
	v_cmp_eq_u32_e64 s6, 0, v0
	v_cndmask_b32_e64 v31, v36, v38, s4
	v_cndmask_b32_e64 v33, v35, v36, s4
	;; [unrolled: 1-line block ×3, first 2 shown]
	v_sub_nc_u32_e32 v36, 32, v0
	v_cndmask_b32_e64 v34, v34, v9, s4
	v_cndmask_b32_e64 v8, v9, v8, s4
	;; [unrolled: 1-line block ×4, first 2 shown]
	s_delay_alu instid0(VALU_DEP_4) | instskip(NEXT) | instid1(VALU_DEP_4)
	v_cndmask_b32_e64 v35, v35, v34, s5
	v_cndmask_b32_e64 v8, v34, v8, s5
	s_delay_alu instid0(VALU_DEP_3) | instskip(NEXT) | instid1(VALU_DEP_3)
	v_alignbit_b32 v37, v33, v31, v36
	v_alignbit_b32 v38, v31, v35, v36
	s_delay_alu instid0(VALU_DEP_3) | instskip(NEXT) | instid1(VALU_DEP_3)
	v_alignbit_b32 v36, v35, v8, v36
	v_cndmask_b32_e64 v0, v37, v33, s6
	s_delay_alu instid0(VALU_DEP_3) | instskip(NEXT) | instid1(VALU_DEP_3)
	v_cndmask_b32_e64 v31, v38, v31, s6
	v_cndmask_b32_e64 v35, v36, v35, s6
	s_delay_alu instid0(VALU_DEP_3) | instskip(NEXT) | instid1(VALU_DEP_3)
	v_bfe_u32 v32, v0, 29, 1
	v_alignbit_b32 v9, v0, v31, 30
	s_delay_alu instid0(VALU_DEP_3) | instskip(SKIP_1) | instid1(VALU_DEP_4)
	v_alignbit_b32 v31, v31, v35, 30
	v_alignbit_b32 v8, v35, v8, 30
	v_sub_nc_u32_e32 v33, 0, v32
	s_delay_alu instid0(VALU_DEP_1) | instskip(SKIP_3) | instid1(VALU_DEP_4)
	v_xor_b32_e32 v34, v9, v33
	v_cmp_ne_u32_e64 s3, v9, v33
	v_xor_b32_e32 v31, v31, v33
	v_xor_b32_e32 v8, v8, v33
	v_clz_i32_u32_e32 v37, v34
	s_delay_alu instid0(VALU_DEP_1) | instskip(NEXT) | instid1(VALU_DEP_1)
	v_add_nc_u32_e32 v36, 1, v37
	v_cndmask_b32_e64 v9, 33, v36, s3
	s_delay_alu instid0(VALU_DEP_1) | instskip(NEXT) | instid1(VALU_DEP_1)
	v_sub_nc_u32_e32 v35, 32, v9
	v_alignbit_b32 v33, v34, v31, v35
	v_alignbit_b32 v8, v31, v8, v35
	v_lshrrev_b32_e32 v31, 29, v0
	v_lshrrev_b32_e32 v0, 30, v0
	s_delay_alu instid0(VALU_DEP_3) | instskip(NEXT) | instid1(VALU_DEP_3)
	v_alignbit_b32 v34, v33, v8, 9
	v_lshlrev_b32_e32 v31, 31, v31
	v_alignbit_b32 v33, v9, v33, 9
	s_delay_alu instid0(VALU_DEP_3) | instskip(NEXT) | instid1(VALU_DEP_2)
	v_clz_i32_u32_e32 v35, v34
	v_or_b32_e32 v33, v33, v31
	v_or_b32_e32 v31, 0x33800000, v31
	s_delay_alu instid0(VALU_DEP_3) | instskip(NEXT) | instid1(VALU_DEP_3)
	v_min_u32_e32 v35, 32, v35
	v_xor_b32_e32 v33, 1.0, v33
	s_delay_alu instid0(VALU_DEP_2) | instskip(SKIP_1) | instid1(VALU_DEP_3)
	v_sub_nc_u32_e32 v36, 31, v35
	v_add_lshl_u32 v9, v35, v9, 23
	v_mul_f32_e32 v35, 0x3fc90fda, v33
	s_delay_alu instid0(VALU_DEP_3) | instskip(NEXT) | instid1(VALU_DEP_3)
	v_alignbit_b32 v8, v34, v8, v36
	v_sub_nc_u32_e32 v9, v31, v9
	s_delay_alu instid0(VALU_DEP_3) | instskip(NEXT) | instid1(VALU_DEP_3)
	v_fma_f32 v31, 0x3fc90fda, v33, -v35
	v_lshrrev_b32_e32 v8, 9, v8
	s_delay_alu instid0(VALU_DEP_2) | instskip(NEXT) | instid1(VALU_DEP_2)
	v_fmac_f32_e32 v31, 0x33a22168, v33
	v_or_b32_e32 v8, v9, v8
	v_add_nc_u32_e32 v9, v32, v0
	s_delay_alu instid0(VALU_DEP_2) | instskip(NEXT) | instid1(VALU_DEP_1)
	v_fmac_f32_e32 v31, 0x3fc90fda, v8
	v_add_f32_e32 v8, v35, v31
	s_and_not1_saveexec_b32 s3, s29
	s_branch .LBB133_343
.LBB133_342:                            ;   in Loop: Header=BB133_181 Depth=1
	s_and_not1_saveexec_b32 s3, s29
.LBB133_343:                            ;   in Loop: Header=BB133_181 Depth=1
	v_mul_f32_e64 v0, 0x3f22f983, |v5|
	s_delay_alu instid0(VALU_DEP_1) | instskip(NEXT) | instid1(VALU_DEP_1)
	v_rndne_f32_e32 v0, v0
	v_fma_f32 v8, 0xbfc90fda, v0, |v5|
	v_cvt_i32_f32_e32 v9, v0
	s_delay_alu instid0(VALU_DEP_2) | instskip(NEXT) | instid1(VALU_DEP_1)
	v_fmac_f32_e32 v8, 0xb3a22168, v0
	v_fmac_f32_e32 v8, 0xa7c234c4, v0
; %bb.344:                              ;   in Loop: Header=BB133_181 Depth=1
	s_or_b32 exec_lo, exec_lo, s3
                                        ; implicit-def: $vgpr31
                                        ; implicit-def: $vgpr0
	s_and_saveexec_b32 s3, s28
	s_delay_alu instid0(SALU_CYCLE_1)
	s_xor_b32 s28, exec_lo, s3
	s_cbranch_execz .LBB133_346
; %bb.345:                              ;   in Loop: Header=BB133_181 Depth=1
	v_and_or_b32 v39, v30, s7, 0x800000
	v_lshrrev_b32_e32 v36, 23, v30
	s_delay_alu instid0(VALU_DEP_2) | instskip(NEXT) | instid1(VALU_DEP_2)
	v_mad_u64_u32 v[31:32], null, 0xfe5163ab, v39, 0
	v_add_nc_u32_e32 v37, 0xffffff88, v36
	s_delay_alu instid0(VALU_DEP_1) | instskip(NEXT) | instid1(VALU_DEP_3)
	v_cmp_lt_u32_e64 s3, 63, v37
	v_mov_b32_e32 v0, v32
	s_delay_alu instid0(VALU_DEP_2) | instskip(NEXT) | instid1(VALU_DEP_2)
	v_cndmask_b32_e64 v38, 0, 0xffffffc0, s3
	v_mad_u64_u32 v[32:33], null, 0x3c439041, v39, v[0:1]
	s_delay_alu instid0(VALU_DEP_2) | instskip(NEXT) | instid1(VALU_DEP_2)
	v_add_nc_u32_e32 v38, v38, v37
	v_mov_b32_e32 v0, v33
	s_delay_alu instid0(VALU_DEP_2) | instskip(NEXT) | instid1(VALU_DEP_2)
	v_cmp_lt_u32_e64 s4, 31, v38
	v_mad_u64_u32 v[33:34], null, 0xdb629599, v39, v[0:1]
	s_delay_alu instid0(VALU_DEP_2) | instskip(NEXT) | instid1(VALU_DEP_1)
	v_cndmask_b32_e64 v40, 0, 0xffffffe0, s4
	v_add_nc_u32_e32 v40, v40, v38
	s_delay_alu instid0(VALU_DEP_3) | instskip(NEXT) | instid1(VALU_DEP_4)
	v_mov_b32_e32 v0, v34
	v_cndmask_b32_e64 v31, v33, v31, s3
	s_delay_alu instid0(VALU_DEP_3) | instskip(NEXT) | instid1(VALU_DEP_3)
	v_cmp_lt_u32_e64 s5, 31, v40
	v_mad_u64_u32 v[34:35], null, 0xf534ddc0, v39, v[0:1]
	s_delay_alu instid0(VALU_DEP_1) | instskip(NEXT) | instid1(VALU_DEP_2)
	v_mov_b32_e32 v0, v35
	v_cndmask_b32_e64 v32, v34, v32, s3
	s_delay_alu instid0(VALU_DEP_2) | instskip(NEXT) | instid1(VALU_DEP_2)
	v_mad_u64_u32 v[35:36], null, 0xfc2757d1, v39, v[0:1]
	v_cndmask_b32_e64 v31, v32, v31, s4
	s_delay_alu instid0(VALU_DEP_2) | instskip(NEXT) | instid1(VALU_DEP_1)
	v_mov_b32_e32 v0, v36
	v_mad_u64_u32 v[36:37], null, 0x4e441529, v39, v[0:1]
	s_delay_alu instid0(VALU_DEP_1) | instskip(NEXT) | instid1(VALU_DEP_1)
	v_mov_b32_e32 v0, v37
	v_mad_u64_u32 v[37:38], null, 0xa2f9836e, v39, v[0:1]
	v_cndmask_b32_e64 v0, 0, 0xffffffe0, s5
	s_delay_alu instid0(VALU_DEP_4) | instskip(NEXT) | instid1(VALU_DEP_2)
	v_cndmask_b32_e64 v39, v36, v34, s3
	v_add_nc_u32_e32 v0, v0, v40
	s_delay_alu instid0(VALU_DEP_4) | instskip(SKIP_2) | instid1(VALU_DEP_4)
	v_cndmask_b32_e64 v37, v37, v35, s3
	v_cndmask_b32_e64 v36, v38, v36, s3
	;; [unrolled: 1-line block ×3, first 2 shown]
	v_sub_nc_u32_e32 v38, 32, v0
	s_delay_alu instid0(VALU_DEP_4) | instskip(NEXT) | instid1(VALU_DEP_4)
	v_cndmask_b32_e64 v34, v37, v39, s4
	v_cndmask_b32_e64 v36, v36, v37, s4
	s_delay_alu instid0(VALU_DEP_4) | instskip(SKIP_2) | instid1(VALU_DEP_4)
	v_cndmask_b32_e64 v37, v39, v35, s4
	v_cndmask_b32_e64 v35, v35, v32, s4
	v_cmp_eq_u32_e64 s6, 0, v0
	v_cndmask_b32_e64 v36, v36, v34, s5
	s_delay_alu instid0(VALU_DEP_4) | instskip(NEXT) | instid1(VALU_DEP_4)
	v_cndmask_b32_e64 v34, v34, v37, s5
	v_cndmask_b32_e64 v37, v37, v35, s5
	v_cndmask_b32_e64 v31, v35, v31, s5
	s_delay_alu instid0(VALU_DEP_3) | instskip(NEXT) | instid1(VALU_DEP_3)
	v_alignbit_b32 v39, v36, v34, v38
	v_alignbit_b32 v40, v34, v37, v38
	s_delay_alu instid0(VALU_DEP_3) | instskip(NEXT) | instid1(VALU_DEP_3)
	v_alignbit_b32 v38, v37, v31, v38
	v_cndmask_b32_e64 v0, v39, v36, s6
	s_delay_alu instid0(VALU_DEP_3) | instskip(NEXT) | instid1(VALU_DEP_3)
	v_cndmask_b32_e64 v33, v40, v34, s6
	v_cndmask_b32_e64 v37, v38, v37, s6
	s_delay_alu instid0(VALU_DEP_3) | instskip(NEXT) | instid1(VALU_DEP_3)
	v_bfe_u32 v34, v0, 29, 1
	v_alignbit_b32 v32, v0, v33, 30
	s_delay_alu instid0(VALU_DEP_3) | instskip(SKIP_1) | instid1(VALU_DEP_4)
	v_alignbit_b32 v33, v33, v37, 30
	v_alignbit_b32 v31, v37, v31, 30
	v_sub_nc_u32_e32 v36, 0, v34
	s_delay_alu instid0(VALU_DEP_1) | instskip(SKIP_3) | instid1(VALU_DEP_4)
	v_xor_b32_e32 v35, v32, v36
	v_cmp_ne_u32_e64 s3, v32, v36
	v_xor_b32_e32 v33, v33, v36
	v_xor_b32_e32 v31, v31, v36
	v_clz_i32_u32_e32 v39, v35
	s_delay_alu instid0(VALU_DEP_1) | instskip(NEXT) | instid1(VALU_DEP_1)
	v_add_nc_u32_e32 v38, 1, v39
	v_cndmask_b32_e64 v32, 33, v38, s3
	s_delay_alu instid0(VALU_DEP_1) | instskip(NEXT) | instid1(VALU_DEP_1)
	v_sub_nc_u32_e32 v37, 32, v32
	v_alignbit_b32 v35, v35, v33, v37
	v_alignbit_b32 v31, v33, v31, v37
	v_lshrrev_b32_e32 v33, 29, v0
	s_delay_alu instid0(VALU_DEP_2) | instskip(NEXT) | instid1(VALU_DEP_2)
	v_alignbit_b32 v36, v35, v31, 9
	v_lshlrev_b32_e32 v33, 31, v33
	v_alignbit_b32 v35, v32, v35, 9
	s_delay_alu instid0(VALU_DEP_3) | instskip(NEXT) | instid1(VALU_DEP_2)
	v_clz_i32_u32_e32 v37, v36
	v_or_b32_e32 v35, v35, v33
	v_or_b32_e32 v33, 0x33800000, v33
	s_delay_alu instid0(VALU_DEP_3) | instskip(NEXT) | instid1(VALU_DEP_3)
	v_min_u32_e32 v37, 32, v37
	v_xor_b32_e32 v35, 1.0, v35
	s_delay_alu instid0(VALU_DEP_2) | instskip(SKIP_1) | instid1(VALU_DEP_3)
	v_sub_nc_u32_e32 v38, 31, v37
	v_add_lshl_u32 v32, v37, v32, 23
	v_mul_f32_e32 v37, 0x3fc90fda, v35
	s_delay_alu instid0(VALU_DEP_3) | instskip(NEXT) | instid1(VALU_DEP_3)
	v_alignbit_b32 v31, v36, v31, v38
	v_sub_nc_u32_e32 v32, v33, v32
	s_delay_alu instid0(VALU_DEP_3) | instskip(NEXT) | instid1(VALU_DEP_3)
	v_fma_f32 v33, 0x3fc90fda, v35, -v37
	v_lshrrev_b32_e32 v31, 9, v31
	s_delay_alu instid0(VALU_DEP_2) | instskip(NEXT) | instid1(VALU_DEP_2)
	v_fmac_f32_e32 v33, 0x33a22168, v35
	v_or_b32_e32 v31, v32, v31
	s_delay_alu instid0(VALU_DEP_1) | instskip(SKIP_1) | instid1(VALU_DEP_1)
	v_fmac_f32_e32 v33, 0x3fc90fda, v31
	v_lshrrev_b32_e32 v31, 30, v0
	v_dual_add_f32 v0, v37, v33 :: v_dual_add_nc_u32 v31, v34, v31
	s_and_not1_saveexec_b32 s3, s28
	s_cbranch_execnz .LBB133_347
	s_branch .LBB133_348
.LBB133_346:                            ;   in Loop: Header=BB133_181 Depth=1
	s_and_not1_saveexec_b32 s3, s28
.LBB133_347:                            ;   in Loop: Header=BB133_181 Depth=1
	v_mul_f32_e64 v0, 0x3f22f983, |v5|
	s_delay_alu instid0(VALU_DEP_1) | instskip(NEXT) | instid1(VALU_DEP_1)
	v_rndne_f32_e32 v31, v0
	v_fma_f32 v0, 0xbfc90fda, v31, |v5|
	s_delay_alu instid0(VALU_DEP_1) | instskip(NEXT) | instid1(VALU_DEP_1)
	v_fmac_f32_e32 v0, 0xb3a22168, v31
	v_fmac_f32_e32 v0, 0xa7c234c4, v31
	v_cvt_i32_f32_e32 v31, v31
.LBB133_348:                            ;   in Loop: Header=BB133_181 Depth=1
	s_or_b32 exec_lo, exec_lo, s3
	v_add_f32_e32 v4, 0xc322e3bc, v4
	v_mul_f32_e32 v35, v8, v8
	v_mul_f32_e32 v36, v0, v0
	s_delay_alu instid0(VALU_DEP_3) | instskip(NEXT) | instid1(VALU_DEP_3)
	v_mul_f32_e32 v32, 0x3fb8aa3b, v4
	v_fmaak_f32 v37, s23, v35, 0xbab64f3b
	s_delay_alu instid0(VALU_DEP_3) | instskip(NEXT) | instid1(VALU_DEP_3)
	v_dual_fmaak_f32 v38, s22, v35, 0x3c0881c4 :: v_dual_fmaak_f32 v39, s22, v36, 0x3c0881c4
	v_fma_f32 v33, 0x3fb8aa3b, v4, -v32
	v_rndne_f32_e32 v34, v32
	s_delay_alu instid0(VALU_DEP_3) | instskip(NEXT) | instid1(VALU_DEP_2)
	v_fmaak_f32 v39, v36, v39, 0xbe2aaa9d
	v_dual_fmac_f32 v33, 0x32a5705f, v4 :: v_dual_sub_f32 v32, v32, v34
	s_delay_alu instid0(VALU_DEP_2) | instskip(NEXT) | instid1(VALU_DEP_2)
	v_mul_f32_e32 v39, v36, v39
	v_add_f32_e32 v32, v32, v33
	v_cvt_i32_f32_e32 v33, v34
	v_lshlrev_b32_e32 v34, 30, v9
	v_and_b32_e32 v9, 1, v9
	v_cmp_ngt_f32_e64 s3, 0xc2ce8ed0, v4
	v_exp_f32_e32 v32, v32
	v_fmac_f32_e32 v0, v0, v39
	s_waitcnt_depctr 0xfff
	v_ldexp_f32 v32, v32, v33
	v_and_b32_e32 v33, 1, v31
	v_lshlrev_b32_e32 v31, 30, v31
	s_delay_alu instid0(VALU_DEP_3) | instskip(SKIP_1) | instid1(VALU_DEP_3)
	v_cndmask_b32_e64 v32, 0, v32, s3
	v_cmp_nlt_f32_e64 s3, 0x42b17218, v4
	v_and_or_b32 v30, 0x80000000, v31, v30
	s_delay_alu instid0(VALU_DEP_2)
	v_cndmask_b32_e64 v4, 0x7f800000, v32, s3
	v_fmaak_f32 v32, s23, v36, 0xbab64f3b
	v_fmaak_f32 v31, v35, v37, 0x3d2aabf7
	;; [unrolled: 1-line block ×3, first 2 shown]
	v_and_b32_e32 v34, 0x80000000, v34
	v_lshrrev_b32_e32 v38, 23, v4
	v_fmaak_f32 v32, v36, v32, 0x3d2aabf7
	v_fmaak_f32 v31, v35, v31, 0xbf000004
	v_mul_f32_e32 v37, v35, v37
	v_cmp_eq_u32_e64 s3, 0, v9
	v_subrev_nc_u32_e32 v38, 19, v38
	v_fmaak_f32 v32, v36, v32, 0xbf000004
	v_fma_f32 v31, v35, v31, 1.0
	v_and_or_b32 v4, 0x7fffff, v4, s24
	v_fmac_f32_e32 v8, v8, v37
	v_lshrrev_b16 v35, 15, v38
	v_fma_f32 v32, v36, v32, 1.0
	s_delay_alu instid0(VALU_DEP_3) | instskip(SKIP_1) | instid1(VALU_DEP_4)
	v_cndmask_b32_e64 v8, -v8, v31, s3
	v_cmp_eq_u32_e64 s3, 0, v33
	v_add_nc_u16 v9, v38, v35
	s_delay_alu instid0(VALU_DEP_3) | instskip(NEXT) | instid1(VALU_DEP_3)
	v_xor_b32_e32 v8, v34, v8
	v_cndmask_b32_e64 v0, v32, v0, s3
	s_delay_alu instid0(VALU_DEP_3) | instskip(SKIP_1) | instid1(VALU_DEP_3)
	v_ashrrev_i16 v9, 1, v9
	v_cmp_class_f32_e64 s3, v5, 0x1f8
	v_xor3_b32 v0, v30, v0, v5
	s_delay_alu instid0(VALU_DEP_2) | instskip(NEXT) | instid1(VALU_DEP_4)
	v_cndmask_b32_e64 v5, 0x7fc00000, v8, s3
	v_bfe_i32 v8, v9, 0, 16
	s_delay_alu instid0(VALU_DEP_3) | instskip(NEXT) | instid1(VALU_DEP_3)
	v_cndmask_b32_e64 v0, 0x7fc00000, v0, s3
	v_mul_f32_e32 v5, v5, v4
	s_delay_alu instid0(VALU_DEP_3) | instskip(SKIP_1) | instid1(VALU_DEP_4)
	v_lshl_add_u32 v9, v8, 23, 1.0
	v_sub_nc_u32_e32 v8, v38, v8
	v_mul_f32_e32 v0, v0, v4
	s_delay_alu instid0(VALU_DEP_3) | instskip(NEXT) | instid1(VALU_DEP_3)
	v_mul_f32_e32 v4, v5, v9
	v_lshl_add_u32 v5, v8, 23, 1.0
	s_delay_alu instid0(VALU_DEP_3) | instskip(NEXT) | instid1(VALU_DEP_2)
	v_mul_f32_e32 v0, v0, v9
	v_mul_f32_e32 v8, v4, v5
	s_delay_alu instid0(VALU_DEP_2)
	v_mul_f32_e32 v9, v0, v5
.LBB133_349:                            ;   in Loop: Header=BB133_181 Depth=1
	s_or_b32 exec_lo, exec_lo, s27
                                        ; implicit-def: $vgpr4
                                        ; implicit-def: $vgpr0
.LBB133_350:                            ;   in Loop: Header=BB133_181 Depth=1
	s_and_not1_saveexec_b32 s4, s26
	s_cbranch_execz .LBB133_356
; %bb.351:                              ;   in Loop: Header=BB133_181 Depth=1
	v_cmp_ne_u32_e64 s3, 0x7f800000, v0
                                        ; implicit-def: $vgpr9
	s_delay_alu instid0(VALU_DEP_1) | instskip(NEXT) | instid1(SALU_CYCLE_1)
	s_and_saveexec_b32 s5, s3
	s_xor_b32 s3, exec_lo, s5
; %bb.352:                              ;   in Loop: Header=BB133_181 Depth=1
	v_sub_f32_e32 v9, v5, v5
                                        ; implicit-def: $vgpr4
; %bb.353:                              ;   in Loop: Header=BB133_181 Depth=1
	s_or_saveexec_b32 s5, s3
	s_delay_alu instid0(VALU_DEP_1)
	v_mov_b32_e32 v8, v9
	s_xor_b32 exec_lo, exec_lo, s5
; %bb.354:                              ;   in Loop: Header=BB133_181 Depth=1
	v_sub_f32_e32 v0, v5, v5
	v_cmp_lt_i32_e64 s3, -1, v4
	s_delay_alu instid0(VALU_DEP_1) | instskip(NEXT) | instid1(VALU_DEP_3)
	v_cndmask_b32_e64 v8, 0, v4, s3
	v_cndmask_b32_e64 v9, 0, v0, s3
; %bb.355:                              ;   in Loop: Header=BB133_181 Depth=1
	s_or_b32 exec_lo, exec_lo, s5
.LBB133_356:                            ;   in Loop: Header=BB133_181 Depth=1
	s_delay_alu instid0(SALU_CYCLE_1)
	s_or_b32 exec_lo, exec_lo, s4
                                        ; implicit-def: $vgpr5
                                        ; implicit-def: $vgpr30
.LBB133_357:                            ;   in Loop: Header=BB133_181 Depth=1
	s_and_not1_saveexec_b32 s25, s25
	s_cbranch_execz .LBB133_367
; %bb.358:                              ;   in Loop: Header=BB133_181 Depth=1
	v_cmp_ngt_f32_e64 s26, 0x48000000, |v5|
                                        ; implicit-def: $vgpr8
                                        ; implicit-def: $vgpr4
	s_delay_alu instid0(VALU_DEP_1) | instskip(NEXT) | instid1(SALU_CYCLE_1)
	s_and_saveexec_b32 s3, s26
	s_xor_b32 s27, exec_lo, s3
	s_cbranch_execz .LBB133_360
; %bb.359:                              ;   in Loop: Header=BB133_181 Depth=1
	v_and_or_b32 v4, v30, s7, 0x800000
	s_delay_alu instid0(VALU_DEP_1) | instskip(NEXT) | instid1(VALU_DEP_1)
	v_mad_u64_u32 v[8:9], null, 0xfe5163ab, v4, 0
	v_mov_b32_e32 v0, v9
	v_lshrrev_b32_e32 v9, 23, v30
	s_delay_alu instid0(VALU_DEP_1) | instskip(NEXT) | instid1(VALU_DEP_3)
	v_add_nc_u32_e32 v9, 0xffffff88, v9
	v_mad_u64_u32 v[31:32], null, 0x3c439041, v4, v[0:1]
	s_delay_alu instid0(VALU_DEP_2) | instskip(NEXT) | instid1(VALU_DEP_1)
	v_cmp_lt_u32_e64 s3, 63, v9
	v_cndmask_b32_e64 v36, 0, 0xffffffc0, s3
	s_delay_alu instid0(VALU_DEP_1) | instskip(NEXT) | instid1(VALU_DEP_1)
	v_add_nc_u32_e32 v9, v36, v9
	v_cmp_lt_u32_e64 s4, 31, v9
	s_delay_alu instid0(VALU_DEP_1) | instskip(NEXT) | instid1(VALU_DEP_1)
	v_cndmask_b32_e64 v37, 0, 0xffffffe0, s4
	v_dual_mov_b32 v0, v32 :: v_dual_add_nc_u32 v9, v37, v9
	s_delay_alu instid0(VALU_DEP_1) | instskip(NEXT) | instid1(VALU_DEP_2)
	v_mad_u64_u32 v[32:33], null, 0xdb629599, v4, v[0:1]
	v_cmp_lt_u32_e64 s5, 31, v9
	s_delay_alu instid0(VALU_DEP_2) | instskip(NEXT) | instid1(VALU_DEP_3)
	v_mov_b32_e32 v0, v33
	v_cndmask_b32_e64 v8, v32, v8, s3
	s_delay_alu instid0(VALU_DEP_2) | instskip(NEXT) | instid1(VALU_DEP_1)
	v_mad_u64_u32 v[33:34], null, 0xf534ddc0, v4, v[0:1]
	v_mov_b32_e32 v0, v34
	s_delay_alu instid0(VALU_DEP_1) | instskip(NEXT) | instid1(VALU_DEP_1)
	v_mad_u64_u32 v[34:35], null, 0xfc2757d1, v4, v[0:1]
	v_mov_b32_e32 v0, v35
	s_delay_alu instid0(VALU_DEP_1) | instskip(NEXT) | instid1(VALU_DEP_1)
	v_mad_u64_u32 v[35:36], null, 0x4e441529, v4, v[0:1]
	v_mov_b32_e32 v0, v36
	s_delay_alu instid0(VALU_DEP_1) | instskip(SKIP_1) | instid1(VALU_DEP_4)
	v_mad_u64_u32 v[36:37], null, 0xa2f9836e, v4, v[0:1]
	v_cndmask_b32_e64 v0, 0, 0xffffffe0, s5
	v_cndmask_b32_e64 v4, v35, v33, s3
	s_delay_alu instid0(VALU_DEP_2) | instskip(NEXT) | instid1(VALU_DEP_4)
	v_add_nc_u32_e32 v0, v0, v9
	v_cndmask_b32_e64 v36, v36, v34, s3
	v_cndmask_b32_e64 v35, v37, v35, s3
	;; [unrolled: 1-line block ×4, first 2 shown]
	v_cmp_eq_u32_e64 s6, 0, v0
	v_cndmask_b32_e64 v31, v36, v4, s4
	v_cndmask_b32_e64 v33, v35, v36, s4
	;; [unrolled: 1-line block ×3, first 2 shown]
	v_sub_nc_u32_e32 v35, 32, v0
	v_cndmask_b32_e64 v34, v34, v9, s4
	v_cndmask_b32_e64 v8, v9, v8, s4
	;; [unrolled: 1-line block ×4, first 2 shown]
	s_delay_alu instid0(VALU_DEP_4) | instskip(NEXT) | instid1(VALU_DEP_4)
	v_cndmask_b32_e64 v4, v4, v34, s5
	v_cndmask_b32_e64 v8, v34, v8, s5
	s_delay_alu instid0(VALU_DEP_3) | instskip(NEXT) | instid1(VALU_DEP_3)
	v_alignbit_b32 v36, v33, v31, v35
	v_alignbit_b32 v37, v31, v4, v35
	s_delay_alu instid0(VALU_DEP_3) | instskip(NEXT) | instid1(VALU_DEP_3)
	v_alignbit_b32 v35, v4, v8, v35
	v_cndmask_b32_e64 v0, v36, v33, s6
	s_delay_alu instid0(VALU_DEP_3) | instskip(NEXT) | instid1(VALU_DEP_3)
	v_cndmask_b32_e64 v31, v37, v31, s6
	v_cndmask_b32_e64 v4, v35, v4, s6
	s_delay_alu instid0(VALU_DEP_3) | instskip(NEXT) | instid1(VALU_DEP_3)
	v_bfe_u32 v32, v0, 29, 1
	v_alignbit_b32 v9, v0, v31, 30
	s_delay_alu instid0(VALU_DEP_3) | instskip(SKIP_1) | instid1(VALU_DEP_4)
	v_alignbit_b32 v31, v31, v4, 30
	v_alignbit_b32 v4, v4, v8, 30
	v_sub_nc_u32_e32 v33, 0, v32
	s_delay_alu instid0(VALU_DEP_1) | instskip(SKIP_3) | instid1(VALU_DEP_4)
	v_xor_b32_e32 v34, v9, v33
	v_cmp_ne_u32_e64 s3, v9, v33
	v_xor_b32_e32 v8, v31, v33
	v_xor_b32_e32 v4, v4, v33
	v_clz_i32_u32_e32 v36, v34
	s_delay_alu instid0(VALU_DEP_1) | instskip(NEXT) | instid1(VALU_DEP_1)
	v_add_nc_u32_e32 v35, 1, v36
	v_cndmask_b32_e64 v9, 33, v35, s3
	s_delay_alu instid0(VALU_DEP_1) | instskip(NEXT) | instid1(VALU_DEP_1)
	v_sub_nc_u32_e32 v31, 32, v9
	v_alignbit_b32 v33, v34, v8, v31
	v_alignbit_b32 v4, v8, v4, v31
	v_lshrrev_b32_e32 v8, 29, v0
	v_lshrrev_b32_e32 v0, 30, v0
	s_delay_alu instid0(VALU_DEP_3) | instskip(NEXT) | instid1(VALU_DEP_3)
	v_alignbit_b32 v31, v33, v4, 9
	v_lshlrev_b32_e32 v8, 31, v8
	v_alignbit_b32 v33, v9, v33, 9
	s_delay_alu instid0(VALU_DEP_3) | instskip(NEXT) | instid1(VALU_DEP_2)
	v_clz_i32_u32_e32 v34, v31
	v_or_b32_e32 v33, v33, v8
	v_or_b32_e32 v8, 0x33800000, v8
	s_delay_alu instid0(VALU_DEP_3) | instskip(NEXT) | instid1(VALU_DEP_3)
	v_min_u32_e32 v34, 32, v34
	v_xor_b32_e32 v33, 1.0, v33
	s_delay_alu instid0(VALU_DEP_2) | instskip(SKIP_1) | instid1(VALU_DEP_3)
	v_sub_nc_u32_e32 v35, 31, v34
	v_add_lshl_u32 v9, v34, v9, 23
	v_mul_f32_e32 v34, 0x3fc90fda, v33
	s_delay_alu instid0(VALU_DEP_3) | instskip(NEXT) | instid1(VALU_DEP_3)
	v_alignbit_b32 v4, v31, v4, v35
	v_sub_nc_u32_e32 v8, v8, v9
	s_delay_alu instid0(VALU_DEP_3) | instskip(NEXT) | instid1(VALU_DEP_3)
	v_fma_f32 v9, 0x3fc90fda, v33, -v34
	v_lshrrev_b32_e32 v4, 9, v4
	s_delay_alu instid0(VALU_DEP_2) | instskip(NEXT) | instid1(VALU_DEP_2)
	v_fmac_f32_e32 v9, 0x33a22168, v33
	v_or_b32_e32 v4, v8, v4
	v_add_nc_u32_e32 v8, v32, v0
	s_delay_alu instid0(VALU_DEP_2) | instskip(NEXT) | instid1(VALU_DEP_1)
	v_fmac_f32_e32 v9, 0x3fc90fda, v4
	v_add_f32_e32 v4, v34, v9
	s_and_not1_saveexec_b32 s3, s27
	s_branch .LBB133_361
.LBB133_360:                            ;   in Loop: Header=BB133_181 Depth=1
	s_and_not1_saveexec_b32 s3, s27
.LBB133_361:                            ;   in Loop: Header=BB133_181 Depth=1
	v_mul_f32_e64 v0, 0x3f22f983, |v5|
	s_delay_alu instid0(VALU_DEP_1) | instskip(NEXT) | instid1(VALU_DEP_1)
	v_rndne_f32_e32 v0, v0
	v_fma_f32 v4, 0xbfc90fda, v0, |v5|
	v_cvt_i32_f32_e32 v8, v0
	s_delay_alu instid0(VALU_DEP_2) | instskip(NEXT) | instid1(VALU_DEP_1)
	v_fmac_f32_e32 v4, 0xb3a22168, v0
	v_fmac_f32_e32 v4, 0xa7c234c4, v0
; %bb.362:                              ;   in Loop: Header=BB133_181 Depth=1
	s_or_b32 exec_lo, exec_lo, s3
                                        ; implicit-def: $vgpr9
                                        ; implicit-def: $vgpr0
	s_and_saveexec_b32 s3, s26
	s_delay_alu instid0(SALU_CYCLE_1)
	s_xor_b32 s26, exec_lo, s3
	s_cbranch_execz .LBB133_364
; %bb.363:                              ;   in Loop: Header=BB133_181 Depth=1
	v_and_or_b32 v9, v30, s7, 0x800000
	v_lshrrev_b32_e32 v36, 23, v30
	s_delay_alu instid0(VALU_DEP_2) | instskip(NEXT) | instid1(VALU_DEP_2)
	v_mad_u64_u32 v[31:32], null, 0xfe5163ab, v9, 0
	v_add_nc_u32_e32 v37, 0xffffff88, v36
	s_delay_alu instid0(VALU_DEP_1) | instskip(NEXT) | instid1(VALU_DEP_3)
	v_cmp_lt_u32_e64 s3, 63, v37
	v_mov_b32_e32 v0, v32
	s_delay_alu instid0(VALU_DEP_2) | instskip(NEXT) | instid1(VALU_DEP_2)
	v_cndmask_b32_e64 v38, 0, 0xffffffc0, s3
	v_mad_u64_u32 v[32:33], null, 0x3c439041, v9, v[0:1]
	s_delay_alu instid0(VALU_DEP_2) | instskip(NEXT) | instid1(VALU_DEP_1)
	v_add_nc_u32_e32 v38, v38, v37
	v_cmp_lt_u32_e64 s4, 31, v38
	s_delay_alu instid0(VALU_DEP_1) | instskip(NEXT) | instid1(VALU_DEP_1)
	v_cndmask_b32_e64 v39, 0, 0xffffffe0, s4
	v_dual_mov_b32 v0, v33 :: v_dual_add_nc_u32 v39, v39, v38
	s_delay_alu instid0(VALU_DEP_1) | instskip(NEXT) | instid1(VALU_DEP_2)
	v_mad_u64_u32 v[33:34], null, 0xdb629599, v9, v[0:1]
	v_cmp_lt_u32_e64 s5, 31, v39
	s_delay_alu instid0(VALU_DEP_2) | instskip(NEXT) | instid1(VALU_DEP_3)
	v_mov_b32_e32 v0, v34
	v_cndmask_b32_e64 v31, v33, v31, s3
	s_delay_alu instid0(VALU_DEP_2) | instskip(NEXT) | instid1(VALU_DEP_1)
	v_mad_u64_u32 v[34:35], null, 0xf534ddc0, v9, v[0:1]
	v_mov_b32_e32 v0, v35
	s_delay_alu instid0(VALU_DEP_2) | instskip(NEXT) | instid1(VALU_DEP_2)
	v_cndmask_b32_e64 v32, v34, v32, s3
	v_mad_u64_u32 v[35:36], null, 0xfc2757d1, v9, v[0:1]
	s_delay_alu instid0(VALU_DEP_2) | instskip(NEXT) | instid1(VALU_DEP_2)
	v_cndmask_b32_e64 v31, v32, v31, s4
	v_mov_b32_e32 v0, v36
	s_delay_alu instid0(VALU_DEP_1) | instskip(NEXT) | instid1(VALU_DEP_1)
	v_mad_u64_u32 v[36:37], null, 0x4e441529, v9, v[0:1]
	v_mov_b32_e32 v0, v37
	s_delay_alu instid0(VALU_DEP_1) | instskip(SKIP_1) | instid1(VALU_DEP_4)
	v_mad_u64_u32 v[37:38], null, 0xa2f9836e, v9, v[0:1]
	v_cndmask_b32_e64 v0, 0, 0xffffffe0, s5
	v_cndmask_b32_e64 v9, v36, v34, s3
	s_delay_alu instid0(VALU_DEP_2) | instskip(NEXT) | instid1(VALU_DEP_4)
	v_add_nc_u32_e32 v0, v0, v39
	v_cndmask_b32_e64 v37, v37, v35, s3
	v_cndmask_b32_e64 v36, v38, v36, s3
	;; [unrolled: 1-line block ×3, first 2 shown]
	s_delay_alu instid0(VALU_DEP_4) | instskip(NEXT) | instid1(VALU_DEP_4)
	v_cmp_eq_u32_e64 s6, 0, v0
	v_cndmask_b32_e64 v34, v37, v9, s4
	s_delay_alu instid0(VALU_DEP_4) | instskip(NEXT) | instid1(VALU_DEP_4)
	v_cndmask_b32_e64 v36, v36, v37, s4
	v_cndmask_b32_e64 v9, v9, v35, s4
	v_sub_nc_u32_e32 v37, 32, v0
	v_cndmask_b32_e64 v35, v35, v32, s4
	s_delay_alu instid0(VALU_DEP_4) | instskip(NEXT) | instid1(VALU_DEP_4)
	v_cndmask_b32_e64 v36, v36, v34, s5
	v_cndmask_b32_e64 v34, v34, v9, s5
	s_delay_alu instid0(VALU_DEP_3) | instskip(SKIP_1) | instid1(VALU_DEP_3)
	v_cndmask_b32_e64 v9, v9, v35, s5
	v_cndmask_b32_e64 v31, v35, v31, s5
	v_alignbit_b32 v38, v36, v34, v37
	s_delay_alu instid0(VALU_DEP_3) | instskip(NEXT) | instid1(VALU_DEP_3)
	v_alignbit_b32 v39, v34, v9, v37
	v_alignbit_b32 v37, v9, v31, v37
	s_delay_alu instid0(VALU_DEP_3) | instskip(NEXT) | instid1(VALU_DEP_3)
	v_cndmask_b32_e64 v0, v38, v36, s6
	v_cndmask_b32_e64 v33, v39, v34, s6
	s_delay_alu instid0(VALU_DEP_3) | instskip(NEXT) | instid1(VALU_DEP_3)
	v_cndmask_b32_e64 v9, v37, v9, s6
	v_bfe_u32 v34, v0, 29, 1
	s_delay_alu instid0(VALU_DEP_3) | instskip(NEXT) | instid1(VALU_DEP_3)
	v_alignbit_b32 v32, v0, v33, 30
	v_alignbit_b32 v33, v33, v9, 30
	v_alignbit_b32 v9, v9, v31, 30
	s_delay_alu instid0(VALU_DEP_4) | instskip(NEXT) | instid1(VALU_DEP_1)
	v_sub_nc_u32_e32 v36, 0, v34
	v_xor_b32_e32 v35, v32, v36
	v_cmp_ne_u32_e64 s3, v32, v36
	v_xor_b32_e32 v31, v33, v36
	v_xor_b32_e32 v9, v9, v36
	s_delay_alu instid0(VALU_DEP_4) | instskip(NEXT) | instid1(VALU_DEP_1)
	v_clz_i32_u32_e32 v38, v35
	v_add_nc_u32_e32 v37, 1, v38
	s_delay_alu instid0(VALU_DEP_1) | instskip(NEXT) | instid1(VALU_DEP_1)
	v_cndmask_b32_e64 v32, 33, v37, s3
	v_sub_nc_u32_e32 v33, 32, v32
	s_delay_alu instid0(VALU_DEP_1) | instskip(SKIP_2) | instid1(VALU_DEP_2)
	v_alignbit_b32 v35, v35, v31, v33
	v_alignbit_b32 v9, v31, v9, v33
	v_lshrrev_b32_e32 v31, 29, v0
	v_alignbit_b32 v33, v35, v9, 9
	s_delay_alu instid0(VALU_DEP_2) | instskip(SKIP_1) | instid1(VALU_DEP_3)
	v_lshlrev_b32_e32 v31, 31, v31
	v_alignbit_b32 v35, v32, v35, 9
	v_clz_i32_u32_e32 v36, v33
	s_delay_alu instid0(VALU_DEP_2) | instskip(SKIP_1) | instid1(VALU_DEP_3)
	v_or_b32_e32 v35, v35, v31
	v_or_b32_e32 v31, 0x33800000, v31
	v_min_u32_e32 v36, 32, v36
	s_delay_alu instid0(VALU_DEP_3) | instskip(NEXT) | instid1(VALU_DEP_2)
	v_xor_b32_e32 v35, 1.0, v35
	v_sub_nc_u32_e32 v37, 31, v36
	v_add_lshl_u32 v32, v36, v32, 23
	s_delay_alu instid0(VALU_DEP_3) | instskip(NEXT) | instid1(VALU_DEP_3)
	v_mul_f32_e32 v36, 0x3fc90fda, v35
	v_alignbit_b32 v9, v33, v9, v37
	s_delay_alu instid0(VALU_DEP_3) | instskip(NEXT) | instid1(VALU_DEP_3)
	v_sub_nc_u32_e32 v31, v31, v32
	v_fma_f32 v32, 0x3fc90fda, v35, -v36
	s_delay_alu instid0(VALU_DEP_3) | instskip(NEXT) | instid1(VALU_DEP_2)
	v_lshrrev_b32_e32 v9, 9, v9
	v_fmac_f32_e32 v32, 0x33a22168, v35
	s_delay_alu instid0(VALU_DEP_2) | instskip(NEXT) | instid1(VALU_DEP_1)
	v_or_b32_e32 v9, v31, v9
	v_fmac_f32_e32 v32, 0x3fc90fda, v9
	v_lshrrev_b32_e32 v9, 30, v0
	s_delay_alu instid0(VALU_DEP_1)
	v_dual_add_f32 v0, v36, v32 :: v_dual_add_nc_u32 v9, v34, v9
	s_and_not1_saveexec_b32 s3, s26
	s_cbranch_execnz .LBB133_365
	s_branch .LBB133_366
.LBB133_364:                            ;   in Loop: Header=BB133_181 Depth=1
	s_and_not1_saveexec_b32 s3, s26
.LBB133_365:                            ;   in Loop: Header=BB133_181 Depth=1
	v_mul_f32_e64 v0, 0x3f22f983, |v5|
	s_delay_alu instid0(VALU_DEP_1) | instskip(NEXT) | instid1(VALU_DEP_1)
	v_rndne_f32_e32 v9, v0
	v_fma_f32 v0, 0xbfc90fda, v9, |v5|
	s_delay_alu instid0(VALU_DEP_1) | instskip(NEXT) | instid1(VALU_DEP_1)
	v_fmac_f32_e32 v0, 0xb3a22168, v9
	v_fmac_f32_e32 v0, 0xa7c234c4, v9
	v_cvt_i32_f32_e32 v9, v9
.LBB133_366:                            ;   in Loop: Header=BB133_181 Depth=1
	s_or_b32 exec_lo, exec_lo, s3
	s_delay_alu instid0(VALU_DEP_1) | instskip(NEXT) | instid1(VALU_DEP_2)
	v_dual_mul_f32 v31, v4, v4 :: v_dual_and_b32 v38, 1, v9
	v_mul_f32_e32 v32, v0, v0
	v_and_b32_e32 v33, 1, v8
	s_delay_alu instid0(VALU_DEP_3) | instskip(SKIP_1) | instid1(VALU_DEP_4)
	v_dual_fmaak_f32 v34, s22, v31, 0x3c0881c4 :: v_dual_lshlrev_b32 v9, 30, v9
	v_dual_fmaak_f32 v35, s23, v31, 0xbab64f3b :: v_dual_lshlrev_b32 v8, 30, v8
	v_fmaak_f32 v36, s22, v32, 0x3c0881c4
	s_delay_alu instid0(VALU_DEP_4) | instskip(NEXT) | instid1(VALU_DEP_4)
	v_cmp_eq_u32_e64 s3, 0, v33
	v_fmaak_f32 v34, v31, v34, 0xbe2aaa9d
	v_fmaak_f32 v37, s23, v32, 0xbab64f3b
	;; [unrolled: 1-line block ×4, first 2 shown]
	v_and_b32_e32 v8, 0x80000000, v8
	s_delay_alu instid0(VALU_DEP_4) | instskip(NEXT) | instid1(VALU_DEP_3)
	v_dual_mul_f32 v34, v31, v34 :: v_dual_fmaak_f32 v37, v32, v37, 0x3d2aabf7
	v_dual_fmaak_f32 v35, v31, v35, 0xbf000004 :: v_dual_mul_f32 v36, v32, v36
	v_and_or_b32 v9, 0x80000000, v9, v30
	s_delay_alu instid0(VALU_DEP_3) | instskip(NEXT) | instid1(VALU_DEP_4)
	v_fmac_f32_e32 v4, v4, v34
	v_fmaak_f32 v37, v32, v37, 0xbf000004
	s_delay_alu instid0(VALU_DEP_4) | instskip(SKIP_1) | instid1(VALU_DEP_3)
	v_fma_f32 v31, v31, v35, 1.0
	v_fmac_f32_e32 v0, v0, v36
	v_fma_f32 v32, v32, v37, 1.0
	s_delay_alu instid0(VALU_DEP_3) | instskip(SKIP_1) | instid1(VALU_DEP_2)
	v_cndmask_b32_e64 v4, -v4, v31, s3
	v_cmp_eq_u32_e64 s3, 0, v38
	v_xor_b32_e32 v4, v8, v4
	s_delay_alu instid0(VALU_DEP_2) | instskip(SKIP_1) | instid1(VALU_DEP_2)
	v_cndmask_b32_e64 v0, v32, v0, s3
	v_cmp_class_f32_e64 s3, v5, 0x1f8
	v_xor3_b32 v0, v9, v0, v5
	s_delay_alu instid0(VALU_DEP_2) | instskip(NEXT) | instid1(VALU_DEP_2)
	v_cndmask_b32_e64 v8, 0x7fc00000, v4, s3
	v_cndmask_b32_e64 v9, 0x7fc00000, v0, s3
.LBB133_367:                            ;   in Loop: Header=BB133_181 Depth=1
	s_or_b32 exec_lo, exec_lo, s25
                                        ; implicit-def: $vgpr4
	s_and_not1_saveexec_b32 s4, s13
	s_cbranch_execnz .LBB133_328
.LBB133_368:                            ;   in Loop: Header=BB133_181 Depth=1
	s_or_b32 exec_lo, exec_lo, s4
	s_and_saveexec_b32 s3, vcc_lo
	s_delay_alu instid0(SALU_CYCLE_1)
	s_xor_b32 s3, exec_lo, s3
	s_cbranch_execz .LBB133_329
.LBB133_369:                            ;   in Loop: Header=BB133_181 Depth=1
	v_add_co_u32 v4, vcc_lo, v16, s8
	v_add_co_ci_u32_e32 v5, vcc_lo, s9, v17, vcc_lo
	global_store_b64 v[4:5], v[6:7], off offset:-4
	s_or_b32 exec_lo, exec_lo, s3
	s_and_saveexec_b32 s3, s0
	s_cbranch_execnz .LBB133_330
.LBB133_370:                            ;   in Loop: Header=BB133_181 Depth=1
	s_or_b32 exec_lo, exec_lo, s3
	s_and_saveexec_b32 s0, s1
	s_cbranch_execz .LBB133_331
.LBB133_371:                            ;   in Loop: Header=BB133_181 Depth=1
	v_add_co_u32 v4, vcc_lo, v28, s8
	v_add_co_ci_u32_e32 v5, vcc_lo, s9, v29, vcc_lo
	global_store_b64 v[4:5], v[12:13], off offset:-4
	s_or_b32 exec_lo, exec_lo, s0
	s_and_saveexec_b32 s0, s2
	s_cbranch_execz .LBB133_180
.LBB133_372:                            ;   in Loop: Header=BB133_181 Depth=1
	v_add_co_u32 v4, vcc_lo, v24, s8
	v_add_co_ci_u32_e32 v5, vcc_lo, s9, v25, vcc_lo
	global_store_b64 v[4:5], v[8:9], off offset:-4
	s_branch .LBB133_180
.LBB133_373:
	s_nop 0
	s_sendmsg sendmsg(MSG_DEALLOC_VGPRS)
	s_endpgm
	.section	.rodata,"a",@progbits
	.p2align	6, 0x0
	.amdhsa_kernel _ZN2at6native12_GLOBAL__N_125multi_tensor_apply_kernelINS1_18TensorListMetadataILi2EEENS1_14UnaryOpFunctorIN3c107complexIfEELi2ELi1ELi1EEEJNS0_3ExpIS8_EEEEEvT_T0_DpT1_
		.amdhsa_group_segment_fixed_size 0
		.amdhsa_private_segment_fixed_size 0
		.amdhsa_kernarg_size 3408
		.amdhsa_user_sgpr_count 15
		.amdhsa_user_sgpr_dispatch_ptr 0
		.amdhsa_user_sgpr_queue_ptr 0
		.amdhsa_user_sgpr_kernarg_segment_ptr 1
		.amdhsa_user_sgpr_dispatch_id 0
		.amdhsa_user_sgpr_private_segment_size 0
		.amdhsa_wavefront_size32 1
		.amdhsa_uses_dynamic_stack 0
		.amdhsa_enable_private_segment 0
		.amdhsa_system_sgpr_workgroup_id_x 1
		.amdhsa_system_sgpr_workgroup_id_y 0
		.amdhsa_system_sgpr_workgroup_id_z 0
		.amdhsa_system_sgpr_workgroup_info 0
		.amdhsa_system_vgpr_workitem_id 0
		.amdhsa_next_free_vgpr 43
		.amdhsa_next_free_sgpr 31
		.amdhsa_reserve_vcc 1
		.amdhsa_float_round_mode_32 0
		.amdhsa_float_round_mode_16_64 0
		.amdhsa_float_denorm_mode_32 3
		.amdhsa_float_denorm_mode_16_64 3
		.amdhsa_dx10_clamp 1
		.amdhsa_ieee_mode 1
		.amdhsa_fp16_overflow 0
		.amdhsa_workgroup_processor_mode 1
		.amdhsa_memory_ordered 1
		.amdhsa_forward_progress 0
		.amdhsa_shared_vgpr_count 0
		.amdhsa_exception_fp_ieee_invalid_op 0
		.amdhsa_exception_fp_denorm_src 0
		.amdhsa_exception_fp_ieee_div_zero 0
		.amdhsa_exception_fp_ieee_overflow 0
		.amdhsa_exception_fp_ieee_underflow 0
		.amdhsa_exception_fp_ieee_inexact 0
		.amdhsa_exception_int_div_zero 0
	.end_amdhsa_kernel
	.section	.text._ZN2at6native12_GLOBAL__N_125multi_tensor_apply_kernelINS1_18TensorListMetadataILi2EEENS1_14UnaryOpFunctorIN3c107complexIfEELi2ELi1ELi1EEEJNS0_3ExpIS8_EEEEEvT_T0_DpT1_,"axG",@progbits,_ZN2at6native12_GLOBAL__N_125multi_tensor_apply_kernelINS1_18TensorListMetadataILi2EEENS1_14UnaryOpFunctorIN3c107complexIfEELi2ELi1ELi1EEEJNS0_3ExpIS8_EEEEEvT_T0_DpT1_,comdat
.Lfunc_end133:
	.size	_ZN2at6native12_GLOBAL__N_125multi_tensor_apply_kernelINS1_18TensorListMetadataILi2EEENS1_14UnaryOpFunctorIN3c107complexIfEELi2ELi1ELi1EEEJNS0_3ExpIS8_EEEEEvT_T0_DpT1_, .Lfunc_end133-_ZN2at6native12_GLOBAL__N_125multi_tensor_apply_kernelINS1_18TensorListMetadataILi2EEENS1_14UnaryOpFunctorIN3c107complexIfEELi2ELi1ELi1EEEJNS0_3ExpIS8_EEEEEvT_T0_DpT1_
                                        ; -- End function
	.section	.AMDGPU.csdata,"",@progbits
; Kernel info:
; codeLenInByte = 51620
; NumSgprs: 33
; NumVgprs: 43
; ScratchSize: 0
; MemoryBound: 1
; FloatMode: 240
; IeeeMode: 1
; LDSByteSize: 0 bytes/workgroup (compile time only)
; SGPRBlocks: 4
; VGPRBlocks: 5
; NumSGPRsForWavesPerEU: 33
; NumVGPRsForWavesPerEU: 43
; Occupancy: 16
; WaveLimiterHint : 0
; COMPUTE_PGM_RSRC2:SCRATCH_EN: 0
; COMPUTE_PGM_RSRC2:USER_SGPR: 15
; COMPUTE_PGM_RSRC2:TRAP_HANDLER: 0
; COMPUTE_PGM_RSRC2:TGID_X_EN: 1
; COMPUTE_PGM_RSRC2:TGID_Y_EN: 0
; COMPUTE_PGM_RSRC2:TGID_Z_EN: 0
; COMPUTE_PGM_RSRC2:TIDIG_COMP_CNT: 0
	.section	.text._ZN2at6native12_GLOBAL__N_125multi_tensor_apply_kernelINS1_18TensorListMetadataILi2EEENS1_14UnaryOpFunctorIN3c104HalfELi2ELi1ELi1EEEJNS0_3ExpIfEEEEEvT_T0_DpT1_,"axG",@progbits,_ZN2at6native12_GLOBAL__N_125multi_tensor_apply_kernelINS1_18TensorListMetadataILi2EEENS1_14UnaryOpFunctorIN3c104HalfELi2ELi1ELi1EEEJNS0_3ExpIfEEEEEvT_T0_DpT1_,comdat
	.globl	_ZN2at6native12_GLOBAL__N_125multi_tensor_apply_kernelINS1_18TensorListMetadataILi2EEENS1_14UnaryOpFunctorIN3c104HalfELi2ELi1ELi1EEEJNS0_3ExpIfEEEEEvT_T0_DpT1_ ; -- Begin function _ZN2at6native12_GLOBAL__N_125multi_tensor_apply_kernelINS1_18TensorListMetadataILi2EEENS1_14UnaryOpFunctorIN3c104HalfELi2ELi1ELi1EEEJNS0_3ExpIfEEEEEvT_T0_DpT1_
	.p2align	8
	.type	_ZN2at6native12_GLOBAL__N_125multi_tensor_apply_kernelINS1_18TensorListMetadataILi2EEENS1_14UnaryOpFunctorIN3c104HalfELi2ELi1ELi1EEEJNS0_3ExpIfEEEEEvT_T0_DpT1_,@function
_ZN2at6native12_GLOBAL__N_125multi_tensor_apply_kernelINS1_18TensorListMetadataILi2EEENS1_14UnaryOpFunctorIN3c104HalfELi2ELi1ELi1EEEJNS0_3ExpIfEEEEEvT_T0_DpT1_: ; @_ZN2at6native12_GLOBAL__N_125multi_tensor_apply_kernelINS1_18TensorListMetadataILi2EEENS1_14UnaryOpFunctorIN3c104HalfELi2ELi1ELi1EEEJNS0_3ExpIfEEEEEvT_T0_DpT1_
; %bb.0:
	v_mov_b32_e32 v1, s15
	s_add_u32 s2, s0, s15
	s_mul_hi_u32 s3, s15, 3
	s_mul_i32 s15, s15, 3
	s_addc_u32 s4, s1, 0
	global_load_u8 v1, v1, s[0:1] offset:1536
	s_add_u32 s2, s2, s15
	s_addc_u32 s3, s4, s3
	s_mov_b32 s19, 0
	s_load_b32 s2, s[2:3], 0x740
	s_mov_b32 s21, s19
	s_mov_b32 s23, s19
	s_waitcnt vmcnt(0)
	v_readfirstlane_b32 s5, v1
	s_delay_alu instid0(VALU_DEP_1)
	s_lshl_b32 s3, s5, 3
	s_clause 0x2
	s_load_b64 s[10:11], s[0:1], s3 offset:0x0
	s_load_b64 s[12:13], s[0:1], s3 offset:0x200
	;; [unrolled: 1-line block ×3, first 2 shown]
	s_waitcnt lgkmcnt(0)
	s_ashr_i32 s3, s2, 31
	s_delay_alu instid0(SALU_CYCLE_1) | instskip(NEXT) | instid1(SALU_CYCLE_1)
	s_lshl_b64 s[6:7], s[2:3], 17
	s_add_u32 s5, s10, s6
	s_addc_u32 s14, s11, s7
	s_and_b32 s18, s5, 7
	s_add_u32 s15, s12, s6
	s_addc_u32 s16, s13, s7
	s_and_b32 s20, s8, 3
	s_and_b32 s22, s15, 7
	s_or_b64 s[18:19], s[18:19], s[20:21]
	s_lshl_b64 s[2:3], s[2:3], 16
	s_or_b64 s[18:19], s[22:23], s[18:19]
	s_sub_u32 s8, s8, s2
	s_subb_u32 s9, s9, s3
	s_cmp_eq_u64 s[18:19], 0
	s_mov_b32 s2, -1
	s_cbranch_scc0 .LBB134_5
; %bb.1:
	v_dual_mov_b32 v2, 0 :: v_dual_lshlrev_b32 v1, 2, v0
	s_mov_b32 s17, exec_lo
	s_delay_alu instid0(VALU_DEP_1)
	v_cmpx_gt_i64_e64 s[8:9], v[1:2]
	s_cbranch_execz .LBB134_4
; %bb.2:
	s_load_b32 s2, s[0:1], 0xc5c
	v_lshlrev_b32_e32 v3, 3, v0
	s_mov_b32 s18, 0
	s_mov_b32 s21, 0x3fb8aa3b
	;; [unrolled: 1-line block ×3, first 2 shown]
	s_waitcnt lgkmcnt(0)
	s_and_b32 s2, s2, 0xffff
	s_delay_alu instid0(SALU_CYCLE_1)
	v_add_lshl_u32 v1, v0, s2, 2
	s_lshl_b32 s19, s2, 2
	s_lshl_b32 s20, s2, 3
.LBB134_3:                              ; =>This Inner Loop Header: Depth=1
	v_add_co_u32 v4, s2, s5, v3
	s_delay_alu instid0(VALU_DEP_1)
	v_add_co_ci_u32_e64 v5, null, s14, 0, s2
	v_cmp_le_i64_e32 vcc_lo, s[8:9], v[1:2]
	v_cmp_lt_u64_e64 s2, 0xffff, v[1:2]
	v_add_co_u32 v6, s3, s15, v3
	global_load_b64 v[4:5], v[4:5], off
	v_add_co_ci_u32_e64 v7, null, s16, 0, s3
	s_or_b32 s23, vcc_lo, s2
	v_add_co_u32 v1, s3, v1, s19
	s_delay_alu instid0(VALU_DEP_1)
	v_add_co_ci_u32_e64 v2, s3, 0, v2, s3
	s_add_u32 s5, s5, s20
	s_addc_u32 s14, s14, 0
	s_add_u32 s15, s15, s20
	s_addc_u32 s16, s16, 0
	s_waitcnt vmcnt(0)
	v_cvt_f32_f16_e32 v8, v4
	v_lshrrev_b32_e32 v9, 16, v4
	v_cvt_f32_f16_e32 v10, v5
	v_lshrrev_b32_e32 v11, 16, v5
	s_delay_alu instid0(VALU_DEP_4) | instskip(NEXT) | instid1(VALU_DEP_4)
	v_mul_f32_e32 v12, 0x3fb8aa3b, v8
	v_cvt_f32_f16_e32 v9, v9
	s_delay_alu instid0(VALU_DEP_4) | instskip(NEXT) | instid1(VALU_DEP_4)
	v_mul_f32_e32 v13, 0x3fb8aa3b, v10
	v_cvt_f32_f16_e32 v11, v11
	v_cmp_ngt_f32_e32 vcc_lo, 0xc2ce8ed0, v10
	v_fma_mix_f32 v14, v4, s21, -v12 op_sel_hi:[1,0,0]
	v_rndne_f32_e32 v15, v12
	s_delay_alu instid0(VALU_DEP_4)
	v_dual_mul_f32 v16, 0x3fb8aa3b, v9 :: v_dual_mul_f32 v19, 0x3fb8aa3b, v11
	v_fma_mix_f32 v17, v5, s21, -v13 op_sel_hi:[1,0,0]
	v_rndne_f32_e32 v18, v13
	v_fma_mix_f32 v14, v4, s22, v14 op_sel_hi:[1,0,0]
	v_sub_f32_e32 v12, v12, v15
	v_fma_mix_f32 v20, v4, s21, -v16 op_sel:[1,0,0] op_sel_hi:[1,0,0]
	v_rndne_f32_e32 v21, v16
	v_sub_f32_e32 v13, v13, v18
	v_fma_mix_f32 v17, v5, s22, v17 op_sel_hi:[1,0,0]
	v_fma_mix_f32 v22, v5, s21, -v19 op_sel:[1,0,0] op_sel_hi:[1,0,0]
	v_rndne_f32_e32 v23, v19
	v_add_f32_e32 v12, v12, v14
	v_fma_mix_f32 v4, v4, s22, v20 op_sel:[1,0,0] op_sel_hi:[1,0,0]
	v_add_f32_e32 v13, v13, v17
	s_delay_alu instid0(VALU_DEP_4) | instskip(SKIP_2) | instid1(VALU_DEP_3)
	v_dual_sub_f32 v14, v16, v21 :: v_dual_sub_f32 v17, v19, v23
	v_fma_mix_f32 v5, v5, s22, v22 op_sel:[1,0,0] op_sel_hi:[1,0,0]
	v_exp_f32_e32 v12, v12
	v_exp_f32_e32 v13, v13
	s_delay_alu instid0(VALU_DEP_2)
	v_add_f32_e32 v4, v14, v4
	v_cvt_i32_f32_e32 v15, v15
	v_add_f32_e32 v5, v17, v5
	v_cvt_i32_f32_e32 v18, v18
	v_cvt_i32_f32_e32 v16, v21
	v_exp_f32_e32 v4, v4
	v_cvt_i32_f32_e32 v19, v23
	v_exp_f32_e32 v5, v5
	v_ldexp_f32 v12, v12, v15
	v_ldexp_f32 v13, v13, v18
	v_cmp_ngt_f32_e64 s2, 0xc2ce8ed0, v8
	v_cmp_ngt_f32_e64 s3, 0xc2ce8ed0, v11
	v_cmp_nlt_f32_e64 s4, 0x42b17218, v8
	s_delay_alu instid0(VALU_DEP_4) | instskip(NEXT) | instid1(VALU_DEP_4)
	v_cndmask_b32_e32 v13, 0, v13, vcc_lo
	v_cndmask_b32_e64 v12, 0, v12, s2
	v_ldexp_f32 v4, v4, v16
	v_cmp_ngt_f32_e64 s2, 0xc2ce8ed0, v9
	v_ldexp_f32 v5, v5, v19
	v_cmp_nlt_f32_e32 vcc_lo, 0x42b17218, v10
	v_cndmask_b32_e64 v8, 0x7f800000, v12, s4
	s_delay_alu instid0(VALU_DEP_4) | instskip(NEXT) | instid1(VALU_DEP_4)
	v_cndmask_b32_e64 v4, 0, v4, s2
	v_cndmask_b32_e64 v5, 0, v5, s3
	v_cmp_nlt_f32_e64 s2, 0x42b17218, v9
	v_cndmask_b32_e32 v9, 0x7f800000, v13, vcc_lo
	v_cmp_nlt_f32_e32 vcc_lo, 0x42b17218, v11
	v_cvt_f16_f32_e32 v8, v8
	s_delay_alu instid0(VALU_DEP_4) | instskip(NEXT) | instid1(VALU_DEP_4)
	v_cndmask_b32_e64 v4, 0x7f800000, v4, s2
	v_cvt_f16_f32_e32 v9, v9
	v_cndmask_b32_e32 v5, 0x7f800000, v5, vcc_lo
	s_and_b32 s2, exec_lo, s23
	s_delay_alu instid0(VALU_DEP_3) | instskip(SKIP_1) | instid1(VALU_DEP_2)
	v_cvt_f16_f32_e32 v4, v4
	s_or_b32 s18, s2, s18
	v_cvt_f16_f32_e32 v5, v5
	s_delay_alu instid0(VALU_DEP_2) | instskip(NEXT) | instid1(VALU_DEP_2)
	v_pack_b32_f16 v4, v8, v4
	v_pack_b32_f16 v5, v9, v5
	global_store_b64 v[6:7], v[4:5], off
	s_and_not1_b32 exec_lo, exec_lo, s18
	s_cbranch_execnz .LBB134_3
.LBB134_4:
	s_or_b32 exec_lo, exec_lo, s17
	s_mov_b32 s2, 0
.LBB134_5:
	s_delay_alu instid0(SALU_CYCLE_1)
	s_and_not1_b32 vcc_lo, exec_lo, s2
	s_cbranch_vccnz .LBB134_25
; %bb.6:
	v_cmp_lt_i64_e64 s2, s[8:9], 1
	s_delay_alu instid0(VALU_DEP_1)
	s_and_b32 vcc_lo, exec_lo, s2
	s_cbranch_vccnz .LBB134_25
; %bb.7:
	s_load_b32 s0, s[0:1], 0xc5c
	v_dual_mov_b32 v10, 0 :: v_dual_lshlrev_b32 v9, 1, v0
	v_cmp_gt_u64_e64 s1, 0x10000, s[8:9]
	s_delay_alu instid0(VALU_DEP_2) | instskip(NEXT) | instid1(VALU_DEP_1)
	v_add_co_u32 v1, s2, s10, v9
	v_add_co_ci_u32_e64 v2, null, s11, 0, s2
	v_add_co_u32 v3, s2, s12, v9
	s_delay_alu instid0(VALU_DEP_1)
	v_add_co_ci_u32_e64 v4, null, s13, 0, s2
	s_waitcnt lgkmcnt(0)
	s_and_b32 s0, s0, 0xffff
	s_and_b32 s1, s1, exec_lo
	v_mad_u64_u32 v[7:8], null, s0, 6, v[9:10]
	s_cselect_b32 s5, s9, 0
	s_cselect_b32 s4, s8, 0x10000
	s_lshl_b32 s1, s0, 1
	s_mul_i32 s2, s0, 3
	s_lshl_b32 s14, s0, 2
	s_lshl_b32 s15, s0, 3
	v_add_co_u32 v13, s0, v0, s0
	v_add_co_u32 v5, vcc_lo, s10, v7
	v_add_co_u32 v14, s3, s14, v9
	v_add_co_ci_u32_e32 v6, vcc_lo, s11, v8, vcc_lo
	s_delay_alu instid0(VALU_DEP_4)
	v_lshlrev_b32_e32 v21, 1, v13
	v_add_co_u32 v7, vcc_lo, s12, v7
	v_add_co_ci_u32_e64 v15, null, 0, 0, s3
	v_add_co_ci_u32_e32 v8, vcc_lo, s13, v8, vcc_lo
	v_add_co_ci_u32_e64 v16, null, 0, 0, s0
	v_add_co_u32 v17, s0, s1, v0
	v_add_co_u32 v11, vcc_lo, s10, v14
	v_add_co_ci_u32_e64 v18, null, 0, 0, s0
	v_add_co_u32 v19, s0, s10, v21
	v_add_co_ci_u32_e32 v12, vcc_lo, s11, v15, vcc_lo
	v_add_co_u32 v9, s2, s2, v0
	v_add_co_u32 v14, vcc_lo, s12, v14
	v_add_co_ci_u32_e64 v20, null, s11, 0, s0
	v_add_co_u32 v21, s0, s12, v21
	v_add_co_ci_u32_e64 v10, null, 0, 0, s2
	v_add_co_ci_u32_e32 v15, vcc_lo, s13, v15, vcc_lo
	v_add_co_ci_u32_e64 v22, null, s13, 0, s0
	s_mov_b64 s[10:11], 0
	s_mov_b32 s12, 0x3fb8aa3b
	s_mov_b32 s13, 0x32a5705f
	s_branch .LBB134_9
.LBB134_8:                              ;   in Loop: Header=BB134_9 Depth=1
	s_or_b32 exec_lo, exec_lo, s0
	v_add_co_u32 v1, vcc_lo, v1, s15
	v_add_co_ci_u32_e32 v2, vcc_lo, 0, v2, vcc_lo
	v_add_co_u32 v3, vcc_lo, v3, s15
	v_add_co_ci_u32_e32 v4, vcc_lo, 0, v4, vcc_lo
	;; [unrolled: 2-line block ×5, first 2 shown]
	s_add_u32 s10, s10, s14
	v_add_co_u32 v14, vcc_lo, v14, s15
	s_addc_u32 s11, s11, 0
	v_add_co_ci_u32_e32 v15, vcc_lo, 0, v15, vcc_lo
	v_cmp_ge_i64_e64 s0, s[10:11], s[8:9]
	v_cmp_lt_u64_e64 s1, 0xffff, s[10:11]
	v_add_co_u32 v19, vcc_lo, v19, s15
	v_add_co_ci_u32_e32 v20, vcc_lo, 0, v20, vcc_lo
	v_add_co_u32 v21, vcc_lo, v21, s15
	v_add_co_ci_u32_e32 v22, vcc_lo, 0, v22, vcc_lo
	s_or_b32 s0, s0, s1
	s_delay_alu instid0(SALU_CYCLE_1)
	s_and_b32 vcc_lo, exec_lo, s0
	s_cbranch_vccnz .LBB134_25
.LBB134_9:                              ; =>This Inner Loop Header: Depth=1
	s_waitcnt vmcnt(0)
	v_add_co_u32 v23, s0, v0, s10
	s_delay_alu instid0(VALU_DEP_1) | instskip(SKIP_1) | instid1(VALU_DEP_2)
	v_add_co_ci_u32_e64 v24, null, 0, s11, s0
	v_mov_b32_e32 v26, 0
	v_cmp_gt_u64_e64 s2, s[4:5], v[23:24]
	s_delay_alu instid0(VALU_DEP_1)
	s_and_saveexec_b32 s0, s2
	s_cbranch_execz .LBB134_11
; %bb.10:                               ;   in Loop: Header=BB134_9 Depth=1
	v_add_co_u32 v23, vcc_lo, v1, s6
	v_add_co_ci_u32_e32 v24, vcc_lo, s7, v2, vcc_lo
	global_load_u16 v26, v[23:24], off
.LBB134_11:                             ;   in Loop: Header=BB134_9 Depth=1
	s_or_b32 exec_lo, exec_lo, s0
	v_add_co_u32 v23, vcc_lo, v13, s10
	v_add_co_ci_u32_e32 v24, vcc_lo, s11, v16, vcc_lo
	v_mov_b32_e32 v25, 0
	s_delay_alu instid0(VALU_DEP_2) | instskip(NEXT) | instid1(VALU_DEP_1)
	v_cmp_gt_u64_e64 s1, s[4:5], v[23:24]
	s_and_saveexec_b32 s0, s1
	s_cbranch_execz .LBB134_13
; %bb.12:                               ;   in Loop: Header=BB134_9 Depth=1
	v_add_co_u32 v23, vcc_lo, v19, s6
	v_add_co_ci_u32_e32 v24, vcc_lo, s7, v20, vcc_lo
	global_load_u16 v25, v[23:24], off
.LBB134_13:                             ;   in Loop: Header=BB134_9 Depth=1
	s_or_b32 exec_lo, exec_lo, s0
	v_add_co_u32 v23, vcc_lo, v17, s10
	v_add_co_ci_u32_e32 v24, vcc_lo, s11, v18, vcc_lo
	s_delay_alu instid0(VALU_DEP_1) | instskip(SKIP_1) | instid1(VALU_DEP_2)
	v_cmp_gt_u64_e64 s0, s[4:5], v[23:24]
	v_dual_mov_b32 v23, 0 :: v_dual_mov_b32 v24, 0
	s_and_saveexec_b32 s3, s0
	s_cbranch_execz .LBB134_15
; %bb.14:                               ;   in Loop: Header=BB134_9 Depth=1
	v_add_co_u32 v27, vcc_lo, v11, s6
	v_add_co_ci_u32_e32 v28, vcc_lo, s7, v12, vcc_lo
	global_load_u16 v24, v[27:28], off
.LBB134_15:                             ;   in Loop: Header=BB134_9 Depth=1
	s_or_b32 exec_lo, exec_lo, s3
	v_add_co_u32 v27, vcc_lo, v9, s10
	v_add_co_ci_u32_e32 v28, vcc_lo, s11, v10, vcc_lo
	s_delay_alu instid0(VALU_DEP_1)
	v_cmp_gt_u64_e32 vcc_lo, s[4:5], v[27:28]
	s_and_saveexec_b32 s16, vcc_lo
	s_cbranch_execnz .LBB134_20
; %bb.16:                               ;   in Loop: Header=BB134_9 Depth=1
	s_or_b32 exec_lo, exec_lo, s16
	s_and_saveexec_b32 s3, s2
	s_cbranch_execnz .LBB134_21
.LBB134_17:                             ;   in Loop: Header=BB134_9 Depth=1
	s_or_b32 exec_lo, exec_lo, s3
	s_and_saveexec_b32 s2, s1
	s_cbranch_execnz .LBB134_22
.LBB134_18:                             ;   in Loop: Header=BB134_9 Depth=1
	s_or_b32 exec_lo, exec_lo, s2
	s_and_saveexec_b32 s1, s0
	s_cbranch_execnz .LBB134_23
.LBB134_19:                             ;   in Loop: Header=BB134_9 Depth=1
	s_or_b32 exec_lo, exec_lo, s1
	s_and_saveexec_b32 s0, vcc_lo
	s_cbranch_execz .LBB134_8
	s_branch .LBB134_24
.LBB134_20:                             ;   in Loop: Header=BB134_9 Depth=1
	v_add_co_u32 v27, s3, v5, s6
	s_delay_alu instid0(VALU_DEP_1)
	v_add_co_ci_u32_e64 v28, s3, s7, v6, s3
	global_load_u16 v23, v[27:28], off
	s_or_b32 exec_lo, exec_lo, s16
	s_and_saveexec_b32 s3, s2
	s_cbranch_execz .LBB134_17
.LBB134_21:                             ;   in Loop: Header=BB134_9 Depth=1
	s_waitcnt vmcnt(0)
	v_cvt_f32_f16_e32 v27, v26
	s_delay_alu instid0(VALU_DEP_1) | instskip(SKIP_1) | instid1(VALU_DEP_2)
	v_mul_f32_e32 v28, 0x3fb8aa3b, v27
	v_cmp_ngt_f32_e64 s2, 0xc2ce8ed0, v27
	v_rndne_f32_e32 v29, v28
	v_fma_mix_f32 v30, v26, s12, -v28 op_sel_hi:[1,0,0]
	s_delay_alu instid0(VALU_DEP_2) | instskip(NEXT) | instid1(VALU_DEP_2)
	v_sub_f32_e32 v28, v28, v29
	v_fma_mix_f32 v26, v26, s13, v30 op_sel_hi:[1,0,0]
	s_delay_alu instid0(VALU_DEP_1) | instskip(SKIP_1) | instid1(VALU_DEP_2)
	v_add_f32_e32 v26, v28, v26
	v_cvt_i32_f32_e32 v28, v29
	v_exp_f32_e32 v26, v26
	s_waitcnt_depctr 0xfff
	v_ldexp_f32 v26, v26, v28
	s_delay_alu instid0(VALU_DEP_1) | instskip(SKIP_1) | instid1(VALU_DEP_1)
	v_cndmask_b32_e64 v26, 0, v26, s2
	v_cmp_nlt_f32_e64 s2, 0x42b17218, v27
	v_cndmask_b32_e64 v28, 0x7f800000, v26, s2
	v_add_co_u32 v26, s2, v3, s6
	s_delay_alu instid0(VALU_DEP_1) | instskip(NEXT) | instid1(VALU_DEP_3)
	v_add_co_ci_u32_e64 v27, s2, s7, v4, s2
	v_cvt_f16_f32_e32 v28, v28
	global_store_b16 v[26:27], v28, off
	s_or_b32 exec_lo, exec_lo, s3
	s_and_saveexec_b32 s2, s1
	s_cbranch_execz .LBB134_18
.LBB134_22:                             ;   in Loop: Header=BB134_9 Depth=1
	s_waitcnt vmcnt(0)
	v_cvt_f32_f16_e32 v26, v25
	s_delay_alu instid0(VALU_DEP_1) | instskip(SKIP_1) | instid1(VALU_DEP_2)
	v_mul_f32_e32 v27, 0x3fb8aa3b, v26
	v_cmp_ngt_f32_e64 s1, 0xc2ce8ed0, v26
	v_rndne_f32_e32 v28, v27
	v_fma_mix_f32 v29, v25, s12, -v27 op_sel_hi:[1,0,0]
	s_delay_alu instid0(VALU_DEP_2) | instskip(NEXT) | instid1(VALU_DEP_2)
	v_sub_f32_e32 v27, v27, v28
	v_fma_mix_f32 v25, v25, s13, v29 op_sel_hi:[1,0,0]
	s_delay_alu instid0(VALU_DEP_1) | instskip(SKIP_1) | instid1(VALU_DEP_2)
	v_add_f32_e32 v25, v27, v25
	v_cvt_i32_f32_e32 v27, v28
	v_exp_f32_e32 v25, v25
	s_waitcnt_depctr 0xfff
	v_ldexp_f32 v25, v25, v27
	s_delay_alu instid0(VALU_DEP_1) | instskip(SKIP_1) | instid1(VALU_DEP_1)
	v_cndmask_b32_e64 v25, 0, v25, s1
	v_cmp_nlt_f32_e64 s1, 0x42b17218, v26
	v_cndmask_b32_e64 v25, 0x7f800000, v25, s1
	s_delay_alu instid0(VALU_DEP_1) | instskip(SKIP_1) | instid1(VALU_DEP_1)
	v_cvt_f16_f32_e32 v27, v25
	v_add_co_u32 v25, s1, v21, s6
	v_add_co_ci_u32_e64 v26, s1, s7, v22, s1
	global_store_b16 v[25:26], v27, off
	s_or_b32 exec_lo, exec_lo, s2
	s_and_saveexec_b32 s1, s0
	s_cbranch_execz .LBB134_19
.LBB134_23:                             ;   in Loop: Header=BB134_9 Depth=1
	s_waitcnt vmcnt(0)
	v_cvt_f32_f16_e32 v25, v24
	s_delay_alu instid0(VALU_DEP_1) | instskip(SKIP_1) | instid1(VALU_DEP_2)
	v_mul_f32_e32 v26, 0x3fb8aa3b, v25
	v_cmp_ngt_f32_e64 s0, 0xc2ce8ed0, v25
	v_rndne_f32_e32 v27, v26
	v_fma_mix_f32 v28, v24, s12, -v26 op_sel_hi:[1,0,0]
	s_delay_alu instid0(VALU_DEP_2) | instskip(NEXT) | instid1(VALU_DEP_2)
	v_sub_f32_e32 v26, v26, v27
	v_fma_mix_f32 v24, v24, s13, v28 op_sel_hi:[1,0,0]
	s_delay_alu instid0(VALU_DEP_1) | instskip(SKIP_1) | instid1(VALU_DEP_2)
	v_add_f32_e32 v24, v26, v24
	v_cvt_i32_f32_e32 v26, v27
	v_exp_f32_e32 v24, v24
	s_waitcnt_depctr 0xfff
	v_ldexp_f32 v24, v24, v26
	s_delay_alu instid0(VALU_DEP_1) | instskip(SKIP_1) | instid1(VALU_DEP_1)
	v_cndmask_b32_e64 v24, 0, v24, s0
	v_cmp_nlt_f32_e64 s0, 0x42b17218, v25
	v_cndmask_b32_e64 v24, 0x7f800000, v24, s0
	s_delay_alu instid0(VALU_DEP_1) | instskip(SKIP_1) | instid1(VALU_DEP_1)
	v_cvt_f16_f32_e32 v26, v24
	v_add_co_u32 v24, s0, v14, s6
	v_add_co_ci_u32_e64 v25, s0, s7, v15, s0
	global_store_b16 v[24:25], v26, off
	s_or_b32 exec_lo, exec_lo, s1
	s_and_saveexec_b32 s0, vcc_lo
	s_cbranch_execz .LBB134_8
.LBB134_24:                             ;   in Loop: Header=BB134_9 Depth=1
	s_waitcnt vmcnt(0)
	v_cvt_f32_f16_e32 v24, v23
	s_delay_alu instid0(VALU_DEP_1) | instskip(SKIP_1) | instid1(VALU_DEP_2)
	v_mul_f32_e32 v25, 0x3fb8aa3b, v24
	v_cmp_ngt_f32_e32 vcc_lo, 0xc2ce8ed0, v24
	v_rndne_f32_e32 v26, v25
	v_fma_mix_f32 v27, v23, s12, -v25 op_sel_hi:[1,0,0]
	s_delay_alu instid0(VALU_DEP_2) | instskip(NEXT) | instid1(VALU_DEP_2)
	v_sub_f32_e32 v25, v25, v26
	v_fma_mix_f32 v23, v23, s13, v27 op_sel_hi:[1,0,0]
	s_delay_alu instid0(VALU_DEP_1) | instskip(SKIP_1) | instid1(VALU_DEP_2)
	v_add_f32_e32 v23, v25, v23
	v_cvt_i32_f32_e32 v25, v26
	v_exp_f32_e32 v23, v23
	s_waitcnt_depctr 0xfff
	v_ldexp_f32 v23, v23, v25
	s_delay_alu instid0(VALU_DEP_1) | instskip(SKIP_1) | instid1(VALU_DEP_2)
	v_cndmask_b32_e32 v23, 0, v23, vcc_lo
	v_cmp_nlt_f32_e32 vcc_lo, 0x42b17218, v24
	v_cndmask_b32_e32 v23, 0x7f800000, v23, vcc_lo
	s_delay_alu instid0(VALU_DEP_1)
	v_cvt_f16_f32_e32 v25, v23
	v_add_co_u32 v23, vcc_lo, v7, s6
	v_add_co_ci_u32_e32 v24, vcc_lo, s7, v8, vcc_lo
	global_store_b16 v[23:24], v25, off
	s_branch .LBB134_8
.LBB134_25:
	s_nop 0
	s_sendmsg sendmsg(MSG_DEALLOC_VGPRS)
	s_endpgm
	.section	.rodata,"a",@progbits
	.p2align	6, 0x0
	.amdhsa_kernel _ZN2at6native12_GLOBAL__N_125multi_tensor_apply_kernelINS1_18TensorListMetadataILi2EEENS1_14UnaryOpFunctorIN3c104HalfELi2ELi1ELi1EEEJNS0_3ExpIfEEEEEvT_T0_DpT1_
		.amdhsa_group_segment_fixed_size 0
		.amdhsa_private_segment_fixed_size 0
		.amdhsa_kernarg_size 3408
		.amdhsa_user_sgpr_count 15
		.amdhsa_user_sgpr_dispatch_ptr 0
		.amdhsa_user_sgpr_queue_ptr 0
		.amdhsa_user_sgpr_kernarg_segment_ptr 1
		.amdhsa_user_sgpr_dispatch_id 0
		.amdhsa_user_sgpr_private_segment_size 0
		.amdhsa_wavefront_size32 1
		.amdhsa_uses_dynamic_stack 0
		.amdhsa_enable_private_segment 0
		.amdhsa_system_sgpr_workgroup_id_x 1
		.amdhsa_system_sgpr_workgroup_id_y 0
		.amdhsa_system_sgpr_workgroup_id_z 0
		.amdhsa_system_sgpr_workgroup_info 0
		.amdhsa_system_vgpr_workitem_id 0
		.amdhsa_next_free_vgpr 31
		.amdhsa_next_free_sgpr 24
		.amdhsa_reserve_vcc 1
		.amdhsa_float_round_mode_32 0
		.amdhsa_float_round_mode_16_64 0
		.amdhsa_float_denorm_mode_32 3
		.amdhsa_float_denorm_mode_16_64 3
		.amdhsa_dx10_clamp 1
		.amdhsa_ieee_mode 1
		.amdhsa_fp16_overflow 0
		.amdhsa_workgroup_processor_mode 1
		.amdhsa_memory_ordered 1
		.amdhsa_forward_progress 0
		.amdhsa_shared_vgpr_count 0
		.amdhsa_exception_fp_ieee_invalid_op 0
		.amdhsa_exception_fp_denorm_src 0
		.amdhsa_exception_fp_ieee_div_zero 0
		.amdhsa_exception_fp_ieee_overflow 0
		.amdhsa_exception_fp_ieee_underflow 0
		.amdhsa_exception_fp_ieee_inexact 0
		.amdhsa_exception_int_div_zero 0
	.end_amdhsa_kernel
	.section	.text._ZN2at6native12_GLOBAL__N_125multi_tensor_apply_kernelINS1_18TensorListMetadataILi2EEENS1_14UnaryOpFunctorIN3c104HalfELi2ELi1ELi1EEEJNS0_3ExpIfEEEEEvT_T0_DpT1_,"axG",@progbits,_ZN2at6native12_GLOBAL__N_125multi_tensor_apply_kernelINS1_18TensorListMetadataILi2EEENS1_14UnaryOpFunctorIN3c104HalfELi2ELi1ELi1EEEJNS0_3ExpIfEEEEEvT_T0_DpT1_,comdat
.Lfunc_end134:
	.size	_ZN2at6native12_GLOBAL__N_125multi_tensor_apply_kernelINS1_18TensorListMetadataILi2EEENS1_14UnaryOpFunctorIN3c104HalfELi2ELi1ELi1EEEJNS0_3ExpIfEEEEEvT_T0_DpT1_, .Lfunc_end134-_ZN2at6native12_GLOBAL__N_125multi_tensor_apply_kernelINS1_18TensorListMetadataILi2EEENS1_14UnaryOpFunctorIN3c104HalfELi2ELi1ELi1EEEJNS0_3ExpIfEEEEEvT_T0_DpT1_
                                        ; -- End function
	.section	.AMDGPU.csdata,"",@progbits
; Kernel info:
; codeLenInByte = 2300
; NumSgprs: 26
; NumVgprs: 31
; ScratchSize: 0
; MemoryBound: 0
; FloatMode: 240
; IeeeMode: 1
; LDSByteSize: 0 bytes/workgroup (compile time only)
; SGPRBlocks: 3
; VGPRBlocks: 3
; NumSGPRsForWavesPerEU: 26
; NumVGPRsForWavesPerEU: 31
; Occupancy: 16
; WaveLimiterHint : 0
; COMPUTE_PGM_RSRC2:SCRATCH_EN: 0
; COMPUTE_PGM_RSRC2:USER_SGPR: 15
; COMPUTE_PGM_RSRC2:TRAP_HANDLER: 0
; COMPUTE_PGM_RSRC2:TGID_X_EN: 1
; COMPUTE_PGM_RSRC2:TGID_Y_EN: 0
; COMPUTE_PGM_RSRC2:TGID_Z_EN: 0
; COMPUTE_PGM_RSRC2:TIDIG_COMP_CNT: 0
	.section	.text._ZN2at6native12_GLOBAL__N_125multi_tensor_apply_kernelINS1_18TensorListMetadataILi2EEENS1_14UnaryOpFunctorIN3c108BFloat16ELi2ELi1ELi1EEEJNS0_3ExpIfEEEEEvT_T0_DpT1_,"axG",@progbits,_ZN2at6native12_GLOBAL__N_125multi_tensor_apply_kernelINS1_18TensorListMetadataILi2EEENS1_14UnaryOpFunctorIN3c108BFloat16ELi2ELi1ELi1EEEJNS0_3ExpIfEEEEEvT_T0_DpT1_,comdat
	.globl	_ZN2at6native12_GLOBAL__N_125multi_tensor_apply_kernelINS1_18TensorListMetadataILi2EEENS1_14UnaryOpFunctorIN3c108BFloat16ELi2ELi1ELi1EEEJNS0_3ExpIfEEEEEvT_T0_DpT1_ ; -- Begin function _ZN2at6native12_GLOBAL__N_125multi_tensor_apply_kernelINS1_18TensorListMetadataILi2EEENS1_14UnaryOpFunctorIN3c108BFloat16ELi2ELi1ELi1EEEJNS0_3ExpIfEEEEEvT_T0_DpT1_
	.p2align	8
	.type	_ZN2at6native12_GLOBAL__N_125multi_tensor_apply_kernelINS1_18TensorListMetadataILi2EEENS1_14UnaryOpFunctorIN3c108BFloat16ELi2ELi1ELi1EEEJNS0_3ExpIfEEEEEvT_T0_DpT1_,@function
_ZN2at6native12_GLOBAL__N_125multi_tensor_apply_kernelINS1_18TensorListMetadataILi2EEENS1_14UnaryOpFunctorIN3c108BFloat16ELi2ELi1ELi1EEEJNS0_3ExpIfEEEEEvT_T0_DpT1_: ; @_ZN2at6native12_GLOBAL__N_125multi_tensor_apply_kernelINS1_18TensorListMetadataILi2EEENS1_14UnaryOpFunctorIN3c108BFloat16ELi2ELi1ELi1EEEJNS0_3ExpIfEEEEEvT_T0_DpT1_
; %bb.0:
	v_mov_b32_e32 v1, s15
	s_add_u32 s2, s0, s15
	s_mul_hi_u32 s3, s15, 3
	s_mul_i32 s15, s15, 3
	s_addc_u32 s4, s1, 0
	global_load_u8 v1, v1, s[0:1] offset:1536
	s_add_u32 s2, s2, s15
	s_addc_u32 s3, s4, s3
	s_mov_b32 s7, 0
	s_load_b32 s2, s[2:3], 0x740
	s_mov_b32 s17, s7
	s_mov_b32 s11, s7
	s_waitcnt vmcnt(0)
	v_readfirstlane_b32 s5, v1
	s_delay_alu instid0(VALU_DEP_1)
	s_lshl_b32 s3, s5, 3
	s_clause 0x2
	s_load_b64 s[12:13], s[0:1], s3 offset:0x0
	s_load_b64 s[14:15], s[0:1], s3 offset:0x200
	;; [unrolled: 1-line block ×3, first 2 shown]
	s_waitcnt lgkmcnt(0)
	s_ashr_i32 s3, s2, 31
	s_delay_alu instid0(SALU_CYCLE_1) | instskip(SKIP_4) | instid1(SALU_CYCLE_1)
	s_lshl_b64 s[8:9], s[2:3], 17
	s_lshl_b64 s[2:3], s[2:3], 16
	s_and_b32 s6, s12, 7
	s_and_b32 s10, s14, 7
	;; [unrolled: 1-line block ×3, first 2 shown]
	s_or_b64 s[6:7], s[6:7], s[16:17]
	s_delay_alu instid0(SALU_CYCLE_1)
	s_or_b64 s[6:7], s[10:11], s[6:7]
	s_sub_u32 s10, s4, s2
	s_subb_u32 s11, s5, s3
	s_cmp_eq_u64 s[6:7], 0
	s_mov_b32 s2, -1
	s_cbranch_scc0 .LBB135_5
; %bb.1:
	v_dual_mov_b32 v2, 0 :: v_dual_lshlrev_b32 v1, 2, v0
	s_mov_b32 s16, exec_lo
	s_delay_alu instid0(VALU_DEP_1)
	v_cmpx_gt_i64_e64 s[10:11], v[1:2]
	s_cbranch_execz .LBB135_4
; %bb.2:
	s_load_b32 s2, s[0:1], 0xc5c
	v_lshlrev_b32_e32 v1, 3, v0
	s_mov_b32 s17, 0
	s_delay_alu instid0(VALU_DEP_1) | instskip(NEXT) | instid1(VALU_DEP_1)
	v_add_co_u32 v3, s3, s8, v1
	v_add_co_ci_u32_e64 v4, null, s9, 0, s3
	s_waitcnt lgkmcnt(0)
	s_and_b32 s2, s2, 0xffff
	s_delay_alu instid0(SALU_CYCLE_1)
	v_add_lshl_u32 v1, v0, s2, 2
	s_lshl_b32 s18, s2, 3
	s_lshl_b32 s19, s2, 2
.LBB135_3:                              ; =>This Inner Loop Header: Depth=1
	v_add_co_u32 v5, vcc_lo, s12, v3
	v_add_co_ci_u32_e32 v6, vcc_lo, s13, v4, vcc_lo
	v_add_co_u32 v7, vcc_lo, s14, v3
	v_add_co_ci_u32_e32 v8, vcc_lo, s15, v4, vcc_lo
	global_load_b64 v[5:6], v[5:6], off
	v_cmp_le_i64_e32 vcc_lo, s[10:11], v[1:2]
	v_cmp_lt_u64_e64 s2, 0xffff, v[1:2]
	v_add_co_u32 v3, s3, v3, s18
	s_delay_alu instid0(VALU_DEP_1) | instskip(SKIP_1) | instid1(VALU_DEP_4)
	v_add_co_ci_u32_e64 v4, s3, 0, v4, s3
	v_add_co_u32 v1, s3, v1, s19
	s_or_b32 s2, vcc_lo, s2
	v_add_co_ci_u32_e64 v2, s3, 0, v2, s3
	s_and_b32 s2, exec_lo, s2
	s_delay_alu instid0(SALU_CYCLE_1)
	s_or_b32 s17, s2, s17
	s_waitcnt vmcnt(0)
	v_and_b32_e32 v10, 0xffff0000, v5
	v_lshlrev_b32_e32 v9, 16, v5
	v_alignbit_b32 v5, v6, v5, 16
	v_and_b32_e32 v6, 0xffff0000, v6
	s_delay_alu instid0(VALU_DEP_3) | instskip(NEXT) | instid1(VALU_DEP_3)
	v_dual_mul_f32 v12, 0x3fb8aa3b, v10 :: v_dual_mul_f32 v11, 0x3fb8aa3b, v9
	v_and_b32_e32 v5, 0xffff0000, v5
	s_delay_alu instid0(VALU_DEP_3) | instskip(SKIP_1) | instid1(VALU_DEP_4)
	v_mul_f32_e32 v13, 0x3fb8aa3b, v6
	v_cmp_ngt_f32_e64 s6, 0xc2ce8ed0, v9
	v_rndne_f32_e32 v17, v12
	v_fma_f32 v14, 0x3fb8aa3b, v9, -v11
	v_mul_f32_e32 v18, 0x3fb8aa3b, v5
	v_rndne_f32_e32 v15, v11
	v_rndne_f32_e32 v20, v13
	v_fma_f32 v19, 0x3fb8aa3b, v6, -v13
	v_cmp_nlt_f32_e64 s7, 0x42b17218, v9
	v_rndne_f32_e32 v22, v18
	v_sub_f32_e32 v11, v11, v15
	v_fma_f32 v16, 0x3fb8aa3b, v10, -v12
	v_dual_sub_f32 v13, v13, v20 :: v_dual_fmac_f32 v14, 0x32a5705f, v9
	v_dual_fmac_f32 v19, 0x32a5705f, v6 :: v_dual_sub_f32 v12, v12, v17
	v_cvt_i32_f32_e32 v15, v15
	v_cvt_i32_f32_e32 v17, v17
	s_delay_alu instid0(VALU_DEP_4)
	v_add_f32_e32 v11, v11, v14
	v_sub_f32_e32 v14, v18, v22
	v_fma_f32 v21, 0x3fb8aa3b, v5, -v18
	v_fmac_f32_e32 v16, 0x32a5705f, v10
	v_cvt_i32_f32_e32 v20, v20
	v_exp_f32_e32 v11, v11
	v_cmp_ngt_f32_e64 s4, 0xc2ce8ed0, v10
	s_delay_alu instid0(VALU_DEP_3) | instskip(SKIP_3) | instid1(VALU_DEP_4)
	v_dual_fmac_f32 v21, 0x32a5705f, v5 :: v_dual_add_f32 v12, v12, v16
	v_add_f32_e32 v13, v13, v19
	v_cvt_i32_f32_e32 v16, v22
	v_cmp_ngt_f32_e64 s5, 0xc2ce8ed0, v6
	v_add_f32_e32 v14, v14, v21
	v_exp_f32_e32 v12, v12
	v_exp_f32_e32 v13, v13
	s_delay_alu instid0(TRANS32_DEP_3) | instskip(NEXT) | instid1(VALU_DEP_2)
	v_ldexp_f32 v11, v11, v15
	v_exp_f32_e32 v14, v14
	s_delay_alu instid0(VALU_DEP_1) | instskip(SKIP_1) | instid1(TRANS32_DEP_3)
	v_cndmask_b32_e64 v11, 0, v11, s6
	v_cmp_ngt_f32_e64 s6, 0xc2ce8ed0, v5
	v_ldexp_f32 v12, v12, v17
	s_waitcnt_depctr 0xfff
	v_ldexp_f32 v13, v13, v20
	v_cndmask_b32_e64 v12, 0, v12, s4
	v_cmp_nlt_f32_e64 s4, 0x42b17218, v10
	v_ldexp_f32 v10, v14, v16
	s_delay_alu instid0(VALU_DEP_4) | instskip(SKIP_2) | instid1(VALU_DEP_4)
	v_cndmask_b32_e64 v13, 0, v13, s5
	v_cmp_nlt_f32_e64 s5, 0x42b17218, v6
	v_cndmask_b32_e64 v6, 0x7f800000, v11, s7
	v_cndmask_b32_e64 v9, 0, v10, s6
	;; [unrolled: 1-line block ×3, first 2 shown]
	s_delay_alu instid0(VALU_DEP_4) | instskip(SKIP_2) | instid1(VALU_DEP_4)
	v_cndmask_b32_e64 v11, 0x7f800000, v13, s5
	v_cmp_nlt_f32_e64 s4, 0x42b17218, v5
	v_bfe_u32 v5, v6, 16, 1
	v_bfe_u32 v12, v10, 16, 1
	s_delay_alu instid0(VALU_DEP_4) | instskip(NEXT) | instid1(VALU_DEP_4)
	v_bfe_u32 v13, v11, 16, 1
	v_cndmask_b32_e64 v9, 0x7f800000, v9, s4
	s_delay_alu instid0(VALU_DEP_4)
	v_add3_u32 v5, v6, v5, 0x7fff
	v_cmp_o_f32_e64 s4, v6, v6
	v_add3_u32 v12, v10, v12, 0x7fff
	v_add3_u32 v13, v11, v13, 0x7fff
	v_bfe_u32 v14, v9, 16, 1
	v_lshrrev_b32_e32 v5, 16, v5
	v_cmp_o_f32_e64 s5, v10, v10
	v_and_b32_e32 v12, 0xffff0000, v12
	v_and_b32_e32 v13, 0xffff0000, v13
	v_add3_u32 v14, v9, v14, 0x7fff
	v_cndmask_b32_e64 v5, 0x7fc0, v5, s4
	v_cmp_o_f32_e64 s4, v11, v11
	v_cndmask_b32_e64 v10, 0x7fc00000, v12, s5
	s_delay_alu instid0(VALU_DEP_4) | instskip(NEXT) | instid1(VALU_DEP_3)
	v_lshrrev_b32_e32 v6, 16, v14
	v_cndmask_b32_e64 v11, 0x7fc00000, v13, s4
	v_cmp_o_f32_e64 s4, v9, v9
	s_delay_alu instid0(VALU_DEP_4) | instskip(NEXT) | instid1(VALU_DEP_2)
	v_or_b32_e32 v5, v5, v10
	v_cndmask_b32_e64 v6, 0x7fc0, v6, s4
	s_delay_alu instid0(VALU_DEP_2) | instskip(NEXT) | instid1(VALU_DEP_2)
	v_or3_b32 v5, v5, 0, 0
	v_or3_b32 v6, 0, v6, v11
	global_store_b64 v[7:8], v[5:6], off
	s_and_not1_b32 exec_lo, exec_lo, s17
	s_cbranch_execnz .LBB135_3
.LBB135_4:
	s_or_b32 exec_lo, exec_lo, s16
	s_mov_b32 s2, 0
.LBB135_5:
	s_delay_alu instid0(SALU_CYCLE_1)
	s_and_not1_b32 vcc_lo, exec_lo, s2
	s_cbranch_vccnz .LBB135_25
; %bb.6:
	v_cmp_lt_i64_e64 s2, s[10:11], 1
	s_delay_alu instid0(VALU_DEP_1)
	s_and_b32 vcc_lo, exec_lo, s2
	s_cbranch_vccnz .LBB135_25
; %bb.7:
	s_load_b32 s0, s[0:1], 0xc5c
	v_dual_mov_b32 v10, 0 :: v_dual_lshlrev_b32 v9, 1, v0
	v_cmp_gt_u64_e64 s1, 0x10000, s[10:11]
	s_mov_b64 s[6:7], 0
	s_delay_alu instid0(VALU_DEP_2) | instskip(NEXT) | instid1(VALU_DEP_1)
	v_add_co_u32 v1, s2, s12, v9
	v_add_co_ci_u32_e64 v2, null, s13, 0, s2
	v_add_co_u32 v3, s2, s14, v9
	s_delay_alu instid0(VALU_DEP_1)
	v_add_co_ci_u32_e64 v4, null, s15, 0, s2
	s_waitcnt lgkmcnt(0)
	s_and_b32 s0, s0, 0xffff
	s_and_b32 s1, s1, exec_lo
	v_mad_u64_u32 v[7:8], null, s0, 6, v[9:10]
	s_cselect_b32 s5, s11, 0
	s_cselect_b32 s4, s10, 0x10000
	s_mul_i32 s2, s0, 3
	s_lshl_b32 s16, s0, 2
	s_lshl_b32 s1, s0, 1
	v_add_co_u32 v14, s3, s16, v9
	v_add_co_u32 v9, s2, s2, v0
	s_delay_alu instid0(VALU_DEP_1) | instskip(SKIP_3) | instid1(VALU_DEP_3)
	v_add_co_ci_u32_e64 v10, null, 0, 0, s2
	v_add_co_u32 v13, s2, v0, s0
	v_add_co_u32 v5, vcc_lo, s12, v7
	v_add_co_ci_u32_e32 v6, vcc_lo, s13, v8, vcc_lo
	v_lshlrev_b32_e32 v21, 1, v13
	v_add_co_u32 v7, vcc_lo, s14, v7
	v_add_co_ci_u32_e64 v15, null, 0, 0, s3
	v_add_co_ci_u32_e32 v8, vcc_lo, s15, v8, vcc_lo
	v_add_co_u32 v17, s1, s1, v0
	v_add_co_u32 v11, vcc_lo, s12, v14
	v_add_co_ci_u32_e64 v18, null, 0, 0, s1
	v_add_co_u32 v19, s1, s12, v21
	v_add_co_ci_u32_e32 v12, vcc_lo, s13, v15, vcc_lo
	v_add_co_u32 v14, vcc_lo, s14, v14
	v_add_co_ci_u32_e64 v20, null, s13, 0, s1
	v_add_co_u32 v21, s1, s14, v21
	v_add_co_ci_u32_e32 v15, vcc_lo, s15, v15, vcc_lo
	v_add_co_ci_u32_e64 v16, null, 0, 0, s2
	v_add_co_ci_u32_e64 v22, null, s15, 0, s1
	s_lshl_b32 s12, s0, 3
	s_branch .LBB135_9
.LBB135_8:                              ;   in Loop: Header=BB135_9 Depth=1
	s_or_b32 exec_lo, exec_lo, s0
	v_add_co_u32 v1, vcc_lo, v1, s12
	v_add_co_ci_u32_e32 v2, vcc_lo, 0, v2, vcc_lo
	v_add_co_u32 v3, vcc_lo, v3, s12
	v_add_co_ci_u32_e32 v4, vcc_lo, 0, v4, vcc_lo
	;; [unrolled: 2-line block ×5, first 2 shown]
	s_add_u32 s6, s6, s16
	v_add_co_u32 v14, vcc_lo, v14, s12
	s_addc_u32 s7, s7, 0
	v_add_co_ci_u32_e32 v15, vcc_lo, 0, v15, vcc_lo
	v_cmp_ge_i64_e64 s0, s[6:7], s[10:11]
	v_cmp_lt_u64_e64 s1, 0xffff, s[6:7]
	v_add_co_u32 v19, vcc_lo, v19, s12
	v_add_co_ci_u32_e32 v20, vcc_lo, 0, v20, vcc_lo
	v_add_co_u32 v21, vcc_lo, v21, s12
	v_add_co_ci_u32_e32 v22, vcc_lo, 0, v22, vcc_lo
	s_or_b32 s0, s0, s1
	s_delay_alu instid0(SALU_CYCLE_1)
	s_and_b32 vcc_lo, exec_lo, s0
	s_cbranch_vccnz .LBB135_25
.LBB135_9:                              ; =>This Inner Loop Header: Depth=1
	s_waitcnt vmcnt(0)
	v_add_co_u32 v23, s0, v0, s6
	s_delay_alu instid0(VALU_DEP_1) | instskip(SKIP_1) | instid1(VALU_DEP_2)
	v_add_co_ci_u32_e64 v24, null, 0, s7, s0
	v_mov_b32_e32 v26, 0
	v_cmp_gt_u64_e64 s2, s[4:5], v[23:24]
	s_delay_alu instid0(VALU_DEP_1)
	s_and_saveexec_b32 s0, s2
	s_cbranch_execz .LBB135_11
; %bb.10:                               ;   in Loop: Header=BB135_9 Depth=1
	v_add_co_u32 v23, vcc_lo, v1, s8
	v_add_co_ci_u32_e32 v24, vcc_lo, s9, v2, vcc_lo
	global_load_u16 v26, v[23:24], off
.LBB135_11:                             ;   in Loop: Header=BB135_9 Depth=1
	s_or_b32 exec_lo, exec_lo, s0
	v_add_co_u32 v23, vcc_lo, v13, s6
	v_add_co_ci_u32_e32 v24, vcc_lo, s7, v16, vcc_lo
	v_mov_b32_e32 v25, 0
	s_delay_alu instid0(VALU_DEP_2) | instskip(NEXT) | instid1(VALU_DEP_1)
	v_cmp_gt_u64_e64 s1, s[4:5], v[23:24]
	s_and_saveexec_b32 s0, s1
	s_cbranch_execz .LBB135_13
; %bb.12:                               ;   in Loop: Header=BB135_9 Depth=1
	v_add_co_u32 v23, vcc_lo, v19, s8
	v_add_co_ci_u32_e32 v24, vcc_lo, s9, v20, vcc_lo
	global_load_u16 v25, v[23:24], off
.LBB135_13:                             ;   in Loop: Header=BB135_9 Depth=1
	s_or_b32 exec_lo, exec_lo, s0
	v_add_co_u32 v23, vcc_lo, v17, s6
	v_add_co_ci_u32_e32 v24, vcc_lo, s7, v18, vcc_lo
	s_delay_alu instid0(VALU_DEP_1) | instskip(SKIP_1) | instid1(VALU_DEP_2)
	v_cmp_gt_u64_e64 s0, s[4:5], v[23:24]
	v_dual_mov_b32 v23, 0 :: v_dual_mov_b32 v24, 0
	s_and_saveexec_b32 s3, s0
	s_cbranch_execz .LBB135_15
; %bb.14:                               ;   in Loop: Header=BB135_9 Depth=1
	v_add_co_u32 v27, vcc_lo, v11, s8
	v_add_co_ci_u32_e32 v28, vcc_lo, s9, v12, vcc_lo
	global_load_u16 v24, v[27:28], off
.LBB135_15:                             ;   in Loop: Header=BB135_9 Depth=1
	s_or_b32 exec_lo, exec_lo, s3
	v_add_co_u32 v27, vcc_lo, v9, s6
	v_add_co_ci_u32_e32 v28, vcc_lo, s7, v10, vcc_lo
	s_delay_alu instid0(VALU_DEP_1)
	v_cmp_gt_u64_e32 vcc_lo, s[4:5], v[27:28]
	s_and_saveexec_b32 s13, vcc_lo
	s_cbranch_execnz .LBB135_20
; %bb.16:                               ;   in Loop: Header=BB135_9 Depth=1
	s_or_b32 exec_lo, exec_lo, s13
	s_and_saveexec_b32 s3, s2
	s_cbranch_execnz .LBB135_21
.LBB135_17:                             ;   in Loop: Header=BB135_9 Depth=1
	s_or_b32 exec_lo, exec_lo, s3
	s_and_saveexec_b32 s2, s1
	s_cbranch_execnz .LBB135_22
.LBB135_18:                             ;   in Loop: Header=BB135_9 Depth=1
	s_or_b32 exec_lo, exec_lo, s2
	s_and_saveexec_b32 s1, s0
	s_cbranch_execnz .LBB135_23
.LBB135_19:                             ;   in Loop: Header=BB135_9 Depth=1
	s_or_b32 exec_lo, exec_lo, s1
	s_and_saveexec_b32 s0, vcc_lo
	s_cbranch_execz .LBB135_8
	s_branch .LBB135_24
.LBB135_20:                             ;   in Loop: Header=BB135_9 Depth=1
	v_add_co_u32 v27, s3, v5, s8
	s_delay_alu instid0(VALU_DEP_1)
	v_add_co_ci_u32_e64 v28, s3, s9, v6, s3
	global_load_u16 v23, v[27:28], off
	s_or_b32 exec_lo, exec_lo, s13
	s_and_saveexec_b32 s3, s2
	s_cbranch_execz .LBB135_17
.LBB135_21:                             ;   in Loop: Header=BB135_9 Depth=1
	s_waitcnt vmcnt(0)
	v_lshlrev_b32_e32 v26, 16, v26
	s_delay_alu instid0(VALU_DEP_1) | instskip(NEXT) | instid1(VALU_DEP_1)
	v_mul_f32_e32 v27, 0x3fb8aa3b, v26
	v_rndne_f32_e32 v28, v27
	v_fma_f32 v29, 0x3fb8aa3b, v26, -v27
	s_delay_alu instid0(VALU_DEP_2) | instskip(NEXT) | instid1(VALU_DEP_2)
	v_sub_f32_e32 v27, v27, v28
	v_fmac_f32_e32 v29, 0x32a5705f, v26
	v_cvt_i32_f32_e32 v28, v28
	v_cmp_ngt_f32_e64 s2, 0xc2ce8ed0, v26
	s_delay_alu instid0(VALU_DEP_3) | instskip(NEXT) | instid1(VALU_DEP_1)
	v_add_f32_e32 v27, v27, v29
	v_exp_f32_e32 v27, v27
	s_waitcnt_depctr 0xfff
	v_ldexp_f32 v27, v27, v28
	s_delay_alu instid0(VALU_DEP_1) | instskip(SKIP_1) | instid1(VALU_DEP_1)
	v_cndmask_b32_e64 v27, 0, v27, s2
	v_cmp_nlt_f32_e64 s2, 0x42b17218, v26
	v_cndmask_b32_e64 v26, 0x7f800000, v27, s2
	s_delay_alu instid0(VALU_DEP_1) | instskip(SKIP_1) | instid1(VALU_DEP_2)
	v_bfe_u32 v27, v26, 16, 1
	v_cmp_o_f32_e64 s2, v26, v26
	v_add3_u32 v27, v26, v27, 0x7fff
	s_delay_alu instid0(VALU_DEP_1) | instskip(NEXT) | instid1(VALU_DEP_1)
	v_lshrrev_b32_e32 v27, 16, v27
	v_cndmask_b32_e64 v28, 0x7fc0, v27, s2
	v_add_co_u32 v26, s2, v3, s8
	s_delay_alu instid0(VALU_DEP_1)
	v_add_co_ci_u32_e64 v27, s2, s9, v4, s2
	global_store_b16 v[26:27], v28, off
	s_or_b32 exec_lo, exec_lo, s3
	s_and_saveexec_b32 s2, s1
	s_cbranch_execz .LBB135_18
.LBB135_22:                             ;   in Loop: Header=BB135_9 Depth=1
	s_waitcnt vmcnt(0)
	v_lshlrev_b32_e32 v25, 16, v25
	s_delay_alu instid0(VALU_DEP_1) | instskip(NEXT) | instid1(VALU_DEP_1)
	v_mul_f32_e32 v26, 0x3fb8aa3b, v25
	v_rndne_f32_e32 v27, v26
	v_fma_f32 v28, 0x3fb8aa3b, v25, -v26
	s_delay_alu instid0(VALU_DEP_2) | instskip(NEXT) | instid1(VALU_DEP_2)
	v_sub_f32_e32 v26, v26, v27
	v_fmac_f32_e32 v28, 0x32a5705f, v25
	v_cvt_i32_f32_e32 v27, v27
	v_cmp_ngt_f32_e64 s1, 0xc2ce8ed0, v25
	s_delay_alu instid0(VALU_DEP_3) | instskip(NEXT) | instid1(VALU_DEP_1)
	v_add_f32_e32 v26, v26, v28
	v_exp_f32_e32 v26, v26
	s_waitcnt_depctr 0xfff
	v_ldexp_f32 v26, v26, v27
	s_delay_alu instid0(VALU_DEP_1) | instskip(SKIP_1) | instid1(VALU_DEP_1)
	v_cndmask_b32_e64 v26, 0, v26, s1
	v_cmp_nlt_f32_e64 s1, 0x42b17218, v25
	v_cndmask_b32_e64 v25, 0x7f800000, v26, s1
	s_delay_alu instid0(VALU_DEP_1) | instskip(SKIP_1) | instid1(VALU_DEP_2)
	v_bfe_u32 v26, v25, 16, 1
	v_cmp_o_f32_e64 s1, v25, v25
	v_add3_u32 v26, v25, v26, 0x7fff
	s_delay_alu instid0(VALU_DEP_1) | instskip(NEXT) | instid1(VALU_DEP_1)
	v_lshrrev_b32_e32 v26, 16, v26
	v_cndmask_b32_e64 v27, 0x7fc0, v26, s1
	v_add_co_u32 v25, s1, v21, s8
	s_delay_alu instid0(VALU_DEP_1)
	v_add_co_ci_u32_e64 v26, s1, s9, v22, s1
	global_store_b16 v[25:26], v27, off
	s_or_b32 exec_lo, exec_lo, s2
	s_and_saveexec_b32 s1, s0
	s_cbranch_execz .LBB135_19
.LBB135_23:                             ;   in Loop: Header=BB135_9 Depth=1
	s_waitcnt vmcnt(0)
	v_lshlrev_b32_e32 v24, 16, v24
	s_delay_alu instid0(VALU_DEP_1) | instskip(NEXT) | instid1(VALU_DEP_1)
	v_mul_f32_e32 v25, 0x3fb8aa3b, v24
	v_rndne_f32_e32 v26, v25
	v_fma_f32 v27, 0x3fb8aa3b, v24, -v25
	s_delay_alu instid0(VALU_DEP_2) | instskip(NEXT) | instid1(VALU_DEP_2)
	v_sub_f32_e32 v25, v25, v26
	v_fmac_f32_e32 v27, 0x32a5705f, v24
	v_cvt_i32_f32_e32 v26, v26
	v_cmp_ngt_f32_e64 s0, 0xc2ce8ed0, v24
	s_delay_alu instid0(VALU_DEP_3) | instskip(NEXT) | instid1(VALU_DEP_1)
	v_add_f32_e32 v25, v25, v27
	v_exp_f32_e32 v25, v25
	s_waitcnt_depctr 0xfff
	v_ldexp_f32 v25, v25, v26
	s_delay_alu instid0(VALU_DEP_1) | instskip(SKIP_1) | instid1(VALU_DEP_1)
	v_cndmask_b32_e64 v25, 0, v25, s0
	v_cmp_nlt_f32_e64 s0, 0x42b17218, v24
	v_cndmask_b32_e64 v24, 0x7f800000, v25, s0
	s_delay_alu instid0(VALU_DEP_1) | instskip(SKIP_1) | instid1(VALU_DEP_2)
	v_bfe_u32 v25, v24, 16, 1
	v_cmp_o_f32_e64 s0, v24, v24
	v_add3_u32 v25, v24, v25, 0x7fff
	s_delay_alu instid0(VALU_DEP_1) | instskip(NEXT) | instid1(VALU_DEP_1)
	v_lshrrev_b32_e32 v25, 16, v25
	v_cndmask_b32_e64 v26, 0x7fc0, v25, s0
	v_add_co_u32 v24, s0, v14, s8
	s_delay_alu instid0(VALU_DEP_1)
	v_add_co_ci_u32_e64 v25, s0, s9, v15, s0
	global_store_b16 v[24:25], v26, off
	s_or_b32 exec_lo, exec_lo, s1
	s_and_saveexec_b32 s0, vcc_lo
	s_cbranch_execz .LBB135_8
.LBB135_24:                             ;   in Loop: Header=BB135_9 Depth=1
	s_waitcnt vmcnt(0)
	v_lshlrev_b32_e32 v23, 16, v23
	s_delay_alu instid0(VALU_DEP_1) | instskip(NEXT) | instid1(VALU_DEP_1)
	v_mul_f32_e32 v24, 0x3fb8aa3b, v23
	v_rndne_f32_e32 v25, v24
	v_fma_f32 v26, 0x3fb8aa3b, v23, -v24
	s_delay_alu instid0(VALU_DEP_2) | instskip(NEXT) | instid1(VALU_DEP_2)
	v_sub_f32_e32 v24, v24, v25
	v_fmac_f32_e32 v26, 0x32a5705f, v23
	v_cvt_i32_f32_e32 v25, v25
	v_cmp_ngt_f32_e32 vcc_lo, 0xc2ce8ed0, v23
	s_delay_alu instid0(VALU_DEP_3) | instskip(NEXT) | instid1(VALU_DEP_1)
	v_add_f32_e32 v24, v24, v26
	v_exp_f32_e32 v24, v24
	s_waitcnt_depctr 0xfff
	v_ldexp_f32 v24, v24, v25
	s_delay_alu instid0(VALU_DEP_1) | instskip(SKIP_1) | instid1(VALU_DEP_2)
	v_cndmask_b32_e32 v24, 0, v24, vcc_lo
	v_cmp_nlt_f32_e32 vcc_lo, 0x42b17218, v23
	v_cndmask_b32_e32 v23, 0x7f800000, v24, vcc_lo
	s_delay_alu instid0(VALU_DEP_1) | instskip(SKIP_1) | instid1(VALU_DEP_2)
	v_bfe_u32 v24, v23, 16, 1
	v_cmp_o_f32_e32 vcc_lo, v23, v23
	v_add3_u32 v24, v23, v24, 0x7fff
	s_delay_alu instid0(VALU_DEP_1) | instskip(NEXT) | instid1(VALU_DEP_1)
	v_lshrrev_b32_e32 v24, 16, v24
	v_cndmask_b32_e32 v25, 0x7fc0, v24, vcc_lo
	v_add_co_u32 v23, vcc_lo, v7, s8
	v_add_co_ci_u32_e32 v24, vcc_lo, s9, v8, vcc_lo
	global_store_b16 v[23:24], v25, off
	s_branch .LBB135_8
.LBB135_25:
	s_nop 0
	s_sendmsg sendmsg(MSG_DEALLOC_VGPRS)
	s_endpgm
	.section	.rodata,"a",@progbits
	.p2align	6, 0x0
	.amdhsa_kernel _ZN2at6native12_GLOBAL__N_125multi_tensor_apply_kernelINS1_18TensorListMetadataILi2EEENS1_14UnaryOpFunctorIN3c108BFloat16ELi2ELi1ELi1EEEJNS0_3ExpIfEEEEEvT_T0_DpT1_
		.amdhsa_group_segment_fixed_size 0
		.amdhsa_private_segment_fixed_size 0
		.amdhsa_kernarg_size 3408
		.amdhsa_user_sgpr_count 15
		.amdhsa_user_sgpr_dispatch_ptr 0
		.amdhsa_user_sgpr_queue_ptr 0
		.amdhsa_user_sgpr_kernarg_segment_ptr 1
		.amdhsa_user_sgpr_dispatch_id 0
		.amdhsa_user_sgpr_private_segment_size 0
		.amdhsa_wavefront_size32 1
		.amdhsa_uses_dynamic_stack 0
		.amdhsa_enable_private_segment 0
		.amdhsa_system_sgpr_workgroup_id_x 1
		.amdhsa_system_sgpr_workgroup_id_y 0
		.amdhsa_system_sgpr_workgroup_id_z 0
		.amdhsa_system_sgpr_workgroup_info 0
		.amdhsa_system_vgpr_workitem_id 0
		.amdhsa_next_free_vgpr 30
		.amdhsa_next_free_sgpr 20
		.amdhsa_reserve_vcc 1
		.amdhsa_float_round_mode_32 0
		.amdhsa_float_round_mode_16_64 0
		.amdhsa_float_denorm_mode_32 3
		.amdhsa_float_denorm_mode_16_64 3
		.amdhsa_dx10_clamp 1
		.amdhsa_ieee_mode 1
		.amdhsa_fp16_overflow 0
		.amdhsa_workgroup_processor_mode 1
		.amdhsa_memory_ordered 1
		.amdhsa_forward_progress 0
		.amdhsa_shared_vgpr_count 0
		.amdhsa_exception_fp_ieee_invalid_op 0
		.amdhsa_exception_fp_denorm_src 0
		.amdhsa_exception_fp_ieee_div_zero 0
		.amdhsa_exception_fp_ieee_overflow 0
		.amdhsa_exception_fp_ieee_underflow 0
		.amdhsa_exception_fp_ieee_inexact 0
		.amdhsa_exception_int_div_zero 0
	.end_amdhsa_kernel
	.section	.text._ZN2at6native12_GLOBAL__N_125multi_tensor_apply_kernelINS1_18TensorListMetadataILi2EEENS1_14UnaryOpFunctorIN3c108BFloat16ELi2ELi1ELi1EEEJNS0_3ExpIfEEEEEvT_T0_DpT1_,"axG",@progbits,_ZN2at6native12_GLOBAL__N_125multi_tensor_apply_kernelINS1_18TensorListMetadataILi2EEENS1_14UnaryOpFunctorIN3c108BFloat16ELi2ELi1ELi1EEEJNS0_3ExpIfEEEEEvT_T0_DpT1_,comdat
.Lfunc_end135:
	.size	_ZN2at6native12_GLOBAL__N_125multi_tensor_apply_kernelINS1_18TensorListMetadataILi2EEENS1_14UnaryOpFunctorIN3c108BFloat16ELi2ELi1ELi1EEEJNS0_3ExpIfEEEEEvT_T0_DpT1_, .Lfunc_end135-_ZN2at6native12_GLOBAL__N_125multi_tensor_apply_kernelINS1_18TensorListMetadataILi2EEENS1_14UnaryOpFunctorIN3c108BFloat16ELi2ELi1ELi1EEEJNS0_3ExpIfEEEEEvT_T0_DpT1_
                                        ; -- End function
	.section	.AMDGPU.csdata,"",@progbits
; Kernel info:
; codeLenInByte = 2704
; NumSgprs: 22
; NumVgprs: 30
; ScratchSize: 0
; MemoryBound: 0
; FloatMode: 240
; IeeeMode: 1
; LDSByteSize: 0 bytes/workgroup (compile time only)
; SGPRBlocks: 2
; VGPRBlocks: 3
; NumSGPRsForWavesPerEU: 22
; NumVGPRsForWavesPerEU: 30
; Occupancy: 16
; WaveLimiterHint : 0
; COMPUTE_PGM_RSRC2:SCRATCH_EN: 0
; COMPUTE_PGM_RSRC2:USER_SGPR: 15
; COMPUTE_PGM_RSRC2:TRAP_HANDLER: 0
; COMPUTE_PGM_RSRC2:TGID_X_EN: 1
; COMPUTE_PGM_RSRC2:TGID_Y_EN: 0
; COMPUTE_PGM_RSRC2:TGID_Z_EN: 0
; COMPUTE_PGM_RSRC2:TIDIG_COMP_CNT: 0
	.section	.text._ZN2at6native12_GLOBAL__N_125multi_tensor_apply_kernelINS1_18TensorListMetadataILi1EEENS1_14UnaryOpFunctorIdLi1ELi1ELi0EEEJNS0_3ExpIdEEEEEvT_T0_DpT1_,"axG",@progbits,_ZN2at6native12_GLOBAL__N_125multi_tensor_apply_kernelINS1_18TensorListMetadataILi1EEENS1_14UnaryOpFunctorIdLi1ELi1ELi0EEEJNS0_3ExpIdEEEEEvT_T0_DpT1_,comdat
	.globl	_ZN2at6native12_GLOBAL__N_125multi_tensor_apply_kernelINS1_18TensorListMetadataILi1EEENS1_14UnaryOpFunctorIdLi1ELi1ELi0EEEJNS0_3ExpIdEEEEEvT_T0_DpT1_ ; -- Begin function _ZN2at6native12_GLOBAL__N_125multi_tensor_apply_kernelINS1_18TensorListMetadataILi1EEENS1_14UnaryOpFunctorIdLi1ELi1ELi0EEEJNS0_3ExpIdEEEEEvT_T0_DpT1_
	.p2align	8
	.type	_ZN2at6native12_GLOBAL__N_125multi_tensor_apply_kernelINS1_18TensorListMetadataILi1EEENS1_14UnaryOpFunctorIdLi1ELi1ELi0EEEJNS0_3ExpIdEEEEEvT_T0_DpT1_,@function
_ZN2at6native12_GLOBAL__N_125multi_tensor_apply_kernelINS1_18TensorListMetadataILi1EEENS1_14UnaryOpFunctorIdLi1ELi1ELi0EEEJNS0_3ExpIdEEEEEvT_T0_DpT1_: ; @_ZN2at6native12_GLOBAL__N_125multi_tensor_apply_kernelINS1_18TensorListMetadataILi1EEENS1_14UnaryOpFunctorIdLi1ELi1ELi0EEEJNS0_3ExpIdEEEEEvT_T0_DpT1_
; %bb.0:
	v_mov_b32_e32 v1, s15
	s_add_u32 s2, s0, s15
	s_mul_hi_u32 s3, s15, 3
	s_mul_i32 s15, s15, 3
	s_addc_u32 s4, s1, 0
	global_load_u8 v1, v1, s[0:1] offset:1760
	s_add_u32 s2, s2, s15
	s_addc_u32 s3, s4, s3
	s_mov_b32 s13, 0
	s_load_b32 s2, s[2:3], 0x820
	s_waitcnt vmcnt(0)
	v_readfirstlane_b32 s5, v1
	s_delay_alu instid0(VALU_DEP_1)
	s_lshl_b32 s3, s5, 3
	s_clause 0x1
	s_load_b64 s[6:7], s[0:1], s3 offset:0x0
	s_load_b64 s[4:5], s[0:1], s3 offset:0x370
	s_waitcnt lgkmcnt(0)
	s_ashr_i32 s3, s2, 31
	s_delay_alu instid0(SALU_CYCLE_1)
	s_lshl_b64 s[8:9], s[2:3], 19
	s_lshl_b64 s[2:3], s[2:3], 16
	s_and_b32 s12, s6, 31
	s_sub_u32 s10, s4, s2
	s_subb_u32 s11, s5, s3
	s_and_b32 s2, s4, 3
	s_mov_b32 s3, s13
	s_delay_alu instid0(SALU_CYCLE_1) | instskip(NEXT) | instid1(SALU_CYCLE_1)
	s_or_b64 s[2:3], s[12:13], s[2:3]
	s_cmp_eq_u64 s[2:3], 0
	s_cbranch_scc1 .LBB136_21
; %bb.1:
	v_cmp_lt_i64_e64 s2, s[10:11], 1
	s_delay_alu instid0(VALU_DEP_1)
	s_and_b32 vcc_lo, exec_lo, s2
	s_cbranch_vccnz .LBB136_20
; %bb.2:
	s_load_b32 s2, s[0:1], 0xd3c
	v_cmp_gt_u64_e64 s3, 0x10000, s[10:11]
	v_lshlrev_b32_e32 v1, 3, v0
	s_mov_b32 s14, 0x652b82fe
	s_mov_b32 s16, 0xfefa39ef
	;; [unrolled: 1-line block ×17, first 2 shown]
	s_waitcnt lgkmcnt(0)
	s_and_b32 s2, s2, 0xffff
	s_and_b32 s3, s3, exec_lo
	v_add_co_u32 v13, s5, v0, s2
	s_cselect_b32 s13, s11, 0
	s_cselect_b32 s12, s10, 0x10000
	s_lshl_b32 s3, s2, 1
	s_lshl_b32 s33, s2, 2
	v_lshlrev_b32_e32 v3, 3, v13
	s_add_u32 s42, s6, s8
	v_add_co_u32 v16, s3, s3, v0
	s_mul_i32 s4, s2, 3
	s_addc_u32 s43, s7, s9
	v_add_co_ci_u32_e64 v17, null, 0, 0, s3
	v_add_co_u32 v1, s3, s42, v1
	v_add_co_u32 v14, s4, s4, v0
	v_add_co_ci_u32_e64 v2, null, s43, 0, s3
	v_add_co_u32 v3, s3, s42, v3
	v_add_co_ci_u32_e64 v15, null, 0, 0, s4
	v_add_co_ci_u32_e64 v18, null, 0, 0, s5
	;; [unrolled: 1-line block ×3, first 2 shown]
	s_lshl_b32 s44, s2, 5
	s_mov_b32 s23, 0x3e5ade15
	s_mov_b32 s25, 0x3ec71dee
	;; [unrolled: 1-line block ×9, first 2 shown]
	s_mul_i32 s45, s2, 24
	s_lshl_b32 s46, s2, 4
	s_mov_b64 s[42:43], 0
	s_branch .LBB136_4
.LBB136_3:                              ;   in Loop: Header=BB136_4 Depth=1
	s_or_b32 exec_lo, exec_lo, s3
	s_add_u32 s42, s42, s33
	s_addc_u32 s43, s43, 0
	v_add_co_u32 v1, vcc_lo, v1, s44
	v_cmp_lt_i64_e64 s2, s[42:43], s[10:11]
	v_cmp_gt_u64_e64 s3, 0x10000, s[42:43]
	v_add_co_ci_u32_e32 v2, vcc_lo, 0, v2, vcc_lo
	v_add_co_u32 v3, vcc_lo, v3, s44
	v_add_co_ci_u32_e32 v4, vcc_lo, 0, v4, vcc_lo
	s_delay_alu instid0(VALU_DEP_4) | instskip(NEXT) | instid1(SALU_CYCLE_1)
	s_and_b32 s2, s2, s3
	s_and_b32 vcc_lo, exec_lo, s2
	s_cbranch_vccz .LBB136_20
.LBB136_4:                              ; =>This Inner Loop Header: Depth=1
	s_waitcnt vmcnt(0)
	v_add_co_u32 v5, s2, v0, s42
	s_delay_alu instid0(VALU_DEP_1) | instskip(SKIP_2) | instid1(VALU_DEP_3)
	v_add_co_ci_u32_e64 v6, null, 0, s43, s2
	v_mov_b32_e32 v9, 0
	v_mov_b32_e32 v10, 0
	v_cmp_gt_u64_e64 s4, s[12:13], v[5:6]
	s_delay_alu instid0(VALU_DEP_2) | instskip(NEXT) | instid1(VALU_DEP_2)
	v_dual_mov_b32 v12, v10 :: v_dual_mov_b32 v11, v9
	s_and_saveexec_b32 s2, s4
	s_cbranch_execz .LBB136_6
; %bb.5:                                ;   in Loop: Header=BB136_4 Depth=1
	global_load_b64 v[11:12], v[1:2], off
.LBB136_6:                              ;   in Loop: Header=BB136_4 Depth=1
	s_or_b32 exec_lo, exec_lo, s2
	v_add_co_u32 v5, vcc_lo, v13, s42
	v_add_co_ci_u32_e32 v6, vcc_lo, s43, v18, vcc_lo
	s_delay_alu instid0(VALU_DEP_1) | instskip(NEXT) | instid1(VALU_DEP_1)
	v_cmp_gt_u64_e64 s3, s[12:13], v[5:6]
	s_and_saveexec_b32 s2, s3
	s_cbranch_execz .LBB136_8
; %bb.7:                                ;   in Loop: Header=BB136_4 Depth=1
	global_load_b64 v[9:10], v[3:4], off
.LBB136_8:                              ;   in Loop: Header=BB136_4 Depth=1
	s_or_b32 exec_lo, exec_lo, s2
	v_add_co_u32 v7, vcc_lo, v16, s42
	v_add_co_ci_u32_e32 v8, vcc_lo, s43, v17, vcc_lo
	v_mov_b32_e32 v5, 0
	v_mov_b32_e32 v6, 0
	s_delay_alu instid0(VALU_DEP_3) | instskip(NEXT) | instid1(VALU_DEP_2)
	v_cmp_gt_u64_e64 s2, s[12:13], v[7:8]
	v_dual_mov_b32 v8, v6 :: v_dual_mov_b32 v7, v5
	s_delay_alu instid0(VALU_DEP_2)
	s_and_saveexec_b32 s5, s2
	s_cbranch_execz .LBB136_10
; %bb.9:                                ;   in Loop: Header=BB136_4 Depth=1
	v_add_co_u32 v7, vcc_lo, v1, s46
	v_add_co_ci_u32_e32 v8, vcc_lo, 0, v2, vcc_lo
	global_load_b64 v[7:8], v[7:8], off
.LBB136_10:                             ;   in Loop: Header=BB136_4 Depth=1
	s_or_b32 exec_lo, exec_lo, s5
	v_add_co_u32 v19, vcc_lo, v14, s42
	v_add_co_ci_u32_e32 v20, vcc_lo, s43, v15, vcc_lo
	s_delay_alu instid0(VALU_DEP_1)
	v_cmp_gt_u64_e32 vcc_lo, s[12:13], v[19:20]
	s_and_saveexec_b32 s47, vcc_lo
	s_cbranch_execnz .LBB136_15
; %bb.11:                               ;   in Loop: Header=BB136_4 Depth=1
	s_or_b32 exec_lo, exec_lo, s47
	s_and_saveexec_b32 s47, s4
	s_cbranch_execnz .LBB136_16
.LBB136_12:                             ;   in Loop: Header=BB136_4 Depth=1
	s_or_b32 exec_lo, exec_lo, s47
	s_and_saveexec_b32 s5, s3
	s_cbranch_execnz .LBB136_17
.LBB136_13:                             ;   in Loop: Header=BB136_4 Depth=1
	s_or_b32 exec_lo, exec_lo, s5
	s_and_saveexec_b32 s4, s2
	s_cbranch_execnz .LBB136_18
.LBB136_14:                             ;   in Loop: Header=BB136_4 Depth=1
	s_or_b32 exec_lo, exec_lo, s4
	s_and_saveexec_b32 s3, vcc_lo
	s_cbranch_execz .LBB136_3
	s_branch .LBB136_19
.LBB136_15:                             ;   in Loop: Header=BB136_4 Depth=1
	v_add_co_u32 v5, s5, v1, s45
	s_delay_alu instid0(VALU_DEP_1)
	v_add_co_ci_u32_e64 v6, s5, 0, v2, s5
	global_load_b64 v[5:6], v[5:6], off
	s_or_b32 exec_lo, exec_lo, s47
	s_and_saveexec_b32 s47, s4
	s_cbranch_execz .LBB136_12
.LBB136_16:                             ;   in Loop: Header=BB136_4 Depth=1
	s_waitcnt vmcnt(0)
	v_mul_f64 v[19:20], v[11:12], s[14:15]
	v_cmp_nlt_f64_e64 s4, 0x40900000, v[11:12]
	v_cmp_ngt_f64_e64 s5, 0xc090cc00, v[11:12]
	s_delay_alu instid0(VALU_DEP_3) | instskip(NEXT) | instid1(VALU_DEP_1)
	v_rndne_f64_e32 v[19:20], v[19:20]
	v_fma_f64 v[21:22], v[19:20], s[16:17], v[11:12]
	v_cvt_i32_f64_e32 v25, v[19:20]
	s_delay_alu instid0(VALU_DEP_2) | instskip(NEXT) | instid1(VALU_DEP_1)
	v_fma_f64 v[21:22], v[19:20], s[18:19], v[21:22]
	v_fma_f64 v[23:24], v[21:22], s[22:23], s[20:21]
	s_delay_alu instid0(VALU_DEP_1) | instskip(NEXT) | instid1(VALU_DEP_1)
	v_fma_f64 v[23:24], v[21:22], v[23:24], s[24:25]
	v_fma_f64 v[23:24], v[21:22], v[23:24], s[26:27]
	s_delay_alu instid0(VALU_DEP_1) | instskip(NEXT) | instid1(VALU_DEP_1)
	;; [unrolled: 3-line block ×5, first 2 shown]
	v_fma_f64 v[23:24], v[21:22], v[23:24], 1.0
	v_fma_f64 v[19:20], v[21:22], v[23:24], 1.0
	s_delay_alu instid0(VALU_DEP_1) | instskip(NEXT) | instid1(VALU_DEP_1)
	v_ldexp_f64 v[19:20], v[19:20], v25
	v_cndmask_b32_e64 v20, 0x7ff00000, v20, s4
	s_and_b32 s4, s5, s4
	s_delay_alu instid0(VALU_DEP_2) | instid1(SALU_CYCLE_1)
	v_cndmask_b32_e64 v11, 0, v19, s4
	s_delay_alu instid0(VALU_DEP_2)
	v_cndmask_b32_e64 v12, 0, v20, s5
	global_store_b64 v[1:2], v[11:12], off
	s_or_b32 exec_lo, exec_lo, s47
	s_and_saveexec_b32 s5, s3
	s_cbranch_execz .LBB136_13
.LBB136_17:                             ;   in Loop: Header=BB136_4 Depth=1
	s_waitcnt vmcnt(0)
	v_mul_f64 v[11:12], v[9:10], s[14:15]
	v_cmp_nlt_f64_e64 s3, 0x40900000, v[9:10]
	v_cmp_ngt_f64_e64 s4, 0xc090cc00, v[9:10]
	s_delay_alu instid0(VALU_DEP_3) | instskip(NEXT) | instid1(VALU_DEP_1)
	v_rndne_f64_e32 v[11:12], v[11:12]
	v_fma_f64 v[19:20], v[11:12], s[16:17], v[9:10]
	v_cvt_i32_f64_e32 v23, v[11:12]
	s_delay_alu instid0(VALU_DEP_2) | instskip(NEXT) | instid1(VALU_DEP_1)
	v_fma_f64 v[19:20], v[11:12], s[18:19], v[19:20]
	v_fma_f64 v[21:22], v[19:20], s[22:23], s[20:21]
	s_delay_alu instid0(VALU_DEP_1) | instskip(NEXT) | instid1(VALU_DEP_1)
	v_fma_f64 v[21:22], v[19:20], v[21:22], s[24:25]
	v_fma_f64 v[21:22], v[19:20], v[21:22], s[26:27]
	s_delay_alu instid0(VALU_DEP_1) | instskip(NEXT) | instid1(VALU_DEP_1)
	;; [unrolled: 3-line block ×5, first 2 shown]
	v_fma_f64 v[21:22], v[19:20], v[21:22], 1.0
	v_fma_f64 v[11:12], v[19:20], v[21:22], 1.0
	s_delay_alu instid0(VALU_DEP_1) | instskip(NEXT) | instid1(VALU_DEP_1)
	v_ldexp_f64 v[11:12], v[11:12], v23
	v_cndmask_b32_e64 v12, 0x7ff00000, v12, s3
	s_and_b32 s3, s4, s3
	s_delay_alu instid0(VALU_DEP_2) | instid1(SALU_CYCLE_1)
	v_cndmask_b32_e64 v9, 0, v11, s3
	s_delay_alu instid0(VALU_DEP_2)
	v_cndmask_b32_e64 v10, 0, v12, s4
	global_store_b64 v[3:4], v[9:10], off
	s_or_b32 exec_lo, exec_lo, s5
	s_and_saveexec_b32 s4, s2
	s_cbranch_execz .LBB136_14
.LBB136_18:                             ;   in Loop: Header=BB136_4 Depth=1
	s_waitcnt vmcnt(0)
	v_mul_f64 v[9:10], v[7:8], s[14:15]
	v_cmp_nlt_f64_e64 s2, 0x40900000, v[7:8]
	v_cmp_ngt_f64_e64 s3, 0xc090cc00, v[7:8]
	s_delay_alu instid0(VALU_DEP_3) | instskip(NEXT) | instid1(VALU_DEP_1)
	v_rndne_f64_e32 v[9:10], v[9:10]
	v_fma_f64 v[11:12], v[9:10], s[16:17], v[7:8]
	v_cvt_i32_f64_e32 v21, v[9:10]
	s_delay_alu instid0(VALU_DEP_2) | instskip(NEXT) | instid1(VALU_DEP_1)
	v_fma_f64 v[11:12], v[9:10], s[18:19], v[11:12]
	v_fma_f64 v[19:20], v[11:12], s[22:23], s[20:21]
	s_delay_alu instid0(VALU_DEP_1) | instskip(NEXT) | instid1(VALU_DEP_1)
	v_fma_f64 v[19:20], v[11:12], v[19:20], s[24:25]
	v_fma_f64 v[19:20], v[11:12], v[19:20], s[26:27]
	s_delay_alu instid0(VALU_DEP_1) | instskip(NEXT) | instid1(VALU_DEP_1)
	;; [unrolled: 3-line block ×5, first 2 shown]
	v_fma_f64 v[19:20], v[11:12], v[19:20], 1.0
	v_fma_f64 v[9:10], v[11:12], v[19:20], 1.0
	s_delay_alu instid0(VALU_DEP_1) | instskip(NEXT) | instid1(VALU_DEP_1)
	v_ldexp_f64 v[9:10], v[9:10], v21
	v_cndmask_b32_e64 v10, 0x7ff00000, v10, s2
	s_and_b32 s2, s3, s2
	s_delay_alu instid0(VALU_DEP_2) | instid1(SALU_CYCLE_1)
	v_cndmask_b32_e64 v7, 0, v9, s2
	v_add_co_u32 v9, s2, v1, s46
	s_delay_alu instid0(VALU_DEP_3)
	v_cndmask_b32_e64 v8, 0, v10, s3
	v_add_co_ci_u32_e64 v10, s2, 0, v2, s2
	global_store_b64 v[9:10], v[7:8], off
	s_or_b32 exec_lo, exec_lo, s4
	s_and_saveexec_b32 s3, vcc_lo
	s_cbranch_execz .LBB136_3
.LBB136_19:                             ;   in Loop: Header=BB136_4 Depth=1
	s_waitcnt vmcnt(0)
	v_mul_f64 v[7:8], v[5:6], s[14:15]
	v_cmp_nlt_f64_e32 vcc_lo, 0x40900000, v[5:6]
	v_cmp_ngt_f64_e64 s2, 0xc090cc00, v[5:6]
	s_delay_alu instid0(VALU_DEP_3) | instskip(NEXT) | instid1(VALU_DEP_1)
	v_rndne_f64_e32 v[7:8], v[7:8]
	v_fma_f64 v[9:10], v[7:8], s[16:17], v[5:6]
	v_cvt_i32_f64_e32 v19, v[7:8]
	s_delay_alu instid0(VALU_DEP_2) | instskip(NEXT) | instid1(VALU_DEP_1)
	v_fma_f64 v[9:10], v[7:8], s[18:19], v[9:10]
	v_fma_f64 v[11:12], v[9:10], s[22:23], s[20:21]
	s_delay_alu instid0(VALU_DEP_1) | instskip(NEXT) | instid1(VALU_DEP_1)
	v_fma_f64 v[11:12], v[9:10], v[11:12], s[24:25]
	v_fma_f64 v[11:12], v[9:10], v[11:12], s[26:27]
	s_delay_alu instid0(VALU_DEP_1) | instskip(NEXT) | instid1(VALU_DEP_1)
	;; [unrolled: 3-line block ×5, first 2 shown]
	v_fma_f64 v[11:12], v[9:10], v[11:12], 1.0
	v_fma_f64 v[7:8], v[9:10], v[11:12], 1.0
	s_delay_alu instid0(VALU_DEP_1) | instskip(NEXT) | instid1(VALU_DEP_1)
	v_ldexp_f64 v[7:8], v[7:8], v19
	v_cndmask_b32_e32 v8, 0x7ff00000, v8, vcc_lo
	s_and_b32 vcc_lo, s2, vcc_lo
	s_delay_alu instid0(VALU_DEP_2) | instskip(SKIP_1) | instid1(VALU_DEP_3)
	v_cndmask_b32_e32 v5, 0, v7, vcc_lo
	v_add_co_u32 v7, vcc_lo, v1, s45
	v_cndmask_b32_e64 v6, 0, v8, s2
	v_add_co_ci_u32_e32 v8, vcc_lo, 0, v2, vcc_lo
	global_store_b64 v[7:8], v[5:6], off
	s_branch .LBB136_3
.LBB136_20:
	s_cbranch_execz .LBB136_22
	s_branch .LBB136_25
.LBB136_21:
.LBB136_22:
	v_dual_mov_b32 v2, 0 :: v_dual_lshlrev_b32 v1, 2, v0
	s_mov_b32 s33, 0
	s_mov_b32 s2, exec_lo
	s_delay_alu instid0(VALU_DEP_1)
	v_cmpx_gt_i64_e64 s[10:11], v[1:2]
	s_cbranch_execz .LBB136_25
; %bb.23:
	s_load_b32 s0, s[0:1], 0xd3c
	v_lshlrev_b32_e32 v3, 5, v0
	s_mov_b32 s12, 0x652b82fe
	s_mov_b32 s14, 0xfefa39ef
	;; [unrolled: 1-line block ×18, first 2 shown]
	s_waitcnt lgkmcnt(0)
	s_and_b32 s0, s0, 0xffff
	s_mov_b32 s23, 0x3ec71dee
	s_lshl_b32 s40, s0, 2
	s_add_u32 s1, s6, s8
	v_add_lshl_u32 v1, v0, s0, 2
	s_addc_u32 s2, s7, s9
	v_add_co_u32 v0, s1, s1, v3
	s_delay_alu instid0(VALU_DEP_1) | instskip(SKIP_1) | instid1(VALU_DEP_2)
	v_add_co_ci_u32_e64 v4, null, s2, 0, s1
	s_mov_b32 s25, 0x3efa0199
	v_add_co_u32 v3, vcc_lo, v0, 16
	s_delay_alu instid0(VALU_DEP_2)
	v_add_co_ci_u32_e32 v4, vcc_lo, 0, v4, vcc_lo
	s_mov_b32 s27, 0x3f2a01a0
	s_mov_b32 s29, 0x3f56c16c
	;; [unrolled: 1-line block ×6, first 2 shown]
	s_lshl_b32 s9, s0, 5
.LBB136_24:                             ; =>This Inner Loop Header: Depth=1
	s_clause 0x1
	global_load_b128 v[5:8], v[3:4], off offset:-16
	global_load_b128 v[9:12], v[3:4], off
	v_cmp_le_i64_e64 s7, s[10:11], v[1:2]
	v_cmp_lt_u64_e64 s8, 0xffff, v[1:2]
	s_waitcnt vmcnt(1)
	v_mul_f64 v[13:14], v[5:6], s[12:13]
	v_mul_f64 v[15:16], v[7:8], s[12:13]
	s_waitcnt vmcnt(0)
	v_mul_f64 v[17:18], v[9:10], s[12:13]
	v_mul_f64 v[19:20], v[11:12], s[12:13]
	v_cmp_nlt_f64_e64 s1, 0x40900000, v[7:8]
	v_cmp_nlt_f64_e64 s3, 0x40900000, v[9:10]
	v_cmp_nlt_f64_e32 vcc_lo, 0x40900000, v[5:6]
	v_cmp_ngt_f64_e64 s0, 0xc090cc00, v[5:6]
	v_cmp_nlt_f64_e64 s5, 0x40900000, v[11:12]
	v_cmp_ngt_f64_e64 s2, 0xc090cc00, v[7:8]
	v_cmp_ngt_f64_e64 s4, 0xc090cc00, v[9:10]
	;; [unrolled: 1-line block ×3, first 2 shown]
	v_rndne_f64_e32 v[13:14], v[13:14]
	v_rndne_f64_e32 v[15:16], v[15:16]
	;; [unrolled: 1-line block ×4, first 2 shown]
	s_delay_alu instid0(VALU_DEP_4) | instskip(NEXT) | instid1(VALU_DEP_4)
	v_fma_f64 v[21:22], v[13:14], s[14:15], v[5:6]
	v_fma_f64 v[23:24], v[15:16], s[14:15], v[7:8]
	s_delay_alu instid0(VALU_DEP_4) | instskip(NEXT) | instid1(VALU_DEP_4)
	v_fma_f64 v[25:26], v[17:18], s[14:15], v[9:10]
	v_fma_f64 v[27:28], v[19:20], s[14:15], v[11:12]
	v_cvt_i32_f64_e32 v0, v[13:14]
	v_fma_f64 v[21:22], v[13:14], s[16:17], v[21:22]
	v_fma_f64 v[23:24], v[15:16], s[16:17], v[23:24]
	;; [unrolled: 1-line block ×4, first 2 shown]
	s_delay_alu instid0(VALU_DEP_4) | instskip(NEXT) | instid1(VALU_DEP_4)
	v_fma_f64 v[29:30], v[21:22], s[20:21], s[18:19]
	v_fma_f64 v[31:32], v[23:24], s[20:21], s[18:19]
	s_delay_alu instid0(VALU_DEP_4) | instskip(NEXT) | instid1(VALU_DEP_4)
	v_fma_f64 v[33:34], v[25:26], s[20:21], s[18:19]
	v_fma_f64 v[35:36], v[27:28], s[20:21], s[18:19]
	;; [unrolled: 3-line block ×18, first 2 shown]
	s_delay_alu instid0(VALU_DEP_4) | instskip(NEXT) | instid1(VALU_DEP_4)
	v_fma_f64 v[29:30], v[21:22], v[29:30], 1.0
	v_fma_f64 v[31:32], v[23:24], v[31:32], 1.0
	s_delay_alu instid0(VALU_DEP_4) | instskip(NEXT) | instid1(VALU_DEP_4)
	v_fma_f64 v[33:34], v[25:26], v[33:34], 1.0
	v_fma_f64 v[35:36], v[27:28], v[35:36], 1.0
	s_delay_alu instid0(VALU_DEP_4)
	v_fma_f64 v[13:14], v[21:22], v[29:30], 1.0
	v_cvt_i32_f64_e32 v21, v[15:16]
	v_fma_f64 v[15:16], v[23:24], v[31:32], 1.0
	v_cvt_i32_f64_e32 v22, v[17:18]
	;; [unrolled: 2-line block ×3, first 2 shown]
	v_fma_f64 v[19:20], v[27:28], v[35:36], 1.0
	v_ldexp_f64 v[13:14], v[13:14], v0
	v_ldexp_f64 v[15:16], v[15:16], v21
	;; [unrolled: 1-line block ×3, first 2 shown]
	s_delay_alu instid0(VALU_DEP_4) | instskip(NEXT) | instid1(VALU_DEP_4)
	v_ldexp_f64 v[19:20], v[19:20], v23
	v_cndmask_b32_e32 v0, 0x7ff00000, v14, vcc_lo
	s_and_b32 vcc_lo, s0, vcc_lo
	s_delay_alu instid0(VALU_DEP_4) | instskip(NEXT) | instid1(VALU_DEP_4)
	v_cndmask_b32_e64 v5, 0x7ff00000, v16, s1
	v_cndmask_b32_e64 v7, 0x7ff00000, v18, s3
	s_delay_alu instid0(VALU_DEP_3) | instskip(SKIP_1) | instid1(VALU_DEP_4)
	v_cndmask_b32_e64 v6, 0, v0, s0
	v_cndmask_b32_e64 v9, 0x7ff00000, v20, s5
	;; [unrolled: 1-line block ×3, first 2 shown]
	v_cndmask_b32_e32 v5, 0, v13, vcc_lo
	s_and_b32 vcc_lo, s2, s1
	v_cndmask_b32_e64 v10, 0, v7, s4
	v_cndmask_b32_e32 v7, 0, v15, vcc_lo
	s_and_b32 vcc_lo, s4, s3
	v_cndmask_b32_e64 v12, 0, v9, s6
	v_cndmask_b32_e32 v9, 0, v17, vcc_lo
	s_and_b32 vcc_lo, s6, s5
	s_or_b32 s0, s7, s8
	v_cndmask_b32_e32 v11, 0, v19, vcc_lo
	v_add_co_u32 v1, vcc_lo, v1, s40
	v_add_co_ci_u32_e32 v2, vcc_lo, 0, v2, vcc_lo
	s_clause 0x1
	global_store_b128 v[3:4], v[5:8], off offset:-16
	global_store_b128 v[3:4], v[9:12], off
	v_add_co_u32 v3, vcc_lo, v3, s9
	v_add_co_ci_u32_e32 v4, vcc_lo, 0, v4, vcc_lo
	s_and_b32 s0, exec_lo, s0
	s_delay_alu instid0(SALU_CYCLE_1) | instskip(NEXT) | instid1(SALU_CYCLE_1)
	s_or_b32 s33, s0, s33
	s_and_not1_b32 exec_lo, exec_lo, s33
	s_cbranch_execnz .LBB136_24
.LBB136_25:
	s_nop 0
	s_sendmsg sendmsg(MSG_DEALLOC_VGPRS)
	s_endpgm
	.section	.rodata,"a",@progbits
	.p2align	6, 0x0
	.amdhsa_kernel _ZN2at6native12_GLOBAL__N_125multi_tensor_apply_kernelINS1_18TensorListMetadataILi1EEENS1_14UnaryOpFunctorIdLi1ELi1ELi0EEEJNS0_3ExpIdEEEEEvT_T0_DpT1_
		.amdhsa_group_segment_fixed_size 0
		.amdhsa_private_segment_fixed_size 0
		.amdhsa_kernarg_size 3632
		.amdhsa_user_sgpr_count 15
		.amdhsa_user_sgpr_dispatch_ptr 0
		.amdhsa_user_sgpr_queue_ptr 0
		.amdhsa_user_sgpr_kernarg_segment_ptr 1
		.amdhsa_user_sgpr_dispatch_id 0
		.amdhsa_user_sgpr_private_segment_size 0
		.amdhsa_wavefront_size32 1
		.amdhsa_uses_dynamic_stack 0
		.amdhsa_enable_private_segment 0
		.amdhsa_system_sgpr_workgroup_id_x 1
		.amdhsa_system_sgpr_workgroup_id_y 0
		.amdhsa_system_sgpr_workgroup_id_z 0
		.amdhsa_system_sgpr_workgroup_info 0
		.amdhsa_system_vgpr_workitem_id 0
		.amdhsa_next_free_vgpr 37
		.amdhsa_next_free_sgpr 48
		.amdhsa_reserve_vcc 1
		.amdhsa_float_round_mode_32 0
		.amdhsa_float_round_mode_16_64 0
		.amdhsa_float_denorm_mode_32 3
		.amdhsa_float_denorm_mode_16_64 3
		.amdhsa_dx10_clamp 1
		.amdhsa_ieee_mode 1
		.amdhsa_fp16_overflow 0
		.amdhsa_workgroup_processor_mode 1
		.amdhsa_memory_ordered 1
		.amdhsa_forward_progress 0
		.amdhsa_shared_vgpr_count 0
		.amdhsa_exception_fp_ieee_invalid_op 0
		.amdhsa_exception_fp_denorm_src 0
		.amdhsa_exception_fp_ieee_div_zero 0
		.amdhsa_exception_fp_ieee_overflow 0
		.amdhsa_exception_fp_ieee_underflow 0
		.amdhsa_exception_fp_ieee_inexact 0
		.amdhsa_exception_int_div_zero 0
	.end_amdhsa_kernel
	.section	.text._ZN2at6native12_GLOBAL__N_125multi_tensor_apply_kernelINS1_18TensorListMetadataILi1EEENS1_14UnaryOpFunctorIdLi1ELi1ELi0EEEJNS0_3ExpIdEEEEEvT_T0_DpT1_,"axG",@progbits,_ZN2at6native12_GLOBAL__N_125multi_tensor_apply_kernelINS1_18TensorListMetadataILi1EEENS1_14UnaryOpFunctorIdLi1ELi1ELi0EEEJNS0_3ExpIdEEEEEvT_T0_DpT1_,comdat
.Lfunc_end136:
	.size	_ZN2at6native12_GLOBAL__N_125multi_tensor_apply_kernelINS1_18TensorListMetadataILi1EEENS1_14UnaryOpFunctorIdLi1ELi1ELi0EEEJNS0_3ExpIdEEEEEvT_T0_DpT1_, .Lfunc_end136-_ZN2at6native12_GLOBAL__N_125multi_tensor_apply_kernelINS1_18TensorListMetadataILi1EEENS1_14UnaryOpFunctorIdLi1ELi1ELi0EEEJNS0_3ExpIdEEEEEvT_T0_DpT1_
                                        ; -- End function
	.section	.AMDGPU.csdata,"",@progbits
; Kernel info:
; codeLenInByte = 3192
; NumSgprs: 50
; NumVgprs: 37
; ScratchSize: 0
; MemoryBound: 0
; FloatMode: 240
; IeeeMode: 1
; LDSByteSize: 0 bytes/workgroup (compile time only)
; SGPRBlocks: 6
; VGPRBlocks: 4
; NumSGPRsForWavesPerEU: 50
; NumVGPRsForWavesPerEU: 37
; Occupancy: 16
; WaveLimiterHint : 0
; COMPUTE_PGM_RSRC2:SCRATCH_EN: 0
; COMPUTE_PGM_RSRC2:USER_SGPR: 15
; COMPUTE_PGM_RSRC2:TRAP_HANDLER: 0
; COMPUTE_PGM_RSRC2:TGID_X_EN: 1
; COMPUTE_PGM_RSRC2:TGID_Y_EN: 0
; COMPUTE_PGM_RSRC2:TGID_Z_EN: 0
; COMPUTE_PGM_RSRC2:TIDIG_COMP_CNT: 0
	.section	.text._ZN2at6native12_GLOBAL__N_125multi_tensor_apply_kernelINS1_18TensorListMetadataILi1EEENS1_14UnaryOpFunctorIfLi1ELi1ELi0EEEJNS0_3ExpIfEEEEEvT_T0_DpT1_,"axG",@progbits,_ZN2at6native12_GLOBAL__N_125multi_tensor_apply_kernelINS1_18TensorListMetadataILi1EEENS1_14UnaryOpFunctorIfLi1ELi1ELi0EEEJNS0_3ExpIfEEEEEvT_T0_DpT1_,comdat
	.globl	_ZN2at6native12_GLOBAL__N_125multi_tensor_apply_kernelINS1_18TensorListMetadataILi1EEENS1_14UnaryOpFunctorIfLi1ELi1ELi0EEEJNS0_3ExpIfEEEEEvT_T0_DpT1_ ; -- Begin function _ZN2at6native12_GLOBAL__N_125multi_tensor_apply_kernelINS1_18TensorListMetadataILi1EEENS1_14UnaryOpFunctorIfLi1ELi1ELi0EEEJNS0_3ExpIfEEEEEvT_T0_DpT1_
	.p2align	8
	.type	_ZN2at6native12_GLOBAL__N_125multi_tensor_apply_kernelINS1_18TensorListMetadataILi1EEENS1_14UnaryOpFunctorIfLi1ELi1ELi0EEEJNS0_3ExpIfEEEEEvT_T0_DpT1_,@function
_ZN2at6native12_GLOBAL__N_125multi_tensor_apply_kernelINS1_18TensorListMetadataILi1EEENS1_14UnaryOpFunctorIfLi1ELi1ELi0EEEJNS0_3ExpIfEEEEEvT_T0_DpT1_: ; @_ZN2at6native12_GLOBAL__N_125multi_tensor_apply_kernelINS1_18TensorListMetadataILi1EEENS1_14UnaryOpFunctorIfLi1ELi1ELi0EEEJNS0_3ExpIfEEEEEvT_T0_DpT1_
; %bb.0:
	v_mov_b32_e32 v1, s15
	s_add_u32 s2, s0, s15
	s_mul_hi_u32 s3, s15, 3
	s_mul_i32 s15, s15, 3
	s_addc_u32 s4, s1, 0
	global_load_u8 v1, v1, s[0:1] offset:1760
	s_add_u32 s2, s2, s15
	s_addc_u32 s3, s4, s3
	s_mov_b32 s13, 0
	s_load_b32 s2, s[2:3], 0x820
	s_waitcnt vmcnt(0)
	v_readfirstlane_b32 s5, v1
	s_delay_alu instid0(VALU_DEP_1)
	s_lshl_b32 s3, s5, 3
	s_clause 0x1
	s_load_b64 s[8:9], s[0:1], s3 offset:0x0
	s_load_b64 s[4:5], s[0:1], s3 offset:0x370
	s_waitcnt lgkmcnt(0)
	s_ashr_i32 s3, s2, 31
	s_delay_alu instid0(SALU_CYCLE_1)
	s_lshl_b64 s[10:11], s[2:3], 18
	s_lshl_b64 s[2:3], s[2:3], 16
	s_and_b32 s12, s8, 15
	s_sub_u32 s6, s4, s2
	s_subb_u32 s7, s5, s3
	s_and_b32 s2, s4, 3
	s_mov_b32 s3, s13
	s_delay_alu instid0(SALU_CYCLE_1) | instskip(NEXT) | instid1(SALU_CYCLE_1)
	s_or_b64 s[2:3], s[12:13], s[2:3]
	s_cmp_eq_u64 s[2:3], 0
	s_cbranch_scc1 .LBB137_21
; %bb.1:
	v_cmp_lt_i64_e64 s2, s[6:7], 1
	s_delay_alu instid0(VALU_DEP_1)
	s_and_b32 vcc_lo, exec_lo, s2
	s_cbranch_vccnz .LBB137_20
; %bb.2:
	s_load_b32 s2, s[0:1], 0xd3c
	v_cmp_gt_u64_e64 s3, 0x10000, s[6:7]
	v_lshlrev_b32_e32 v1, 2, v0
	s_waitcnt lgkmcnt(0)
	s_and_b32 s2, s2, 0xffff
	s_delay_alu instid0(VALU_DEP_2)
	s_and_b32 s3, s3, exec_lo
	v_add_co_u32 v5, s5, v0, s2
	s_cselect_b32 s13, s7, 0
	s_cselect_b32 s12, s6, 0x10000
	s_lshl_b32 s3, s2, 1
	s_lshl_b32 s16, s2, 2
	v_lshlrev_b32_e32 v3, 2, v5
	v_add_co_ci_u32_e64 v6, null, 0, 0, s5
	s_add_u32 s5, s8, s10
	v_add_co_u32 v9, s3, s3, v0
	s_mul_i32 s4, s2, 3
	s_addc_u32 s14, s9, s11
	v_add_co_ci_u32_e64 v10, null, 0, 0, s3
	v_add_co_u32 v1, s3, s5, v1
	v_add_co_u32 v7, s4, s4, v0
	v_add_co_ci_u32_e64 v2, null, s14, 0, s3
	v_add_co_u32 v3, s3, s5, v3
	v_add_co_ci_u32_e64 v8, null, 0, 0, s4
	v_add_co_ci_u32_e64 v4, null, s14, 0, s3
	s_lshl_b32 s17, s2, 4
	s_mul_i32 s18, s2, 12
	s_lshl_b32 s19, s2, 3
	s_mov_b64 s[14:15], 0
	s_branch .LBB137_4
.LBB137_3:                              ;   in Loop: Header=BB137_4 Depth=1
	s_or_b32 exec_lo, exec_lo, s2
	s_add_u32 s14, s14, s16
	s_addc_u32 s15, s15, 0
	v_add_co_u32 v1, vcc_lo, v1, s17
	v_cmp_lt_i64_e64 s2, s[14:15], s[6:7]
	v_cmp_gt_u64_e64 s3, 0x10000, s[14:15]
	v_add_co_ci_u32_e32 v2, vcc_lo, 0, v2, vcc_lo
	v_add_co_u32 v3, vcc_lo, v3, s17
	v_add_co_ci_u32_e32 v4, vcc_lo, 0, v4, vcc_lo
	s_delay_alu instid0(VALU_DEP_4) | instskip(NEXT) | instid1(SALU_CYCLE_1)
	s_and_b32 s2, s2, s3
	s_and_b32 vcc_lo, exec_lo, s2
	s_cbranch_vccz .LBB137_20
.LBB137_4:                              ; =>This Inner Loop Header: Depth=1
	s_waitcnt vmcnt(0)
	v_add_co_u32 v11, s2, v0, s14
	s_delay_alu instid0(VALU_DEP_1) | instskip(SKIP_1) | instid1(VALU_DEP_2)
	v_add_co_ci_u32_e64 v12, null, 0, s15, s2
	v_mov_b32_e32 v14, 0
	v_cmp_gt_u64_e64 s4, s[12:13], v[11:12]
	s_delay_alu instid0(VALU_DEP_1)
	s_and_saveexec_b32 s2, s4
	s_cbranch_execz .LBB137_6
; %bb.5:                                ;   in Loop: Header=BB137_4 Depth=1
	global_load_b32 v14, v[1:2], off
.LBB137_6:                              ;   in Loop: Header=BB137_4 Depth=1
	s_or_b32 exec_lo, exec_lo, s2
	v_add_co_u32 v11, vcc_lo, v5, s14
	v_add_co_ci_u32_e32 v12, vcc_lo, s15, v6, vcc_lo
	v_mov_b32_e32 v13, 0
	s_delay_alu instid0(VALU_DEP_2) | instskip(NEXT) | instid1(VALU_DEP_1)
	v_cmp_gt_u64_e64 s3, s[12:13], v[11:12]
	s_and_saveexec_b32 s2, s3
	s_cbranch_execz .LBB137_8
; %bb.7:                                ;   in Loop: Header=BB137_4 Depth=1
	global_load_b32 v13, v[3:4], off
.LBB137_8:                              ;   in Loop: Header=BB137_4 Depth=1
	s_or_b32 exec_lo, exec_lo, s2
	v_add_co_u32 v11, vcc_lo, v9, s14
	v_add_co_ci_u32_e32 v12, vcc_lo, s15, v10, vcc_lo
	s_delay_alu instid0(VALU_DEP_1) | instskip(SKIP_1) | instid1(VALU_DEP_2)
	v_cmp_gt_u64_e64 s2, s[12:13], v[11:12]
	v_dual_mov_b32 v11, 0 :: v_dual_mov_b32 v12, 0
	s_and_saveexec_b32 s5, s2
	s_cbranch_execz .LBB137_10
; %bb.9:                                ;   in Loop: Header=BB137_4 Depth=1
	v_add_co_u32 v15, vcc_lo, v1, s19
	v_add_co_ci_u32_e32 v16, vcc_lo, 0, v2, vcc_lo
	global_load_b32 v12, v[15:16], off
.LBB137_10:                             ;   in Loop: Header=BB137_4 Depth=1
	s_or_b32 exec_lo, exec_lo, s5
	v_add_co_u32 v15, vcc_lo, v7, s14
	v_add_co_ci_u32_e32 v16, vcc_lo, s15, v8, vcc_lo
	s_delay_alu instid0(VALU_DEP_1)
	v_cmp_gt_u64_e32 vcc_lo, s[12:13], v[15:16]
	s_and_saveexec_b32 s20, vcc_lo
	s_cbranch_execnz .LBB137_15
; %bb.11:                               ;   in Loop: Header=BB137_4 Depth=1
	s_or_b32 exec_lo, exec_lo, s20
	s_and_saveexec_b32 s5, s4
	s_cbranch_execnz .LBB137_16
.LBB137_12:                             ;   in Loop: Header=BB137_4 Depth=1
	s_or_b32 exec_lo, exec_lo, s5
	s_and_saveexec_b32 s4, s3
	s_cbranch_execnz .LBB137_17
.LBB137_13:                             ;   in Loop: Header=BB137_4 Depth=1
	s_or_b32 exec_lo, exec_lo, s4
	s_and_saveexec_b32 s3, s2
	s_cbranch_execnz .LBB137_18
.LBB137_14:                             ;   in Loop: Header=BB137_4 Depth=1
	s_or_b32 exec_lo, exec_lo, s3
	s_and_saveexec_b32 s2, vcc_lo
	s_cbranch_execz .LBB137_3
	s_branch .LBB137_19
.LBB137_15:                             ;   in Loop: Header=BB137_4 Depth=1
	v_add_co_u32 v15, s5, v1, s18
	s_delay_alu instid0(VALU_DEP_1)
	v_add_co_ci_u32_e64 v16, s5, 0, v2, s5
	global_load_b32 v11, v[15:16], off
	s_or_b32 exec_lo, exec_lo, s20
	s_and_saveexec_b32 s5, s4
	s_cbranch_execz .LBB137_12
.LBB137_16:                             ;   in Loop: Header=BB137_4 Depth=1
	s_waitcnt vmcnt(0)
	v_mul_f32_e32 v15, 0x3fb8aa3b, v14
	v_cmp_ngt_f32_e64 s4, 0xc2ce8ed0, v14
	s_delay_alu instid0(VALU_DEP_2) | instskip(SKIP_1) | instid1(VALU_DEP_2)
	v_rndne_f32_e32 v16, v15
	v_fma_f32 v17, 0x3fb8aa3b, v14, -v15
	v_sub_f32_e32 v15, v15, v16
	s_delay_alu instid0(VALU_DEP_2) | instskip(SKIP_1) | instid1(VALU_DEP_2)
	v_fmac_f32_e32 v17, 0x32a5705f, v14
	v_cvt_i32_f32_e32 v16, v16
	v_add_f32_e32 v15, v15, v17
	s_delay_alu instid0(VALU_DEP_1) | instskip(SKIP_2) | instid1(VALU_DEP_1)
	v_exp_f32_e32 v15, v15
	s_waitcnt_depctr 0xfff
	v_ldexp_f32 v15, v15, v16
	v_cndmask_b32_e64 v15, 0, v15, s4
	v_cmp_nlt_f32_e64 s4, 0x42b17218, v14
	s_delay_alu instid0(VALU_DEP_1)
	v_cndmask_b32_e64 v14, 0x7f800000, v15, s4
	global_store_b32 v[1:2], v14, off
	s_or_b32 exec_lo, exec_lo, s5
	s_and_saveexec_b32 s4, s3
	s_cbranch_execz .LBB137_13
.LBB137_17:                             ;   in Loop: Header=BB137_4 Depth=1
	s_waitcnt vmcnt(0)
	v_mul_f32_e32 v14, 0x3fb8aa3b, v13
	v_cmp_ngt_f32_e64 s3, 0xc2ce8ed0, v13
	s_delay_alu instid0(VALU_DEP_2) | instskip(SKIP_1) | instid1(VALU_DEP_2)
	v_rndne_f32_e32 v15, v14
	v_fma_f32 v16, 0x3fb8aa3b, v13, -v14
	v_sub_f32_e32 v14, v14, v15
	s_delay_alu instid0(VALU_DEP_2) | instskip(SKIP_1) | instid1(VALU_DEP_2)
	v_fmac_f32_e32 v16, 0x32a5705f, v13
	v_cvt_i32_f32_e32 v15, v15
	v_add_f32_e32 v14, v14, v16
	s_delay_alu instid0(VALU_DEP_1) | instskip(SKIP_2) | instid1(VALU_DEP_1)
	v_exp_f32_e32 v14, v14
	s_waitcnt_depctr 0xfff
	v_ldexp_f32 v14, v14, v15
	v_cndmask_b32_e64 v14, 0, v14, s3
	v_cmp_nlt_f32_e64 s3, 0x42b17218, v13
	s_delay_alu instid0(VALU_DEP_1)
	v_cndmask_b32_e64 v13, 0x7f800000, v14, s3
	global_store_b32 v[3:4], v13, off
	s_or_b32 exec_lo, exec_lo, s4
	s_and_saveexec_b32 s3, s2
	s_cbranch_execz .LBB137_14
.LBB137_18:                             ;   in Loop: Header=BB137_4 Depth=1
	s_waitcnt vmcnt(0)
	v_mul_f32_e32 v13, 0x3fb8aa3b, v12
	v_cmp_ngt_f32_e64 s2, 0xc2ce8ed0, v12
	s_delay_alu instid0(VALU_DEP_2) | instskip(SKIP_1) | instid1(VALU_DEP_2)
	v_rndne_f32_e32 v14, v13
	v_fma_f32 v15, 0x3fb8aa3b, v12, -v13
	v_sub_f32_e32 v13, v13, v14
	s_delay_alu instid0(VALU_DEP_2) | instskip(SKIP_1) | instid1(VALU_DEP_2)
	v_fmac_f32_e32 v15, 0x32a5705f, v12
	v_cvt_i32_f32_e32 v14, v14
	v_add_f32_e32 v13, v13, v15
	s_delay_alu instid0(VALU_DEP_1) | instskip(SKIP_2) | instid1(VALU_DEP_1)
	v_exp_f32_e32 v13, v13
	s_waitcnt_depctr 0xfff
	v_ldexp_f32 v13, v13, v14
	v_cndmask_b32_e64 v13, 0, v13, s2
	v_cmp_nlt_f32_e64 s2, 0x42b17218, v12
	s_delay_alu instid0(VALU_DEP_1) | instskip(SKIP_1) | instid1(VALU_DEP_1)
	v_cndmask_b32_e64 v14, 0x7f800000, v13, s2
	v_add_co_u32 v12, s2, v1, s19
	v_add_co_ci_u32_e64 v13, s2, 0, v2, s2
	global_store_b32 v[12:13], v14, off
	s_or_b32 exec_lo, exec_lo, s3
	s_and_saveexec_b32 s2, vcc_lo
	s_cbranch_execz .LBB137_3
.LBB137_19:                             ;   in Loop: Header=BB137_4 Depth=1
	s_waitcnt vmcnt(0)
	v_mul_f32_e32 v12, 0x3fb8aa3b, v11
	v_cmp_ngt_f32_e32 vcc_lo, 0xc2ce8ed0, v11
	s_delay_alu instid0(VALU_DEP_2) | instskip(SKIP_1) | instid1(VALU_DEP_2)
	v_rndne_f32_e32 v13, v12
	v_fma_f32 v14, 0x3fb8aa3b, v11, -v12
	v_sub_f32_e32 v12, v12, v13
	s_delay_alu instid0(VALU_DEP_2) | instskip(SKIP_1) | instid1(VALU_DEP_2)
	v_fmac_f32_e32 v14, 0x32a5705f, v11
	v_cvt_i32_f32_e32 v13, v13
	v_add_f32_e32 v12, v12, v14
	s_delay_alu instid0(VALU_DEP_1) | instskip(SKIP_2) | instid1(VALU_DEP_1)
	v_exp_f32_e32 v12, v12
	s_waitcnt_depctr 0xfff
	v_ldexp_f32 v12, v12, v13
	v_cndmask_b32_e32 v12, 0, v12, vcc_lo
	v_cmp_nlt_f32_e32 vcc_lo, 0x42b17218, v11
	s_delay_alu instid0(VALU_DEP_2)
	v_cndmask_b32_e32 v13, 0x7f800000, v12, vcc_lo
	v_add_co_u32 v11, vcc_lo, v1, s18
	v_add_co_ci_u32_e32 v12, vcc_lo, 0, v2, vcc_lo
	global_store_b32 v[11:12], v13, off
	s_branch .LBB137_3
.LBB137_20:
	s_cbranch_execz .LBB137_22
	s_branch .LBB137_25
.LBB137_21:
.LBB137_22:
	v_dual_mov_b32 v2, 0 :: v_dual_lshlrev_b32 v1, 2, v0
	s_mov_b32 s2, 0
	s_mov_b32 s3, exec_lo
	s_delay_alu instid0(VALU_DEP_1)
	v_cmpx_gt_i64_e64 s[6:7], v[1:2]
	s_cbranch_execz .LBB137_25
; %bb.23:
	s_load_b32 s0, s[0:1], 0xd3c
	v_lshlrev_b32_e32 v1, 4, v0
	s_waitcnt lgkmcnt(0)
	s_and_b32 s0, s0, 0xffff
	s_delay_alu instid0(SALU_CYCLE_1) | instskip(SKIP_3) | instid1(VALU_DEP_1)
	s_lshl_b32 s3, s0, 2
	s_add_u32 s1, s8, s10
	s_addc_u32 s4, s9, s11
	v_add_co_u32 v3, s1, s1, v1
	v_add_co_ci_u32_e64 v4, null, s4, 0, s1
	v_add_lshl_u32 v1, v0, s0, 2
	s_delay_alu instid0(VALU_DEP_3) | instskip(NEXT) | instid1(VALU_DEP_3)
	v_add_co_u32 v3, vcc_lo, v3, 8
	v_add_co_ci_u32_e32 v4, vcc_lo, 0, v4, vcc_lo
	s_lshl_b32 s4, s0, 4
.LBB137_24:                             ; =>This Inner Loop Header: Depth=1
	global_load_b128 v[5:8], v[3:4], off offset:-8
	v_cmp_le_i64_e32 vcc_lo, s[6:7], v[1:2]
	v_cmp_lt_u64_e64 s0, 0xffff, v[1:2]
	s_delay_alu instid0(VALU_DEP_1) | instskip(NEXT) | instid1(SALU_CYCLE_1)
	s_or_b32 s0, vcc_lo, s0
	s_and_b32 s0, exec_lo, s0
	s_delay_alu instid0(SALU_CYCLE_1) | instskip(SKIP_4) | instid1(VALU_DEP_3)
	s_or_b32 s2, s0, s2
	s_waitcnt vmcnt(0)
	v_dual_mul_f32 v0, 0x3fb8aa3b, v5 :: v_dual_mul_f32 v9, 0x3fb8aa3b, v6
	v_dual_mul_f32 v10, 0x3fb8aa3b, v7 :: v_dual_mul_f32 v11, 0x3fb8aa3b, v8
	v_cmp_ngt_f32_e64 s1, 0xc2ce8ed0, v5
	v_rndne_f32_e32 v12, v0
	v_fma_f32 v13, 0x3fb8aa3b, v5, -v0
	v_rndne_f32_e32 v14, v9
	v_fma_f32 v15, 0x3fb8aa3b, v6, -v9
	v_rndne_f32_e32 v16, v10
	s_delay_alu instid0(VALU_DEP_4) | instskip(SKIP_1) | instid1(VALU_DEP_3)
	v_dual_sub_f32 v0, v0, v12 :: v_dual_fmac_f32 v13, 0x32a5705f, v5
	v_fma_f32 v17, 0x3fb8aa3b, v7, -v10
	v_dual_sub_f32 v9, v9, v14 :: v_dual_sub_f32 v10, v10, v16
	s_delay_alu instid0(VALU_DEP_3) | instskip(SKIP_3) | instid1(VALU_DEP_4)
	v_dual_fmac_f32 v15, 0x32a5705f, v6 :: v_dual_add_f32 v0, v0, v13
	v_rndne_f32_e32 v18, v11
	v_fma_f32 v19, 0x3fb8aa3b, v8, -v11
	v_fmac_f32_e32 v17, 0x32a5705f, v7
	v_add_f32_e32 v9, v9, v15
	v_exp_f32_e32 v0, v0
	v_sub_f32_e32 v11, v11, v18
	s_delay_alu instid0(VALU_DEP_3) | instskip(NEXT) | instid1(VALU_DEP_3)
	v_dual_fmac_f32 v19, 0x32a5705f, v8 :: v_dual_add_f32 v10, v10, v17
	v_exp_f32_e32 v9, v9
	v_cvt_i32_f32_e32 v12, v12
	v_cvt_i32_f32_e32 v13, v14
	s_delay_alu instid0(VALU_DEP_3) | instskip(SKIP_2) | instid1(TRANS32_DEP_3)
	v_add_f32_e32 v11, v11, v19
	v_exp_f32_e32 v10, v10
	v_cvt_i32_f32_e32 v14, v16
	v_ldexp_f32 v0, v0, v12
	v_cvt_i32_f32_e32 v15, v18
	v_exp_f32_e32 v11, v11
	s_delay_alu instid0(TRANS32_DEP_3) | instskip(NEXT) | instid1(VALU_DEP_3)
	v_ldexp_f32 v9, v9, v13
	v_cndmask_b32_e64 v0, 0, v0, s1
	v_cmp_ngt_f32_e64 s1, 0xc2ce8ed0, v6
	s_delay_alu instid0(TRANS32_DEP_2) | instskip(NEXT) | instid1(VALU_DEP_2)
	v_ldexp_f32 v10, v10, v14
	v_cndmask_b32_e64 v9, 0, v9, s1
	v_cmp_ngt_f32_e64 s1, 0xc2ce8ed0, v7
	s_delay_alu instid0(TRANS32_DEP_1) | instskip(NEXT) | instid1(VALU_DEP_2)
	v_ldexp_f32 v11, v11, v15
	v_cndmask_b32_e64 v10, 0, v10, s1
	v_cmp_ngt_f32_e64 s1, 0xc2ce8ed0, v8
	s_delay_alu instid0(VALU_DEP_1) | instskip(SKIP_1) | instid1(VALU_DEP_1)
	v_cndmask_b32_e64 v11, 0, v11, s1
	v_cmp_nlt_f32_e64 s1, 0x42b17218, v5
	v_cndmask_b32_e64 v5, 0x7f800000, v0, s1
	v_cmp_nlt_f32_e64 s1, 0x42b17218, v6
	s_delay_alu instid0(VALU_DEP_1) | instskip(SKIP_1) | instid1(VALU_DEP_1)
	v_cndmask_b32_e64 v6, 0x7f800000, v9, s1
	v_cmp_nlt_f32_e64 s1, 0x42b17218, v7
	v_cndmask_b32_e64 v7, 0x7f800000, v10, s1
	v_cmp_nlt_f32_e64 s1, 0x42b17218, v8
	s_delay_alu instid0(VALU_DEP_1) | instskip(SKIP_1) | instid1(VALU_DEP_1)
	v_cndmask_b32_e64 v8, 0x7f800000, v11, s1
	v_add_co_u32 v1, s1, v1, s3
	v_add_co_ci_u32_e64 v2, s1, 0, v2, s1
	global_store_b128 v[3:4], v[5:8], off offset:-8
	v_add_co_u32 v3, vcc_lo, v3, s4
	v_add_co_ci_u32_e32 v4, vcc_lo, 0, v4, vcc_lo
	s_and_not1_b32 exec_lo, exec_lo, s2
	s_cbranch_execnz .LBB137_24
.LBB137_25:
	s_nop 0
	s_sendmsg sendmsg(MSG_DEALLOC_VGPRS)
	s_endpgm
	.section	.rodata,"a",@progbits
	.p2align	6, 0x0
	.amdhsa_kernel _ZN2at6native12_GLOBAL__N_125multi_tensor_apply_kernelINS1_18TensorListMetadataILi1EEENS1_14UnaryOpFunctorIfLi1ELi1ELi0EEEJNS0_3ExpIfEEEEEvT_T0_DpT1_
		.amdhsa_group_segment_fixed_size 0
		.amdhsa_private_segment_fixed_size 0
		.amdhsa_kernarg_size 3632
		.amdhsa_user_sgpr_count 15
		.amdhsa_user_sgpr_dispatch_ptr 0
		.amdhsa_user_sgpr_queue_ptr 0
		.amdhsa_user_sgpr_kernarg_segment_ptr 1
		.amdhsa_user_sgpr_dispatch_id 0
		.amdhsa_user_sgpr_private_segment_size 0
		.amdhsa_wavefront_size32 1
		.amdhsa_uses_dynamic_stack 0
		.amdhsa_enable_private_segment 0
		.amdhsa_system_sgpr_workgroup_id_x 1
		.amdhsa_system_sgpr_workgroup_id_y 0
		.amdhsa_system_sgpr_workgroup_id_z 0
		.amdhsa_system_sgpr_workgroup_info 0
		.amdhsa_system_vgpr_workitem_id 0
		.amdhsa_next_free_vgpr 20
		.amdhsa_next_free_sgpr 21
		.amdhsa_reserve_vcc 1
		.amdhsa_float_round_mode_32 0
		.amdhsa_float_round_mode_16_64 0
		.amdhsa_float_denorm_mode_32 3
		.amdhsa_float_denorm_mode_16_64 3
		.amdhsa_dx10_clamp 1
		.amdhsa_ieee_mode 1
		.amdhsa_fp16_overflow 0
		.amdhsa_workgroup_processor_mode 1
		.amdhsa_memory_ordered 1
		.amdhsa_forward_progress 0
		.amdhsa_shared_vgpr_count 0
		.amdhsa_exception_fp_ieee_invalid_op 0
		.amdhsa_exception_fp_denorm_src 0
		.amdhsa_exception_fp_ieee_div_zero 0
		.amdhsa_exception_fp_ieee_overflow 0
		.amdhsa_exception_fp_ieee_underflow 0
		.amdhsa_exception_fp_ieee_inexact 0
		.amdhsa_exception_int_div_zero 0
	.end_amdhsa_kernel
	.section	.text._ZN2at6native12_GLOBAL__N_125multi_tensor_apply_kernelINS1_18TensorListMetadataILi1EEENS1_14UnaryOpFunctorIfLi1ELi1ELi0EEEJNS0_3ExpIfEEEEEvT_T0_DpT1_,"axG",@progbits,_ZN2at6native12_GLOBAL__N_125multi_tensor_apply_kernelINS1_18TensorListMetadataILi1EEENS1_14UnaryOpFunctorIfLi1ELi1ELi0EEEJNS0_3ExpIfEEEEEvT_T0_DpT1_,comdat
.Lfunc_end137:
	.size	_ZN2at6native12_GLOBAL__N_125multi_tensor_apply_kernelINS1_18TensorListMetadataILi1EEENS1_14UnaryOpFunctorIfLi1ELi1ELi0EEEJNS0_3ExpIfEEEEEvT_T0_DpT1_, .Lfunc_end137-_ZN2at6native12_GLOBAL__N_125multi_tensor_apply_kernelINS1_18TensorListMetadataILi1EEENS1_14UnaryOpFunctorIfLi1ELi1ELi0EEEJNS0_3ExpIfEEEEEvT_T0_DpT1_
                                        ; -- End function
	.section	.AMDGPU.csdata,"",@progbits
; Kernel info:
; codeLenInByte = 1944
; NumSgprs: 23
; NumVgprs: 20
; ScratchSize: 0
; MemoryBound: 0
; FloatMode: 240
; IeeeMode: 1
; LDSByteSize: 0 bytes/workgroup (compile time only)
; SGPRBlocks: 2
; VGPRBlocks: 2
; NumSGPRsForWavesPerEU: 23
; NumVGPRsForWavesPerEU: 20
; Occupancy: 16
; WaveLimiterHint : 0
; COMPUTE_PGM_RSRC2:SCRATCH_EN: 0
; COMPUTE_PGM_RSRC2:USER_SGPR: 15
; COMPUTE_PGM_RSRC2:TRAP_HANDLER: 0
; COMPUTE_PGM_RSRC2:TGID_X_EN: 1
; COMPUTE_PGM_RSRC2:TGID_Y_EN: 0
; COMPUTE_PGM_RSRC2:TGID_Z_EN: 0
; COMPUTE_PGM_RSRC2:TIDIG_COMP_CNT: 0
	.section	.text._ZN2at6native12_GLOBAL__N_125multi_tensor_apply_kernelINS1_18TensorListMetadataILi1EEENS1_14UnaryOpFunctorIN3c107complexIdEELi1ELi1ELi0EEEJNS0_3ExpIS8_EEEEEvT_T0_DpT1_,"axG",@progbits,_ZN2at6native12_GLOBAL__N_125multi_tensor_apply_kernelINS1_18TensorListMetadataILi1EEENS1_14UnaryOpFunctorIN3c107complexIdEELi1ELi1ELi0EEEJNS0_3ExpIS8_EEEEEvT_T0_DpT1_,comdat
	.globl	_ZN2at6native12_GLOBAL__N_125multi_tensor_apply_kernelINS1_18TensorListMetadataILi1EEENS1_14UnaryOpFunctorIN3c107complexIdEELi1ELi1ELi0EEEJNS0_3ExpIS8_EEEEEvT_T0_DpT1_ ; -- Begin function _ZN2at6native12_GLOBAL__N_125multi_tensor_apply_kernelINS1_18TensorListMetadataILi1EEENS1_14UnaryOpFunctorIN3c107complexIdEELi1ELi1ELi0EEEJNS0_3ExpIS8_EEEEEvT_T0_DpT1_
	.p2align	8
	.type	_ZN2at6native12_GLOBAL__N_125multi_tensor_apply_kernelINS1_18TensorListMetadataILi1EEENS1_14UnaryOpFunctorIN3c107complexIdEELi1ELi1ELi0EEEJNS0_3ExpIS8_EEEEEvT_T0_DpT1_,@function
_ZN2at6native12_GLOBAL__N_125multi_tensor_apply_kernelINS1_18TensorListMetadataILi1EEENS1_14UnaryOpFunctorIN3c107complexIdEELi1ELi1ELi0EEEJNS0_3ExpIS8_EEEEEvT_T0_DpT1_: ; @_ZN2at6native12_GLOBAL__N_125multi_tensor_apply_kernelINS1_18TensorListMetadataILi1EEENS1_14UnaryOpFunctorIN3c107complexIdEELi1ELi1ELi0EEEJNS0_3ExpIS8_EEEEEvT_T0_DpT1_
; %bb.0:
	v_mov_b32_e32 v1, s15
	s_add_u32 s2, s0, s15
	s_mul_hi_u32 s3, s15, 3
	s_mul_i32 s15, s15, 3
	s_addc_u32 s4, s1, 0
	global_load_u8 v1, v1, s[0:1] offset:1760
	s_add_u32 s2, s2, s15
	s_addc_u32 s3, s4, s3
	s_mov_b32 s7, 0
	s_load_b32 s2, s[2:3], 0x820
	s_waitcnt vmcnt(0)
	v_readfirstlane_b32 s5, v1
	s_delay_alu instid0(VALU_DEP_1)
	s_lshl_b32 s3, s5, 3
	s_clause 0x1
	s_load_b64 s[12:13], s[0:1], s3 offset:0x0
	s_load_b64 s[4:5], s[0:1], s3 offset:0x370
	s_waitcnt lgkmcnt(0)
	s_ashr_i32 s3, s2, 31
	s_delay_alu instid0(SALU_CYCLE_1) | instskip(NEXT) | instid1(SALU_CYCLE_1)
	s_lshl_b64 s[14:15], s[2:3], 20
	s_add_u32 s33, s12, s14
	s_addc_u32 s88, s13, s15
	s_lshl_b64 s[2:3], s[2:3], 16
	s_and_b32 s6, s33, 63
	s_sub_u32 s10, s4, s2
	s_subb_u32 s11, s5, s3
	s_and_b32 s2, s4, 3
	s_mov_b32 s3, s7
	s_delay_alu instid0(SALU_CYCLE_1) | instskip(NEXT) | instid1(SALU_CYCLE_1)
	s_or_b64 s[2:3], s[6:7], s[2:3]
	s_cmp_eq_u64 s[2:3], 0
	s_cbranch_scc1 .LBB138_197
; %bb.1:
	v_cmp_lt_i64_e64 s2, s[10:11], 1
	s_delay_alu instid0(VALU_DEP_1)
	s_and_b32 vcc_lo, exec_lo, s2
	s_cbranch_vccnz .LBB138_196
; %bb.2:
	s_load_b32 s2, s[0:1], 0xd3c
	v_mov_b32_e32 v21, 0
	v_cmp_gt_u64_e64 s3, 0x10000, s[10:11]
	v_lshlrev_b32_e32 v23, 4, v0
	s_mov_b32 s22, 0x54442d18
	s_mov_b32 s28, 0x6dc9c883
	v_mov_b32_e32 v24, v21
	s_mov_b32 s30, 0x33145c00
	s_mov_b32 s34, 0x252049c0
	s_mov_b32 s36, 0x652b82fe
	s_mov_b32 s38, 0xfefa39ef
	s_mov_b32 s40, 0x3b39803f
	s_mov_b32 s42, 0xfca7ab0c
	s_mov_b32 s44, 0x6a5dcb37
	s_mov_b32 s46, 0x623fde64
	s_mov_b32 s48, 0x7c89e6b0
	s_mov_b32 s50, 0x14761f6e
	s_mov_b32 s52, 0x1852b7b0
	s_mov_b32 s54, 0x11110bb3
	s_mov_b32 s56, 0x55555555
	s_waitcnt lgkmcnt(0)
	s_and_b32 s2, s2, 0xffff
	s_and_b32 s3, s3, exec_lo
	v_mad_u64_u32 v[25:26], null, s2, 48, v[23:24]
	s_cselect_b32 s17, s11, 0
	s_cselect_b32 s16, s10, 0x10000
	s_lshl_b32 s3, s2, 1
	s_mul_i32 s4, s2, 3
	s_lshl_b32 s89, s2, 2
	s_lshl_b32 s90, s2, 6
	v_add_co_u32 v37, s5, v0, s2
	s_lshl_b32 s2, s2, 5
	v_add_co_u32 v24, s4, s4, v0
	v_add_co_u32 v1, s2, s2, v23
	s_delay_alu instid0(VALU_DEP_1)
	v_add_co_ci_u32_e64 v40, null, 0, 0, s2
	v_add_co_u32 v43, s2, s3, v0
	v_add_co_ci_u32_e64 v38, null, 0, 0, s5
	v_add_co_ci_u32_e64 v39, null, 0, 0, s4
	v_lshlrev_b32_e32 v41, 4, v37
	v_or_b32_e32 v42, 8, v1
	v_or_b32_e32 v25, 8, v25
	v_add_co_ci_u32_e64 v44, null, 0, 0, s2
	s_mov_b32 s58, 0x55555511
	s_mov_b32 s60, 11
	s_mov_b32 s62, 0x9037ab78
	s_mov_b32 s64, 0x46cc5e42
	s_mov_b32 s66, 0xa17f65f6
	s_mov_b32 s68, 0x19f4ec90
	s_mov_b32 s70, 0x16c16967
	s_mov_b32 s72, 0xb42fdfa7
	s_mov_b32 s74, 0xf9a43bb8
	s_mov_b32 s76, 0x796cde01
	s_mov_b32 s78, 0x19e83e5c
	s_mov_b32 s80, 0x19ba0da4
	s_mov_b64 s[18:19], 0
	s_mov_b32 s21, 0x3ff921fb
	s_mov_b32 s23, 0xbff921fb
	;; [unrolled: 1-line block ×34, first 2 shown]
	s_branch .LBB138_4
.LBB138_3:                              ;   in Loop: Header=BB138_4 Depth=1
	s_or_b32 exec_lo, exec_lo, s2
	s_add_u32 s18, s18, s89
	s_addc_u32 s19, s19, 0
	s_delay_alu instid0(SALU_CYCLE_1) | instskip(SKIP_1) | instid1(VALU_DEP_1)
	v_cmp_ge_i64_e64 s2, s[18:19], s[10:11]
	v_cmp_lt_u64_e64 s3, 0xffff, s[18:19]
	s_or_b32 s2, s2, s3
	s_add_u32 s33, s33, s90
	s_addc_u32 s88, s88, 0
	s_and_b32 vcc_lo, exec_lo, s2
	s_cbranch_vccnz .LBB138_196
.LBB138_4:                              ; =>This Inner Loop Header: Depth=1
	v_add_co_u32 v1, s2, v0, s18
	s_delay_alu instid0(VALU_DEP_1) | instskip(SKIP_2) | instid1(VALU_DEP_2)
	v_add_co_ci_u32_e64 v2, null, 0, s19, s2
	v_mov_b32_e32 v19, 0
	v_mov_b32_e32 v20, 0
	;; [unrolled: 1-line block ×3, first 2 shown]
	s_delay_alu instid0(VALU_DEP_4) | instskip(NEXT) | instid1(VALU_DEP_3)
	v_cmp_gt_u64_e32 vcc_lo, s[16:17], v[1:2]
	v_dual_mov_b32 v13, v19 :: v_dual_mov_b32 v14, v20
	v_mov_b32_e32 v16, v20
	s_and_saveexec_b32 s2, vcc_lo
	s_cbranch_execz .LBB138_6
; %bb.5:                                ;   in Loop: Header=BB138_4 Depth=1
	v_add_co_u32 v1, s3, s33, v23
	s_delay_alu instid0(VALU_DEP_1)
	v_add_co_ci_u32_e64 v2, null, s88, 0, s3
	global_load_b128 v[13:16], v[1:2], off
.LBB138_6:                              ;   in Loop: Header=BB138_4 Depth=1
	s_or_b32 exec_lo, exec_lo, s2
	v_add_co_u32 v1, s2, v37, s18
	s_delay_alu instid0(VALU_DEP_1) | instskip(SKIP_1) | instid1(VALU_DEP_2)
	v_add_co_ci_u32_e64 v2, s2, s19, v38, s2
	v_dual_mov_b32 v17, v19 :: v_dual_mov_b32 v18, v20
	v_cmp_gt_u64_e64 s2, s[16:17], v[1:2]
	s_delay_alu instid0(VALU_DEP_1)
	s_and_saveexec_b32 s3, s2
	s_cbranch_execz .LBB138_8
; %bb.7:                                ;   in Loop: Header=BB138_4 Depth=1
	v_add_co_u32 v1, s4, s33, v41
	s_delay_alu instid0(VALU_DEP_1)
	v_add_co_ci_u32_e64 v2, null, s88, 0, s4
	global_load_b128 v[17:20], v[1:2], off
.LBB138_8:                              ;   in Loop: Header=BB138_4 Depth=1
	s_or_b32 exec_lo, exec_lo, s3
	v_add_co_u32 v1, s3, v43, s18
	s_delay_alu instid0(VALU_DEP_1) | instskip(SKIP_2) | instid1(VALU_DEP_3)
	v_add_co_ci_u32_e64 v2, s3, s19, v44, s3
	v_mov_b32_e32 v3, 0
	v_mov_b32_e32 v4, 0
	v_cmp_gt_u64_e64 s3, s[16:17], v[1:2]
	s_delay_alu instid0(VALU_DEP_2) | instskip(SKIP_1) | instid1(VALU_DEP_3)
	v_dual_mov_b32 v12, v4 :: v_dual_mov_b32 v11, v3
	v_dual_mov_b32 v10, v4 :: v_dual_mov_b32 v9, v3
	s_and_saveexec_b32 s5, s3
	s_cbranch_execz .LBB138_10
; %bb.9:                                ;   in Loop: Header=BB138_4 Depth=1
	v_add_co_u32 v1, s4, s33, v42
	s_delay_alu instid0(VALU_DEP_1)
	v_add_co_ci_u32_e64 v2, s4, s88, v40, s4
	global_load_b128 v[9:12], v[1:2], off offset:-8
.LBB138_10:                             ;   in Loop: Header=BB138_4 Depth=1
	s_or_b32 exec_lo, exec_lo, s5
	v_add_co_u32 v1, s4, v24, s18
	s_delay_alu instid0(VALU_DEP_1) | instskip(NEXT) | instid1(VALU_DEP_1)
	v_add_co_ci_u32_e64 v2, s4, s19, v39, s4
	v_cmp_gt_u64_e64 s4, s[16:17], v[1:2]
	v_dual_mov_b32 v1, v3 :: v_dual_mov_b32 v2, v4
	s_delay_alu instid0(VALU_DEP_2)
	s_and_saveexec_b32 s6, s4
	s_cbranch_execz .LBB138_12
; %bb.11:                               ;   in Loop: Header=BB138_4 Depth=1
	v_add_co_u32 v1, s5, s33, v25
	s_delay_alu instid0(VALU_DEP_1)
	v_add_co_ci_u32_e64 v2, s5, s88, v26, s5
	global_load_b128 v[1:4], v[1:2], off offset:-8
.LBB138_12:                             ;   in Loop: Header=BB138_4 Depth=1
	s_or_b32 exec_lo, exec_lo, s6
	s_waitcnt vmcnt(0)
	v_and_b32_e32 v45, 0x7fffffff, v16
                                        ; implicit-def: $vgpr7_vgpr8
	s_mov_b32 s6, exec_lo
	s_delay_alu instid0(VALU_DEP_1) | instskip(NEXT) | instid1(VALU_DEP_1)
	v_or_b32_e32 v5, v45, v15
	v_cmpx_ne_u32_e32 0, v5
	s_xor_b32 s92, exec_lo, s6
	s_cbranch_execz .LBB138_54
; %bb.13:                               ;   in Loop: Header=BB138_4 Depth=1
	v_and_b32_e32 v22, 0x7fffffff, v14
                                        ; implicit-def: $vgpr7_vgpr8
	s_mov_b32 s6, exec_lo
	s_delay_alu instid0(VALU_DEP_1) | instskip(NEXT) | instid1(VALU_DEP_1)
	v_or_b32_e32 v5, v22, v13
	v_cmpx_ne_u32_e32 0, v5
	s_xor_b32 s93, exec_lo, s6
	s_cbranch_execz .LBB138_43
; %bb.14:                               ;   in Loop: Header=BB138_4 Depth=1
                                        ; implicit-def: $vgpr7_vgpr8
	s_mov_b32 s6, exec_lo
	v_cmpx_gt_u32_e32 0x7ff00000, v45
	s_xor_b32 s94, exec_lo, s6
	s_cbranch_execz .LBB138_36
; %bb.15:                               ;   in Loop: Header=BB138_4 Depth=1
	v_add_nc_u32_e32 v5, 0xbf79d1be, v14
                                        ; implicit-def: $vgpr7_vgpr8
	s_mov_b32 s6, exec_lo
	s_delay_alu instid0(VALU_DEP_1)
	v_cmpx_lt_u32_e32 0x108aa2, v5
	s_xor_b32 s95, exec_lo, s6
	s_cbranch_execz .LBB138_25
; %bb.16:                               ;   in Loop: Header=BB138_4 Depth=1
	v_cmp_ngt_f64_e64 s7, 0x41d00000, |v[15:16]|
                                        ; implicit-def: $vgpr31
                                        ; implicit-def: $vgpr5_vgpr6
                                        ; implicit-def: $vgpr7_vgpr8
	s_delay_alu instid0(VALU_DEP_1) | instskip(NEXT) | instid1(SALU_CYCLE_1)
	s_and_saveexec_b32 s5, s7
	s_xor_b32 s8, exec_lo, s5
	s_cbranch_execz .LBB138_18
; %bb.17:                               ;   in Loop: Header=BB138_4 Depth=1
	v_ldexp_f64 v[5:6], |v[15:16]|, 0xffffff80
	v_cmp_le_f64_e64 s5, 0x7b000000, |v[15:16]|
	v_trig_preop_f64 v[7:8], |v[15:16]|, 0
	v_trig_preop_f64 v[27:28], |v[15:16]|, 1
	;; [unrolled: 1-line block ×3, first 2 shown]
	s_mov_b32 s20, s22
	s_mov_b32 s27, s25
	s_delay_alu instid0(VALU_DEP_4) | instskip(SKIP_1) | instid1(VALU_DEP_1)
	v_cndmask_b32_e64 v6, v45, v6, s5
	v_cndmask_b32_e64 v5, v15, v5, s5
	v_mul_f64 v[29:30], v[7:8], v[5:6]
	v_mul_f64 v[31:32], v[27:28], v[5:6]
	;; [unrolled: 1-line block ×3, first 2 shown]
	s_delay_alu instid0(VALU_DEP_3) | instskip(NEXT) | instid1(VALU_DEP_3)
	v_fma_f64 v[7:8], v[7:8], v[5:6], -v[29:30]
	v_fma_f64 v[27:28], v[27:28], v[5:6], -v[31:32]
	s_delay_alu instid0(VALU_DEP_3) | instskip(NEXT) | instid1(VALU_DEP_3)
	v_fma_f64 v[5:6], v[46:47], v[5:6], -v[52:53]
	v_add_f64 v[33:34], v[31:32], v[7:8]
	s_delay_alu instid0(VALU_DEP_1) | instskip(SKIP_1) | instid1(VALU_DEP_2)
	v_add_f64 v[35:36], v[33:34], -v[31:32]
	v_add_f64 v[50:51], v[29:30], v[33:34]
	v_add_f64 v[48:49], v[33:34], -v[35:36]
	v_add_f64 v[7:8], v[7:8], -v[35:36]
	s_delay_alu instid0(VALU_DEP_3) | instskip(SKIP_1) | instid1(VALU_DEP_4)
	v_ldexp_f64 v[35:36], v[50:51], -2
	v_add_f64 v[29:30], v[50:51], -v[29:30]
	v_add_f64 v[31:32], v[31:32], -v[48:49]
	v_add_f64 v[48:49], v[52:53], v[27:28]
	s_delay_alu instid0(VALU_DEP_4) | instskip(NEXT) | instid1(VALU_DEP_4)
	v_cmp_neq_f64_e64 s5, 0x7ff00000, |v[35:36]|
	v_add_f64 v[29:30], v[33:34], -v[29:30]
	s_delay_alu instid0(VALU_DEP_4) | instskip(SKIP_1) | instid1(VALU_DEP_2)
	v_add_f64 v[7:8], v[7:8], v[31:32]
	v_fract_f64_e32 v[31:32], v[35:36]
	v_add_f64 v[33:34], v[48:49], v[7:8]
	s_delay_alu instid0(VALU_DEP_2) | instskip(NEXT) | instid1(VALU_DEP_3)
	v_cndmask_b32_e64 v32, 0, v32, s5
	v_cndmask_b32_e64 v31, 0, v31, s5
	s_delay_alu instid0(VALU_DEP_1) | instskip(NEXT) | instid1(VALU_DEP_4)
	v_ldexp_f64 v[31:32], v[31:32], 2
	v_add_f64 v[35:36], v[29:30], v[33:34]
	v_add_f64 v[54:55], v[33:34], -v[48:49]
	s_delay_alu instid0(VALU_DEP_2) | instskip(NEXT) | instid1(VALU_DEP_2)
	v_add_f64 v[50:51], v[35:36], v[31:32]
	v_add_f64 v[60:61], v[33:34], -v[54:55]
	v_add_f64 v[7:8], v[7:8], -v[54:55]
	;; [unrolled: 1-line block ×3, first 2 shown]
	s_delay_alu instid0(VALU_DEP_4) | instskip(SKIP_1) | instid1(VALU_DEP_3)
	v_cmp_gt_f64_e64 s5, 0, v[50:51]
	v_add_f64 v[50:51], v[48:49], -v[52:53]
	v_add_f64 v[29:30], v[33:34], -v[29:30]
	s_delay_alu instid0(VALU_DEP_3) | instskip(NEXT) | instid1(VALU_DEP_3)
	v_cndmask_b32_e64 v22, 0, 0x40100000, s5
	v_add_f64 v[58:59], v[48:49], -v[50:51]
	v_add_f64 v[27:28], v[27:28], -v[50:51]
	;; [unrolled: 1-line block ×3, first 2 shown]
	s_delay_alu instid0(VALU_DEP_4) | instskip(NEXT) | instid1(VALU_DEP_4)
	v_add_f64 v[31:32], v[31:32], v[21:22]
	v_add_f64 v[50:51], v[52:53], -v[58:59]
	s_delay_alu instid0(VALU_DEP_3) | instskip(NEXT) | instid1(VALU_DEP_3)
	v_add_f64 v[7:8], v[7:8], v[48:49]
	v_add_f64 v[56:57], v[35:36], v[31:32]
	s_delay_alu instid0(VALU_DEP_3) | instskip(NEXT) | instid1(VALU_DEP_2)
	v_add_f64 v[27:28], v[27:28], v[50:51]
	v_cvt_i32_f64_e32 v22, v[56:57]
	s_delay_alu instid0(VALU_DEP_2) | instskip(NEXT) | instid1(VALU_DEP_2)
	v_add_f64 v[7:8], v[27:28], v[7:8]
	v_cvt_f64_i32_e32 v[54:55], v22
	s_delay_alu instid0(VALU_DEP_2) | instskip(NEXT) | instid1(VALU_DEP_2)
	v_add_f64 v[5:6], v[5:6], v[7:8]
	v_add_f64 v[31:32], v[31:32], -v[54:55]
	s_delay_alu instid0(VALU_DEP_2) | instskip(NEXT) | instid1(VALU_DEP_2)
	v_add_f64 v[5:6], v[29:30], v[5:6]
	v_add_f64 v[27:28], v[35:36], v[31:32]
	s_delay_alu instid0(VALU_DEP_1) | instskip(SKIP_1) | instid1(VALU_DEP_2)
	v_add_f64 v[7:8], v[27:28], -v[31:32]
	v_cmp_le_f64_e64 s5, 0.5, v[27:28]
	v_add_f64 v[7:8], v[35:36], -v[7:8]
	s_delay_alu instid0(VALU_DEP_2) | instskip(SKIP_1) | instid1(VALU_DEP_3)
	v_add_co_ci_u32_e64 v31, s6, 0, v22, s5
	v_cndmask_b32_e64 v22, 0, 0x3ff00000, s5
	v_add_f64 v[5:6], v[5:6], v[7:8]
	s_delay_alu instid0(VALU_DEP_2) | instskip(NEXT) | instid1(VALU_DEP_1)
	v_add_f64 v[7:8], v[27:28], -v[21:22]
	v_add_f64 v[27:28], v[7:8], v[5:6]
	s_delay_alu instid0(VALU_DEP_1) | instskip(SKIP_1) | instid1(VALU_DEP_2)
	v_mul_f64 v[29:30], v[27:28], s[20:21]
	v_add_f64 v[7:8], v[27:28], -v[7:8]
	v_fma_f64 v[32:33], v[27:28], s[20:21], -v[29:30]
	s_delay_alu instid0(VALU_DEP_2) | instskip(NEXT) | instid1(VALU_DEP_2)
	v_add_f64 v[5:6], v[5:6], -v[7:8]
	v_fma_f64 v[7:8], v[27:28], s[26:27], v[32:33]
	s_delay_alu instid0(VALU_DEP_1) | instskip(NEXT) | instid1(VALU_DEP_1)
	v_fma_f64 v[7:8], v[5:6], s[20:21], v[7:8]
	v_add_f64 v[5:6], v[29:30], v[7:8]
	s_delay_alu instid0(VALU_DEP_1) | instskip(NEXT) | instid1(VALU_DEP_1)
	v_add_f64 v[27:28], v[5:6], -v[29:30]
	v_add_f64 v[7:8], v[7:8], -v[27:28]
	s_and_not1_saveexec_b32 s5, s8
	s_cbranch_execz .LBB138_20
	s_branch .LBB138_19
.LBB138_18:                             ;   in Loop: Header=BB138_4 Depth=1
	s_and_not1_saveexec_b32 s5, s8
	s_cbranch_execz .LBB138_20
.LBB138_19:                             ;   in Loop: Header=BB138_4 Depth=1
	v_mul_f64 v[5:6], |v[15:16]|, s[28:29]
	s_mov_b32 s24, s30
	s_delay_alu instid0(VALU_DEP_1) | instskip(NEXT) | instid1(VALU_DEP_1)
	v_rndne_f64_e32 v[27:28], v[5:6]
	v_fma_f64 v[5:6], v[27:28], s[22:23], |v[15:16]|
	v_mul_f64 v[7:8], v[27:28], s[30:31]
	s_delay_alu instid0(VALU_DEP_2) | instskip(NEXT) | instid1(VALU_DEP_2)
	v_fma_f64 v[31:32], v[27:28], s[30:31], v[5:6]
	v_add_f64 v[29:30], v[5:6], v[7:8]
	s_delay_alu instid0(VALU_DEP_1) | instskip(NEXT) | instid1(VALU_DEP_3)
	v_add_f64 v[5:6], v[5:6], -v[29:30]
	v_add_f64 v[29:30], v[29:30], -v[31:32]
	s_delay_alu instid0(VALU_DEP_2) | instskip(SKIP_1) | instid1(VALU_DEP_2)
	v_add_f64 v[5:6], v[5:6], v[7:8]
	v_fma_f64 v[7:8], v[27:28], s[24:25], v[7:8]
	v_add_f64 v[5:6], v[29:30], v[5:6]
	s_delay_alu instid0(VALU_DEP_1) | instskip(NEXT) | instid1(VALU_DEP_1)
	v_add_f64 v[5:6], v[5:6], -v[7:8]
	v_fma_f64 v[7:8], v[27:28], s[34:35], v[5:6]
	s_delay_alu instid0(VALU_DEP_1) | instskip(NEXT) | instid1(VALU_DEP_1)
	v_add_f64 v[5:6], v[31:32], v[7:8]
	v_add_f64 v[29:30], v[5:6], -v[31:32]
	v_cvt_i32_f64_e32 v31, v[27:28]
	s_delay_alu instid0(VALU_DEP_2)
	v_add_f64 v[7:8], v[7:8], -v[29:30]
.LBB138_20:                             ;   in Loop: Header=BB138_4 Depth=1
	s_or_b32 exec_lo, exec_lo, s5
                                        ; implicit-def: $vgpr32
                                        ; implicit-def: $vgpr27_vgpr28
                                        ; implicit-def: $vgpr29_vgpr30
	s_and_saveexec_b32 s5, s7
	s_delay_alu instid0(SALU_CYCLE_1)
	s_xor_b32 s7, exec_lo, s5
	s_cbranch_execz .LBB138_22
; %bb.21:                               ;   in Loop: Header=BB138_4 Depth=1
	v_ldexp_f64 v[27:28], |v[15:16]|, 0xffffff80
	v_cmp_le_f64_e64 s5, 0x7b000000, |v[15:16]|
	v_trig_preop_f64 v[29:30], |v[15:16]|, 0
	v_trig_preop_f64 v[32:33], |v[15:16]|, 1
	v_trig_preop_f64 v[51:52], |v[15:16]|, 2
	s_mov_b32 s20, s22
	s_mov_b32 s27, s25
	s_delay_alu instid0(VALU_DEP_4) | instskip(SKIP_1) | instid1(VALU_DEP_1)
	v_cndmask_b32_e64 v28, v45, v28, s5
	v_cndmask_b32_e64 v27, v15, v27, s5
	v_mul_f64 v[34:35], v[29:30], v[27:28]
	v_mul_f64 v[45:46], v[32:33], v[27:28]
	;; [unrolled: 1-line block ×3, first 2 shown]
	s_delay_alu instid0(VALU_DEP_3) | instskip(NEXT) | instid1(VALU_DEP_3)
	v_fma_f64 v[29:30], v[29:30], v[27:28], -v[34:35]
	v_fma_f64 v[32:33], v[32:33], v[27:28], -v[45:46]
	s_delay_alu instid0(VALU_DEP_3) | instskip(NEXT) | instid1(VALU_DEP_3)
	v_fma_f64 v[27:28], v[51:52], v[27:28], -v[57:58]
	v_add_f64 v[47:48], v[45:46], v[29:30]
	s_delay_alu instid0(VALU_DEP_1) | instskip(SKIP_1) | instid1(VALU_DEP_2)
	v_add_f64 v[49:50], v[47:48], -v[45:46]
	v_add_f64 v[55:56], v[34:35], v[47:48]
	v_add_f64 v[53:54], v[47:48], -v[49:50]
	v_add_f64 v[29:30], v[29:30], -v[49:50]
	s_delay_alu instid0(VALU_DEP_3) | instskip(SKIP_1) | instid1(VALU_DEP_4)
	v_ldexp_f64 v[49:50], v[55:56], -2
	v_add_f64 v[34:35], v[55:56], -v[34:35]
	v_add_f64 v[45:46], v[45:46], -v[53:54]
	v_add_f64 v[53:54], v[57:58], v[32:33]
	s_delay_alu instid0(VALU_DEP_4) | instskip(NEXT) | instid1(VALU_DEP_4)
	v_cmp_neq_f64_e64 s5, 0x7ff00000, |v[49:50]|
	v_add_f64 v[34:35], v[47:48], -v[34:35]
	s_delay_alu instid0(VALU_DEP_4) | instskip(SKIP_1) | instid1(VALU_DEP_2)
	v_add_f64 v[29:30], v[29:30], v[45:46]
	v_fract_f64_e32 v[45:46], v[49:50]
	v_add_f64 v[47:48], v[53:54], v[29:30]
	s_delay_alu instid0(VALU_DEP_2) | instskip(NEXT) | instid1(VALU_DEP_3)
	v_cndmask_b32_e64 v46, 0, v46, s5
	v_cndmask_b32_e64 v45, 0, v45, s5
	s_delay_alu instid0(VALU_DEP_1) | instskip(NEXT) | instid1(VALU_DEP_4)
	v_ldexp_f64 v[45:46], v[45:46], 2
	v_add_f64 v[49:50], v[34:35], v[47:48]
	v_add_f64 v[59:60], v[47:48], -v[53:54]
	s_delay_alu instid0(VALU_DEP_2) | instskip(NEXT) | instid1(VALU_DEP_2)
	v_add_f64 v[55:56], v[49:50], v[45:46]
	v_add_f64 v[65:66], v[47:48], -v[59:60]
	v_add_f64 v[29:30], v[29:30], -v[59:60]
	;; [unrolled: 1-line block ×3, first 2 shown]
	s_delay_alu instid0(VALU_DEP_4) | instskip(SKIP_1) | instid1(VALU_DEP_2)
	v_cmp_gt_f64_e64 s5, 0, v[55:56]
	v_add_f64 v[55:56], v[53:54], -v[57:58]
	v_cndmask_b32_e64 v22, 0, 0x40100000, s5
	s_delay_alu instid0(VALU_DEP_2) | instskip(SKIP_2) | instid1(VALU_DEP_4)
	v_add_f64 v[63:64], v[53:54], -v[55:56]
	v_add_f64 v[32:33], v[32:33], -v[55:56]
	;; [unrolled: 1-line block ×3, first 2 shown]
	v_add_f64 v[45:46], v[45:46], v[21:22]
	s_delay_alu instid0(VALU_DEP_4) | instskip(NEXT) | instid1(VALU_DEP_3)
	v_add_f64 v[55:56], v[57:58], -v[63:64]
	v_add_f64 v[29:30], v[29:30], v[53:54]
	s_delay_alu instid0(VALU_DEP_3) | instskip(NEXT) | instid1(VALU_DEP_3)
	v_add_f64 v[61:62], v[49:50], v[45:46]
	v_add_f64 v[32:33], v[32:33], v[55:56]
	s_delay_alu instid0(VALU_DEP_2) | instskip(NEXT) | instid1(VALU_DEP_2)
	v_cvt_i32_f64_e32 v22, v[61:62]
	v_add_f64 v[29:30], v[32:33], v[29:30]
	v_add_f64 v[32:33], v[47:48], -v[34:35]
	s_delay_alu instid0(VALU_DEP_3) | instskip(NEXT) | instid1(VALU_DEP_3)
	v_cvt_f64_i32_e32 v[59:60], v22
	v_add_f64 v[27:28], v[27:28], v[29:30]
	s_delay_alu instid0(VALU_DEP_2) | instskip(NEXT) | instid1(VALU_DEP_2)
	v_add_f64 v[45:46], v[45:46], -v[59:60]
	v_add_f64 v[27:28], v[32:33], v[27:28]
	s_delay_alu instid0(VALU_DEP_2) | instskip(NEXT) | instid1(VALU_DEP_1)
	v_add_f64 v[51:52], v[49:50], v[45:46]
	v_add_f64 v[29:30], v[51:52], -v[45:46]
	v_cmp_le_f64_e64 s5, 0.5, v[51:52]
	s_delay_alu instid0(VALU_DEP_2) | instskip(NEXT) | instid1(VALU_DEP_2)
	v_add_f64 v[29:30], v[49:50], -v[29:30]
	v_add_co_ci_u32_e64 v32, s6, 0, v22, s5
	v_cndmask_b32_e64 v22, 0, 0x3ff00000, s5
	s_delay_alu instid0(VALU_DEP_3) | instskip(NEXT) | instid1(VALU_DEP_2)
	v_add_f64 v[27:28], v[27:28], v[29:30]
	v_add_f64 v[29:30], v[51:52], -v[21:22]
	s_delay_alu instid0(VALU_DEP_1) | instskip(NEXT) | instid1(VALU_DEP_1)
	v_add_f64 v[33:34], v[29:30], v[27:28]
	v_mul_f64 v[35:36], v[33:34], s[20:21]
	v_add_f64 v[29:30], v[33:34], -v[29:30]
	s_delay_alu instid0(VALU_DEP_2) | instskip(NEXT) | instid1(VALU_DEP_2)
	v_fma_f64 v[45:46], v[33:34], s[20:21], -v[35:36]
	v_add_f64 v[27:28], v[27:28], -v[29:30]
	s_delay_alu instid0(VALU_DEP_2) | instskip(NEXT) | instid1(VALU_DEP_1)
	v_fma_f64 v[29:30], v[33:34], s[26:27], v[45:46]
	v_fma_f64 v[29:30], v[27:28], s[20:21], v[29:30]
	s_delay_alu instid0(VALU_DEP_1) | instskip(NEXT) | instid1(VALU_DEP_1)
	v_add_f64 v[27:28], v[35:36], v[29:30]
	v_add_f64 v[33:34], v[27:28], -v[35:36]
	s_delay_alu instid0(VALU_DEP_1)
	v_add_f64 v[29:30], v[29:30], -v[33:34]
	s_and_not1_saveexec_b32 s5, s7
	s_cbranch_execnz .LBB138_23
	s_branch .LBB138_24
.LBB138_22:                             ;   in Loop: Header=BB138_4 Depth=1
	s_and_not1_saveexec_b32 s5, s7
	s_cbranch_execz .LBB138_24
.LBB138_23:                             ;   in Loop: Header=BB138_4 Depth=1
	v_mul_f64 v[27:28], |v[15:16]|, s[28:29]
	s_mov_b32 s24, s30
	s_delay_alu instid0(VALU_DEP_1) | instskip(NEXT) | instid1(VALU_DEP_1)
	v_rndne_f64_e32 v[32:33], v[27:28]
	v_fma_f64 v[27:28], v[32:33], s[22:23], |v[15:16]|
	v_mul_f64 v[29:30], v[32:33], s[30:31]
	s_delay_alu instid0(VALU_DEP_2) | instskip(NEXT) | instid1(VALU_DEP_2)
	v_fma_f64 v[45:46], v[32:33], s[30:31], v[27:28]
	v_add_f64 v[34:35], v[27:28], v[29:30]
	s_delay_alu instid0(VALU_DEP_1) | instskip(NEXT) | instid1(VALU_DEP_3)
	v_add_f64 v[27:28], v[27:28], -v[34:35]
	v_add_f64 v[34:35], v[34:35], -v[45:46]
	s_delay_alu instid0(VALU_DEP_2) | instskip(SKIP_1) | instid1(VALU_DEP_2)
	v_add_f64 v[27:28], v[27:28], v[29:30]
	v_fma_f64 v[29:30], v[32:33], s[24:25], v[29:30]
	v_add_f64 v[27:28], v[34:35], v[27:28]
	s_delay_alu instid0(VALU_DEP_1) | instskip(NEXT) | instid1(VALU_DEP_1)
	v_add_f64 v[27:28], v[27:28], -v[29:30]
	v_fma_f64 v[29:30], v[32:33], s[34:35], v[27:28]
	v_cvt_i32_f64_e32 v32, v[32:33]
	s_delay_alu instid0(VALU_DEP_2) | instskip(NEXT) | instid1(VALU_DEP_1)
	v_add_f64 v[27:28], v[45:46], v[29:30]
	v_add_f64 v[34:35], v[27:28], -v[45:46]
	s_delay_alu instid0(VALU_DEP_1)
	v_add_f64 v[29:30], v[29:30], -v[34:35]
.LBB138_24:                             ;   in Loop: Header=BB138_4 Depth=1
	s_or_b32 exec_lo, exec_lo, s5
	v_mul_f64 v[33:34], v[13:14], s[36:37]
	v_mul_f64 v[47:48], v[5:6], v[5:6]
	;; [unrolled: 1-line block ×3, first 2 shown]
	s_mov_b32 s83, s55
	s_mov_b32 s85, s57
	s_delay_alu instid0(VALU_DEP_4)
	v_mul_f64 v[67:68], v[7:8], 0.5
	v_mul_f64 v[73:74], v[29:30], 0.5
	s_mov_b32 s86, s56
	v_cmp_nlt_f64_e64 s7, 0x40900000, v[13:14]
	v_cmp_ngt_f64_e64 s8, 0xc090cc00, v[13:14]
	v_cmp_class_f64_e64 s6, v[15:16], 0x1f8
	v_and_b32_e32 v15, 1, v32
	s_delay_alu instid0(VALU_DEP_1)
	v_cmp_eq_u32_e64 s9, 0, v15
	v_rndne_f64_e32 v[33:34], v[33:34]
	v_fma_f64 v[51:52], v[47:48], s[74:75], s[72:73]
	v_fma_f64 v[53:54], v[49:50], s[74:75], s[72:73]
	v_mul_f64 v[57:58], v[47:48], 0.5
	v_fma_f64 v[55:56], v[47:48], s[64:65], s[62:63]
	v_fma_f64 v[59:60], v[49:50], s[64:65], s[62:63]
	v_mul_f64 v[61:62], v[49:50], 0.5
	v_mul_f64 v[69:70], v[5:6], -v[47:48]
	v_mul_f64 v[75:76], v[27:28], -v[49:50]
	v_fma_f64 v[35:36], v[33:34], s[38:39], v[13:14]
	v_fma_f64 v[51:52], v[47:48], v[51:52], s[76:77]
	;; [unrolled: 1-line block ×3, first 2 shown]
	v_add_f64 v[63:64], -v[57:58], 1.0
	v_fma_f64 v[55:56], v[47:48], v[55:56], s[66:67]
	v_fma_f64 v[59:60], v[49:50], v[59:60], s[66:67]
	v_add_f64 v[65:66], -v[61:62], 1.0
	v_cvt_i32_f64_e32 v22, v[33:34]
	v_lshlrev_b32_e32 v13, 30, v32
	v_lshlrev_b32_e32 v14, 30, v31
	s_delay_alu instid0(VALU_DEP_2) | instskip(NEXT) | instid1(VALU_DEP_2)
	v_xor_b32_e32 v13, v13, v16
	v_and_b32_e32 v14, 0x80000000, v14
	s_delay_alu instid0(VALU_DEP_2)
	v_and_b32_e32 v13, 0x80000000, v13
	v_fma_f64 v[35:36], v[33:34], s[40:41], v[35:36]
	v_fma_f64 v[51:52], v[47:48], v[51:52], s[78:79]
	v_fma_f64 v[53:54], v[49:50], v[53:54], s[78:79]
	v_add_f64 v[71:72], -v[63:64], 1.0
	v_fma_f64 v[55:56], v[47:48], v[55:56], s[68:69]
	v_fma_f64 v[59:60], v[49:50], v[59:60], s[68:69]
	v_add_f64 v[77:78], -v[65:66], 1.0
	v_fma_f64 v[45:46], v[35:36], s[44:45], s[42:43]
	v_fma_f64 v[51:52], v[47:48], v[51:52], s[54:55]
	;; [unrolled: 1-line block ×3, first 2 shown]
	v_add_f64 v[57:58], v[71:72], -v[57:58]
	v_fma_f64 v[55:56], v[47:48], v[55:56], s[70:71]
	v_fma_f64 v[59:60], v[49:50], v[59:60], s[70:71]
	v_add_f64 v[61:62], v[77:78], -v[61:62]
	v_fma_f64 v[45:46], v[35:36], v[45:46], s[46:47]
	v_fma_f64 v[51:52], v[69:70], v[51:52], v[67:68]
	;; [unrolled: 1-line block ×3, first 2 shown]
	v_fma_f64 v[57:58], v[5:6], -v[7:8], v[57:58]
	v_mul_f64 v[67:68], v[47:48], v[47:48]
	v_fma_f64 v[55:56], v[47:48], v[55:56], s[56:57]
	v_fma_f64 v[45:46], v[35:36], v[45:46], s[48:49]
	v_fma_f64 v[7:8], v[47:48], v[51:52], -v[7:8]
	v_mul_f64 v[47:48], v[49:50], v[49:50]
	v_fma_f64 v[51:52], v[49:50], v[59:60], s[56:57]
	v_fma_f64 v[59:60], v[27:28], -v[29:30], v[61:62]
	v_fma_f64 v[29:30], v[49:50], v[53:54], -v[29:30]
	v_fma_f64 v[49:50], v[67:68], v[55:56], v[57:58]
	v_fma_f64 v[45:46], v[35:36], v[45:46], s[50:51]
	;; [unrolled: 1-line block ×3, first 2 shown]
	s_delay_alu instid0(VALU_DEP_4) | instskip(NEXT) | instid1(VALU_DEP_3)
	v_fma_f64 v[29:30], v[75:76], s[86:87], v[29:30]
	v_fma_f64 v[45:46], v[35:36], v[45:46], s[52:53]
	s_delay_alu instid0(VALU_DEP_3) | instskip(NEXT) | instid1(VALU_DEP_3)
	v_add_f64 v[5:6], v[5:6], -v[7:8]
	v_add_f64 v[27:28], v[27:28], -v[29:30]
	s_delay_alu instid0(VALU_DEP_3) | instskip(NEXT) | instid1(VALU_DEP_3)
	v_fma_f64 v[45:46], v[35:36], v[45:46], s[82:83]
	v_xor_b32_e32 v6, 0x80000000, v6
	s_delay_alu instid0(VALU_DEP_2) | instskip(NEXT) | instid1(VALU_DEP_1)
	v_fma_f64 v[45:46], v[35:36], v[45:46], s[84:85]
	v_fma_f64 v[45:46], v[35:36], v[45:46], s[58:59]
	s_delay_alu instid0(VALU_DEP_1) | instskip(NEXT) | instid1(VALU_DEP_1)
	v_fma_f64 v[45:46], v[35:36], v[45:46], s[60:61]
	v_fma_f64 v[45:46], v[35:36], v[45:46], 1.0
	s_delay_alu instid0(VALU_DEP_1) | instskip(SKIP_2) | instid1(VALU_DEP_3)
	v_fma_f64 v[33:34], v[35:36], v[45:46], 1.0
	v_fma_f64 v[35:36], v[47:48], v[51:52], v[59:60]
	v_add_f64 v[45:46], v[63:64], v[49:50]
	v_ldexp_f64 v[7:8], v[33:34], v22
	s_delay_alu instid0(VALU_DEP_3) | instskip(SKIP_1) | instid1(VALU_DEP_1)
	v_add_f64 v[33:34], v[65:66], v[35:36]
	v_and_b32_e32 v22, 1, v31
	v_cmp_eq_u32_e64 s5, 0, v22
	s_delay_alu instid0(VALU_DEP_1) | instskip(SKIP_2) | instid1(VALU_DEP_2)
	v_cndmask_b32_e64 v6, v6, v46, s5
	v_cndmask_b32_e64 v5, v5, v45, s5
	s_and_b32 s5, s8, s7
                                        ; implicit-def: $vgpr45
	v_xor_b32_e32 v6, v6, v14
	s_delay_alu instid0(VALU_DEP_2) | instskip(NEXT) | instid1(VALU_DEP_2)
	v_cndmask_b32_e64 v5, 0, v5, s6
	v_cndmask_b32_e64 v6, 0x7ff80000, v6, s6
	;; [unrolled: 1-line block ×6, first 2 shown]
	s_delay_alu instid0(VALU_DEP_4) | instskip(NEXT) | instid1(VALU_DEP_4)
	v_cndmask_b32_e64 v8, 0, v8, s8
	v_xor_b32_e32 v14, v16, v13
	s_delay_alu instid0(VALU_DEP_4) | instskip(NEXT) | instid1(VALU_DEP_3)
	v_cndmask_b32_e64 v13, 0, v15, s6
                                        ; implicit-def: $vgpr15_vgpr16
	v_mul_f64 v[5:6], v[7:8], v[5:6]
	s_delay_alu instid0(VALU_DEP_3) | instskip(NEXT) | instid1(VALU_DEP_1)
	v_cndmask_b32_e64 v14, 0x7ff80000, v14, s6
	v_mul_f64 v[7:8], v[7:8], v[13:14]
.LBB138_25:                             ;   in Loop: Header=BB138_4 Depth=1
	s_and_not1_saveexec_b32 s95, s95
	s_cbranch_execz .LBB138_28
; %bb.26:                               ;   in Loop: Header=BB138_4 Depth=1
	v_cmp_ngt_f64_e64 s7, 0x41d00000, |v[15:16]|
                                        ; implicit-def: $vgpr31
                                        ; implicit-def: $vgpr5_vgpr6
                                        ; implicit-def: $vgpr7_vgpr8
	s_delay_alu instid0(VALU_DEP_1) | instskip(NEXT) | instid1(SALU_CYCLE_1)
	s_and_saveexec_b32 s5, s7
	s_xor_b32 s8, exec_lo, s5
	s_cbranch_execz .LBB138_29
; %bb.27:                               ;   in Loop: Header=BB138_4 Depth=1
	v_ldexp_f64 v[5:6], |v[15:16]|, 0xffffff80
	v_cmp_le_f64_e64 s5, 0x7b000000, |v[15:16]|
	v_trig_preop_f64 v[7:8], |v[15:16]|, 0
	v_trig_preop_f64 v[27:28], |v[15:16]|, 1
	;; [unrolled: 1-line block ×3, first 2 shown]
	s_mov_b32 s20, s22
	s_mov_b32 s27, s25
	s_delay_alu instid0(VALU_DEP_4) | instskip(SKIP_1) | instid1(VALU_DEP_1)
	v_cndmask_b32_e64 v6, v45, v6, s5
	v_cndmask_b32_e64 v5, v15, v5, s5
	v_mul_f64 v[29:30], v[7:8], v[5:6]
	v_mul_f64 v[31:32], v[27:28], v[5:6]
	;; [unrolled: 1-line block ×3, first 2 shown]
	s_delay_alu instid0(VALU_DEP_3) | instskip(NEXT) | instid1(VALU_DEP_3)
	v_fma_f64 v[7:8], v[7:8], v[5:6], -v[29:30]
	v_fma_f64 v[27:28], v[27:28], v[5:6], -v[31:32]
	s_delay_alu instid0(VALU_DEP_3) | instskip(NEXT) | instid1(VALU_DEP_3)
	v_fma_f64 v[5:6], v[46:47], v[5:6], -v[52:53]
	v_add_f64 v[33:34], v[31:32], v[7:8]
	s_delay_alu instid0(VALU_DEP_1) | instskip(SKIP_1) | instid1(VALU_DEP_2)
	v_add_f64 v[35:36], v[33:34], -v[31:32]
	v_add_f64 v[50:51], v[29:30], v[33:34]
	v_add_f64 v[48:49], v[33:34], -v[35:36]
	v_add_f64 v[7:8], v[7:8], -v[35:36]
	s_delay_alu instid0(VALU_DEP_3) | instskip(SKIP_1) | instid1(VALU_DEP_4)
	v_ldexp_f64 v[35:36], v[50:51], -2
	v_add_f64 v[29:30], v[50:51], -v[29:30]
	v_add_f64 v[31:32], v[31:32], -v[48:49]
	v_add_f64 v[48:49], v[52:53], v[27:28]
	s_delay_alu instid0(VALU_DEP_4) | instskip(NEXT) | instid1(VALU_DEP_4)
	v_cmp_neq_f64_e64 s5, 0x7ff00000, |v[35:36]|
	v_add_f64 v[29:30], v[33:34], -v[29:30]
	s_delay_alu instid0(VALU_DEP_4) | instskip(SKIP_1) | instid1(VALU_DEP_2)
	v_add_f64 v[7:8], v[7:8], v[31:32]
	v_fract_f64_e32 v[31:32], v[35:36]
	v_add_f64 v[33:34], v[48:49], v[7:8]
	s_delay_alu instid0(VALU_DEP_2) | instskip(NEXT) | instid1(VALU_DEP_3)
	v_cndmask_b32_e64 v32, 0, v32, s5
	v_cndmask_b32_e64 v31, 0, v31, s5
	s_delay_alu instid0(VALU_DEP_1) | instskip(NEXT) | instid1(VALU_DEP_4)
	v_ldexp_f64 v[31:32], v[31:32], 2
	v_add_f64 v[35:36], v[29:30], v[33:34]
	v_add_f64 v[54:55], v[33:34], -v[48:49]
	s_delay_alu instid0(VALU_DEP_2) | instskip(NEXT) | instid1(VALU_DEP_2)
	v_add_f64 v[50:51], v[35:36], v[31:32]
	v_add_f64 v[60:61], v[33:34], -v[54:55]
	v_add_f64 v[7:8], v[7:8], -v[54:55]
	;; [unrolled: 1-line block ×3, first 2 shown]
	s_delay_alu instid0(VALU_DEP_4) | instskip(SKIP_1) | instid1(VALU_DEP_3)
	v_cmp_gt_f64_e64 s5, 0, v[50:51]
	v_add_f64 v[50:51], v[48:49], -v[52:53]
	v_add_f64 v[29:30], v[33:34], -v[29:30]
	s_delay_alu instid0(VALU_DEP_3) | instskip(NEXT) | instid1(VALU_DEP_3)
	v_cndmask_b32_e64 v22, 0, 0x40100000, s5
	v_add_f64 v[58:59], v[48:49], -v[50:51]
	v_add_f64 v[27:28], v[27:28], -v[50:51]
	v_add_f64 v[48:49], v[48:49], -v[60:61]
	s_delay_alu instid0(VALU_DEP_4) | instskip(NEXT) | instid1(VALU_DEP_4)
	v_add_f64 v[31:32], v[31:32], v[21:22]
	v_add_f64 v[50:51], v[52:53], -v[58:59]
	s_delay_alu instid0(VALU_DEP_3) | instskip(NEXT) | instid1(VALU_DEP_3)
	v_add_f64 v[7:8], v[7:8], v[48:49]
	v_add_f64 v[56:57], v[35:36], v[31:32]
	s_delay_alu instid0(VALU_DEP_3) | instskip(NEXT) | instid1(VALU_DEP_2)
	v_add_f64 v[27:28], v[27:28], v[50:51]
	v_cvt_i32_f64_e32 v22, v[56:57]
	s_delay_alu instid0(VALU_DEP_2) | instskip(NEXT) | instid1(VALU_DEP_2)
	v_add_f64 v[7:8], v[27:28], v[7:8]
	v_cvt_f64_i32_e32 v[54:55], v22
	s_delay_alu instid0(VALU_DEP_2) | instskip(NEXT) | instid1(VALU_DEP_2)
	v_add_f64 v[5:6], v[5:6], v[7:8]
	v_add_f64 v[31:32], v[31:32], -v[54:55]
	s_delay_alu instid0(VALU_DEP_2) | instskip(NEXT) | instid1(VALU_DEP_2)
	v_add_f64 v[5:6], v[29:30], v[5:6]
	v_add_f64 v[27:28], v[35:36], v[31:32]
	s_delay_alu instid0(VALU_DEP_1) | instskip(SKIP_1) | instid1(VALU_DEP_2)
	v_add_f64 v[7:8], v[27:28], -v[31:32]
	v_cmp_le_f64_e64 s5, 0.5, v[27:28]
	v_add_f64 v[7:8], v[35:36], -v[7:8]
	s_delay_alu instid0(VALU_DEP_2) | instskip(SKIP_1) | instid1(VALU_DEP_3)
	v_add_co_ci_u32_e64 v31, s6, 0, v22, s5
	v_cndmask_b32_e64 v22, 0, 0x3ff00000, s5
	v_add_f64 v[5:6], v[5:6], v[7:8]
	s_delay_alu instid0(VALU_DEP_2) | instskip(NEXT) | instid1(VALU_DEP_1)
	v_add_f64 v[7:8], v[27:28], -v[21:22]
	v_add_f64 v[27:28], v[7:8], v[5:6]
	s_delay_alu instid0(VALU_DEP_1) | instskip(SKIP_1) | instid1(VALU_DEP_2)
	v_mul_f64 v[29:30], v[27:28], s[20:21]
	v_add_f64 v[7:8], v[27:28], -v[7:8]
	v_fma_f64 v[32:33], v[27:28], s[20:21], -v[29:30]
	s_delay_alu instid0(VALU_DEP_2) | instskip(NEXT) | instid1(VALU_DEP_2)
	v_add_f64 v[5:6], v[5:6], -v[7:8]
	v_fma_f64 v[7:8], v[27:28], s[26:27], v[32:33]
	s_delay_alu instid0(VALU_DEP_1) | instskip(NEXT) | instid1(VALU_DEP_1)
	v_fma_f64 v[7:8], v[5:6], s[20:21], v[7:8]
	v_add_f64 v[5:6], v[29:30], v[7:8]
	s_delay_alu instid0(VALU_DEP_1) | instskip(NEXT) | instid1(VALU_DEP_1)
	v_add_f64 v[27:28], v[5:6], -v[29:30]
	v_add_f64 v[7:8], v[7:8], -v[27:28]
	s_and_not1_saveexec_b32 s5, s8
	s_cbranch_execz .LBB138_31
	s_branch .LBB138_30
.LBB138_28:                             ;   in Loop: Header=BB138_4 Depth=1
	s_or_b32 exec_lo, exec_lo, s95
                                        ; implicit-def: $vgpr13_vgpr14
                                        ; implicit-def: $vgpr22
	s_and_not1_saveexec_b32 s7, s94
	s_cbranch_execnz .LBB138_37
	s_branch .LBB138_42
.LBB138_29:                             ;   in Loop: Header=BB138_4 Depth=1
	s_and_not1_saveexec_b32 s5, s8
	s_cbranch_execz .LBB138_31
.LBB138_30:                             ;   in Loop: Header=BB138_4 Depth=1
	v_mul_f64 v[5:6], |v[15:16]|, s[28:29]
	s_mov_b32 s24, s30
	s_delay_alu instid0(VALU_DEP_1) | instskip(NEXT) | instid1(VALU_DEP_1)
	v_rndne_f64_e32 v[27:28], v[5:6]
	v_fma_f64 v[5:6], v[27:28], s[22:23], |v[15:16]|
	v_mul_f64 v[7:8], v[27:28], s[30:31]
	s_delay_alu instid0(VALU_DEP_2) | instskip(NEXT) | instid1(VALU_DEP_2)
	v_fma_f64 v[31:32], v[27:28], s[30:31], v[5:6]
	v_add_f64 v[29:30], v[5:6], v[7:8]
	s_delay_alu instid0(VALU_DEP_1) | instskip(NEXT) | instid1(VALU_DEP_3)
	v_add_f64 v[5:6], v[5:6], -v[29:30]
	v_add_f64 v[29:30], v[29:30], -v[31:32]
	s_delay_alu instid0(VALU_DEP_2) | instskip(SKIP_1) | instid1(VALU_DEP_2)
	v_add_f64 v[5:6], v[5:6], v[7:8]
	v_fma_f64 v[7:8], v[27:28], s[24:25], v[7:8]
	v_add_f64 v[5:6], v[29:30], v[5:6]
	s_delay_alu instid0(VALU_DEP_1) | instskip(NEXT) | instid1(VALU_DEP_1)
	v_add_f64 v[5:6], v[5:6], -v[7:8]
	v_fma_f64 v[7:8], v[27:28], s[34:35], v[5:6]
	s_delay_alu instid0(VALU_DEP_1) | instskip(NEXT) | instid1(VALU_DEP_1)
	v_add_f64 v[5:6], v[31:32], v[7:8]
	v_add_f64 v[29:30], v[5:6], -v[31:32]
	v_cvt_i32_f64_e32 v31, v[27:28]
	s_delay_alu instid0(VALU_DEP_2)
	v_add_f64 v[7:8], v[7:8], -v[29:30]
.LBB138_31:                             ;   in Loop: Header=BB138_4 Depth=1
	s_or_b32 exec_lo, exec_lo, s5
                                        ; implicit-def: $vgpr32
                                        ; implicit-def: $vgpr27_vgpr28
                                        ; implicit-def: $vgpr29_vgpr30
	s_and_saveexec_b32 s5, s7
	s_delay_alu instid0(SALU_CYCLE_1)
	s_xor_b32 s7, exec_lo, s5
	s_cbranch_execz .LBB138_33
; %bb.32:                               ;   in Loop: Header=BB138_4 Depth=1
	v_ldexp_f64 v[27:28], |v[15:16]|, 0xffffff80
	v_cmp_le_f64_e64 s5, 0x7b000000, |v[15:16]|
	v_trig_preop_f64 v[29:30], |v[15:16]|, 0
	v_trig_preop_f64 v[32:33], |v[15:16]|, 1
	;; [unrolled: 1-line block ×3, first 2 shown]
	s_mov_b32 s20, s22
	s_mov_b32 s27, s25
	s_delay_alu instid0(VALU_DEP_4) | instskip(SKIP_1) | instid1(VALU_DEP_1)
	v_cndmask_b32_e64 v28, v45, v28, s5
	v_cndmask_b32_e64 v27, v15, v27, s5
	v_mul_f64 v[34:35], v[29:30], v[27:28]
	v_mul_f64 v[45:46], v[32:33], v[27:28]
	;; [unrolled: 1-line block ×3, first 2 shown]
	s_delay_alu instid0(VALU_DEP_3) | instskip(NEXT) | instid1(VALU_DEP_3)
	v_fma_f64 v[29:30], v[29:30], v[27:28], -v[34:35]
	v_fma_f64 v[32:33], v[32:33], v[27:28], -v[45:46]
	s_delay_alu instid0(VALU_DEP_3) | instskip(NEXT) | instid1(VALU_DEP_3)
	v_fma_f64 v[27:28], v[51:52], v[27:28], -v[57:58]
	v_add_f64 v[47:48], v[45:46], v[29:30]
	s_delay_alu instid0(VALU_DEP_1) | instskip(SKIP_1) | instid1(VALU_DEP_2)
	v_add_f64 v[49:50], v[47:48], -v[45:46]
	v_add_f64 v[55:56], v[34:35], v[47:48]
	v_add_f64 v[53:54], v[47:48], -v[49:50]
	v_add_f64 v[29:30], v[29:30], -v[49:50]
	s_delay_alu instid0(VALU_DEP_3) | instskip(SKIP_1) | instid1(VALU_DEP_4)
	v_ldexp_f64 v[49:50], v[55:56], -2
	v_add_f64 v[34:35], v[55:56], -v[34:35]
	v_add_f64 v[45:46], v[45:46], -v[53:54]
	v_add_f64 v[53:54], v[57:58], v[32:33]
	s_delay_alu instid0(VALU_DEP_4) | instskip(NEXT) | instid1(VALU_DEP_4)
	v_cmp_neq_f64_e64 s5, 0x7ff00000, |v[49:50]|
	v_add_f64 v[34:35], v[47:48], -v[34:35]
	s_delay_alu instid0(VALU_DEP_4) | instskip(SKIP_1) | instid1(VALU_DEP_2)
	v_add_f64 v[29:30], v[29:30], v[45:46]
	v_fract_f64_e32 v[45:46], v[49:50]
	v_add_f64 v[47:48], v[53:54], v[29:30]
	s_delay_alu instid0(VALU_DEP_2) | instskip(NEXT) | instid1(VALU_DEP_3)
	v_cndmask_b32_e64 v46, 0, v46, s5
	v_cndmask_b32_e64 v45, 0, v45, s5
	s_delay_alu instid0(VALU_DEP_1) | instskip(NEXT) | instid1(VALU_DEP_4)
	v_ldexp_f64 v[45:46], v[45:46], 2
	v_add_f64 v[49:50], v[34:35], v[47:48]
	v_add_f64 v[59:60], v[47:48], -v[53:54]
	s_delay_alu instid0(VALU_DEP_2) | instskip(NEXT) | instid1(VALU_DEP_2)
	v_add_f64 v[55:56], v[49:50], v[45:46]
	v_add_f64 v[65:66], v[47:48], -v[59:60]
	v_add_f64 v[29:30], v[29:30], -v[59:60]
	;; [unrolled: 1-line block ×3, first 2 shown]
	s_delay_alu instid0(VALU_DEP_4) | instskip(SKIP_1) | instid1(VALU_DEP_2)
	v_cmp_gt_f64_e64 s5, 0, v[55:56]
	v_add_f64 v[55:56], v[53:54], -v[57:58]
	v_cndmask_b32_e64 v22, 0, 0x40100000, s5
	s_delay_alu instid0(VALU_DEP_2) | instskip(SKIP_2) | instid1(VALU_DEP_4)
	v_add_f64 v[63:64], v[53:54], -v[55:56]
	v_add_f64 v[32:33], v[32:33], -v[55:56]
	;; [unrolled: 1-line block ×3, first 2 shown]
	v_add_f64 v[45:46], v[45:46], v[21:22]
	s_delay_alu instid0(VALU_DEP_4) | instskip(NEXT) | instid1(VALU_DEP_3)
	v_add_f64 v[55:56], v[57:58], -v[63:64]
	v_add_f64 v[29:30], v[29:30], v[53:54]
	s_delay_alu instid0(VALU_DEP_3) | instskip(NEXT) | instid1(VALU_DEP_3)
	v_add_f64 v[61:62], v[49:50], v[45:46]
	v_add_f64 v[32:33], v[32:33], v[55:56]
	s_delay_alu instid0(VALU_DEP_2) | instskip(NEXT) | instid1(VALU_DEP_2)
	v_cvt_i32_f64_e32 v22, v[61:62]
	v_add_f64 v[29:30], v[32:33], v[29:30]
	v_add_f64 v[32:33], v[47:48], -v[34:35]
	s_delay_alu instid0(VALU_DEP_3) | instskip(NEXT) | instid1(VALU_DEP_3)
	v_cvt_f64_i32_e32 v[59:60], v22
	v_add_f64 v[27:28], v[27:28], v[29:30]
	s_delay_alu instid0(VALU_DEP_2) | instskip(NEXT) | instid1(VALU_DEP_2)
	v_add_f64 v[45:46], v[45:46], -v[59:60]
	v_add_f64 v[27:28], v[32:33], v[27:28]
	s_delay_alu instid0(VALU_DEP_2) | instskip(NEXT) | instid1(VALU_DEP_1)
	v_add_f64 v[51:52], v[49:50], v[45:46]
	v_add_f64 v[29:30], v[51:52], -v[45:46]
	v_cmp_le_f64_e64 s5, 0.5, v[51:52]
	s_delay_alu instid0(VALU_DEP_2) | instskip(NEXT) | instid1(VALU_DEP_2)
	v_add_f64 v[29:30], v[49:50], -v[29:30]
	v_add_co_ci_u32_e64 v32, s6, 0, v22, s5
	v_cndmask_b32_e64 v22, 0, 0x3ff00000, s5
	s_delay_alu instid0(VALU_DEP_3) | instskip(NEXT) | instid1(VALU_DEP_2)
	v_add_f64 v[27:28], v[27:28], v[29:30]
	v_add_f64 v[29:30], v[51:52], -v[21:22]
	s_delay_alu instid0(VALU_DEP_1) | instskip(NEXT) | instid1(VALU_DEP_1)
	v_add_f64 v[33:34], v[29:30], v[27:28]
	v_mul_f64 v[35:36], v[33:34], s[20:21]
	v_add_f64 v[29:30], v[33:34], -v[29:30]
	s_delay_alu instid0(VALU_DEP_2) | instskip(NEXT) | instid1(VALU_DEP_2)
	v_fma_f64 v[45:46], v[33:34], s[20:21], -v[35:36]
	v_add_f64 v[27:28], v[27:28], -v[29:30]
	s_delay_alu instid0(VALU_DEP_2) | instskip(NEXT) | instid1(VALU_DEP_1)
	v_fma_f64 v[29:30], v[33:34], s[26:27], v[45:46]
	v_fma_f64 v[29:30], v[27:28], s[20:21], v[29:30]
	s_delay_alu instid0(VALU_DEP_1) | instskip(NEXT) | instid1(VALU_DEP_1)
	v_add_f64 v[27:28], v[35:36], v[29:30]
	v_add_f64 v[33:34], v[27:28], -v[35:36]
	s_delay_alu instid0(VALU_DEP_1)
	v_add_f64 v[29:30], v[29:30], -v[33:34]
	s_and_not1_saveexec_b32 s5, s7
	s_cbranch_execnz .LBB138_34
	s_branch .LBB138_35
.LBB138_33:                             ;   in Loop: Header=BB138_4 Depth=1
	s_and_not1_saveexec_b32 s5, s7
	s_cbranch_execz .LBB138_35
.LBB138_34:                             ;   in Loop: Header=BB138_4 Depth=1
	v_mul_f64 v[27:28], |v[15:16]|, s[28:29]
	s_mov_b32 s24, s30
	s_delay_alu instid0(VALU_DEP_1) | instskip(NEXT) | instid1(VALU_DEP_1)
	v_rndne_f64_e32 v[32:33], v[27:28]
	v_fma_f64 v[27:28], v[32:33], s[22:23], |v[15:16]|
	v_mul_f64 v[29:30], v[32:33], s[30:31]
	s_delay_alu instid0(VALU_DEP_2) | instskip(NEXT) | instid1(VALU_DEP_2)
	v_fma_f64 v[45:46], v[32:33], s[30:31], v[27:28]
	v_add_f64 v[34:35], v[27:28], v[29:30]
	s_delay_alu instid0(VALU_DEP_1) | instskip(NEXT) | instid1(VALU_DEP_3)
	v_add_f64 v[27:28], v[27:28], -v[34:35]
	v_add_f64 v[34:35], v[34:35], -v[45:46]
	s_delay_alu instid0(VALU_DEP_2) | instskip(SKIP_1) | instid1(VALU_DEP_2)
	v_add_f64 v[27:28], v[27:28], v[29:30]
	v_fma_f64 v[29:30], v[32:33], s[24:25], v[29:30]
	v_add_f64 v[27:28], v[34:35], v[27:28]
	s_delay_alu instid0(VALU_DEP_1) | instskip(NEXT) | instid1(VALU_DEP_1)
	v_add_f64 v[27:28], v[27:28], -v[29:30]
	v_fma_f64 v[29:30], v[32:33], s[34:35], v[27:28]
	v_cvt_i32_f64_e32 v32, v[32:33]
	s_delay_alu instid0(VALU_DEP_2) | instskip(NEXT) | instid1(VALU_DEP_1)
	v_add_f64 v[27:28], v[45:46], v[29:30]
	v_add_f64 v[34:35], v[27:28], -v[45:46]
	s_delay_alu instid0(VALU_DEP_1)
	v_add_f64 v[29:30], v[29:30], -v[34:35]
.LBB138_35:                             ;   in Loop: Header=BB138_4 Depth=1
	s_or_b32 exec_lo, exec_lo, s5
	v_add_f64 v[13:14], v[13:14], s[80:81]
	v_mul_f64 v[47:48], v[5:6], v[5:6]
	v_mul_f64 v[49:50], v[27:28], v[27:28]
	s_mov_b32 s83, s55
	s_mov_b32 s85, s57
	s_delay_alu instid0(VALU_DEP_4) | instskip(SKIP_4) | instid1(VALU_DEP_1)
	v_mul_f64 v[67:68], v[7:8], 0.5
	v_mul_f64 v[73:74], v[29:30], 0.5
	s_mov_b32 s86, s56
	v_cmp_class_f64_e64 s6, v[15:16], 0x1f8
	v_and_b32_e32 v15, 1, v32
	v_cmp_eq_u32_e64 s9, 0, v15
	v_mul_f64 v[33:34], v[13:14], s[36:37]
	v_fma_f64 v[51:52], v[47:48], s[74:75], s[72:73]
	v_fma_f64 v[53:54], v[49:50], s[74:75], s[72:73]
	v_mul_f64 v[57:58], v[47:48], 0.5
	v_fma_f64 v[55:56], v[47:48], s[64:65], s[62:63]
	v_fma_f64 v[59:60], v[49:50], s[64:65], s[62:63]
	v_mul_f64 v[61:62], v[49:50], 0.5
	v_mul_f64 v[69:70], v[5:6], -v[47:48]
	v_mul_f64 v[75:76], v[27:28], -v[49:50]
	v_cmp_nlt_f64_e64 s7, 0x40900000, v[13:14]
	v_cmp_ngt_f64_e64 s8, 0xc090cc00, v[13:14]
	v_rndne_f64_e32 v[33:34], v[33:34]
	v_fma_f64 v[51:52], v[47:48], v[51:52], s[76:77]
	v_fma_f64 v[53:54], v[49:50], v[53:54], s[76:77]
	v_add_f64 v[63:64], -v[57:58], 1.0
	v_fma_f64 v[55:56], v[47:48], v[55:56], s[66:67]
	v_fma_f64 v[59:60], v[49:50], v[59:60], s[66:67]
	v_add_f64 v[65:66], -v[61:62], 1.0
	v_fma_f64 v[35:36], v[33:34], s[38:39], v[13:14]
	v_fma_f64 v[51:52], v[47:48], v[51:52], s[78:79]
	;; [unrolled: 1-line block ×3, first 2 shown]
	v_add_f64 v[71:72], -v[63:64], 1.0
	v_fma_f64 v[55:56], v[47:48], v[55:56], s[68:69]
	v_fma_f64 v[59:60], v[49:50], v[59:60], s[68:69]
	v_add_f64 v[77:78], -v[65:66], 1.0
	v_cvt_i32_f64_e32 v22, v[33:34]
	v_lshlrev_b32_e32 v13, 30, v32
	v_lshlrev_b32_e32 v14, 30, v31
	s_delay_alu instid0(VALU_DEP_2) | instskip(NEXT) | instid1(VALU_DEP_2)
	v_xor_b32_e32 v13, v13, v16
	v_and_b32_e32 v14, 0x80000000, v14
	s_delay_alu instid0(VALU_DEP_2)
	v_and_b32_e32 v13, 0x80000000, v13
	v_fma_f64 v[35:36], v[33:34], s[40:41], v[35:36]
	v_fma_f64 v[51:52], v[47:48], v[51:52], s[54:55]
	;; [unrolled: 1-line block ×3, first 2 shown]
	v_add_f64 v[57:58], v[71:72], -v[57:58]
	v_fma_f64 v[55:56], v[47:48], v[55:56], s[70:71]
	v_fma_f64 v[59:60], v[49:50], v[59:60], s[70:71]
	v_add_f64 v[61:62], v[77:78], -v[61:62]
	v_fma_f64 v[45:46], v[35:36], s[44:45], s[42:43]
	v_fma_f64 v[51:52], v[69:70], v[51:52], v[67:68]
	v_fma_f64 v[53:54], v[75:76], v[53:54], v[73:74]
	v_fma_f64 v[57:58], v[5:6], -v[7:8], v[57:58]
	v_mul_f64 v[67:68], v[47:48], v[47:48]
	v_fma_f64 v[55:56], v[47:48], v[55:56], s[56:57]
	v_fma_f64 v[45:46], v[35:36], v[45:46], s[46:47]
	v_fma_f64 v[7:8], v[47:48], v[51:52], -v[7:8]
	v_mul_f64 v[47:48], v[49:50], v[49:50]
	v_fma_f64 v[51:52], v[49:50], v[59:60], s[56:57]
	v_fma_f64 v[59:60], v[27:28], -v[29:30], v[61:62]
	v_fma_f64 v[29:30], v[49:50], v[53:54], -v[29:30]
	v_fma_f64 v[49:50], v[67:68], v[55:56], v[57:58]
	v_fma_f64 v[45:46], v[35:36], v[45:46], s[48:49]
	;; [unrolled: 1-line block ×3, first 2 shown]
	s_delay_alu instid0(VALU_DEP_4) | instskip(NEXT) | instid1(VALU_DEP_3)
	v_fma_f64 v[29:30], v[75:76], s[86:87], v[29:30]
	v_fma_f64 v[45:46], v[35:36], v[45:46], s[50:51]
	s_delay_alu instid0(VALU_DEP_3) | instskip(NEXT) | instid1(VALU_DEP_3)
	v_add_f64 v[5:6], v[5:6], -v[7:8]
	v_add_f64 v[27:28], v[27:28], -v[29:30]
	s_delay_alu instid0(VALU_DEP_3) | instskip(NEXT) | instid1(VALU_DEP_3)
	v_fma_f64 v[45:46], v[35:36], v[45:46], s[52:53]
	v_xor_b32_e32 v6, 0x80000000, v6
	s_delay_alu instid0(VALU_DEP_2) | instskip(NEXT) | instid1(VALU_DEP_1)
	v_fma_f64 v[45:46], v[35:36], v[45:46], s[82:83]
	v_fma_f64 v[45:46], v[35:36], v[45:46], s[84:85]
	s_delay_alu instid0(VALU_DEP_1) | instskip(NEXT) | instid1(VALU_DEP_1)
	v_fma_f64 v[45:46], v[35:36], v[45:46], s[58:59]
	v_fma_f64 v[45:46], v[35:36], v[45:46], s[60:61]
	s_delay_alu instid0(VALU_DEP_1) | instskip(NEXT) | instid1(VALU_DEP_1)
	v_fma_f64 v[45:46], v[35:36], v[45:46], 1.0
	v_fma_f64 v[33:34], v[35:36], v[45:46], 1.0
	v_fma_f64 v[35:36], v[47:48], v[51:52], v[59:60]
	v_add_f64 v[45:46], v[63:64], v[49:50]
	s_delay_alu instid0(VALU_DEP_3) | instskip(NEXT) | instid1(VALU_DEP_3)
	v_ldexp_f64 v[7:8], v[33:34], v22
	v_add_f64 v[33:34], v[65:66], v[35:36]
	v_and_b32_e32 v22, 1, v31
	s_delay_alu instid0(VALU_DEP_1) | instskip(NEXT) | instid1(VALU_DEP_1)
	v_cmp_eq_u32_e64 s5, 0, v22
	v_cndmask_b32_e64 v6, v6, v46, s5
	v_cndmask_b32_e64 v5, v5, v45, s5
	s_and_b32 s5, s8, s7
	s_delay_alu instid0(VALU_DEP_2) | instskip(NEXT) | instid1(VALU_DEP_2)
	v_xor_b32_e32 v6, v6, v14
	v_cndmask_b32_e64 v5, 0, v5, s6
	s_delay_alu instid0(VALU_DEP_2) | instskip(SKIP_4) | instid1(VALU_DEP_4)
	v_cndmask_b32_e64 v6, 0x7ff80000, v6, s6
	v_cndmask_b32_e64 v8, 0x7ff00000, v8, s7
	;; [unrolled: 1-line block ×6, first 2 shown]
	s_delay_alu instid0(VALU_DEP_4) | instskip(NEXT) | instid1(VALU_DEP_4)
	v_xor_b32_e32 v14, v16, v13
	v_cndmask_b32_e64 v13, 0, v15, s6
	s_delay_alu instid0(VALU_DEP_3) | instskip(NEXT) | instid1(VALU_DEP_3)
	v_and_or_b32 v8, v22, s91, 0x7fe00000
	v_cndmask_b32_e64 v14, 0x7ff80000, v14, s6
	s_delay_alu instid0(VALU_DEP_2) | instskip(NEXT) | instid1(VALU_DEP_2)
	v_mul_f64 v[5:6], v[7:8], v[5:6]
	v_mul_f64 v[7:8], v[7:8], v[13:14]
	v_lshrrev_b32_e32 v13, 20, v22
	s_delay_alu instid0(VALU_DEP_1) | instskip(NEXT) | instid1(VALU_DEP_1)
	v_add_nc_u32_e32 v13, 0xffffff09, v13
	v_lshrrev_b16 v14, 15, v13
	s_delay_alu instid0(VALU_DEP_1) | instskip(NEXT) | instid1(VALU_DEP_1)
	v_add_nc_u16 v14, v13, v14
	v_ashrrev_i16 v14, 1, v14
	s_delay_alu instid0(VALU_DEP_1) | instskip(NEXT) | instid1(VALU_DEP_1)
	v_bfe_i32 v14, v14, 0, 16
	v_lshl_add_u32 v22, v14, 20, 0x3ff00000
	v_sub_nc_u32_e32 v14, v13, v14
	v_mov_b32_e32 v13, v21
	s_delay_alu instid0(VALU_DEP_2) | instskip(NEXT) | instid1(VALU_DEP_4)
	v_lshl_add_u32 v14, v14, 20, 0x3ff00000
	v_mul_f64 v[5:6], v[5:6], v[21:22]
	v_mul_f64 v[7:8], v[7:8], v[21:22]
	s_delay_alu instid0(VALU_DEP_2) | instskip(NEXT) | instid1(VALU_DEP_2)
	v_mul_f64 v[5:6], v[5:6], v[13:14]
	v_mul_f64 v[7:8], v[7:8], v[13:14]
	s_or_b32 exec_lo, exec_lo, s95
                                        ; implicit-def: $vgpr13_vgpr14
                                        ; implicit-def: $vgpr22
.LBB138_36:                             ;   in Loop: Header=BB138_4 Depth=1
	s_and_not1_saveexec_b32 s7, s94
	s_cbranch_execz .LBB138_42
.LBB138_37:                             ;   in Loop: Header=BB138_4 Depth=1
	v_add_f64 v[7:8], v[15:16], -v[15:16]
	v_cmp_ne_u32_e64 s5, 0, v13
	v_cmp_ne_u32_e64 s6, 0x7ff00000, v22
	s_delay_alu instid0(VALU_DEP_1) | instskip(NEXT) | instid1(SALU_CYCLE_1)
	s_or_b32 s5, s5, s6
	s_and_saveexec_b32 s6, s5
	s_delay_alu instid0(SALU_CYCLE_1)
	s_xor_b32 s5, exec_lo, s6
; %bb.38:                               ;   in Loop: Header=BB138_4 Depth=1
                                        ; implicit-def: $vgpr13_vgpr14
; %bb.39:                               ;   in Loop: Header=BB138_4 Depth=1
	s_delay_alu instid0(SALU_CYCLE_1) | instskip(NEXT) | instid1(VALU_DEP_3)
	s_or_saveexec_b32 s6, s5
	v_dual_mov_b32 v5, v7 :: v_dual_mov_b32 v6, v8
	s_xor_b32 exec_lo, exec_lo, s6
; %bb.40:                               ;   in Loop: Header=BB138_4 Depth=1
	v_cmp_lt_i64_e64 s5, -1, v[13:14]
	s_delay_alu instid0(VALU_DEP_1)
	v_cndmask_b32_e64 v6, 0, v14, s5
	v_cndmask_b32_e64 v5, 0, v13, s5
	;; [unrolled: 1-line block ×4, first 2 shown]
; %bb.41:                               ;   in Loop: Header=BB138_4 Depth=1
	s_or_b32 exec_lo, exec_lo, s6
.LBB138_42:                             ;   in Loop: Header=BB138_4 Depth=1
	s_delay_alu instid0(SALU_CYCLE_1)
	s_or_b32 exec_lo, exec_lo, s7
                                        ; implicit-def: $vgpr15_vgpr16
                                        ; implicit-def: $vgpr45
.LBB138_43:                             ;   in Loop: Header=BB138_4 Depth=1
	s_and_not1_saveexec_b32 s8, s93
	s_cbranch_execz .LBB138_53
; %bb.44:                               ;   in Loop: Header=BB138_4 Depth=1
	v_cmp_ngt_f64_e64 s7, 0x41d00000, |v[15:16]|
	v_trig_preop_f64 v[29:30], |v[15:16]|, 0
	v_trig_preop_f64 v[27:28], |v[15:16]|, 1
	v_ldexp_f64 v[31:32], |v[15:16]|, 0xffffff80
	v_trig_preop_f64 v[13:14], |v[15:16]|, 2
                                        ; implicit-def: $vgpr46
                                        ; implicit-def: $vgpr5_vgpr6
                                        ; implicit-def: $vgpr7_vgpr8
	s_and_saveexec_b32 s5, s7
	s_delay_alu instid0(SALU_CYCLE_1)
	s_xor_b32 s9, exec_lo, s5
	s_cbranch_execz .LBB138_46
; %bb.45:                               ;   in Loop: Header=BB138_4 Depth=1
	v_cmp_le_f64_e64 s5, 0x7b000000, |v[15:16]|
	s_mov_b32 s20, s22
	s_mov_b32 s27, s25
	s_delay_alu instid0(VALU_DEP_1) | instskip(NEXT) | instid1(VALU_DEP_4)
	v_cndmask_b32_e64 v6, v45, v32, s5
	v_cndmask_b32_e64 v5, v15, v31, s5
	s_delay_alu instid0(VALU_DEP_1) | instskip(SKIP_2) | instid1(VALU_DEP_3)
	v_mul_f64 v[7:8], v[29:30], v[5:6]
	v_mul_f64 v[33:34], v[27:28], v[5:6]
	v_mul_f64 v[54:55], v[13:14], v[5:6]
	v_fma_f64 v[35:36], v[29:30], v[5:6], -v[7:8]
	s_delay_alu instid0(VALU_DEP_3) | instskip(NEXT) | instid1(VALU_DEP_3)
	v_fma_f64 v[56:57], v[27:28], v[5:6], -v[33:34]
	v_fma_f64 v[5:6], v[13:14], v[5:6], -v[54:55]
	s_delay_alu instid0(VALU_DEP_3) | instskip(NEXT) | instid1(VALU_DEP_1)
	v_add_f64 v[46:47], v[33:34], v[35:36]
	v_add_f64 v[48:49], v[46:47], -v[33:34]
	v_add_f64 v[52:53], v[7:8], v[46:47]
	s_delay_alu instid0(VALU_DEP_2) | instskip(SKIP_1) | instid1(VALU_DEP_3)
	v_add_f64 v[50:51], v[46:47], -v[48:49]
	v_add_f64 v[35:36], v[35:36], -v[48:49]
	v_ldexp_f64 v[48:49], v[52:53], -2
	v_add_f64 v[7:8], v[52:53], -v[7:8]
	s_delay_alu instid0(VALU_DEP_4) | instskip(SKIP_1) | instid1(VALU_DEP_4)
	v_add_f64 v[33:34], v[33:34], -v[50:51]
	v_add_f64 v[50:51], v[54:55], v[56:57]
	v_cmp_neq_f64_e64 s5, 0x7ff00000, |v[48:49]|
	s_delay_alu instid0(VALU_DEP_4) | instskip(NEXT) | instid1(VALU_DEP_4)
	v_add_f64 v[7:8], v[46:47], -v[7:8]
	v_add_f64 v[33:34], v[35:36], v[33:34]
	v_fract_f64_e32 v[35:36], v[48:49]
	s_delay_alu instid0(VALU_DEP_2) | instskip(NEXT) | instid1(VALU_DEP_2)
	v_add_f64 v[46:47], v[50:51], v[33:34]
	v_cndmask_b32_e64 v36, 0, v36, s5
	s_delay_alu instid0(VALU_DEP_3) | instskip(NEXT) | instid1(VALU_DEP_1)
	v_cndmask_b32_e64 v35, 0, v35, s5
	v_ldexp_f64 v[35:36], v[35:36], 2
	s_delay_alu instid0(VALU_DEP_4) | instskip(SKIP_1) | instid1(VALU_DEP_2)
	v_add_f64 v[48:49], v[7:8], v[46:47]
	v_add_f64 v[58:59], v[46:47], -v[50:51]
	v_add_f64 v[52:53], v[48:49], v[35:36]
	s_delay_alu instid0(VALU_DEP_2) | instskip(SKIP_2) | instid1(VALU_DEP_4)
	v_add_f64 v[64:65], v[46:47], -v[58:59]
	v_add_f64 v[33:34], v[33:34], -v[58:59]
	;; [unrolled: 1-line block ×3, first 2 shown]
	v_cmp_gt_f64_e64 s5, 0, v[52:53]
	v_add_f64 v[52:53], v[50:51], -v[54:55]
	s_delay_alu instid0(VALU_DEP_3) | instskip(NEXT) | instid1(VALU_DEP_3)
	v_add_f64 v[7:8], v[46:47], -v[7:8]
	v_cndmask_b32_e64 v22, 0, 0x40100000, s5
	s_delay_alu instid0(VALU_DEP_3) | instskip(SKIP_2) | instid1(VALU_DEP_4)
	v_add_f64 v[62:63], v[50:51], -v[52:53]
	v_add_f64 v[52:53], v[56:57], -v[52:53]
	;; [unrolled: 1-line block ×3, first 2 shown]
	v_add_f64 v[35:36], v[35:36], v[21:22]
	s_delay_alu instid0(VALU_DEP_4) | instskip(NEXT) | instid1(VALU_DEP_3)
	v_add_f64 v[56:57], v[54:55], -v[62:63]
	v_add_f64 v[33:34], v[33:34], v[50:51]
	s_delay_alu instid0(VALU_DEP_3) | instskip(NEXT) | instid1(VALU_DEP_3)
	v_add_f64 v[60:61], v[48:49], v[35:36]
	v_add_f64 v[52:53], v[52:53], v[56:57]
	s_delay_alu instid0(VALU_DEP_2) | instskip(NEXT) | instid1(VALU_DEP_2)
	v_cvt_i32_f64_e32 v22, v[60:61]
	v_add_f64 v[33:34], v[52:53], v[33:34]
	s_delay_alu instid0(VALU_DEP_2) | instskip(NEXT) | instid1(VALU_DEP_2)
	v_cvt_f64_i32_e32 v[58:59], v22
	v_add_f64 v[5:6], v[5:6], v[33:34]
	s_delay_alu instid0(VALU_DEP_2) | instskip(NEXT) | instid1(VALU_DEP_2)
	v_add_f64 v[35:36], v[35:36], -v[58:59]
	v_add_f64 v[5:6], v[7:8], v[5:6]
	s_delay_alu instid0(VALU_DEP_2) | instskip(NEXT) | instid1(VALU_DEP_1)
	v_add_f64 v[50:51], v[48:49], v[35:36]
	v_add_f64 v[33:34], v[50:51], -v[35:36]
	v_cmp_le_f64_e64 s5, 0.5, v[50:51]
	s_delay_alu instid0(VALU_DEP_2) | instskip(NEXT) | instid1(VALU_DEP_2)
	v_add_f64 v[7:8], v[48:49], -v[33:34]
	v_add_co_ci_u32_e64 v46, s6, 0, v22, s5
	v_cndmask_b32_e64 v22, 0, 0x3ff00000, s5
	s_delay_alu instid0(VALU_DEP_3) | instskip(NEXT) | instid1(VALU_DEP_2)
	v_add_f64 v[5:6], v[5:6], v[7:8]
	v_add_f64 v[7:8], v[50:51], -v[21:22]
	s_delay_alu instid0(VALU_DEP_1) | instskip(NEXT) | instid1(VALU_DEP_1)
	v_add_f64 v[33:34], v[7:8], v[5:6]
	v_mul_f64 v[35:36], v[33:34], s[20:21]
	v_add_f64 v[7:8], v[33:34], -v[7:8]
	s_delay_alu instid0(VALU_DEP_2) | instskip(NEXT) | instid1(VALU_DEP_2)
	v_fma_f64 v[47:48], v[33:34], s[20:21], -v[35:36]
	v_add_f64 v[5:6], v[5:6], -v[7:8]
	s_delay_alu instid0(VALU_DEP_2) | instskip(NEXT) | instid1(VALU_DEP_1)
	v_fma_f64 v[7:8], v[33:34], s[26:27], v[47:48]
	v_fma_f64 v[7:8], v[5:6], s[20:21], v[7:8]
	s_delay_alu instid0(VALU_DEP_1) | instskip(NEXT) | instid1(VALU_DEP_1)
	v_add_f64 v[5:6], v[35:36], v[7:8]
	v_add_f64 v[33:34], v[5:6], -v[35:36]
	s_delay_alu instid0(VALU_DEP_1)
	v_add_f64 v[7:8], v[7:8], -v[33:34]
	s_and_not1_saveexec_b32 s5, s9
	s_cbranch_execz .LBB138_48
	s_branch .LBB138_47
.LBB138_46:                             ;   in Loop: Header=BB138_4 Depth=1
	s_and_not1_saveexec_b32 s5, s9
	s_cbranch_execz .LBB138_48
.LBB138_47:                             ;   in Loop: Header=BB138_4 Depth=1
	v_mul_f64 v[5:6], |v[15:16]|, s[28:29]
	s_mov_b32 s24, s30
	s_delay_alu instid0(VALU_DEP_1) | instskip(NEXT) | instid1(VALU_DEP_1)
	v_rndne_f64_e32 v[33:34], v[5:6]
	v_fma_f64 v[5:6], v[33:34], s[22:23], |v[15:16]|
	v_mul_f64 v[7:8], v[33:34], s[30:31]
	s_delay_alu instid0(VALU_DEP_2) | instskip(NEXT) | instid1(VALU_DEP_2)
	v_fma_f64 v[46:47], v[33:34], s[30:31], v[5:6]
	v_add_f64 v[35:36], v[5:6], v[7:8]
	s_delay_alu instid0(VALU_DEP_1) | instskip(NEXT) | instid1(VALU_DEP_3)
	v_add_f64 v[5:6], v[5:6], -v[35:36]
	v_add_f64 v[35:36], v[35:36], -v[46:47]
	s_delay_alu instid0(VALU_DEP_2) | instskip(SKIP_1) | instid1(VALU_DEP_2)
	v_add_f64 v[5:6], v[5:6], v[7:8]
	v_fma_f64 v[7:8], v[33:34], s[24:25], v[7:8]
	v_add_f64 v[5:6], v[35:36], v[5:6]
	s_delay_alu instid0(VALU_DEP_1) | instskip(NEXT) | instid1(VALU_DEP_1)
	v_add_f64 v[5:6], v[5:6], -v[7:8]
	v_fma_f64 v[7:8], v[33:34], s[34:35], v[5:6]
	s_delay_alu instid0(VALU_DEP_1) | instskip(NEXT) | instid1(VALU_DEP_1)
	v_add_f64 v[5:6], v[46:47], v[7:8]
	v_add_f64 v[35:36], v[5:6], -v[46:47]
	v_cvt_i32_f64_e32 v46, v[33:34]
	s_delay_alu instid0(VALU_DEP_2)
	v_add_f64 v[7:8], v[7:8], -v[35:36]
.LBB138_48:                             ;   in Loop: Header=BB138_4 Depth=1
	s_or_b32 exec_lo, exec_lo, s5
                                        ; implicit-def: $vgpr47
                                        ; implicit-def: $vgpr33_vgpr34
                                        ; implicit-def: $vgpr35_vgpr36
	s_and_saveexec_b32 s5, s7
	s_delay_alu instid0(SALU_CYCLE_1)
	s_xor_b32 s7, exec_lo, s5
	s_cbranch_execz .LBB138_50
; %bb.49:                               ;   in Loop: Header=BB138_4 Depth=1
	v_cmp_le_f64_e64 s5, 0x7b000000, |v[15:16]|
	s_mov_b32 s20, s22
	s_mov_b32 s27, s25
	s_delay_alu instid0(VALU_DEP_1) | instskip(NEXT) | instid1(VALU_DEP_4)
	v_cndmask_b32_e64 v32, v45, v32, s5
	v_cndmask_b32_e64 v31, v15, v31, s5
	s_delay_alu instid0(VALU_DEP_1) | instskip(SKIP_2) | instid1(VALU_DEP_3)
	v_mul_f64 v[33:34], v[29:30], v[31:32]
	v_mul_f64 v[35:36], v[27:28], v[31:32]
	;; [unrolled: 1-line block ×3, first 2 shown]
	v_fma_f64 v[29:30], v[29:30], v[31:32], -v[33:34]
	s_delay_alu instid0(VALU_DEP_3) | instskip(NEXT) | instid1(VALU_DEP_3)
	v_fma_f64 v[27:28], v[27:28], v[31:32], -v[35:36]
	v_fma_f64 v[13:14], v[13:14], v[31:32], -v[55:56]
	s_delay_alu instid0(VALU_DEP_3) | instskip(NEXT) | instid1(VALU_DEP_1)
	v_add_f64 v[47:48], v[35:36], v[29:30]
	v_add_f64 v[49:50], v[47:48], -v[35:36]
	v_add_f64 v[53:54], v[33:34], v[47:48]
	s_delay_alu instid0(VALU_DEP_2) | instskip(SKIP_1) | instid1(VALU_DEP_3)
	v_add_f64 v[51:52], v[47:48], -v[49:50]
	v_add_f64 v[29:30], v[29:30], -v[49:50]
	v_ldexp_f64 v[49:50], v[53:54], -2
	v_add_f64 v[33:34], v[53:54], -v[33:34]
	s_delay_alu instid0(VALU_DEP_4) | instskip(SKIP_1) | instid1(VALU_DEP_4)
	v_add_f64 v[35:36], v[35:36], -v[51:52]
	v_add_f64 v[51:52], v[55:56], v[27:28]
	v_cmp_neq_f64_e64 s5, 0x7ff00000, |v[49:50]|
	s_delay_alu instid0(VALU_DEP_4) | instskip(NEXT) | instid1(VALU_DEP_4)
	v_add_f64 v[33:34], v[47:48], -v[33:34]
	v_add_f64 v[29:30], v[29:30], v[35:36]
	v_fract_f64_e32 v[35:36], v[49:50]
	s_delay_alu instid0(VALU_DEP_2) | instskip(NEXT) | instid1(VALU_DEP_2)
	v_add_f64 v[47:48], v[51:52], v[29:30]
	v_cndmask_b32_e64 v36, 0, v36, s5
	s_delay_alu instid0(VALU_DEP_3) | instskip(NEXT) | instid1(VALU_DEP_1)
	v_cndmask_b32_e64 v35, 0, v35, s5
	v_ldexp_f64 v[35:36], v[35:36], 2
	s_delay_alu instid0(VALU_DEP_4) | instskip(SKIP_1) | instid1(VALU_DEP_2)
	v_add_f64 v[49:50], v[33:34], v[47:48]
	v_add_f64 v[57:58], v[47:48], -v[51:52]
	v_add_f64 v[53:54], v[49:50], v[35:36]
	s_delay_alu instid0(VALU_DEP_2) | instskip(SKIP_2) | instid1(VALU_DEP_4)
	v_add_f64 v[63:64], v[47:48], -v[57:58]
	v_add_f64 v[29:30], v[29:30], -v[57:58]
	;; [unrolled: 1-line block ×3, first 2 shown]
	v_cmp_gt_f64_e64 s5, 0, v[53:54]
	v_add_f64 v[53:54], v[51:52], -v[55:56]
	s_delay_alu instid0(VALU_DEP_3) | instskip(NEXT) | instid1(VALU_DEP_3)
	v_add_f64 v[31:32], v[47:48], -v[31:32]
	v_cndmask_b32_e64 v22, 0, 0x40100000, s5
	s_delay_alu instid0(VALU_DEP_3) | instskip(SKIP_2) | instid1(VALU_DEP_4)
	v_add_f64 v[61:62], v[51:52], -v[53:54]
	v_add_f64 v[27:28], v[27:28], -v[53:54]
	;; [unrolled: 1-line block ×3, first 2 shown]
	v_add_f64 v[35:36], v[35:36], v[21:22]
	s_delay_alu instid0(VALU_DEP_4) | instskip(NEXT) | instid1(VALU_DEP_3)
	v_add_f64 v[53:54], v[55:56], -v[61:62]
	v_add_f64 v[29:30], v[29:30], v[51:52]
	s_delay_alu instid0(VALU_DEP_3) | instskip(NEXT) | instid1(VALU_DEP_3)
	v_add_f64 v[59:60], v[49:50], v[35:36]
	v_add_f64 v[27:28], v[27:28], v[53:54]
	s_delay_alu instid0(VALU_DEP_2) | instskip(NEXT) | instid1(VALU_DEP_2)
	v_cvt_i32_f64_e32 v22, v[59:60]
	v_add_f64 v[27:28], v[27:28], v[29:30]
	s_delay_alu instid0(VALU_DEP_2) | instskip(NEXT) | instid1(VALU_DEP_2)
	v_cvt_f64_i32_e32 v[57:58], v22
	v_add_f64 v[13:14], v[13:14], v[27:28]
	s_delay_alu instid0(VALU_DEP_2) | instskip(NEXT) | instid1(VALU_DEP_2)
	v_add_f64 v[35:36], v[35:36], -v[57:58]
	v_add_f64 v[13:14], v[31:32], v[13:14]
	s_delay_alu instid0(VALU_DEP_2) | instskip(NEXT) | instid1(VALU_DEP_1)
	v_add_f64 v[29:30], v[49:50], v[35:36]
	v_add_f64 v[27:28], v[29:30], -v[35:36]
	v_cmp_le_f64_e64 s5, 0.5, v[29:30]
	s_delay_alu instid0(VALU_DEP_2) | instskip(NEXT) | instid1(VALU_DEP_2)
	v_add_f64 v[27:28], v[49:50], -v[27:28]
	v_add_co_ci_u32_e64 v47, s6, 0, v22, s5
	v_cndmask_b32_e64 v22, 0, 0x3ff00000, s5
	s_delay_alu instid0(VALU_DEP_3) | instskip(NEXT) | instid1(VALU_DEP_2)
	v_add_f64 v[13:14], v[13:14], v[27:28]
	v_add_f64 v[27:28], v[29:30], -v[21:22]
	s_delay_alu instid0(VALU_DEP_1) | instskip(NEXT) | instid1(VALU_DEP_1)
	v_add_f64 v[29:30], v[27:28], v[13:14]
	v_mul_f64 v[31:32], v[29:30], s[20:21]
	v_add_f64 v[27:28], v[29:30], -v[27:28]
	s_delay_alu instid0(VALU_DEP_2) | instskip(NEXT) | instid1(VALU_DEP_2)
	v_fma_f64 v[33:34], v[29:30], s[20:21], -v[31:32]
	v_add_f64 v[13:14], v[13:14], -v[27:28]
	s_delay_alu instid0(VALU_DEP_2) | instskip(NEXT) | instid1(VALU_DEP_1)
	v_fma_f64 v[27:28], v[29:30], s[26:27], v[33:34]
	v_fma_f64 v[13:14], v[13:14], s[20:21], v[27:28]
	s_delay_alu instid0(VALU_DEP_1) | instskip(NEXT) | instid1(VALU_DEP_1)
	v_add_f64 v[33:34], v[31:32], v[13:14]
	v_add_f64 v[27:28], v[33:34], -v[31:32]
	s_delay_alu instid0(VALU_DEP_1)
	v_add_f64 v[35:36], v[13:14], -v[27:28]
	s_and_not1_saveexec_b32 s5, s7
	s_cbranch_execnz .LBB138_51
	s_branch .LBB138_52
.LBB138_50:                             ;   in Loop: Header=BB138_4 Depth=1
	s_and_not1_saveexec_b32 s5, s7
	s_cbranch_execz .LBB138_52
.LBB138_51:                             ;   in Loop: Header=BB138_4 Depth=1
	v_mul_f64 v[13:14], |v[15:16]|, s[28:29]
	s_mov_b32 s24, s30
	s_delay_alu instid0(VALU_DEP_1) | instskip(NEXT) | instid1(VALU_DEP_1)
	v_rndne_f64_e32 v[13:14], v[13:14]
	v_fma_f64 v[27:28], v[13:14], s[22:23], |v[15:16]|
	v_mul_f64 v[29:30], v[13:14], s[30:31]
	v_cvt_i32_f64_e32 v47, v[13:14]
	s_delay_alu instid0(VALU_DEP_3) | instskip(NEXT) | instid1(VALU_DEP_3)
	v_fma_f64 v[35:36], v[13:14], s[30:31], v[27:28]
	v_add_f64 v[31:32], v[27:28], v[29:30]
	s_delay_alu instid0(VALU_DEP_1) | instskip(NEXT) | instid1(VALU_DEP_3)
	v_add_f64 v[27:28], v[27:28], -v[31:32]
	v_add_f64 v[31:32], v[31:32], -v[35:36]
	s_delay_alu instid0(VALU_DEP_2) | instskip(SKIP_1) | instid1(VALU_DEP_2)
	v_add_f64 v[27:28], v[27:28], v[29:30]
	v_fma_f64 v[29:30], v[13:14], s[24:25], v[29:30]
	v_add_f64 v[27:28], v[31:32], v[27:28]
	s_delay_alu instid0(VALU_DEP_1) | instskip(NEXT) | instid1(VALU_DEP_1)
	v_add_f64 v[27:28], v[27:28], -v[29:30]
	v_fma_f64 v[27:28], v[13:14], s[34:35], v[27:28]
	s_delay_alu instid0(VALU_DEP_1) | instskip(NEXT) | instid1(VALU_DEP_1)
	v_add_f64 v[33:34], v[35:36], v[27:28]
	v_add_f64 v[29:30], v[33:34], -v[35:36]
	s_delay_alu instid0(VALU_DEP_1)
	v_add_f64 v[35:36], v[27:28], -v[29:30]
.LBB138_52:                             ;   in Loop: Header=BB138_4 Depth=1
	s_or_b32 exec_lo, exec_lo, s5
	v_mul_f64 v[13:14], v[5:6], v[5:6]
	v_mul_f64 v[27:28], v[33:34], v[33:34]
	s_delay_alu instid0(VALU_DEP_3) | instskip(NEXT) | instid1(VALU_DEP_4)
	v_mul_f64 v[60:61], v[7:8], 0.5
	v_mul_f64 v[66:67], v[35:36], 0.5
	s_mov_b32 s86, s56
	v_cmp_class_f64_e64 s6, v[15:16], 0x1f8
	v_and_b32_e32 v22, 1, v46
	v_lshlrev_b32_e32 v15, 30, v47
	s_delay_alu instid0(VALU_DEP_2) | instskip(SKIP_1) | instid1(VALU_DEP_3)
	v_cmp_eq_u32_e64 s5, 0, v22
	v_and_b32_e32 v22, 1, v47
	v_xor_b32_e32 v15, v15, v16
	s_delay_alu instid0(VALU_DEP_2) | instskip(NEXT) | instid1(VALU_DEP_2)
	v_cmp_eq_u32_e64 s7, 0, v22
	v_and_b32_e32 v15, 0x80000000, v15
	v_fma_f64 v[29:30], v[13:14], s[74:75], s[72:73]
	v_fma_f64 v[31:32], v[27:28], s[74:75], s[72:73]
	v_mul_f64 v[50:51], v[13:14], 0.5
	v_fma_f64 v[48:49], v[13:14], s[64:65], s[62:63]
	v_fma_f64 v[52:53], v[27:28], s[64:65], s[62:63]
	v_mul_f64 v[54:55], v[27:28], 0.5
	v_mul_f64 v[62:63], v[5:6], -v[13:14]
	v_mul_f64 v[68:69], v[33:34], -v[27:28]
	v_fma_f64 v[29:30], v[13:14], v[29:30], s[76:77]
	v_fma_f64 v[31:32], v[27:28], v[31:32], s[76:77]
	v_add_f64 v[56:57], -v[50:51], 1.0
	v_fma_f64 v[48:49], v[13:14], v[48:49], s[66:67]
	v_fma_f64 v[52:53], v[27:28], v[52:53], s[66:67]
	v_add_f64 v[58:59], -v[54:55], 1.0
	;; [unrolled: 3-line block ×4, first 2 shown]
	v_fma_f64 v[29:30], v[13:14], v[29:30], s[54:55]
	v_fma_f64 v[31:32], v[27:28], v[31:32], s[54:55]
	v_add_f64 v[50:51], v[64:65], -v[50:51]
	v_fma_f64 v[48:49], v[13:14], v[48:49], s[70:71]
	v_fma_f64 v[52:53], v[27:28], v[52:53], s[70:71]
	v_add_f64 v[54:55], v[70:71], -v[54:55]
	v_fma_f64 v[29:30], v[62:63], v[29:30], v[60:61]
	v_fma_f64 v[31:32], v[68:69], v[31:32], v[66:67]
	v_fma_f64 v[50:51], v[5:6], -v[7:8], v[50:51]
	v_mul_f64 v[60:61], v[13:14], v[13:14]
	v_fma_f64 v[48:49], v[13:14], v[48:49], s[56:57]
	v_fma_f64 v[7:8], v[13:14], v[29:30], -v[7:8]
	v_mul_f64 v[13:14], v[27:28], v[27:28]
	v_fma_f64 v[29:30], v[27:28], v[52:53], s[56:57]
	v_fma_f64 v[52:53], v[33:34], -v[35:36], v[54:55]
	v_fma_f64 v[27:28], v[27:28], v[31:32], -v[35:36]
	v_fma_f64 v[31:32], v[60:61], v[48:49], v[50:51]
	v_fma_f64 v[7:8], v[62:63], s[86:87], v[7:8]
	s_delay_alu instid0(VALU_DEP_4) | instskip(NEXT) | instid1(VALU_DEP_4)
	v_fma_f64 v[13:14], v[13:14], v[29:30], v[52:53]
	v_fma_f64 v[27:28], v[68:69], s[86:87], v[27:28]
	s_delay_alu instid0(VALU_DEP_4) | instskip(NEXT) | instid1(VALU_DEP_4)
	v_add_f64 v[29:30], v[56:57], v[31:32]
	v_add_f64 v[5:6], v[5:6], -v[7:8]
	s_delay_alu instid0(VALU_DEP_4) | instskip(NEXT) | instid1(VALU_DEP_4)
	v_add_f64 v[7:8], v[58:59], v[13:14]
	v_add_f64 v[13:14], v[33:34], -v[27:28]
	v_lshlrev_b32_e32 v27, 30, v46
	s_delay_alu instid0(VALU_DEP_1) | instskip(SKIP_3) | instid1(VALU_DEP_3)
	v_and_b32_e32 v16, 0x80000000, v27
	v_xor_b32_e32 v6, 0x80000000, v6
	v_cndmask_b32_e64 v5, v5, v29, s5
	v_cndmask_b32_e64 v8, v8, v14, s7
	;; [unrolled: 1-line block ×4, first 2 shown]
	s_delay_alu instid0(VALU_DEP_4) | instskip(NEXT) | instid1(VALU_DEP_4)
	v_cndmask_b32_e64 v5, 0, v5, s6
	v_xor_b32_e32 v8, v8, v15
	s_delay_alu instid0(VALU_DEP_4) | instskip(NEXT) | instid1(VALU_DEP_4)
	v_xor_b32_e32 v6, v6, v16
	v_cndmask_b32_e64 v7, 0, v7, s6
	s_delay_alu instid0(VALU_DEP_3) | instskip(NEXT) | instid1(VALU_DEP_3)
	v_cndmask_b32_e64 v8, 0x7ff80000, v8, s6
	v_cndmask_b32_e64 v6, 0x7ff80000, v6, s6
.LBB138_53:                             ;   in Loop: Header=BB138_4 Depth=1
	s_or_b32 exec_lo, exec_lo, s8
                                        ; implicit-def: $vgpr13_vgpr14
.LBB138_54:                             ;   in Loop: Header=BB138_4 Depth=1
	s_and_not1_saveexec_b32 s7, s92
	s_cbranch_execz .LBB138_56
; %bb.55:                               ;   in Loop: Header=BB138_4 Depth=1
	v_mul_f64 v[5:6], v[13:14], s[36:37]
	s_mov_b32 s83, s55
	s_mov_b32 s85, s57
	v_cmp_nlt_f64_e64 s5, 0x40900000, v[13:14]
	v_cmp_ngt_f64_e64 s6, 0xc090cc00, v[13:14]
	s_delay_alu instid0(VALU_DEP_3) | instskip(NEXT) | instid1(VALU_DEP_1)
	v_rndne_f64_e32 v[5:6], v[5:6]
	v_fma_f64 v[7:8], v[5:6], s[38:39], v[13:14]
	v_cvt_i32_f64_e32 v22, v[5:6]
	s_delay_alu instid0(VALU_DEP_2) | instskip(NEXT) | instid1(VALU_DEP_1)
	v_fma_f64 v[7:8], v[5:6], s[40:41], v[7:8]
	v_fma_f64 v[27:28], v[7:8], s[44:45], s[42:43]
	s_delay_alu instid0(VALU_DEP_1) | instskip(NEXT) | instid1(VALU_DEP_1)
	v_fma_f64 v[27:28], v[7:8], v[27:28], s[46:47]
	v_fma_f64 v[27:28], v[7:8], v[27:28], s[48:49]
	s_delay_alu instid0(VALU_DEP_1) | instskip(NEXT) | instid1(VALU_DEP_1)
	;; [unrolled: 3-line block ×5, first 2 shown]
	v_fma_f64 v[27:28], v[7:8], v[27:28], 1.0
	v_fma_f64 v[5:6], v[7:8], v[27:28], 1.0
	v_dual_mov_b32 v7, v15 :: v_dual_mov_b32 v8, v16
	s_delay_alu instid0(VALU_DEP_2) | instskip(NEXT) | instid1(VALU_DEP_1)
	v_ldexp_f64 v[5:6], v[5:6], v22
	v_cndmask_b32_e64 v6, 0x7ff00000, v6, s5
	s_and_b32 s5, s6, s5
	s_delay_alu instid0(VALU_DEP_2) | instid1(SALU_CYCLE_1)
	v_cndmask_b32_e64 v5, 0, v5, s5
	s_delay_alu instid0(VALU_DEP_2)
	v_cndmask_b32_e64 v6, 0, v6, s6
.LBB138_56:                             ;   in Loop: Header=BB138_4 Depth=1
	s_or_b32 exec_lo, exec_lo, s7
	v_and_b32_e32 v45, 0x7fffffff, v20
                                        ; implicit-def: $vgpr15_vgpr16
	s_mov_b32 s6, exec_lo
	s_delay_alu instid0(VALU_DEP_1) | instskip(NEXT) | instid1(VALU_DEP_1)
	v_or_b32_e32 v13, v45, v19
	v_cmpx_ne_u32_e32 0, v13
	s_xor_b32 s92, exec_lo, s6
	s_cbranch_execz .LBB138_98
; %bb.57:                               ;   in Loop: Header=BB138_4 Depth=1
	v_and_b32_e32 v22, 0x7fffffff, v18
                                        ; implicit-def: $vgpr15_vgpr16
	s_mov_b32 s6, exec_lo
	s_delay_alu instid0(VALU_DEP_1) | instskip(NEXT) | instid1(VALU_DEP_1)
	v_or_b32_e32 v13, v22, v17
	v_cmpx_ne_u32_e32 0, v13
	s_xor_b32 s93, exec_lo, s6
	s_cbranch_execz .LBB138_87
; %bb.58:                               ;   in Loop: Header=BB138_4 Depth=1
                                        ; implicit-def: $vgpr15_vgpr16
	s_mov_b32 s6, exec_lo
	v_cmpx_gt_u32_e32 0x7ff00000, v45
	s_xor_b32 s94, exec_lo, s6
	s_cbranch_execz .LBB138_80
; %bb.59:                               ;   in Loop: Header=BB138_4 Depth=1
	v_add_nc_u32_e32 v13, 0xbf79d1be, v18
                                        ; implicit-def: $vgpr15_vgpr16
	s_mov_b32 s6, exec_lo
	s_delay_alu instid0(VALU_DEP_1)
	v_cmpx_lt_u32_e32 0x108aa2, v13
	s_xor_b32 s95, exec_lo, s6
	s_cbranch_execz .LBB138_69
; %bb.60:                               ;   in Loop: Header=BB138_4 Depth=1
	v_cmp_ngt_f64_e64 s7, 0x41d00000, |v[19:20]|
                                        ; implicit-def: $vgpr31
                                        ; implicit-def: $vgpr13_vgpr14
                                        ; implicit-def: $vgpr15_vgpr16
	s_delay_alu instid0(VALU_DEP_1) | instskip(NEXT) | instid1(SALU_CYCLE_1)
	s_and_saveexec_b32 s5, s7
	s_xor_b32 s8, exec_lo, s5
	s_cbranch_execz .LBB138_62
; %bb.61:                               ;   in Loop: Header=BB138_4 Depth=1
	v_ldexp_f64 v[13:14], |v[19:20]|, 0xffffff80
	v_cmp_le_f64_e64 s5, 0x7b000000, |v[19:20]|
	v_trig_preop_f64 v[15:16], |v[19:20]|, 0
	v_trig_preop_f64 v[27:28], |v[19:20]|, 1
	;; [unrolled: 1-line block ×3, first 2 shown]
	s_mov_b32 s20, s22
	s_mov_b32 s27, s25
	s_delay_alu instid0(VALU_DEP_4) | instskip(SKIP_1) | instid1(VALU_DEP_1)
	v_cndmask_b32_e64 v14, v45, v14, s5
	v_cndmask_b32_e64 v13, v19, v13, s5
	v_mul_f64 v[29:30], v[15:16], v[13:14]
	v_mul_f64 v[31:32], v[27:28], v[13:14]
	;; [unrolled: 1-line block ×3, first 2 shown]
	s_delay_alu instid0(VALU_DEP_3) | instskip(NEXT) | instid1(VALU_DEP_3)
	v_fma_f64 v[15:16], v[15:16], v[13:14], -v[29:30]
	v_fma_f64 v[27:28], v[27:28], v[13:14], -v[31:32]
	s_delay_alu instid0(VALU_DEP_3) | instskip(NEXT) | instid1(VALU_DEP_3)
	v_fma_f64 v[13:14], v[46:47], v[13:14], -v[52:53]
	v_add_f64 v[33:34], v[31:32], v[15:16]
	s_delay_alu instid0(VALU_DEP_1) | instskip(SKIP_1) | instid1(VALU_DEP_2)
	v_add_f64 v[35:36], v[33:34], -v[31:32]
	v_add_f64 v[50:51], v[29:30], v[33:34]
	v_add_f64 v[48:49], v[33:34], -v[35:36]
	v_add_f64 v[15:16], v[15:16], -v[35:36]
	s_delay_alu instid0(VALU_DEP_3) | instskip(SKIP_1) | instid1(VALU_DEP_4)
	v_ldexp_f64 v[35:36], v[50:51], -2
	v_add_f64 v[29:30], v[50:51], -v[29:30]
	v_add_f64 v[31:32], v[31:32], -v[48:49]
	v_add_f64 v[48:49], v[52:53], v[27:28]
	s_delay_alu instid0(VALU_DEP_4) | instskip(NEXT) | instid1(VALU_DEP_4)
	v_cmp_neq_f64_e64 s5, 0x7ff00000, |v[35:36]|
	v_add_f64 v[29:30], v[33:34], -v[29:30]
	s_delay_alu instid0(VALU_DEP_4) | instskip(SKIP_1) | instid1(VALU_DEP_2)
	v_add_f64 v[15:16], v[15:16], v[31:32]
	v_fract_f64_e32 v[31:32], v[35:36]
	v_add_f64 v[33:34], v[48:49], v[15:16]
	s_delay_alu instid0(VALU_DEP_2) | instskip(NEXT) | instid1(VALU_DEP_3)
	v_cndmask_b32_e64 v32, 0, v32, s5
	v_cndmask_b32_e64 v31, 0, v31, s5
	s_delay_alu instid0(VALU_DEP_1) | instskip(NEXT) | instid1(VALU_DEP_4)
	v_ldexp_f64 v[31:32], v[31:32], 2
	v_add_f64 v[35:36], v[29:30], v[33:34]
	v_add_f64 v[54:55], v[33:34], -v[48:49]
	s_delay_alu instid0(VALU_DEP_2) | instskip(NEXT) | instid1(VALU_DEP_2)
	v_add_f64 v[50:51], v[35:36], v[31:32]
	v_add_f64 v[60:61], v[33:34], -v[54:55]
	v_add_f64 v[15:16], v[15:16], -v[54:55]
	;; [unrolled: 1-line block ×3, first 2 shown]
	s_delay_alu instid0(VALU_DEP_4) | instskip(SKIP_1) | instid1(VALU_DEP_3)
	v_cmp_gt_f64_e64 s5, 0, v[50:51]
	v_add_f64 v[50:51], v[48:49], -v[52:53]
	v_add_f64 v[29:30], v[33:34], -v[29:30]
	s_delay_alu instid0(VALU_DEP_3) | instskip(NEXT) | instid1(VALU_DEP_3)
	v_cndmask_b32_e64 v22, 0, 0x40100000, s5
	v_add_f64 v[58:59], v[48:49], -v[50:51]
	v_add_f64 v[27:28], v[27:28], -v[50:51]
	;; [unrolled: 1-line block ×3, first 2 shown]
	s_delay_alu instid0(VALU_DEP_4) | instskip(NEXT) | instid1(VALU_DEP_4)
	v_add_f64 v[31:32], v[31:32], v[21:22]
	v_add_f64 v[50:51], v[52:53], -v[58:59]
	s_delay_alu instid0(VALU_DEP_3) | instskip(NEXT) | instid1(VALU_DEP_3)
	v_add_f64 v[15:16], v[15:16], v[48:49]
	v_add_f64 v[56:57], v[35:36], v[31:32]
	s_delay_alu instid0(VALU_DEP_3) | instskip(NEXT) | instid1(VALU_DEP_2)
	v_add_f64 v[27:28], v[27:28], v[50:51]
	v_cvt_i32_f64_e32 v22, v[56:57]
	s_delay_alu instid0(VALU_DEP_2) | instskip(NEXT) | instid1(VALU_DEP_2)
	v_add_f64 v[15:16], v[27:28], v[15:16]
	v_cvt_f64_i32_e32 v[54:55], v22
	s_delay_alu instid0(VALU_DEP_2) | instskip(NEXT) | instid1(VALU_DEP_2)
	v_add_f64 v[13:14], v[13:14], v[15:16]
	v_add_f64 v[31:32], v[31:32], -v[54:55]
	s_delay_alu instid0(VALU_DEP_2) | instskip(NEXT) | instid1(VALU_DEP_2)
	v_add_f64 v[13:14], v[29:30], v[13:14]
	v_add_f64 v[27:28], v[35:36], v[31:32]
	s_delay_alu instid0(VALU_DEP_1) | instskip(SKIP_1) | instid1(VALU_DEP_2)
	v_add_f64 v[15:16], v[27:28], -v[31:32]
	v_cmp_le_f64_e64 s5, 0.5, v[27:28]
	v_add_f64 v[15:16], v[35:36], -v[15:16]
	s_delay_alu instid0(VALU_DEP_2) | instskip(SKIP_1) | instid1(VALU_DEP_3)
	v_add_co_ci_u32_e64 v31, s6, 0, v22, s5
	v_cndmask_b32_e64 v22, 0, 0x3ff00000, s5
	v_add_f64 v[13:14], v[13:14], v[15:16]
	s_delay_alu instid0(VALU_DEP_2) | instskip(NEXT) | instid1(VALU_DEP_1)
	v_add_f64 v[15:16], v[27:28], -v[21:22]
	v_add_f64 v[27:28], v[15:16], v[13:14]
	s_delay_alu instid0(VALU_DEP_1) | instskip(SKIP_1) | instid1(VALU_DEP_2)
	v_mul_f64 v[29:30], v[27:28], s[20:21]
	v_add_f64 v[15:16], v[27:28], -v[15:16]
	v_fma_f64 v[32:33], v[27:28], s[20:21], -v[29:30]
	s_delay_alu instid0(VALU_DEP_2) | instskip(NEXT) | instid1(VALU_DEP_2)
	v_add_f64 v[13:14], v[13:14], -v[15:16]
	v_fma_f64 v[15:16], v[27:28], s[26:27], v[32:33]
	s_delay_alu instid0(VALU_DEP_1) | instskip(NEXT) | instid1(VALU_DEP_1)
	v_fma_f64 v[15:16], v[13:14], s[20:21], v[15:16]
	v_add_f64 v[13:14], v[29:30], v[15:16]
	s_delay_alu instid0(VALU_DEP_1) | instskip(NEXT) | instid1(VALU_DEP_1)
	v_add_f64 v[27:28], v[13:14], -v[29:30]
	v_add_f64 v[15:16], v[15:16], -v[27:28]
	s_and_not1_saveexec_b32 s5, s8
	s_cbranch_execz .LBB138_64
	s_branch .LBB138_63
.LBB138_62:                             ;   in Loop: Header=BB138_4 Depth=1
	s_and_not1_saveexec_b32 s5, s8
	s_cbranch_execz .LBB138_64
.LBB138_63:                             ;   in Loop: Header=BB138_4 Depth=1
	v_mul_f64 v[13:14], |v[19:20]|, s[28:29]
	s_mov_b32 s24, s30
	s_delay_alu instid0(VALU_DEP_1) | instskip(NEXT) | instid1(VALU_DEP_1)
	v_rndne_f64_e32 v[27:28], v[13:14]
	v_fma_f64 v[13:14], v[27:28], s[22:23], |v[19:20]|
	v_mul_f64 v[15:16], v[27:28], s[30:31]
	s_delay_alu instid0(VALU_DEP_2) | instskip(NEXT) | instid1(VALU_DEP_2)
	v_fma_f64 v[31:32], v[27:28], s[30:31], v[13:14]
	v_add_f64 v[29:30], v[13:14], v[15:16]
	s_delay_alu instid0(VALU_DEP_1) | instskip(NEXT) | instid1(VALU_DEP_3)
	v_add_f64 v[13:14], v[13:14], -v[29:30]
	v_add_f64 v[29:30], v[29:30], -v[31:32]
	s_delay_alu instid0(VALU_DEP_2) | instskip(SKIP_1) | instid1(VALU_DEP_2)
	v_add_f64 v[13:14], v[13:14], v[15:16]
	v_fma_f64 v[15:16], v[27:28], s[24:25], v[15:16]
	v_add_f64 v[13:14], v[29:30], v[13:14]
	s_delay_alu instid0(VALU_DEP_1) | instskip(NEXT) | instid1(VALU_DEP_1)
	v_add_f64 v[13:14], v[13:14], -v[15:16]
	v_fma_f64 v[15:16], v[27:28], s[34:35], v[13:14]
	s_delay_alu instid0(VALU_DEP_1) | instskip(NEXT) | instid1(VALU_DEP_1)
	v_add_f64 v[13:14], v[31:32], v[15:16]
	v_add_f64 v[29:30], v[13:14], -v[31:32]
	v_cvt_i32_f64_e32 v31, v[27:28]
	s_delay_alu instid0(VALU_DEP_2)
	v_add_f64 v[15:16], v[15:16], -v[29:30]
.LBB138_64:                             ;   in Loop: Header=BB138_4 Depth=1
	s_or_b32 exec_lo, exec_lo, s5
                                        ; implicit-def: $vgpr32
                                        ; implicit-def: $vgpr27_vgpr28
                                        ; implicit-def: $vgpr29_vgpr30
	s_and_saveexec_b32 s5, s7
	s_delay_alu instid0(SALU_CYCLE_1)
	s_xor_b32 s7, exec_lo, s5
	s_cbranch_execz .LBB138_66
; %bb.65:                               ;   in Loop: Header=BB138_4 Depth=1
	v_ldexp_f64 v[27:28], |v[19:20]|, 0xffffff80
	v_cmp_le_f64_e64 s5, 0x7b000000, |v[19:20]|
	v_trig_preop_f64 v[29:30], |v[19:20]|, 0
	v_trig_preop_f64 v[32:33], |v[19:20]|, 1
	;; [unrolled: 1-line block ×3, first 2 shown]
	s_mov_b32 s20, s22
	s_mov_b32 s27, s25
	s_delay_alu instid0(VALU_DEP_4) | instskip(SKIP_1) | instid1(VALU_DEP_1)
	v_cndmask_b32_e64 v28, v45, v28, s5
	v_cndmask_b32_e64 v27, v19, v27, s5
	v_mul_f64 v[34:35], v[29:30], v[27:28]
	v_mul_f64 v[45:46], v[32:33], v[27:28]
	;; [unrolled: 1-line block ×3, first 2 shown]
	s_delay_alu instid0(VALU_DEP_3) | instskip(NEXT) | instid1(VALU_DEP_3)
	v_fma_f64 v[29:30], v[29:30], v[27:28], -v[34:35]
	v_fma_f64 v[32:33], v[32:33], v[27:28], -v[45:46]
	s_delay_alu instid0(VALU_DEP_3) | instskip(NEXT) | instid1(VALU_DEP_3)
	v_fma_f64 v[27:28], v[51:52], v[27:28], -v[57:58]
	v_add_f64 v[47:48], v[45:46], v[29:30]
	s_delay_alu instid0(VALU_DEP_1) | instskip(SKIP_1) | instid1(VALU_DEP_2)
	v_add_f64 v[49:50], v[47:48], -v[45:46]
	v_add_f64 v[55:56], v[34:35], v[47:48]
	v_add_f64 v[53:54], v[47:48], -v[49:50]
	v_add_f64 v[29:30], v[29:30], -v[49:50]
	s_delay_alu instid0(VALU_DEP_3) | instskip(SKIP_1) | instid1(VALU_DEP_4)
	v_ldexp_f64 v[49:50], v[55:56], -2
	v_add_f64 v[34:35], v[55:56], -v[34:35]
	v_add_f64 v[45:46], v[45:46], -v[53:54]
	v_add_f64 v[53:54], v[57:58], v[32:33]
	s_delay_alu instid0(VALU_DEP_4) | instskip(NEXT) | instid1(VALU_DEP_4)
	v_cmp_neq_f64_e64 s5, 0x7ff00000, |v[49:50]|
	v_add_f64 v[34:35], v[47:48], -v[34:35]
	s_delay_alu instid0(VALU_DEP_4) | instskip(SKIP_1) | instid1(VALU_DEP_2)
	v_add_f64 v[29:30], v[29:30], v[45:46]
	v_fract_f64_e32 v[45:46], v[49:50]
	v_add_f64 v[47:48], v[53:54], v[29:30]
	s_delay_alu instid0(VALU_DEP_2) | instskip(NEXT) | instid1(VALU_DEP_3)
	v_cndmask_b32_e64 v46, 0, v46, s5
	v_cndmask_b32_e64 v45, 0, v45, s5
	s_delay_alu instid0(VALU_DEP_1) | instskip(NEXT) | instid1(VALU_DEP_4)
	v_ldexp_f64 v[45:46], v[45:46], 2
	v_add_f64 v[49:50], v[34:35], v[47:48]
	v_add_f64 v[59:60], v[47:48], -v[53:54]
	s_delay_alu instid0(VALU_DEP_2) | instskip(NEXT) | instid1(VALU_DEP_2)
	v_add_f64 v[55:56], v[49:50], v[45:46]
	v_add_f64 v[65:66], v[47:48], -v[59:60]
	v_add_f64 v[29:30], v[29:30], -v[59:60]
	;; [unrolled: 1-line block ×3, first 2 shown]
	s_delay_alu instid0(VALU_DEP_4) | instskip(SKIP_1) | instid1(VALU_DEP_2)
	v_cmp_gt_f64_e64 s5, 0, v[55:56]
	v_add_f64 v[55:56], v[53:54], -v[57:58]
	v_cndmask_b32_e64 v22, 0, 0x40100000, s5
	s_delay_alu instid0(VALU_DEP_2) | instskip(SKIP_2) | instid1(VALU_DEP_4)
	v_add_f64 v[63:64], v[53:54], -v[55:56]
	v_add_f64 v[32:33], v[32:33], -v[55:56]
	;; [unrolled: 1-line block ×3, first 2 shown]
	v_add_f64 v[45:46], v[45:46], v[21:22]
	s_delay_alu instid0(VALU_DEP_4) | instskip(NEXT) | instid1(VALU_DEP_3)
	v_add_f64 v[55:56], v[57:58], -v[63:64]
	v_add_f64 v[29:30], v[29:30], v[53:54]
	s_delay_alu instid0(VALU_DEP_3) | instskip(NEXT) | instid1(VALU_DEP_3)
	v_add_f64 v[61:62], v[49:50], v[45:46]
	v_add_f64 v[32:33], v[32:33], v[55:56]
	s_delay_alu instid0(VALU_DEP_2) | instskip(NEXT) | instid1(VALU_DEP_2)
	v_cvt_i32_f64_e32 v22, v[61:62]
	v_add_f64 v[29:30], v[32:33], v[29:30]
	v_add_f64 v[32:33], v[47:48], -v[34:35]
	s_delay_alu instid0(VALU_DEP_3) | instskip(NEXT) | instid1(VALU_DEP_3)
	v_cvt_f64_i32_e32 v[59:60], v22
	v_add_f64 v[27:28], v[27:28], v[29:30]
	s_delay_alu instid0(VALU_DEP_2) | instskip(NEXT) | instid1(VALU_DEP_2)
	v_add_f64 v[45:46], v[45:46], -v[59:60]
	v_add_f64 v[27:28], v[32:33], v[27:28]
	s_delay_alu instid0(VALU_DEP_2) | instskip(NEXT) | instid1(VALU_DEP_1)
	v_add_f64 v[51:52], v[49:50], v[45:46]
	v_add_f64 v[29:30], v[51:52], -v[45:46]
	v_cmp_le_f64_e64 s5, 0.5, v[51:52]
	s_delay_alu instid0(VALU_DEP_2) | instskip(NEXT) | instid1(VALU_DEP_2)
	v_add_f64 v[29:30], v[49:50], -v[29:30]
	v_add_co_ci_u32_e64 v32, s6, 0, v22, s5
	v_cndmask_b32_e64 v22, 0, 0x3ff00000, s5
	s_delay_alu instid0(VALU_DEP_3) | instskip(NEXT) | instid1(VALU_DEP_2)
	v_add_f64 v[27:28], v[27:28], v[29:30]
	v_add_f64 v[29:30], v[51:52], -v[21:22]
	s_delay_alu instid0(VALU_DEP_1) | instskip(NEXT) | instid1(VALU_DEP_1)
	v_add_f64 v[33:34], v[29:30], v[27:28]
	v_mul_f64 v[35:36], v[33:34], s[20:21]
	v_add_f64 v[29:30], v[33:34], -v[29:30]
	s_delay_alu instid0(VALU_DEP_2) | instskip(NEXT) | instid1(VALU_DEP_2)
	v_fma_f64 v[45:46], v[33:34], s[20:21], -v[35:36]
	v_add_f64 v[27:28], v[27:28], -v[29:30]
	s_delay_alu instid0(VALU_DEP_2) | instskip(NEXT) | instid1(VALU_DEP_1)
	v_fma_f64 v[29:30], v[33:34], s[26:27], v[45:46]
	v_fma_f64 v[29:30], v[27:28], s[20:21], v[29:30]
	s_delay_alu instid0(VALU_DEP_1) | instskip(NEXT) | instid1(VALU_DEP_1)
	v_add_f64 v[27:28], v[35:36], v[29:30]
	v_add_f64 v[33:34], v[27:28], -v[35:36]
	s_delay_alu instid0(VALU_DEP_1)
	v_add_f64 v[29:30], v[29:30], -v[33:34]
	s_and_not1_saveexec_b32 s5, s7
	s_cbranch_execnz .LBB138_67
	s_branch .LBB138_68
.LBB138_66:                             ;   in Loop: Header=BB138_4 Depth=1
	s_and_not1_saveexec_b32 s5, s7
	s_cbranch_execz .LBB138_68
.LBB138_67:                             ;   in Loop: Header=BB138_4 Depth=1
	v_mul_f64 v[27:28], |v[19:20]|, s[28:29]
	s_mov_b32 s24, s30
	s_delay_alu instid0(VALU_DEP_1) | instskip(NEXT) | instid1(VALU_DEP_1)
	v_rndne_f64_e32 v[32:33], v[27:28]
	v_fma_f64 v[27:28], v[32:33], s[22:23], |v[19:20]|
	v_mul_f64 v[29:30], v[32:33], s[30:31]
	s_delay_alu instid0(VALU_DEP_2) | instskip(NEXT) | instid1(VALU_DEP_2)
	v_fma_f64 v[45:46], v[32:33], s[30:31], v[27:28]
	v_add_f64 v[34:35], v[27:28], v[29:30]
	s_delay_alu instid0(VALU_DEP_1) | instskip(NEXT) | instid1(VALU_DEP_3)
	v_add_f64 v[27:28], v[27:28], -v[34:35]
	v_add_f64 v[34:35], v[34:35], -v[45:46]
	s_delay_alu instid0(VALU_DEP_2) | instskip(SKIP_1) | instid1(VALU_DEP_2)
	v_add_f64 v[27:28], v[27:28], v[29:30]
	v_fma_f64 v[29:30], v[32:33], s[24:25], v[29:30]
	v_add_f64 v[27:28], v[34:35], v[27:28]
	s_delay_alu instid0(VALU_DEP_1) | instskip(NEXT) | instid1(VALU_DEP_1)
	v_add_f64 v[27:28], v[27:28], -v[29:30]
	v_fma_f64 v[29:30], v[32:33], s[34:35], v[27:28]
	v_cvt_i32_f64_e32 v32, v[32:33]
	s_delay_alu instid0(VALU_DEP_2) | instskip(NEXT) | instid1(VALU_DEP_1)
	v_add_f64 v[27:28], v[45:46], v[29:30]
	v_add_f64 v[34:35], v[27:28], -v[45:46]
	s_delay_alu instid0(VALU_DEP_1)
	v_add_f64 v[29:30], v[29:30], -v[34:35]
.LBB138_68:                             ;   in Loop: Header=BB138_4 Depth=1
	s_or_b32 exec_lo, exec_lo, s5
	v_mul_f64 v[33:34], v[17:18], s[36:37]
	v_mul_f64 v[47:48], v[13:14], v[13:14]
	;; [unrolled: 1-line block ×3, first 2 shown]
	s_mov_b32 s83, s55
	s_mov_b32 s85, s57
	s_delay_alu instid0(VALU_DEP_4)
	v_mul_f64 v[67:68], v[15:16], 0.5
	v_mul_f64 v[73:74], v[29:30], 0.5
	s_mov_b32 s86, s56
	v_cmp_nlt_f64_e64 s7, 0x40900000, v[17:18]
	v_cmp_ngt_f64_e64 s8, 0xc090cc00, v[17:18]
	v_cmp_class_f64_e64 s6, v[19:20], 0x1f8
	v_rndne_f64_e32 v[33:34], v[33:34]
	v_fma_f64 v[51:52], v[47:48], s[74:75], s[72:73]
	v_fma_f64 v[53:54], v[49:50], s[74:75], s[72:73]
	v_mul_f64 v[57:58], v[47:48], 0.5
	v_fma_f64 v[55:56], v[47:48], s[64:65], s[62:63]
	v_fma_f64 v[59:60], v[49:50], s[64:65], s[62:63]
	v_mul_f64 v[61:62], v[49:50], 0.5
	v_mul_f64 v[69:70], v[13:14], -v[47:48]
	v_mul_f64 v[75:76], v[27:28], -v[49:50]
	v_fma_f64 v[35:36], v[33:34], s[38:39], v[17:18]
	v_fma_f64 v[51:52], v[47:48], v[51:52], s[76:77]
	;; [unrolled: 1-line block ×3, first 2 shown]
	v_add_f64 v[63:64], -v[57:58], 1.0
	v_fma_f64 v[55:56], v[47:48], v[55:56], s[66:67]
	v_fma_f64 v[59:60], v[49:50], v[59:60], s[66:67]
	v_add_f64 v[65:66], -v[61:62], 1.0
	v_cvt_i32_f64_e32 v22, v[33:34]
	v_and_b32_e32 v18, 1, v32
	v_lshlrev_b32_e32 v17, 30, v31
	s_delay_alu instid0(VALU_DEP_2) | instskip(NEXT) | instid1(VALU_DEP_2)
	v_cmp_eq_u32_e64 s9, 0, v18
	v_and_b32_e32 v17, 0x80000000, v17
	v_fma_f64 v[35:36], v[33:34], s[40:41], v[35:36]
	v_fma_f64 v[51:52], v[47:48], v[51:52], s[78:79]
	v_fma_f64 v[53:54], v[49:50], v[53:54], s[78:79]
	v_add_f64 v[71:72], -v[63:64], 1.0
	v_fma_f64 v[55:56], v[47:48], v[55:56], s[68:69]
	v_fma_f64 v[59:60], v[49:50], v[59:60], s[68:69]
	v_add_f64 v[77:78], -v[65:66], 1.0
	v_fma_f64 v[45:46], v[35:36], s[44:45], s[42:43]
	v_fma_f64 v[51:52], v[47:48], v[51:52], s[54:55]
	;; [unrolled: 1-line block ×3, first 2 shown]
	v_add_f64 v[57:58], v[71:72], -v[57:58]
	v_fma_f64 v[55:56], v[47:48], v[55:56], s[70:71]
	v_fma_f64 v[59:60], v[49:50], v[59:60], s[70:71]
	v_add_f64 v[61:62], v[77:78], -v[61:62]
	v_fma_f64 v[45:46], v[35:36], v[45:46], s[46:47]
	v_fma_f64 v[51:52], v[69:70], v[51:52], v[67:68]
	v_fma_f64 v[53:54], v[75:76], v[53:54], v[73:74]
	v_fma_f64 v[57:58], v[13:14], -v[15:16], v[57:58]
	v_mul_f64 v[67:68], v[47:48], v[47:48]
	v_fma_f64 v[55:56], v[47:48], v[55:56], s[56:57]
	v_fma_f64 v[45:46], v[35:36], v[45:46], s[48:49]
	v_fma_f64 v[15:16], v[47:48], v[51:52], -v[15:16]
	v_mul_f64 v[47:48], v[49:50], v[49:50]
	v_fma_f64 v[51:52], v[49:50], v[59:60], s[56:57]
	v_fma_f64 v[59:60], v[27:28], -v[29:30], v[61:62]
	v_fma_f64 v[29:30], v[49:50], v[53:54], -v[29:30]
	v_fma_f64 v[49:50], v[67:68], v[55:56], v[57:58]
	v_fma_f64 v[45:46], v[35:36], v[45:46], s[50:51]
	;; [unrolled: 1-line block ×3, first 2 shown]
	s_delay_alu instid0(VALU_DEP_4) | instskip(NEXT) | instid1(VALU_DEP_3)
	v_fma_f64 v[29:30], v[75:76], s[86:87], v[29:30]
	v_fma_f64 v[45:46], v[35:36], v[45:46], s[52:53]
	s_delay_alu instid0(VALU_DEP_3) | instskip(NEXT) | instid1(VALU_DEP_3)
	v_add_f64 v[13:14], v[13:14], -v[15:16]
	v_add_f64 v[27:28], v[27:28], -v[29:30]
	s_delay_alu instid0(VALU_DEP_3) | instskip(NEXT) | instid1(VALU_DEP_3)
	v_fma_f64 v[45:46], v[35:36], v[45:46], s[82:83]
	v_xor_b32_e32 v14, 0x80000000, v14
	s_delay_alu instid0(VALU_DEP_2) | instskip(NEXT) | instid1(VALU_DEP_1)
	v_fma_f64 v[45:46], v[35:36], v[45:46], s[84:85]
	v_fma_f64 v[45:46], v[35:36], v[45:46], s[58:59]
	s_delay_alu instid0(VALU_DEP_1) | instskip(NEXT) | instid1(VALU_DEP_1)
	v_fma_f64 v[45:46], v[35:36], v[45:46], s[60:61]
	v_fma_f64 v[45:46], v[35:36], v[45:46], 1.0
	s_delay_alu instid0(VALU_DEP_1) | instskip(SKIP_2) | instid1(VALU_DEP_3)
	v_fma_f64 v[33:34], v[35:36], v[45:46], 1.0
	v_fma_f64 v[35:36], v[47:48], v[51:52], v[59:60]
	v_add_f64 v[45:46], v[63:64], v[49:50]
	v_ldexp_f64 v[15:16], v[33:34], v22
	s_delay_alu instid0(VALU_DEP_3) | instskip(SKIP_1) | instid1(VALU_DEP_1)
	v_add_f64 v[33:34], v[65:66], v[35:36]
	v_and_b32_e32 v22, 1, v31
	v_cmp_eq_u32_e64 s5, 0, v22
	s_delay_alu instid0(VALU_DEP_1) | instskip(SKIP_2) | instid1(VALU_DEP_2)
	v_cndmask_b32_e64 v14, v14, v46, s5
	v_cndmask_b32_e64 v13, v13, v45, s5
	s_and_b32 s5, s8, s7
                                        ; implicit-def: $vgpr45
	v_xor_b32_e32 v14, v14, v17
	s_delay_alu instid0(VALU_DEP_2) | instskip(NEXT) | instid1(VALU_DEP_2)
	v_cndmask_b32_e64 v13, 0, v13, s6
	v_cndmask_b32_e64 v14, 0x7ff80000, v14, s6
	;; [unrolled: 1-line block ×3, first 2 shown]
	v_lshlrev_b32_e32 v16, 30, v32
	v_cndmask_b32_e64 v18, v33, v27, s9
	s_delay_alu instid0(VALU_DEP_3) | instskip(NEXT) | instid1(VALU_DEP_3)
	v_cndmask_b32_e64 v19, 0, v19, s8
	v_xor_b32_e32 v16, v16, v20
	v_cndmask_b32_e64 v20, v34, v28, s9
	s_delay_alu instid0(VALU_DEP_2) | instskip(NEXT) | instid1(VALU_DEP_1)
	v_and_b32_e32 v16, 0x80000000, v16
	v_xor_b32_e32 v17, v20, v16
	v_cndmask_b32_e64 v16, 0, v18, s6
	v_cndmask_b32_e64 v18, 0, v15, s5
	s_delay_alu instid0(VALU_DEP_3) | instskip(NEXT) | instid1(VALU_DEP_2)
	v_cndmask_b32_e64 v17, 0x7ff80000, v17, s6
	v_mul_f64 v[13:14], v[18:19], v[13:14]
	s_delay_alu instid0(VALU_DEP_2)
	v_mul_f64 v[15:16], v[18:19], v[16:17]
                                        ; implicit-def: $vgpr19_vgpr20
.LBB138_69:                             ;   in Loop: Header=BB138_4 Depth=1
	s_and_not1_saveexec_b32 s95, s95
	s_cbranch_execz .LBB138_79
; %bb.70:                               ;   in Loop: Header=BB138_4 Depth=1
	v_cmp_ngt_f64_e64 s7, 0x41d00000, |v[19:20]|
                                        ; implicit-def: $vgpr31
                                        ; implicit-def: $vgpr13_vgpr14
                                        ; implicit-def: $vgpr15_vgpr16
	s_delay_alu instid0(VALU_DEP_1) | instskip(NEXT) | instid1(SALU_CYCLE_1)
	s_and_saveexec_b32 s5, s7
	s_xor_b32 s8, exec_lo, s5
	s_cbranch_execz .LBB138_72
; %bb.71:                               ;   in Loop: Header=BB138_4 Depth=1
	v_ldexp_f64 v[13:14], |v[19:20]|, 0xffffff80
	v_cmp_le_f64_e64 s5, 0x7b000000, |v[19:20]|
	v_trig_preop_f64 v[15:16], |v[19:20]|, 0
	v_trig_preop_f64 v[27:28], |v[19:20]|, 1
	;; [unrolled: 1-line block ×3, first 2 shown]
	s_mov_b32 s20, s22
	s_mov_b32 s27, s25
	s_delay_alu instid0(VALU_DEP_4) | instskip(SKIP_1) | instid1(VALU_DEP_1)
	v_cndmask_b32_e64 v14, v45, v14, s5
	v_cndmask_b32_e64 v13, v19, v13, s5
	v_mul_f64 v[29:30], v[15:16], v[13:14]
	v_mul_f64 v[31:32], v[27:28], v[13:14]
	;; [unrolled: 1-line block ×3, first 2 shown]
	s_delay_alu instid0(VALU_DEP_3) | instskip(NEXT) | instid1(VALU_DEP_3)
	v_fma_f64 v[15:16], v[15:16], v[13:14], -v[29:30]
	v_fma_f64 v[27:28], v[27:28], v[13:14], -v[31:32]
	s_delay_alu instid0(VALU_DEP_3) | instskip(NEXT) | instid1(VALU_DEP_3)
	v_fma_f64 v[13:14], v[46:47], v[13:14], -v[52:53]
	v_add_f64 v[33:34], v[31:32], v[15:16]
	s_delay_alu instid0(VALU_DEP_1) | instskip(SKIP_1) | instid1(VALU_DEP_2)
	v_add_f64 v[35:36], v[33:34], -v[31:32]
	v_add_f64 v[50:51], v[29:30], v[33:34]
	v_add_f64 v[48:49], v[33:34], -v[35:36]
	v_add_f64 v[15:16], v[15:16], -v[35:36]
	s_delay_alu instid0(VALU_DEP_3) | instskip(SKIP_1) | instid1(VALU_DEP_4)
	v_ldexp_f64 v[35:36], v[50:51], -2
	v_add_f64 v[29:30], v[50:51], -v[29:30]
	v_add_f64 v[31:32], v[31:32], -v[48:49]
	v_add_f64 v[48:49], v[52:53], v[27:28]
	s_delay_alu instid0(VALU_DEP_4) | instskip(NEXT) | instid1(VALU_DEP_4)
	v_cmp_neq_f64_e64 s5, 0x7ff00000, |v[35:36]|
	v_add_f64 v[29:30], v[33:34], -v[29:30]
	s_delay_alu instid0(VALU_DEP_4) | instskip(SKIP_1) | instid1(VALU_DEP_2)
	v_add_f64 v[15:16], v[15:16], v[31:32]
	v_fract_f64_e32 v[31:32], v[35:36]
	v_add_f64 v[33:34], v[48:49], v[15:16]
	s_delay_alu instid0(VALU_DEP_2) | instskip(NEXT) | instid1(VALU_DEP_3)
	v_cndmask_b32_e64 v32, 0, v32, s5
	v_cndmask_b32_e64 v31, 0, v31, s5
	s_delay_alu instid0(VALU_DEP_1) | instskip(NEXT) | instid1(VALU_DEP_4)
	v_ldexp_f64 v[31:32], v[31:32], 2
	v_add_f64 v[35:36], v[29:30], v[33:34]
	v_add_f64 v[54:55], v[33:34], -v[48:49]
	s_delay_alu instid0(VALU_DEP_2) | instskip(NEXT) | instid1(VALU_DEP_2)
	v_add_f64 v[50:51], v[35:36], v[31:32]
	v_add_f64 v[60:61], v[33:34], -v[54:55]
	v_add_f64 v[15:16], v[15:16], -v[54:55]
	;; [unrolled: 1-line block ×3, first 2 shown]
	s_delay_alu instid0(VALU_DEP_4) | instskip(SKIP_1) | instid1(VALU_DEP_3)
	v_cmp_gt_f64_e64 s5, 0, v[50:51]
	v_add_f64 v[50:51], v[48:49], -v[52:53]
	v_add_f64 v[29:30], v[33:34], -v[29:30]
	s_delay_alu instid0(VALU_DEP_3) | instskip(NEXT) | instid1(VALU_DEP_3)
	v_cndmask_b32_e64 v22, 0, 0x40100000, s5
	v_add_f64 v[58:59], v[48:49], -v[50:51]
	v_add_f64 v[27:28], v[27:28], -v[50:51]
	;; [unrolled: 1-line block ×3, first 2 shown]
	s_delay_alu instid0(VALU_DEP_4) | instskip(NEXT) | instid1(VALU_DEP_4)
	v_add_f64 v[31:32], v[31:32], v[21:22]
	v_add_f64 v[50:51], v[52:53], -v[58:59]
	s_delay_alu instid0(VALU_DEP_3) | instskip(NEXT) | instid1(VALU_DEP_3)
	v_add_f64 v[15:16], v[15:16], v[48:49]
	v_add_f64 v[56:57], v[35:36], v[31:32]
	s_delay_alu instid0(VALU_DEP_3) | instskip(NEXT) | instid1(VALU_DEP_2)
	v_add_f64 v[27:28], v[27:28], v[50:51]
	v_cvt_i32_f64_e32 v22, v[56:57]
	s_delay_alu instid0(VALU_DEP_2) | instskip(NEXT) | instid1(VALU_DEP_2)
	v_add_f64 v[15:16], v[27:28], v[15:16]
	v_cvt_f64_i32_e32 v[54:55], v22
	s_delay_alu instid0(VALU_DEP_2) | instskip(NEXT) | instid1(VALU_DEP_2)
	v_add_f64 v[13:14], v[13:14], v[15:16]
	v_add_f64 v[31:32], v[31:32], -v[54:55]
	s_delay_alu instid0(VALU_DEP_2) | instskip(NEXT) | instid1(VALU_DEP_2)
	v_add_f64 v[13:14], v[29:30], v[13:14]
	v_add_f64 v[27:28], v[35:36], v[31:32]
	s_delay_alu instid0(VALU_DEP_1) | instskip(SKIP_1) | instid1(VALU_DEP_2)
	v_add_f64 v[15:16], v[27:28], -v[31:32]
	v_cmp_le_f64_e64 s5, 0.5, v[27:28]
	v_add_f64 v[15:16], v[35:36], -v[15:16]
	s_delay_alu instid0(VALU_DEP_2) | instskip(SKIP_1) | instid1(VALU_DEP_3)
	v_add_co_ci_u32_e64 v31, s6, 0, v22, s5
	v_cndmask_b32_e64 v22, 0, 0x3ff00000, s5
	v_add_f64 v[13:14], v[13:14], v[15:16]
	s_delay_alu instid0(VALU_DEP_2) | instskip(NEXT) | instid1(VALU_DEP_1)
	v_add_f64 v[15:16], v[27:28], -v[21:22]
	v_add_f64 v[27:28], v[15:16], v[13:14]
	s_delay_alu instid0(VALU_DEP_1) | instskip(SKIP_1) | instid1(VALU_DEP_2)
	v_mul_f64 v[29:30], v[27:28], s[20:21]
	v_add_f64 v[15:16], v[27:28], -v[15:16]
	v_fma_f64 v[32:33], v[27:28], s[20:21], -v[29:30]
	s_delay_alu instid0(VALU_DEP_2) | instskip(NEXT) | instid1(VALU_DEP_2)
	v_add_f64 v[13:14], v[13:14], -v[15:16]
	v_fma_f64 v[15:16], v[27:28], s[26:27], v[32:33]
	s_delay_alu instid0(VALU_DEP_1) | instskip(NEXT) | instid1(VALU_DEP_1)
	v_fma_f64 v[15:16], v[13:14], s[20:21], v[15:16]
	v_add_f64 v[13:14], v[29:30], v[15:16]
	s_delay_alu instid0(VALU_DEP_1) | instskip(NEXT) | instid1(VALU_DEP_1)
	v_add_f64 v[27:28], v[13:14], -v[29:30]
	v_add_f64 v[15:16], v[15:16], -v[27:28]
	s_and_not1_saveexec_b32 s5, s8
	s_cbranch_execz .LBB138_74
	s_branch .LBB138_73
.LBB138_72:                             ;   in Loop: Header=BB138_4 Depth=1
	s_and_not1_saveexec_b32 s5, s8
	s_cbranch_execz .LBB138_74
.LBB138_73:                             ;   in Loop: Header=BB138_4 Depth=1
	v_mul_f64 v[13:14], |v[19:20]|, s[28:29]
	s_mov_b32 s24, s30
	s_delay_alu instid0(VALU_DEP_1) | instskip(NEXT) | instid1(VALU_DEP_1)
	v_rndne_f64_e32 v[27:28], v[13:14]
	v_fma_f64 v[13:14], v[27:28], s[22:23], |v[19:20]|
	v_mul_f64 v[15:16], v[27:28], s[30:31]
	s_delay_alu instid0(VALU_DEP_2) | instskip(NEXT) | instid1(VALU_DEP_2)
	v_fma_f64 v[31:32], v[27:28], s[30:31], v[13:14]
	v_add_f64 v[29:30], v[13:14], v[15:16]
	s_delay_alu instid0(VALU_DEP_1) | instskip(NEXT) | instid1(VALU_DEP_3)
	v_add_f64 v[13:14], v[13:14], -v[29:30]
	v_add_f64 v[29:30], v[29:30], -v[31:32]
	s_delay_alu instid0(VALU_DEP_2) | instskip(SKIP_1) | instid1(VALU_DEP_2)
	v_add_f64 v[13:14], v[13:14], v[15:16]
	v_fma_f64 v[15:16], v[27:28], s[24:25], v[15:16]
	v_add_f64 v[13:14], v[29:30], v[13:14]
	s_delay_alu instid0(VALU_DEP_1) | instskip(NEXT) | instid1(VALU_DEP_1)
	v_add_f64 v[13:14], v[13:14], -v[15:16]
	v_fma_f64 v[15:16], v[27:28], s[34:35], v[13:14]
	s_delay_alu instid0(VALU_DEP_1) | instskip(NEXT) | instid1(VALU_DEP_1)
	v_add_f64 v[13:14], v[31:32], v[15:16]
	v_add_f64 v[29:30], v[13:14], -v[31:32]
	v_cvt_i32_f64_e32 v31, v[27:28]
	s_delay_alu instid0(VALU_DEP_2)
	v_add_f64 v[15:16], v[15:16], -v[29:30]
.LBB138_74:                             ;   in Loop: Header=BB138_4 Depth=1
	s_or_b32 exec_lo, exec_lo, s5
                                        ; implicit-def: $vgpr32
                                        ; implicit-def: $vgpr27_vgpr28
                                        ; implicit-def: $vgpr29_vgpr30
	s_and_saveexec_b32 s5, s7
	s_delay_alu instid0(SALU_CYCLE_1)
	s_xor_b32 s7, exec_lo, s5
	s_cbranch_execz .LBB138_76
; %bb.75:                               ;   in Loop: Header=BB138_4 Depth=1
	v_ldexp_f64 v[27:28], |v[19:20]|, 0xffffff80
	v_cmp_le_f64_e64 s5, 0x7b000000, |v[19:20]|
	v_trig_preop_f64 v[29:30], |v[19:20]|, 0
	v_trig_preop_f64 v[32:33], |v[19:20]|, 1
	;; [unrolled: 1-line block ×3, first 2 shown]
	s_mov_b32 s20, s22
	s_mov_b32 s27, s25
	s_delay_alu instid0(VALU_DEP_4) | instskip(SKIP_1) | instid1(VALU_DEP_1)
	v_cndmask_b32_e64 v28, v45, v28, s5
	v_cndmask_b32_e64 v27, v19, v27, s5
	v_mul_f64 v[34:35], v[29:30], v[27:28]
	v_mul_f64 v[45:46], v[32:33], v[27:28]
	v_mul_f64 v[57:58], v[51:52], v[27:28]
	s_delay_alu instid0(VALU_DEP_3) | instskip(NEXT) | instid1(VALU_DEP_3)
	v_fma_f64 v[29:30], v[29:30], v[27:28], -v[34:35]
	v_fma_f64 v[32:33], v[32:33], v[27:28], -v[45:46]
	s_delay_alu instid0(VALU_DEP_3) | instskip(NEXT) | instid1(VALU_DEP_3)
	v_fma_f64 v[27:28], v[51:52], v[27:28], -v[57:58]
	v_add_f64 v[47:48], v[45:46], v[29:30]
	s_delay_alu instid0(VALU_DEP_1) | instskip(SKIP_1) | instid1(VALU_DEP_2)
	v_add_f64 v[49:50], v[47:48], -v[45:46]
	v_add_f64 v[55:56], v[34:35], v[47:48]
	v_add_f64 v[53:54], v[47:48], -v[49:50]
	v_add_f64 v[29:30], v[29:30], -v[49:50]
	s_delay_alu instid0(VALU_DEP_3) | instskip(SKIP_1) | instid1(VALU_DEP_4)
	v_ldexp_f64 v[49:50], v[55:56], -2
	v_add_f64 v[34:35], v[55:56], -v[34:35]
	v_add_f64 v[45:46], v[45:46], -v[53:54]
	v_add_f64 v[53:54], v[57:58], v[32:33]
	s_delay_alu instid0(VALU_DEP_4) | instskip(NEXT) | instid1(VALU_DEP_4)
	v_cmp_neq_f64_e64 s5, 0x7ff00000, |v[49:50]|
	v_add_f64 v[34:35], v[47:48], -v[34:35]
	s_delay_alu instid0(VALU_DEP_4) | instskip(SKIP_1) | instid1(VALU_DEP_2)
	v_add_f64 v[29:30], v[29:30], v[45:46]
	v_fract_f64_e32 v[45:46], v[49:50]
	v_add_f64 v[47:48], v[53:54], v[29:30]
	s_delay_alu instid0(VALU_DEP_2) | instskip(NEXT) | instid1(VALU_DEP_3)
	v_cndmask_b32_e64 v46, 0, v46, s5
	v_cndmask_b32_e64 v45, 0, v45, s5
	s_delay_alu instid0(VALU_DEP_1) | instskip(NEXT) | instid1(VALU_DEP_4)
	v_ldexp_f64 v[45:46], v[45:46], 2
	v_add_f64 v[49:50], v[34:35], v[47:48]
	v_add_f64 v[59:60], v[47:48], -v[53:54]
	s_delay_alu instid0(VALU_DEP_2) | instskip(NEXT) | instid1(VALU_DEP_2)
	v_add_f64 v[55:56], v[49:50], v[45:46]
	v_add_f64 v[65:66], v[47:48], -v[59:60]
	v_add_f64 v[29:30], v[29:30], -v[59:60]
	v_add_f64 v[34:35], v[49:50], -v[34:35]
	s_delay_alu instid0(VALU_DEP_4) | instskip(SKIP_1) | instid1(VALU_DEP_2)
	v_cmp_gt_f64_e64 s5, 0, v[55:56]
	v_add_f64 v[55:56], v[53:54], -v[57:58]
	v_cndmask_b32_e64 v22, 0, 0x40100000, s5
	s_delay_alu instid0(VALU_DEP_2) | instskip(SKIP_2) | instid1(VALU_DEP_4)
	v_add_f64 v[63:64], v[53:54], -v[55:56]
	v_add_f64 v[32:33], v[32:33], -v[55:56]
	v_add_f64 v[53:54], v[53:54], -v[65:66]
	v_add_f64 v[45:46], v[45:46], v[21:22]
	s_delay_alu instid0(VALU_DEP_4) | instskip(NEXT) | instid1(VALU_DEP_3)
	v_add_f64 v[55:56], v[57:58], -v[63:64]
	v_add_f64 v[29:30], v[29:30], v[53:54]
	s_delay_alu instid0(VALU_DEP_3) | instskip(NEXT) | instid1(VALU_DEP_3)
	v_add_f64 v[61:62], v[49:50], v[45:46]
	v_add_f64 v[32:33], v[32:33], v[55:56]
	s_delay_alu instid0(VALU_DEP_2) | instskip(NEXT) | instid1(VALU_DEP_2)
	v_cvt_i32_f64_e32 v22, v[61:62]
	v_add_f64 v[29:30], v[32:33], v[29:30]
	v_add_f64 v[32:33], v[47:48], -v[34:35]
	s_delay_alu instid0(VALU_DEP_3) | instskip(NEXT) | instid1(VALU_DEP_3)
	v_cvt_f64_i32_e32 v[59:60], v22
	v_add_f64 v[27:28], v[27:28], v[29:30]
	s_delay_alu instid0(VALU_DEP_2) | instskip(NEXT) | instid1(VALU_DEP_2)
	v_add_f64 v[45:46], v[45:46], -v[59:60]
	v_add_f64 v[27:28], v[32:33], v[27:28]
	s_delay_alu instid0(VALU_DEP_2) | instskip(NEXT) | instid1(VALU_DEP_1)
	v_add_f64 v[51:52], v[49:50], v[45:46]
	v_add_f64 v[29:30], v[51:52], -v[45:46]
	v_cmp_le_f64_e64 s5, 0.5, v[51:52]
	s_delay_alu instid0(VALU_DEP_2) | instskip(NEXT) | instid1(VALU_DEP_2)
	v_add_f64 v[29:30], v[49:50], -v[29:30]
	v_add_co_ci_u32_e64 v32, s6, 0, v22, s5
	v_cndmask_b32_e64 v22, 0, 0x3ff00000, s5
	s_delay_alu instid0(VALU_DEP_3) | instskip(NEXT) | instid1(VALU_DEP_2)
	v_add_f64 v[27:28], v[27:28], v[29:30]
	v_add_f64 v[29:30], v[51:52], -v[21:22]
	s_delay_alu instid0(VALU_DEP_1) | instskip(NEXT) | instid1(VALU_DEP_1)
	v_add_f64 v[33:34], v[29:30], v[27:28]
	v_mul_f64 v[35:36], v[33:34], s[20:21]
	v_add_f64 v[29:30], v[33:34], -v[29:30]
	s_delay_alu instid0(VALU_DEP_2) | instskip(NEXT) | instid1(VALU_DEP_2)
	v_fma_f64 v[45:46], v[33:34], s[20:21], -v[35:36]
	v_add_f64 v[27:28], v[27:28], -v[29:30]
	s_delay_alu instid0(VALU_DEP_2) | instskip(NEXT) | instid1(VALU_DEP_1)
	v_fma_f64 v[29:30], v[33:34], s[26:27], v[45:46]
	v_fma_f64 v[29:30], v[27:28], s[20:21], v[29:30]
	s_delay_alu instid0(VALU_DEP_1) | instskip(NEXT) | instid1(VALU_DEP_1)
	v_add_f64 v[27:28], v[35:36], v[29:30]
	v_add_f64 v[33:34], v[27:28], -v[35:36]
	s_delay_alu instid0(VALU_DEP_1)
	v_add_f64 v[29:30], v[29:30], -v[33:34]
	s_and_not1_saveexec_b32 s5, s7
	s_cbranch_execnz .LBB138_77
	s_branch .LBB138_78
.LBB138_76:                             ;   in Loop: Header=BB138_4 Depth=1
	s_and_not1_saveexec_b32 s5, s7
	s_cbranch_execz .LBB138_78
.LBB138_77:                             ;   in Loop: Header=BB138_4 Depth=1
	v_mul_f64 v[27:28], |v[19:20]|, s[28:29]
	s_mov_b32 s24, s30
	s_delay_alu instid0(VALU_DEP_1) | instskip(NEXT) | instid1(VALU_DEP_1)
	v_rndne_f64_e32 v[32:33], v[27:28]
	v_fma_f64 v[27:28], v[32:33], s[22:23], |v[19:20]|
	v_mul_f64 v[29:30], v[32:33], s[30:31]
	s_delay_alu instid0(VALU_DEP_2) | instskip(NEXT) | instid1(VALU_DEP_2)
	v_fma_f64 v[45:46], v[32:33], s[30:31], v[27:28]
	v_add_f64 v[34:35], v[27:28], v[29:30]
	s_delay_alu instid0(VALU_DEP_1) | instskip(NEXT) | instid1(VALU_DEP_3)
	v_add_f64 v[27:28], v[27:28], -v[34:35]
	v_add_f64 v[34:35], v[34:35], -v[45:46]
	s_delay_alu instid0(VALU_DEP_2) | instskip(SKIP_1) | instid1(VALU_DEP_2)
	v_add_f64 v[27:28], v[27:28], v[29:30]
	v_fma_f64 v[29:30], v[32:33], s[24:25], v[29:30]
	v_add_f64 v[27:28], v[34:35], v[27:28]
	s_delay_alu instid0(VALU_DEP_1) | instskip(NEXT) | instid1(VALU_DEP_1)
	v_add_f64 v[27:28], v[27:28], -v[29:30]
	v_fma_f64 v[29:30], v[32:33], s[34:35], v[27:28]
	v_cvt_i32_f64_e32 v32, v[32:33]
	s_delay_alu instid0(VALU_DEP_2) | instskip(NEXT) | instid1(VALU_DEP_1)
	v_add_f64 v[27:28], v[45:46], v[29:30]
	v_add_f64 v[34:35], v[27:28], -v[45:46]
	s_delay_alu instid0(VALU_DEP_1)
	v_add_f64 v[29:30], v[29:30], -v[34:35]
.LBB138_78:                             ;   in Loop: Header=BB138_4 Depth=1
	s_or_b32 exec_lo, exec_lo, s5
	v_add_f64 v[17:18], v[17:18], s[80:81]
	s_delay_alu instid0(VALU_DEP_4) | instskip(SKIP_3) | instid1(VALU_DEP_4)
	v_mul_f64 v[47:48], v[13:14], v[13:14]
	v_mul_f64 v[49:50], v[27:28], v[27:28]
	s_mov_b32 s83, s55
	s_mov_b32 s85, s57
	v_mul_f64 v[67:68], v[15:16], 0.5
	v_mul_f64 v[73:74], v[29:30], 0.5
	s_mov_b32 s86, s56
	v_cmp_class_f64_e64 s6, v[19:20], 0x1f8
	v_and_b32_e32 v19, 1, v32
	s_delay_alu instid0(VALU_DEP_1)
	v_cmp_eq_u32_e64 s9, 0, v19
	v_mul_f64 v[33:34], v[17:18], s[36:37]
	v_fma_f64 v[51:52], v[47:48], s[74:75], s[72:73]
	v_fma_f64 v[53:54], v[49:50], s[74:75], s[72:73]
	v_mul_f64 v[57:58], v[47:48], 0.5
	v_fma_f64 v[55:56], v[47:48], s[64:65], s[62:63]
	v_fma_f64 v[59:60], v[49:50], s[64:65], s[62:63]
	v_mul_f64 v[61:62], v[49:50], 0.5
	v_mul_f64 v[69:70], v[13:14], -v[47:48]
	v_mul_f64 v[75:76], v[27:28], -v[49:50]
	v_cmp_nlt_f64_e64 s7, 0x40900000, v[17:18]
	v_cmp_ngt_f64_e64 s8, 0xc090cc00, v[17:18]
	v_rndne_f64_e32 v[33:34], v[33:34]
	v_fma_f64 v[51:52], v[47:48], v[51:52], s[76:77]
	v_fma_f64 v[53:54], v[49:50], v[53:54], s[76:77]
	v_add_f64 v[63:64], -v[57:58], 1.0
	v_fma_f64 v[55:56], v[47:48], v[55:56], s[66:67]
	v_fma_f64 v[59:60], v[49:50], v[59:60], s[66:67]
	v_add_f64 v[65:66], -v[61:62], 1.0
	v_fma_f64 v[35:36], v[33:34], s[38:39], v[17:18]
	v_fma_f64 v[51:52], v[47:48], v[51:52], s[78:79]
	;; [unrolled: 1-line block ×3, first 2 shown]
	v_add_f64 v[71:72], -v[63:64], 1.0
	v_fma_f64 v[55:56], v[47:48], v[55:56], s[68:69]
	v_fma_f64 v[59:60], v[49:50], v[59:60], s[68:69]
	v_add_f64 v[77:78], -v[65:66], 1.0
	v_cvt_i32_f64_e32 v22, v[33:34]
	v_lshlrev_b32_e32 v17, 30, v32
	v_lshlrev_b32_e32 v18, 30, v31
	s_delay_alu instid0(VALU_DEP_2) | instskip(NEXT) | instid1(VALU_DEP_2)
	v_xor_b32_e32 v17, v17, v20
	v_and_b32_e32 v18, 0x80000000, v18
	s_delay_alu instid0(VALU_DEP_2)
	v_and_b32_e32 v17, 0x80000000, v17
	v_fma_f64 v[35:36], v[33:34], s[40:41], v[35:36]
	v_fma_f64 v[51:52], v[47:48], v[51:52], s[54:55]
	v_fma_f64 v[53:54], v[49:50], v[53:54], s[54:55]
	v_add_f64 v[57:58], v[71:72], -v[57:58]
	v_fma_f64 v[55:56], v[47:48], v[55:56], s[70:71]
	v_fma_f64 v[59:60], v[49:50], v[59:60], s[70:71]
	v_add_f64 v[61:62], v[77:78], -v[61:62]
	v_fma_f64 v[45:46], v[35:36], s[44:45], s[42:43]
	v_fma_f64 v[51:52], v[69:70], v[51:52], v[67:68]
	;; [unrolled: 1-line block ×3, first 2 shown]
	v_fma_f64 v[57:58], v[13:14], -v[15:16], v[57:58]
	v_mul_f64 v[67:68], v[47:48], v[47:48]
	v_fma_f64 v[55:56], v[47:48], v[55:56], s[56:57]
	v_fma_f64 v[45:46], v[35:36], v[45:46], s[46:47]
	v_fma_f64 v[15:16], v[47:48], v[51:52], -v[15:16]
	v_mul_f64 v[47:48], v[49:50], v[49:50]
	v_fma_f64 v[51:52], v[49:50], v[59:60], s[56:57]
	v_fma_f64 v[59:60], v[27:28], -v[29:30], v[61:62]
	v_fma_f64 v[29:30], v[49:50], v[53:54], -v[29:30]
	v_fma_f64 v[49:50], v[67:68], v[55:56], v[57:58]
	v_fma_f64 v[45:46], v[35:36], v[45:46], s[48:49]
	;; [unrolled: 1-line block ×3, first 2 shown]
	s_delay_alu instid0(VALU_DEP_4) | instskip(NEXT) | instid1(VALU_DEP_3)
	v_fma_f64 v[29:30], v[75:76], s[86:87], v[29:30]
	v_fma_f64 v[45:46], v[35:36], v[45:46], s[50:51]
	s_delay_alu instid0(VALU_DEP_3) | instskip(NEXT) | instid1(VALU_DEP_3)
	v_add_f64 v[13:14], v[13:14], -v[15:16]
	v_add_f64 v[27:28], v[27:28], -v[29:30]
	s_delay_alu instid0(VALU_DEP_3) | instskip(NEXT) | instid1(VALU_DEP_3)
	v_fma_f64 v[45:46], v[35:36], v[45:46], s[52:53]
	v_xor_b32_e32 v14, 0x80000000, v14
	s_delay_alu instid0(VALU_DEP_2) | instskip(NEXT) | instid1(VALU_DEP_1)
	v_fma_f64 v[45:46], v[35:36], v[45:46], s[82:83]
	v_fma_f64 v[45:46], v[35:36], v[45:46], s[84:85]
	s_delay_alu instid0(VALU_DEP_1) | instskip(NEXT) | instid1(VALU_DEP_1)
	v_fma_f64 v[45:46], v[35:36], v[45:46], s[58:59]
	v_fma_f64 v[45:46], v[35:36], v[45:46], s[60:61]
	s_delay_alu instid0(VALU_DEP_1) | instskip(NEXT) | instid1(VALU_DEP_1)
	v_fma_f64 v[45:46], v[35:36], v[45:46], 1.0
	v_fma_f64 v[33:34], v[35:36], v[45:46], 1.0
	v_fma_f64 v[35:36], v[47:48], v[51:52], v[59:60]
	v_add_f64 v[45:46], v[63:64], v[49:50]
	s_delay_alu instid0(VALU_DEP_3) | instskip(NEXT) | instid1(VALU_DEP_3)
	v_ldexp_f64 v[15:16], v[33:34], v22
	v_add_f64 v[33:34], v[65:66], v[35:36]
	v_and_b32_e32 v22, 1, v31
	s_delay_alu instid0(VALU_DEP_1) | instskip(NEXT) | instid1(VALU_DEP_1)
	v_cmp_eq_u32_e64 s5, 0, v22
	v_cndmask_b32_e64 v14, v14, v46, s5
	v_cndmask_b32_e64 v13, v13, v45, s5
	s_and_b32 s5, s8, s7
	s_delay_alu instid0(VALU_DEP_2) | instskip(NEXT) | instid1(VALU_DEP_2)
	v_xor_b32_e32 v14, v14, v18
	v_cndmask_b32_e64 v13, 0, v13, s6
	s_delay_alu instid0(VALU_DEP_2) | instskip(SKIP_4) | instid1(VALU_DEP_4)
	v_cndmask_b32_e64 v14, 0x7ff80000, v14, s6
	v_cndmask_b32_e64 v16, 0x7ff00000, v16, s7
	;; [unrolled: 1-line block ×6, first 2 shown]
	s_delay_alu instid0(VALU_DEP_4) | instskip(NEXT) | instid1(VALU_DEP_4)
	v_xor_b32_e32 v17, v20, v17
	v_cndmask_b32_e64 v16, 0, v19, s6
	s_delay_alu instid0(VALU_DEP_3) | instskip(NEXT) | instid1(VALU_DEP_3)
	v_and_or_b32 v19, v22, s91, 0x7fe00000
	v_cndmask_b32_e64 v17, 0x7ff80000, v17, s6
	s_delay_alu instid0(VALU_DEP_2) | instskip(NEXT) | instid1(VALU_DEP_2)
	v_mul_f64 v[13:14], v[18:19], v[13:14]
	v_mul_f64 v[15:16], v[18:19], v[16:17]
	v_lshrrev_b32_e32 v17, 20, v22
	s_delay_alu instid0(VALU_DEP_1) | instskip(NEXT) | instid1(VALU_DEP_1)
	v_add_nc_u32_e32 v17, 0xffffff09, v17
	v_lshrrev_b16 v18, 15, v17
	s_delay_alu instid0(VALU_DEP_1) | instskip(NEXT) | instid1(VALU_DEP_1)
	v_add_nc_u16 v18, v17, v18
	v_ashrrev_i16 v18, 1, v18
	s_delay_alu instid0(VALU_DEP_1) | instskip(NEXT) | instid1(VALU_DEP_1)
	v_bfe_i32 v18, v18, 0, 16
	v_lshl_add_u32 v22, v18, 20, 0x3ff00000
	v_sub_nc_u32_e32 v18, v17, v18
	v_mov_b32_e32 v17, v21
	s_delay_alu instid0(VALU_DEP_2) | instskip(NEXT) | instid1(VALU_DEP_4)
	v_lshl_add_u32 v18, v18, 20, 0x3ff00000
	v_mul_f64 v[13:14], v[13:14], v[21:22]
	v_mul_f64 v[15:16], v[15:16], v[21:22]
	s_delay_alu instid0(VALU_DEP_2) | instskip(NEXT) | instid1(VALU_DEP_2)
	v_mul_f64 v[13:14], v[13:14], v[17:18]
	v_mul_f64 v[15:16], v[15:16], v[17:18]
.LBB138_79:                             ;   in Loop: Header=BB138_4 Depth=1
	s_or_b32 exec_lo, exec_lo, s95
                                        ; implicit-def: $vgpr17_vgpr18
                                        ; implicit-def: $vgpr22
.LBB138_80:                             ;   in Loop: Header=BB138_4 Depth=1
	s_and_not1_saveexec_b32 s7, s94
	s_cbranch_execz .LBB138_86
; %bb.81:                               ;   in Loop: Header=BB138_4 Depth=1
	v_add_f64 v[15:16], v[19:20], -v[19:20]
	v_cmp_ne_u32_e64 s5, 0, v17
	v_cmp_ne_u32_e64 s6, 0x7ff00000, v22
	s_delay_alu instid0(VALU_DEP_1) | instskip(NEXT) | instid1(SALU_CYCLE_1)
	s_or_b32 s5, s5, s6
	s_and_saveexec_b32 s6, s5
	s_delay_alu instid0(SALU_CYCLE_1)
	s_xor_b32 s5, exec_lo, s6
; %bb.82:                               ;   in Loop: Header=BB138_4 Depth=1
                                        ; implicit-def: $vgpr17_vgpr18
; %bb.83:                               ;   in Loop: Header=BB138_4 Depth=1
	s_delay_alu instid0(SALU_CYCLE_1) | instskip(NEXT) | instid1(VALU_DEP_3)
	s_or_saveexec_b32 s6, s5
	v_dual_mov_b32 v13, v15 :: v_dual_mov_b32 v14, v16
	s_xor_b32 exec_lo, exec_lo, s6
; %bb.84:                               ;   in Loop: Header=BB138_4 Depth=1
	v_cmp_lt_i64_e64 s5, -1, v[17:18]
	s_delay_alu instid0(VALU_DEP_1)
	v_cndmask_b32_e64 v14, 0, v18, s5
	v_cndmask_b32_e64 v13, 0, v17, s5
	;; [unrolled: 1-line block ×4, first 2 shown]
; %bb.85:                               ;   in Loop: Header=BB138_4 Depth=1
	s_or_b32 exec_lo, exec_lo, s6
.LBB138_86:                             ;   in Loop: Header=BB138_4 Depth=1
	s_delay_alu instid0(SALU_CYCLE_1)
	s_or_b32 exec_lo, exec_lo, s7
                                        ; implicit-def: $vgpr19_vgpr20
                                        ; implicit-def: $vgpr45
.LBB138_87:                             ;   in Loop: Header=BB138_4 Depth=1
	s_and_not1_saveexec_b32 s8, s93
	s_cbranch_execz .LBB138_97
; %bb.88:                               ;   in Loop: Header=BB138_4 Depth=1
	v_cmp_ngt_f64_e64 s7, 0x41d00000, |v[19:20]|
	v_trig_preop_f64 v[29:30], |v[19:20]|, 0
	v_trig_preop_f64 v[27:28], |v[19:20]|, 1
	v_ldexp_f64 v[31:32], |v[19:20]|, 0xffffff80
	v_trig_preop_f64 v[17:18], |v[19:20]|, 2
                                        ; implicit-def: $vgpr46
                                        ; implicit-def: $vgpr13_vgpr14
                                        ; implicit-def: $vgpr15_vgpr16
	s_and_saveexec_b32 s5, s7
	s_delay_alu instid0(SALU_CYCLE_1)
	s_xor_b32 s9, exec_lo, s5
	s_cbranch_execz .LBB138_90
; %bb.89:                               ;   in Loop: Header=BB138_4 Depth=1
	v_cmp_le_f64_e64 s5, 0x7b000000, |v[19:20]|
	s_mov_b32 s20, s22
	s_mov_b32 s27, s25
	s_delay_alu instid0(VALU_DEP_1) | instskip(NEXT) | instid1(VALU_DEP_4)
	v_cndmask_b32_e64 v14, v45, v32, s5
	v_cndmask_b32_e64 v13, v19, v31, s5
	s_delay_alu instid0(VALU_DEP_1) | instskip(SKIP_2) | instid1(VALU_DEP_3)
	v_mul_f64 v[15:16], v[29:30], v[13:14]
	v_mul_f64 v[33:34], v[27:28], v[13:14]
	;; [unrolled: 1-line block ×3, first 2 shown]
	v_fma_f64 v[35:36], v[29:30], v[13:14], -v[15:16]
	s_delay_alu instid0(VALU_DEP_3) | instskip(NEXT) | instid1(VALU_DEP_3)
	v_fma_f64 v[56:57], v[27:28], v[13:14], -v[33:34]
	v_fma_f64 v[13:14], v[17:18], v[13:14], -v[54:55]
	s_delay_alu instid0(VALU_DEP_3) | instskip(NEXT) | instid1(VALU_DEP_1)
	v_add_f64 v[46:47], v[33:34], v[35:36]
	v_add_f64 v[48:49], v[46:47], -v[33:34]
	v_add_f64 v[52:53], v[15:16], v[46:47]
	s_delay_alu instid0(VALU_DEP_2) | instskip(SKIP_1) | instid1(VALU_DEP_3)
	v_add_f64 v[50:51], v[46:47], -v[48:49]
	v_add_f64 v[35:36], v[35:36], -v[48:49]
	v_ldexp_f64 v[48:49], v[52:53], -2
	v_add_f64 v[15:16], v[52:53], -v[15:16]
	s_delay_alu instid0(VALU_DEP_4) | instskip(SKIP_1) | instid1(VALU_DEP_4)
	v_add_f64 v[33:34], v[33:34], -v[50:51]
	v_add_f64 v[50:51], v[54:55], v[56:57]
	v_cmp_neq_f64_e64 s5, 0x7ff00000, |v[48:49]|
	s_delay_alu instid0(VALU_DEP_4) | instskip(NEXT) | instid1(VALU_DEP_4)
	v_add_f64 v[15:16], v[46:47], -v[15:16]
	v_add_f64 v[33:34], v[35:36], v[33:34]
	v_fract_f64_e32 v[35:36], v[48:49]
	s_delay_alu instid0(VALU_DEP_2) | instskip(NEXT) | instid1(VALU_DEP_2)
	v_add_f64 v[46:47], v[50:51], v[33:34]
	v_cndmask_b32_e64 v36, 0, v36, s5
	s_delay_alu instid0(VALU_DEP_3) | instskip(NEXT) | instid1(VALU_DEP_1)
	v_cndmask_b32_e64 v35, 0, v35, s5
	v_ldexp_f64 v[35:36], v[35:36], 2
	s_delay_alu instid0(VALU_DEP_4) | instskip(SKIP_1) | instid1(VALU_DEP_2)
	v_add_f64 v[48:49], v[15:16], v[46:47]
	v_add_f64 v[58:59], v[46:47], -v[50:51]
	v_add_f64 v[52:53], v[48:49], v[35:36]
	s_delay_alu instid0(VALU_DEP_2) | instskip(SKIP_2) | instid1(VALU_DEP_4)
	v_add_f64 v[64:65], v[46:47], -v[58:59]
	v_add_f64 v[33:34], v[33:34], -v[58:59]
	;; [unrolled: 1-line block ×3, first 2 shown]
	v_cmp_gt_f64_e64 s5, 0, v[52:53]
	v_add_f64 v[52:53], v[50:51], -v[54:55]
	s_delay_alu instid0(VALU_DEP_3) | instskip(NEXT) | instid1(VALU_DEP_3)
	v_add_f64 v[15:16], v[46:47], -v[15:16]
	v_cndmask_b32_e64 v22, 0, 0x40100000, s5
	s_delay_alu instid0(VALU_DEP_3) | instskip(SKIP_2) | instid1(VALU_DEP_4)
	v_add_f64 v[62:63], v[50:51], -v[52:53]
	v_add_f64 v[52:53], v[56:57], -v[52:53]
	;; [unrolled: 1-line block ×3, first 2 shown]
	v_add_f64 v[35:36], v[35:36], v[21:22]
	s_delay_alu instid0(VALU_DEP_4) | instskip(NEXT) | instid1(VALU_DEP_3)
	v_add_f64 v[56:57], v[54:55], -v[62:63]
	v_add_f64 v[33:34], v[33:34], v[50:51]
	s_delay_alu instid0(VALU_DEP_3) | instskip(NEXT) | instid1(VALU_DEP_3)
	v_add_f64 v[60:61], v[48:49], v[35:36]
	v_add_f64 v[52:53], v[52:53], v[56:57]
	s_delay_alu instid0(VALU_DEP_2) | instskip(NEXT) | instid1(VALU_DEP_2)
	v_cvt_i32_f64_e32 v22, v[60:61]
	v_add_f64 v[33:34], v[52:53], v[33:34]
	s_delay_alu instid0(VALU_DEP_2) | instskip(NEXT) | instid1(VALU_DEP_2)
	v_cvt_f64_i32_e32 v[58:59], v22
	v_add_f64 v[13:14], v[13:14], v[33:34]
	s_delay_alu instid0(VALU_DEP_2) | instskip(NEXT) | instid1(VALU_DEP_2)
	v_add_f64 v[35:36], v[35:36], -v[58:59]
	v_add_f64 v[13:14], v[15:16], v[13:14]
	s_delay_alu instid0(VALU_DEP_2) | instskip(NEXT) | instid1(VALU_DEP_1)
	v_add_f64 v[50:51], v[48:49], v[35:36]
	v_add_f64 v[33:34], v[50:51], -v[35:36]
	v_cmp_le_f64_e64 s5, 0.5, v[50:51]
	s_delay_alu instid0(VALU_DEP_2) | instskip(NEXT) | instid1(VALU_DEP_2)
	v_add_f64 v[15:16], v[48:49], -v[33:34]
	v_add_co_ci_u32_e64 v46, s6, 0, v22, s5
	v_cndmask_b32_e64 v22, 0, 0x3ff00000, s5
	s_delay_alu instid0(VALU_DEP_3) | instskip(NEXT) | instid1(VALU_DEP_2)
	v_add_f64 v[13:14], v[13:14], v[15:16]
	v_add_f64 v[15:16], v[50:51], -v[21:22]
	s_delay_alu instid0(VALU_DEP_1) | instskip(NEXT) | instid1(VALU_DEP_1)
	v_add_f64 v[33:34], v[15:16], v[13:14]
	v_mul_f64 v[35:36], v[33:34], s[20:21]
	v_add_f64 v[15:16], v[33:34], -v[15:16]
	s_delay_alu instid0(VALU_DEP_2) | instskip(NEXT) | instid1(VALU_DEP_2)
	v_fma_f64 v[47:48], v[33:34], s[20:21], -v[35:36]
	v_add_f64 v[13:14], v[13:14], -v[15:16]
	s_delay_alu instid0(VALU_DEP_2) | instskip(NEXT) | instid1(VALU_DEP_1)
	v_fma_f64 v[15:16], v[33:34], s[26:27], v[47:48]
	v_fma_f64 v[15:16], v[13:14], s[20:21], v[15:16]
	s_delay_alu instid0(VALU_DEP_1) | instskip(NEXT) | instid1(VALU_DEP_1)
	v_add_f64 v[13:14], v[35:36], v[15:16]
	v_add_f64 v[33:34], v[13:14], -v[35:36]
	s_delay_alu instid0(VALU_DEP_1)
	v_add_f64 v[15:16], v[15:16], -v[33:34]
	s_and_not1_saveexec_b32 s5, s9
	s_cbranch_execz .LBB138_92
	s_branch .LBB138_91
.LBB138_90:                             ;   in Loop: Header=BB138_4 Depth=1
	s_and_not1_saveexec_b32 s5, s9
	s_cbranch_execz .LBB138_92
.LBB138_91:                             ;   in Loop: Header=BB138_4 Depth=1
	v_mul_f64 v[13:14], |v[19:20]|, s[28:29]
	s_mov_b32 s24, s30
	s_delay_alu instid0(VALU_DEP_1) | instskip(NEXT) | instid1(VALU_DEP_1)
	v_rndne_f64_e32 v[33:34], v[13:14]
	v_fma_f64 v[13:14], v[33:34], s[22:23], |v[19:20]|
	v_mul_f64 v[15:16], v[33:34], s[30:31]
	s_delay_alu instid0(VALU_DEP_2) | instskip(NEXT) | instid1(VALU_DEP_2)
	v_fma_f64 v[46:47], v[33:34], s[30:31], v[13:14]
	v_add_f64 v[35:36], v[13:14], v[15:16]
	s_delay_alu instid0(VALU_DEP_1) | instskip(NEXT) | instid1(VALU_DEP_3)
	v_add_f64 v[13:14], v[13:14], -v[35:36]
	v_add_f64 v[35:36], v[35:36], -v[46:47]
	s_delay_alu instid0(VALU_DEP_2) | instskip(SKIP_1) | instid1(VALU_DEP_2)
	v_add_f64 v[13:14], v[13:14], v[15:16]
	v_fma_f64 v[15:16], v[33:34], s[24:25], v[15:16]
	v_add_f64 v[13:14], v[35:36], v[13:14]
	s_delay_alu instid0(VALU_DEP_1) | instskip(NEXT) | instid1(VALU_DEP_1)
	v_add_f64 v[13:14], v[13:14], -v[15:16]
	v_fma_f64 v[15:16], v[33:34], s[34:35], v[13:14]
	s_delay_alu instid0(VALU_DEP_1) | instskip(NEXT) | instid1(VALU_DEP_1)
	v_add_f64 v[13:14], v[46:47], v[15:16]
	v_add_f64 v[35:36], v[13:14], -v[46:47]
	v_cvt_i32_f64_e32 v46, v[33:34]
	s_delay_alu instid0(VALU_DEP_2)
	v_add_f64 v[15:16], v[15:16], -v[35:36]
.LBB138_92:                             ;   in Loop: Header=BB138_4 Depth=1
	s_or_b32 exec_lo, exec_lo, s5
                                        ; implicit-def: $vgpr47
                                        ; implicit-def: $vgpr33_vgpr34
                                        ; implicit-def: $vgpr35_vgpr36
	s_and_saveexec_b32 s5, s7
	s_delay_alu instid0(SALU_CYCLE_1)
	s_xor_b32 s7, exec_lo, s5
	s_cbranch_execz .LBB138_94
; %bb.93:                               ;   in Loop: Header=BB138_4 Depth=1
	v_cmp_le_f64_e64 s5, 0x7b000000, |v[19:20]|
	s_mov_b32 s20, s22
	s_mov_b32 s27, s25
	s_delay_alu instid0(VALU_DEP_1) | instskip(NEXT) | instid1(VALU_DEP_4)
	v_cndmask_b32_e64 v32, v45, v32, s5
	v_cndmask_b32_e64 v31, v19, v31, s5
	s_delay_alu instid0(VALU_DEP_1) | instskip(SKIP_2) | instid1(VALU_DEP_3)
	v_mul_f64 v[33:34], v[29:30], v[31:32]
	v_mul_f64 v[35:36], v[27:28], v[31:32]
	;; [unrolled: 1-line block ×3, first 2 shown]
	v_fma_f64 v[29:30], v[29:30], v[31:32], -v[33:34]
	s_delay_alu instid0(VALU_DEP_3) | instskip(NEXT) | instid1(VALU_DEP_3)
	v_fma_f64 v[27:28], v[27:28], v[31:32], -v[35:36]
	v_fma_f64 v[17:18], v[17:18], v[31:32], -v[55:56]
	s_delay_alu instid0(VALU_DEP_3) | instskip(NEXT) | instid1(VALU_DEP_1)
	v_add_f64 v[47:48], v[35:36], v[29:30]
	v_add_f64 v[49:50], v[47:48], -v[35:36]
	v_add_f64 v[53:54], v[33:34], v[47:48]
	s_delay_alu instid0(VALU_DEP_2) | instskip(SKIP_1) | instid1(VALU_DEP_3)
	v_add_f64 v[51:52], v[47:48], -v[49:50]
	v_add_f64 v[29:30], v[29:30], -v[49:50]
	v_ldexp_f64 v[49:50], v[53:54], -2
	v_add_f64 v[33:34], v[53:54], -v[33:34]
	s_delay_alu instid0(VALU_DEP_4) | instskip(SKIP_1) | instid1(VALU_DEP_4)
	v_add_f64 v[35:36], v[35:36], -v[51:52]
	v_add_f64 v[51:52], v[55:56], v[27:28]
	v_cmp_neq_f64_e64 s5, 0x7ff00000, |v[49:50]|
	s_delay_alu instid0(VALU_DEP_4) | instskip(NEXT) | instid1(VALU_DEP_4)
	v_add_f64 v[33:34], v[47:48], -v[33:34]
	v_add_f64 v[29:30], v[29:30], v[35:36]
	v_fract_f64_e32 v[35:36], v[49:50]
	s_delay_alu instid0(VALU_DEP_2) | instskip(NEXT) | instid1(VALU_DEP_2)
	v_add_f64 v[47:48], v[51:52], v[29:30]
	v_cndmask_b32_e64 v36, 0, v36, s5
	s_delay_alu instid0(VALU_DEP_3) | instskip(NEXT) | instid1(VALU_DEP_1)
	v_cndmask_b32_e64 v35, 0, v35, s5
	v_ldexp_f64 v[35:36], v[35:36], 2
	s_delay_alu instid0(VALU_DEP_4) | instskip(SKIP_1) | instid1(VALU_DEP_2)
	v_add_f64 v[49:50], v[33:34], v[47:48]
	v_add_f64 v[57:58], v[47:48], -v[51:52]
	v_add_f64 v[53:54], v[49:50], v[35:36]
	s_delay_alu instid0(VALU_DEP_2) | instskip(SKIP_2) | instid1(VALU_DEP_4)
	v_add_f64 v[63:64], v[47:48], -v[57:58]
	v_add_f64 v[29:30], v[29:30], -v[57:58]
	;; [unrolled: 1-line block ×3, first 2 shown]
	v_cmp_gt_f64_e64 s5, 0, v[53:54]
	v_add_f64 v[53:54], v[51:52], -v[55:56]
	s_delay_alu instid0(VALU_DEP_3) | instskip(NEXT) | instid1(VALU_DEP_3)
	v_add_f64 v[31:32], v[47:48], -v[31:32]
	v_cndmask_b32_e64 v22, 0, 0x40100000, s5
	s_delay_alu instid0(VALU_DEP_3) | instskip(SKIP_2) | instid1(VALU_DEP_4)
	v_add_f64 v[61:62], v[51:52], -v[53:54]
	v_add_f64 v[27:28], v[27:28], -v[53:54]
	;; [unrolled: 1-line block ×3, first 2 shown]
	v_add_f64 v[35:36], v[35:36], v[21:22]
	s_delay_alu instid0(VALU_DEP_4) | instskip(NEXT) | instid1(VALU_DEP_3)
	v_add_f64 v[53:54], v[55:56], -v[61:62]
	v_add_f64 v[29:30], v[29:30], v[51:52]
	s_delay_alu instid0(VALU_DEP_3) | instskip(NEXT) | instid1(VALU_DEP_3)
	v_add_f64 v[59:60], v[49:50], v[35:36]
	v_add_f64 v[27:28], v[27:28], v[53:54]
	s_delay_alu instid0(VALU_DEP_2) | instskip(NEXT) | instid1(VALU_DEP_2)
	v_cvt_i32_f64_e32 v22, v[59:60]
	v_add_f64 v[27:28], v[27:28], v[29:30]
	s_delay_alu instid0(VALU_DEP_2) | instskip(NEXT) | instid1(VALU_DEP_2)
	v_cvt_f64_i32_e32 v[57:58], v22
	v_add_f64 v[17:18], v[17:18], v[27:28]
	s_delay_alu instid0(VALU_DEP_2) | instskip(NEXT) | instid1(VALU_DEP_2)
	v_add_f64 v[35:36], v[35:36], -v[57:58]
	v_add_f64 v[17:18], v[31:32], v[17:18]
	s_delay_alu instid0(VALU_DEP_2) | instskip(NEXT) | instid1(VALU_DEP_1)
	v_add_f64 v[29:30], v[49:50], v[35:36]
	v_add_f64 v[27:28], v[29:30], -v[35:36]
	v_cmp_le_f64_e64 s5, 0.5, v[29:30]
	s_delay_alu instid0(VALU_DEP_2) | instskip(NEXT) | instid1(VALU_DEP_2)
	v_add_f64 v[27:28], v[49:50], -v[27:28]
	v_add_co_ci_u32_e64 v47, s6, 0, v22, s5
	v_cndmask_b32_e64 v22, 0, 0x3ff00000, s5
	s_delay_alu instid0(VALU_DEP_3) | instskip(NEXT) | instid1(VALU_DEP_2)
	v_add_f64 v[17:18], v[17:18], v[27:28]
	v_add_f64 v[27:28], v[29:30], -v[21:22]
	s_delay_alu instid0(VALU_DEP_1) | instskip(NEXT) | instid1(VALU_DEP_1)
	v_add_f64 v[29:30], v[27:28], v[17:18]
	v_mul_f64 v[31:32], v[29:30], s[20:21]
	v_add_f64 v[27:28], v[29:30], -v[27:28]
	s_delay_alu instid0(VALU_DEP_2) | instskip(NEXT) | instid1(VALU_DEP_2)
	v_fma_f64 v[33:34], v[29:30], s[20:21], -v[31:32]
	v_add_f64 v[17:18], v[17:18], -v[27:28]
	s_delay_alu instid0(VALU_DEP_2) | instskip(NEXT) | instid1(VALU_DEP_1)
	v_fma_f64 v[27:28], v[29:30], s[26:27], v[33:34]
	v_fma_f64 v[17:18], v[17:18], s[20:21], v[27:28]
	s_delay_alu instid0(VALU_DEP_1) | instskip(NEXT) | instid1(VALU_DEP_1)
	v_add_f64 v[33:34], v[31:32], v[17:18]
	v_add_f64 v[27:28], v[33:34], -v[31:32]
	s_delay_alu instid0(VALU_DEP_1)
	v_add_f64 v[35:36], v[17:18], -v[27:28]
	s_and_not1_saveexec_b32 s5, s7
	s_cbranch_execnz .LBB138_95
	s_branch .LBB138_96
.LBB138_94:                             ;   in Loop: Header=BB138_4 Depth=1
	s_and_not1_saveexec_b32 s5, s7
	s_cbranch_execz .LBB138_96
.LBB138_95:                             ;   in Loop: Header=BB138_4 Depth=1
	v_mul_f64 v[17:18], |v[19:20]|, s[28:29]
	s_mov_b32 s24, s30
	s_delay_alu instid0(VALU_DEP_1) | instskip(NEXT) | instid1(VALU_DEP_1)
	v_rndne_f64_e32 v[17:18], v[17:18]
	v_fma_f64 v[27:28], v[17:18], s[22:23], |v[19:20]|
	v_mul_f64 v[29:30], v[17:18], s[30:31]
	v_cvt_i32_f64_e32 v47, v[17:18]
	s_delay_alu instid0(VALU_DEP_3) | instskip(NEXT) | instid1(VALU_DEP_3)
	v_fma_f64 v[35:36], v[17:18], s[30:31], v[27:28]
	v_add_f64 v[31:32], v[27:28], v[29:30]
	s_delay_alu instid0(VALU_DEP_1) | instskip(NEXT) | instid1(VALU_DEP_3)
	v_add_f64 v[27:28], v[27:28], -v[31:32]
	v_add_f64 v[31:32], v[31:32], -v[35:36]
	s_delay_alu instid0(VALU_DEP_2) | instskip(SKIP_1) | instid1(VALU_DEP_2)
	v_add_f64 v[27:28], v[27:28], v[29:30]
	v_fma_f64 v[29:30], v[17:18], s[24:25], v[29:30]
	v_add_f64 v[27:28], v[31:32], v[27:28]
	s_delay_alu instid0(VALU_DEP_1) | instskip(NEXT) | instid1(VALU_DEP_1)
	v_add_f64 v[27:28], v[27:28], -v[29:30]
	v_fma_f64 v[27:28], v[17:18], s[34:35], v[27:28]
	s_delay_alu instid0(VALU_DEP_1) | instskip(NEXT) | instid1(VALU_DEP_1)
	v_add_f64 v[33:34], v[35:36], v[27:28]
	v_add_f64 v[29:30], v[33:34], -v[35:36]
	s_delay_alu instid0(VALU_DEP_1)
	v_add_f64 v[35:36], v[27:28], -v[29:30]
.LBB138_96:                             ;   in Loop: Header=BB138_4 Depth=1
	s_or_b32 exec_lo, exec_lo, s5
	v_mul_f64 v[17:18], v[13:14], v[13:14]
	v_mul_f64 v[27:28], v[33:34], v[33:34]
	s_delay_alu instid0(VALU_DEP_3) | instskip(NEXT) | instid1(VALU_DEP_4)
	v_mul_f64 v[60:61], v[15:16], 0.5
	v_mul_f64 v[66:67], v[35:36], 0.5
	s_mov_b32 s86, s56
	v_cmp_class_f64_e64 s6, v[19:20], 0x1f8
	v_and_b32_e32 v22, 1, v46
	v_lshlrev_b32_e32 v19, 30, v47
	s_delay_alu instid0(VALU_DEP_2) | instskip(SKIP_1) | instid1(VALU_DEP_3)
	v_cmp_eq_u32_e64 s5, 0, v22
	v_and_b32_e32 v22, 1, v47
	v_xor_b32_e32 v19, v19, v20
	s_delay_alu instid0(VALU_DEP_2) | instskip(NEXT) | instid1(VALU_DEP_2)
	v_cmp_eq_u32_e64 s7, 0, v22
	v_and_b32_e32 v19, 0x80000000, v19
	v_fma_f64 v[29:30], v[17:18], s[74:75], s[72:73]
	v_fma_f64 v[31:32], v[27:28], s[74:75], s[72:73]
	v_mul_f64 v[50:51], v[17:18], 0.5
	v_fma_f64 v[48:49], v[17:18], s[64:65], s[62:63]
	v_fma_f64 v[52:53], v[27:28], s[64:65], s[62:63]
	v_mul_f64 v[54:55], v[27:28], 0.5
	v_mul_f64 v[62:63], v[13:14], -v[17:18]
	v_mul_f64 v[68:69], v[33:34], -v[27:28]
	v_fma_f64 v[29:30], v[17:18], v[29:30], s[76:77]
	v_fma_f64 v[31:32], v[27:28], v[31:32], s[76:77]
	v_add_f64 v[56:57], -v[50:51], 1.0
	v_fma_f64 v[48:49], v[17:18], v[48:49], s[66:67]
	v_fma_f64 v[52:53], v[27:28], v[52:53], s[66:67]
	v_add_f64 v[58:59], -v[54:55], 1.0
	;; [unrolled: 3-line block ×4, first 2 shown]
	v_fma_f64 v[29:30], v[17:18], v[29:30], s[54:55]
	v_fma_f64 v[31:32], v[27:28], v[31:32], s[54:55]
	v_add_f64 v[50:51], v[64:65], -v[50:51]
	v_fma_f64 v[48:49], v[17:18], v[48:49], s[70:71]
	v_fma_f64 v[52:53], v[27:28], v[52:53], s[70:71]
	v_add_f64 v[54:55], v[70:71], -v[54:55]
	v_fma_f64 v[29:30], v[62:63], v[29:30], v[60:61]
	v_fma_f64 v[31:32], v[68:69], v[31:32], v[66:67]
	v_fma_f64 v[50:51], v[13:14], -v[15:16], v[50:51]
	v_mul_f64 v[60:61], v[17:18], v[17:18]
	v_fma_f64 v[48:49], v[17:18], v[48:49], s[56:57]
	v_fma_f64 v[15:16], v[17:18], v[29:30], -v[15:16]
	v_mul_f64 v[17:18], v[27:28], v[27:28]
	v_fma_f64 v[29:30], v[27:28], v[52:53], s[56:57]
	v_fma_f64 v[52:53], v[33:34], -v[35:36], v[54:55]
	v_fma_f64 v[27:28], v[27:28], v[31:32], -v[35:36]
	v_fma_f64 v[31:32], v[60:61], v[48:49], v[50:51]
	v_fma_f64 v[15:16], v[62:63], s[86:87], v[15:16]
	s_delay_alu instid0(VALU_DEP_4) | instskip(NEXT) | instid1(VALU_DEP_4)
	v_fma_f64 v[17:18], v[17:18], v[29:30], v[52:53]
	v_fma_f64 v[27:28], v[68:69], s[86:87], v[27:28]
	s_delay_alu instid0(VALU_DEP_4) | instskip(NEXT) | instid1(VALU_DEP_4)
	v_add_f64 v[29:30], v[56:57], v[31:32]
	v_add_f64 v[13:14], v[13:14], -v[15:16]
	s_delay_alu instid0(VALU_DEP_4) | instskip(NEXT) | instid1(VALU_DEP_4)
	v_add_f64 v[15:16], v[58:59], v[17:18]
	v_add_f64 v[17:18], v[33:34], -v[27:28]
	v_lshlrev_b32_e32 v27, 30, v46
	s_delay_alu instid0(VALU_DEP_1) | instskip(SKIP_3) | instid1(VALU_DEP_3)
	v_and_b32_e32 v20, 0x80000000, v27
	v_xor_b32_e32 v14, 0x80000000, v14
	v_cndmask_b32_e64 v13, v13, v29, s5
	v_cndmask_b32_e64 v16, v16, v18, s7
	;; [unrolled: 1-line block ×4, first 2 shown]
	s_delay_alu instid0(VALU_DEP_4) | instskip(NEXT) | instid1(VALU_DEP_4)
	v_cndmask_b32_e64 v13, 0, v13, s6
	v_xor_b32_e32 v16, v16, v19
	s_delay_alu instid0(VALU_DEP_4) | instskip(NEXT) | instid1(VALU_DEP_4)
	v_xor_b32_e32 v14, v14, v20
	v_cndmask_b32_e64 v15, 0, v15, s6
	s_delay_alu instid0(VALU_DEP_3) | instskip(NEXT) | instid1(VALU_DEP_3)
	v_cndmask_b32_e64 v16, 0x7ff80000, v16, s6
	v_cndmask_b32_e64 v14, 0x7ff80000, v14, s6
.LBB138_97:                             ;   in Loop: Header=BB138_4 Depth=1
	s_or_b32 exec_lo, exec_lo, s8
                                        ; implicit-def: $vgpr17_vgpr18
.LBB138_98:                             ;   in Loop: Header=BB138_4 Depth=1
	s_and_not1_saveexec_b32 s7, s92
	s_cbranch_execz .LBB138_100
; %bb.99:                               ;   in Loop: Header=BB138_4 Depth=1
	v_mul_f64 v[13:14], v[17:18], s[36:37]
	s_mov_b32 s83, s55
	s_mov_b32 s85, s57
	v_cmp_nlt_f64_e64 s5, 0x40900000, v[17:18]
	v_cmp_ngt_f64_e64 s6, 0xc090cc00, v[17:18]
	s_delay_alu instid0(VALU_DEP_3) | instskip(NEXT) | instid1(VALU_DEP_1)
	v_rndne_f64_e32 v[13:14], v[13:14]
	v_fma_f64 v[15:16], v[13:14], s[38:39], v[17:18]
	v_cvt_i32_f64_e32 v22, v[13:14]
	s_delay_alu instid0(VALU_DEP_2) | instskip(NEXT) | instid1(VALU_DEP_1)
	v_fma_f64 v[15:16], v[13:14], s[40:41], v[15:16]
	v_fma_f64 v[27:28], v[15:16], s[44:45], s[42:43]
	s_delay_alu instid0(VALU_DEP_1) | instskip(NEXT) | instid1(VALU_DEP_1)
	v_fma_f64 v[27:28], v[15:16], v[27:28], s[46:47]
	v_fma_f64 v[27:28], v[15:16], v[27:28], s[48:49]
	s_delay_alu instid0(VALU_DEP_1) | instskip(NEXT) | instid1(VALU_DEP_1)
	;; [unrolled: 3-line block ×5, first 2 shown]
	v_fma_f64 v[27:28], v[15:16], v[27:28], 1.0
	v_fma_f64 v[13:14], v[15:16], v[27:28], 1.0
	v_dual_mov_b32 v15, v19 :: v_dual_mov_b32 v16, v20
	s_delay_alu instid0(VALU_DEP_2) | instskip(NEXT) | instid1(VALU_DEP_1)
	v_ldexp_f64 v[13:14], v[13:14], v22
	v_cndmask_b32_e64 v14, 0x7ff00000, v14, s5
	s_and_b32 s5, s6, s5
	s_delay_alu instid0(VALU_DEP_2) | instid1(SALU_CYCLE_1)
	v_cndmask_b32_e64 v13, 0, v13, s5
	s_delay_alu instid0(VALU_DEP_2)
	v_cndmask_b32_e64 v14, 0, v14, s6
.LBB138_100:                            ;   in Loop: Header=BB138_4 Depth=1
	s_or_b32 exec_lo, exec_lo, s7
	v_and_b32_e32 v45, 0x7fffffff, v12
                                        ; implicit-def: $vgpr19_vgpr20
	s_mov_b32 s6, exec_lo
	s_delay_alu instid0(VALU_DEP_1) | instskip(NEXT) | instid1(VALU_DEP_1)
	v_or_b32_e32 v17, v45, v11
	v_cmpx_ne_u32_e32 0, v17
	s_xor_b32 s92, exec_lo, s6
	s_cbranch_execz .LBB138_142
; %bb.101:                              ;   in Loop: Header=BB138_4 Depth=1
	v_and_b32_e32 v22, 0x7fffffff, v10
                                        ; implicit-def: $vgpr19_vgpr20
	s_mov_b32 s6, exec_lo
	s_delay_alu instid0(VALU_DEP_1) | instskip(NEXT) | instid1(VALU_DEP_1)
	v_or_b32_e32 v17, v22, v9
	v_cmpx_ne_u32_e32 0, v17
	s_xor_b32 s93, exec_lo, s6
	s_cbranch_execz .LBB138_131
; %bb.102:                              ;   in Loop: Header=BB138_4 Depth=1
                                        ; implicit-def: $vgpr19_vgpr20
	s_mov_b32 s6, exec_lo
	v_cmpx_gt_u32_e32 0x7ff00000, v45
	s_xor_b32 s94, exec_lo, s6
	s_cbranch_execz .LBB138_124
; %bb.103:                              ;   in Loop: Header=BB138_4 Depth=1
	v_add_nc_u32_e32 v17, 0xbf79d1be, v10
                                        ; implicit-def: $vgpr19_vgpr20
	s_mov_b32 s6, exec_lo
	s_delay_alu instid0(VALU_DEP_1)
	v_cmpx_lt_u32_e32 0x108aa2, v17
	s_xor_b32 s95, exec_lo, s6
	s_cbranch_execz .LBB138_113
; %bb.104:                              ;   in Loop: Header=BB138_4 Depth=1
	v_cmp_ngt_f64_e64 s7, 0x41d00000, |v[11:12]|
                                        ; implicit-def: $vgpr31
                                        ; implicit-def: $vgpr17_vgpr18
                                        ; implicit-def: $vgpr19_vgpr20
	s_delay_alu instid0(VALU_DEP_1) | instskip(NEXT) | instid1(SALU_CYCLE_1)
	s_and_saveexec_b32 s5, s7
	s_xor_b32 s8, exec_lo, s5
	s_cbranch_execz .LBB138_106
; %bb.105:                              ;   in Loop: Header=BB138_4 Depth=1
	v_ldexp_f64 v[17:18], |v[11:12]|, 0xffffff80
	v_cmp_le_f64_e64 s5, 0x7b000000, |v[11:12]|
	v_trig_preop_f64 v[19:20], |v[11:12]|, 0
	v_trig_preop_f64 v[27:28], |v[11:12]|, 1
	;; [unrolled: 1-line block ×3, first 2 shown]
	s_mov_b32 s20, s22
	s_mov_b32 s27, s25
	s_delay_alu instid0(VALU_DEP_4) | instskip(SKIP_1) | instid1(VALU_DEP_1)
	v_cndmask_b32_e64 v18, v45, v18, s5
	v_cndmask_b32_e64 v17, v11, v17, s5
	v_mul_f64 v[29:30], v[19:20], v[17:18]
	v_mul_f64 v[31:32], v[27:28], v[17:18]
	;; [unrolled: 1-line block ×3, first 2 shown]
	s_delay_alu instid0(VALU_DEP_3) | instskip(NEXT) | instid1(VALU_DEP_3)
	v_fma_f64 v[19:20], v[19:20], v[17:18], -v[29:30]
	v_fma_f64 v[27:28], v[27:28], v[17:18], -v[31:32]
	s_delay_alu instid0(VALU_DEP_3) | instskip(NEXT) | instid1(VALU_DEP_3)
	v_fma_f64 v[17:18], v[46:47], v[17:18], -v[52:53]
	v_add_f64 v[33:34], v[31:32], v[19:20]
	s_delay_alu instid0(VALU_DEP_1) | instskip(SKIP_1) | instid1(VALU_DEP_2)
	v_add_f64 v[35:36], v[33:34], -v[31:32]
	v_add_f64 v[50:51], v[29:30], v[33:34]
	v_add_f64 v[48:49], v[33:34], -v[35:36]
	v_add_f64 v[19:20], v[19:20], -v[35:36]
	s_delay_alu instid0(VALU_DEP_3) | instskip(SKIP_1) | instid1(VALU_DEP_4)
	v_ldexp_f64 v[35:36], v[50:51], -2
	v_add_f64 v[29:30], v[50:51], -v[29:30]
	v_add_f64 v[31:32], v[31:32], -v[48:49]
	v_add_f64 v[48:49], v[52:53], v[27:28]
	s_delay_alu instid0(VALU_DEP_4) | instskip(NEXT) | instid1(VALU_DEP_4)
	v_cmp_neq_f64_e64 s5, 0x7ff00000, |v[35:36]|
	v_add_f64 v[29:30], v[33:34], -v[29:30]
	s_delay_alu instid0(VALU_DEP_4) | instskip(SKIP_1) | instid1(VALU_DEP_2)
	v_add_f64 v[19:20], v[19:20], v[31:32]
	v_fract_f64_e32 v[31:32], v[35:36]
	v_add_f64 v[33:34], v[48:49], v[19:20]
	s_delay_alu instid0(VALU_DEP_2) | instskip(NEXT) | instid1(VALU_DEP_3)
	v_cndmask_b32_e64 v32, 0, v32, s5
	v_cndmask_b32_e64 v31, 0, v31, s5
	s_delay_alu instid0(VALU_DEP_1) | instskip(NEXT) | instid1(VALU_DEP_4)
	v_ldexp_f64 v[31:32], v[31:32], 2
	v_add_f64 v[35:36], v[29:30], v[33:34]
	v_add_f64 v[54:55], v[33:34], -v[48:49]
	s_delay_alu instid0(VALU_DEP_2) | instskip(NEXT) | instid1(VALU_DEP_2)
	v_add_f64 v[50:51], v[35:36], v[31:32]
	v_add_f64 v[60:61], v[33:34], -v[54:55]
	v_add_f64 v[19:20], v[19:20], -v[54:55]
	;; [unrolled: 1-line block ×3, first 2 shown]
	s_delay_alu instid0(VALU_DEP_4) | instskip(SKIP_1) | instid1(VALU_DEP_3)
	v_cmp_gt_f64_e64 s5, 0, v[50:51]
	v_add_f64 v[50:51], v[48:49], -v[52:53]
	v_add_f64 v[29:30], v[33:34], -v[29:30]
	s_delay_alu instid0(VALU_DEP_3) | instskip(NEXT) | instid1(VALU_DEP_3)
	v_cndmask_b32_e64 v22, 0, 0x40100000, s5
	v_add_f64 v[58:59], v[48:49], -v[50:51]
	v_add_f64 v[27:28], v[27:28], -v[50:51]
	;; [unrolled: 1-line block ×3, first 2 shown]
	s_delay_alu instid0(VALU_DEP_4) | instskip(NEXT) | instid1(VALU_DEP_4)
	v_add_f64 v[31:32], v[31:32], v[21:22]
	v_add_f64 v[50:51], v[52:53], -v[58:59]
	s_delay_alu instid0(VALU_DEP_3) | instskip(NEXT) | instid1(VALU_DEP_3)
	v_add_f64 v[19:20], v[19:20], v[48:49]
	v_add_f64 v[56:57], v[35:36], v[31:32]
	s_delay_alu instid0(VALU_DEP_3) | instskip(NEXT) | instid1(VALU_DEP_2)
	v_add_f64 v[27:28], v[27:28], v[50:51]
	v_cvt_i32_f64_e32 v22, v[56:57]
	s_delay_alu instid0(VALU_DEP_2) | instskip(NEXT) | instid1(VALU_DEP_2)
	v_add_f64 v[19:20], v[27:28], v[19:20]
	v_cvt_f64_i32_e32 v[54:55], v22
	s_delay_alu instid0(VALU_DEP_2) | instskip(NEXT) | instid1(VALU_DEP_2)
	v_add_f64 v[17:18], v[17:18], v[19:20]
	v_add_f64 v[31:32], v[31:32], -v[54:55]
	s_delay_alu instid0(VALU_DEP_2) | instskip(NEXT) | instid1(VALU_DEP_2)
	v_add_f64 v[17:18], v[29:30], v[17:18]
	v_add_f64 v[27:28], v[35:36], v[31:32]
	s_delay_alu instid0(VALU_DEP_1) | instskip(SKIP_1) | instid1(VALU_DEP_2)
	v_add_f64 v[19:20], v[27:28], -v[31:32]
	v_cmp_le_f64_e64 s5, 0.5, v[27:28]
	v_add_f64 v[19:20], v[35:36], -v[19:20]
	s_delay_alu instid0(VALU_DEP_2) | instskip(SKIP_1) | instid1(VALU_DEP_3)
	v_add_co_ci_u32_e64 v31, s6, 0, v22, s5
	v_cndmask_b32_e64 v22, 0, 0x3ff00000, s5
	v_add_f64 v[17:18], v[17:18], v[19:20]
	s_delay_alu instid0(VALU_DEP_2) | instskip(NEXT) | instid1(VALU_DEP_1)
	v_add_f64 v[19:20], v[27:28], -v[21:22]
	v_add_f64 v[27:28], v[19:20], v[17:18]
	s_delay_alu instid0(VALU_DEP_1) | instskip(SKIP_1) | instid1(VALU_DEP_2)
	v_mul_f64 v[29:30], v[27:28], s[20:21]
	v_add_f64 v[19:20], v[27:28], -v[19:20]
	v_fma_f64 v[32:33], v[27:28], s[20:21], -v[29:30]
	s_delay_alu instid0(VALU_DEP_2) | instskip(NEXT) | instid1(VALU_DEP_2)
	v_add_f64 v[17:18], v[17:18], -v[19:20]
	v_fma_f64 v[19:20], v[27:28], s[26:27], v[32:33]
	s_delay_alu instid0(VALU_DEP_1) | instskip(NEXT) | instid1(VALU_DEP_1)
	v_fma_f64 v[19:20], v[17:18], s[20:21], v[19:20]
	v_add_f64 v[17:18], v[29:30], v[19:20]
	s_delay_alu instid0(VALU_DEP_1) | instskip(NEXT) | instid1(VALU_DEP_1)
	v_add_f64 v[27:28], v[17:18], -v[29:30]
	v_add_f64 v[19:20], v[19:20], -v[27:28]
	s_and_not1_saveexec_b32 s5, s8
	s_cbranch_execz .LBB138_108
	s_branch .LBB138_107
.LBB138_106:                            ;   in Loop: Header=BB138_4 Depth=1
	s_and_not1_saveexec_b32 s5, s8
	s_cbranch_execz .LBB138_108
.LBB138_107:                            ;   in Loop: Header=BB138_4 Depth=1
	v_mul_f64 v[17:18], |v[11:12]|, s[28:29]
	s_mov_b32 s24, s30
	s_delay_alu instid0(VALU_DEP_1) | instskip(NEXT) | instid1(VALU_DEP_1)
	v_rndne_f64_e32 v[27:28], v[17:18]
	v_fma_f64 v[17:18], v[27:28], s[22:23], |v[11:12]|
	v_mul_f64 v[19:20], v[27:28], s[30:31]
	s_delay_alu instid0(VALU_DEP_2) | instskip(NEXT) | instid1(VALU_DEP_2)
	v_fma_f64 v[31:32], v[27:28], s[30:31], v[17:18]
	v_add_f64 v[29:30], v[17:18], v[19:20]
	s_delay_alu instid0(VALU_DEP_1) | instskip(NEXT) | instid1(VALU_DEP_3)
	v_add_f64 v[17:18], v[17:18], -v[29:30]
	v_add_f64 v[29:30], v[29:30], -v[31:32]
	s_delay_alu instid0(VALU_DEP_2) | instskip(SKIP_1) | instid1(VALU_DEP_2)
	v_add_f64 v[17:18], v[17:18], v[19:20]
	v_fma_f64 v[19:20], v[27:28], s[24:25], v[19:20]
	v_add_f64 v[17:18], v[29:30], v[17:18]
	s_delay_alu instid0(VALU_DEP_1) | instskip(NEXT) | instid1(VALU_DEP_1)
	v_add_f64 v[17:18], v[17:18], -v[19:20]
	v_fma_f64 v[19:20], v[27:28], s[34:35], v[17:18]
	s_delay_alu instid0(VALU_DEP_1) | instskip(NEXT) | instid1(VALU_DEP_1)
	v_add_f64 v[17:18], v[31:32], v[19:20]
	v_add_f64 v[29:30], v[17:18], -v[31:32]
	v_cvt_i32_f64_e32 v31, v[27:28]
	s_delay_alu instid0(VALU_DEP_2)
	v_add_f64 v[19:20], v[19:20], -v[29:30]
.LBB138_108:                            ;   in Loop: Header=BB138_4 Depth=1
	s_or_b32 exec_lo, exec_lo, s5
                                        ; implicit-def: $vgpr32
                                        ; implicit-def: $vgpr27_vgpr28
                                        ; implicit-def: $vgpr29_vgpr30
	s_and_saveexec_b32 s5, s7
	s_delay_alu instid0(SALU_CYCLE_1)
	s_xor_b32 s7, exec_lo, s5
	s_cbranch_execz .LBB138_110
; %bb.109:                              ;   in Loop: Header=BB138_4 Depth=1
	v_ldexp_f64 v[27:28], |v[11:12]|, 0xffffff80
	v_cmp_le_f64_e64 s5, 0x7b000000, |v[11:12]|
	v_trig_preop_f64 v[29:30], |v[11:12]|, 0
	v_trig_preop_f64 v[32:33], |v[11:12]|, 1
	;; [unrolled: 1-line block ×3, first 2 shown]
	s_mov_b32 s20, s22
	s_mov_b32 s27, s25
	s_delay_alu instid0(VALU_DEP_4) | instskip(SKIP_1) | instid1(VALU_DEP_1)
	v_cndmask_b32_e64 v28, v45, v28, s5
	v_cndmask_b32_e64 v27, v11, v27, s5
	v_mul_f64 v[34:35], v[29:30], v[27:28]
	v_mul_f64 v[45:46], v[32:33], v[27:28]
	v_mul_f64 v[57:58], v[51:52], v[27:28]
	s_delay_alu instid0(VALU_DEP_3) | instskip(NEXT) | instid1(VALU_DEP_3)
	v_fma_f64 v[29:30], v[29:30], v[27:28], -v[34:35]
	v_fma_f64 v[32:33], v[32:33], v[27:28], -v[45:46]
	s_delay_alu instid0(VALU_DEP_3) | instskip(NEXT) | instid1(VALU_DEP_3)
	v_fma_f64 v[27:28], v[51:52], v[27:28], -v[57:58]
	v_add_f64 v[47:48], v[45:46], v[29:30]
	s_delay_alu instid0(VALU_DEP_1) | instskip(SKIP_1) | instid1(VALU_DEP_2)
	v_add_f64 v[49:50], v[47:48], -v[45:46]
	v_add_f64 v[55:56], v[34:35], v[47:48]
	v_add_f64 v[53:54], v[47:48], -v[49:50]
	v_add_f64 v[29:30], v[29:30], -v[49:50]
	s_delay_alu instid0(VALU_DEP_3) | instskip(SKIP_1) | instid1(VALU_DEP_4)
	v_ldexp_f64 v[49:50], v[55:56], -2
	v_add_f64 v[34:35], v[55:56], -v[34:35]
	v_add_f64 v[45:46], v[45:46], -v[53:54]
	v_add_f64 v[53:54], v[57:58], v[32:33]
	s_delay_alu instid0(VALU_DEP_4) | instskip(NEXT) | instid1(VALU_DEP_4)
	v_cmp_neq_f64_e64 s5, 0x7ff00000, |v[49:50]|
	v_add_f64 v[34:35], v[47:48], -v[34:35]
	s_delay_alu instid0(VALU_DEP_4) | instskip(SKIP_1) | instid1(VALU_DEP_2)
	v_add_f64 v[29:30], v[29:30], v[45:46]
	v_fract_f64_e32 v[45:46], v[49:50]
	v_add_f64 v[47:48], v[53:54], v[29:30]
	s_delay_alu instid0(VALU_DEP_2) | instskip(NEXT) | instid1(VALU_DEP_3)
	v_cndmask_b32_e64 v46, 0, v46, s5
	v_cndmask_b32_e64 v45, 0, v45, s5
	s_delay_alu instid0(VALU_DEP_1) | instskip(NEXT) | instid1(VALU_DEP_4)
	v_ldexp_f64 v[45:46], v[45:46], 2
	v_add_f64 v[49:50], v[34:35], v[47:48]
	v_add_f64 v[59:60], v[47:48], -v[53:54]
	s_delay_alu instid0(VALU_DEP_2) | instskip(NEXT) | instid1(VALU_DEP_2)
	v_add_f64 v[55:56], v[49:50], v[45:46]
	v_add_f64 v[65:66], v[47:48], -v[59:60]
	v_add_f64 v[29:30], v[29:30], -v[59:60]
	;; [unrolled: 1-line block ×3, first 2 shown]
	s_delay_alu instid0(VALU_DEP_4) | instskip(SKIP_1) | instid1(VALU_DEP_2)
	v_cmp_gt_f64_e64 s5, 0, v[55:56]
	v_add_f64 v[55:56], v[53:54], -v[57:58]
	v_cndmask_b32_e64 v22, 0, 0x40100000, s5
	s_delay_alu instid0(VALU_DEP_2) | instskip(SKIP_2) | instid1(VALU_DEP_4)
	v_add_f64 v[63:64], v[53:54], -v[55:56]
	v_add_f64 v[32:33], v[32:33], -v[55:56]
	;; [unrolled: 1-line block ×3, first 2 shown]
	v_add_f64 v[45:46], v[45:46], v[21:22]
	s_delay_alu instid0(VALU_DEP_4) | instskip(NEXT) | instid1(VALU_DEP_3)
	v_add_f64 v[55:56], v[57:58], -v[63:64]
	v_add_f64 v[29:30], v[29:30], v[53:54]
	s_delay_alu instid0(VALU_DEP_3) | instskip(NEXT) | instid1(VALU_DEP_3)
	v_add_f64 v[61:62], v[49:50], v[45:46]
	v_add_f64 v[32:33], v[32:33], v[55:56]
	s_delay_alu instid0(VALU_DEP_2) | instskip(NEXT) | instid1(VALU_DEP_2)
	v_cvt_i32_f64_e32 v22, v[61:62]
	v_add_f64 v[29:30], v[32:33], v[29:30]
	v_add_f64 v[32:33], v[47:48], -v[34:35]
	s_delay_alu instid0(VALU_DEP_3) | instskip(NEXT) | instid1(VALU_DEP_3)
	v_cvt_f64_i32_e32 v[59:60], v22
	v_add_f64 v[27:28], v[27:28], v[29:30]
	s_delay_alu instid0(VALU_DEP_2) | instskip(NEXT) | instid1(VALU_DEP_2)
	v_add_f64 v[45:46], v[45:46], -v[59:60]
	v_add_f64 v[27:28], v[32:33], v[27:28]
	s_delay_alu instid0(VALU_DEP_2) | instskip(NEXT) | instid1(VALU_DEP_1)
	v_add_f64 v[51:52], v[49:50], v[45:46]
	v_add_f64 v[29:30], v[51:52], -v[45:46]
	v_cmp_le_f64_e64 s5, 0.5, v[51:52]
	s_delay_alu instid0(VALU_DEP_2) | instskip(NEXT) | instid1(VALU_DEP_2)
	v_add_f64 v[29:30], v[49:50], -v[29:30]
	v_add_co_ci_u32_e64 v32, s6, 0, v22, s5
	v_cndmask_b32_e64 v22, 0, 0x3ff00000, s5
	s_delay_alu instid0(VALU_DEP_3) | instskip(NEXT) | instid1(VALU_DEP_2)
	v_add_f64 v[27:28], v[27:28], v[29:30]
	v_add_f64 v[29:30], v[51:52], -v[21:22]
	s_delay_alu instid0(VALU_DEP_1) | instskip(NEXT) | instid1(VALU_DEP_1)
	v_add_f64 v[33:34], v[29:30], v[27:28]
	v_mul_f64 v[35:36], v[33:34], s[20:21]
	v_add_f64 v[29:30], v[33:34], -v[29:30]
	s_delay_alu instid0(VALU_DEP_2) | instskip(NEXT) | instid1(VALU_DEP_2)
	v_fma_f64 v[45:46], v[33:34], s[20:21], -v[35:36]
	v_add_f64 v[27:28], v[27:28], -v[29:30]
	s_delay_alu instid0(VALU_DEP_2) | instskip(NEXT) | instid1(VALU_DEP_1)
	v_fma_f64 v[29:30], v[33:34], s[26:27], v[45:46]
	v_fma_f64 v[29:30], v[27:28], s[20:21], v[29:30]
	s_delay_alu instid0(VALU_DEP_1) | instskip(NEXT) | instid1(VALU_DEP_1)
	v_add_f64 v[27:28], v[35:36], v[29:30]
	v_add_f64 v[33:34], v[27:28], -v[35:36]
	s_delay_alu instid0(VALU_DEP_1)
	v_add_f64 v[29:30], v[29:30], -v[33:34]
	s_and_not1_saveexec_b32 s5, s7
	s_cbranch_execnz .LBB138_111
	s_branch .LBB138_112
.LBB138_110:                            ;   in Loop: Header=BB138_4 Depth=1
	s_and_not1_saveexec_b32 s5, s7
	s_cbranch_execz .LBB138_112
.LBB138_111:                            ;   in Loop: Header=BB138_4 Depth=1
	v_mul_f64 v[27:28], |v[11:12]|, s[28:29]
	s_mov_b32 s24, s30
	s_delay_alu instid0(VALU_DEP_1) | instskip(NEXT) | instid1(VALU_DEP_1)
	v_rndne_f64_e32 v[32:33], v[27:28]
	v_fma_f64 v[27:28], v[32:33], s[22:23], |v[11:12]|
	v_mul_f64 v[29:30], v[32:33], s[30:31]
	s_delay_alu instid0(VALU_DEP_2) | instskip(NEXT) | instid1(VALU_DEP_2)
	v_fma_f64 v[45:46], v[32:33], s[30:31], v[27:28]
	v_add_f64 v[34:35], v[27:28], v[29:30]
	s_delay_alu instid0(VALU_DEP_1) | instskip(NEXT) | instid1(VALU_DEP_3)
	v_add_f64 v[27:28], v[27:28], -v[34:35]
	v_add_f64 v[34:35], v[34:35], -v[45:46]
	s_delay_alu instid0(VALU_DEP_2) | instskip(SKIP_1) | instid1(VALU_DEP_2)
	v_add_f64 v[27:28], v[27:28], v[29:30]
	v_fma_f64 v[29:30], v[32:33], s[24:25], v[29:30]
	v_add_f64 v[27:28], v[34:35], v[27:28]
	s_delay_alu instid0(VALU_DEP_1) | instskip(NEXT) | instid1(VALU_DEP_1)
	v_add_f64 v[27:28], v[27:28], -v[29:30]
	v_fma_f64 v[29:30], v[32:33], s[34:35], v[27:28]
	v_cvt_i32_f64_e32 v32, v[32:33]
	s_delay_alu instid0(VALU_DEP_2) | instskip(NEXT) | instid1(VALU_DEP_1)
	v_add_f64 v[27:28], v[45:46], v[29:30]
	v_add_f64 v[34:35], v[27:28], -v[45:46]
	s_delay_alu instid0(VALU_DEP_1)
	v_add_f64 v[29:30], v[29:30], -v[34:35]
.LBB138_112:                            ;   in Loop: Header=BB138_4 Depth=1
	s_or_b32 exec_lo, exec_lo, s5
	v_mul_f64 v[33:34], v[9:10], s[36:37]
	v_mul_f64 v[47:48], v[17:18], v[17:18]
	;; [unrolled: 1-line block ×3, first 2 shown]
	s_mov_b32 s83, s55
	s_mov_b32 s85, s57
	s_delay_alu instid0(VALU_DEP_4)
	v_mul_f64 v[67:68], v[19:20], 0.5
	v_mul_f64 v[73:74], v[29:30], 0.5
	s_mov_b32 s86, s56
	v_cmp_nlt_f64_e64 s7, 0x40900000, v[9:10]
	v_cmp_ngt_f64_e64 s8, 0xc090cc00, v[9:10]
	v_cmp_class_f64_e64 s6, v[11:12], 0x1f8
	v_and_b32_e32 v11, 1, v32
	s_delay_alu instid0(VALU_DEP_1)
	v_cmp_eq_u32_e64 s9, 0, v11
	v_rndne_f64_e32 v[33:34], v[33:34]
	v_fma_f64 v[51:52], v[47:48], s[74:75], s[72:73]
	v_fma_f64 v[53:54], v[49:50], s[74:75], s[72:73]
	v_mul_f64 v[57:58], v[47:48], 0.5
	v_fma_f64 v[55:56], v[47:48], s[64:65], s[62:63]
	v_fma_f64 v[59:60], v[49:50], s[64:65], s[62:63]
	v_mul_f64 v[61:62], v[49:50], 0.5
	v_mul_f64 v[69:70], v[17:18], -v[47:48]
	v_mul_f64 v[75:76], v[27:28], -v[49:50]
	v_fma_f64 v[35:36], v[33:34], s[38:39], v[9:10]
	v_fma_f64 v[51:52], v[47:48], v[51:52], s[76:77]
	;; [unrolled: 1-line block ×3, first 2 shown]
	v_add_f64 v[63:64], -v[57:58], 1.0
	v_fma_f64 v[55:56], v[47:48], v[55:56], s[66:67]
	v_fma_f64 v[59:60], v[49:50], v[59:60], s[66:67]
	v_add_f64 v[65:66], -v[61:62], 1.0
	v_cvt_i32_f64_e32 v22, v[33:34]
	v_lshlrev_b32_e32 v9, 30, v32
	v_lshlrev_b32_e32 v10, 30, v31
	s_delay_alu instid0(VALU_DEP_2) | instskip(NEXT) | instid1(VALU_DEP_2)
	v_xor_b32_e32 v9, v9, v12
	v_and_b32_e32 v10, 0x80000000, v10
	s_delay_alu instid0(VALU_DEP_2)
	v_and_b32_e32 v12, 0x80000000, v9
	v_fma_f64 v[35:36], v[33:34], s[40:41], v[35:36]
	v_fma_f64 v[51:52], v[47:48], v[51:52], s[78:79]
	v_fma_f64 v[53:54], v[49:50], v[53:54], s[78:79]
	v_add_f64 v[71:72], -v[63:64], 1.0
	v_fma_f64 v[55:56], v[47:48], v[55:56], s[68:69]
	v_fma_f64 v[59:60], v[49:50], v[59:60], s[68:69]
	v_add_f64 v[77:78], -v[65:66], 1.0
	v_fma_f64 v[45:46], v[35:36], s[44:45], s[42:43]
	v_fma_f64 v[51:52], v[47:48], v[51:52], s[54:55]
	;; [unrolled: 1-line block ×3, first 2 shown]
	v_add_f64 v[57:58], v[71:72], -v[57:58]
	v_fma_f64 v[55:56], v[47:48], v[55:56], s[70:71]
	v_fma_f64 v[59:60], v[49:50], v[59:60], s[70:71]
	v_add_f64 v[61:62], v[77:78], -v[61:62]
	v_fma_f64 v[45:46], v[35:36], v[45:46], s[46:47]
	v_fma_f64 v[51:52], v[69:70], v[51:52], v[67:68]
	;; [unrolled: 1-line block ×3, first 2 shown]
	v_fma_f64 v[57:58], v[17:18], -v[19:20], v[57:58]
	v_mul_f64 v[67:68], v[47:48], v[47:48]
	v_fma_f64 v[55:56], v[47:48], v[55:56], s[56:57]
	v_fma_f64 v[45:46], v[35:36], v[45:46], s[48:49]
	v_fma_f64 v[19:20], v[47:48], v[51:52], -v[19:20]
	v_mul_f64 v[47:48], v[49:50], v[49:50]
	v_fma_f64 v[51:52], v[49:50], v[59:60], s[56:57]
	v_fma_f64 v[59:60], v[27:28], -v[29:30], v[61:62]
	v_fma_f64 v[29:30], v[49:50], v[53:54], -v[29:30]
	v_fma_f64 v[49:50], v[67:68], v[55:56], v[57:58]
	v_fma_f64 v[45:46], v[35:36], v[45:46], s[50:51]
	;; [unrolled: 1-line block ×3, first 2 shown]
	s_delay_alu instid0(VALU_DEP_4) | instskip(NEXT) | instid1(VALU_DEP_3)
	v_fma_f64 v[29:30], v[75:76], s[86:87], v[29:30]
	v_fma_f64 v[45:46], v[35:36], v[45:46], s[52:53]
	s_delay_alu instid0(VALU_DEP_3) | instskip(NEXT) | instid1(VALU_DEP_3)
	v_add_f64 v[17:18], v[17:18], -v[19:20]
	v_add_f64 v[27:28], v[27:28], -v[29:30]
	s_delay_alu instid0(VALU_DEP_3) | instskip(NEXT) | instid1(VALU_DEP_3)
	v_fma_f64 v[45:46], v[35:36], v[45:46], s[82:83]
	v_xor_b32_e32 v18, 0x80000000, v18
	s_delay_alu instid0(VALU_DEP_2) | instskip(NEXT) | instid1(VALU_DEP_1)
	v_fma_f64 v[45:46], v[35:36], v[45:46], s[84:85]
	v_fma_f64 v[45:46], v[35:36], v[45:46], s[58:59]
	s_delay_alu instid0(VALU_DEP_1) | instskip(NEXT) | instid1(VALU_DEP_1)
	v_fma_f64 v[45:46], v[35:36], v[45:46], s[60:61]
	v_fma_f64 v[45:46], v[35:36], v[45:46], 1.0
	s_delay_alu instid0(VALU_DEP_1) | instskip(SKIP_2) | instid1(VALU_DEP_3)
	v_fma_f64 v[33:34], v[35:36], v[45:46], 1.0
	v_fma_f64 v[35:36], v[47:48], v[51:52], v[59:60]
	v_add_f64 v[45:46], v[63:64], v[49:50]
	v_ldexp_f64 v[19:20], v[33:34], v22
	s_delay_alu instid0(VALU_DEP_3) | instskip(SKIP_1) | instid1(VALU_DEP_1)
	v_add_f64 v[33:34], v[65:66], v[35:36]
	v_and_b32_e32 v22, 1, v31
	v_cmp_eq_u32_e64 s5, 0, v22
	s_delay_alu instid0(VALU_DEP_1) | instskip(SKIP_2) | instid1(VALU_DEP_2)
	v_cndmask_b32_e64 v11, v18, v46, s5
	v_cndmask_b32_e64 v17, v17, v45, s5
	s_and_b32 s5, s8, s7
                                        ; implicit-def: $vgpr45
	v_xor_b32_e32 v10, v11, v10
	s_delay_alu instid0(VALU_DEP_2) | instskip(NEXT) | instid1(VALU_DEP_2)
	v_cndmask_b32_e64 v9, 0, v17, s6
	v_cndmask_b32_e64 v10, 0x7ff80000, v10, s6
	;; [unrolled: 1-line block ×6, first 2 shown]
	s_delay_alu instid0(VALU_DEP_4) | instskip(NEXT) | instid1(VALU_DEP_4)
	v_cndmask_b32_e64 v20, 0, v20, s8
	v_xor_b32_e32 v12, v22, v12
	s_delay_alu instid0(VALU_DEP_4) | instskip(NEXT) | instid1(VALU_DEP_3)
	v_cndmask_b32_e64 v11, 0, v18, s6
	v_mul_f64 v[17:18], v[19:20], v[9:10]
	s_delay_alu instid0(VALU_DEP_3) | instskip(NEXT) | instid1(VALU_DEP_1)
	v_cndmask_b32_e64 v12, 0x7ff80000, v12, s6
	v_mul_f64 v[19:20], v[19:20], v[11:12]
                                        ; implicit-def: $vgpr11_vgpr12
.LBB138_113:                            ;   in Loop: Header=BB138_4 Depth=1
	s_and_not1_saveexec_b32 s95, s95
	s_cbranch_execz .LBB138_123
; %bb.114:                              ;   in Loop: Header=BB138_4 Depth=1
	v_cmp_ngt_f64_e64 s7, 0x41d00000, |v[11:12]|
                                        ; implicit-def: $vgpr31
                                        ; implicit-def: $vgpr17_vgpr18
                                        ; implicit-def: $vgpr19_vgpr20
	s_delay_alu instid0(VALU_DEP_1) | instskip(NEXT) | instid1(SALU_CYCLE_1)
	s_and_saveexec_b32 s5, s7
	s_xor_b32 s8, exec_lo, s5
	s_cbranch_execz .LBB138_116
; %bb.115:                              ;   in Loop: Header=BB138_4 Depth=1
	v_ldexp_f64 v[17:18], |v[11:12]|, 0xffffff80
	v_cmp_le_f64_e64 s5, 0x7b000000, |v[11:12]|
	v_trig_preop_f64 v[19:20], |v[11:12]|, 0
	v_trig_preop_f64 v[27:28], |v[11:12]|, 1
	;; [unrolled: 1-line block ×3, first 2 shown]
	s_mov_b32 s20, s22
	s_mov_b32 s27, s25
	s_delay_alu instid0(VALU_DEP_4) | instskip(SKIP_1) | instid1(VALU_DEP_1)
	v_cndmask_b32_e64 v18, v45, v18, s5
	v_cndmask_b32_e64 v17, v11, v17, s5
	v_mul_f64 v[29:30], v[19:20], v[17:18]
	v_mul_f64 v[31:32], v[27:28], v[17:18]
	;; [unrolled: 1-line block ×3, first 2 shown]
	s_delay_alu instid0(VALU_DEP_3) | instskip(NEXT) | instid1(VALU_DEP_3)
	v_fma_f64 v[19:20], v[19:20], v[17:18], -v[29:30]
	v_fma_f64 v[27:28], v[27:28], v[17:18], -v[31:32]
	s_delay_alu instid0(VALU_DEP_3) | instskip(NEXT) | instid1(VALU_DEP_3)
	v_fma_f64 v[17:18], v[46:47], v[17:18], -v[52:53]
	v_add_f64 v[33:34], v[31:32], v[19:20]
	s_delay_alu instid0(VALU_DEP_1) | instskip(SKIP_1) | instid1(VALU_DEP_2)
	v_add_f64 v[35:36], v[33:34], -v[31:32]
	v_add_f64 v[50:51], v[29:30], v[33:34]
	v_add_f64 v[48:49], v[33:34], -v[35:36]
	v_add_f64 v[19:20], v[19:20], -v[35:36]
	s_delay_alu instid0(VALU_DEP_3) | instskip(SKIP_1) | instid1(VALU_DEP_4)
	v_ldexp_f64 v[35:36], v[50:51], -2
	v_add_f64 v[29:30], v[50:51], -v[29:30]
	v_add_f64 v[31:32], v[31:32], -v[48:49]
	v_add_f64 v[48:49], v[52:53], v[27:28]
	s_delay_alu instid0(VALU_DEP_4) | instskip(NEXT) | instid1(VALU_DEP_4)
	v_cmp_neq_f64_e64 s5, 0x7ff00000, |v[35:36]|
	v_add_f64 v[29:30], v[33:34], -v[29:30]
	s_delay_alu instid0(VALU_DEP_4) | instskip(SKIP_1) | instid1(VALU_DEP_2)
	v_add_f64 v[19:20], v[19:20], v[31:32]
	v_fract_f64_e32 v[31:32], v[35:36]
	v_add_f64 v[33:34], v[48:49], v[19:20]
	s_delay_alu instid0(VALU_DEP_2) | instskip(NEXT) | instid1(VALU_DEP_3)
	v_cndmask_b32_e64 v32, 0, v32, s5
	v_cndmask_b32_e64 v31, 0, v31, s5
	s_delay_alu instid0(VALU_DEP_1) | instskip(NEXT) | instid1(VALU_DEP_4)
	v_ldexp_f64 v[31:32], v[31:32], 2
	v_add_f64 v[35:36], v[29:30], v[33:34]
	v_add_f64 v[54:55], v[33:34], -v[48:49]
	s_delay_alu instid0(VALU_DEP_2) | instskip(NEXT) | instid1(VALU_DEP_2)
	v_add_f64 v[50:51], v[35:36], v[31:32]
	v_add_f64 v[60:61], v[33:34], -v[54:55]
	v_add_f64 v[19:20], v[19:20], -v[54:55]
	;; [unrolled: 1-line block ×3, first 2 shown]
	s_delay_alu instid0(VALU_DEP_4) | instskip(SKIP_1) | instid1(VALU_DEP_3)
	v_cmp_gt_f64_e64 s5, 0, v[50:51]
	v_add_f64 v[50:51], v[48:49], -v[52:53]
	v_add_f64 v[29:30], v[33:34], -v[29:30]
	s_delay_alu instid0(VALU_DEP_3) | instskip(NEXT) | instid1(VALU_DEP_3)
	v_cndmask_b32_e64 v22, 0, 0x40100000, s5
	v_add_f64 v[58:59], v[48:49], -v[50:51]
	v_add_f64 v[27:28], v[27:28], -v[50:51]
	;; [unrolled: 1-line block ×3, first 2 shown]
	s_delay_alu instid0(VALU_DEP_4) | instskip(NEXT) | instid1(VALU_DEP_4)
	v_add_f64 v[31:32], v[31:32], v[21:22]
	v_add_f64 v[50:51], v[52:53], -v[58:59]
	s_delay_alu instid0(VALU_DEP_3) | instskip(NEXT) | instid1(VALU_DEP_3)
	v_add_f64 v[19:20], v[19:20], v[48:49]
	v_add_f64 v[56:57], v[35:36], v[31:32]
	s_delay_alu instid0(VALU_DEP_3) | instskip(NEXT) | instid1(VALU_DEP_2)
	v_add_f64 v[27:28], v[27:28], v[50:51]
	v_cvt_i32_f64_e32 v22, v[56:57]
	s_delay_alu instid0(VALU_DEP_2) | instskip(NEXT) | instid1(VALU_DEP_2)
	v_add_f64 v[19:20], v[27:28], v[19:20]
	v_cvt_f64_i32_e32 v[54:55], v22
	s_delay_alu instid0(VALU_DEP_2) | instskip(NEXT) | instid1(VALU_DEP_2)
	v_add_f64 v[17:18], v[17:18], v[19:20]
	v_add_f64 v[31:32], v[31:32], -v[54:55]
	s_delay_alu instid0(VALU_DEP_2) | instskip(NEXT) | instid1(VALU_DEP_2)
	v_add_f64 v[17:18], v[29:30], v[17:18]
	v_add_f64 v[27:28], v[35:36], v[31:32]
	s_delay_alu instid0(VALU_DEP_1) | instskip(SKIP_1) | instid1(VALU_DEP_2)
	v_add_f64 v[19:20], v[27:28], -v[31:32]
	v_cmp_le_f64_e64 s5, 0.5, v[27:28]
	v_add_f64 v[19:20], v[35:36], -v[19:20]
	s_delay_alu instid0(VALU_DEP_2) | instskip(SKIP_1) | instid1(VALU_DEP_3)
	v_add_co_ci_u32_e64 v31, s6, 0, v22, s5
	v_cndmask_b32_e64 v22, 0, 0x3ff00000, s5
	v_add_f64 v[17:18], v[17:18], v[19:20]
	s_delay_alu instid0(VALU_DEP_2) | instskip(NEXT) | instid1(VALU_DEP_1)
	v_add_f64 v[19:20], v[27:28], -v[21:22]
	v_add_f64 v[27:28], v[19:20], v[17:18]
	s_delay_alu instid0(VALU_DEP_1) | instskip(SKIP_1) | instid1(VALU_DEP_2)
	v_mul_f64 v[29:30], v[27:28], s[20:21]
	v_add_f64 v[19:20], v[27:28], -v[19:20]
	v_fma_f64 v[32:33], v[27:28], s[20:21], -v[29:30]
	s_delay_alu instid0(VALU_DEP_2) | instskip(NEXT) | instid1(VALU_DEP_2)
	v_add_f64 v[17:18], v[17:18], -v[19:20]
	v_fma_f64 v[19:20], v[27:28], s[26:27], v[32:33]
	s_delay_alu instid0(VALU_DEP_1) | instskip(NEXT) | instid1(VALU_DEP_1)
	v_fma_f64 v[19:20], v[17:18], s[20:21], v[19:20]
	v_add_f64 v[17:18], v[29:30], v[19:20]
	s_delay_alu instid0(VALU_DEP_1) | instskip(NEXT) | instid1(VALU_DEP_1)
	v_add_f64 v[27:28], v[17:18], -v[29:30]
	v_add_f64 v[19:20], v[19:20], -v[27:28]
	s_and_not1_saveexec_b32 s5, s8
	s_cbranch_execz .LBB138_118
	s_branch .LBB138_117
.LBB138_116:                            ;   in Loop: Header=BB138_4 Depth=1
	s_and_not1_saveexec_b32 s5, s8
	s_cbranch_execz .LBB138_118
.LBB138_117:                            ;   in Loop: Header=BB138_4 Depth=1
	v_mul_f64 v[17:18], |v[11:12]|, s[28:29]
	s_mov_b32 s24, s30
	s_delay_alu instid0(VALU_DEP_1) | instskip(NEXT) | instid1(VALU_DEP_1)
	v_rndne_f64_e32 v[27:28], v[17:18]
	v_fma_f64 v[17:18], v[27:28], s[22:23], |v[11:12]|
	v_mul_f64 v[19:20], v[27:28], s[30:31]
	s_delay_alu instid0(VALU_DEP_2) | instskip(NEXT) | instid1(VALU_DEP_2)
	v_fma_f64 v[31:32], v[27:28], s[30:31], v[17:18]
	v_add_f64 v[29:30], v[17:18], v[19:20]
	s_delay_alu instid0(VALU_DEP_1) | instskip(NEXT) | instid1(VALU_DEP_3)
	v_add_f64 v[17:18], v[17:18], -v[29:30]
	v_add_f64 v[29:30], v[29:30], -v[31:32]
	s_delay_alu instid0(VALU_DEP_2) | instskip(SKIP_1) | instid1(VALU_DEP_2)
	v_add_f64 v[17:18], v[17:18], v[19:20]
	v_fma_f64 v[19:20], v[27:28], s[24:25], v[19:20]
	v_add_f64 v[17:18], v[29:30], v[17:18]
	s_delay_alu instid0(VALU_DEP_1) | instskip(NEXT) | instid1(VALU_DEP_1)
	v_add_f64 v[17:18], v[17:18], -v[19:20]
	v_fma_f64 v[19:20], v[27:28], s[34:35], v[17:18]
	s_delay_alu instid0(VALU_DEP_1) | instskip(NEXT) | instid1(VALU_DEP_1)
	v_add_f64 v[17:18], v[31:32], v[19:20]
	v_add_f64 v[29:30], v[17:18], -v[31:32]
	v_cvt_i32_f64_e32 v31, v[27:28]
	s_delay_alu instid0(VALU_DEP_2)
	v_add_f64 v[19:20], v[19:20], -v[29:30]
.LBB138_118:                            ;   in Loop: Header=BB138_4 Depth=1
	s_or_b32 exec_lo, exec_lo, s5
                                        ; implicit-def: $vgpr32
                                        ; implicit-def: $vgpr27_vgpr28
                                        ; implicit-def: $vgpr29_vgpr30
	s_and_saveexec_b32 s5, s7
	s_delay_alu instid0(SALU_CYCLE_1)
	s_xor_b32 s7, exec_lo, s5
	s_cbranch_execz .LBB138_120
; %bb.119:                              ;   in Loop: Header=BB138_4 Depth=1
	v_ldexp_f64 v[27:28], |v[11:12]|, 0xffffff80
	v_cmp_le_f64_e64 s5, 0x7b000000, |v[11:12]|
	v_trig_preop_f64 v[29:30], |v[11:12]|, 0
	v_trig_preop_f64 v[32:33], |v[11:12]|, 1
	;; [unrolled: 1-line block ×3, first 2 shown]
	s_mov_b32 s20, s22
	s_mov_b32 s27, s25
	s_delay_alu instid0(VALU_DEP_4) | instskip(SKIP_1) | instid1(VALU_DEP_1)
	v_cndmask_b32_e64 v28, v45, v28, s5
	v_cndmask_b32_e64 v27, v11, v27, s5
	v_mul_f64 v[34:35], v[29:30], v[27:28]
	v_mul_f64 v[45:46], v[32:33], v[27:28]
	;; [unrolled: 1-line block ×3, first 2 shown]
	s_delay_alu instid0(VALU_DEP_3) | instskip(NEXT) | instid1(VALU_DEP_3)
	v_fma_f64 v[29:30], v[29:30], v[27:28], -v[34:35]
	v_fma_f64 v[32:33], v[32:33], v[27:28], -v[45:46]
	s_delay_alu instid0(VALU_DEP_3) | instskip(NEXT) | instid1(VALU_DEP_3)
	v_fma_f64 v[27:28], v[51:52], v[27:28], -v[57:58]
	v_add_f64 v[47:48], v[45:46], v[29:30]
	s_delay_alu instid0(VALU_DEP_1) | instskip(SKIP_1) | instid1(VALU_DEP_2)
	v_add_f64 v[49:50], v[47:48], -v[45:46]
	v_add_f64 v[55:56], v[34:35], v[47:48]
	v_add_f64 v[53:54], v[47:48], -v[49:50]
	v_add_f64 v[29:30], v[29:30], -v[49:50]
	s_delay_alu instid0(VALU_DEP_3) | instskip(SKIP_1) | instid1(VALU_DEP_4)
	v_ldexp_f64 v[49:50], v[55:56], -2
	v_add_f64 v[34:35], v[55:56], -v[34:35]
	v_add_f64 v[45:46], v[45:46], -v[53:54]
	v_add_f64 v[53:54], v[57:58], v[32:33]
	s_delay_alu instid0(VALU_DEP_4) | instskip(NEXT) | instid1(VALU_DEP_4)
	v_cmp_neq_f64_e64 s5, 0x7ff00000, |v[49:50]|
	v_add_f64 v[34:35], v[47:48], -v[34:35]
	s_delay_alu instid0(VALU_DEP_4) | instskip(SKIP_1) | instid1(VALU_DEP_2)
	v_add_f64 v[29:30], v[29:30], v[45:46]
	v_fract_f64_e32 v[45:46], v[49:50]
	v_add_f64 v[47:48], v[53:54], v[29:30]
	s_delay_alu instid0(VALU_DEP_2) | instskip(NEXT) | instid1(VALU_DEP_3)
	v_cndmask_b32_e64 v46, 0, v46, s5
	v_cndmask_b32_e64 v45, 0, v45, s5
	s_delay_alu instid0(VALU_DEP_1) | instskip(NEXT) | instid1(VALU_DEP_4)
	v_ldexp_f64 v[45:46], v[45:46], 2
	v_add_f64 v[49:50], v[34:35], v[47:48]
	v_add_f64 v[59:60], v[47:48], -v[53:54]
	s_delay_alu instid0(VALU_DEP_2) | instskip(NEXT) | instid1(VALU_DEP_2)
	v_add_f64 v[55:56], v[49:50], v[45:46]
	v_add_f64 v[65:66], v[47:48], -v[59:60]
	v_add_f64 v[29:30], v[29:30], -v[59:60]
	;; [unrolled: 1-line block ×3, first 2 shown]
	s_delay_alu instid0(VALU_DEP_4) | instskip(SKIP_1) | instid1(VALU_DEP_2)
	v_cmp_gt_f64_e64 s5, 0, v[55:56]
	v_add_f64 v[55:56], v[53:54], -v[57:58]
	v_cndmask_b32_e64 v22, 0, 0x40100000, s5
	s_delay_alu instid0(VALU_DEP_2) | instskip(SKIP_2) | instid1(VALU_DEP_4)
	v_add_f64 v[63:64], v[53:54], -v[55:56]
	v_add_f64 v[32:33], v[32:33], -v[55:56]
	;; [unrolled: 1-line block ×3, first 2 shown]
	v_add_f64 v[45:46], v[45:46], v[21:22]
	s_delay_alu instid0(VALU_DEP_4) | instskip(NEXT) | instid1(VALU_DEP_3)
	v_add_f64 v[55:56], v[57:58], -v[63:64]
	v_add_f64 v[29:30], v[29:30], v[53:54]
	s_delay_alu instid0(VALU_DEP_3) | instskip(NEXT) | instid1(VALU_DEP_3)
	v_add_f64 v[61:62], v[49:50], v[45:46]
	v_add_f64 v[32:33], v[32:33], v[55:56]
	s_delay_alu instid0(VALU_DEP_2) | instskip(NEXT) | instid1(VALU_DEP_2)
	v_cvt_i32_f64_e32 v22, v[61:62]
	v_add_f64 v[29:30], v[32:33], v[29:30]
	v_add_f64 v[32:33], v[47:48], -v[34:35]
	s_delay_alu instid0(VALU_DEP_3) | instskip(NEXT) | instid1(VALU_DEP_3)
	v_cvt_f64_i32_e32 v[59:60], v22
	v_add_f64 v[27:28], v[27:28], v[29:30]
	s_delay_alu instid0(VALU_DEP_2) | instskip(NEXT) | instid1(VALU_DEP_2)
	v_add_f64 v[45:46], v[45:46], -v[59:60]
	v_add_f64 v[27:28], v[32:33], v[27:28]
	s_delay_alu instid0(VALU_DEP_2) | instskip(NEXT) | instid1(VALU_DEP_1)
	v_add_f64 v[51:52], v[49:50], v[45:46]
	v_add_f64 v[29:30], v[51:52], -v[45:46]
	v_cmp_le_f64_e64 s5, 0.5, v[51:52]
	s_delay_alu instid0(VALU_DEP_2) | instskip(NEXT) | instid1(VALU_DEP_2)
	v_add_f64 v[29:30], v[49:50], -v[29:30]
	v_add_co_ci_u32_e64 v32, s6, 0, v22, s5
	v_cndmask_b32_e64 v22, 0, 0x3ff00000, s5
	s_delay_alu instid0(VALU_DEP_3) | instskip(NEXT) | instid1(VALU_DEP_2)
	v_add_f64 v[27:28], v[27:28], v[29:30]
	v_add_f64 v[29:30], v[51:52], -v[21:22]
	s_delay_alu instid0(VALU_DEP_1) | instskip(NEXT) | instid1(VALU_DEP_1)
	v_add_f64 v[33:34], v[29:30], v[27:28]
	v_mul_f64 v[35:36], v[33:34], s[20:21]
	v_add_f64 v[29:30], v[33:34], -v[29:30]
	s_delay_alu instid0(VALU_DEP_2) | instskip(NEXT) | instid1(VALU_DEP_2)
	v_fma_f64 v[45:46], v[33:34], s[20:21], -v[35:36]
	v_add_f64 v[27:28], v[27:28], -v[29:30]
	s_delay_alu instid0(VALU_DEP_2) | instskip(NEXT) | instid1(VALU_DEP_1)
	v_fma_f64 v[29:30], v[33:34], s[26:27], v[45:46]
	v_fma_f64 v[29:30], v[27:28], s[20:21], v[29:30]
	s_delay_alu instid0(VALU_DEP_1) | instskip(NEXT) | instid1(VALU_DEP_1)
	v_add_f64 v[27:28], v[35:36], v[29:30]
	v_add_f64 v[33:34], v[27:28], -v[35:36]
	s_delay_alu instid0(VALU_DEP_1)
	v_add_f64 v[29:30], v[29:30], -v[33:34]
	s_and_not1_saveexec_b32 s5, s7
	s_cbranch_execnz .LBB138_121
	s_branch .LBB138_122
.LBB138_120:                            ;   in Loop: Header=BB138_4 Depth=1
	s_and_not1_saveexec_b32 s5, s7
	s_cbranch_execz .LBB138_122
.LBB138_121:                            ;   in Loop: Header=BB138_4 Depth=1
	v_mul_f64 v[27:28], |v[11:12]|, s[28:29]
	s_mov_b32 s24, s30
	s_delay_alu instid0(VALU_DEP_1) | instskip(NEXT) | instid1(VALU_DEP_1)
	v_rndne_f64_e32 v[32:33], v[27:28]
	v_fma_f64 v[27:28], v[32:33], s[22:23], |v[11:12]|
	v_mul_f64 v[29:30], v[32:33], s[30:31]
	s_delay_alu instid0(VALU_DEP_2) | instskip(NEXT) | instid1(VALU_DEP_2)
	v_fma_f64 v[45:46], v[32:33], s[30:31], v[27:28]
	v_add_f64 v[34:35], v[27:28], v[29:30]
	s_delay_alu instid0(VALU_DEP_1) | instskip(NEXT) | instid1(VALU_DEP_3)
	v_add_f64 v[27:28], v[27:28], -v[34:35]
	v_add_f64 v[34:35], v[34:35], -v[45:46]
	s_delay_alu instid0(VALU_DEP_2) | instskip(SKIP_1) | instid1(VALU_DEP_2)
	v_add_f64 v[27:28], v[27:28], v[29:30]
	v_fma_f64 v[29:30], v[32:33], s[24:25], v[29:30]
	v_add_f64 v[27:28], v[34:35], v[27:28]
	s_delay_alu instid0(VALU_DEP_1) | instskip(NEXT) | instid1(VALU_DEP_1)
	v_add_f64 v[27:28], v[27:28], -v[29:30]
	v_fma_f64 v[29:30], v[32:33], s[34:35], v[27:28]
	v_cvt_i32_f64_e32 v32, v[32:33]
	s_delay_alu instid0(VALU_DEP_2) | instskip(NEXT) | instid1(VALU_DEP_1)
	v_add_f64 v[27:28], v[45:46], v[29:30]
	v_add_f64 v[34:35], v[27:28], -v[45:46]
	s_delay_alu instid0(VALU_DEP_1)
	v_add_f64 v[29:30], v[29:30], -v[34:35]
.LBB138_122:                            ;   in Loop: Header=BB138_4 Depth=1
	s_or_b32 exec_lo, exec_lo, s5
	v_add_f64 v[9:10], v[9:10], s[80:81]
	v_mul_f64 v[47:48], v[17:18], v[17:18]
	v_mul_f64 v[49:50], v[27:28], v[27:28]
	s_mov_b32 s83, s55
	s_mov_b32 s85, s57
	s_delay_alu instid0(VALU_DEP_4)
	v_mul_f64 v[67:68], v[19:20], 0.5
	v_mul_f64 v[73:74], v[29:30], 0.5
	s_mov_b32 s86, s56
	v_cmp_class_f64_e64 s6, v[11:12], 0x1f8
	v_mul_f64 v[33:34], v[9:10], s[36:37]
	v_fma_f64 v[51:52], v[47:48], s[74:75], s[72:73]
	v_fma_f64 v[53:54], v[49:50], s[74:75], s[72:73]
	v_mul_f64 v[57:58], v[47:48], 0.5
	v_fma_f64 v[55:56], v[47:48], s[64:65], s[62:63]
	v_fma_f64 v[59:60], v[49:50], s[64:65], s[62:63]
	v_mul_f64 v[61:62], v[49:50], 0.5
	v_mul_f64 v[69:70], v[17:18], -v[47:48]
	v_mul_f64 v[75:76], v[27:28], -v[49:50]
	v_cmp_nlt_f64_e64 s7, 0x40900000, v[9:10]
	v_cmp_ngt_f64_e64 s8, 0xc090cc00, v[9:10]
	v_rndne_f64_e32 v[33:34], v[33:34]
	v_fma_f64 v[51:52], v[47:48], v[51:52], s[76:77]
	v_fma_f64 v[53:54], v[49:50], v[53:54], s[76:77]
	v_add_f64 v[63:64], -v[57:58], 1.0
	v_fma_f64 v[55:56], v[47:48], v[55:56], s[66:67]
	v_fma_f64 v[59:60], v[49:50], v[59:60], s[66:67]
	v_add_f64 v[65:66], -v[61:62], 1.0
	v_fma_f64 v[35:36], v[33:34], s[38:39], v[9:10]
	v_fma_f64 v[51:52], v[47:48], v[51:52], s[78:79]
	;; [unrolled: 1-line block ×3, first 2 shown]
	v_add_f64 v[71:72], -v[63:64], 1.0
	v_fma_f64 v[55:56], v[47:48], v[55:56], s[68:69]
	v_fma_f64 v[59:60], v[49:50], v[59:60], s[68:69]
	v_add_f64 v[77:78], -v[65:66], 1.0
	v_cvt_i32_f64_e32 v22, v[33:34]
	v_lshlrev_b32_e32 v9, 30, v32
	v_lshlrev_b32_e32 v10, 30, v31
	s_delay_alu instid0(VALU_DEP_2) | instskip(NEXT) | instid1(VALU_DEP_2)
	v_xor_b32_e32 v9, v9, v12
	v_and_b32_e32 v10, 0x80000000, v10
	v_fma_f64 v[35:36], v[33:34], s[40:41], v[35:36]
	v_fma_f64 v[51:52], v[47:48], v[51:52], s[54:55]
	;; [unrolled: 1-line block ×3, first 2 shown]
	v_add_f64 v[57:58], v[71:72], -v[57:58]
	v_fma_f64 v[55:56], v[47:48], v[55:56], s[70:71]
	v_fma_f64 v[59:60], v[49:50], v[59:60], s[70:71]
	v_add_f64 v[61:62], v[77:78], -v[61:62]
	v_fma_f64 v[45:46], v[35:36], s[44:45], s[42:43]
	v_fma_f64 v[51:52], v[69:70], v[51:52], v[67:68]
	;; [unrolled: 1-line block ×3, first 2 shown]
	v_fma_f64 v[57:58], v[17:18], -v[19:20], v[57:58]
	v_mul_f64 v[67:68], v[47:48], v[47:48]
	v_fma_f64 v[55:56], v[47:48], v[55:56], s[56:57]
	v_fma_f64 v[45:46], v[35:36], v[45:46], s[46:47]
	v_fma_f64 v[19:20], v[47:48], v[51:52], -v[19:20]
	v_mul_f64 v[47:48], v[49:50], v[49:50]
	v_fma_f64 v[51:52], v[49:50], v[59:60], s[56:57]
	v_fma_f64 v[59:60], v[27:28], -v[29:30], v[61:62]
	v_fma_f64 v[29:30], v[49:50], v[53:54], -v[29:30]
	v_fma_f64 v[49:50], v[67:68], v[55:56], v[57:58]
	v_fma_f64 v[45:46], v[35:36], v[45:46], s[48:49]
	;; [unrolled: 1-line block ×3, first 2 shown]
	s_delay_alu instid0(VALU_DEP_4) | instskip(NEXT) | instid1(VALU_DEP_3)
	v_fma_f64 v[29:30], v[75:76], s[86:87], v[29:30]
	v_fma_f64 v[45:46], v[35:36], v[45:46], s[50:51]
	s_delay_alu instid0(VALU_DEP_3) | instskip(NEXT) | instid1(VALU_DEP_3)
	v_add_f64 v[17:18], v[17:18], -v[19:20]
	v_add_f64 v[27:28], v[27:28], -v[29:30]
	s_delay_alu instid0(VALU_DEP_3) | instskip(NEXT) | instid1(VALU_DEP_3)
	v_fma_f64 v[45:46], v[35:36], v[45:46], s[52:53]
	v_xor_b32_e32 v18, 0x80000000, v18
	s_delay_alu instid0(VALU_DEP_2) | instskip(NEXT) | instid1(VALU_DEP_1)
	v_fma_f64 v[45:46], v[35:36], v[45:46], s[82:83]
	v_fma_f64 v[45:46], v[35:36], v[45:46], s[84:85]
	s_delay_alu instid0(VALU_DEP_1) | instskip(NEXT) | instid1(VALU_DEP_1)
	v_fma_f64 v[45:46], v[35:36], v[45:46], s[58:59]
	v_fma_f64 v[45:46], v[35:36], v[45:46], s[60:61]
	s_delay_alu instid0(VALU_DEP_1) | instskip(NEXT) | instid1(VALU_DEP_1)
	v_fma_f64 v[45:46], v[35:36], v[45:46], 1.0
	v_fma_f64 v[33:34], v[35:36], v[45:46], 1.0
	v_fma_f64 v[35:36], v[47:48], v[51:52], v[59:60]
	v_add_f64 v[45:46], v[63:64], v[49:50]
	s_delay_alu instid0(VALU_DEP_3) | instskip(NEXT) | instid1(VALU_DEP_3)
	v_ldexp_f64 v[19:20], v[33:34], v22
	v_add_f64 v[33:34], v[65:66], v[35:36]
	v_and_b32_e32 v22, 1, v31
	s_delay_alu instid0(VALU_DEP_1) | instskip(NEXT) | instid1(VALU_DEP_1)
	v_cmp_eq_u32_e64 s5, 0, v22
	v_cndmask_b32_e64 v12, v18, v46, s5
	v_and_b32_e32 v18, 0x80000000, v9
	v_cndmask_b32_e64 v17, v17, v45, s5
	s_and_b32 s5, s8, s7
	s_delay_alu instid0(VALU_DEP_3) | instskip(NEXT) | instid1(VALU_DEP_2)
	v_xor_b32_e32 v10, v12, v10
	v_cndmask_b32_e64 v9, 0, v17, s6
	s_delay_alu instid0(VALU_DEP_2) | instskip(SKIP_4) | instid1(VALU_DEP_3)
	v_cndmask_b32_e64 v10, 0x7ff80000, v10, s6
	v_cndmask_b32_e64 v11, 0x7ff00000, v20, s7
	v_and_b32_e32 v20, 1, v32
	v_cndmask_b32_e64 v17, 0, v19, s5
	v_mov_b32_e32 v19, v21
	v_cmp_eq_u32_e64 s9, 0, v20
	s_delay_alu instid0(VALU_DEP_1) | instskip(SKIP_2) | instid1(VALU_DEP_3)
	v_cndmask_b32_e64 v22, v34, v28, s9
	v_cndmask_b32_e64 v20, v33, v27, s9
	;; [unrolled: 1-line block ×3, first 2 shown]
	v_xor_b32_e32 v12, v22, v18
	s_delay_alu instid0(VALU_DEP_3) | instskip(NEXT) | instid1(VALU_DEP_3)
	v_cndmask_b32_e64 v11, 0, v20, s6
	v_and_or_b32 v18, v27, s91, 0x7fe00000
	s_delay_alu instid0(VALU_DEP_3) | instskip(NEXT) | instid1(VALU_DEP_2)
	v_cndmask_b32_e64 v12, 0x7ff80000, v12, s6
	v_mul_f64 v[9:10], v[17:18], v[9:10]
	s_delay_alu instid0(VALU_DEP_2) | instskip(SKIP_1) | instid1(VALU_DEP_1)
	v_mul_f64 v[11:12], v[17:18], v[11:12]
	v_lshrrev_b32_e32 v17, 20, v27
	v_add_nc_u32_e32 v17, 0xffffff09, v17
	s_delay_alu instid0(VALU_DEP_1) | instskip(NEXT) | instid1(VALU_DEP_1)
	v_lshrrev_b16 v18, 15, v17
	v_add_nc_u16 v18, v17, v18
	s_delay_alu instid0(VALU_DEP_1) | instskip(NEXT) | instid1(VALU_DEP_1)
	v_ashrrev_i16 v18, 1, v18
	v_bfe_i32 v18, v18, 0, 16
	s_delay_alu instid0(VALU_DEP_1) | instskip(SKIP_1) | instid1(VALU_DEP_2)
	v_lshl_add_u32 v22, v18, 20, 0x3ff00000
	v_sub_nc_u32_e32 v17, v17, v18
	v_mul_f64 v[9:10], v[9:10], v[21:22]
	s_delay_alu instid0(VALU_DEP_2) | instskip(SKIP_1) | instid1(VALU_DEP_2)
	v_lshl_add_u32 v20, v17, 20, 0x3ff00000
	v_mul_f64 v[11:12], v[11:12], v[21:22]
	v_mul_f64 v[17:18], v[9:10], v[19:20]
	s_delay_alu instid0(VALU_DEP_2)
	v_mul_f64 v[19:20], v[11:12], v[19:20]
.LBB138_123:                            ;   in Loop: Header=BB138_4 Depth=1
	s_or_b32 exec_lo, exec_lo, s95
                                        ; implicit-def: $vgpr9_vgpr10
                                        ; implicit-def: $vgpr22
.LBB138_124:                            ;   in Loop: Header=BB138_4 Depth=1
	s_and_not1_saveexec_b32 s7, s94
	s_cbranch_execz .LBB138_130
; %bb.125:                              ;   in Loop: Header=BB138_4 Depth=1
	v_add_f64 v[19:20], v[11:12], -v[11:12]
	v_cmp_ne_u32_e64 s5, 0, v9
	v_cmp_ne_u32_e64 s6, 0x7ff00000, v22
	s_delay_alu instid0(VALU_DEP_1) | instskip(NEXT) | instid1(SALU_CYCLE_1)
	s_or_b32 s5, s5, s6
	s_and_saveexec_b32 s6, s5
	s_delay_alu instid0(SALU_CYCLE_1)
	s_xor_b32 s5, exec_lo, s6
; %bb.126:                              ;   in Loop: Header=BB138_4 Depth=1
                                        ; implicit-def: $vgpr9_vgpr10
; %bb.127:                              ;   in Loop: Header=BB138_4 Depth=1
	s_delay_alu instid0(SALU_CYCLE_1) | instskip(NEXT) | instid1(VALU_DEP_3)
	s_or_saveexec_b32 s6, s5
	v_dual_mov_b32 v17, v19 :: v_dual_mov_b32 v18, v20
	s_xor_b32 exec_lo, exec_lo, s6
; %bb.128:                              ;   in Loop: Header=BB138_4 Depth=1
	v_cmp_lt_i64_e64 s5, -1, v[9:10]
	s_delay_alu instid0(VALU_DEP_1)
	v_cndmask_b32_e64 v18, 0, v10, s5
	v_cndmask_b32_e64 v17, 0, v9, s5
	;; [unrolled: 1-line block ×4, first 2 shown]
; %bb.129:                              ;   in Loop: Header=BB138_4 Depth=1
	s_or_b32 exec_lo, exec_lo, s6
.LBB138_130:                            ;   in Loop: Header=BB138_4 Depth=1
	s_delay_alu instid0(SALU_CYCLE_1)
	s_or_b32 exec_lo, exec_lo, s7
                                        ; implicit-def: $vgpr11_vgpr12
                                        ; implicit-def: $vgpr45
.LBB138_131:                            ;   in Loop: Header=BB138_4 Depth=1
	s_and_not1_saveexec_b32 s8, s93
	s_cbranch_execz .LBB138_141
; %bb.132:                              ;   in Loop: Header=BB138_4 Depth=1
	v_cmp_ngt_f64_e64 s7, 0x41d00000, |v[11:12]|
	v_trig_preop_f64 v[29:30], |v[11:12]|, 0
	v_trig_preop_f64 v[27:28], |v[11:12]|, 1
	v_ldexp_f64 v[31:32], |v[11:12]|, 0xffffff80
	v_trig_preop_f64 v[19:20], |v[11:12]|, 2
                                        ; implicit-def: $vgpr46
                                        ; implicit-def: $vgpr9_vgpr10
                                        ; implicit-def: $vgpr17_vgpr18
	s_and_saveexec_b32 s5, s7
	s_delay_alu instid0(SALU_CYCLE_1)
	s_xor_b32 s9, exec_lo, s5
	s_cbranch_execz .LBB138_134
; %bb.133:                              ;   in Loop: Header=BB138_4 Depth=1
	v_cmp_le_f64_e64 s5, 0x7b000000, |v[11:12]|
	s_mov_b32 s20, s22
	s_mov_b32 s27, s25
	s_delay_alu instid0(VALU_DEP_1) | instskip(NEXT) | instid1(VALU_DEP_4)
	v_cndmask_b32_e64 v10, v45, v32, s5
	v_cndmask_b32_e64 v9, v11, v31, s5
	s_delay_alu instid0(VALU_DEP_1) | instskip(SKIP_2) | instid1(VALU_DEP_3)
	v_mul_f64 v[17:18], v[29:30], v[9:10]
	v_mul_f64 v[33:34], v[27:28], v[9:10]
	;; [unrolled: 1-line block ×3, first 2 shown]
	v_fma_f64 v[35:36], v[29:30], v[9:10], -v[17:18]
	s_delay_alu instid0(VALU_DEP_3) | instskip(NEXT) | instid1(VALU_DEP_3)
	v_fma_f64 v[56:57], v[27:28], v[9:10], -v[33:34]
	v_fma_f64 v[9:10], v[19:20], v[9:10], -v[54:55]
	s_delay_alu instid0(VALU_DEP_3) | instskip(NEXT) | instid1(VALU_DEP_1)
	v_add_f64 v[46:47], v[33:34], v[35:36]
	v_add_f64 v[48:49], v[46:47], -v[33:34]
	v_add_f64 v[52:53], v[17:18], v[46:47]
	s_delay_alu instid0(VALU_DEP_2) | instskip(SKIP_1) | instid1(VALU_DEP_3)
	v_add_f64 v[50:51], v[46:47], -v[48:49]
	v_add_f64 v[35:36], v[35:36], -v[48:49]
	v_ldexp_f64 v[48:49], v[52:53], -2
	v_add_f64 v[17:18], v[52:53], -v[17:18]
	s_delay_alu instid0(VALU_DEP_4) | instskip(SKIP_1) | instid1(VALU_DEP_4)
	v_add_f64 v[33:34], v[33:34], -v[50:51]
	v_add_f64 v[50:51], v[54:55], v[56:57]
	v_cmp_neq_f64_e64 s5, 0x7ff00000, |v[48:49]|
	s_delay_alu instid0(VALU_DEP_4) | instskip(NEXT) | instid1(VALU_DEP_4)
	v_add_f64 v[17:18], v[46:47], -v[17:18]
	v_add_f64 v[33:34], v[35:36], v[33:34]
	v_fract_f64_e32 v[35:36], v[48:49]
	s_delay_alu instid0(VALU_DEP_2) | instskip(NEXT) | instid1(VALU_DEP_2)
	v_add_f64 v[46:47], v[50:51], v[33:34]
	v_cndmask_b32_e64 v36, 0, v36, s5
	s_delay_alu instid0(VALU_DEP_3) | instskip(NEXT) | instid1(VALU_DEP_1)
	v_cndmask_b32_e64 v35, 0, v35, s5
	v_ldexp_f64 v[35:36], v[35:36], 2
	s_delay_alu instid0(VALU_DEP_4) | instskip(SKIP_1) | instid1(VALU_DEP_2)
	v_add_f64 v[48:49], v[17:18], v[46:47]
	v_add_f64 v[58:59], v[46:47], -v[50:51]
	v_add_f64 v[52:53], v[48:49], v[35:36]
	s_delay_alu instid0(VALU_DEP_2) | instskip(SKIP_2) | instid1(VALU_DEP_4)
	v_add_f64 v[64:65], v[46:47], -v[58:59]
	v_add_f64 v[33:34], v[33:34], -v[58:59]
	;; [unrolled: 1-line block ×3, first 2 shown]
	v_cmp_gt_f64_e64 s5, 0, v[52:53]
	v_add_f64 v[52:53], v[50:51], -v[54:55]
	s_delay_alu instid0(VALU_DEP_3) | instskip(NEXT) | instid1(VALU_DEP_3)
	v_add_f64 v[17:18], v[46:47], -v[17:18]
	v_cndmask_b32_e64 v22, 0, 0x40100000, s5
	s_delay_alu instid0(VALU_DEP_3) | instskip(SKIP_2) | instid1(VALU_DEP_4)
	v_add_f64 v[62:63], v[50:51], -v[52:53]
	v_add_f64 v[52:53], v[56:57], -v[52:53]
	;; [unrolled: 1-line block ×3, first 2 shown]
	v_add_f64 v[35:36], v[35:36], v[21:22]
	s_delay_alu instid0(VALU_DEP_4) | instskip(NEXT) | instid1(VALU_DEP_3)
	v_add_f64 v[56:57], v[54:55], -v[62:63]
	v_add_f64 v[33:34], v[33:34], v[50:51]
	s_delay_alu instid0(VALU_DEP_3) | instskip(NEXT) | instid1(VALU_DEP_3)
	v_add_f64 v[60:61], v[48:49], v[35:36]
	v_add_f64 v[52:53], v[52:53], v[56:57]
	s_delay_alu instid0(VALU_DEP_2) | instskip(NEXT) | instid1(VALU_DEP_2)
	v_cvt_i32_f64_e32 v22, v[60:61]
	v_add_f64 v[33:34], v[52:53], v[33:34]
	s_delay_alu instid0(VALU_DEP_2) | instskip(NEXT) | instid1(VALU_DEP_2)
	v_cvt_f64_i32_e32 v[58:59], v22
	v_add_f64 v[9:10], v[9:10], v[33:34]
	s_delay_alu instid0(VALU_DEP_2) | instskip(NEXT) | instid1(VALU_DEP_2)
	v_add_f64 v[35:36], v[35:36], -v[58:59]
	v_add_f64 v[9:10], v[17:18], v[9:10]
	s_delay_alu instid0(VALU_DEP_2) | instskip(NEXT) | instid1(VALU_DEP_1)
	v_add_f64 v[50:51], v[48:49], v[35:36]
	v_add_f64 v[33:34], v[50:51], -v[35:36]
	v_cmp_le_f64_e64 s5, 0.5, v[50:51]
	s_delay_alu instid0(VALU_DEP_2) | instskip(NEXT) | instid1(VALU_DEP_2)
	v_add_f64 v[17:18], v[48:49], -v[33:34]
	v_add_co_ci_u32_e64 v46, s6, 0, v22, s5
	v_cndmask_b32_e64 v22, 0, 0x3ff00000, s5
	s_delay_alu instid0(VALU_DEP_3) | instskip(NEXT) | instid1(VALU_DEP_2)
	v_add_f64 v[9:10], v[9:10], v[17:18]
	v_add_f64 v[17:18], v[50:51], -v[21:22]
	s_delay_alu instid0(VALU_DEP_1) | instskip(NEXT) | instid1(VALU_DEP_1)
	v_add_f64 v[33:34], v[17:18], v[9:10]
	v_mul_f64 v[35:36], v[33:34], s[20:21]
	v_add_f64 v[17:18], v[33:34], -v[17:18]
	s_delay_alu instid0(VALU_DEP_2) | instskip(NEXT) | instid1(VALU_DEP_2)
	v_fma_f64 v[47:48], v[33:34], s[20:21], -v[35:36]
	v_add_f64 v[9:10], v[9:10], -v[17:18]
	s_delay_alu instid0(VALU_DEP_2) | instskip(NEXT) | instid1(VALU_DEP_1)
	v_fma_f64 v[17:18], v[33:34], s[26:27], v[47:48]
	v_fma_f64 v[17:18], v[9:10], s[20:21], v[17:18]
	s_delay_alu instid0(VALU_DEP_1) | instskip(NEXT) | instid1(VALU_DEP_1)
	v_add_f64 v[9:10], v[35:36], v[17:18]
	v_add_f64 v[33:34], v[9:10], -v[35:36]
	s_delay_alu instid0(VALU_DEP_1)
	v_add_f64 v[17:18], v[17:18], -v[33:34]
	s_and_not1_saveexec_b32 s5, s9
	s_cbranch_execz .LBB138_136
	s_branch .LBB138_135
.LBB138_134:                            ;   in Loop: Header=BB138_4 Depth=1
	s_and_not1_saveexec_b32 s5, s9
	s_cbranch_execz .LBB138_136
.LBB138_135:                            ;   in Loop: Header=BB138_4 Depth=1
	v_mul_f64 v[9:10], |v[11:12]|, s[28:29]
	s_mov_b32 s24, s30
	s_delay_alu instid0(VALU_DEP_1) | instskip(NEXT) | instid1(VALU_DEP_1)
	v_rndne_f64_e32 v[33:34], v[9:10]
	v_fma_f64 v[9:10], v[33:34], s[22:23], |v[11:12]|
	v_mul_f64 v[17:18], v[33:34], s[30:31]
	s_delay_alu instid0(VALU_DEP_2) | instskip(NEXT) | instid1(VALU_DEP_2)
	v_fma_f64 v[46:47], v[33:34], s[30:31], v[9:10]
	v_add_f64 v[35:36], v[9:10], v[17:18]
	s_delay_alu instid0(VALU_DEP_1) | instskip(NEXT) | instid1(VALU_DEP_3)
	v_add_f64 v[9:10], v[9:10], -v[35:36]
	v_add_f64 v[35:36], v[35:36], -v[46:47]
	s_delay_alu instid0(VALU_DEP_2) | instskip(SKIP_1) | instid1(VALU_DEP_2)
	v_add_f64 v[9:10], v[9:10], v[17:18]
	v_fma_f64 v[17:18], v[33:34], s[24:25], v[17:18]
	v_add_f64 v[9:10], v[35:36], v[9:10]
	s_delay_alu instid0(VALU_DEP_1) | instskip(NEXT) | instid1(VALU_DEP_1)
	v_add_f64 v[9:10], v[9:10], -v[17:18]
	v_fma_f64 v[17:18], v[33:34], s[34:35], v[9:10]
	s_delay_alu instid0(VALU_DEP_1) | instskip(NEXT) | instid1(VALU_DEP_1)
	v_add_f64 v[9:10], v[46:47], v[17:18]
	v_add_f64 v[35:36], v[9:10], -v[46:47]
	v_cvt_i32_f64_e32 v46, v[33:34]
	s_delay_alu instid0(VALU_DEP_2)
	v_add_f64 v[17:18], v[17:18], -v[35:36]
.LBB138_136:                            ;   in Loop: Header=BB138_4 Depth=1
	s_or_b32 exec_lo, exec_lo, s5
                                        ; implicit-def: $vgpr47
                                        ; implicit-def: $vgpr33_vgpr34
                                        ; implicit-def: $vgpr35_vgpr36
	s_and_saveexec_b32 s5, s7
	s_delay_alu instid0(SALU_CYCLE_1)
	s_xor_b32 s7, exec_lo, s5
	s_cbranch_execz .LBB138_138
; %bb.137:                              ;   in Loop: Header=BB138_4 Depth=1
	v_cmp_le_f64_e64 s5, 0x7b000000, |v[11:12]|
	s_mov_b32 s20, s22
	s_mov_b32 s27, s25
	s_delay_alu instid0(VALU_DEP_1) | instskip(NEXT) | instid1(VALU_DEP_4)
	v_cndmask_b32_e64 v32, v45, v32, s5
	v_cndmask_b32_e64 v31, v11, v31, s5
	s_delay_alu instid0(VALU_DEP_1) | instskip(SKIP_2) | instid1(VALU_DEP_3)
	v_mul_f64 v[33:34], v[29:30], v[31:32]
	v_mul_f64 v[35:36], v[27:28], v[31:32]
	;; [unrolled: 1-line block ×3, first 2 shown]
	v_fma_f64 v[29:30], v[29:30], v[31:32], -v[33:34]
	s_delay_alu instid0(VALU_DEP_3) | instskip(NEXT) | instid1(VALU_DEP_3)
	v_fma_f64 v[27:28], v[27:28], v[31:32], -v[35:36]
	v_fma_f64 v[19:20], v[19:20], v[31:32], -v[55:56]
	s_delay_alu instid0(VALU_DEP_3) | instskip(NEXT) | instid1(VALU_DEP_1)
	v_add_f64 v[47:48], v[35:36], v[29:30]
	v_add_f64 v[49:50], v[47:48], -v[35:36]
	v_add_f64 v[53:54], v[33:34], v[47:48]
	s_delay_alu instid0(VALU_DEP_2) | instskip(SKIP_1) | instid1(VALU_DEP_3)
	v_add_f64 v[51:52], v[47:48], -v[49:50]
	v_add_f64 v[29:30], v[29:30], -v[49:50]
	v_ldexp_f64 v[49:50], v[53:54], -2
	v_add_f64 v[33:34], v[53:54], -v[33:34]
	s_delay_alu instid0(VALU_DEP_4) | instskip(SKIP_1) | instid1(VALU_DEP_4)
	v_add_f64 v[35:36], v[35:36], -v[51:52]
	v_add_f64 v[51:52], v[55:56], v[27:28]
	v_cmp_neq_f64_e64 s5, 0x7ff00000, |v[49:50]|
	s_delay_alu instid0(VALU_DEP_4) | instskip(NEXT) | instid1(VALU_DEP_4)
	v_add_f64 v[33:34], v[47:48], -v[33:34]
	v_add_f64 v[29:30], v[29:30], v[35:36]
	v_fract_f64_e32 v[35:36], v[49:50]
	s_delay_alu instid0(VALU_DEP_2) | instskip(NEXT) | instid1(VALU_DEP_2)
	v_add_f64 v[47:48], v[51:52], v[29:30]
	v_cndmask_b32_e64 v36, 0, v36, s5
	s_delay_alu instid0(VALU_DEP_3) | instskip(NEXT) | instid1(VALU_DEP_1)
	v_cndmask_b32_e64 v35, 0, v35, s5
	v_ldexp_f64 v[35:36], v[35:36], 2
	s_delay_alu instid0(VALU_DEP_4) | instskip(SKIP_1) | instid1(VALU_DEP_2)
	v_add_f64 v[49:50], v[33:34], v[47:48]
	v_add_f64 v[57:58], v[47:48], -v[51:52]
	v_add_f64 v[53:54], v[49:50], v[35:36]
	s_delay_alu instid0(VALU_DEP_2) | instskip(SKIP_2) | instid1(VALU_DEP_4)
	v_add_f64 v[63:64], v[47:48], -v[57:58]
	v_add_f64 v[29:30], v[29:30], -v[57:58]
	;; [unrolled: 1-line block ×3, first 2 shown]
	v_cmp_gt_f64_e64 s5, 0, v[53:54]
	v_add_f64 v[53:54], v[51:52], -v[55:56]
	s_delay_alu instid0(VALU_DEP_3) | instskip(NEXT) | instid1(VALU_DEP_3)
	v_add_f64 v[31:32], v[47:48], -v[31:32]
	v_cndmask_b32_e64 v22, 0, 0x40100000, s5
	s_delay_alu instid0(VALU_DEP_3) | instskip(SKIP_2) | instid1(VALU_DEP_4)
	v_add_f64 v[61:62], v[51:52], -v[53:54]
	v_add_f64 v[27:28], v[27:28], -v[53:54]
	v_add_f64 v[51:52], v[51:52], -v[63:64]
	v_add_f64 v[35:36], v[35:36], v[21:22]
	s_delay_alu instid0(VALU_DEP_4) | instskip(NEXT) | instid1(VALU_DEP_3)
	v_add_f64 v[53:54], v[55:56], -v[61:62]
	v_add_f64 v[29:30], v[29:30], v[51:52]
	s_delay_alu instid0(VALU_DEP_3) | instskip(NEXT) | instid1(VALU_DEP_3)
	v_add_f64 v[59:60], v[49:50], v[35:36]
	v_add_f64 v[27:28], v[27:28], v[53:54]
	s_delay_alu instid0(VALU_DEP_2) | instskip(NEXT) | instid1(VALU_DEP_2)
	v_cvt_i32_f64_e32 v22, v[59:60]
	v_add_f64 v[27:28], v[27:28], v[29:30]
	s_delay_alu instid0(VALU_DEP_2) | instskip(NEXT) | instid1(VALU_DEP_2)
	v_cvt_f64_i32_e32 v[57:58], v22
	v_add_f64 v[19:20], v[19:20], v[27:28]
	s_delay_alu instid0(VALU_DEP_2) | instskip(NEXT) | instid1(VALU_DEP_2)
	v_add_f64 v[35:36], v[35:36], -v[57:58]
	v_add_f64 v[19:20], v[31:32], v[19:20]
	s_delay_alu instid0(VALU_DEP_2) | instskip(NEXT) | instid1(VALU_DEP_1)
	v_add_f64 v[29:30], v[49:50], v[35:36]
	v_add_f64 v[27:28], v[29:30], -v[35:36]
	v_cmp_le_f64_e64 s5, 0.5, v[29:30]
	s_delay_alu instid0(VALU_DEP_2) | instskip(NEXT) | instid1(VALU_DEP_2)
	v_add_f64 v[27:28], v[49:50], -v[27:28]
	v_add_co_ci_u32_e64 v47, s6, 0, v22, s5
	v_cndmask_b32_e64 v22, 0, 0x3ff00000, s5
	s_delay_alu instid0(VALU_DEP_3) | instskip(NEXT) | instid1(VALU_DEP_2)
	v_add_f64 v[19:20], v[19:20], v[27:28]
	v_add_f64 v[27:28], v[29:30], -v[21:22]
	s_delay_alu instid0(VALU_DEP_1) | instskip(NEXT) | instid1(VALU_DEP_1)
	v_add_f64 v[29:30], v[27:28], v[19:20]
	v_mul_f64 v[31:32], v[29:30], s[20:21]
	v_add_f64 v[27:28], v[29:30], -v[27:28]
	s_delay_alu instid0(VALU_DEP_2) | instskip(NEXT) | instid1(VALU_DEP_2)
	v_fma_f64 v[33:34], v[29:30], s[20:21], -v[31:32]
	v_add_f64 v[19:20], v[19:20], -v[27:28]
	s_delay_alu instid0(VALU_DEP_2) | instskip(NEXT) | instid1(VALU_DEP_1)
	v_fma_f64 v[27:28], v[29:30], s[26:27], v[33:34]
	v_fma_f64 v[19:20], v[19:20], s[20:21], v[27:28]
	s_delay_alu instid0(VALU_DEP_1) | instskip(NEXT) | instid1(VALU_DEP_1)
	v_add_f64 v[33:34], v[31:32], v[19:20]
	v_add_f64 v[27:28], v[33:34], -v[31:32]
	s_delay_alu instid0(VALU_DEP_1)
	v_add_f64 v[35:36], v[19:20], -v[27:28]
	s_and_not1_saveexec_b32 s5, s7
	s_cbranch_execnz .LBB138_139
	s_branch .LBB138_140
.LBB138_138:                            ;   in Loop: Header=BB138_4 Depth=1
	s_and_not1_saveexec_b32 s5, s7
	s_cbranch_execz .LBB138_140
.LBB138_139:                            ;   in Loop: Header=BB138_4 Depth=1
	v_mul_f64 v[19:20], |v[11:12]|, s[28:29]
	s_mov_b32 s24, s30
	s_delay_alu instid0(VALU_DEP_1) | instskip(NEXT) | instid1(VALU_DEP_1)
	v_rndne_f64_e32 v[19:20], v[19:20]
	v_fma_f64 v[27:28], v[19:20], s[22:23], |v[11:12]|
	v_mul_f64 v[29:30], v[19:20], s[30:31]
	v_cvt_i32_f64_e32 v47, v[19:20]
	s_delay_alu instid0(VALU_DEP_3) | instskip(NEXT) | instid1(VALU_DEP_3)
	v_fma_f64 v[35:36], v[19:20], s[30:31], v[27:28]
	v_add_f64 v[31:32], v[27:28], v[29:30]
	s_delay_alu instid0(VALU_DEP_1) | instskip(NEXT) | instid1(VALU_DEP_3)
	v_add_f64 v[27:28], v[27:28], -v[31:32]
	v_add_f64 v[31:32], v[31:32], -v[35:36]
	s_delay_alu instid0(VALU_DEP_2) | instskip(SKIP_1) | instid1(VALU_DEP_2)
	v_add_f64 v[27:28], v[27:28], v[29:30]
	v_fma_f64 v[29:30], v[19:20], s[24:25], v[29:30]
	v_add_f64 v[27:28], v[31:32], v[27:28]
	s_delay_alu instid0(VALU_DEP_1) | instskip(NEXT) | instid1(VALU_DEP_1)
	v_add_f64 v[27:28], v[27:28], -v[29:30]
	v_fma_f64 v[27:28], v[19:20], s[34:35], v[27:28]
	s_delay_alu instid0(VALU_DEP_1) | instskip(NEXT) | instid1(VALU_DEP_1)
	v_add_f64 v[33:34], v[35:36], v[27:28]
	v_add_f64 v[29:30], v[33:34], -v[35:36]
	s_delay_alu instid0(VALU_DEP_1)
	v_add_f64 v[35:36], v[27:28], -v[29:30]
.LBB138_140:                            ;   in Loop: Header=BB138_4 Depth=1
	s_or_b32 exec_lo, exec_lo, s5
	v_mul_f64 v[19:20], v[9:10], v[9:10]
	v_mul_f64 v[27:28], v[33:34], v[33:34]
	s_delay_alu instid0(VALU_DEP_3) | instskip(NEXT) | instid1(VALU_DEP_4)
	v_mul_f64 v[60:61], v[17:18], 0.5
	v_mul_f64 v[66:67], v[35:36], 0.5
	s_mov_b32 s86, s56
	v_cmp_class_f64_e64 s6, v[11:12], 0x1f8
	v_and_b32_e32 v22, 1, v46
	v_lshlrev_b32_e32 v11, 30, v47
	s_delay_alu instid0(VALU_DEP_2) | instskip(SKIP_1) | instid1(VALU_DEP_3)
	v_cmp_eq_u32_e64 s5, 0, v22
	v_and_b32_e32 v22, 1, v47
	v_xor_b32_e32 v11, v11, v12
	s_delay_alu instid0(VALU_DEP_2) | instskip(NEXT) | instid1(VALU_DEP_2)
	v_cmp_eq_u32_e64 s7, 0, v22
	v_and_b32_e32 v11, 0x80000000, v11
	v_fma_f64 v[29:30], v[19:20], s[74:75], s[72:73]
	v_fma_f64 v[31:32], v[27:28], s[74:75], s[72:73]
	v_mul_f64 v[50:51], v[19:20], 0.5
	v_fma_f64 v[48:49], v[19:20], s[64:65], s[62:63]
	v_fma_f64 v[52:53], v[27:28], s[64:65], s[62:63]
	v_mul_f64 v[54:55], v[27:28], 0.5
	v_mul_f64 v[62:63], v[9:10], -v[19:20]
	v_mul_f64 v[68:69], v[33:34], -v[27:28]
	v_fma_f64 v[29:30], v[19:20], v[29:30], s[76:77]
	v_fma_f64 v[31:32], v[27:28], v[31:32], s[76:77]
	v_add_f64 v[56:57], -v[50:51], 1.0
	v_fma_f64 v[48:49], v[19:20], v[48:49], s[66:67]
	v_fma_f64 v[52:53], v[27:28], v[52:53], s[66:67]
	v_add_f64 v[58:59], -v[54:55], 1.0
	v_fma_f64 v[29:30], v[19:20], v[29:30], s[78:79]
	v_fma_f64 v[31:32], v[27:28], v[31:32], s[78:79]
	v_add_f64 v[64:65], -v[56:57], 1.0
	v_fma_f64 v[48:49], v[19:20], v[48:49], s[68:69]
	v_fma_f64 v[52:53], v[27:28], v[52:53], s[68:69]
	v_add_f64 v[70:71], -v[58:59], 1.0
	v_fma_f64 v[29:30], v[19:20], v[29:30], s[54:55]
	v_fma_f64 v[31:32], v[27:28], v[31:32], s[54:55]
	v_add_f64 v[50:51], v[64:65], -v[50:51]
	v_fma_f64 v[48:49], v[19:20], v[48:49], s[70:71]
	v_fma_f64 v[52:53], v[27:28], v[52:53], s[70:71]
	v_add_f64 v[54:55], v[70:71], -v[54:55]
	v_fma_f64 v[29:30], v[62:63], v[29:30], v[60:61]
	v_fma_f64 v[31:32], v[68:69], v[31:32], v[66:67]
	v_fma_f64 v[50:51], v[9:10], -v[17:18], v[50:51]
	v_mul_f64 v[60:61], v[19:20], v[19:20]
	v_fma_f64 v[48:49], v[19:20], v[48:49], s[56:57]
	v_fma_f64 v[17:18], v[19:20], v[29:30], -v[17:18]
	v_mul_f64 v[19:20], v[27:28], v[27:28]
	v_fma_f64 v[29:30], v[27:28], v[52:53], s[56:57]
	v_fma_f64 v[52:53], v[33:34], -v[35:36], v[54:55]
	v_fma_f64 v[27:28], v[27:28], v[31:32], -v[35:36]
	v_fma_f64 v[31:32], v[60:61], v[48:49], v[50:51]
	v_fma_f64 v[17:18], v[62:63], s[86:87], v[17:18]
	s_delay_alu instid0(VALU_DEP_4) | instskip(NEXT) | instid1(VALU_DEP_4)
	v_fma_f64 v[19:20], v[19:20], v[29:30], v[52:53]
	v_fma_f64 v[27:28], v[68:69], s[86:87], v[27:28]
	s_delay_alu instid0(VALU_DEP_4) | instskip(NEXT) | instid1(VALU_DEP_4)
	v_add_f64 v[29:30], v[56:57], v[31:32]
	v_add_f64 v[9:10], v[9:10], -v[17:18]
	s_delay_alu instid0(VALU_DEP_4) | instskip(NEXT) | instid1(VALU_DEP_4)
	v_add_f64 v[17:18], v[58:59], v[19:20]
	v_add_f64 v[19:20], v[33:34], -v[27:28]
	v_lshlrev_b32_e32 v27, 30, v46
	s_delay_alu instid0(VALU_DEP_1) | instskip(SKIP_3) | instid1(VALU_DEP_3)
	v_and_b32_e32 v12, 0x80000000, v27
	v_xor_b32_e32 v10, 0x80000000, v10
	v_cndmask_b32_e64 v9, v9, v29, s5
	v_cndmask_b32_e64 v19, v17, v19, s7
	;; [unrolled: 1-line block ×4, first 2 shown]
	s_delay_alu instid0(VALU_DEP_3) | instskip(NEXT) | instid1(VALU_DEP_3)
	v_cndmask_b32_e64 v19, 0, v19, s6
	v_xor_b32_e32 v10, v10, v12
	s_delay_alu instid0(VALU_DEP_3) | instskip(SKIP_1) | instid1(VALU_DEP_3)
	v_xor_b32_e32 v11, v17, v11
	v_cndmask_b32_e64 v17, 0, v9, s6
	v_cndmask_b32_e64 v18, 0x7ff80000, v10, s6
	s_delay_alu instid0(VALU_DEP_3)
	v_cndmask_b32_e64 v20, 0x7ff80000, v11, s6
.LBB138_141:                            ;   in Loop: Header=BB138_4 Depth=1
	s_or_b32 exec_lo, exec_lo, s8
                                        ; implicit-def: $vgpr9_vgpr10
.LBB138_142:                            ;   in Loop: Header=BB138_4 Depth=1
	s_and_not1_saveexec_b32 s7, s92
	s_cbranch_execz .LBB138_144
; %bb.143:                              ;   in Loop: Header=BB138_4 Depth=1
	v_mul_f64 v[17:18], v[9:10], s[36:37]
	s_mov_b32 s83, s55
	s_mov_b32 s85, s57
	v_cmp_nlt_f64_e64 s5, 0x40900000, v[9:10]
	v_cmp_ngt_f64_e64 s6, 0xc090cc00, v[9:10]
	s_delay_alu instid0(VALU_DEP_3) | instskip(NEXT) | instid1(VALU_DEP_1)
	v_rndne_f64_e32 v[17:18], v[17:18]
	v_fma_f64 v[19:20], v[17:18], s[38:39], v[9:10]
	v_cvt_i32_f64_e32 v22, v[17:18]
	s_delay_alu instid0(VALU_DEP_2) | instskip(NEXT) | instid1(VALU_DEP_1)
	v_fma_f64 v[19:20], v[17:18], s[40:41], v[19:20]
	v_fma_f64 v[27:28], v[19:20], s[44:45], s[42:43]
	s_delay_alu instid0(VALU_DEP_1) | instskip(NEXT) | instid1(VALU_DEP_1)
	v_fma_f64 v[27:28], v[19:20], v[27:28], s[46:47]
	v_fma_f64 v[27:28], v[19:20], v[27:28], s[48:49]
	s_delay_alu instid0(VALU_DEP_1) | instskip(NEXT) | instid1(VALU_DEP_1)
	;; [unrolled: 3-line block ×5, first 2 shown]
	v_fma_f64 v[27:28], v[19:20], v[27:28], 1.0
	v_fma_f64 v[17:18], v[19:20], v[27:28], 1.0
	v_dual_mov_b32 v20, v12 :: v_dual_mov_b32 v19, v11
	s_delay_alu instid0(VALU_DEP_2) | instskip(NEXT) | instid1(VALU_DEP_1)
	v_ldexp_f64 v[17:18], v[17:18], v22
	v_cndmask_b32_e64 v18, 0x7ff00000, v18, s5
	s_and_b32 s5, s6, s5
	s_delay_alu instid0(VALU_DEP_2) | instid1(SALU_CYCLE_1)
	v_cndmask_b32_e64 v17, 0, v17, s5
	s_delay_alu instid0(VALU_DEP_2)
	v_cndmask_b32_e64 v18, 0, v18, s6
.LBB138_144:                            ;   in Loop: Header=BB138_4 Depth=1
	s_or_b32 exec_lo, exec_lo, s7
	v_and_b32_e32 v45, 0x7fffffff, v4
                                        ; implicit-def: $vgpr11_vgpr12
	s_mov_b32 s6, exec_lo
	s_delay_alu instid0(VALU_DEP_1) | instskip(NEXT) | instid1(VALU_DEP_1)
	v_or_b32_e32 v9, v45, v3
	v_cmpx_ne_u32_e32 0, v9
	s_xor_b32 s92, exec_lo, s6
	s_cbranch_execz .LBB138_150
; %bb.145:                              ;   in Loop: Header=BB138_4 Depth=1
	v_and_b32_e32 v22, 0x7fffffff, v2
                                        ; implicit-def: $vgpr11_vgpr12
	s_mov_b32 s6, exec_lo
	s_delay_alu instid0(VALU_DEP_1) | instskip(NEXT) | instid1(VALU_DEP_1)
	v_or_b32_e32 v9, v22, v1
	v_cmpx_ne_u32_e32 0, v9
	s_xor_b32 s93, exec_lo, s6
	s_cbranch_execz .LBB138_180
; %bb.146:                              ;   in Loop: Header=BB138_4 Depth=1
                                        ; implicit-def: $vgpr11_vgpr12
	s_mov_b32 s6, exec_lo
	v_cmpx_gt_u32_e32 0x7ff00000, v45
	s_xor_b32 s94, exec_lo, s6
	s_cbranch_execz .LBB138_173
; %bb.147:                              ;   in Loop: Header=BB138_4 Depth=1
	v_add_nc_u32_e32 v9, 0xbf79d1be, v2
                                        ; implicit-def: $vgpr11_vgpr12
	s_mov_b32 s6, exec_lo
	s_delay_alu instid0(VALU_DEP_1)
	v_cmpx_lt_u32_e32 0x108aa2, v9
	s_xor_b32 s95, exec_lo, s6
	s_cbranch_execz .LBB138_162
; %bb.148:                              ;   in Loop: Header=BB138_4 Depth=1
	v_cmp_ngt_f64_e64 s7, 0x41d00000, |v[3:4]|
                                        ; implicit-def: $vgpr31
                                        ; implicit-def: $vgpr9_vgpr10
                                        ; implicit-def: $vgpr11_vgpr12
	s_delay_alu instid0(VALU_DEP_1) | instskip(NEXT) | instid1(SALU_CYCLE_1)
	s_and_saveexec_b32 s5, s7
	s_xor_b32 s8, exec_lo, s5
	s_cbranch_execz .LBB138_155
; %bb.149:                              ;   in Loop: Header=BB138_4 Depth=1
	v_ldexp_f64 v[9:10], |v[3:4]|, 0xffffff80
	v_cmp_le_f64_e64 s5, 0x7b000000, |v[3:4]|
	v_trig_preop_f64 v[11:12], |v[3:4]|, 0
	v_trig_preop_f64 v[27:28], |v[3:4]|, 1
	;; [unrolled: 1-line block ×3, first 2 shown]
	s_mov_b32 s20, s22
	s_mov_b32 s27, s25
	s_delay_alu instid0(VALU_DEP_4) | instskip(SKIP_1) | instid1(VALU_DEP_1)
	v_cndmask_b32_e64 v10, v45, v10, s5
	v_cndmask_b32_e64 v9, v3, v9, s5
	v_mul_f64 v[29:30], v[11:12], v[9:10]
	v_mul_f64 v[31:32], v[27:28], v[9:10]
	;; [unrolled: 1-line block ×3, first 2 shown]
	s_delay_alu instid0(VALU_DEP_3) | instskip(NEXT) | instid1(VALU_DEP_3)
	v_fma_f64 v[11:12], v[11:12], v[9:10], -v[29:30]
	v_fma_f64 v[27:28], v[27:28], v[9:10], -v[31:32]
	s_delay_alu instid0(VALU_DEP_3) | instskip(NEXT) | instid1(VALU_DEP_3)
	v_fma_f64 v[9:10], v[46:47], v[9:10], -v[52:53]
	v_add_f64 v[33:34], v[31:32], v[11:12]
	s_delay_alu instid0(VALU_DEP_1) | instskip(SKIP_1) | instid1(VALU_DEP_2)
	v_add_f64 v[35:36], v[33:34], -v[31:32]
	v_add_f64 v[50:51], v[29:30], v[33:34]
	v_add_f64 v[48:49], v[33:34], -v[35:36]
	v_add_f64 v[11:12], v[11:12], -v[35:36]
	s_delay_alu instid0(VALU_DEP_3) | instskip(SKIP_1) | instid1(VALU_DEP_4)
	v_ldexp_f64 v[35:36], v[50:51], -2
	v_add_f64 v[29:30], v[50:51], -v[29:30]
	v_add_f64 v[31:32], v[31:32], -v[48:49]
	v_add_f64 v[48:49], v[52:53], v[27:28]
	s_delay_alu instid0(VALU_DEP_4) | instskip(NEXT) | instid1(VALU_DEP_4)
	v_cmp_neq_f64_e64 s5, 0x7ff00000, |v[35:36]|
	v_add_f64 v[29:30], v[33:34], -v[29:30]
	s_delay_alu instid0(VALU_DEP_4) | instskip(SKIP_1) | instid1(VALU_DEP_2)
	v_add_f64 v[11:12], v[11:12], v[31:32]
	v_fract_f64_e32 v[31:32], v[35:36]
	v_add_f64 v[33:34], v[48:49], v[11:12]
	s_delay_alu instid0(VALU_DEP_2) | instskip(NEXT) | instid1(VALU_DEP_3)
	v_cndmask_b32_e64 v32, 0, v32, s5
	v_cndmask_b32_e64 v31, 0, v31, s5
	s_delay_alu instid0(VALU_DEP_1) | instskip(NEXT) | instid1(VALU_DEP_4)
	v_ldexp_f64 v[31:32], v[31:32], 2
	v_add_f64 v[35:36], v[29:30], v[33:34]
	v_add_f64 v[54:55], v[33:34], -v[48:49]
	s_delay_alu instid0(VALU_DEP_2) | instskip(NEXT) | instid1(VALU_DEP_2)
	v_add_f64 v[50:51], v[35:36], v[31:32]
	v_add_f64 v[60:61], v[33:34], -v[54:55]
	v_add_f64 v[11:12], v[11:12], -v[54:55]
	;; [unrolled: 1-line block ×3, first 2 shown]
	s_delay_alu instid0(VALU_DEP_4) | instskip(SKIP_1) | instid1(VALU_DEP_3)
	v_cmp_gt_f64_e64 s5, 0, v[50:51]
	v_add_f64 v[50:51], v[48:49], -v[52:53]
	v_add_f64 v[29:30], v[33:34], -v[29:30]
	s_delay_alu instid0(VALU_DEP_3) | instskip(NEXT) | instid1(VALU_DEP_3)
	v_cndmask_b32_e64 v22, 0, 0x40100000, s5
	v_add_f64 v[58:59], v[48:49], -v[50:51]
	v_add_f64 v[27:28], v[27:28], -v[50:51]
	;; [unrolled: 1-line block ×3, first 2 shown]
	s_delay_alu instid0(VALU_DEP_4) | instskip(NEXT) | instid1(VALU_DEP_4)
	v_add_f64 v[31:32], v[31:32], v[21:22]
	v_add_f64 v[50:51], v[52:53], -v[58:59]
	s_delay_alu instid0(VALU_DEP_3) | instskip(NEXT) | instid1(VALU_DEP_3)
	v_add_f64 v[11:12], v[11:12], v[48:49]
	v_add_f64 v[56:57], v[35:36], v[31:32]
	s_delay_alu instid0(VALU_DEP_3) | instskip(NEXT) | instid1(VALU_DEP_2)
	v_add_f64 v[27:28], v[27:28], v[50:51]
	v_cvt_i32_f64_e32 v22, v[56:57]
	s_delay_alu instid0(VALU_DEP_2) | instskip(NEXT) | instid1(VALU_DEP_2)
	v_add_f64 v[11:12], v[27:28], v[11:12]
	v_cvt_f64_i32_e32 v[54:55], v22
	s_delay_alu instid0(VALU_DEP_2) | instskip(NEXT) | instid1(VALU_DEP_2)
	v_add_f64 v[9:10], v[9:10], v[11:12]
	v_add_f64 v[31:32], v[31:32], -v[54:55]
	s_delay_alu instid0(VALU_DEP_2) | instskip(NEXT) | instid1(VALU_DEP_2)
	v_add_f64 v[9:10], v[29:30], v[9:10]
	v_add_f64 v[27:28], v[35:36], v[31:32]
	s_delay_alu instid0(VALU_DEP_1) | instskip(SKIP_1) | instid1(VALU_DEP_2)
	v_add_f64 v[11:12], v[27:28], -v[31:32]
	v_cmp_le_f64_e64 s5, 0.5, v[27:28]
	v_add_f64 v[11:12], v[35:36], -v[11:12]
	s_delay_alu instid0(VALU_DEP_2) | instskip(SKIP_1) | instid1(VALU_DEP_3)
	v_add_co_ci_u32_e64 v31, s6, 0, v22, s5
	v_cndmask_b32_e64 v22, 0, 0x3ff00000, s5
	v_add_f64 v[9:10], v[9:10], v[11:12]
	s_delay_alu instid0(VALU_DEP_2) | instskip(NEXT) | instid1(VALU_DEP_1)
	v_add_f64 v[11:12], v[27:28], -v[21:22]
	v_add_f64 v[27:28], v[11:12], v[9:10]
	s_delay_alu instid0(VALU_DEP_1) | instskip(SKIP_1) | instid1(VALU_DEP_2)
	v_mul_f64 v[29:30], v[27:28], s[20:21]
	v_add_f64 v[11:12], v[27:28], -v[11:12]
	v_fma_f64 v[32:33], v[27:28], s[20:21], -v[29:30]
	s_delay_alu instid0(VALU_DEP_2) | instskip(NEXT) | instid1(VALU_DEP_2)
	v_add_f64 v[9:10], v[9:10], -v[11:12]
	v_fma_f64 v[11:12], v[27:28], s[26:27], v[32:33]
	s_delay_alu instid0(VALU_DEP_1) | instskip(NEXT) | instid1(VALU_DEP_1)
	v_fma_f64 v[11:12], v[9:10], s[20:21], v[11:12]
	v_add_f64 v[9:10], v[29:30], v[11:12]
	s_delay_alu instid0(VALU_DEP_1) | instskip(NEXT) | instid1(VALU_DEP_1)
	v_add_f64 v[27:28], v[9:10], -v[29:30]
	v_add_f64 v[11:12], v[11:12], -v[27:28]
	s_and_not1_saveexec_b32 s5, s8
	s_cbranch_execz .LBB138_157
	s_branch .LBB138_156
.LBB138_150:                            ;   in Loop: Header=BB138_4 Depth=1
	s_and_not1_saveexec_b32 s7, s92
	s_cbranch_execz .LBB138_191
.LBB138_151:                            ;   in Loop: Header=BB138_4 Depth=1
	v_mul_f64 v[9:10], v[1:2], s[36:37]
	s_mov_b32 s83, s55
	s_mov_b32 s85, s57
	v_cmp_nlt_f64_e64 s5, 0x40900000, v[1:2]
	v_cmp_ngt_f64_e64 s6, 0xc090cc00, v[1:2]
	s_delay_alu instid0(VALU_DEP_3) | instskip(NEXT) | instid1(VALU_DEP_1)
	v_rndne_f64_e32 v[9:10], v[9:10]
	v_fma_f64 v[11:12], v[9:10], s[38:39], v[1:2]
	v_cvt_i32_f64_e32 v22, v[9:10]
	s_delay_alu instid0(VALU_DEP_2) | instskip(NEXT) | instid1(VALU_DEP_1)
	v_fma_f64 v[11:12], v[9:10], s[40:41], v[11:12]
	v_fma_f64 v[27:28], v[11:12], s[44:45], s[42:43]
	s_delay_alu instid0(VALU_DEP_1) | instskip(NEXT) | instid1(VALU_DEP_1)
	v_fma_f64 v[27:28], v[11:12], v[27:28], s[46:47]
	v_fma_f64 v[27:28], v[11:12], v[27:28], s[48:49]
	s_delay_alu instid0(VALU_DEP_1) | instskip(NEXT) | instid1(VALU_DEP_1)
	v_fma_f64 v[27:28], v[11:12], v[27:28], s[50:51]
	v_fma_f64 v[27:28], v[11:12], v[27:28], s[52:53]
	s_delay_alu instid0(VALU_DEP_1) | instskip(NEXT) | instid1(VALU_DEP_1)
	v_fma_f64 v[27:28], v[11:12], v[27:28], s[82:83]
	v_fma_f64 v[27:28], v[11:12], v[27:28], s[84:85]
	s_delay_alu instid0(VALU_DEP_1) | instskip(NEXT) | instid1(VALU_DEP_1)
	v_fma_f64 v[27:28], v[11:12], v[27:28], s[58:59]
	v_fma_f64 v[27:28], v[11:12], v[27:28], s[60:61]
	s_delay_alu instid0(VALU_DEP_1) | instskip(NEXT) | instid1(VALU_DEP_1)
	v_fma_f64 v[27:28], v[11:12], v[27:28], 1.0
	v_fma_f64 v[9:10], v[11:12], v[27:28], 1.0
	v_dual_mov_b32 v12, v4 :: v_dual_mov_b32 v11, v3
	s_delay_alu instid0(VALU_DEP_2) | instskip(NEXT) | instid1(VALU_DEP_1)
	v_ldexp_f64 v[9:10], v[9:10], v22
	v_cndmask_b32_e64 v10, 0x7ff00000, v10, s5
	s_and_b32 s5, s6, s5
	s_delay_alu instid0(VALU_DEP_2) | instid1(SALU_CYCLE_1)
	v_cndmask_b32_e64 v9, 0, v9, s5
	s_delay_alu instid0(VALU_DEP_2) | instskip(SKIP_2) | instid1(SALU_CYCLE_1)
	v_cndmask_b32_e64 v10, 0, v10, s6
	s_or_b32 exec_lo, exec_lo, s7
	s_and_saveexec_b32 s5, vcc_lo
	s_xor_b32 s5, exec_lo, s5
	s_cbranch_execnz .LBB138_192
.LBB138_152:                            ;   in Loop: Header=BB138_4 Depth=1
	s_or_b32 exec_lo, exec_lo, s5
	s_and_saveexec_b32 s5, s2
	s_cbranch_execz .LBB138_193
.LBB138_153:                            ;   in Loop: Header=BB138_4 Depth=1
	v_add_co_u32 v1, s2, s33, v41
	s_delay_alu instid0(VALU_DEP_1)
	v_add_co_ci_u32_e64 v2, null, s88, 0, s2
	global_store_b128 v[1:2], v[13:16], off
	s_or_b32 exec_lo, exec_lo, s5
	s_and_saveexec_b32 s2, s3
	s_cbranch_execnz .LBB138_194
.LBB138_154:                            ;   in Loop: Header=BB138_4 Depth=1
	s_or_b32 exec_lo, exec_lo, s2
	s_and_saveexec_b32 s2, s4
	s_cbranch_execz .LBB138_3
	s_branch .LBB138_195
.LBB138_155:                            ;   in Loop: Header=BB138_4 Depth=1
	s_and_not1_saveexec_b32 s5, s8
	s_cbranch_execz .LBB138_157
.LBB138_156:                            ;   in Loop: Header=BB138_4 Depth=1
	v_mul_f64 v[9:10], |v[3:4]|, s[28:29]
	s_mov_b32 s24, s30
	s_delay_alu instid0(VALU_DEP_1) | instskip(NEXT) | instid1(VALU_DEP_1)
	v_rndne_f64_e32 v[27:28], v[9:10]
	v_fma_f64 v[9:10], v[27:28], s[22:23], |v[3:4]|
	v_mul_f64 v[11:12], v[27:28], s[30:31]
	s_delay_alu instid0(VALU_DEP_2) | instskip(NEXT) | instid1(VALU_DEP_2)
	v_fma_f64 v[31:32], v[27:28], s[30:31], v[9:10]
	v_add_f64 v[29:30], v[9:10], v[11:12]
	s_delay_alu instid0(VALU_DEP_1) | instskip(NEXT) | instid1(VALU_DEP_3)
	v_add_f64 v[9:10], v[9:10], -v[29:30]
	v_add_f64 v[29:30], v[29:30], -v[31:32]
	s_delay_alu instid0(VALU_DEP_2) | instskip(SKIP_1) | instid1(VALU_DEP_2)
	v_add_f64 v[9:10], v[9:10], v[11:12]
	v_fma_f64 v[11:12], v[27:28], s[24:25], v[11:12]
	v_add_f64 v[9:10], v[29:30], v[9:10]
	s_delay_alu instid0(VALU_DEP_1) | instskip(NEXT) | instid1(VALU_DEP_1)
	v_add_f64 v[9:10], v[9:10], -v[11:12]
	v_fma_f64 v[11:12], v[27:28], s[34:35], v[9:10]
	s_delay_alu instid0(VALU_DEP_1) | instskip(NEXT) | instid1(VALU_DEP_1)
	v_add_f64 v[9:10], v[31:32], v[11:12]
	v_add_f64 v[29:30], v[9:10], -v[31:32]
	v_cvt_i32_f64_e32 v31, v[27:28]
	s_delay_alu instid0(VALU_DEP_2)
	v_add_f64 v[11:12], v[11:12], -v[29:30]
.LBB138_157:                            ;   in Loop: Header=BB138_4 Depth=1
	s_or_b32 exec_lo, exec_lo, s5
                                        ; implicit-def: $vgpr32
                                        ; implicit-def: $vgpr27_vgpr28
                                        ; implicit-def: $vgpr29_vgpr30
	s_and_saveexec_b32 s5, s7
	s_delay_alu instid0(SALU_CYCLE_1)
	s_xor_b32 s7, exec_lo, s5
	s_cbranch_execz .LBB138_159
; %bb.158:                              ;   in Loop: Header=BB138_4 Depth=1
	v_ldexp_f64 v[27:28], |v[3:4]|, 0xffffff80
	v_cmp_le_f64_e64 s5, 0x7b000000, |v[3:4]|
	v_trig_preop_f64 v[29:30], |v[3:4]|, 0
	v_trig_preop_f64 v[32:33], |v[3:4]|, 1
	;; [unrolled: 1-line block ×3, first 2 shown]
	s_mov_b32 s20, s22
	s_mov_b32 s27, s25
	s_delay_alu instid0(VALU_DEP_4) | instskip(SKIP_1) | instid1(VALU_DEP_1)
	v_cndmask_b32_e64 v28, v45, v28, s5
	v_cndmask_b32_e64 v27, v3, v27, s5
	v_mul_f64 v[34:35], v[29:30], v[27:28]
	v_mul_f64 v[45:46], v[32:33], v[27:28]
	;; [unrolled: 1-line block ×3, first 2 shown]
	s_delay_alu instid0(VALU_DEP_3) | instskip(NEXT) | instid1(VALU_DEP_3)
	v_fma_f64 v[29:30], v[29:30], v[27:28], -v[34:35]
	v_fma_f64 v[32:33], v[32:33], v[27:28], -v[45:46]
	s_delay_alu instid0(VALU_DEP_3) | instskip(NEXT) | instid1(VALU_DEP_3)
	v_fma_f64 v[27:28], v[51:52], v[27:28], -v[57:58]
	v_add_f64 v[47:48], v[45:46], v[29:30]
	s_delay_alu instid0(VALU_DEP_1) | instskip(SKIP_1) | instid1(VALU_DEP_2)
	v_add_f64 v[49:50], v[47:48], -v[45:46]
	v_add_f64 v[55:56], v[34:35], v[47:48]
	v_add_f64 v[53:54], v[47:48], -v[49:50]
	v_add_f64 v[29:30], v[29:30], -v[49:50]
	s_delay_alu instid0(VALU_DEP_3) | instskip(SKIP_1) | instid1(VALU_DEP_4)
	v_ldexp_f64 v[49:50], v[55:56], -2
	v_add_f64 v[34:35], v[55:56], -v[34:35]
	v_add_f64 v[45:46], v[45:46], -v[53:54]
	v_add_f64 v[53:54], v[57:58], v[32:33]
	s_delay_alu instid0(VALU_DEP_4) | instskip(NEXT) | instid1(VALU_DEP_4)
	v_cmp_neq_f64_e64 s5, 0x7ff00000, |v[49:50]|
	v_add_f64 v[34:35], v[47:48], -v[34:35]
	s_delay_alu instid0(VALU_DEP_4) | instskip(SKIP_1) | instid1(VALU_DEP_2)
	v_add_f64 v[29:30], v[29:30], v[45:46]
	v_fract_f64_e32 v[45:46], v[49:50]
	v_add_f64 v[47:48], v[53:54], v[29:30]
	s_delay_alu instid0(VALU_DEP_2) | instskip(NEXT) | instid1(VALU_DEP_3)
	v_cndmask_b32_e64 v46, 0, v46, s5
	v_cndmask_b32_e64 v45, 0, v45, s5
	s_delay_alu instid0(VALU_DEP_1) | instskip(NEXT) | instid1(VALU_DEP_4)
	v_ldexp_f64 v[45:46], v[45:46], 2
	v_add_f64 v[49:50], v[34:35], v[47:48]
	v_add_f64 v[59:60], v[47:48], -v[53:54]
	s_delay_alu instid0(VALU_DEP_2) | instskip(NEXT) | instid1(VALU_DEP_2)
	v_add_f64 v[55:56], v[49:50], v[45:46]
	v_add_f64 v[65:66], v[47:48], -v[59:60]
	v_add_f64 v[29:30], v[29:30], -v[59:60]
	;; [unrolled: 1-line block ×3, first 2 shown]
	s_delay_alu instid0(VALU_DEP_4) | instskip(SKIP_1) | instid1(VALU_DEP_2)
	v_cmp_gt_f64_e64 s5, 0, v[55:56]
	v_add_f64 v[55:56], v[53:54], -v[57:58]
	v_cndmask_b32_e64 v22, 0, 0x40100000, s5
	s_delay_alu instid0(VALU_DEP_2) | instskip(SKIP_2) | instid1(VALU_DEP_4)
	v_add_f64 v[63:64], v[53:54], -v[55:56]
	v_add_f64 v[32:33], v[32:33], -v[55:56]
	;; [unrolled: 1-line block ×3, first 2 shown]
	v_add_f64 v[45:46], v[45:46], v[21:22]
	s_delay_alu instid0(VALU_DEP_4) | instskip(NEXT) | instid1(VALU_DEP_3)
	v_add_f64 v[55:56], v[57:58], -v[63:64]
	v_add_f64 v[29:30], v[29:30], v[53:54]
	s_delay_alu instid0(VALU_DEP_3) | instskip(NEXT) | instid1(VALU_DEP_3)
	v_add_f64 v[61:62], v[49:50], v[45:46]
	v_add_f64 v[32:33], v[32:33], v[55:56]
	s_delay_alu instid0(VALU_DEP_2) | instskip(NEXT) | instid1(VALU_DEP_2)
	v_cvt_i32_f64_e32 v22, v[61:62]
	v_add_f64 v[29:30], v[32:33], v[29:30]
	v_add_f64 v[32:33], v[47:48], -v[34:35]
	s_delay_alu instid0(VALU_DEP_3) | instskip(NEXT) | instid1(VALU_DEP_3)
	v_cvt_f64_i32_e32 v[59:60], v22
	v_add_f64 v[27:28], v[27:28], v[29:30]
	s_delay_alu instid0(VALU_DEP_2) | instskip(NEXT) | instid1(VALU_DEP_2)
	v_add_f64 v[45:46], v[45:46], -v[59:60]
	v_add_f64 v[27:28], v[32:33], v[27:28]
	s_delay_alu instid0(VALU_DEP_2) | instskip(NEXT) | instid1(VALU_DEP_1)
	v_add_f64 v[51:52], v[49:50], v[45:46]
	v_add_f64 v[29:30], v[51:52], -v[45:46]
	v_cmp_le_f64_e64 s5, 0.5, v[51:52]
	s_delay_alu instid0(VALU_DEP_2) | instskip(NEXT) | instid1(VALU_DEP_2)
	v_add_f64 v[29:30], v[49:50], -v[29:30]
	v_add_co_ci_u32_e64 v32, s6, 0, v22, s5
	v_cndmask_b32_e64 v22, 0, 0x3ff00000, s5
	s_delay_alu instid0(VALU_DEP_3) | instskip(NEXT) | instid1(VALU_DEP_2)
	v_add_f64 v[27:28], v[27:28], v[29:30]
	v_add_f64 v[29:30], v[51:52], -v[21:22]
	s_delay_alu instid0(VALU_DEP_1) | instskip(NEXT) | instid1(VALU_DEP_1)
	v_add_f64 v[33:34], v[29:30], v[27:28]
	v_mul_f64 v[35:36], v[33:34], s[20:21]
	v_add_f64 v[29:30], v[33:34], -v[29:30]
	s_delay_alu instid0(VALU_DEP_2) | instskip(NEXT) | instid1(VALU_DEP_2)
	v_fma_f64 v[45:46], v[33:34], s[20:21], -v[35:36]
	v_add_f64 v[27:28], v[27:28], -v[29:30]
	s_delay_alu instid0(VALU_DEP_2) | instskip(NEXT) | instid1(VALU_DEP_1)
	v_fma_f64 v[29:30], v[33:34], s[26:27], v[45:46]
	v_fma_f64 v[29:30], v[27:28], s[20:21], v[29:30]
	s_delay_alu instid0(VALU_DEP_1) | instskip(NEXT) | instid1(VALU_DEP_1)
	v_add_f64 v[27:28], v[35:36], v[29:30]
	v_add_f64 v[33:34], v[27:28], -v[35:36]
	s_delay_alu instid0(VALU_DEP_1)
	v_add_f64 v[29:30], v[29:30], -v[33:34]
	s_and_not1_saveexec_b32 s5, s7
	s_cbranch_execnz .LBB138_160
	s_branch .LBB138_161
.LBB138_159:                            ;   in Loop: Header=BB138_4 Depth=1
	s_and_not1_saveexec_b32 s5, s7
	s_cbranch_execz .LBB138_161
.LBB138_160:                            ;   in Loop: Header=BB138_4 Depth=1
	v_mul_f64 v[27:28], |v[3:4]|, s[28:29]
	s_mov_b32 s24, s30
	s_delay_alu instid0(VALU_DEP_1) | instskip(NEXT) | instid1(VALU_DEP_1)
	v_rndne_f64_e32 v[32:33], v[27:28]
	v_fma_f64 v[27:28], v[32:33], s[22:23], |v[3:4]|
	v_mul_f64 v[29:30], v[32:33], s[30:31]
	s_delay_alu instid0(VALU_DEP_2) | instskip(NEXT) | instid1(VALU_DEP_2)
	v_fma_f64 v[45:46], v[32:33], s[30:31], v[27:28]
	v_add_f64 v[34:35], v[27:28], v[29:30]
	s_delay_alu instid0(VALU_DEP_1) | instskip(NEXT) | instid1(VALU_DEP_3)
	v_add_f64 v[27:28], v[27:28], -v[34:35]
	v_add_f64 v[34:35], v[34:35], -v[45:46]
	s_delay_alu instid0(VALU_DEP_2) | instskip(SKIP_1) | instid1(VALU_DEP_2)
	v_add_f64 v[27:28], v[27:28], v[29:30]
	v_fma_f64 v[29:30], v[32:33], s[24:25], v[29:30]
	v_add_f64 v[27:28], v[34:35], v[27:28]
	s_delay_alu instid0(VALU_DEP_1) | instskip(NEXT) | instid1(VALU_DEP_1)
	v_add_f64 v[27:28], v[27:28], -v[29:30]
	v_fma_f64 v[29:30], v[32:33], s[34:35], v[27:28]
	v_cvt_i32_f64_e32 v32, v[32:33]
	s_delay_alu instid0(VALU_DEP_2) | instskip(NEXT) | instid1(VALU_DEP_1)
	v_add_f64 v[27:28], v[45:46], v[29:30]
	v_add_f64 v[34:35], v[27:28], -v[45:46]
	s_delay_alu instid0(VALU_DEP_1)
	v_add_f64 v[29:30], v[29:30], -v[34:35]
.LBB138_161:                            ;   in Loop: Header=BB138_4 Depth=1
	s_or_b32 exec_lo, exec_lo, s5
	v_mul_f64 v[33:34], v[1:2], s[36:37]
	v_mul_f64 v[47:48], v[9:10], v[9:10]
	;; [unrolled: 1-line block ×3, first 2 shown]
	s_mov_b32 s83, s55
	s_mov_b32 s85, s57
	s_delay_alu instid0(VALU_DEP_4)
	v_mul_f64 v[67:68], v[11:12], 0.5
	v_mul_f64 v[73:74], v[29:30], 0.5
	s_mov_b32 s86, s56
	v_cmp_nlt_f64_e64 s7, 0x40900000, v[1:2]
	v_cmp_ngt_f64_e64 s8, 0xc090cc00, v[1:2]
	v_cmp_class_f64_e64 s6, v[3:4], 0x1f8
	v_and_b32_e32 v3, 1, v32
	s_delay_alu instid0(VALU_DEP_1)
	v_cmp_eq_u32_e64 s9, 0, v3
	v_rndne_f64_e32 v[33:34], v[33:34]
	v_fma_f64 v[51:52], v[47:48], s[74:75], s[72:73]
	v_fma_f64 v[53:54], v[49:50], s[74:75], s[72:73]
	v_mul_f64 v[57:58], v[47:48], 0.5
	v_fma_f64 v[55:56], v[47:48], s[64:65], s[62:63]
	v_fma_f64 v[59:60], v[49:50], s[64:65], s[62:63]
	v_mul_f64 v[61:62], v[49:50], 0.5
	v_mul_f64 v[69:70], v[9:10], -v[47:48]
	v_mul_f64 v[75:76], v[27:28], -v[49:50]
	v_fma_f64 v[35:36], v[33:34], s[38:39], v[1:2]
	v_fma_f64 v[51:52], v[47:48], v[51:52], s[76:77]
	;; [unrolled: 1-line block ×3, first 2 shown]
	v_add_f64 v[63:64], -v[57:58], 1.0
	v_fma_f64 v[55:56], v[47:48], v[55:56], s[66:67]
	v_fma_f64 v[59:60], v[49:50], v[59:60], s[66:67]
	v_add_f64 v[65:66], -v[61:62], 1.0
	v_cvt_i32_f64_e32 v22, v[33:34]
	v_lshlrev_b32_e32 v1, 30, v32
	v_lshlrev_b32_e32 v2, 30, v31
	s_delay_alu instid0(VALU_DEP_2) | instskip(NEXT) | instid1(VALU_DEP_2)
	v_xor_b32_e32 v1, v1, v4
	v_and_b32_e32 v2, 0x80000000, v2
	s_delay_alu instid0(VALU_DEP_2)
	v_and_b32_e32 v4, 0x80000000, v1
	v_fma_f64 v[35:36], v[33:34], s[40:41], v[35:36]
	v_fma_f64 v[51:52], v[47:48], v[51:52], s[78:79]
	;; [unrolled: 1-line block ×3, first 2 shown]
	v_add_f64 v[71:72], -v[63:64], 1.0
	v_fma_f64 v[55:56], v[47:48], v[55:56], s[68:69]
	v_fma_f64 v[59:60], v[49:50], v[59:60], s[68:69]
	v_add_f64 v[77:78], -v[65:66], 1.0
	v_fma_f64 v[45:46], v[35:36], s[44:45], s[42:43]
	v_fma_f64 v[51:52], v[47:48], v[51:52], s[54:55]
	;; [unrolled: 1-line block ×3, first 2 shown]
	v_add_f64 v[57:58], v[71:72], -v[57:58]
	v_fma_f64 v[55:56], v[47:48], v[55:56], s[70:71]
	v_fma_f64 v[59:60], v[49:50], v[59:60], s[70:71]
	v_add_f64 v[61:62], v[77:78], -v[61:62]
	v_fma_f64 v[45:46], v[35:36], v[45:46], s[46:47]
	v_fma_f64 v[51:52], v[69:70], v[51:52], v[67:68]
	;; [unrolled: 1-line block ×3, first 2 shown]
	v_fma_f64 v[57:58], v[9:10], -v[11:12], v[57:58]
	v_mul_f64 v[67:68], v[47:48], v[47:48]
	v_fma_f64 v[55:56], v[47:48], v[55:56], s[56:57]
	v_fma_f64 v[45:46], v[35:36], v[45:46], s[48:49]
	v_fma_f64 v[11:12], v[47:48], v[51:52], -v[11:12]
	v_mul_f64 v[47:48], v[49:50], v[49:50]
	v_fma_f64 v[51:52], v[49:50], v[59:60], s[56:57]
	v_fma_f64 v[59:60], v[27:28], -v[29:30], v[61:62]
	v_fma_f64 v[29:30], v[49:50], v[53:54], -v[29:30]
	v_fma_f64 v[49:50], v[67:68], v[55:56], v[57:58]
	v_fma_f64 v[45:46], v[35:36], v[45:46], s[50:51]
	;; [unrolled: 1-line block ×3, first 2 shown]
	s_delay_alu instid0(VALU_DEP_4) | instskip(NEXT) | instid1(VALU_DEP_3)
	v_fma_f64 v[29:30], v[75:76], s[86:87], v[29:30]
	v_fma_f64 v[45:46], v[35:36], v[45:46], s[52:53]
	s_delay_alu instid0(VALU_DEP_3) | instskip(NEXT) | instid1(VALU_DEP_3)
	v_add_f64 v[9:10], v[9:10], -v[11:12]
	v_add_f64 v[27:28], v[27:28], -v[29:30]
	s_delay_alu instid0(VALU_DEP_3) | instskip(NEXT) | instid1(VALU_DEP_3)
	v_fma_f64 v[45:46], v[35:36], v[45:46], s[82:83]
	v_xor_b32_e32 v10, 0x80000000, v10
	s_delay_alu instid0(VALU_DEP_2) | instskip(NEXT) | instid1(VALU_DEP_1)
	v_fma_f64 v[45:46], v[35:36], v[45:46], s[84:85]
	v_fma_f64 v[45:46], v[35:36], v[45:46], s[58:59]
	s_delay_alu instid0(VALU_DEP_1) | instskip(NEXT) | instid1(VALU_DEP_1)
	v_fma_f64 v[45:46], v[35:36], v[45:46], s[60:61]
	v_fma_f64 v[45:46], v[35:36], v[45:46], 1.0
	s_delay_alu instid0(VALU_DEP_1) | instskip(SKIP_2) | instid1(VALU_DEP_3)
	v_fma_f64 v[33:34], v[35:36], v[45:46], 1.0
	v_fma_f64 v[35:36], v[47:48], v[51:52], v[59:60]
	v_add_f64 v[45:46], v[63:64], v[49:50]
	v_ldexp_f64 v[11:12], v[33:34], v22
	s_delay_alu instid0(VALU_DEP_3) | instskip(SKIP_1) | instid1(VALU_DEP_1)
	v_add_f64 v[33:34], v[65:66], v[35:36]
	v_and_b32_e32 v22, 1, v31
	v_cmp_eq_u32_e64 s5, 0, v22
	s_delay_alu instid0(VALU_DEP_1) | instskip(SKIP_2) | instid1(VALU_DEP_2)
	v_cndmask_b32_e64 v3, v10, v46, s5
	v_cndmask_b32_e64 v9, v9, v45, s5
	s_and_b32 s5, s8, s7
                                        ; implicit-def: $vgpr45
	v_xor_b32_e32 v2, v3, v2
	s_delay_alu instid0(VALU_DEP_2) | instskip(NEXT) | instid1(VALU_DEP_2)
	v_cndmask_b32_e64 v1, 0, v9, s6
	v_cndmask_b32_e64 v2, 0x7ff80000, v2, s6
	;; [unrolled: 1-line block ×6, first 2 shown]
	s_delay_alu instid0(VALU_DEP_4) | instskip(NEXT) | instid1(VALU_DEP_4)
	v_cndmask_b32_e64 v12, 0, v12, s8
	v_xor_b32_e32 v4, v22, v4
	s_delay_alu instid0(VALU_DEP_4) | instskip(NEXT) | instid1(VALU_DEP_3)
	v_cndmask_b32_e64 v3, 0, v10, s6
	v_mul_f64 v[9:10], v[11:12], v[1:2]
	s_delay_alu instid0(VALU_DEP_3) | instskip(NEXT) | instid1(VALU_DEP_1)
	v_cndmask_b32_e64 v4, 0x7ff80000, v4, s6
	v_mul_f64 v[11:12], v[11:12], v[3:4]
                                        ; implicit-def: $vgpr3_vgpr4
.LBB138_162:                            ;   in Loop: Header=BB138_4 Depth=1
	s_and_not1_saveexec_b32 s95, s95
	s_cbranch_execz .LBB138_172
; %bb.163:                              ;   in Loop: Header=BB138_4 Depth=1
	v_cmp_ngt_f64_e64 s7, 0x41d00000, |v[3:4]|
                                        ; implicit-def: $vgpr31
                                        ; implicit-def: $vgpr9_vgpr10
                                        ; implicit-def: $vgpr11_vgpr12
	s_delay_alu instid0(VALU_DEP_1) | instskip(NEXT) | instid1(SALU_CYCLE_1)
	s_and_saveexec_b32 s5, s7
	s_xor_b32 s8, exec_lo, s5
	s_cbranch_execz .LBB138_165
; %bb.164:                              ;   in Loop: Header=BB138_4 Depth=1
	v_ldexp_f64 v[9:10], |v[3:4]|, 0xffffff80
	v_cmp_le_f64_e64 s5, 0x7b000000, |v[3:4]|
	v_trig_preop_f64 v[11:12], |v[3:4]|, 0
	v_trig_preop_f64 v[27:28], |v[3:4]|, 1
	;; [unrolled: 1-line block ×3, first 2 shown]
	s_mov_b32 s20, s22
	s_mov_b32 s27, s25
	s_delay_alu instid0(VALU_DEP_4) | instskip(SKIP_1) | instid1(VALU_DEP_1)
	v_cndmask_b32_e64 v10, v45, v10, s5
	v_cndmask_b32_e64 v9, v3, v9, s5
	v_mul_f64 v[29:30], v[11:12], v[9:10]
	v_mul_f64 v[31:32], v[27:28], v[9:10]
	;; [unrolled: 1-line block ×3, first 2 shown]
	s_delay_alu instid0(VALU_DEP_3) | instskip(NEXT) | instid1(VALU_DEP_3)
	v_fma_f64 v[11:12], v[11:12], v[9:10], -v[29:30]
	v_fma_f64 v[27:28], v[27:28], v[9:10], -v[31:32]
	s_delay_alu instid0(VALU_DEP_3) | instskip(NEXT) | instid1(VALU_DEP_3)
	v_fma_f64 v[9:10], v[46:47], v[9:10], -v[52:53]
	v_add_f64 v[33:34], v[31:32], v[11:12]
	s_delay_alu instid0(VALU_DEP_1) | instskip(SKIP_1) | instid1(VALU_DEP_2)
	v_add_f64 v[35:36], v[33:34], -v[31:32]
	v_add_f64 v[50:51], v[29:30], v[33:34]
	v_add_f64 v[48:49], v[33:34], -v[35:36]
	v_add_f64 v[11:12], v[11:12], -v[35:36]
	s_delay_alu instid0(VALU_DEP_3) | instskip(SKIP_1) | instid1(VALU_DEP_4)
	v_ldexp_f64 v[35:36], v[50:51], -2
	v_add_f64 v[29:30], v[50:51], -v[29:30]
	v_add_f64 v[31:32], v[31:32], -v[48:49]
	v_add_f64 v[48:49], v[52:53], v[27:28]
	s_delay_alu instid0(VALU_DEP_4) | instskip(NEXT) | instid1(VALU_DEP_4)
	v_cmp_neq_f64_e64 s5, 0x7ff00000, |v[35:36]|
	v_add_f64 v[29:30], v[33:34], -v[29:30]
	s_delay_alu instid0(VALU_DEP_4) | instskip(SKIP_1) | instid1(VALU_DEP_2)
	v_add_f64 v[11:12], v[11:12], v[31:32]
	v_fract_f64_e32 v[31:32], v[35:36]
	v_add_f64 v[33:34], v[48:49], v[11:12]
	s_delay_alu instid0(VALU_DEP_2) | instskip(NEXT) | instid1(VALU_DEP_3)
	v_cndmask_b32_e64 v32, 0, v32, s5
	v_cndmask_b32_e64 v31, 0, v31, s5
	s_delay_alu instid0(VALU_DEP_1) | instskip(NEXT) | instid1(VALU_DEP_4)
	v_ldexp_f64 v[31:32], v[31:32], 2
	v_add_f64 v[35:36], v[29:30], v[33:34]
	v_add_f64 v[54:55], v[33:34], -v[48:49]
	s_delay_alu instid0(VALU_DEP_2) | instskip(NEXT) | instid1(VALU_DEP_2)
	v_add_f64 v[50:51], v[35:36], v[31:32]
	v_add_f64 v[60:61], v[33:34], -v[54:55]
	v_add_f64 v[11:12], v[11:12], -v[54:55]
	v_add_f64 v[29:30], v[35:36], -v[29:30]
	s_delay_alu instid0(VALU_DEP_4) | instskip(SKIP_1) | instid1(VALU_DEP_3)
	v_cmp_gt_f64_e64 s5, 0, v[50:51]
	v_add_f64 v[50:51], v[48:49], -v[52:53]
	v_add_f64 v[29:30], v[33:34], -v[29:30]
	s_delay_alu instid0(VALU_DEP_3) | instskip(NEXT) | instid1(VALU_DEP_3)
	v_cndmask_b32_e64 v22, 0, 0x40100000, s5
	v_add_f64 v[58:59], v[48:49], -v[50:51]
	v_add_f64 v[27:28], v[27:28], -v[50:51]
	;; [unrolled: 1-line block ×3, first 2 shown]
	s_delay_alu instid0(VALU_DEP_4) | instskip(NEXT) | instid1(VALU_DEP_4)
	v_add_f64 v[31:32], v[31:32], v[21:22]
	v_add_f64 v[50:51], v[52:53], -v[58:59]
	s_delay_alu instid0(VALU_DEP_3) | instskip(NEXT) | instid1(VALU_DEP_3)
	v_add_f64 v[11:12], v[11:12], v[48:49]
	v_add_f64 v[56:57], v[35:36], v[31:32]
	s_delay_alu instid0(VALU_DEP_3) | instskip(NEXT) | instid1(VALU_DEP_2)
	v_add_f64 v[27:28], v[27:28], v[50:51]
	v_cvt_i32_f64_e32 v22, v[56:57]
	s_delay_alu instid0(VALU_DEP_2) | instskip(NEXT) | instid1(VALU_DEP_2)
	v_add_f64 v[11:12], v[27:28], v[11:12]
	v_cvt_f64_i32_e32 v[54:55], v22
	s_delay_alu instid0(VALU_DEP_2) | instskip(NEXT) | instid1(VALU_DEP_2)
	v_add_f64 v[9:10], v[9:10], v[11:12]
	v_add_f64 v[31:32], v[31:32], -v[54:55]
	s_delay_alu instid0(VALU_DEP_2) | instskip(NEXT) | instid1(VALU_DEP_2)
	v_add_f64 v[9:10], v[29:30], v[9:10]
	v_add_f64 v[27:28], v[35:36], v[31:32]
	s_delay_alu instid0(VALU_DEP_1) | instskip(SKIP_1) | instid1(VALU_DEP_2)
	v_add_f64 v[11:12], v[27:28], -v[31:32]
	v_cmp_le_f64_e64 s5, 0.5, v[27:28]
	v_add_f64 v[11:12], v[35:36], -v[11:12]
	s_delay_alu instid0(VALU_DEP_2) | instskip(SKIP_1) | instid1(VALU_DEP_3)
	v_add_co_ci_u32_e64 v31, s6, 0, v22, s5
	v_cndmask_b32_e64 v22, 0, 0x3ff00000, s5
	v_add_f64 v[9:10], v[9:10], v[11:12]
	s_delay_alu instid0(VALU_DEP_2) | instskip(NEXT) | instid1(VALU_DEP_1)
	v_add_f64 v[11:12], v[27:28], -v[21:22]
	v_add_f64 v[27:28], v[11:12], v[9:10]
	s_delay_alu instid0(VALU_DEP_1) | instskip(SKIP_1) | instid1(VALU_DEP_2)
	v_mul_f64 v[29:30], v[27:28], s[20:21]
	v_add_f64 v[11:12], v[27:28], -v[11:12]
	v_fma_f64 v[32:33], v[27:28], s[20:21], -v[29:30]
	s_delay_alu instid0(VALU_DEP_2) | instskip(NEXT) | instid1(VALU_DEP_2)
	v_add_f64 v[9:10], v[9:10], -v[11:12]
	v_fma_f64 v[11:12], v[27:28], s[26:27], v[32:33]
	s_delay_alu instid0(VALU_DEP_1) | instskip(NEXT) | instid1(VALU_DEP_1)
	v_fma_f64 v[11:12], v[9:10], s[20:21], v[11:12]
	v_add_f64 v[9:10], v[29:30], v[11:12]
	s_delay_alu instid0(VALU_DEP_1) | instskip(NEXT) | instid1(VALU_DEP_1)
	v_add_f64 v[27:28], v[9:10], -v[29:30]
	v_add_f64 v[11:12], v[11:12], -v[27:28]
	s_and_not1_saveexec_b32 s5, s8
	s_cbranch_execz .LBB138_167
	s_branch .LBB138_166
.LBB138_165:                            ;   in Loop: Header=BB138_4 Depth=1
	s_and_not1_saveexec_b32 s5, s8
	s_cbranch_execz .LBB138_167
.LBB138_166:                            ;   in Loop: Header=BB138_4 Depth=1
	v_mul_f64 v[9:10], |v[3:4]|, s[28:29]
	s_mov_b32 s24, s30
	s_delay_alu instid0(VALU_DEP_1) | instskip(NEXT) | instid1(VALU_DEP_1)
	v_rndne_f64_e32 v[27:28], v[9:10]
	v_fma_f64 v[9:10], v[27:28], s[22:23], |v[3:4]|
	v_mul_f64 v[11:12], v[27:28], s[30:31]
	s_delay_alu instid0(VALU_DEP_2) | instskip(NEXT) | instid1(VALU_DEP_2)
	v_fma_f64 v[31:32], v[27:28], s[30:31], v[9:10]
	v_add_f64 v[29:30], v[9:10], v[11:12]
	s_delay_alu instid0(VALU_DEP_1) | instskip(NEXT) | instid1(VALU_DEP_3)
	v_add_f64 v[9:10], v[9:10], -v[29:30]
	v_add_f64 v[29:30], v[29:30], -v[31:32]
	s_delay_alu instid0(VALU_DEP_2) | instskip(SKIP_1) | instid1(VALU_DEP_2)
	v_add_f64 v[9:10], v[9:10], v[11:12]
	v_fma_f64 v[11:12], v[27:28], s[24:25], v[11:12]
	v_add_f64 v[9:10], v[29:30], v[9:10]
	s_delay_alu instid0(VALU_DEP_1) | instskip(NEXT) | instid1(VALU_DEP_1)
	v_add_f64 v[9:10], v[9:10], -v[11:12]
	v_fma_f64 v[11:12], v[27:28], s[34:35], v[9:10]
	s_delay_alu instid0(VALU_DEP_1) | instskip(NEXT) | instid1(VALU_DEP_1)
	v_add_f64 v[9:10], v[31:32], v[11:12]
	v_add_f64 v[29:30], v[9:10], -v[31:32]
	v_cvt_i32_f64_e32 v31, v[27:28]
	s_delay_alu instid0(VALU_DEP_2)
	v_add_f64 v[11:12], v[11:12], -v[29:30]
.LBB138_167:                            ;   in Loop: Header=BB138_4 Depth=1
	s_or_b32 exec_lo, exec_lo, s5
                                        ; implicit-def: $vgpr32
                                        ; implicit-def: $vgpr27_vgpr28
                                        ; implicit-def: $vgpr29_vgpr30
	s_and_saveexec_b32 s5, s7
	s_delay_alu instid0(SALU_CYCLE_1)
	s_xor_b32 s7, exec_lo, s5
	s_cbranch_execz .LBB138_169
; %bb.168:                              ;   in Loop: Header=BB138_4 Depth=1
	v_ldexp_f64 v[27:28], |v[3:4]|, 0xffffff80
	v_cmp_le_f64_e64 s5, 0x7b000000, |v[3:4]|
	v_trig_preop_f64 v[29:30], |v[3:4]|, 0
	v_trig_preop_f64 v[32:33], |v[3:4]|, 1
	v_trig_preop_f64 v[51:52], |v[3:4]|, 2
	s_mov_b32 s20, s22
	s_mov_b32 s27, s25
	s_delay_alu instid0(VALU_DEP_4) | instskip(SKIP_1) | instid1(VALU_DEP_1)
	v_cndmask_b32_e64 v28, v45, v28, s5
	v_cndmask_b32_e64 v27, v3, v27, s5
	v_mul_f64 v[34:35], v[29:30], v[27:28]
	v_mul_f64 v[45:46], v[32:33], v[27:28]
	;; [unrolled: 1-line block ×3, first 2 shown]
	s_delay_alu instid0(VALU_DEP_3) | instskip(NEXT) | instid1(VALU_DEP_3)
	v_fma_f64 v[29:30], v[29:30], v[27:28], -v[34:35]
	v_fma_f64 v[32:33], v[32:33], v[27:28], -v[45:46]
	s_delay_alu instid0(VALU_DEP_3) | instskip(NEXT) | instid1(VALU_DEP_3)
	v_fma_f64 v[27:28], v[51:52], v[27:28], -v[57:58]
	v_add_f64 v[47:48], v[45:46], v[29:30]
	s_delay_alu instid0(VALU_DEP_1) | instskip(SKIP_1) | instid1(VALU_DEP_2)
	v_add_f64 v[49:50], v[47:48], -v[45:46]
	v_add_f64 v[55:56], v[34:35], v[47:48]
	v_add_f64 v[53:54], v[47:48], -v[49:50]
	v_add_f64 v[29:30], v[29:30], -v[49:50]
	s_delay_alu instid0(VALU_DEP_3) | instskip(SKIP_1) | instid1(VALU_DEP_4)
	v_ldexp_f64 v[49:50], v[55:56], -2
	v_add_f64 v[34:35], v[55:56], -v[34:35]
	v_add_f64 v[45:46], v[45:46], -v[53:54]
	v_add_f64 v[53:54], v[57:58], v[32:33]
	s_delay_alu instid0(VALU_DEP_4) | instskip(NEXT) | instid1(VALU_DEP_4)
	v_cmp_neq_f64_e64 s5, 0x7ff00000, |v[49:50]|
	v_add_f64 v[34:35], v[47:48], -v[34:35]
	s_delay_alu instid0(VALU_DEP_4) | instskip(SKIP_1) | instid1(VALU_DEP_2)
	v_add_f64 v[29:30], v[29:30], v[45:46]
	v_fract_f64_e32 v[45:46], v[49:50]
	v_add_f64 v[47:48], v[53:54], v[29:30]
	s_delay_alu instid0(VALU_DEP_2) | instskip(NEXT) | instid1(VALU_DEP_3)
	v_cndmask_b32_e64 v46, 0, v46, s5
	v_cndmask_b32_e64 v45, 0, v45, s5
	s_delay_alu instid0(VALU_DEP_1) | instskip(NEXT) | instid1(VALU_DEP_4)
	v_ldexp_f64 v[45:46], v[45:46], 2
	v_add_f64 v[49:50], v[34:35], v[47:48]
	v_add_f64 v[59:60], v[47:48], -v[53:54]
	s_delay_alu instid0(VALU_DEP_2) | instskip(NEXT) | instid1(VALU_DEP_2)
	v_add_f64 v[55:56], v[49:50], v[45:46]
	v_add_f64 v[65:66], v[47:48], -v[59:60]
	v_add_f64 v[29:30], v[29:30], -v[59:60]
	;; [unrolled: 1-line block ×3, first 2 shown]
	s_delay_alu instid0(VALU_DEP_4) | instskip(SKIP_1) | instid1(VALU_DEP_2)
	v_cmp_gt_f64_e64 s5, 0, v[55:56]
	v_add_f64 v[55:56], v[53:54], -v[57:58]
	v_cndmask_b32_e64 v22, 0, 0x40100000, s5
	s_delay_alu instid0(VALU_DEP_2) | instskip(SKIP_2) | instid1(VALU_DEP_4)
	v_add_f64 v[63:64], v[53:54], -v[55:56]
	v_add_f64 v[32:33], v[32:33], -v[55:56]
	;; [unrolled: 1-line block ×3, first 2 shown]
	v_add_f64 v[45:46], v[45:46], v[21:22]
	s_delay_alu instid0(VALU_DEP_4) | instskip(NEXT) | instid1(VALU_DEP_3)
	v_add_f64 v[55:56], v[57:58], -v[63:64]
	v_add_f64 v[29:30], v[29:30], v[53:54]
	s_delay_alu instid0(VALU_DEP_3) | instskip(NEXT) | instid1(VALU_DEP_3)
	v_add_f64 v[61:62], v[49:50], v[45:46]
	v_add_f64 v[32:33], v[32:33], v[55:56]
	s_delay_alu instid0(VALU_DEP_2) | instskip(NEXT) | instid1(VALU_DEP_2)
	v_cvt_i32_f64_e32 v22, v[61:62]
	v_add_f64 v[29:30], v[32:33], v[29:30]
	v_add_f64 v[32:33], v[47:48], -v[34:35]
	s_delay_alu instid0(VALU_DEP_3) | instskip(NEXT) | instid1(VALU_DEP_3)
	v_cvt_f64_i32_e32 v[59:60], v22
	v_add_f64 v[27:28], v[27:28], v[29:30]
	s_delay_alu instid0(VALU_DEP_2) | instskip(NEXT) | instid1(VALU_DEP_2)
	v_add_f64 v[45:46], v[45:46], -v[59:60]
	v_add_f64 v[27:28], v[32:33], v[27:28]
	s_delay_alu instid0(VALU_DEP_2) | instskip(NEXT) | instid1(VALU_DEP_1)
	v_add_f64 v[51:52], v[49:50], v[45:46]
	v_add_f64 v[29:30], v[51:52], -v[45:46]
	v_cmp_le_f64_e64 s5, 0.5, v[51:52]
	s_delay_alu instid0(VALU_DEP_2) | instskip(NEXT) | instid1(VALU_DEP_2)
	v_add_f64 v[29:30], v[49:50], -v[29:30]
	v_add_co_ci_u32_e64 v32, s6, 0, v22, s5
	v_cndmask_b32_e64 v22, 0, 0x3ff00000, s5
	s_delay_alu instid0(VALU_DEP_3) | instskip(NEXT) | instid1(VALU_DEP_2)
	v_add_f64 v[27:28], v[27:28], v[29:30]
	v_add_f64 v[29:30], v[51:52], -v[21:22]
	s_delay_alu instid0(VALU_DEP_1) | instskip(NEXT) | instid1(VALU_DEP_1)
	v_add_f64 v[33:34], v[29:30], v[27:28]
	v_mul_f64 v[35:36], v[33:34], s[20:21]
	v_add_f64 v[29:30], v[33:34], -v[29:30]
	s_delay_alu instid0(VALU_DEP_2) | instskip(NEXT) | instid1(VALU_DEP_2)
	v_fma_f64 v[45:46], v[33:34], s[20:21], -v[35:36]
	v_add_f64 v[27:28], v[27:28], -v[29:30]
	s_delay_alu instid0(VALU_DEP_2) | instskip(NEXT) | instid1(VALU_DEP_1)
	v_fma_f64 v[29:30], v[33:34], s[26:27], v[45:46]
	v_fma_f64 v[29:30], v[27:28], s[20:21], v[29:30]
	s_delay_alu instid0(VALU_DEP_1) | instskip(NEXT) | instid1(VALU_DEP_1)
	v_add_f64 v[27:28], v[35:36], v[29:30]
	v_add_f64 v[33:34], v[27:28], -v[35:36]
	s_delay_alu instid0(VALU_DEP_1)
	v_add_f64 v[29:30], v[29:30], -v[33:34]
	s_and_not1_saveexec_b32 s5, s7
	s_cbranch_execnz .LBB138_170
	s_branch .LBB138_171
.LBB138_169:                            ;   in Loop: Header=BB138_4 Depth=1
	s_and_not1_saveexec_b32 s5, s7
	s_cbranch_execz .LBB138_171
.LBB138_170:                            ;   in Loop: Header=BB138_4 Depth=1
	v_mul_f64 v[27:28], |v[3:4]|, s[28:29]
	s_mov_b32 s24, s30
	s_delay_alu instid0(VALU_DEP_1) | instskip(NEXT) | instid1(VALU_DEP_1)
	v_rndne_f64_e32 v[32:33], v[27:28]
	v_fma_f64 v[27:28], v[32:33], s[22:23], |v[3:4]|
	v_mul_f64 v[29:30], v[32:33], s[30:31]
	s_delay_alu instid0(VALU_DEP_2) | instskip(NEXT) | instid1(VALU_DEP_2)
	v_fma_f64 v[45:46], v[32:33], s[30:31], v[27:28]
	v_add_f64 v[34:35], v[27:28], v[29:30]
	s_delay_alu instid0(VALU_DEP_1) | instskip(NEXT) | instid1(VALU_DEP_3)
	v_add_f64 v[27:28], v[27:28], -v[34:35]
	v_add_f64 v[34:35], v[34:35], -v[45:46]
	s_delay_alu instid0(VALU_DEP_2) | instskip(SKIP_1) | instid1(VALU_DEP_2)
	v_add_f64 v[27:28], v[27:28], v[29:30]
	v_fma_f64 v[29:30], v[32:33], s[24:25], v[29:30]
	v_add_f64 v[27:28], v[34:35], v[27:28]
	s_delay_alu instid0(VALU_DEP_1) | instskip(NEXT) | instid1(VALU_DEP_1)
	v_add_f64 v[27:28], v[27:28], -v[29:30]
	v_fma_f64 v[29:30], v[32:33], s[34:35], v[27:28]
	v_cvt_i32_f64_e32 v32, v[32:33]
	s_delay_alu instid0(VALU_DEP_2) | instskip(NEXT) | instid1(VALU_DEP_1)
	v_add_f64 v[27:28], v[45:46], v[29:30]
	v_add_f64 v[34:35], v[27:28], -v[45:46]
	s_delay_alu instid0(VALU_DEP_1)
	v_add_f64 v[29:30], v[29:30], -v[34:35]
.LBB138_171:                            ;   in Loop: Header=BB138_4 Depth=1
	s_or_b32 exec_lo, exec_lo, s5
	v_add_f64 v[1:2], v[1:2], s[80:81]
	v_mul_f64 v[47:48], v[9:10], v[9:10]
	v_mul_f64 v[49:50], v[27:28], v[27:28]
	s_mov_b32 s83, s55
	s_mov_b32 s85, s57
	s_delay_alu instid0(VALU_DEP_4)
	v_mul_f64 v[67:68], v[11:12], 0.5
	v_mul_f64 v[73:74], v[29:30], 0.5
	s_mov_b32 s86, s56
	v_cmp_class_f64_e64 s6, v[3:4], 0x1f8
	v_mul_f64 v[33:34], v[1:2], s[36:37]
	v_fma_f64 v[51:52], v[47:48], s[74:75], s[72:73]
	v_fma_f64 v[53:54], v[49:50], s[74:75], s[72:73]
	v_mul_f64 v[57:58], v[47:48], 0.5
	v_fma_f64 v[55:56], v[47:48], s[64:65], s[62:63]
	v_fma_f64 v[59:60], v[49:50], s[64:65], s[62:63]
	v_mul_f64 v[61:62], v[49:50], 0.5
	v_mul_f64 v[69:70], v[9:10], -v[47:48]
	v_mul_f64 v[75:76], v[27:28], -v[49:50]
	v_cmp_nlt_f64_e64 s7, 0x40900000, v[1:2]
	v_cmp_ngt_f64_e64 s8, 0xc090cc00, v[1:2]
	v_rndne_f64_e32 v[33:34], v[33:34]
	v_fma_f64 v[51:52], v[47:48], v[51:52], s[76:77]
	v_fma_f64 v[53:54], v[49:50], v[53:54], s[76:77]
	v_add_f64 v[63:64], -v[57:58], 1.0
	v_fma_f64 v[55:56], v[47:48], v[55:56], s[66:67]
	v_fma_f64 v[59:60], v[49:50], v[59:60], s[66:67]
	v_add_f64 v[65:66], -v[61:62], 1.0
	v_fma_f64 v[35:36], v[33:34], s[38:39], v[1:2]
	v_fma_f64 v[51:52], v[47:48], v[51:52], s[78:79]
	;; [unrolled: 1-line block ×3, first 2 shown]
	v_add_f64 v[71:72], -v[63:64], 1.0
	v_fma_f64 v[55:56], v[47:48], v[55:56], s[68:69]
	v_fma_f64 v[59:60], v[49:50], v[59:60], s[68:69]
	v_add_f64 v[77:78], -v[65:66], 1.0
	v_cvt_i32_f64_e32 v22, v[33:34]
	v_lshlrev_b32_e32 v1, 30, v32
	v_lshlrev_b32_e32 v2, 30, v31
	s_delay_alu instid0(VALU_DEP_2) | instskip(NEXT) | instid1(VALU_DEP_2)
	v_xor_b32_e32 v1, v1, v4
	v_and_b32_e32 v2, 0x80000000, v2
	v_fma_f64 v[35:36], v[33:34], s[40:41], v[35:36]
	v_fma_f64 v[51:52], v[47:48], v[51:52], s[54:55]
	;; [unrolled: 1-line block ×3, first 2 shown]
	v_add_f64 v[57:58], v[71:72], -v[57:58]
	v_fma_f64 v[55:56], v[47:48], v[55:56], s[70:71]
	v_fma_f64 v[59:60], v[49:50], v[59:60], s[70:71]
	v_add_f64 v[61:62], v[77:78], -v[61:62]
	v_fma_f64 v[45:46], v[35:36], s[44:45], s[42:43]
	v_fma_f64 v[51:52], v[69:70], v[51:52], v[67:68]
	;; [unrolled: 1-line block ×3, first 2 shown]
	v_fma_f64 v[57:58], v[9:10], -v[11:12], v[57:58]
	v_mul_f64 v[67:68], v[47:48], v[47:48]
	v_fma_f64 v[55:56], v[47:48], v[55:56], s[56:57]
	v_fma_f64 v[45:46], v[35:36], v[45:46], s[46:47]
	v_fma_f64 v[11:12], v[47:48], v[51:52], -v[11:12]
	v_mul_f64 v[47:48], v[49:50], v[49:50]
	v_fma_f64 v[51:52], v[49:50], v[59:60], s[56:57]
	v_fma_f64 v[59:60], v[27:28], -v[29:30], v[61:62]
	v_fma_f64 v[29:30], v[49:50], v[53:54], -v[29:30]
	v_fma_f64 v[49:50], v[67:68], v[55:56], v[57:58]
	v_fma_f64 v[45:46], v[35:36], v[45:46], s[48:49]
	;; [unrolled: 1-line block ×3, first 2 shown]
	s_delay_alu instid0(VALU_DEP_4) | instskip(NEXT) | instid1(VALU_DEP_3)
	v_fma_f64 v[29:30], v[75:76], s[86:87], v[29:30]
	v_fma_f64 v[45:46], v[35:36], v[45:46], s[50:51]
	s_delay_alu instid0(VALU_DEP_3) | instskip(NEXT) | instid1(VALU_DEP_3)
	v_add_f64 v[9:10], v[9:10], -v[11:12]
	v_add_f64 v[27:28], v[27:28], -v[29:30]
	s_delay_alu instid0(VALU_DEP_3) | instskip(NEXT) | instid1(VALU_DEP_3)
	v_fma_f64 v[45:46], v[35:36], v[45:46], s[52:53]
	v_xor_b32_e32 v10, 0x80000000, v10
	s_delay_alu instid0(VALU_DEP_2) | instskip(NEXT) | instid1(VALU_DEP_1)
	v_fma_f64 v[45:46], v[35:36], v[45:46], s[82:83]
	v_fma_f64 v[45:46], v[35:36], v[45:46], s[84:85]
	s_delay_alu instid0(VALU_DEP_1) | instskip(NEXT) | instid1(VALU_DEP_1)
	v_fma_f64 v[45:46], v[35:36], v[45:46], s[58:59]
	v_fma_f64 v[45:46], v[35:36], v[45:46], s[60:61]
	s_delay_alu instid0(VALU_DEP_1) | instskip(NEXT) | instid1(VALU_DEP_1)
	v_fma_f64 v[45:46], v[35:36], v[45:46], 1.0
	v_fma_f64 v[33:34], v[35:36], v[45:46], 1.0
	v_fma_f64 v[35:36], v[47:48], v[51:52], v[59:60]
	v_add_f64 v[45:46], v[63:64], v[49:50]
	s_delay_alu instid0(VALU_DEP_3) | instskip(NEXT) | instid1(VALU_DEP_3)
	v_ldexp_f64 v[11:12], v[33:34], v22
	v_add_f64 v[33:34], v[65:66], v[35:36]
	v_and_b32_e32 v22, 1, v31
	s_delay_alu instid0(VALU_DEP_1) | instskip(NEXT) | instid1(VALU_DEP_1)
	v_cmp_eq_u32_e64 s5, 0, v22
	v_cndmask_b32_e64 v4, v10, v46, s5
	v_and_b32_e32 v10, 0x80000000, v1
	v_cndmask_b32_e64 v9, v9, v45, s5
	s_and_b32 s5, s8, s7
	s_delay_alu instid0(VALU_DEP_3) | instskip(NEXT) | instid1(VALU_DEP_2)
	v_xor_b32_e32 v2, v4, v2
	v_cndmask_b32_e64 v1, 0, v9, s6
	s_delay_alu instid0(VALU_DEP_2) | instskip(SKIP_4) | instid1(VALU_DEP_3)
	v_cndmask_b32_e64 v2, 0x7ff80000, v2, s6
	v_cndmask_b32_e64 v3, 0x7ff00000, v12, s7
	v_and_b32_e32 v12, 1, v32
	v_cndmask_b32_e64 v9, 0, v11, s5
	v_mov_b32_e32 v11, v21
	v_cmp_eq_u32_e64 s9, 0, v12
	s_delay_alu instid0(VALU_DEP_1) | instskip(SKIP_2) | instid1(VALU_DEP_3)
	v_cndmask_b32_e64 v22, v34, v28, s9
	v_cndmask_b32_e64 v12, v33, v27, s9
	;; [unrolled: 1-line block ×3, first 2 shown]
	v_xor_b32_e32 v4, v22, v10
	s_delay_alu instid0(VALU_DEP_3) | instskip(NEXT) | instid1(VALU_DEP_3)
	v_cndmask_b32_e64 v3, 0, v12, s6
	v_and_or_b32 v10, v27, s91, 0x7fe00000
	s_delay_alu instid0(VALU_DEP_3) | instskip(NEXT) | instid1(VALU_DEP_2)
	v_cndmask_b32_e64 v4, 0x7ff80000, v4, s6
	v_mul_f64 v[1:2], v[9:10], v[1:2]
	s_delay_alu instid0(VALU_DEP_2) | instskip(SKIP_1) | instid1(VALU_DEP_1)
	v_mul_f64 v[3:4], v[9:10], v[3:4]
	v_lshrrev_b32_e32 v9, 20, v27
	v_add_nc_u32_e32 v9, 0xffffff09, v9
	s_delay_alu instid0(VALU_DEP_1) | instskip(NEXT) | instid1(VALU_DEP_1)
	v_lshrrev_b16 v10, 15, v9
	v_add_nc_u16 v10, v9, v10
	s_delay_alu instid0(VALU_DEP_1) | instskip(NEXT) | instid1(VALU_DEP_1)
	v_ashrrev_i16 v10, 1, v10
	v_bfe_i32 v10, v10, 0, 16
	s_delay_alu instid0(VALU_DEP_1) | instskip(SKIP_1) | instid1(VALU_DEP_2)
	v_lshl_add_u32 v22, v10, 20, 0x3ff00000
	v_sub_nc_u32_e32 v9, v9, v10
	v_mul_f64 v[1:2], v[1:2], v[21:22]
	s_delay_alu instid0(VALU_DEP_2) | instskip(SKIP_1) | instid1(VALU_DEP_2)
	v_lshl_add_u32 v12, v9, 20, 0x3ff00000
	v_mul_f64 v[3:4], v[3:4], v[21:22]
	v_mul_f64 v[9:10], v[1:2], v[11:12]
	s_delay_alu instid0(VALU_DEP_2)
	v_mul_f64 v[11:12], v[3:4], v[11:12]
.LBB138_172:                            ;   in Loop: Header=BB138_4 Depth=1
	s_or_b32 exec_lo, exec_lo, s95
                                        ; implicit-def: $vgpr1_vgpr2
                                        ; implicit-def: $vgpr22
.LBB138_173:                            ;   in Loop: Header=BB138_4 Depth=1
	s_and_not1_saveexec_b32 s7, s94
	s_cbranch_execz .LBB138_179
; %bb.174:                              ;   in Loop: Header=BB138_4 Depth=1
	v_add_f64 v[11:12], v[3:4], -v[3:4]
	v_cmp_ne_u32_e64 s5, 0, v1
	v_cmp_ne_u32_e64 s6, 0x7ff00000, v22
	s_delay_alu instid0(VALU_DEP_1) | instskip(NEXT) | instid1(SALU_CYCLE_1)
	s_or_b32 s5, s5, s6
	s_and_saveexec_b32 s6, s5
	s_delay_alu instid0(SALU_CYCLE_1)
	s_xor_b32 s5, exec_lo, s6
; %bb.175:                              ;   in Loop: Header=BB138_4 Depth=1
                                        ; implicit-def: $vgpr1_vgpr2
; %bb.176:                              ;   in Loop: Header=BB138_4 Depth=1
	s_delay_alu instid0(SALU_CYCLE_1) | instskip(NEXT) | instid1(VALU_DEP_3)
	s_or_saveexec_b32 s6, s5
	v_dual_mov_b32 v9, v11 :: v_dual_mov_b32 v10, v12
	s_xor_b32 exec_lo, exec_lo, s6
; %bb.177:                              ;   in Loop: Header=BB138_4 Depth=1
	v_cmp_lt_i64_e64 s5, -1, v[1:2]
	s_delay_alu instid0(VALU_DEP_1)
	v_cndmask_b32_e64 v10, 0, v2, s5
	v_cndmask_b32_e64 v9, 0, v1, s5
	;; [unrolled: 1-line block ×4, first 2 shown]
; %bb.178:                              ;   in Loop: Header=BB138_4 Depth=1
	s_or_b32 exec_lo, exec_lo, s6
.LBB138_179:                            ;   in Loop: Header=BB138_4 Depth=1
	s_delay_alu instid0(SALU_CYCLE_1)
	s_or_b32 exec_lo, exec_lo, s7
                                        ; implicit-def: $vgpr3_vgpr4
                                        ; implicit-def: $vgpr45
.LBB138_180:                            ;   in Loop: Header=BB138_4 Depth=1
	s_and_not1_saveexec_b32 s8, s93
	s_cbranch_execz .LBB138_190
; %bb.181:                              ;   in Loop: Header=BB138_4 Depth=1
	v_cmp_ngt_f64_e64 s7, 0x41d00000, |v[3:4]|
	v_trig_preop_f64 v[29:30], |v[3:4]|, 0
	v_trig_preop_f64 v[27:28], |v[3:4]|, 1
	v_ldexp_f64 v[31:32], |v[3:4]|, 0xffffff80
	v_trig_preop_f64 v[11:12], |v[3:4]|, 2
                                        ; implicit-def: $vgpr46
                                        ; implicit-def: $vgpr1_vgpr2
                                        ; implicit-def: $vgpr9_vgpr10
	s_and_saveexec_b32 s5, s7
	s_delay_alu instid0(SALU_CYCLE_1)
	s_xor_b32 s9, exec_lo, s5
	s_cbranch_execz .LBB138_183
; %bb.182:                              ;   in Loop: Header=BB138_4 Depth=1
	v_cmp_le_f64_e64 s5, 0x7b000000, |v[3:4]|
	s_mov_b32 s20, s22
	s_mov_b32 s27, s25
	s_delay_alu instid0(VALU_DEP_1) | instskip(NEXT) | instid1(VALU_DEP_4)
	v_cndmask_b32_e64 v2, v45, v32, s5
	v_cndmask_b32_e64 v1, v3, v31, s5
	s_delay_alu instid0(VALU_DEP_1) | instskip(SKIP_2) | instid1(VALU_DEP_3)
	v_mul_f64 v[9:10], v[29:30], v[1:2]
	v_mul_f64 v[33:34], v[27:28], v[1:2]
	;; [unrolled: 1-line block ×3, first 2 shown]
	v_fma_f64 v[35:36], v[29:30], v[1:2], -v[9:10]
	s_delay_alu instid0(VALU_DEP_3) | instskip(NEXT) | instid1(VALU_DEP_3)
	v_fma_f64 v[56:57], v[27:28], v[1:2], -v[33:34]
	v_fma_f64 v[1:2], v[11:12], v[1:2], -v[54:55]
	s_delay_alu instid0(VALU_DEP_3) | instskip(NEXT) | instid1(VALU_DEP_1)
	v_add_f64 v[46:47], v[33:34], v[35:36]
	v_add_f64 v[48:49], v[46:47], -v[33:34]
	v_add_f64 v[52:53], v[9:10], v[46:47]
	s_delay_alu instid0(VALU_DEP_2) | instskip(SKIP_1) | instid1(VALU_DEP_3)
	v_add_f64 v[50:51], v[46:47], -v[48:49]
	v_add_f64 v[35:36], v[35:36], -v[48:49]
	v_ldexp_f64 v[48:49], v[52:53], -2
	v_add_f64 v[9:10], v[52:53], -v[9:10]
	s_delay_alu instid0(VALU_DEP_4) | instskip(SKIP_1) | instid1(VALU_DEP_4)
	v_add_f64 v[33:34], v[33:34], -v[50:51]
	v_add_f64 v[50:51], v[54:55], v[56:57]
	v_cmp_neq_f64_e64 s5, 0x7ff00000, |v[48:49]|
	s_delay_alu instid0(VALU_DEP_4) | instskip(NEXT) | instid1(VALU_DEP_4)
	v_add_f64 v[9:10], v[46:47], -v[9:10]
	v_add_f64 v[33:34], v[35:36], v[33:34]
	v_fract_f64_e32 v[35:36], v[48:49]
	s_delay_alu instid0(VALU_DEP_2) | instskip(NEXT) | instid1(VALU_DEP_2)
	v_add_f64 v[46:47], v[50:51], v[33:34]
	v_cndmask_b32_e64 v36, 0, v36, s5
	s_delay_alu instid0(VALU_DEP_3) | instskip(NEXT) | instid1(VALU_DEP_1)
	v_cndmask_b32_e64 v35, 0, v35, s5
	v_ldexp_f64 v[35:36], v[35:36], 2
	s_delay_alu instid0(VALU_DEP_4) | instskip(SKIP_1) | instid1(VALU_DEP_2)
	v_add_f64 v[48:49], v[9:10], v[46:47]
	v_add_f64 v[58:59], v[46:47], -v[50:51]
	v_add_f64 v[52:53], v[48:49], v[35:36]
	s_delay_alu instid0(VALU_DEP_2) | instskip(SKIP_2) | instid1(VALU_DEP_4)
	v_add_f64 v[64:65], v[46:47], -v[58:59]
	v_add_f64 v[33:34], v[33:34], -v[58:59]
	;; [unrolled: 1-line block ×3, first 2 shown]
	v_cmp_gt_f64_e64 s5, 0, v[52:53]
	v_add_f64 v[52:53], v[50:51], -v[54:55]
	s_delay_alu instid0(VALU_DEP_3) | instskip(NEXT) | instid1(VALU_DEP_3)
	v_add_f64 v[9:10], v[46:47], -v[9:10]
	v_cndmask_b32_e64 v22, 0, 0x40100000, s5
	s_delay_alu instid0(VALU_DEP_3) | instskip(SKIP_2) | instid1(VALU_DEP_4)
	v_add_f64 v[62:63], v[50:51], -v[52:53]
	v_add_f64 v[52:53], v[56:57], -v[52:53]
	;; [unrolled: 1-line block ×3, first 2 shown]
	v_add_f64 v[35:36], v[35:36], v[21:22]
	s_delay_alu instid0(VALU_DEP_4) | instskip(NEXT) | instid1(VALU_DEP_3)
	v_add_f64 v[56:57], v[54:55], -v[62:63]
	v_add_f64 v[33:34], v[33:34], v[50:51]
	s_delay_alu instid0(VALU_DEP_3) | instskip(NEXT) | instid1(VALU_DEP_3)
	v_add_f64 v[60:61], v[48:49], v[35:36]
	v_add_f64 v[52:53], v[52:53], v[56:57]
	s_delay_alu instid0(VALU_DEP_2) | instskip(NEXT) | instid1(VALU_DEP_2)
	v_cvt_i32_f64_e32 v22, v[60:61]
	v_add_f64 v[33:34], v[52:53], v[33:34]
	s_delay_alu instid0(VALU_DEP_2) | instskip(NEXT) | instid1(VALU_DEP_2)
	v_cvt_f64_i32_e32 v[58:59], v22
	v_add_f64 v[1:2], v[1:2], v[33:34]
	s_delay_alu instid0(VALU_DEP_2) | instskip(NEXT) | instid1(VALU_DEP_2)
	v_add_f64 v[35:36], v[35:36], -v[58:59]
	v_add_f64 v[1:2], v[9:10], v[1:2]
	s_delay_alu instid0(VALU_DEP_2) | instskip(NEXT) | instid1(VALU_DEP_1)
	v_add_f64 v[50:51], v[48:49], v[35:36]
	v_add_f64 v[33:34], v[50:51], -v[35:36]
	v_cmp_le_f64_e64 s5, 0.5, v[50:51]
	s_delay_alu instid0(VALU_DEP_2) | instskip(NEXT) | instid1(VALU_DEP_2)
	v_add_f64 v[9:10], v[48:49], -v[33:34]
	v_add_co_ci_u32_e64 v46, s6, 0, v22, s5
	v_cndmask_b32_e64 v22, 0, 0x3ff00000, s5
	s_delay_alu instid0(VALU_DEP_3) | instskip(NEXT) | instid1(VALU_DEP_2)
	v_add_f64 v[1:2], v[1:2], v[9:10]
	v_add_f64 v[9:10], v[50:51], -v[21:22]
	s_delay_alu instid0(VALU_DEP_1) | instskip(NEXT) | instid1(VALU_DEP_1)
	v_add_f64 v[33:34], v[9:10], v[1:2]
	v_mul_f64 v[35:36], v[33:34], s[20:21]
	v_add_f64 v[9:10], v[33:34], -v[9:10]
	s_delay_alu instid0(VALU_DEP_2) | instskip(NEXT) | instid1(VALU_DEP_2)
	v_fma_f64 v[47:48], v[33:34], s[20:21], -v[35:36]
	v_add_f64 v[1:2], v[1:2], -v[9:10]
	s_delay_alu instid0(VALU_DEP_2) | instskip(NEXT) | instid1(VALU_DEP_1)
	v_fma_f64 v[9:10], v[33:34], s[26:27], v[47:48]
	v_fma_f64 v[9:10], v[1:2], s[20:21], v[9:10]
	s_delay_alu instid0(VALU_DEP_1) | instskip(NEXT) | instid1(VALU_DEP_1)
	v_add_f64 v[1:2], v[35:36], v[9:10]
	v_add_f64 v[33:34], v[1:2], -v[35:36]
	s_delay_alu instid0(VALU_DEP_1)
	v_add_f64 v[9:10], v[9:10], -v[33:34]
	s_and_not1_saveexec_b32 s5, s9
	s_cbranch_execz .LBB138_185
	s_branch .LBB138_184
.LBB138_183:                            ;   in Loop: Header=BB138_4 Depth=1
	s_and_not1_saveexec_b32 s5, s9
	s_cbranch_execz .LBB138_185
.LBB138_184:                            ;   in Loop: Header=BB138_4 Depth=1
	v_mul_f64 v[1:2], |v[3:4]|, s[28:29]
	s_mov_b32 s24, s30
	s_delay_alu instid0(VALU_DEP_1) | instskip(NEXT) | instid1(VALU_DEP_1)
	v_rndne_f64_e32 v[33:34], v[1:2]
	v_fma_f64 v[1:2], v[33:34], s[22:23], |v[3:4]|
	v_mul_f64 v[9:10], v[33:34], s[30:31]
	s_delay_alu instid0(VALU_DEP_2) | instskip(NEXT) | instid1(VALU_DEP_2)
	v_fma_f64 v[46:47], v[33:34], s[30:31], v[1:2]
	v_add_f64 v[35:36], v[1:2], v[9:10]
	s_delay_alu instid0(VALU_DEP_1) | instskip(NEXT) | instid1(VALU_DEP_3)
	v_add_f64 v[1:2], v[1:2], -v[35:36]
	v_add_f64 v[35:36], v[35:36], -v[46:47]
	s_delay_alu instid0(VALU_DEP_2) | instskip(SKIP_1) | instid1(VALU_DEP_2)
	v_add_f64 v[1:2], v[1:2], v[9:10]
	v_fma_f64 v[9:10], v[33:34], s[24:25], v[9:10]
	v_add_f64 v[1:2], v[35:36], v[1:2]
	s_delay_alu instid0(VALU_DEP_1) | instskip(NEXT) | instid1(VALU_DEP_1)
	v_add_f64 v[1:2], v[1:2], -v[9:10]
	v_fma_f64 v[9:10], v[33:34], s[34:35], v[1:2]
	s_delay_alu instid0(VALU_DEP_1) | instskip(NEXT) | instid1(VALU_DEP_1)
	v_add_f64 v[1:2], v[46:47], v[9:10]
	v_add_f64 v[35:36], v[1:2], -v[46:47]
	v_cvt_i32_f64_e32 v46, v[33:34]
	s_delay_alu instid0(VALU_DEP_2)
	v_add_f64 v[9:10], v[9:10], -v[35:36]
.LBB138_185:                            ;   in Loop: Header=BB138_4 Depth=1
	s_or_b32 exec_lo, exec_lo, s5
                                        ; implicit-def: $vgpr47
                                        ; implicit-def: $vgpr33_vgpr34
                                        ; implicit-def: $vgpr35_vgpr36
	s_and_saveexec_b32 s5, s7
	s_delay_alu instid0(SALU_CYCLE_1)
	s_xor_b32 s7, exec_lo, s5
	s_cbranch_execz .LBB138_187
; %bb.186:                              ;   in Loop: Header=BB138_4 Depth=1
	v_cmp_le_f64_e64 s5, 0x7b000000, |v[3:4]|
	s_mov_b32 s20, s22
	s_mov_b32 s27, s25
	s_delay_alu instid0(VALU_DEP_1) | instskip(NEXT) | instid1(VALU_DEP_4)
	v_cndmask_b32_e64 v32, v45, v32, s5
	v_cndmask_b32_e64 v31, v3, v31, s5
	s_delay_alu instid0(VALU_DEP_1) | instskip(SKIP_2) | instid1(VALU_DEP_3)
	v_mul_f64 v[33:34], v[29:30], v[31:32]
	v_mul_f64 v[35:36], v[27:28], v[31:32]
	;; [unrolled: 1-line block ×3, first 2 shown]
	v_fma_f64 v[29:30], v[29:30], v[31:32], -v[33:34]
	s_delay_alu instid0(VALU_DEP_3) | instskip(NEXT) | instid1(VALU_DEP_3)
	v_fma_f64 v[27:28], v[27:28], v[31:32], -v[35:36]
	v_fma_f64 v[11:12], v[11:12], v[31:32], -v[55:56]
	s_delay_alu instid0(VALU_DEP_3) | instskip(NEXT) | instid1(VALU_DEP_1)
	v_add_f64 v[47:48], v[35:36], v[29:30]
	v_add_f64 v[49:50], v[47:48], -v[35:36]
	v_add_f64 v[53:54], v[33:34], v[47:48]
	s_delay_alu instid0(VALU_DEP_2) | instskip(SKIP_1) | instid1(VALU_DEP_3)
	v_add_f64 v[51:52], v[47:48], -v[49:50]
	v_add_f64 v[29:30], v[29:30], -v[49:50]
	v_ldexp_f64 v[49:50], v[53:54], -2
	v_add_f64 v[33:34], v[53:54], -v[33:34]
	s_delay_alu instid0(VALU_DEP_4) | instskip(SKIP_1) | instid1(VALU_DEP_4)
	v_add_f64 v[35:36], v[35:36], -v[51:52]
	v_add_f64 v[51:52], v[55:56], v[27:28]
	v_cmp_neq_f64_e64 s5, 0x7ff00000, |v[49:50]|
	s_delay_alu instid0(VALU_DEP_4) | instskip(NEXT) | instid1(VALU_DEP_4)
	v_add_f64 v[33:34], v[47:48], -v[33:34]
	v_add_f64 v[29:30], v[29:30], v[35:36]
	v_fract_f64_e32 v[35:36], v[49:50]
	s_delay_alu instid0(VALU_DEP_2) | instskip(NEXT) | instid1(VALU_DEP_2)
	v_add_f64 v[47:48], v[51:52], v[29:30]
	v_cndmask_b32_e64 v36, 0, v36, s5
	s_delay_alu instid0(VALU_DEP_3) | instskip(NEXT) | instid1(VALU_DEP_1)
	v_cndmask_b32_e64 v35, 0, v35, s5
	v_ldexp_f64 v[35:36], v[35:36], 2
	s_delay_alu instid0(VALU_DEP_4) | instskip(SKIP_1) | instid1(VALU_DEP_2)
	v_add_f64 v[49:50], v[33:34], v[47:48]
	v_add_f64 v[57:58], v[47:48], -v[51:52]
	v_add_f64 v[53:54], v[49:50], v[35:36]
	s_delay_alu instid0(VALU_DEP_2) | instskip(SKIP_2) | instid1(VALU_DEP_4)
	v_add_f64 v[63:64], v[47:48], -v[57:58]
	v_add_f64 v[29:30], v[29:30], -v[57:58]
	;; [unrolled: 1-line block ×3, first 2 shown]
	v_cmp_gt_f64_e64 s5, 0, v[53:54]
	v_add_f64 v[53:54], v[51:52], -v[55:56]
	s_delay_alu instid0(VALU_DEP_3) | instskip(NEXT) | instid1(VALU_DEP_3)
	v_add_f64 v[31:32], v[47:48], -v[31:32]
	v_cndmask_b32_e64 v22, 0, 0x40100000, s5
	s_delay_alu instid0(VALU_DEP_3) | instskip(SKIP_2) | instid1(VALU_DEP_4)
	v_add_f64 v[61:62], v[51:52], -v[53:54]
	v_add_f64 v[27:28], v[27:28], -v[53:54]
	;; [unrolled: 1-line block ×3, first 2 shown]
	v_add_f64 v[35:36], v[35:36], v[21:22]
	s_delay_alu instid0(VALU_DEP_4) | instskip(NEXT) | instid1(VALU_DEP_3)
	v_add_f64 v[53:54], v[55:56], -v[61:62]
	v_add_f64 v[29:30], v[29:30], v[51:52]
	s_delay_alu instid0(VALU_DEP_3) | instskip(NEXT) | instid1(VALU_DEP_3)
	v_add_f64 v[59:60], v[49:50], v[35:36]
	v_add_f64 v[27:28], v[27:28], v[53:54]
	s_delay_alu instid0(VALU_DEP_2) | instskip(NEXT) | instid1(VALU_DEP_2)
	v_cvt_i32_f64_e32 v22, v[59:60]
	v_add_f64 v[27:28], v[27:28], v[29:30]
	s_delay_alu instid0(VALU_DEP_2) | instskip(NEXT) | instid1(VALU_DEP_2)
	v_cvt_f64_i32_e32 v[57:58], v22
	v_add_f64 v[11:12], v[11:12], v[27:28]
	s_delay_alu instid0(VALU_DEP_2) | instskip(NEXT) | instid1(VALU_DEP_2)
	v_add_f64 v[35:36], v[35:36], -v[57:58]
	v_add_f64 v[11:12], v[31:32], v[11:12]
	s_delay_alu instid0(VALU_DEP_2) | instskip(NEXT) | instid1(VALU_DEP_1)
	v_add_f64 v[29:30], v[49:50], v[35:36]
	v_add_f64 v[27:28], v[29:30], -v[35:36]
	v_cmp_le_f64_e64 s5, 0.5, v[29:30]
	s_delay_alu instid0(VALU_DEP_2) | instskip(NEXT) | instid1(VALU_DEP_2)
	v_add_f64 v[27:28], v[49:50], -v[27:28]
	v_add_co_ci_u32_e64 v47, s6, 0, v22, s5
	v_cndmask_b32_e64 v22, 0, 0x3ff00000, s5
	s_delay_alu instid0(VALU_DEP_3) | instskip(NEXT) | instid1(VALU_DEP_2)
	v_add_f64 v[11:12], v[11:12], v[27:28]
	v_add_f64 v[27:28], v[29:30], -v[21:22]
	s_delay_alu instid0(VALU_DEP_1) | instskip(NEXT) | instid1(VALU_DEP_1)
	v_add_f64 v[29:30], v[27:28], v[11:12]
	v_mul_f64 v[31:32], v[29:30], s[20:21]
	v_add_f64 v[27:28], v[29:30], -v[27:28]
	s_delay_alu instid0(VALU_DEP_2) | instskip(NEXT) | instid1(VALU_DEP_2)
	v_fma_f64 v[33:34], v[29:30], s[20:21], -v[31:32]
	v_add_f64 v[11:12], v[11:12], -v[27:28]
	s_delay_alu instid0(VALU_DEP_2) | instskip(NEXT) | instid1(VALU_DEP_1)
	v_fma_f64 v[27:28], v[29:30], s[26:27], v[33:34]
	v_fma_f64 v[11:12], v[11:12], s[20:21], v[27:28]
	s_delay_alu instid0(VALU_DEP_1) | instskip(NEXT) | instid1(VALU_DEP_1)
	v_add_f64 v[33:34], v[31:32], v[11:12]
	v_add_f64 v[27:28], v[33:34], -v[31:32]
	s_delay_alu instid0(VALU_DEP_1)
	v_add_f64 v[35:36], v[11:12], -v[27:28]
	s_and_not1_saveexec_b32 s5, s7
	s_cbranch_execnz .LBB138_188
	s_branch .LBB138_189
.LBB138_187:                            ;   in Loop: Header=BB138_4 Depth=1
	s_and_not1_saveexec_b32 s5, s7
	s_cbranch_execz .LBB138_189
.LBB138_188:                            ;   in Loop: Header=BB138_4 Depth=1
	v_mul_f64 v[11:12], |v[3:4]|, s[28:29]
	s_mov_b32 s24, s30
	s_delay_alu instid0(VALU_DEP_1) | instskip(NEXT) | instid1(VALU_DEP_1)
	v_rndne_f64_e32 v[11:12], v[11:12]
	v_fma_f64 v[27:28], v[11:12], s[22:23], |v[3:4]|
	v_mul_f64 v[29:30], v[11:12], s[30:31]
	v_cvt_i32_f64_e32 v47, v[11:12]
	s_delay_alu instid0(VALU_DEP_3) | instskip(NEXT) | instid1(VALU_DEP_3)
	v_fma_f64 v[35:36], v[11:12], s[30:31], v[27:28]
	v_add_f64 v[31:32], v[27:28], v[29:30]
	s_delay_alu instid0(VALU_DEP_1) | instskip(NEXT) | instid1(VALU_DEP_3)
	v_add_f64 v[27:28], v[27:28], -v[31:32]
	v_add_f64 v[31:32], v[31:32], -v[35:36]
	s_delay_alu instid0(VALU_DEP_2) | instskip(SKIP_1) | instid1(VALU_DEP_2)
	v_add_f64 v[27:28], v[27:28], v[29:30]
	v_fma_f64 v[29:30], v[11:12], s[24:25], v[29:30]
	v_add_f64 v[27:28], v[31:32], v[27:28]
	s_delay_alu instid0(VALU_DEP_1) | instskip(NEXT) | instid1(VALU_DEP_1)
	v_add_f64 v[27:28], v[27:28], -v[29:30]
	v_fma_f64 v[27:28], v[11:12], s[34:35], v[27:28]
	s_delay_alu instid0(VALU_DEP_1) | instskip(NEXT) | instid1(VALU_DEP_1)
	v_add_f64 v[33:34], v[35:36], v[27:28]
	v_add_f64 v[29:30], v[33:34], -v[35:36]
	s_delay_alu instid0(VALU_DEP_1)
	v_add_f64 v[35:36], v[27:28], -v[29:30]
.LBB138_189:                            ;   in Loop: Header=BB138_4 Depth=1
	s_or_b32 exec_lo, exec_lo, s5
	v_mul_f64 v[11:12], v[1:2], v[1:2]
	v_mul_f64 v[27:28], v[33:34], v[33:34]
	s_delay_alu instid0(VALU_DEP_3) | instskip(NEXT) | instid1(VALU_DEP_4)
	v_mul_f64 v[60:61], v[9:10], 0.5
	v_mul_f64 v[66:67], v[35:36], 0.5
	s_mov_b32 s86, s56
	v_cmp_class_f64_e64 s6, v[3:4], 0x1f8
	v_and_b32_e32 v22, 1, v46
	v_lshlrev_b32_e32 v3, 30, v47
	s_delay_alu instid0(VALU_DEP_2) | instskip(SKIP_1) | instid1(VALU_DEP_3)
	v_cmp_eq_u32_e64 s5, 0, v22
	v_and_b32_e32 v22, 1, v47
	v_xor_b32_e32 v3, v3, v4
	s_delay_alu instid0(VALU_DEP_2) | instskip(NEXT) | instid1(VALU_DEP_2)
	v_cmp_eq_u32_e64 s7, 0, v22
	v_and_b32_e32 v3, 0x80000000, v3
	v_fma_f64 v[29:30], v[11:12], s[74:75], s[72:73]
	v_fma_f64 v[31:32], v[27:28], s[74:75], s[72:73]
	v_mul_f64 v[50:51], v[11:12], 0.5
	v_fma_f64 v[48:49], v[11:12], s[64:65], s[62:63]
	v_fma_f64 v[52:53], v[27:28], s[64:65], s[62:63]
	v_mul_f64 v[54:55], v[27:28], 0.5
	v_mul_f64 v[62:63], v[1:2], -v[11:12]
	v_mul_f64 v[68:69], v[33:34], -v[27:28]
	v_fma_f64 v[29:30], v[11:12], v[29:30], s[76:77]
	v_fma_f64 v[31:32], v[27:28], v[31:32], s[76:77]
	v_add_f64 v[56:57], -v[50:51], 1.0
	v_fma_f64 v[48:49], v[11:12], v[48:49], s[66:67]
	v_fma_f64 v[52:53], v[27:28], v[52:53], s[66:67]
	v_add_f64 v[58:59], -v[54:55], 1.0
	;; [unrolled: 3-line block ×4, first 2 shown]
	v_fma_f64 v[29:30], v[11:12], v[29:30], s[54:55]
	v_fma_f64 v[31:32], v[27:28], v[31:32], s[54:55]
	v_add_f64 v[50:51], v[64:65], -v[50:51]
	v_fma_f64 v[48:49], v[11:12], v[48:49], s[70:71]
	v_fma_f64 v[52:53], v[27:28], v[52:53], s[70:71]
	v_add_f64 v[54:55], v[70:71], -v[54:55]
	v_fma_f64 v[29:30], v[62:63], v[29:30], v[60:61]
	v_fma_f64 v[31:32], v[68:69], v[31:32], v[66:67]
	v_fma_f64 v[50:51], v[1:2], -v[9:10], v[50:51]
	v_mul_f64 v[60:61], v[11:12], v[11:12]
	v_fma_f64 v[48:49], v[11:12], v[48:49], s[56:57]
	v_fma_f64 v[9:10], v[11:12], v[29:30], -v[9:10]
	v_mul_f64 v[11:12], v[27:28], v[27:28]
	v_fma_f64 v[29:30], v[27:28], v[52:53], s[56:57]
	v_fma_f64 v[52:53], v[33:34], -v[35:36], v[54:55]
	v_fma_f64 v[27:28], v[27:28], v[31:32], -v[35:36]
	v_fma_f64 v[31:32], v[60:61], v[48:49], v[50:51]
	v_fma_f64 v[9:10], v[62:63], s[86:87], v[9:10]
	s_delay_alu instid0(VALU_DEP_4) | instskip(NEXT) | instid1(VALU_DEP_4)
	v_fma_f64 v[11:12], v[11:12], v[29:30], v[52:53]
	v_fma_f64 v[27:28], v[68:69], s[86:87], v[27:28]
	s_delay_alu instid0(VALU_DEP_4) | instskip(NEXT) | instid1(VALU_DEP_4)
	v_add_f64 v[29:30], v[56:57], v[31:32]
	v_add_f64 v[1:2], v[1:2], -v[9:10]
	s_delay_alu instid0(VALU_DEP_4) | instskip(NEXT) | instid1(VALU_DEP_4)
	v_add_f64 v[9:10], v[58:59], v[11:12]
	v_add_f64 v[11:12], v[33:34], -v[27:28]
	v_lshlrev_b32_e32 v27, 30, v46
	s_delay_alu instid0(VALU_DEP_1) | instskip(SKIP_3) | instid1(VALU_DEP_3)
	v_and_b32_e32 v4, 0x80000000, v27
	v_xor_b32_e32 v2, 0x80000000, v2
	v_cndmask_b32_e64 v1, v1, v29, s5
	v_cndmask_b32_e64 v11, v9, v11, s7
	;; [unrolled: 1-line block ×4, first 2 shown]
	s_delay_alu instid0(VALU_DEP_3) | instskip(NEXT) | instid1(VALU_DEP_3)
	v_cndmask_b32_e64 v11, 0, v11, s6
	v_xor_b32_e32 v2, v2, v4
	s_delay_alu instid0(VALU_DEP_3) | instskip(SKIP_1) | instid1(VALU_DEP_3)
	v_xor_b32_e32 v3, v9, v3
	v_cndmask_b32_e64 v9, 0, v1, s6
	v_cndmask_b32_e64 v10, 0x7ff80000, v2, s6
	s_delay_alu instid0(VALU_DEP_3)
	v_cndmask_b32_e64 v12, 0x7ff80000, v3, s6
.LBB138_190:                            ;   in Loop: Header=BB138_4 Depth=1
	s_or_b32 exec_lo, exec_lo, s8
                                        ; implicit-def: $vgpr1_vgpr2
	s_and_not1_saveexec_b32 s7, s92
	s_cbranch_execnz .LBB138_151
.LBB138_191:                            ;   in Loop: Header=BB138_4 Depth=1
	s_or_b32 exec_lo, exec_lo, s7
	s_and_saveexec_b32 s5, vcc_lo
	s_delay_alu instid0(SALU_CYCLE_1)
	s_xor_b32 s5, exec_lo, s5
	s_cbranch_execz .LBB138_152
.LBB138_192:                            ;   in Loop: Header=BB138_4 Depth=1
	v_add_co_u32 v1, s6, s33, v23
	s_delay_alu instid0(VALU_DEP_1)
	v_add_co_ci_u32_e64 v2, null, s88, 0, s6
	global_store_b128 v[1:2], v[5:8], off
	s_or_b32 exec_lo, exec_lo, s5
	s_and_saveexec_b32 s5, s2
	s_cbranch_execnz .LBB138_153
.LBB138_193:                            ;   in Loop: Header=BB138_4 Depth=1
	s_or_b32 exec_lo, exec_lo, s5
	s_and_saveexec_b32 s2, s3
	s_cbranch_execz .LBB138_154
.LBB138_194:                            ;   in Loop: Header=BB138_4 Depth=1
	v_add_co_u32 v1, vcc_lo, s33, v42
	v_add_co_ci_u32_e32 v2, vcc_lo, s88, v40, vcc_lo
	global_store_b128 v[1:2], v[17:20], off offset:-8
	s_or_b32 exec_lo, exec_lo, s2
	s_and_saveexec_b32 s2, s4
	s_cbranch_execz .LBB138_3
.LBB138_195:                            ;   in Loop: Header=BB138_4 Depth=1
	v_add_co_u32 v1, vcc_lo, s33, v25
	v_add_co_ci_u32_e32 v2, vcc_lo, s88, v26, vcc_lo
	global_store_b128 v[1:2], v[9:12], off offset:-8
	s_branch .LBB138_3
.LBB138_196:
	s_cbranch_execz .LBB138_198
	s_branch .LBB138_377
.LBB138_197:
.LBB138_198:
	v_dual_mov_b32 v20, 0 :: v_dual_lshlrev_b32 v1, 2, v0
	s_mov_b32 s33, 0
	s_mov_b32 s2, exec_lo
	s_delay_alu instid0(VALU_DEP_1) | instskip(NEXT) | instid1(VALU_DEP_1)
	v_mov_b32_e32 v2, v20
	v_cmpx_gt_i64_e64 s[10:11], v[1:2]
	s_cbranch_execz .LBB138_377
; %bb.199:
	s_load_b32 s0, s[0:1], 0xd3c
	v_lshlrev_b32_e32 v1, 6, v0
	v_mov_b32_e32 v23, v20
	s_mov_b32 s6, 0x54442d18
	s_mov_b32 s18, 0x6dc9c883
	;; [unrolled: 1-line block ×17, first 2 shown]
	s_waitcnt lgkmcnt(0)
	s_and_b32 s0, s0, 0xffff
	s_mov_b32 s52, 0xa17f65f6
	s_lshl_b32 s74, s0, 2
	s_add_u32 s1, s12, s14
	v_add_lshl_u32 v22, v0, s0, 2
	s_addc_u32 s2, s13, s15
	s_lshl_b32 s75, s0, 6
	v_add_co_u32 v24, s0, s1, v1
	s_delay_alu instid0(VALU_DEP_1)
	v_add_co_ci_u32_e64 v25, null, s2, 0, s0
	s_mov_b32 s12, 0xfefa39ef
	s_mov_b32 s14, 0x3b39803f
	;; [unrolled: 1-line block ×43, first 2 shown]
	s_branch .LBB138_201
.LBB138_200:                            ;   in Loop: Header=BB138_201 Depth=1
	s_or_b32 exec_lo, exec_lo, s1
	v_cmp_le_i64_e32 vcc_lo, s[10:11], v[22:23]
	v_cmp_lt_u64_e64 s0, 0xffff, v[22:23]
	s_clause 0x3
	global_store_b128 v[24:25], v[4:7], off
	global_store_b128 v[24:25], v[12:15], off offset:16
	global_store_b128 v[24:25], v[16:19], off offset:32
	;; [unrolled: 1-line block ×3, first 2 shown]
	s_or_b32 s0, vcc_lo, s0
	v_add_co_u32 v22, vcc_lo, v22, s74
	v_add_co_ci_u32_e32 v23, vcc_lo, 0, v23, vcc_lo
	v_add_co_u32 v24, vcc_lo, v24, s75
	v_add_co_ci_u32_e32 v25, vcc_lo, 0, v25, vcc_lo
	s_and_b32 s0, exec_lo, s0
	s_delay_alu instid0(SALU_CYCLE_1) | instskip(NEXT) | instid1(SALU_CYCLE_1)
	s_or_b32 s33, s0, s33
	s_and_not1_b32 exec_lo, exec_lo, s33
	s_cbranch_execz .LBB138_377
.LBB138_201:                            ; =>This Inner Loop Header: Depth=1
	s_clause 0x3
	global_load_b128 v[12:15], v[24:25], off
	global_load_b128 v[16:19], v[24:25], off offset:16
	global_load_b128 v[0:3], v[24:25], off offset:48
	;; [unrolled: 1-line block ×3, first 2 shown]
                                        ; implicit-def: $vgpr6_vgpr7
	s_mov_b32 s0, exec_lo
	s_waitcnt vmcnt(3)
	v_and_b32_e32 v4, 0x7fffffff, v15
	s_delay_alu instid0(VALU_DEP_1) | instskip(NEXT) | instid1(VALU_DEP_1)
	v_or_b32_e32 v5, v4, v14
	v_cmpx_ne_u32_e32 0, v5
	s_xor_b32 s77, exec_lo, s0
	s_cbranch_execz .LBB138_243
; %bb.202:                              ;   in Loop: Header=BB138_201 Depth=1
	v_and_b32_e32 v21, 0x7fffffff, v13
                                        ; implicit-def: $vgpr6_vgpr7
	s_mov_b32 s0, exec_lo
	s_delay_alu instid0(VALU_DEP_1) | instskip(NEXT) | instid1(VALU_DEP_1)
	v_or_b32_e32 v5, v21, v12
	v_cmpx_ne_u32_e32 0, v5
	s_xor_b32 s78, exec_lo, s0
	s_cbranch_execz .LBB138_232
; %bb.203:                              ;   in Loop: Header=BB138_201 Depth=1
                                        ; implicit-def: $vgpr6_vgpr7
	s_mov_b32 s0, exec_lo
	v_cmpx_gt_u32_e32 0x7ff00000, v4
	s_xor_b32 s79, exec_lo, s0
	s_cbranch_execz .LBB138_225
; %bb.204:                              ;   in Loop: Header=BB138_201 Depth=1
	v_add_nc_u32_e32 v4, 0xbf79d1be, v13
                                        ; implicit-def: $vgpr6_vgpr7
	s_mov_b32 s0, exec_lo
	s_delay_alu instid0(VALU_DEP_1)
	v_cmpx_lt_u32_e32 0x108aa2, v4
	s_xor_b32 s80, exec_lo, s0
	s_cbranch_execz .LBB138_214
; %bb.205:                              ;   in Loop: Header=BB138_201 Depth=1
	v_cmp_ngt_f64_e64 s1, 0x41d00000, |v[14:15]|
                                        ; implicit-def: $vgpr30
                                        ; implicit-def: $vgpr4_vgpr5
                                        ; implicit-def: $vgpr6_vgpr7
	s_delay_alu instid0(VALU_DEP_1) | instskip(NEXT) | instid1(SALU_CYCLE_1)
	s_and_saveexec_b32 s0, s1
	s_xor_b32 s2, exec_lo, s0
	s_cbranch_execz .LBB138_207
; %bb.206:                              ;   in Loop: Header=BB138_201 Depth=1
	v_ldexp_f64 v[4:5], |v[14:15]|, 0xffffff80
	v_cmp_le_f64_e64 vcc_lo, 0x7b000000, |v[14:15]|
	v_trig_preop_f64 v[6:7], |v[14:15]|, 0
	v_and_b32_e32 v21, 0x7fffffff, v15
	v_trig_preop_f64 v[26:27], |v[14:15]|, 1
	v_trig_preop_f64 v[36:37], |v[14:15]|, 2
	s_mov_b32 s4, s6
	s_mov_b32 s17, s9
	v_dual_cndmask_b32 v4, v14, v4 :: v_dual_cndmask_b32 v5, v21, v5
	s_delay_alu instid0(VALU_DEP_1) | instskip(NEXT) | instid1(VALU_DEP_4)
	v_mul_f64 v[28:29], v[6:7], v[4:5]
	v_mul_f64 v[30:31], v[26:27], v[4:5]
	s_delay_alu instid0(VALU_DEP_2) | instskip(NEXT) | instid1(VALU_DEP_2)
	v_fma_f64 v[6:7], v[6:7], v[4:5], -v[28:29]
	v_fma_f64 v[26:27], v[26:27], v[4:5], -v[30:31]
	s_delay_alu instid0(VALU_DEP_2) | instskip(NEXT) | instid1(VALU_DEP_1)
	v_add_f64 v[32:33], v[30:31], v[6:7]
	v_add_f64 v[34:35], v[32:33], -v[30:31]
	v_add_f64 v[40:41], v[28:29], v[32:33]
	s_delay_alu instid0(VALU_DEP_2) | instskip(SKIP_1) | instid1(VALU_DEP_3)
	v_add_f64 v[38:39], v[32:33], -v[34:35]
	v_add_f64 v[6:7], v[6:7], -v[34:35]
	v_ldexp_f64 v[34:35], v[40:41], -2
	v_add_f64 v[28:29], v[40:41], -v[28:29]
	s_delay_alu instid0(VALU_DEP_4) | instskip(NEXT) | instid1(VALU_DEP_3)
	v_add_f64 v[30:31], v[30:31], -v[38:39]
	v_cmp_neq_f64_e64 vcc_lo, 0x7ff00000, |v[34:35]|
	s_delay_alu instid0(VALU_DEP_3) | instskip(NEXT) | instid1(VALU_DEP_3)
	v_add_f64 v[28:29], v[32:33], -v[28:29]
	v_add_f64 v[6:7], v[6:7], v[30:31]
	v_fract_f64_e32 v[30:31], v[34:35]
	s_delay_alu instid0(VALU_DEP_1) | instskip(SKIP_1) | instid1(VALU_DEP_3)
	v_cndmask_b32_e32 v30, 0, v30, vcc_lo
	v_mul_f64 v[42:43], v[36:37], v[4:5]
	v_cndmask_b32_e32 v31, 0, v31, vcc_lo
	s_delay_alu instid0(VALU_DEP_1) | instskip(NEXT) | instid1(VALU_DEP_3)
	v_ldexp_f64 v[30:31], v[30:31], 2
	v_add_f64 v[38:39], v[42:43], v[26:27]
	v_fma_f64 v[4:5], v[36:37], v[4:5], -v[42:43]
	s_delay_alu instid0(VALU_DEP_2) | instskip(NEXT) | instid1(VALU_DEP_1)
	v_add_f64 v[32:33], v[38:39], v[6:7]
	v_add_f64 v[34:35], v[28:29], v[32:33]
	v_add_f64 v[44:45], v[32:33], -v[38:39]
	s_delay_alu instid0(VALU_DEP_2) | instskip(NEXT) | instid1(VALU_DEP_2)
	v_add_f64 v[40:41], v[34:35], v[30:31]
	v_add_f64 v[50:51], v[32:33], -v[44:45]
	v_add_f64 v[6:7], v[6:7], -v[44:45]
	;; [unrolled: 1-line block ×3, first 2 shown]
	s_delay_alu instid0(VALU_DEP_4) | instskip(SKIP_1) | instid1(VALU_DEP_3)
	v_cmp_gt_f64_e32 vcc_lo, 0, v[40:41]
	v_add_f64 v[40:41], v[38:39], -v[42:43]
	v_add_f64 v[28:29], v[32:33], -v[28:29]
	v_cndmask_b32_e64 v21, 0, 0x40100000, vcc_lo
	s_delay_alu instid0(VALU_DEP_3) | instskip(SKIP_2) | instid1(VALU_DEP_4)
	v_add_f64 v[48:49], v[38:39], -v[40:41]
	v_add_f64 v[26:27], v[26:27], -v[40:41]
	;; [unrolled: 1-line block ×3, first 2 shown]
	v_add_f64 v[30:31], v[30:31], v[20:21]
	s_delay_alu instid0(VALU_DEP_4) | instskip(NEXT) | instid1(VALU_DEP_3)
	v_add_f64 v[40:41], v[42:43], -v[48:49]
	v_add_f64 v[6:7], v[6:7], v[38:39]
	s_delay_alu instid0(VALU_DEP_3) | instskip(NEXT) | instid1(VALU_DEP_3)
	v_add_f64 v[46:47], v[34:35], v[30:31]
	v_add_f64 v[26:27], v[26:27], v[40:41]
	s_delay_alu instid0(VALU_DEP_2) | instskip(NEXT) | instid1(VALU_DEP_2)
	v_cvt_i32_f64_e32 v21, v[46:47]
	v_add_f64 v[6:7], v[26:27], v[6:7]
	s_delay_alu instid0(VALU_DEP_2) | instskip(NEXT) | instid1(VALU_DEP_2)
	v_cvt_f64_i32_e32 v[44:45], v21
	v_add_f64 v[4:5], v[4:5], v[6:7]
	s_delay_alu instid0(VALU_DEP_2) | instskip(NEXT) | instid1(VALU_DEP_2)
	v_add_f64 v[30:31], v[30:31], -v[44:45]
	v_add_f64 v[4:5], v[28:29], v[4:5]
	s_delay_alu instid0(VALU_DEP_2) | instskip(NEXT) | instid1(VALU_DEP_1)
	v_add_f64 v[26:27], v[34:35], v[30:31]
	v_add_f64 v[6:7], v[26:27], -v[30:31]
	v_cmp_le_f64_e32 vcc_lo, 0.5, v[26:27]
	s_delay_alu instid0(VALU_DEP_2) | instskip(SKIP_2) | instid1(VALU_DEP_3)
	v_add_f64 v[6:7], v[34:35], -v[6:7]
	v_add_co_ci_u32_e64 v30, s0, 0, v21, vcc_lo
	v_cndmask_b32_e64 v21, 0, 0x3ff00000, vcc_lo
	v_add_f64 v[4:5], v[4:5], v[6:7]
	s_delay_alu instid0(VALU_DEP_2) | instskip(NEXT) | instid1(VALU_DEP_1)
	v_add_f64 v[6:7], v[26:27], -v[20:21]
	v_add_f64 v[26:27], v[6:7], v[4:5]
	s_delay_alu instid0(VALU_DEP_1) | instskip(SKIP_1) | instid1(VALU_DEP_2)
	v_mul_f64 v[28:29], v[26:27], s[4:5]
	v_add_f64 v[6:7], v[26:27], -v[6:7]
	v_fma_f64 v[31:32], v[26:27], s[4:5], -v[28:29]
	s_delay_alu instid0(VALU_DEP_2) | instskip(NEXT) | instid1(VALU_DEP_2)
	v_add_f64 v[4:5], v[4:5], -v[6:7]
	v_fma_f64 v[6:7], v[26:27], s[16:17], v[31:32]
	s_delay_alu instid0(VALU_DEP_1) | instskip(NEXT) | instid1(VALU_DEP_1)
	v_fma_f64 v[6:7], v[4:5], s[4:5], v[6:7]
	v_add_f64 v[4:5], v[28:29], v[6:7]
	s_delay_alu instid0(VALU_DEP_1) | instskip(NEXT) | instid1(VALU_DEP_1)
	v_add_f64 v[26:27], v[4:5], -v[28:29]
	v_add_f64 v[6:7], v[6:7], -v[26:27]
	s_and_not1_saveexec_b32 s0, s2
	s_cbranch_execz .LBB138_209
	s_branch .LBB138_208
.LBB138_207:                            ;   in Loop: Header=BB138_201 Depth=1
	s_and_not1_saveexec_b32 s0, s2
	s_cbranch_execz .LBB138_209
.LBB138_208:                            ;   in Loop: Header=BB138_201 Depth=1
	v_mul_f64 v[4:5], |v[14:15]|, s[18:19]
	s_mov_b32 s8, s20
	s_delay_alu instid0(VALU_DEP_1) | instskip(NEXT) | instid1(VALU_DEP_1)
	v_rndne_f64_e32 v[26:27], v[4:5]
	v_fma_f64 v[4:5], v[26:27], s[6:7], |v[14:15]|
	v_mul_f64 v[6:7], v[26:27], s[20:21]
	s_delay_alu instid0(VALU_DEP_2) | instskip(NEXT) | instid1(VALU_DEP_2)
	v_fma_f64 v[30:31], v[26:27], s[20:21], v[4:5]
	v_add_f64 v[28:29], v[4:5], v[6:7]
	s_delay_alu instid0(VALU_DEP_1) | instskip(NEXT) | instid1(VALU_DEP_3)
	v_add_f64 v[4:5], v[4:5], -v[28:29]
	v_add_f64 v[28:29], v[28:29], -v[30:31]
	s_delay_alu instid0(VALU_DEP_2) | instskip(SKIP_1) | instid1(VALU_DEP_2)
	v_add_f64 v[4:5], v[4:5], v[6:7]
	v_fma_f64 v[6:7], v[26:27], s[8:9], v[6:7]
	v_add_f64 v[4:5], v[28:29], v[4:5]
	s_delay_alu instid0(VALU_DEP_1) | instskip(NEXT) | instid1(VALU_DEP_1)
	v_add_f64 v[4:5], v[4:5], -v[6:7]
	v_fma_f64 v[6:7], v[26:27], s[22:23], v[4:5]
	s_delay_alu instid0(VALU_DEP_1) | instskip(NEXT) | instid1(VALU_DEP_1)
	v_add_f64 v[4:5], v[30:31], v[6:7]
	v_add_f64 v[28:29], v[4:5], -v[30:31]
	v_cvt_i32_f64_e32 v30, v[26:27]
	s_delay_alu instid0(VALU_DEP_2)
	v_add_f64 v[6:7], v[6:7], -v[28:29]
.LBB138_209:                            ;   in Loop: Header=BB138_201 Depth=1
	s_or_b32 exec_lo, exec_lo, s0
                                        ; implicit-def: $vgpr31
                                        ; implicit-def: $vgpr26_vgpr27
                                        ; implicit-def: $vgpr28_vgpr29
	s_and_saveexec_b32 s0, s1
	s_delay_alu instid0(SALU_CYCLE_1)
	s_xor_b32 s1, exec_lo, s0
	s_cbranch_execz .LBB138_211
; %bb.210:                              ;   in Loop: Header=BB138_201 Depth=1
	v_ldexp_f64 v[26:27], |v[14:15]|, 0xffffff80
	v_cmp_le_f64_e64 vcc_lo, 0x7b000000, |v[14:15]|
	v_trig_preop_f64 v[28:29], |v[14:15]|, 0
	v_and_b32_e32 v21, 0x7fffffff, v15
	v_trig_preop_f64 v[31:32], |v[14:15]|, 1
	v_trig_preop_f64 v[41:42], |v[14:15]|, 2
	s_mov_b32 s4, s6
	s_mov_b32 s17, s9
	v_dual_cndmask_b32 v26, v14, v26 :: v_dual_cndmask_b32 v27, v21, v27
	s_delay_alu instid0(VALU_DEP_1) | instskip(NEXT) | instid1(VALU_DEP_4)
	v_mul_f64 v[33:34], v[28:29], v[26:27]
	v_mul_f64 v[35:36], v[31:32], v[26:27]
	s_delay_alu instid0(VALU_DEP_2) | instskip(NEXT) | instid1(VALU_DEP_2)
	v_fma_f64 v[28:29], v[28:29], v[26:27], -v[33:34]
	v_fma_f64 v[31:32], v[31:32], v[26:27], -v[35:36]
	s_delay_alu instid0(VALU_DEP_2) | instskip(NEXT) | instid1(VALU_DEP_1)
	v_add_f64 v[37:38], v[35:36], v[28:29]
	v_add_f64 v[39:40], v[37:38], -v[35:36]
	v_add_f64 v[45:46], v[33:34], v[37:38]
	s_delay_alu instid0(VALU_DEP_2) | instskip(SKIP_1) | instid1(VALU_DEP_3)
	v_add_f64 v[43:44], v[37:38], -v[39:40]
	v_add_f64 v[28:29], v[28:29], -v[39:40]
	v_ldexp_f64 v[39:40], v[45:46], -2
	v_add_f64 v[33:34], v[45:46], -v[33:34]
	s_delay_alu instid0(VALU_DEP_4) | instskip(NEXT) | instid1(VALU_DEP_3)
	v_add_f64 v[35:36], v[35:36], -v[43:44]
	v_cmp_neq_f64_e64 vcc_lo, 0x7ff00000, |v[39:40]|
	s_delay_alu instid0(VALU_DEP_3) | instskip(NEXT) | instid1(VALU_DEP_3)
	v_add_f64 v[33:34], v[37:38], -v[33:34]
	v_add_f64 v[28:29], v[28:29], v[35:36]
	v_fract_f64_e32 v[35:36], v[39:40]
	s_delay_alu instid0(VALU_DEP_1) | instskip(SKIP_1) | instid1(VALU_DEP_3)
	v_cndmask_b32_e32 v36, 0, v36, vcc_lo
	v_mul_f64 v[47:48], v[41:42], v[26:27]
	v_cndmask_b32_e32 v35, 0, v35, vcc_lo
	s_delay_alu instid0(VALU_DEP_1) | instskip(NEXT) | instid1(VALU_DEP_3)
	v_ldexp_f64 v[35:36], v[35:36], 2
	v_add_f64 v[43:44], v[47:48], v[31:32]
	v_fma_f64 v[26:27], v[41:42], v[26:27], -v[47:48]
	s_delay_alu instid0(VALU_DEP_2) | instskip(NEXT) | instid1(VALU_DEP_1)
	v_add_f64 v[37:38], v[43:44], v[28:29]
	v_add_f64 v[39:40], v[33:34], v[37:38]
	v_add_f64 v[49:50], v[37:38], -v[43:44]
	s_delay_alu instid0(VALU_DEP_2) | instskip(NEXT) | instid1(VALU_DEP_2)
	v_add_f64 v[45:46], v[39:40], v[35:36]
	v_add_f64 v[55:56], v[37:38], -v[49:50]
	v_add_f64 v[28:29], v[28:29], -v[49:50]
	;; [unrolled: 1-line block ×3, first 2 shown]
	s_delay_alu instid0(VALU_DEP_4) | instskip(SKIP_2) | instid1(VALU_DEP_2)
	v_cmp_gt_f64_e32 vcc_lo, 0, v[45:46]
	v_add_f64 v[45:46], v[43:44], -v[47:48]
	v_cndmask_b32_e64 v21, 0, 0x40100000, vcc_lo
	v_add_f64 v[53:54], v[43:44], -v[45:46]
	v_add_f64 v[31:32], v[31:32], -v[45:46]
	;; [unrolled: 1-line block ×3, first 2 shown]
	s_delay_alu instid0(VALU_DEP_4) | instskip(NEXT) | instid1(VALU_DEP_4)
	v_add_f64 v[35:36], v[35:36], v[20:21]
	v_add_f64 v[45:46], v[47:48], -v[53:54]
	s_delay_alu instid0(VALU_DEP_3) | instskip(NEXT) | instid1(VALU_DEP_3)
	v_add_f64 v[28:29], v[28:29], v[43:44]
	v_add_f64 v[51:52], v[39:40], v[35:36]
	s_delay_alu instid0(VALU_DEP_3) | instskip(NEXT) | instid1(VALU_DEP_2)
	v_add_f64 v[31:32], v[31:32], v[45:46]
	v_cvt_i32_f64_e32 v21, v[51:52]
	s_delay_alu instid0(VALU_DEP_2) | instskip(SKIP_1) | instid1(VALU_DEP_3)
	v_add_f64 v[28:29], v[31:32], v[28:29]
	v_add_f64 v[31:32], v[37:38], -v[33:34]
	v_cvt_f64_i32_e32 v[49:50], v21
	s_delay_alu instid0(VALU_DEP_3) | instskip(NEXT) | instid1(VALU_DEP_2)
	v_add_f64 v[26:27], v[26:27], v[28:29]
	v_add_f64 v[35:36], v[35:36], -v[49:50]
	s_delay_alu instid0(VALU_DEP_2) | instskip(NEXT) | instid1(VALU_DEP_2)
	v_add_f64 v[26:27], v[31:32], v[26:27]
	v_add_f64 v[41:42], v[39:40], v[35:36]
	s_delay_alu instid0(VALU_DEP_1) | instskip(SKIP_1) | instid1(VALU_DEP_2)
	v_add_f64 v[28:29], v[41:42], -v[35:36]
	v_cmp_le_f64_e32 vcc_lo, 0.5, v[41:42]
	v_add_f64 v[28:29], v[39:40], -v[28:29]
	v_add_co_ci_u32_e64 v31, s0, 0, v21, vcc_lo
	v_cndmask_b32_e64 v21, 0, 0x3ff00000, vcc_lo
	s_delay_alu instid0(VALU_DEP_3) | instskip(NEXT) | instid1(VALU_DEP_2)
	v_add_f64 v[26:27], v[26:27], v[28:29]
	v_add_f64 v[28:29], v[41:42], -v[20:21]
	s_delay_alu instid0(VALU_DEP_1) | instskip(NEXT) | instid1(VALU_DEP_1)
	v_add_f64 v[32:33], v[28:29], v[26:27]
	v_mul_f64 v[34:35], v[32:33], s[4:5]
	v_add_f64 v[28:29], v[32:33], -v[28:29]
	s_delay_alu instid0(VALU_DEP_2) | instskip(NEXT) | instid1(VALU_DEP_2)
	v_fma_f64 v[36:37], v[32:33], s[4:5], -v[34:35]
	v_add_f64 v[26:27], v[26:27], -v[28:29]
	s_delay_alu instid0(VALU_DEP_2) | instskip(NEXT) | instid1(VALU_DEP_1)
	v_fma_f64 v[28:29], v[32:33], s[16:17], v[36:37]
	v_fma_f64 v[28:29], v[26:27], s[4:5], v[28:29]
	s_delay_alu instid0(VALU_DEP_1) | instskip(NEXT) | instid1(VALU_DEP_1)
	v_add_f64 v[26:27], v[34:35], v[28:29]
	v_add_f64 v[32:33], v[26:27], -v[34:35]
	s_delay_alu instid0(VALU_DEP_1)
	v_add_f64 v[28:29], v[28:29], -v[32:33]
	s_and_not1_saveexec_b32 s0, s1
	s_cbranch_execnz .LBB138_212
	s_branch .LBB138_213
.LBB138_211:                            ;   in Loop: Header=BB138_201 Depth=1
	s_and_not1_saveexec_b32 s0, s1
	s_cbranch_execz .LBB138_213
.LBB138_212:                            ;   in Loop: Header=BB138_201 Depth=1
	v_mul_f64 v[26:27], |v[14:15]|, s[18:19]
	s_mov_b32 s8, s20
	s_delay_alu instid0(VALU_DEP_1) | instskip(NEXT) | instid1(VALU_DEP_1)
	v_rndne_f64_e32 v[31:32], v[26:27]
	v_fma_f64 v[26:27], v[31:32], s[6:7], |v[14:15]|
	v_mul_f64 v[28:29], v[31:32], s[20:21]
	s_delay_alu instid0(VALU_DEP_2) | instskip(NEXT) | instid1(VALU_DEP_2)
	v_fma_f64 v[35:36], v[31:32], s[20:21], v[26:27]
	v_add_f64 v[33:34], v[26:27], v[28:29]
	s_delay_alu instid0(VALU_DEP_1) | instskip(NEXT) | instid1(VALU_DEP_3)
	v_add_f64 v[26:27], v[26:27], -v[33:34]
	v_add_f64 v[33:34], v[33:34], -v[35:36]
	s_delay_alu instid0(VALU_DEP_2) | instskip(SKIP_1) | instid1(VALU_DEP_2)
	v_add_f64 v[26:27], v[26:27], v[28:29]
	v_fma_f64 v[28:29], v[31:32], s[8:9], v[28:29]
	v_add_f64 v[26:27], v[33:34], v[26:27]
	s_delay_alu instid0(VALU_DEP_1) | instskip(NEXT) | instid1(VALU_DEP_1)
	v_add_f64 v[26:27], v[26:27], -v[28:29]
	v_fma_f64 v[28:29], v[31:32], s[22:23], v[26:27]
	v_cvt_i32_f64_e32 v31, v[31:32]
	s_delay_alu instid0(VALU_DEP_2) | instskip(NEXT) | instid1(VALU_DEP_1)
	v_add_f64 v[26:27], v[35:36], v[28:29]
	v_add_f64 v[33:34], v[26:27], -v[35:36]
	s_delay_alu instid0(VALU_DEP_1)
	v_add_f64 v[28:29], v[28:29], -v[33:34]
.LBB138_213:                            ;   in Loop: Header=BB138_201 Depth=1
	s_or_b32 exec_lo, exec_lo, s0
	v_mul_f64 v[32:33], v[12:13], s[24:25]
	v_mul_f64 v[38:39], v[4:5], v[4:5]
	;; [unrolled: 1-line block ×3, first 2 shown]
	s_mov_b32 s69, s41
	s_mov_b32 s71, s43
	s_delay_alu instid0(VALU_DEP_4)
	v_mul_f64 v[58:59], v[6:7], 0.5
	v_mul_f64 v[64:65], v[28:29], 0.5
	s_mov_b32 s72, s42
	v_cmp_nlt_f64_e64 s1, 0x40900000, v[12:13]
	v_cmp_ngt_f64_e64 s2, 0xc090cc00, v[12:13]
	v_cmp_class_f64_e64 s0, v[14:15], 0x1f8
	v_and_b32_e32 v14, 1, v31
	s_delay_alu instid0(VALU_DEP_1)
	v_cmp_eq_u32_e64 s3, 0, v14
	v_rndne_f64_e32 v[32:33], v[32:33]
	v_fma_f64 v[42:43], v[38:39], s[60:61], s[58:59]
	v_fma_f64 v[44:45], v[40:41], s[60:61], s[58:59]
	v_mul_f64 v[48:49], v[38:39], 0.5
	v_fma_f64 v[46:47], v[38:39], s[50:51], s[48:49]
	v_fma_f64 v[50:51], v[40:41], s[50:51], s[48:49]
	v_mul_f64 v[52:53], v[40:41], 0.5
	v_mul_f64 v[60:61], v[4:5], -v[38:39]
	v_mul_f64 v[66:67], v[26:27], -v[40:41]
	v_fma_f64 v[34:35], v[32:33], s[12:13], v[12:13]
	v_fma_f64 v[42:43], v[38:39], v[42:43], s[62:63]
	;; [unrolled: 1-line block ×3, first 2 shown]
	v_add_f64 v[54:55], -v[48:49], 1.0
	v_fma_f64 v[46:47], v[38:39], v[46:47], s[52:53]
	v_fma_f64 v[50:51], v[40:41], v[50:51], s[52:53]
	v_add_f64 v[56:57], -v[52:53], 1.0
	v_cvt_i32_f64_e32 v21, v[32:33]
	v_lshlrev_b32_e32 v13, 30, v30
	v_fma_f64 v[34:35], v[32:33], s[14:15], v[34:35]
	v_fma_f64 v[42:43], v[38:39], v[42:43], s[64:65]
	;; [unrolled: 1-line block ×3, first 2 shown]
	v_add_f64 v[62:63], -v[54:55], 1.0
	v_fma_f64 v[46:47], v[38:39], v[46:47], s[54:55]
	v_fma_f64 v[50:51], v[40:41], v[50:51], s[54:55]
	v_add_f64 v[68:69], -v[56:57], 1.0
	v_fma_f64 v[36:37], v[34:35], s[28:29], s[26:27]
	v_fma_f64 v[42:43], v[38:39], v[42:43], s[40:41]
	;; [unrolled: 1-line block ×3, first 2 shown]
	v_add_f64 v[48:49], v[62:63], -v[48:49]
	v_fma_f64 v[46:47], v[38:39], v[46:47], s[56:57]
	v_fma_f64 v[50:51], v[40:41], v[50:51], s[56:57]
	v_add_f64 v[52:53], v[68:69], -v[52:53]
	v_fma_f64 v[36:37], v[34:35], v[36:37], s[30:31]
	v_fma_f64 v[42:43], v[60:61], v[42:43], v[58:59]
	v_fma_f64 v[44:45], v[66:67], v[44:45], v[64:65]
	v_fma_f64 v[48:49], v[4:5], -v[6:7], v[48:49]
	v_mul_f64 v[58:59], v[38:39], v[38:39]
	v_fma_f64 v[46:47], v[38:39], v[46:47], s[42:43]
	v_fma_f64 v[36:37], v[34:35], v[36:37], s[34:35]
	v_fma_f64 v[6:7], v[38:39], v[42:43], -v[6:7]
	v_mul_f64 v[38:39], v[40:41], v[40:41]
	v_fma_f64 v[42:43], v[40:41], v[50:51], s[42:43]
	v_fma_f64 v[50:51], v[26:27], -v[28:29], v[52:53]
	v_fma_f64 v[28:29], v[40:41], v[44:45], -v[28:29]
	v_fma_f64 v[40:41], v[58:59], v[46:47], v[48:49]
	v_fma_f64 v[36:37], v[34:35], v[36:37], s[36:37]
	;; [unrolled: 1-line block ×3, first 2 shown]
	s_delay_alu instid0(VALU_DEP_4) | instskip(NEXT) | instid1(VALU_DEP_3)
	v_fma_f64 v[28:29], v[66:67], s[72:73], v[28:29]
	v_fma_f64 v[36:37], v[34:35], v[36:37], s[38:39]
	s_delay_alu instid0(VALU_DEP_3) | instskip(NEXT) | instid1(VALU_DEP_3)
	v_add_f64 v[4:5], v[4:5], -v[6:7]
	v_add_f64 v[26:27], v[26:27], -v[28:29]
	s_delay_alu instid0(VALU_DEP_3) | instskip(NEXT) | instid1(VALU_DEP_3)
	v_fma_f64 v[36:37], v[34:35], v[36:37], s[68:69]
	v_xor_b32_e32 v5, 0x80000000, v5
	s_delay_alu instid0(VALU_DEP_2) | instskip(NEXT) | instid1(VALU_DEP_1)
	v_fma_f64 v[36:37], v[34:35], v[36:37], s[70:71]
	v_fma_f64 v[36:37], v[34:35], v[36:37], s[44:45]
	s_delay_alu instid0(VALU_DEP_1) | instskip(NEXT) | instid1(VALU_DEP_1)
	v_fma_f64 v[36:37], v[34:35], v[36:37], s[46:47]
	v_fma_f64 v[36:37], v[34:35], v[36:37], 1.0
	s_delay_alu instid0(VALU_DEP_1) | instskip(SKIP_2) | instid1(VALU_DEP_3)
	v_fma_f64 v[32:33], v[34:35], v[36:37], 1.0
	v_fma_f64 v[34:35], v[38:39], v[42:43], v[50:51]
	v_add_f64 v[36:37], v[54:55], v[40:41]
	v_ldexp_f64 v[6:7], v[32:33], v21
	s_delay_alu instid0(VALU_DEP_3) | instskip(SKIP_1) | instid1(VALU_DEP_1)
	v_add_f64 v[32:33], v[56:57], v[34:35]
	v_and_b32_e32 v21, 1, v30
	v_cmp_eq_u32_e32 vcc_lo, 0, v21
	v_dual_cndmask_b32 v5, v5, v37 :: v_dual_lshlrev_b32 v12, 30, v31
	s_delay_alu instid0(VALU_DEP_1) | instskip(SKIP_3) | instid1(VALU_DEP_3)
	v_xor_b32_e32 v12, v12, v15
	v_cndmask_b32_e32 v4, v4, v36, vcc_lo
	s_and_b32 vcc_lo, s2, s1
	v_and_b32_e32 v13, 0x80000000, v13
	v_and_b32_e32 v12, 0x80000000, v12
	s_delay_alu instid0(VALU_DEP_3)
	v_cndmask_b32_e64 v4, 0, v4, s0
	v_cndmask_b32_e32 v6, 0, v6, vcc_lo
	v_cndmask_b32_e64 v15, v33, v27, s3
	v_cndmask_b32_e64 v7, 0x7ff00000, v7, s1
	;; [unrolled: 1-line block ×3, first 2 shown]
	v_xor_b32_e32 v5, v5, v13
	s_delay_alu instid0(VALU_DEP_4) | instskip(NEXT) | instid1(VALU_DEP_4)
	v_xor_b32_e32 v13, v15, v12
	v_cndmask_b32_e64 v7, 0, v7, s2
	s_delay_alu instid0(VALU_DEP_4) | instskip(NEXT) | instid1(VALU_DEP_4)
	v_cndmask_b32_e64 v12, 0, v14, s0
	v_cndmask_b32_e64 v5, 0x7ff80000, v5, s0
                                        ; implicit-def: $vgpr14_vgpr15
	s_delay_alu instid0(VALU_DEP_4) | instskip(NEXT) | instid1(VALU_DEP_2)
	v_cndmask_b32_e64 v13, 0x7ff80000, v13, s0
	v_mul_f64 v[4:5], v[6:7], v[4:5]
	s_delay_alu instid0(VALU_DEP_2)
	v_mul_f64 v[6:7], v[6:7], v[12:13]
.LBB138_214:                            ;   in Loop: Header=BB138_201 Depth=1
	s_and_not1_saveexec_b32 s80, s80
	s_cbranch_execz .LBB138_217
; %bb.215:                              ;   in Loop: Header=BB138_201 Depth=1
	v_cmp_ngt_f64_e64 s1, 0x41d00000, |v[14:15]|
                                        ; implicit-def: $vgpr30
                                        ; implicit-def: $vgpr4_vgpr5
                                        ; implicit-def: $vgpr6_vgpr7
	s_delay_alu instid0(VALU_DEP_1) | instskip(NEXT) | instid1(SALU_CYCLE_1)
	s_and_saveexec_b32 s0, s1
	s_xor_b32 s2, exec_lo, s0
	s_cbranch_execz .LBB138_218
; %bb.216:                              ;   in Loop: Header=BB138_201 Depth=1
	v_ldexp_f64 v[4:5], |v[14:15]|, 0xffffff80
	v_cmp_le_f64_e64 vcc_lo, 0x7b000000, |v[14:15]|
	v_trig_preop_f64 v[6:7], |v[14:15]|, 0
	v_and_b32_e32 v21, 0x7fffffff, v15
	v_trig_preop_f64 v[26:27], |v[14:15]|, 1
	v_trig_preop_f64 v[36:37], |v[14:15]|, 2
	s_mov_b32 s4, s6
	s_mov_b32 s17, s9
	v_dual_cndmask_b32 v4, v14, v4 :: v_dual_cndmask_b32 v5, v21, v5
	s_delay_alu instid0(VALU_DEP_1) | instskip(NEXT) | instid1(VALU_DEP_4)
	v_mul_f64 v[28:29], v[6:7], v[4:5]
	v_mul_f64 v[30:31], v[26:27], v[4:5]
	s_delay_alu instid0(VALU_DEP_2) | instskip(NEXT) | instid1(VALU_DEP_2)
	v_fma_f64 v[6:7], v[6:7], v[4:5], -v[28:29]
	v_fma_f64 v[26:27], v[26:27], v[4:5], -v[30:31]
	s_delay_alu instid0(VALU_DEP_2) | instskip(NEXT) | instid1(VALU_DEP_1)
	v_add_f64 v[32:33], v[30:31], v[6:7]
	v_add_f64 v[34:35], v[32:33], -v[30:31]
	v_add_f64 v[40:41], v[28:29], v[32:33]
	s_delay_alu instid0(VALU_DEP_2) | instskip(SKIP_1) | instid1(VALU_DEP_3)
	v_add_f64 v[38:39], v[32:33], -v[34:35]
	v_add_f64 v[6:7], v[6:7], -v[34:35]
	v_ldexp_f64 v[34:35], v[40:41], -2
	v_add_f64 v[28:29], v[40:41], -v[28:29]
	s_delay_alu instid0(VALU_DEP_4) | instskip(NEXT) | instid1(VALU_DEP_3)
	v_add_f64 v[30:31], v[30:31], -v[38:39]
	v_cmp_neq_f64_e64 vcc_lo, 0x7ff00000, |v[34:35]|
	s_delay_alu instid0(VALU_DEP_3) | instskip(NEXT) | instid1(VALU_DEP_3)
	v_add_f64 v[28:29], v[32:33], -v[28:29]
	v_add_f64 v[6:7], v[6:7], v[30:31]
	v_fract_f64_e32 v[30:31], v[34:35]
	s_delay_alu instid0(VALU_DEP_1) | instskip(SKIP_1) | instid1(VALU_DEP_3)
	v_cndmask_b32_e32 v30, 0, v30, vcc_lo
	v_mul_f64 v[42:43], v[36:37], v[4:5]
	v_cndmask_b32_e32 v31, 0, v31, vcc_lo
	s_delay_alu instid0(VALU_DEP_1) | instskip(NEXT) | instid1(VALU_DEP_3)
	v_ldexp_f64 v[30:31], v[30:31], 2
	v_add_f64 v[38:39], v[42:43], v[26:27]
	v_fma_f64 v[4:5], v[36:37], v[4:5], -v[42:43]
	s_delay_alu instid0(VALU_DEP_2) | instskip(NEXT) | instid1(VALU_DEP_1)
	v_add_f64 v[32:33], v[38:39], v[6:7]
	v_add_f64 v[34:35], v[28:29], v[32:33]
	v_add_f64 v[44:45], v[32:33], -v[38:39]
	s_delay_alu instid0(VALU_DEP_2) | instskip(NEXT) | instid1(VALU_DEP_2)
	v_add_f64 v[40:41], v[34:35], v[30:31]
	v_add_f64 v[50:51], v[32:33], -v[44:45]
	v_add_f64 v[6:7], v[6:7], -v[44:45]
	v_add_f64 v[28:29], v[34:35], -v[28:29]
	s_delay_alu instid0(VALU_DEP_4) | instskip(SKIP_1) | instid1(VALU_DEP_3)
	v_cmp_gt_f64_e32 vcc_lo, 0, v[40:41]
	v_add_f64 v[40:41], v[38:39], -v[42:43]
	v_add_f64 v[28:29], v[32:33], -v[28:29]
	v_cndmask_b32_e64 v21, 0, 0x40100000, vcc_lo
	s_delay_alu instid0(VALU_DEP_3) | instskip(SKIP_2) | instid1(VALU_DEP_4)
	v_add_f64 v[48:49], v[38:39], -v[40:41]
	v_add_f64 v[26:27], v[26:27], -v[40:41]
	;; [unrolled: 1-line block ×3, first 2 shown]
	v_add_f64 v[30:31], v[30:31], v[20:21]
	s_delay_alu instid0(VALU_DEP_4) | instskip(NEXT) | instid1(VALU_DEP_3)
	v_add_f64 v[40:41], v[42:43], -v[48:49]
	v_add_f64 v[6:7], v[6:7], v[38:39]
	s_delay_alu instid0(VALU_DEP_3) | instskip(NEXT) | instid1(VALU_DEP_3)
	v_add_f64 v[46:47], v[34:35], v[30:31]
	v_add_f64 v[26:27], v[26:27], v[40:41]
	s_delay_alu instid0(VALU_DEP_2) | instskip(NEXT) | instid1(VALU_DEP_2)
	v_cvt_i32_f64_e32 v21, v[46:47]
	v_add_f64 v[6:7], v[26:27], v[6:7]
	s_delay_alu instid0(VALU_DEP_2) | instskip(NEXT) | instid1(VALU_DEP_2)
	v_cvt_f64_i32_e32 v[44:45], v21
	v_add_f64 v[4:5], v[4:5], v[6:7]
	s_delay_alu instid0(VALU_DEP_2) | instskip(NEXT) | instid1(VALU_DEP_2)
	v_add_f64 v[30:31], v[30:31], -v[44:45]
	v_add_f64 v[4:5], v[28:29], v[4:5]
	s_delay_alu instid0(VALU_DEP_2) | instskip(NEXT) | instid1(VALU_DEP_1)
	v_add_f64 v[26:27], v[34:35], v[30:31]
	v_add_f64 v[6:7], v[26:27], -v[30:31]
	v_cmp_le_f64_e32 vcc_lo, 0.5, v[26:27]
	s_delay_alu instid0(VALU_DEP_2) | instskip(SKIP_2) | instid1(VALU_DEP_3)
	v_add_f64 v[6:7], v[34:35], -v[6:7]
	v_add_co_ci_u32_e64 v30, s0, 0, v21, vcc_lo
	v_cndmask_b32_e64 v21, 0, 0x3ff00000, vcc_lo
	v_add_f64 v[4:5], v[4:5], v[6:7]
	s_delay_alu instid0(VALU_DEP_2) | instskip(NEXT) | instid1(VALU_DEP_1)
	v_add_f64 v[6:7], v[26:27], -v[20:21]
	v_add_f64 v[26:27], v[6:7], v[4:5]
	s_delay_alu instid0(VALU_DEP_1) | instskip(SKIP_1) | instid1(VALU_DEP_2)
	v_mul_f64 v[28:29], v[26:27], s[4:5]
	v_add_f64 v[6:7], v[26:27], -v[6:7]
	v_fma_f64 v[31:32], v[26:27], s[4:5], -v[28:29]
	s_delay_alu instid0(VALU_DEP_2) | instskip(NEXT) | instid1(VALU_DEP_2)
	v_add_f64 v[4:5], v[4:5], -v[6:7]
	v_fma_f64 v[6:7], v[26:27], s[16:17], v[31:32]
	s_delay_alu instid0(VALU_DEP_1) | instskip(NEXT) | instid1(VALU_DEP_1)
	v_fma_f64 v[6:7], v[4:5], s[4:5], v[6:7]
	v_add_f64 v[4:5], v[28:29], v[6:7]
	s_delay_alu instid0(VALU_DEP_1) | instskip(NEXT) | instid1(VALU_DEP_1)
	v_add_f64 v[26:27], v[4:5], -v[28:29]
	v_add_f64 v[6:7], v[6:7], -v[26:27]
	s_and_not1_saveexec_b32 s0, s2
	s_cbranch_execz .LBB138_220
	s_branch .LBB138_219
.LBB138_217:                            ;   in Loop: Header=BB138_201 Depth=1
	s_or_b32 exec_lo, exec_lo, s80
                                        ; implicit-def: $vgpr12_vgpr13
                                        ; implicit-def: $vgpr21
	s_and_not1_saveexec_b32 s1, s79
	s_cbranch_execnz .LBB138_226
	s_branch .LBB138_231
.LBB138_218:                            ;   in Loop: Header=BB138_201 Depth=1
	s_and_not1_saveexec_b32 s0, s2
	s_cbranch_execz .LBB138_220
.LBB138_219:                            ;   in Loop: Header=BB138_201 Depth=1
	v_mul_f64 v[4:5], |v[14:15]|, s[18:19]
	s_mov_b32 s8, s20
	s_delay_alu instid0(VALU_DEP_1) | instskip(NEXT) | instid1(VALU_DEP_1)
	v_rndne_f64_e32 v[26:27], v[4:5]
	v_fma_f64 v[4:5], v[26:27], s[6:7], |v[14:15]|
	v_mul_f64 v[6:7], v[26:27], s[20:21]
	s_delay_alu instid0(VALU_DEP_2) | instskip(NEXT) | instid1(VALU_DEP_2)
	v_fma_f64 v[30:31], v[26:27], s[20:21], v[4:5]
	v_add_f64 v[28:29], v[4:5], v[6:7]
	s_delay_alu instid0(VALU_DEP_1) | instskip(NEXT) | instid1(VALU_DEP_3)
	v_add_f64 v[4:5], v[4:5], -v[28:29]
	v_add_f64 v[28:29], v[28:29], -v[30:31]
	s_delay_alu instid0(VALU_DEP_2) | instskip(SKIP_1) | instid1(VALU_DEP_2)
	v_add_f64 v[4:5], v[4:5], v[6:7]
	v_fma_f64 v[6:7], v[26:27], s[8:9], v[6:7]
	v_add_f64 v[4:5], v[28:29], v[4:5]
	s_delay_alu instid0(VALU_DEP_1) | instskip(NEXT) | instid1(VALU_DEP_1)
	v_add_f64 v[4:5], v[4:5], -v[6:7]
	v_fma_f64 v[6:7], v[26:27], s[22:23], v[4:5]
	s_delay_alu instid0(VALU_DEP_1) | instskip(NEXT) | instid1(VALU_DEP_1)
	v_add_f64 v[4:5], v[30:31], v[6:7]
	v_add_f64 v[28:29], v[4:5], -v[30:31]
	v_cvt_i32_f64_e32 v30, v[26:27]
	s_delay_alu instid0(VALU_DEP_2)
	v_add_f64 v[6:7], v[6:7], -v[28:29]
.LBB138_220:                            ;   in Loop: Header=BB138_201 Depth=1
	s_or_b32 exec_lo, exec_lo, s0
                                        ; implicit-def: $vgpr31
                                        ; implicit-def: $vgpr26_vgpr27
                                        ; implicit-def: $vgpr28_vgpr29
	s_and_saveexec_b32 s0, s1
	s_delay_alu instid0(SALU_CYCLE_1)
	s_xor_b32 s1, exec_lo, s0
	s_cbranch_execz .LBB138_222
; %bb.221:                              ;   in Loop: Header=BB138_201 Depth=1
	v_ldexp_f64 v[26:27], |v[14:15]|, 0xffffff80
	v_cmp_le_f64_e64 vcc_lo, 0x7b000000, |v[14:15]|
	v_trig_preop_f64 v[28:29], |v[14:15]|, 0
	v_and_b32_e32 v21, 0x7fffffff, v15
	v_trig_preop_f64 v[31:32], |v[14:15]|, 1
	v_trig_preop_f64 v[41:42], |v[14:15]|, 2
	s_mov_b32 s4, s6
	s_mov_b32 s17, s9
	v_dual_cndmask_b32 v26, v14, v26 :: v_dual_cndmask_b32 v27, v21, v27
	s_delay_alu instid0(VALU_DEP_1) | instskip(NEXT) | instid1(VALU_DEP_4)
	v_mul_f64 v[33:34], v[28:29], v[26:27]
	v_mul_f64 v[35:36], v[31:32], v[26:27]
	s_delay_alu instid0(VALU_DEP_2) | instskip(NEXT) | instid1(VALU_DEP_2)
	v_fma_f64 v[28:29], v[28:29], v[26:27], -v[33:34]
	v_fma_f64 v[31:32], v[31:32], v[26:27], -v[35:36]
	s_delay_alu instid0(VALU_DEP_2) | instskip(NEXT) | instid1(VALU_DEP_1)
	v_add_f64 v[37:38], v[35:36], v[28:29]
	v_add_f64 v[39:40], v[37:38], -v[35:36]
	v_add_f64 v[45:46], v[33:34], v[37:38]
	s_delay_alu instid0(VALU_DEP_2) | instskip(SKIP_1) | instid1(VALU_DEP_3)
	v_add_f64 v[43:44], v[37:38], -v[39:40]
	v_add_f64 v[28:29], v[28:29], -v[39:40]
	v_ldexp_f64 v[39:40], v[45:46], -2
	v_add_f64 v[33:34], v[45:46], -v[33:34]
	s_delay_alu instid0(VALU_DEP_4) | instskip(NEXT) | instid1(VALU_DEP_3)
	v_add_f64 v[35:36], v[35:36], -v[43:44]
	v_cmp_neq_f64_e64 vcc_lo, 0x7ff00000, |v[39:40]|
	s_delay_alu instid0(VALU_DEP_3) | instskip(NEXT) | instid1(VALU_DEP_3)
	v_add_f64 v[33:34], v[37:38], -v[33:34]
	v_add_f64 v[28:29], v[28:29], v[35:36]
	v_fract_f64_e32 v[35:36], v[39:40]
	s_delay_alu instid0(VALU_DEP_1) | instskip(SKIP_1) | instid1(VALU_DEP_3)
	v_cndmask_b32_e32 v36, 0, v36, vcc_lo
	v_mul_f64 v[47:48], v[41:42], v[26:27]
	v_cndmask_b32_e32 v35, 0, v35, vcc_lo
	s_delay_alu instid0(VALU_DEP_1) | instskip(NEXT) | instid1(VALU_DEP_3)
	v_ldexp_f64 v[35:36], v[35:36], 2
	v_add_f64 v[43:44], v[47:48], v[31:32]
	v_fma_f64 v[26:27], v[41:42], v[26:27], -v[47:48]
	s_delay_alu instid0(VALU_DEP_2) | instskip(NEXT) | instid1(VALU_DEP_1)
	v_add_f64 v[37:38], v[43:44], v[28:29]
	v_add_f64 v[39:40], v[33:34], v[37:38]
	v_add_f64 v[49:50], v[37:38], -v[43:44]
	s_delay_alu instid0(VALU_DEP_2) | instskip(NEXT) | instid1(VALU_DEP_2)
	v_add_f64 v[45:46], v[39:40], v[35:36]
	v_add_f64 v[55:56], v[37:38], -v[49:50]
	v_add_f64 v[28:29], v[28:29], -v[49:50]
	;; [unrolled: 1-line block ×3, first 2 shown]
	s_delay_alu instid0(VALU_DEP_4) | instskip(SKIP_2) | instid1(VALU_DEP_2)
	v_cmp_gt_f64_e32 vcc_lo, 0, v[45:46]
	v_add_f64 v[45:46], v[43:44], -v[47:48]
	v_cndmask_b32_e64 v21, 0, 0x40100000, vcc_lo
	v_add_f64 v[53:54], v[43:44], -v[45:46]
	v_add_f64 v[31:32], v[31:32], -v[45:46]
	;; [unrolled: 1-line block ×3, first 2 shown]
	s_delay_alu instid0(VALU_DEP_4) | instskip(NEXT) | instid1(VALU_DEP_4)
	v_add_f64 v[35:36], v[35:36], v[20:21]
	v_add_f64 v[45:46], v[47:48], -v[53:54]
	s_delay_alu instid0(VALU_DEP_3) | instskip(NEXT) | instid1(VALU_DEP_3)
	v_add_f64 v[28:29], v[28:29], v[43:44]
	v_add_f64 v[51:52], v[39:40], v[35:36]
	s_delay_alu instid0(VALU_DEP_3) | instskip(NEXT) | instid1(VALU_DEP_2)
	v_add_f64 v[31:32], v[31:32], v[45:46]
	v_cvt_i32_f64_e32 v21, v[51:52]
	s_delay_alu instid0(VALU_DEP_2) | instskip(SKIP_1) | instid1(VALU_DEP_3)
	v_add_f64 v[28:29], v[31:32], v[28:29]
	v_add_f64 v[31:32], v[37:38], -v[33:34]
	v_cvt_f64_i32_e32 v[49:50], v21
	s_delay_alu instid0(VALU_DEP_3) | instskip(NEXT) | instid1(VALU_DEP_2)
	v_add_f64 v[26:27], v[26:27], v[28:29]
	v_add_f64 v[35:36], v[35:36], -v[49:50]
	s_delay_alu instid0(VALU_DEP_2) | instskip(NEXT) | instid1(VALU_DEP_2)
	v_add_f64 v[26:27], v[31:32], v[26:27]
	v_add_f64 v[41:42], v[39:40], v[35:36]
	s_delay_alu instid0(VALU_DEP_1) | instskip(SKIP_1) | instid1(VALU_DEP_2)
	v_add_f64 v[28:29], v[41:42], -v[35:36]
	v_cmp_le_f64_e32 vcc_lo, 0.5, v[41:42]
	v_add_f64 v[28:29], v[39:40], -v[28:29]
	v_add_co_ci_u32_e64 v31, s0, 0, v21, vcc_lo
	v_cndmask_b32_e64 v21, 0, 0x3ff00000, vcc_lo
	s_delay_alu instid0(VALU_DEP_3) | instskip(NEXT) | instid1(VALU_DEP_2)
	v_add_f64 v[26:27], v[26:27], v[28:29]
	v_add_f64 v[28:29], v[41:42], -v[20:21]
	s_delay_alu instid0(VALU_DEP_1) | instskip(NEXT) | instid1(VALU_DEP_1)
	v_add_f64 v[32:33], v[28:29], v[26:27]
	v_mul_f64 v[34:35], v[32:33], s[4:5]
	v_add_f64 v[28:29], v[32:33], -v[28:29]
	s_delay_alu instid0(VALU_DEP_2) | instskip(NEXT) | instid1(VALU_DEP_2)
	v_fma_f64 v[36:37], v[32:33], s[4:5], -v[34:35]
	v_add_f64 v[26:27], v[26:27], -v[28:29]
	s_delay_alu instid0(VALU_DEP_2) | instskip(NEXT) | instid1(VALU_DEP_1)
	v_fma_f64 v[28:29], v[32:33], s[16:17], v[36:37]
	v_fma_f64 v[28:29], v[26:27], s[4:5], v[28:29]
	s_delay_alu instid0(VALU_DEP_1) | instskip(NEXT) | instid1(VALU_DEP_1)
	v_add_f64 v[26:27], v[34:35], v[28:29]
	v_add_f64 v[32:33], v[26:27], -v[34:35]
	s_delay_alu instid0(VALU_DEP_1)
	v_add_f64 v[28:29], v[28:29], -v[32:33]
	s_and_not1_saveexec_b32 s0, s1
	s_cbranch_execnz .LBB138_223
	s_branch .LBB138_224
.LBB138_222:                            ;   in Loop: Header=BB138_201 Depth=1
	s_and_not1_saveexec_b32 s0, s1
	s_cbranch_execz .LBB138_224
.LBB138_223:                            ;   in Loop: Header=BB138_201 Depth=1
	v_mul_f64 v[26:27], |v[14:15]|, s[18:19]
	s_mov_b32 s8, s20
	s_delay_alu instid0(VALU_DEP_1) | instskip(NEXT) | instid1(VALU_DEP_1)
	v_rndne_f64_e32 v[31:32], v[26:27]
	v_fma_f64 v[26:27], v[31:32], s[6:7], |v[14:15]|
	v_mul_f64 v[28:29], v[31:32], s[20:21]
	s_delay_alu instid0(VALU_DEP_2) | instskip(NEXT) | instid1(VALU_DEP_2)
	v_fma_f64 v[35:36], v[31:32], s[20:21], v[26:27]
	v_add_f64 v[33:34], v[26:27], v[28:29]
	s_delay_alu instid0(VALU_DEP_1) | instskip(NEXT) | instid1(VALU_DEP_3)
	v_add_f64 v[26:27], v[26:27], -v[33:34]
	v_add_f64 v[33:34], v[33:34], -v[35:36]
	s_delay_alu instid0(VALU_DEP_2) | instskip(SKIP_1) | instid1(VALU_DEP_2)
	v_add_f64 v[26:27], v[26:27], v[28:29]
	v_fma_f64 v[28:29], v[31:32], s[8:9], v[28:29]
	v_add_f64 v[26:27], v[33:34], v[26:27]
	s_delay_alu instid0(VALU_DEP_1) | instskip(NEXT) | instid1(VALU_DEP_1)
	v_add_f64 v[26:27], v[26:27], -v[28:29]
	v_fma_f64 v[28:29], v[31:32], s[22:23], v[26:27]
	v_cvt_i32_f64_e32 v31, v[31:32]
	s_delay_alu instid0(VALU_DEP_2) | instskip(NEXT) | instid1(VALU_DEP_1)
	v_add_f64 v[26:27], v[35:36], v[28:29]
	v_add_f64 v[33:34], v[26:27], -v[35:36]
	s_delay_alu instid0(VALU_DEP_1)
	v_add_f64 v[28:29], v[28:29], -v[33:34]
.LBB138_224:                            ;   in Loop: Header=BB138_201 Depth=1
	s_or_b32 exec_lo, exec_lo, s0
	v_add_f64 v[12:13], v[12:13], s[66:67]
	s_delay_alu instid0(VALU_DEP_4) | instskip(SKIP_3) | instid1(VALU_DEP_4)
	v_mul_f64 v[38:39], v[4:5], v[4:5]
	v_mul_f64 v[40:41], v[26:27], v[26:27]
	s_mov_b32 s69, s41
	s_mov_b32 s71, s43
	v_mul_f64 v[58:59], v[6:7], 0.5
	v_mul_f64 v[64:65], v[28:29], 0.5
	s_mov_b32 s72, s42
	v_cmp_class_f64_e64 s0, v[14:15], 0x1f8
	v_and_b32_e32 v14, 1, v31
	s_delay_alu instid0(VALU_DEP_1)
	v_cmp_eq_u32_e64 s3, 0, v14
	v_mul_f64 v[32:33], v[12:13], s[24:25]
	v_fma_f64 v[42:43], v[38:39], s[60:61], s[58:59]
	v_fma_f64 v[44:45], v[40:41], s[60:61], s[58:59]
	v_mul_f64 v[48:49], v[38:39], 0.5
	v_fma_f64 v[46:47], v[38:39], s[50:51], s[48:49]
	v_fma_f64 v[50:51], v[40:41], s[50:51], s[48:49]
	v_mul_f64 v[52:53], v[40:41], 0.5
	v_mul_f64 v[60:61], v[4:5], -v[38:39]
	v_mul_f64 v[66:67], v[26:27], -v[40:41]
	v_cmp_nlt_f64_e64 s1, 0x40900000, v[12:13]
	v_cmp_ngt_f64_e64 s2, 0xc090cc00, v[12:13]
	v_rndne_f64_e32 v[32:33], v[32:33]
	v_fma_f64 v[42:43], v[38:39], v[42:43], s[62:63]
	v_fma_f64 v[44:45], v[40:41], v[44:45], s[62:63]
	v_add_f64 v[54:55], -v[48:49], 1.0
	v_fma_f64 v[46:47], v[38:39], v[46:47], s[52:53]
	v_fma_f64 v[50:51], v[40:41], v[50:51], s[52:53]
	v_add_f64 v[56:57], -v[52:53], 1.0
	v_fma_f64 v[34:35], v[32:33], s[12:13], v[12:13]
	v_fma_f64 v[42:43], v[38:39], v[42:43], s[64:65]
	;; [unrolled: 1-line block ×3, first 2 shown]
	v_add_f64 v[62:63], -v[54:55], 1.0
	v_fma_f64 v[46:47], v[38:39], v[46:47], s[54:55]
	v_fma_f64 v[50:51], v[40:41], v[50:51], s[54:55]
	v_add_f64 v[68:69], -v[56:57], 1.0
	v_cvt_i32_f64_e32 v21, v[32:33]
	v_lshlrev_b32_e32 v13, 30, v30
	v_fma_f64 v[34:35], v[32:33], s[14:15], v[34:35]
	v_fma_f64 v[42:43], v[38:39], v[42:43], s[40:41]
	;; [unrolled: 1-line block ×3, first 2 shown]
	v_add_f64 v[48:49], v[62:63], -v[48:49]
	v_fma_f64 v[46:47], v[38:39], v[46:47], s[56:57]
	v_fma_f64 v[50:51], v[40:41], v[50:51], s[56:57]
	v_add_f64 v[52:53], v[68:69], -v[52:53]
	v_fma_f64 v[36:37], v[34:35], s[28:29], s[26:27]
	v_fma_f64 v[42:43], v[60:61], v[42:43], v[58:59]
	;; [unrolled: 1-line block ×3, first 2 shown]
	v_fma_f64 v[48:49], v[4:5], -v[6:7], v[48:49]
	v_mul_f64 v[58:59], v[38:39], v[38:39]
	v_fma_f64 v[46:47], v[38:39], v[46:47], s[42:43]
	v_fma_f64 v[36:37], v[34:35], v[36:37], s[30:31]
	v_fma_f64 v[6:7], v[38:39], v[42:43], -v[6:7]
	v_mul_f64 v[38:39], v[40:41], v[40:41]
	v_fma_f64 v[42:43], v[40:41], v[50:51], s[42:43]
	v_fma_f64 v[50:51], v[26:27], -v[28:29], v[52:53]
	v_fma_f64 v[28:29], v[40:41], v[44:45], -v[28:29]
	v_fma_f64 v[40:41], v[58:59], v[46:47], v[48:49]
	v_fma_f64 v[36:37], v[34:35], v[36:37], s[34:35]
	;; [unrolled: 1-line block ×3, first 2 shown]
	s_delay_alu instid0(VALU_DEP_4) | instskip(NEXT) | instid1(VALU_DEP_3)
	v_fma_f64 v[28:29], v[66:67], s[72:73], v[28:29]
	v_fma_f64 v[36:37], v[34:35], v[36:37], s[36:37]
	s_delay_alu instid0(VALU_DEP_3) | instskip(NEXT) | instid1(VALU_DEP_3)
	v_add_f64 v[4:5], v[4:5], -v[6:7]
	v_add_f64 v[26:27], v[26:27], -v[28:29]
	s_delay_alu instid0(VALU_DEP_3) | instskip(NEXT) | instid1(VALU_DEP_3)
	v_fma_f64 v[36:37], v[34:35], v[36:37], s[38:39]
	v_xor_b32_e32 v5, 0x80000000, v5
	s_delay_alu instid0(VALU_DEP_2) | instskip(NEXT) | instid1(VALU_DEP_1)
	v_fma_f64 v[36:37], v[34:35], v[36:37], s[68:69]
	v_fma_f64 v[36:37], v[34:35], v[36:37], s[70:71]
	s_delay_alu instid0(VALU_DEP_1) | instskip(NEXT) | instid1(VALU_DEP_1)
	v_fma_f64 v[36:37], v[34:35], v[36:37], s[44:45]
	v_fma_f64 v[36:37], v[34:35], v[36:37], s[46:47]
	s_delay_alu instid0(VALU_DEP_1) | instskip(NEXT) | instid1(VALU_DEP_1)
	v_fma_f64 v[36:37], v[34:35], v[36:37], 1.0
	v_fma_f64 v[32:33], v[34:35], v[36:37], 1.0
	v_fma_f64 v[34:35], v[38:39], v[42:43], v[50:51]
	v_add_f64 v[36:37], v[54:55], v[40:41]
	s_delay_alu instid0(VALU_DEP_3) | instskip(NEXT) | instid1(VALU_DEP_3)
	v_ldexp_f64 v[6:7], v[32:33], v21
	v_add_f64 v[32:33], v[56:57], v[34:35]
	v_and_b32_e32 v21, 1, v30
	s_delay_alu instid0(VALU_DEP_1) | instskip(SKIP_1) | instid1(VALU_DEP_1)
	v_cmp_eq_u32_e32 vcc_lo, 0, v21
	v_dual_cndmask_b32 v5, v5, v37 :: v_dual_lshlrev_b32 v12, 30, v31
	v_xor_b32_e32 v12, v12, v15
	v_cndmask_b32_e32 v4, v4, v36, vcc_lo
	s_and_b32 vcc_lo, s2, s1
	v_and_b32_e32 v13, 0x80000000, v13
	s_delay_alu instid0(VALU_DEP_3) | instskip(NEXT) | instid1(VALU_DEP_3)
	v_and_b32_e32 v12, 0x80000000, v12
	v_cndmask_b32_e64 v4, 0, v4, s0
	v_cndmask_b32_e32 v6, 0, v6, vcc_lo
	v_cndmask_b32_e64 v7, 0x7ff00000, v7, s1
	v_cndmask_b32_e64 v15, v33, v27, s3
	;; [unrolled: 1-line block ×3, first 2 shown]
	v_xor_b32_e32 v5, v5, v13
	s_delay_alu instid0(VALU_DEP_4) | instskip(NEXT) | instid1(VALU_DEP_4)
	v_cndmask_b32_e64 v21, 0, v7, s2
	v_xor_b32_e32 v13, v15, v12
	s_delay_alu instid0(VALU_DEP_4) | instskip(NEXT) | instid1(VALU_DEP_4)
	v_cndmask_b32_e64 v12, 0, v14, s0
	v_cndmask_b32_e64 v5, 0x7ff80000, v5, s0
	s_delay_alu instid0(VALU_DEP_4) | instskip(NEXT) | instid1(VALU_DEP_4)
	v_and_or_b32 v7, v21, s76, 0x7fe00000
	v_cndmask_b32_e64 v13, 0x7ff80000, v13, s0
	s_delay_alu instid0(VALU_DEP_2) | instskip(NEXT) | instid1(VALU_DEP_2)
	v_mul_f64 v[4:5], v[6:7], v[4:5]
	v_mul_f64 v[6:7], v[6:7], v[12:13]
	v_lshrrev_b32_e32 v12, 20, v21
	s_delay_alu instid0(VALU_DEP_1) | instskip(NEXT) | instid1(VALU_DEP_1)
	v_add_nc_u32_e32 v12, 0xffffff09, v12
	v_lshrrev_b16 v13, 15, v12
	s_delay_alu instid0(VALU_DEP_1) | instskip(NEXT) | instid1(VALU_DEP_1)
	v_add_nc_u16 v13, v12, v13
	v_ashrrev_i16 v13, 1, v13
	s_delay_alu instid0(VALU_DEP_1) | instskip(NEXT) | instid1(VALU_DEP_1)
	v_bfe_i32 v13, v13, 0, 16
	v_lshl_add_u32 v21, v13, 20, 0x3ff00000
	v_sub_nc_u32_e32 v13, v12, v13
	v_mov_b32_e32 v12, v20
	s_delay_alu instid0(VALU_DEP_2) | instskip(NEXT) | instid1(VALU_DEP_4)
	v_lshl_add_u32 v13, v13, 20, 0x3ff00000
	v_mul_f64 v[4:5], v[4:5], v[20:21]
	v_mul_f64 v[6:7], v[6:7], v[20:21]
	s_delay_alu instid0(VALU_DEP_2) | instskip(NEXT) | instid1(VALU_DEP_2)
	v_mul_f64 v[4:5], v[4:5], v[12:13]
	v_mul_f64 v[6:7], v[6:7], v[12:13]
	s_or_b32 exec_lo, exec_lo, s80
                                        ; implicit-def: $vgpr12_vgpr13
                                        ; implicit-def: $vgpr21
.LBB138_225:                            ;   in Loop: Header=BB138_201 Depth=1
	s_and_not1_saveexec_b32 s1, s79
	s_cbranch_execz .LBB138_231
.LBB138_226:                            ;   in Loop: Header=BB138_201 Depth=1
	v_add_f64 v[6:7], v[14:15], -v[14:15]
	v_cmp_ne_u32_e32 vcc_lo, 0, v12
	v_cmp_ne_u32_e64 s0, 0x7ff00000, v21
	s_delay_alu instid0(VALU_DEP_1) | instskip(NEXT) | instid1(SALU_CYCLE_1)
	s_or_b32 s0, vcc_lo, s0
	s_and_saveexec_b32 s2, s0
	s_delay_alu instid0(SALU_CYCLE_1)
	s_xor_b32 s0, exec_lo, s2
; %bb.227:                              ;   in Loop: Header=BB138_201 Depth=1
                                        ; implicit-def: $vgpr12_vgpr13
; %bb.228:                              ;   in Loop: Header=BB138_201 Depth=1
	s_delay_alu instid0(SALU_CYCLE_1) | instskip(NEXT) | instid1(VALU_DEP_3)
	s_or_saveexec_b32 s0, s0
	v_dual_mov_b32 v4, v6 :: v_dual_mov_b32 v5, v7
	s_xor_b32 exec_lo, exec_lo, s0
; %bb.229:                              ;   in Loop: Header=BB138_201 Depth=1
	v_cmp_lt_i64_e32 vcc_lo, -1, v[12:13]
	v_dual_cndmask_b32 v5, 0, v13 :: v_dual_cndmask_b32 v4, 0, v12
	v_dual_cndmask_b32 v7, 0, v7 :: v_dual_cndmask_b32 v6, 0, v6
; %bb.230:                              ;   in Loop: Header=BB138_201 Depth=1
	s_or_b32 exec_lo, exec_lo, s0
.LBB138_231:                            ;   in Loop: Header=BB138_201 Depth=1
	s_delay_alu instid0(SALU_CYCLE_1)
	s_or_b32 exec_lo, exec_lo, s1
                                        ; implicit-def: $vgpr14_vgpr15
.LBB138_232:                            ;   in Loop: Header=BB138_201 Depth=1
	s_and_not1_saveexec_b32 s2, s78
	s_cbranch_execz .LBB138_242
; %bb.233:                              ;   in Loop: Header=BB138_201 Depth=1
	v_cmp_ngt_f64_e64 s1, 0x41d00000, |v[14:15]|
                                        ; implicit-def: $vgpr28
                                        ; implicit-def: $vgpr4_vgpr5
                                        ; implicit-def: $vgpr6_vgpr7
	s_delay_alu instid0(VALU_DEP_1) | instskip(NEXT) | instid1(SALU_CYCLE_1)
	s_and_saveexec_b32 s0, s1
	s_xor_b32 s3, exec_lo, s0
	s_cbranch_execz .LBB138_235
; %bb.234:                              ;   in Loop: Header=BB138_201 Depth=1
	v_ldexp_f64 v[4:5], |v[14:15]|, 0xffffff80
	v_cmp_le_f64_e64 vcc_lo, 0x7b000000, |v[14:15]|
	v_trig_preop_f64 v[6:7], |v[14:15]|, 0
	v_and_b32_e32 v12, 0x7fffffff, v15
	v_trig_preop_f64 v[34:35], |v[14:15]|, 2
	s_mov_b32 s4, s6
	s_mov_b32 s17, s9
	s_delay_alu instid0(VALU_DEP_2) | instskip(SKIP_1) | instid1(VALU_DEP_2)
	v_dual_cndmask_b32 v5, v12, v5 :: v_dual_cndmask_b32 v4, v14, v4
	v_trig_preop_f64 v[12:13], |v[14:15]|, 1
	v_mul_f64 v[26:27], v[6:7], v[4:5]
	s_delay_alu instid0(VALU_DEP_4) | instskip(NEXT) | instid1(VALU_DEP_3)
	v_mul_f64 v[40:41], v[34:35], v[4:5]
	v_mul_f64 v[28:29], v[12:13], v[4:5]
	s_delay_alu instid0(VALU_DEP_3) | instskip(NEXT) | instid1(VALU_DEP_2)
	v_fma_f64 v[6:7], v[6:7], v[4:5], -v[26:27]
	v_fma_f64 v[12:13], v[12:13], v[4:5], -v[28:29]
	s_delay_alu instid0(VALU_DEP_4) | instskip(NEXT) | instid1(VALU_DEP_3)
	v_fma_f64 v[4:5], v[34:35], v[4:5], -v[40:41]
	v_add_f64 v[30:31], v[28:29], v[6:7]
	s_delay_alu instid0(VALU_DEP_1) | instskip(SKIP_1) | instid1(VALU_DEP_2)
	v_add_f64 v[32:33], v[30:31], -v[28:29]
	v_add_f64 v[38:39], v[26:27], v[30:31]
	v_add_f64 v[36:37], v[30:31], -v[32:33]
	v_add_f64 v[6:7], v[6:7], -v[32:33]
	s_delay_alu instid0(VALU_DEP_3) | instskip(SKIP_1) | instid1(VALU_DEP_4)
	v_ldexp_f64 v[32:33], v[38:39], -2
	v_add_f64 v[26:27], v[38:39], -v[26:27]
	v_add_f64 v[28:29], v[28:29], -v[36:37]
	v_add_f64 v[36:37], v[40:41], v[12:13]
	s_delay_alu instid0(VALU_DEP_4) | instskip(NEXT) | instid1(VALU_DEP_4)
	v_cmp_neq_f64_e64 vcc_lo, 0x7ff00000, |v[32:33]|
	v_add_f64 v[26:27], v[30:31], -v[26:27]
	s_delay_alu instid0(VALU_DEP_4) | instskip(SKIP_1) | instid1(VALU_DEP_2)
	v_add_f64 v[6:7], v[6:7], v[28:29]
	v_fract_f64_e32 v[28:29], v[32:33]
	v_add_f64 v[30:31], v[36:37], v[6:7]
	s_delay_alu instid0(VALU_DEP_2) | instskip(NEXT) | instid1(VALU_DEP_1)
	v_dual_cndmask_b32 v29, 0, v29 :: v_dual_cndmask_b32 v28, 0, v28
	v_ldexp_f64 v[28:29], v[28:29], 2
	s_delay_alu instid0(VALU_DEP_3) | instskip(SKIP_1) | instid1(VALU_DEP_2)
	v_add_f64 v[32:33], v[26:27], v[30:31]
	v_add_f64 v[42:43], v[30:31], -v[36:37]
	v_add_f64 v[38:39], v[32:33], v[28:29]
	s_delay_alu instid0(VALU_DEP_2) | instskip(SKIP_2) | instid1(VALU_DEP_4)
	v_add_f64 v[48:49], v[30:31], -v[42:43]
	v_add_f64 v[6:7], v[6:7], -v[42:43]
	;; [unrolled: 1-line block ×3, first 2 shown]
	v_cmp_gt_f64_e32 vcc_lo, 0, v[38:39]
	v_add_f64 v[38:39], v[36:37], -v[40:41]
	s_delay_alu instid0(VALU_DEP_3) | instskip(SKIP_1) | instid1(VALU_DEP_3)
	v_add_f64 v[26:27], v[30:31], -v[26:27]
	v_cndmask_b32_e64 v21, 0, 0x40100000, vcc_lo
	v_add_f64 v[46:47], v[36:37], -v[38:39]
	v_add_f64 v[12:13], v[12:13], -v[38:39]
	v_add_f64 v[36:37], v[36:37], -v[48:49]
	s_delay_alu instid0(VALU_DEP_4) | instskip(NEXT) | instid1(VALU_DEP_4)
	v_add_f64 v[28:29], v[28:29], v[20:21]
	v_add_f64 v[38:39], v[40:41], -v[46:47]
	s_delay_alu instid0(VALU_DEP_3) | instskip(NEXT) | instid1(VALU_DEP_3)
	v_add_f64 v[6:7], v[6:7], v[36:37]
	v_add_f64 v[44:45], v[32:33], v[28:29]
	s_delay_alu instid0(VALU_DEP_3) | instskip(NEXT) | instid1(VALU_DEP_2)
	v_add_f64 v[12:13], v[12:13], v[38:39]
	v_cvt_i32_f64_e32 v21, v[44:45]
	s_delay_alu instid0(VALU_DEP_2) | instskip(NEXT) | instid1(VALU_DEP_2)
	v_add_f64 v[6:7], v[12:13], v[6:7]
	v_cvt_f64_i32_e32 v[42:43], v21
	s_delay_alu instid0(VALU_DEP_2) | instskip(NEXT) | instid1(VALU_DEP_2)
	v_add_f64 v[4:5], v[4:5], v[6:7]
	v_add_f64 v[28:29], v[28:29], -v[42:43]
	s_delay_alu instid0(VALU_DEP_2) | instskip(NEXT) | instid1(VALU_DEP_2)
	v_add_f64 v[4:5], v[26:27], v[4:5]
	v_add_f64 v[12:13], v[32:33], v[28:29]
	s_delay_alu instid0(VALU_DEP_1) | instskip(SKIP_1) | instid1(VALU_DEP_2)
	v_add_f64 v[6:7], v[12:13], -v[28:29]
	v_cmp_le_f64_e32 vcc_lo, 0.5, v[12:13]
	v_add_f64 v[6:7], v[32:33], -v[6:7]
	v_add_co_ci_u32_e64 v28, s0, 0, v21, vcc_lo
	v_cndmask_b32_e64 v21, 0, 0x3ff00000, vcc_lo
	s_delay_alu instid0(VALU_DEP_3) | instskip(NEXT) | instid1(VALU_DEP_2)
	v_add_f64 v[4:5], v[4:5], v[6:7]
	v_add_f64 v[6:7], v[12:13], -v[20:21]
	s_delay_alu instid0(VALU_DEP_1) | instskip(NEXT) | instid1(VALU_DEP_1)
	v_add_f64 v[12:13], v[6:7], v[4:5]
	v_mul_f64 v[26:27], v[12:13], s[4:5]
	v_add_f64 v[6:7], v[12:13], -v[6:7]
	s_delay_alu instid0(VALU_DEP_2) | instskip(NEXT) | instid1(VALU_DEP_2)
	v_fma_f64 v[29:30], v[12:13], s[4:5], -v[26:27]
	v_add_f64 v[4:5], v[4:5], -v[6:7]
	s_delay_alu instid0(VALU_DEP_2) | instskip(NEXT) | instid1(VALU_DEP_1)
	v_fma_f64 v[6:7], v[12:13], s[16:17], v[29:30]
	v_fma_f64 v[6:7], v[4:5], s[4:5], v[6:7]
	s_delay_alu instid0(VALU_DEP_1) | instskip(NEXT) | instid1(VALU_DEP_1)
	v_add_f64 v[4:5], v[26:27], v[6:7]
	v_add_f64 v[12:13], v[4:5], -v[26:27]
	s_delay_alu instid0(VALU_DEP_1)
	v_add_f64 v[6:7], v[6:7], -v[12:13]
	s_and_not1_saveexec_b32 s0, s3
	s_cbranch_execz .LBB138_237
	s_branch .LBB138_236
.LBB138_235:                            ;   in Loop: Header=BB138_201 Depth=1
	s_and_not1_saveexec_b32 s0, s3
	s_cbranch_execz .LBB138_237
.LBB138_236:                            ;   in Loop: Header=BB138_201 Depth=1
	v_mul_f64 v[4:5], |v[14:15]|, s[18:19]
	s_mov_b32 s8, s20
	s_delay_alu instid0(VALU_DEP_1) | instskip(NEXT) | instid1(VALU_DEP_1)
	v_rndne_f64_e32 v[12:13], v[4:5]
	v_fma_f64 v[4:5], v[12:13], s[6:7], |v[14:15]|
	v_mul_f64 v[6:7], v[12:13], s[20:21]
	s_delay_alu instid0(VALU_DEP_2) | instskip(NEXT) | instid1(VALU_DEP_2)
	v_fma_f64 v[28:29], v[12:13], s[20:21], v[4:5]
	v_add_f64 v[26:27], v[4:5], v[6:7]
	s_delay_alu instid0(VALU_DEP_1) | instskip(NEXT) | instid1(VALU_DEP_3)
	v_add_f64 v[4:5], v[4:5], -v[26:27]
	v_add_f64 v[26:27], v[26:27], -v[28:29]
	s_delay_alu instid0(VALU_DEP_2) | instskip(SKIP_1) | instid1(VALU_DEP_2)
	v_add_f64 v[4:5], v[4:5], v[6:7]
	v_fma_f64 v[6:7], v[12:13], s[8:9], v[6:7]
	v_add_f64 v[4:5], v[26:27], v[4:5]
	s_delay_alu instid0(VALU_DEP_1) | instskip(NEXT) | instid1(VALU_DEP_1)
	v_add_f64 v[4:5], v[4:5], -v[6:7]
	v_fma_f64 v[6:7], v[12:13], s[22:23], v[4:5]
	s_delay_alu instid0(VALU_DEP_1) | instskip(NEXT) | instid1(VALU_DEP_1)
	v_add_f64 v[4:5], v[28:29], v[6:7]
	v_add_f64 v[26:27], v[4:5], -v[28:29]
	v_cvt_i32_f64_e32 v28, v[12:13]
	s_delay_alu instid0(VALU_DEP_2)
	v_add_f64 v[6:7], v[6:7], -v[26:27]
.LBB138_237:                            ;   in Loop: Header=BB138_201 Depth=1
	s_or_b32 exec_lo, exec_lo, s0
                                        ; implicit-def: $vgpr29
                                        ; implicit-def: $vgpr12_vgpr13
                                        ; implicit-def: $vgpr26_vgpr27
	s_and_saveexec_b32 s0, s1
	s_delay_alu instid0(SALU_CYCLE_1)
	s_xor_b32 s1, exec_lo, s0
	s_cbranch_execz .LBB138_239
; %bb.238:                              ;   in Loop: Header=BB138_201 Depth=1
	v_ldexp_f64 v[12:13], |v[14:15]|, 0xffffff80
	v_cmp_le_f64_e64 vcc_lo, 0x7b000000, |v[14:15]|
	v_trig_preop_f64 v[26:27], |v[14:15]|, 0
	v_and_b32_e32 v21, 0x7fffffff, v15
	v_trig_preop_f64 v[29:30], |v[14:15]|, 1
	v_trig_preop_f64 v[39:40], |v[14:15]|, 2
	s_mov_b32 s4, s6
	s_mov_b32 s17, s9
	v_dual_cndmask_b32 v12, v14, v12 :: v_dual_cndmask_b32 v13, v21, v13
	s_delay_alu instid0(VALU_DEP_1) | instskip(NEXT) | instid1(VALU_DEP_4)
	v_mul_f64 v[31:32], v[26:27], v[12:13]
	v_mul_f64 v[33:34], v[29:30], v[12:13]
	s_delay_alu instid0(VALU_DEP_2) | instskip(NEXT) | instid1(VALU_DEP_2)
	v_fma_f64 v[26:27], v[26:27], v[12:13], -v[31:32]
	v_fma_f64 v[29:30], v[29:30], v[12:13], -v[33:34]
	s_delay_alu instid0(VALU_DEP_2) | instskip(NEXT) | instid1(VALU_DEP_1)
	v_add_f64 v[35:36], v[33:34], v[26:27]
	v_add_f64 v[37:38], v[35:36], -v[33:34]
	v_add_f64 v[43:44], v[31:32], v[35:36]
	s_delay_alu instid0(VALU_DEP_2) | instskip(SKIP_1) | instid1(VALU_DEP_3)
	v_add_f64 v[41:42], v[35:36], -v[37:38]
	v_add_f64 v[26:27], v[26:27], -v[37:38]
	v_ldexp_f64 v[37:38], v[43:44], -2
	v_add_f64 v[31:32], v[43:44], -v[31:32]
	s_delay_alu instid0(VALU_DEP_4) | instskip(NEXT) | instid1(VALU_DEP_3)
	v_add_f64 v[33:34], v[33:34], -v[41:42]
	v_cmp_neq_f64_e64 vcc_lo, 0x7ff00000, |v[37:38]|
	s_delay_alu instid0(VALU_DEP_3) | instskip(NEXT) | instid1(VALU_DEP_3)
	v_add_f64 v[31:32], v[35:36], -v[31:32]
	v_add_f64 v[26:27], v[26:27], v[33:34]
	v_fract_f64_e32 v[33:34], v[37:38]
	s_delay_alu instid0(VALU_DEP_1) | instskip(SKIP_1) | instid1(VALU_DEP_3)
	v_cndmask_b32_e32 v34, 0, v34, vcc_lo
	v_mul_f64 v[45:46], v[39:40], v[12:13]
	v_cndmask_b32_e32 v33, 0, v33, vcc_lo
	s_delay_alu instid0(VALU_DEP_1) | instskip(NEXT) | instid1(VALU_DEP_3)
	v_ldexp_f64 v[33:34], v[33:34], 2
	v_add_f64 v[41:42], v[45:46], v[29:30]
	v_fma_f64 v[12:13], v[39:40], v[12:13], -v[45:46]
	s_delay_alu instid0(VALU_DEP_2) | instskip(NEXT) | instid1(VALU_DEP_1)
	v_add_f64 v[35:36], v[41:42], v[26:27]
	v_add_f64 v[37:38], v[31:32], v[35:36]
	v_add_f64 v[47:48], v[35:36], -v[41:42]
	s_delay_alu instid0(VALU_DEP_2) | instskip(NEXT) | instid1(VALU_DEP_2)
	v_add_f64 v[43:44], v[37:38], v[33:34]
	v_add_f64 v[53:54], v[35:36], -v[47:48]
	v_add_f64 v[26:27], v[26:27], -v[47:48]
	;; [unrolled: 1-line block ×3, first 2 shown]
	s_delay_alu instid0(VALU_DEP_4) | instskip(SKIP_2) | instid1(VALU_DEP_2)
	v_cmp_gt_f64_e32 vcc_lo, 0, v[43:44]
	v_add_f64 v[43:44], v[41:42], -v[45:46]
	v_cndmask_b32_e64 v21, 0, 0x40100000, vcc_lo
	v_add_f64 v[51:52], v[41:42], -v[43:44]
	v_add_f64 v[29:30], v[29:30], -v[43:44]
	;; [unrolled: 1-line block ×3, first 2 shown]
	s_delay_alu instid0(VALU_DEP_4) | instskip(NEXT) | instid1(VALU_DEP_4)
	v_add_f64 v[33:34], v[33:34], v[20:21]
	v_add_f64 v[43:44], v[45:46], -v[51:52]
	s_delay_alu instid0(VALU_DEP_3) | instskip(NEXT) | instid1(VALU_DEP_3)
	v_add_f64 v[26:27], v[26:27], v[41:42]
	v_add_f64 v[49:50], v[37:38], v[33:34]
	s_delay_alu instid0(VALU_DEP_3) | instskip(NEXT) | instid1(VALU_DEP_2)
	v_add_f64 v[29:30], v[29:30], v[43:44]
	v_cvt_i32_f64_e32 v21, v[49:50]
	s_delay_alu instid0(VALU_DEP_2) | instskip(SKIP_1) | instid1(VALU_DEP_3)
	v_add_f64 v[26:27], v[29:30], v[26:27]
	v_add_f64 v[29:30], v[35:36], -v[31:32]
	v_cvt_f64_i32_e32 v[47:48], v21
	s_delay_alu instid0(VALU_DEP_3) | instskip(NEXT) | instid1(VALU_DEP_2)
	v_add_f64 v[12:13], v[12:13], v[26:27]
	v_add_f64 v[33:34], v[33:34], -v[47:48]
	s_delay_alu instid0(VALU_DEP_2) | instskip(NEXT) | instid1(VALU_DEP_2)
	v_add_f64 v[12:13], v[29:30], v[12:13]
	v_add_f64 v[39:40], v[37:38], v[33:34]
	s_delay_alu instid0(VALU_DEP_1) | instskip(SKIP_1) | instid1(VALU_DEP_2)
	v_add_f64 v[26:27], v[39:40], -v[33:34]
	v_cmp_le_f64_e32 vcc_lo, 0.5, v[39:40]
	v_add_f64 v[26:27], v[37:38], -v[26:27]
	v_add_co_ci_u32_e64 v29, s0, 0, v21, vcc_lo
	v_cndmask_b32_e64 v21, 0, 0x3ff00000, vcc_lo
	s_delay_alu instid0(VALU_DEP_3) | instskip(NEXT) | instid1(VALU_DEP_2)
	v_add_f64 v[12:13], v[12:13], v[26:27]
	v_add_f64 v[26:27], v[39:40], -v[20:21]
	s_delay_alu instid0(VALU_DEP_1) | instskip(NEXT) | instid1(VALU_DEP_1)
	v_add_f64 v[30:31], v[26:27], v[12:13]
	v_mul_f64 v[32:33], v[30:31], s[4:5]
	v_add_f64 v[26:27], v[30:31], -v[26:27]
	s_delay_alu instid0(VALU_DEP_2) | instskip(NEXT) | instid1(VALU_DEP_2)
	v_fma_f64 v[34:35], v[30:31], s[4:5], -v[32:33]
	v_add_f64 v[12:13], v[12:13], -v[26:27]
	s_delay_alu instid0(VALU_DEP_2) | instskip(NEXT) | instid1(VALU_DEP_1)
	v_fma_f64 v[26:27], v[30:31], s[16:17], v[34:35]
	v_fma_f64 v[26:27], v[12:13], s[4:5], v[26:27]
	s_delay_alu instid0(VALU_DEP_1) | instskip(NEXT) | instid1(VALU_DEP_1)
	v_add_f64 v[12:13], v[32:33], v[26:27]
	v_add_f64 v[30:31], v[12:13], -v[32:33]
	s_delay_alu instid0(VALU_DEP_1)
	v_add_f64 v[26:27], v[26:27], -v[30:31]
	s_and_not1_saveexec_b32 s0, s1
	s_cbranch_execnz .LBB138_240
	s_branch .LBB138_241
.LBB138_239:                            ;   in Loop: Header=BB138_201 Depth=1
	s_and_not1_saveexec_b32 s0, s1
	s_cbranch_execz .LBB138_241
.LBB138_240:                            ;   in Loop: Header=BB138_201 Depth=1
	v_mul_f64 v[12:13], |v[14:15]|, s[18:19]
	s_mov_b32 s8, s20
	s_delay_alu instid0(VALU_DEP_1) | instskip(NEXT) | instid1(VALU_DEP_1)
	v_rndne_f64_e32 v[29:30], v[12:13]
	v_fma_f64 v[12:13], v[29:30], s[6:7], |v[14:15]|
	v_mul_f64 v[26:27], v[29:30], s[20:21]
	s_delay_alu instid0(VALU_DEP_2) | instskip(NEXT) | instid1(VALU_DEP_2)
	v_fma_f64 v[33:34], v[29:30], s[20:21], v[12:13]
	v_add_f64 v[31:32], v[12:13], v[26:27]
	s_delay_alu instid0(VALU_DEP_1) | instskip(NEXT) | instid1(VALU_DEP_3)
	v_add_f64 v[12:13], v[12:13], -v[31:32]
	v_add_f64 v[31:32], v[31:32], -v[33:34]
	s_delay_alu instid0(VALU_DEP_2) | instskip(SKIP_1) | instid1(VALU_DEP_2)
	v_add_f64 v[12:13], v[12:13], v[26:27]
	v_fma_f64 v[26:27], v[29:30], s[8:9], v[26:27]
	v_add_f64 v[12:13], v[31:32], v[12:13]
	s_delay_alu instid0(VALU_DEP_1) | instskip(NEXT) | instid1(VALU_DEP_1)
	v_add_f64 v[12:13], v[12:13], -v[26:27]
	v_fma_f64 v[26:27], v[29:30], s[22:23], v[12:13]
	v_cvt_i32_f64_e32 v29, v[29:30]
	s_delay_alu instid0(VALU_DEP_2) | instskip(NEXT) | instid1(VALU_DEP_1)
	v_add_f64 v[12:13], v[33:34], v[26:27]
	v_add_f64 v[31:32], v[12:13], -v[33:34]
	s_delay_alu instid0(VALU_DEP_1)
	v_add_f64 v[26:27], v[26:27], -v[31:32]
.LBB138_241:                            ;   in Loop: Header=BB138_201 Depth=1
	s_or_b32 exec_lo, exec_lo, s0
	s_delay_alu instid0(VALU_DEP_3) | instskip(SKIP_1) | instid1(VALU_DEP_3)
	v_mul_f64 v[30:31], v[4:5], v[4:5]
	v_mul_f64 v[32:33], v[12:13], v[12:13]
	v_mul_f64 v[50:51], v[6:7], 0.5
	s_delay_alu instid0(VALU_DEP_4) | instskip(SKIP_4) | instid1(VALU_DEP_2)
	v_mul_f64 v[56:57], v[26:27], 0.5
	s_mov_b32 s72, s42
	v_cmp_class_f64_e64 s0, v[14:15], 0x1f8
	v_and_b32_e32 v21, 1, v28
	v_lshlrev_b32_e32 v14, 30, v29
	v_cmp_eq_u32_e32 vcc_lo, 0, v21
	s_delay_alu instid0(VALU_DEP_2) | instskip(SKIP_1) | instid1(VALU_DEP_2)
	v_xor_b32_e32 v14, v14, v15
	v_and_b32_e32 v21, 1, v29
	v_and_b32_e32 v14, 0x80000000, v14
	s_delay_alu instid0(VALU_DEP_2)
	v_cmp_eq_u32_e64 s1, 0, v21
	v_fma_f64 v[34:35], v[30:31], s[60:61], s[58:59]
	v_fma_f64 v[36:37], v[32:33], s[60:61], s[58:59]
	;; [unrolled: 1-line block ×3, first 2 shown]
	v_mul_f64 v[40:41], v[30:31], 0.5
	v_fma_f64 v[42:43], v[32:33], s[50:51], s[48:49]
	v_mul_f64 v[44:45], v[32:33], 0.5
	v_mul_f64 v[52:53], v[4:5], -v[30:31]
	v_mul_f64 v[58:59], v[12:13], -v[32:33]
	v_fma_f64 v[34:35], v[30:31], v[34:35], s[62:63]
	v_fma_f64 v[36:37], v[32:33], v[36:37], s[62:63]
	;; [unrolled: 1-line block ×3, first 2 shown]
	v_add_f64 v[46:47], -v[40:41], 1.0
	v_fma_f64 v[42:43], v[32:33], v[42:43], s[52:53]
	v_add_f64 v[48:49], -v[44:45], 1.0
	v_fma_f64 v[34:35], v[30:31], v[34:35], s[64:65]
	v_fma_f64 v[36:37], v[32:33], v[36:37], s[64:65]
	;; [unrolled: 1-line block ×3, first 2 shown]
	v_add_f64 v[54:55], -v[46:47], 1.0
	v_fma_f64 v[42:43], v[32:33], v[42:43], s[54:55]
	v_add_f64 v[60:61], -v[48:49], 1.0
	v_fma_f64 v[34:35], v[30:31], v[34:35], s[40:41]
	v_fma_f64 v[36:37], v[32:33], v[36:37], s[40:41]
	;; [unrolled: 1-line block ×3, first 2 shown]
	v_add_f64 v[40:41], v[54:55], -v[40:41]
	v_fma_f64 v[42:43], v[32:33], v[42:43], s[56:57]
	v_add_f64 v[44:45], v[60:61], -v[44:45]
	v_fma_f64 v[34:35], v[52:53], v[34:35], v[50:51]
	v_fma_f64 v[36:37], v[58:59], v[36:37], v[56:57]
	v_mul_f64 v[50:51], v[30:31], v[30:31]
	v_fma_f64 v[38:39], v[30:31], v[38:39], s[42:43]
	v_fma_f64 v[40:41], v[4:5], -v[6:7], v[40:41]
	v_fma_f64 v[6:7], v[30:31], v[34:35], -v[6:7]
	v_mul_f64 v[30:31], v[32:33], v[32:33]
	v_fma_f64 v[34:35], v[32:33], v[42:43], s[42:43]
	v_fma_f64 v[42:43], v[12:13], -v[26:27], v[44:45]
	v_fma_f64 v[26:27], v[32:33], v[36:37], -v[26:27]
	v_fma_f64 v[32:33], v[50:51], v[38:39], v[40:41]
	v_fma_f64 v[6:7], v[52:53], s[72:73], v[6:7]
	s_delay_alu instid0(VALU_DEP_4) | instskip(NEXT) | instid1(VALU_DEP_4)
	v_fma_f64 v[30:31], v[30:31], v[34:35], v[42:43]
	v_fma_f64 v[26:27], v[58:59], s[72:73], v[26:27]
	s_delay_alu instid0(VALU_DEP_4) | instskip(NEXT) | instid1(VALU_DEP_4)
	v_add_f64 v[32:33], v[46:47], v[32:33]
	v_add_f64 v[4:5], v[4:5], -v[6:7]
	s_delay_alu instid0(VALU_DEP_4) | instskip(NEXT) | instid1(VALU_DEP_4)
	v_add_f64 v[6:7], v[48:49], v[30:31]
	v_add_f64 v[12:13], v[12:13], -v[26:27]
	s_delay_alu instid0(VALU_DEP_3) | instskip(NEXT) | instid1(VALU_DEP_4)
	v_cndmask_b32_e32 v4, v4, v32, vcc_lo
	v_xor_b32_e32 v5, 0x80000000, v5
	v_lshlrev_b32_e32 v26, 30, v28
	s_delay_alu instid0(VALU_DEP_4) | instskip(SKIP_1) | instid1(VALU_DEP_4)
	v_cndmask_b32_e64 v7, v7, v13, s1
	v_cndmask_b32_e64 v6, v6, v12, s1
	v_cndmask_b32_e32 v5, v5, v33, vcc_lo
	s_delay_alu instid0(VALU_DEP_4) | instskip(SKIP_3) | instid1(VALU_DEP_4)
	v_and_b32_e32 v15, 0x80000000, v26
	v_cndmask_b32_e64 v4, 0, v4, s0
	v_xor_b32_e32 v7, v7, v14
	v_cndmask_b32_e64 v6, 0, v6, s0
	v_xor_b32_e32 v5, v5, v15
	s_delay_alu instid0(VALU_DEP_3) | instskip(NEXT) | instid1(VALU_DEP_2)
	v_cndmask_b32_e64 v7, 0x7ff80000, v7, s0
	v_cndmask_b32_e64 v5, 0x7ff80000, v5, s0
.LBB138_242:                            ;   in Loop: Header=BB138_201 Depth=1
	s_or_b32 exec_lo, exec_lo, s2
                                        ; implicit-def: $vgpr12_vgpr13
.LBB138_243:                            ;   in Loop: Header=BB138_201 Depth=1
	s_and_not1_saveexec_b32 s1, s77
	s_cbranch_execz .LBB138_245
; %bb.244:                              ;   in Loop: Header=BB138_201 Depth=1
	v_mul_f64 v[4:5], v[12:13], s[24:25]
	s_mov_b32 s69, s41
	s_mov_b32 s71, s43
	v_cmp_nlt_f64_e32 vcc_lo, 0x40900000, v[12:13]
	v_cmp_ngt_f64_e64 s0, 0xc090cc00, v[12:13]
	s_delay_alu instid0(VALU_DEP_3) | instskip(NEXT) | instid1(VALU_DEP_1)
	v_rndne_f64_e32 v[4:5], v[4:5]
	v_fma_f64 v[6:7], v[4:5], s[12:13], v[12:13]
	v_cvt_i32_f64_e32 v21, v[4:5]
	s_delay_alu instid0(VALU_DEP_2) | instskip(NEXT) | instid1(VALU_DEP_1)
	v_fma_f64 v[6:7], v[4:5], s[14:15], v[6:7]
	v_fma_f64 v[26:27], v[6:7], s[28:29], s[26:27]
	s_delay_alu instid0(VALU_DEP_1) | instskip(NEXT) | instid1(VALU_DEP_1)
	v_fma_f64 v[26:27], v[6:7], v[26:27], s[30:31]
	v_fma_f64 v[26:27], v[6:7], v[26:27], s[34:35]
	s_delay_alu instid0(VALU_DEP_1) | instskip(NEXT) | instid1(VALU_DEP_1)
	;; [unrolled: 3-line block ×5, first 2 shown]
	v_fma_f64 v[26:27], v[6:7], v[26:27], 1.0
	v_fma_f64 v[4:5], v[6:7], v[26:27], 1.0
	v_dual_mov_b32 v6, v14 :: v_dual_mov_b32 v7, v15
	s_delay_alu instid0(VALU_DEP_2) | instskip(NEXT) | instid1(VALU_DEP_1)
	v_ldexp_f64 v[4:5], v[4:5], v21
	v_cndmask_b32_e32 v5, 0x7ff00000, v5, vcc_lo
	s_and_b32 vcc_lo, s0, vcc_lo
	s_delay_alu instid0(VALU_DEP_2) | instskip(NEXT) | instid1(VALU_DEP_2)
	v_cndmask_b32_e32 v4, 0, v4, vcc_lo
	v_cndmask_b32_e64 v5, 0, v5, s0
.LBB138_245:                            ;   in Loop: Header=BB138_201 Depth=1
	s_or_b32 exec_lo, exec_lo, s1
	s_waitcnt vmcnt(2)
	v_and_b32_e32 v12, 0x7fffffff, v19
                                        ; implicit-def: $vgpr14_vgpr15
	s_mov_b32 s0, exec_lo
	s_delay_alu instid0(VALU_DEP_1) | instskip(NEXT) | instid1(VALU_DEP_1)
	v_or_b32_e32 v13, v12, v18
	v_cmpx_ne_u32_e32 0, v13
	s_xor_b32 s77, exec_lo, s0
	s_cbranch_execz .LBB138_287
; %bb.246:                              ;   in Loop: Header=BB138_201 Depth=1
	v_and_b32_e32 v21, 0x7fffffff, v17
                                        ; implicit-def: $vgpr14_vgpr15
	s_mov_b32 s0, exec_lo
	s_delay_alu instid0(VALU_DEP_1) | instskip(NEXT) | instid1(VALU_DEP_1)
	v_or_b32_e32 v13, v21, v16
	v_cmpx_ne_u32_e32 0, v13
	s_xor_b32 s78, exec_lo, s0
	s_cbranch_execz .LBB138_276
; %bb.247:                              ;   in Loop: Header=BB138_201 Depth=1
                                        ; implicit-def: $vgpr14_vgpr15
	s_mov_b32 s0, exec_lo
	v_cmpx_gt_u32_e32 0x7ff00000, v12
	s_xor_b32 s79, exec_lo, s0
	s_cbranch_execz .LBB138_269
; %bb.248:                              ;   in Loop: Header=BB138_201 Depth=1
	v_add_nc_u32_e32 v12, 0xbf79d1be, v17
                                        ; implicit-def: $vgpr14_vgpr15
	s_mov_b32 s0, exec_lo
	s_delay_alu instid0(VALU_DEP_1)
	v_cmpx_lt_u32_e32 0x108aa2, v12
	s_xor_b32 s80, exec_lo, s0
	s_cbranch_execz .LBB138_258
; %bb.249:                              ;   in Loop: Header=BB138_201 Depth=1
	v_cmp_ngt_f64_e64 s1, 0x41d00000, |v[18:19]|
                                        ; implicit-def: $vgpr30
                                        ; implicit-def: $vgpr12_vgpr13
                                        ; implicit-def: $vgpr14_vgpr15
	s_delay_alu instid0(VALU_DEP_1) | instskip(NEXT) | instid1(SALU_CYCLE_1)
	s_and_saveexec_b32 s0, s1
	s_xor_b32 s2, exec_lo, s0
	s_cbranch_execz .LBB138_251
; %bb.250:                              ;   in Loop: Header=BB138_201 Depth=1
	v_ldexp_f64 v[12:13], |v[18:19]|, 0xffffff80
	v_cmp_le_f64_e64 vcc_lo, 0x7b000000, |v[18:19]|
	v_trig_preop_f64 v[14:15], |v[18:19]|, 0
	v_and_b32_e32 v21, 0x7fffffff, v19
	v_trig_preop_f64 v[26:27], |v[18:19]|, 1
	v_trig_preop_f64 v[36:37], |v[18:19]|, 2
	s_mov_b32 s4, s6
	s_mov_b32 s17, s9
	v_dual_cndmask_b32 v12, v18, v12 :: v_dual_cndmask_b32 v13, v21, v13
	s_delay_alu instid0(VALU_DEP_1) | instskip(NEXT) | instid1(VALU_DEP_4)
	v_mul_f64 v[28:29], v[14:15], v[12:13]
	v_mul_f64 v[30:31], v[26:27], v[12:13]
	s_delay_alu instid0(VALU_DEP_2) | instskip(NEXT) | instid1(VALU_DEP_2)
	v_fma_f64 v[14:15], v[14:15], v[12:13], -v[28:29]
	v_fma_f64 v[26:27], v[26:27], v[12:13], -v[30:31]
	s_delay_alu instid0(VALU_DEP_2) | instskip(NEXT) | instid1(VALU_DEP_1)
	v_add_f64 v[32:33], v[30:31], v[14:15]
	v_add_f64 v[34:35], v[32:33], -v[30:31]
	v_add_f64 v[40:41], v[28:29], v[32:33]
	s_delay_alu instid0(VALU_DEP_2) | instskip(SKIP_1) | instid1(VALU_DEP_3)
	v_add_f64 v[38:39], v[32:33], -v[34:35]
	v_add_f64 v[14:15], v[14:15], -v[34:35]
	v_ldexp_f64 v[34:35], v[40:41], -2
	v_add_f64 v[28:29], v[40:41], -v[28:29]
	s_delay_alu instid0(VALU_DEP_4) | instskip(NEXT) | instid1(VALU_DEP_3)
	v_add_f64 v[30:31], v[30:31], -v[38:39]
	v_cmp_neq_f64_e64 vcc_lo, 0x7ff00000, |v[34:35]|
	s_delay_alu instid0(VALU_DEP_3) | instskip(NEXT) | instid1(VALU_DEP_3)
	v_add_f64 v[28:29], v[32:33], -v[28:29]
	v_add_f64 v[14:15], v[14:15], v[30:31]
	v_fract_f64_e32 v[30:31], v[34:35]
	s_delay_alu instid0(VALU_DEP_1) | instskip(SKIP_1) | instid1(VALU_DEP_3)
	v_cndmask_b32_e32 v30, 0, v30, vcc_lo
	v_mul_f64 v[42:43], v[36:37], v[12:13]
	v_cndmask_b32_e32 v31, 0, v31, vcc_lo
	s_delay_alu instid0(VALU_DEP_1) | instskip(NEXT) | instid1(VALU_DEP_3)
	v_ldexp_f64 v[30:31], v[30:31], 2
	v_add_f64 v[38:39], v[42:43], v[26:27]
	v_fma_f64 v[12:13], v[36:37], v[12:13], -v[42:43]
	s_delay_alu instid0(VALU_DEP_2) | instskip(NEXT) | instid1(VALU_DEP_1)
	v_add_f64 v[32:33], v[38:39], v[14:15]
	v_add_f64 v[34:35], v[28:29], v[32:33]
	v_add_f64 v[44:45], v[32:33], -v[38:39]
	s_delay_alu instid0(VALU_DEP_2) | instskip(NEXT) | instid1(VALU_DEP_2)
	v_add_f64 v[40:41], v[34:35], v[30:31]
	v_add_f64 v[50:51], v[32:33], -v[44:45]
	v_add_f64 v[14:15], v[14:15], -v[44:45]
	;; [unrolled: 1-line block ×3, first 2 shown]
	s_delay_alu instid0(VALU_DEP_4) | instskip(SKIP_1) | instid1(VALU_DEP_3)
	v_cmp_gt_f64_e32 vcc_lo, 0, v[40:41]
	v_add_f64 v[40:41], v[38:39], -v[42:43]
	v_add_f64 v[28:29], v[32:33], -v[28:29]
	v_cndmask_b32_e64 v21, 0, 0x40100000, vcc_lo
	s_delay_alu instid0(VALU_DEP_3) | instskip(SKIP_2) | instid1(VALU_DEP_4)
	v_add_f64 v[48:49], v[38:39], -v[40:41]
	v_add_f64 v[26:27], v[26:27], -v[40:41]
	;; [unrolled: 1-line block ×3, first 2 shown]
	v_add_f64 v[30:31], v[30:31], v[20:21]
	s_delay_alu instid0(VALU_DEP_4) | instskip(NEXT) | instid1(VALU_DEP_3)
	v_add_f64 v[40:41], v[42:43], -v[48:49]
	v_add_f64 v[14:15], v[14:15], v[38:39]
	s_delay_alu instid0(VALU_DEP_3) | instskip(NEXT) | instid1(VALU_DEP_3)
	v_add_f64 v[46:47], v[34:35], v[30:31]
	v_add_f64 v[26:27], v[26:27], v[40:41]
	s_delay_alu instid0(VALU_DEP_2) | instskip(NEXT) | instid1(VALU_DEP_2)
	v_cvt_i32_f64_e32 v21, v[46:47]
	v_add_f64 v[14:15], v[26:27], v[14:15]
	s_delay_alu instid0(VALU_DEP_2) | instskip(NEXT) | instid1(VALU_DEP_2)
	v_cvt_f64_i32_e32 v[44:45], v21
	v_add_f64 v[12:13], v[12:13], v[14:15]
	s_delay_alu instid0(VALU_DEP_2) | instskip(NEXT) | instid1(VALU_DEP_2)
	v_add_f64 v[30:31], v[30:31], -v[44:45]
	v_add_f64 v[12:13], v[28:29], v[12:13]
	s_delay_alu instid0(VALU_DEP_2) | instskip(NEXT) | instid1(VALU_DEP_1)
	v_add_f64 v[26:27], v[34:35], v[30:31]
	v_add_f64 v[14:15], v[26:27], -v[30:31]
	v_cmp_le_f64_e32 vcc_lo, 0.5, v[26:27]
	s_delay_alu instid0(VALU_DEP_2) | instskip(SKIP_2) | instid1(VALU_DEP_3)
	v_add_f64 v[14:15], v[34:35], -v[14:15]
	v_add_co_ci_u32_e64 v30, s0, 0, v21, vcc_lo
	v_cndmask_b32_e64 v21, 0, 0x3ff00000, vcc_lo
	v_add_f64 v[12:13], v[12:13], v[14:15]
	s_delay_alu instid0(VALU_DEP_2) | instskip(NEXT) | instid1(VALU_DEP_1)
	v_add_f64 v[14:15], v[26:27], -v[20:21]
	v_add_f64 v[26:27], v[14:15], v[12:13]
	s_delay_alu instid0(VALU_DEP_1) | instskip(SKIP_1) | instid1(VALU_DEP_2)
	v_mul_f64 v[28:29], v[26:27], s[4:5]
	v_add_f64 v[14:15], v[26:27], -v[14:15]
	v_fma_f64 v[31:32], v[26:27], s[4:5], -v[28:29]
	s_delay_alu instid0(VALU_DEP_2) | instskip(NEXT) | instid1(VALU_DEP_2)
	v_add_f64 v[12:13], v[12:13], -v[14:15]
	v_fma_f64 v[14:15], v[26:27], s[16:17], v[31:32]
	s_delay_alu instid0(VALU_DEP_1) | instskip(NEXT) | instid1(VALU_DEP_1)
	v_fma_f64 v[14:15], v[12:13], s[4:5], v[14:15]
	v_add_f64 v[12:13], v[28:29], v[14:15]
	s_delay_alu instid0(VALU_DEP_1) | instskip(NEXT) | instid1(VALU_DEP_1)
	v_add_f64 v[26:27], v[12:13], -v[28:29]
	v_add_f64 v[14:15], v[14:15], -v[26:27]
	s_and_not1_saveexec_b32 s0, s2
	s_cbranch_execz .LBB138_253
	s_branch .LBB138_252
.LBB138_251:                            ;   in Loop: Header=BB138_201 Depth=1
	s_and_not1_saveexec_b32 s0, s2
	s_cbranch_execz .LBB138_253
.LBB138_252:                            ;   in Loop: Header=BB138_201 Depth=1
	v_mul_f64 v[12:13], |v[18:19]|, s[18:19]
	s_mov_b32 s8, s20
	s_delay_alu instid0(VALU_DEP_1) | instskip(NEXT) | instid1(VALU_DEP_1)
	v_rndne_f64_e32 v[26:27], v[12:13]
	v_fma_f64 v[12:13], v[26:27], s[6:7], |v[18:19]|
	v_mul_f64 v[14:15], v[26:27], s[20:21]
	s_delay_alu instid0(VALU_DEP_2) | instskip(NEXT) | instid1(VALU_DEP_2)
	v_fma_f64 v[30:31], v[26:27], s[20:21], v[12:13]
	v_add_f64 v[28:29], v[12:13], v[14:15]
	s_delay_alu instid0(VALU_DEP_1) | instskip(NEXT) | instid1(VALU_DEP_3)
	v_add_f64 v[12:13], v[12:13], -v[28:29]
	v_add_f64 v[28:29], v[28:29], -v[30:31]
	s_delay_alu instid0(VALU_DEP_2) | instskip(SKIP_1) | instid1(VALU_DEP_2)
	v_add_f64 v[12:13], v[12:13], v[14:15]
	v_fma_f64 v[14:15], v[26:27], s[8:9], v[14:15]
	v_add_f64 v[12:13], v[28:29], v[12:13]
	s_delay_alu instid0(VALU_DEP_1) | instskip(NEXT) | instid1(VALU_DEP_1)
	v_add_f64 v[12:13], v[12:13], -v[14:15]
	v_fma_f64 v[14:15], v[26:27], s[22:23], v[12:13]
	s_delay_alu instid0(VALU_DEP_1) | instskip(NEXT) | instid1(VALU_DEP_1)
	v_add_f64 v[12:13], v[30:31], v[14:15]
	v_add_f64 v[28:29], v[12:13], -v[30:31]
	v_cvt_i32_f64_e32 v30, v[26:27]
	s_delay_alu instid0(VALU_DEP_2)
	v_add_f64 v[14:15], v[14:15], -v[28:29]
.LBB138_253:                            ;   in Loop: Header=BB138_201 Depth=1
	s_or_b32 exec_lo, exec_lo, s0
                                        ; implicit-def: $vgpr31
                                        ; implicit-def: $vgpr26_vgpr27
                                        ; implicit-def: $vgpr28_vgpr29
	s_and_saveexec_b32 s0, s1
	s_delay_alu instid0(SALU_CYCLE_1)
	s_xor_b32 s1, exec_lo, s0
	s_cbranch_execz .LBB138_255
; %bb.254:                              ;   in Loop: Header=BB138_201 Depth=1
	v_ldexp_f64 v[26:27], |v[18:19]|, 0xffffff80
	v_cmp_le_f64_e64 vcc_lo, 0x7b000000, |v[18:19]|
	v_trig_preop_f64 v[28:29], |v[18:19]|, 0
	v_and_b32_e32 v21, 0x7fffffff, v19
	v_trig_preop_f64 v[31:32], |v[18:19]|, 1
	v_trig_preop_f64 v[41:42], |v[18:19]|, 2
	s_mov_b32 s4, s6
	s_mov_b32 s17, s9
	v_dual_cndmask_b32 v26, v18, v26 :: v_dual_cndmask_b32 v27, v21, v27
	s_delay_alu instid0(VALU_DEP_1) | instskip(NEXT) | instid1(VALU_DEP_4)
	v_mul_f64 v[33:34], v[28:29], v[26:27]
	v_mul_f64 v[35:36], v[31:32], v[26:27]
	s_delay_alu instid0(VALU_DEP_2) | instskip(NEXT) | instid1(VALU_DEP_2)
	v_fma_f64 v[28:29], v[28:29], v[26:27], -v[33:34]
	v_fma_f64 v[31:32], v[31:32], v[26:27], -v[35:36]
	s_delay_alu instid0(VALU_DEP_2) | instskip(NEXT) | instid1(VALU_DEP_1)
	v_add_f64 v[37:38], v[35:36], v[28:29]
	v_add_f64 v[39:40], v[37:38], -v[35:36]
	v_add_f64 v[45:46], v[33:34], v[37:38]
	s_delay_alu instid0(VALU_DEP_2) | instskip(SKIP_1) | instid1(VALU_DEP_3)
	v_add_f64 v[43:44], v[37:38], -v[39:40]
	v_add_f64 v[28:29], v[28:29], -v[39:40]
	v_ldexp_f64 v[39:40], v[45:46], -2
	v_add_f64 v[33:34], v[45:46], -v[33:34]
	s_delay_alu instid0(VALU_DEP_4) | instskip(NEXT) | instid1(VALU_DEP_3)
	v_add_f64 v[35:36], v[35:36], -v[43:44]
	v_cmp_neq_f64_e64 vcc_lo, 0x7ff00000, |v[39:40]|
	s_delay_alu instid0(VALU_DEP_3) | instskip(NEXT) | instid1(VALU_DEP_3)
	v_add_f64 v[33:34], v[37:38], -v[33:34]
	v_add_f64 v[28:29], v[28:29], v[35:36]
	v_fract_f64_e32 v[35:36], v[39:40]
	s_delay_alu instid0(VALU_DEP_1) | instskip(SKIP_1) | instid1(VALU_DEP_3)
	v_cndmask_b32_e32 v36, 0, v36, vcc_lo
	v_mul_f64 v[47:48], v[41:42], v[26:27]
	v_cndmask_b32_e32 v35, 0, v35, vcc_lo
	s_delay_alu instid0(VALU_DEP_1) | instskip(NEXT) | instid1(VALU_DEP_3)
	v_ldexp_f64 v[35:36], v[35:36], 2
	v_add_f64 v[43:44], v[47:48], v[31:32]
	v_fma_f64 v[26:27], v[41:42], v[26:27], -v[47:48]
	s_delay_alu instid0(VALU_DEP_2) | instskip(NEXT) | instid1(VALU_DEP_1)
	v_add_f64 v[37:38], v[43:44], v[28:29]
	v_add_f64 v[39:40], v[33:34], v[37:38]
	v_add_f64 v[49:50], v[37:38], -v[43:44]
	s_delay_alu instid0(VALU_DEP_2) | instskip(NEXT) | instid1(VALU_DEP_2)
	v_add_f64 v[45:46], v[39:40], v[35:36]
	v_add_f64 v[55:56], v[37:38], -v[49:50]
	v_add_f64 v[28:29], v[28:29], -v[49:50]
	;; [unrolled: 1-line block ×3, first 2 shown]
	s_delay_alu instid0(VALU_DEP_4) | instskip(SKIP_2) | instid1(VALU_DEP_2)
	v_cmp_gt_f64_e32 vcc_lo, 0, v[45:46]
	v_add_f64 v[45:46], v[43:44], -v[47:48]
	v_cndmask_b32_e64 v21, 0, 0x40100000, vcc_lo
	v_add_f64 v[53:54], v[43:44], -v[45:46]
	v_add_f64 v[31:32], v[31:32], -v[45:46]
	v_add_f64 v[43:44], v[43:44], -v[55:56]
	s_delay_alu instid0(VALU_DEP_4) | instskip(NEXT) | instid1(VALU_DEP_4)
	v_add_f64 v[35:36], v[35:36], v[20:21]
	v_add_f64 v[45:46], v[47:48], -v[53:54]
	s_delay_alu instid0(VALU_DEP_3) | instskip(NEXT) | instid1(VALU_DEP_3)
	v_add_f64 v[28:29], v[28:29], v[43:44]
	v_add_f64 v[51:52], v[39:40], v[35:36]
	s_delay_alu instid0(VALU_DEP_3) | instskip(NEXT) | instid1(VALU_DEP_2)
	v_add_f64 v[31:32], v[31:32], v[45:46]
	v_cvt_i32_f64_e32 v21, v[51:52]
	s_delay_alu instid0(VALU_DEP_2) | instskip(SKIP_1) | instid1(VALU_DEP_3)
	v_add_f64 v[28:29], v[31:32], v[28:29]
	v_add_f64 v[31:32], v[37:38], -v[33:34]
	v_cvt_f64_i32_e32 v[49:50], v21
	s_delay_alu instid0(VALU_DEP_3) | instskip(NEXT) | instid1(VALU_DEP_2)
	v_add_f64 v[26:27], v[26:27], v[28:29]
	v_add_f64 v[35:36], v[35:36], -v[49:50]
	s_delay_alu instid0(VALU_DEP_2) | instskip(NEXT) | instid1(VALU_DEP_2)
	v_add_f64 v[26:27], v[31:32], v[26:27]
	v_add_f64 v[41:42], v[39:40], v[35:36]
	s_delay_alu instid0(VALU_DEP_1) | instskip(SKIP_1) | instid1(VALU_DEP_2)
	v_add_f64 v[28:29], v[41:42], -v[35:36]
	v_cmp_le_f64_e32 vcc_lo, 0.5, v[41:42]
	v_add_f64 v[28:29], v[39:40], -v[28:29]
	v_add_co_ci_u32_e64 v31, s0, 0, v21, vcc_lo
	v_cndmask_b32_e64 v21, 0, 0x3ff00000, vcc_lo
	s_delay_alu instid0(VALU_DEP_3) | instskip(NEXT) | instid1(VALU_DEP_2)
	v_add_f64 v[26:27], v[26:27], v[28:29]
	v_add_f64 v[28:29], v[41:42], -v[20:21]
	s_delay_alu instid0(VALU_DEP_1) | instskip(NEXT) | instid1(VALU_DEP_1)
	v_add_f64 v[32:33], v[28:29], v[26:27]
	v_mul_f64 v[34:35], v[32:33], s[4:5]
	v_add_f64 v[28:29], v[32:33], -v[28:29]
	s_delay_alu instid0(VALU_DEP_2) | instskip(NEXT) | instid1(VALU_DEP_2)
	v_fma_f64 v[36:37], v[32:33], s[4:5], -v[34:35]
	v_add_f64 v[26:27], v[26:27], -v[28:29]
	s_delay_alu instid0(VALU_DEP_2) | instskip(NEXT) | instid1(VALU_DEP_1)
	v_fma_f64 v[28:29], v[32:33], s[16:17], v[36:37]
	v_fma_f64 v[28:29], v[26:27], s[4:5], v[28:29]
	s_delay_alu instid0(VALU_DEP_1) | instskip(NEXT) | instid1(VALU_DEP_1)
	v_add_f64 v[26:27], v[34:35], v[28:29]
	v_add_f64 v[32:33], v[26:27], -v[34:35]
	s_delay_alu instid0(VALU_DEP_1)
	v_add_f64 v[28:29], v[28:29], -v[32:33]
	s_and_not1_saveexec_b32 s0, s1
	s_cbranch_execnz .LBB138_256
	s_branch .LBB138_257
.LBB138_255:                            ;   in Loop: Header=BB138_201 Depth=1
	s_and_not1_saveexec_b32 s0, s1
	s_cbranch_execz .LBB138_257
.LBB138_256:                            ;   in Loop: Header=BB138_201 Depth=1
	v_mul_f64 v[26:27], |v[18:19]|, s[18:19]
	s_mov_b32 s8, s20
	s_delay_alu instid0(VALU_DEP_1) | instskip(NEXT) | instid1(VALU_DEP_1)
	v_rndne_f64_e32 v[31:32], v[26:27]
	v_fma_f64 v[26:27], v[31:32], s[6:7], |v[18:19]|
	v_mul_f64 v[28:29], v[31:32], s[20:21]
	s_delay_alu instid0(VALU_DEP_2) | instskip(NEXT) | instid1(VALU_DEP_2)
	v_fma_f64 v[35:36], v[31:32], s[20:21], v[26:27]
	v_add_f64 v[33:34], v[26:27], v[28:29]
	s_delay_alu instid0(VALU_DEP_1) | instskip(NEXT) | instid1(VALU_DEP_3)
	v_add_f64 v[26:27], v[26:27], -v[33:34]
	v_add_f64 v[33:34], v[33:34], -v[35:36]
	s_delay_alu instid0(VALU_DEP_2) | instskip(SKIP_1) | instid1(VALU_DEP_2)
	v_add_f64 v[26:27], v[26:27], v[28:29]
	v_fma_f64 v[28:29], v[31:32], s[8:9], v[28:29]
	v_add_f64 v[26:27], v[33:34], v[26:27]
	s_delay_alu instid0(VALU_DEP_1) | instskip(NEXT) | instid1(VALU_DEP_1)
	v_add_f64 v[26:27], v[26:27], -v[28:29]
	v_fma_f64 v[28:29], v[31:32], s[22:23], v[26:27]
	v_cvt_i32_f64_e32 v31, v[31:32]
	s_delay_alu instid0(VALU_DEP_2) | instskip(NEXT) | instid1(VALU_DEP_1)
	v_add_f64 v[26:27], v[35:36], v[28:29]
	v_add_f64 v[33:34], v[26:27], -v[35:36]
	s_delay_alu instid0(VALU_DEP_1)
	v_add_f64 v[28:29], v[28:29], -v[33:34]
.LBB138_257:                            ;   in Loop: Header=BB138_201 Depth=1
	s_or_b32 exec_lo, exec_lo, s0
	v_mul_f64 v[32:33], v[16:17], s[24:25]
	v_mul_f64 v[38:39], v[12:13], v[12:13]
	;; [unrolled: 1-line block ×3, first 2 shown]
	s_mov_b32 s69, s41
	s_mov_b32 s71, s43
	s_delay_alu instid0(VALU_DEP_4)
	v_mul_f64 v[58:59], v[14:15], 0.5
	v_mul_f64 v[64:65], v[28:29], 0.5
	s_mov_b32 s72, s42
	v_cmp_nlt_f64_e64 s1, 0x40900000, v[16:17]
	v_cmp_ngt_f64_e64 s2, 0xc090cc00, v[16:17]
	v_cmp_class_f64_e64 s0, v[18:19], 0x1f8
	v_rndne_f64_e32 v[32:33], v[32:33]
	v_fma_f64 v[42:43], v[38:39], s[60:61], s[58:59]
	v_fma_f64 v[44:45], v[40:41], s[60:61], s[58:59]
	v_mul_f64 v[48:49], v[38:39], 0.5
	v_fma_f64 v[46:47], v[38:39], s[50:51], s[48:49]
	v_fma_f64 v[50:51], v[40:41], s[50:51], s[48:49]
	v_mul_f64 v[52:53], v[40:41], 0.5
	v_mul_f64 v[60:61], v[12:13], -v[38:39]
	v_mul_f64 v[66:67], v[26:27], -v[40:41]
	v_fma_f64 v[34:35], v[32:33], s[12:13], v[16:17]
	v_fma_f64 v[42:43], v[38:39], v[42:43], s[62:63]
	v_fma_f64 v[44:45], v[40:41], v[44:45], s[62:63]
	v_add_f64 v[54:55], -v[48:49], 1.0
	v_fma_f64 v[46:47], v[38:39], v[46:47], s[52:53]
	v_fma_f64 v[50:51], v[40:41], v[50:51], s[52:53]
	v_add_f64 v[56:57], -v[52:53], 1.0
	v_cvt_i32_f64_e32 v21, v[32:33]
	v_and_b32_e32 v17, 1, v31
	s_delay_alu instid0(VALU_DEP_1)
	v_cmp_eq_u32_e64 s3, 0, v17
	v_fma_f64 v[34:35], v[32:33], s[14:15], v[34:35]
	v_fma_f64 v[42:43], v[38:39], v[42:43], s[64:65]
	;; [unrolled: 1-line block ×3, first 2 shown]
	v_add_f64 v[62:63], -v[54:55], 1.0
	v_fma_f64 v[46:47], v[38:39], v[46:47], s[54:55]
	v_fma_f64 v[50:51], v[40:41], v[50:51], s[54:55]
	v_add_f64 v[68:69], -v[56:57], 1.0
	v_fma_f64 v[36:37], v[34:35], s[28:29], s[26:27]
	v_fma_f64 v[42:43], v[38:39], v[42:43], s[40:41]
	;; [unrolled: 1-line block ×3, first 2 shown]
	v_add_f64 v[48:49], v[62:63], -v[48:49]
	v_fma_f64 v[46:47], v[38:39], v[46:47], s[56:57]
	v_fma_f64 v[50:51], v[40:41], v[50:51], s[56:57]
	v_add_f64 v[52:53], v[68:69], -v[52:53]
	v_fma_f64 v[36:37], v[34:35], v[36:37], s[30:31]
	v_fma_f64 v[42:43], v[60:61], v[42:43], v[58:59]
	;; [unrolled: 1-line block ×3, first 2 shown]
	v_fma_f64 v[48:49], v[12:13], -v[14:15], v[48:49]
	v_mul_f64 v[58:59], v[38:39], v[38:39]
	v_fma_f64 v[46:47], v[38:39], v[46:47], s[42:43]
	v_fma_f64 v[36:37], v[34:35], v[36:37], s[34:35]
	v_fma_f64 v[14:15], v[38:39], v[42:43], -v[14:15]
	v_mul_f64 v[38:39], v[40:41], v[40:41]
	v_fma_f64 v[42:43], v[40:41], v[50:51], s[42:43]
	v_fma_f64 v[50:51], v[26:27], -v[28:29], v[52:53]
	v_fma_f64 v[28:29], v[40:41], v[44:45], -v[28:29]
	v_fma_f64 v[40:41], v[58:59], v[46:47], v[48:49]
	v_fma_f64 v[36:37], v[34:35], v[36:37], s[36:37]
	;; [unrolled: 1-line block ×3, first 2 shown]
	s_delay_alu instid0(VALU_DEP_4) | instskip(NEXT) | instid1(VALU_DEP_3)
	v_fma_f64 v[28:29], v[66:67], s[72:73], v[28:29]
	v_fma_f64 v[36:37], v[34:35], v[36:37], s[38:39]
	s_delay_alu instid0(VALU_DEP_3) | instskip(NEXT) | instid1(VALU_DEP_3)
	v_add_f64 v[12:13], v[12:13], -v[14:15]
	v_add_f64 v[26:27], v[26:27], -v[28:29]
	s_delay_alu instid0(VALU_DEP_3) | instskip(NEXT) | instid1(VALU_DEP_3)
	v_fma_f64 v[36:37], v[34:35], v[36:37], s[68:69]
	v_xor_b32_e32 v13, 0x80000000, v13
	s_delay_alu instid0(VALU_DEP_2) | instskip(NEXT) | instid1(VALU_DEP_1)
	v_fma_f64 v[36:37], v[34:35], v[36:37], s[70:71]
	v_fma_f64 v[36:37], v[34:35], v[36:37], s[44:45]
	s_delay_alu instid0(VALU_DEP_1) | instskip(NEXT) | instid1(VALU_DEP_1)
	v_fma_f64 v[36:37], v[34:35], v[36:37], s[46:47]
	v_fma_f64 v[36:37], v[34:35], v[36:37], 1.0
	s_delay_alu instid0(VALU_DEP_1) | instskip(SKIP_2) | instid1(VALU_DEP_3)
	v_fma_f64 v[32:33], v[34:35], v[36:37], 1.0
	v_fma_f64 v[34:35], v[38:39], v[42:43], v[50:51]
	v_add_f64 v[36:37], v[54:55], v[40:41]
	v_ldexp_f64 v[14:15], v[32:33], v21
	s_delay_alu instid0(VALU_DEP_3) | instskip(SKIP_1) | instid1(VALU_DEP_1)
	v_add_f64 v[32:33], v[56:57], v[34:35]
	v_and_b32_e32 v21, 1, v30
	v_cmp_eq_u32_e32 vcc_lo, 0, v21
	v_dual_cndmask_b32 v13, v13, v37 :: v_dual_lshlrev_b32 v16, 30, v30
	v_cndmask_b32_e32 v12, v12, v36, vcc_lo
	s_and_b32 vcc_lo, s2, s1
	s_delay_alu instid0(VALU_DEP_2) | instskip(NEXT) | instid1(VALU_DEP_2)
	v_and_b32_e32 v16, 0x80000000, v16
	v_cndmask_b32_e64 v12, 0, v12, s0
	s_delay_alu instid0(VALU_DEP_2) | instskip(NEXT) | instid1(VALU_DEP_1)
	v_xor_b32_e32 v13, v13, v16
	v_cndmask_b32_e64 v13, 0x7ff80000, v13, s0
	v_cndmask_b32_e64 v18, 0x7ff00000, v15, s1
	v_lshlrev_b32_e32 v15, 30, v31
	v_cndmask_b32_e64 v17, v32, v26, s3
	s_delay_alu instid0(VALU_DEP_3) | instskip(NEXT) | instid1(VALU_DEP_3)
	v_cndmask_b32_e64 v18, 0, v18, s2
	v_xor_b32_e32 v15, v15, v19
	v_cndmask_b32_e64 v19, v33, v27, s3
	s_delay_alu instid0(VALU_DEP_2) | instskip(NEXT) | instid1(VALU_DEP_1)
	v_and_b32_e32 v15, 0x80000000, v15
	v_xor_b32_e32 v16, v19, v15
	v_cndmask_b32_e64 v15, 0, v17, s0
	v_cndmask_b32_e32 v17, 0, v14, vcc_lo
	s_delay_alu instid0(VALU_DEP_3) | instskip(NEXT) | instid1(VALU_DEP_2)
	v_cndmask_b32_e64 v16, 0x7ff80000, v16, s0
	v_mul_f64 v[12:13], v[17:18], v[12:13]
	s_delay_alu instid0(VALU_DEP_2)
	v_mul_f64 v[14:15], v[17:18], v[15:16]
                                        ; implicit-def: $vgpr18_vgpr19
.LBB138_258:                            ;   in Loop: Header=BB138_201 Depth=1
	s_and_not1_saveexec_b32 s80, s80
	s_cbranch_execz .LBB138_268
; %bb.259:                              ;   in Loop: Header=BB138_201 Depth=1
	v_cmp_ngt_f64_e64 s1, 0x41d00000, |v[18:19]|
                                        ; implicit-def: $vgpr30
                                        ; implicit-def: $vgpr12_vgpr13
                                        ; implicit-def: $vgpr14_vgpr15
	s_delay_alu instid0(VALU_DEP_1) | instskip(NEXT) | instid1(SALU_CYCLE_1)
	s_and_saveexec_b32 s0, s1
	s_xor_b32 s2, exec_lo, s0
	s_cbranch_execz .LBB138_261
; %bb.260:                              ;   in Loop: Header=BB138_201 Depth=1
	v_ldexp_f64 v[12:13], |v[18:19]|, 0xffffff80
	v_cmp_le_f64_e64 vcc_lo, 0x7b000000, |v[18:19]|
	v_trig_preop_f64 v[14:15], |v[18:19]|, 0
	v_and_b32_e32 v21, 0x7fffffff, v19
	v_trig_preop_f64 v[26:27], |v[18:19]|, 1
	v_trig_preop_f64 v[36:37], |v[18:19]|, 2
	s_mov_b32 s4, s6
	s_mov_b32 s17, s9
	v_dual_cndmask_b32 v12, v18, v12 :: v_dual_cndmask_b32 v13, v21, v13
	s_delay_alu instid0(VALU_DEP_1) | instskip(NEXT) | instid1(VALU_DEP_4)
	v_mul_f64 v[28:29], v[14:15], v[12:13]
	v_mul_f64 v[30:31], v[26:27], v[12:13]
	s_delay_alu instid0(VALU_DEP_2) | instskip(NEXT) | instid1(VALU_DEP_2)
	v_fma_f64 v[14:15], v[14:15], v[12:13], -v[28:29]
	v_fma_f64 v[26:27], v[26:27], v[12:13], -v[30:31]
	s_delay_alu instid0(VALU_DEP_2) | instskip(NEXT) | instid1(VALU_DEP_1)
	v_add_f64 v[32:33], v[30:31], v[14:15]
	v_add_f64 v[34:35], v[32:33], -v[30:31]
	v_add_f64 v[40:41], v[28:29], v[32:33]
	s_delay_alu instid0(VALU_DEP_2) | instskip(SKIP_1) | instid1(VALU_DEP_3)
	v_add_f64 v[38:39], v[32:33], -v[34:35]
	v_add_f64 v[14:15], v[14:15], -v[34:35]
	v_ldexp_f64 v[34:35], v[40:41], -2
	v_add_f64 v[28:29], v[40:41], -v[28:29]
	s_delay_alu instid0(VALU_DEP_4) | instskip(NEXT) | instid1(VALU_DEP_3)
	v_add_f64 v[30:31], v[30:31], -v[38:39]
	v_cmp_neq_f64_e64 vcc_lo, 0x7ff00000, |v[34:35]|
	s_delay_alu instid0(VALU_DEP_3) | instskip(NEXT) | instid1(VALU_DEP_3)
	v_add_f64 v[28:29], v[32:33], -v[28:29]
	v_add_f64 v[14:15], v[14:15], v[30:31]
	v_fract_f64_e32 v[30:31], v[34:35]
	s_delay_alu instid0(VALU_DEP_1) | instskip(SKIP_1) | instid1(VALU_DEP_3)
	v_cndmask_b32_e32 v30, 0, v30, vcc_lo
	v_mul_f64 v[42:43], v[36:37], v[12:13]
	v_cndmask_b32_e32 v31, 0, v31, vcc_lo
	s_delay_alu instid0(VALU_DEP_1) | instskip(NEXT) | instid1(VALU_DEP_3)
	v_ldexp_f64 v[30:31], v[30:31], 2
	v_add_f64 v[38:39], v[42:43], v[26:27]
	v_fma_f64 v[12:13], v[36:37], v[12:13], -v[42:43]
	s_delay_alu instid0(VALU_DEP_2) | instskip(NEXT) | instid1(VALU_DEP_1)
	v_add_f64 v[32:33], v[38:39], v[14:15]
	v_add_f64 v[34:35], v[28:29], v[32:33]
	v_add_f64 v[44:45], v[32:33], -v[38:39]
	s_delay_alu instid0(VALU_DEP_2) | instskip(NEXT) | instid1(VALU_DEP_2)
	v_add_f64 v[40:41], v[34:35], v[30:31]
	v_add_f64 v[50:51], v[32:33], -v[44:45]
	v_add_f64 v[14:15], v[14:15], -v[44:45]
	;; [unrolled: 1-line block ×3, first 2 shown]
	s_delay_alu instid0(VALU_DEP_4) | instskip(SKIP_1) | instid1(VALU_DEP_3)
	v_cmp_gt_f64_e32 vcc_lo, 0, v[40:41]
	v_add_f64 v[40:41], v[38:39], -v[42:43]
	v_add_f64 v[28:29], v[32:33], -v[28:29]
	v_cndmask_b32_e64 v21, 0, 0x40100000, vcc_lo
	s_delay_alu instid0(VALU_DEP_3) | instskip(SKIP_2) | instid1(VALU_DEP_4)
	v_add_f64 v[48:49], v[38:39], -v[40:41]
	v_add_f64 v[26:27], v[26:27], -v[40:41]
	;; [unrolled: 1-line block ×3, first 2 shown]
	v_add_f64 v[30:31], v[30:31], v[20:21]
	s_delay_alu instid0(VALU_DEP_4) | instskip(NEXT) | instid1(VALU_DEP_3)
	v_add_f64 v[40:41], v[42:43], -v[48:49]
	v_add_f64 v[14:15], v[14:15], v[38:39]
	s_delay_alu instid0(VALU_DEP_3) | instskip(NEXT) | instid1(VALU_DEP_3)
	v_add_f64 v[46:47], v[34:35], v[30:31]
	v_add_f64 v[26:27], v[26:27], v[40:41]
	s_delay_alu instid0(VALU_DEP_2) | instskip(NEXT) | instid1(VALU_DEP_2)
	v_cvt_i32_f64_e32 v21, v[46:47]
	v_add_f64 v[14:15], v[26:27], v[14:15]
	s_delay_alu instid0(VALU_DEP_2) | instskip(NEXT) | instid1(VALU_DEP_2)
	v_cvt_f64_i32_e32 v[44:45], v21
	v_add_f64 v[12:13], v[12:13], v[14:15]
	s_delay_alu instid0(VALU_DEP_2) | instskip(NEXT) | instid1(VALU_DEP_2)
	v_add_f64 v[30:31], v[30:31], -v[44:45]
	v_add_f64 v[12:13], v[28:29], v[12:13]
	s_delay_alu instid0(VALU_DEP_2) | instskip(NEXT) | instid1(VALU_DEP_1)
	v_add_f64 v[26:27], v[34:35], v[30:31]
	v_add_f64 v[14:15], v[26:27], -v[30:31]
	v_cmp_le_f64_e32 vcc_lo, 0.5, v[26:27]
	s_delay_alu instid0(VALU_DEP_2) | instskip(SKIP_2) | instid1(VALU_DEP_3)
	v_add_f64 v[14:15], v[34:35], -v[14:15]
	v_add_co_ci_u32_e64 v30, s0, 0, v21, vcc_lo
	v_cndmask_b32_e64 v21, 0, 0x3ff00000, vcc_lo
	v_add_f64 v[12:13], v[12:13], v[14:15]
	s_delay_alu instid0(VALU_DEP_2) | instskip(NEXT) | instid1(VALU_DEP_1)
	v_add_f64 v[14:15], v[26:27], -v[20:21]
	v_add_f64 v[26:27], v[14:15], v[12:13]
	s_delay_alu instid0(VALU_DEP_1) | instskip(SKIP_1) | instid1(VALU_DEP_2)
	v_mul_f64 v[28:29], v[26:27], s[4:5]
	v_add_f64 v[14:15], v[26:27], -v[14:15]
	v_fma_f64 v[31:32], v[26:27], s[4:5], -v[28:29]
	s_delay_alu instid0(VALU_DEP_2) | instskip(NEXT) | instid1(VALU_DEP_2)
	v_add_f64 v[12:13], v[12:13], -v[14:15]
	v_fma_f64 v[14:15], v[26:27], s[16:17], v[31:32]
	s_delay_alu instid0(VALU_DEP_1) | instskip(NEXT) | instid1(VALU_DEP_1)
	v_fma_f64 v[14:15], v[12:13], s[4:5], v[14:15]
	v_add_f64 v[12:13], v[28:29], v[14:15]
	s_delay_alu instid0(VALU_DEP_1) | instskip(NEXT) | instid1(VALU_DEP_1)
	v_add_f64 v[26:27], v[12:13], -v[28:29]
	v_add_f64 v[14:15], v[14:15], -v[26:27]
	s_and_not1_saveexec_b32 s0, s2
	s_cbranch_execz .LBB138_263
	s_branch .LBB138_262
.LBB138_261:                            ;   in Loop: Header=BB138_201 Depth=1
	s_and_not1_saveexec_b32 s0, s2
	s_cbranch_execz .LBB138_263
.LBB138_262:                            ;   in Loop: Header=BB138_201 Depth=1
	v_mul_f64 v[12:13], |v[18:19]|, s[18:19]
	s_mov_b32 s8, s20
	s_delay_alu instid0(VALU_DEP_1) | instskip(NEXT) | instid1(VALU_DEP_1)
	v_rndne_f64_e32 v[26:27], v[12:13]
	v_fma_f64 v[12:13], v[26:27], s[6:7], |v[18:19]|
	v_mul_f64 v[14:15], v[26:27], s[20:21]
	s_delay_alu instid0(VALU_DEP_2) | instskip(NEXT) | instid1(VALU_DEP_2)
	v_fma_f64 v[30:31], v[26:27], s[20:21], v[12:13]
	v_add_f64 v[28:29], v[12:13], v[14:15]
	s_delay_alu instid0(VALU_DEP_1) | instskip(NEXT) | instid1(VALU_DEP_3)
	v_add_f64 v[12:13], v[12:13], -v[28:29]
	v_add_f64 v[28:29], v[28:29], -v[30:31]
	s_delay_alu instid0(VALU_DEP_2) | instskip(SKIP_1) | instid1(VALU_DEP_2)
	v_add_f64 v[12:13], v[12:13], v[14:15]
	v_fma_f64 v[14:15], v[26:27], s[8:9], v[14:15]
	v_add_f64 v[12:13], v[28:29], v[12:13]
	s_delay_alu instid0(VALU_DEP_1) | instskip(NEXT) | instid1(VALU_DEP_1)
	v_add_f64 v[12:13], v[12:13], -v[14:15]
	v_fma_f64 v[14:15], v[26:27], s[22:23], v[12:13]
	s_delay_alu instid0(VALU_DEP_1) | instskip(NEXT) | instid1(VALU_DEP_1)
	v_add_f64 v[12:13], v[30:31], v[14:15]
	v_add_f64 v[28:29], v[12:13], -v[30:31]
	v_cvt_i32_f64_e32 v30, v[26:27]
	s_delay_alu instid0(VALU_DEP_2)
	v_add_f64 v[14:15], v[14:15], -v[28:29]
.LBB138_263:                            ;   in Loop: Header=BB138_201 Depth=1
	s_or_b32 exec_lo, exec_lo, s0
                                        ; implicit-def: $vgpr31
                                        ; implicit-def: $vgpr26_vgpr27
                                        ; implicit-def: $vgpr28_vgpr29
	s_and_saveexec_b32 s0, s1
	s_delay_alu instid0(SALU_CYCLE_1)
	s_xor_b32 s1, exec_lo, s0
	s_cbranch_execz .LBB138_265
; %bb.264:                              ;   in Loop: Header=BB138_201 Depth=1
	v_ldexp_f64 v[26:27], |v[18:19]|, 0xffffff80
	v_cmp_le_f64_e64 vcc_lo, 0x7b000000, |v[18:19]|
	v_trig_preop_f64 v[28:29], |v[18:19]|, 0
	v_and_b32_e32 v21, 0x7fffffff, v19
	v_trig_preop_f64 v[31:32], |v[18:19]|, 1
	v_trig_preop_f64 v[41:42], |v[18:19]|, 2
	s_mov_b32 s4, s6
	s_mov_b32 s17, s9
	v_dual_cndmask_b32 v26, v18, v26 :: v_dual_cndmask_b32 v27, v21, v27
	s_delay_alu instid0(VALU_DEP_1) | instskip(NEXT) | instid1(VALU_DEP_4)
	v_mul_f64 v[33:34], v[28:29], v[26:27]
	v_mul_f64 v[35:36], v[31:32], v[26:27]
	s_delay_alu instid0(VALU_DEP_2) | instskip(NEXT) | instid1(VALU_DEP_2)
	v_fma_f64 v[28:29], v[28:29], v[26:27], -v[33:34]
	v_fma_f64 v[31:32], v[31:32], v[26:27], -v[35:36]
	s_delay_alu instid0(VALU_DEP_2) | instskip(NEXT) | instid1(VALU_DEP_1)
	v_add_f64 v[37:38], v[35:36], v[28:29]
	v_add_f64 v[39:40], v[37:38], -v[35:36]
	v_add_f64 v[45:46], v[33:34], v[37:38]
	s_delay_alu instid0(VALU_DEP_2) | instskip(SKIP_1) | instid1(VALU_DEP_3)
	v_add_f64 v[43:44], v[37:38], -v[39:40]
	v_add_f64 v[28:29], v[28:29], -v[39:40]
	v_ldexp_f64 v[39:40], v[45:46], -2
	v_add_f64 v[33:34], v[45:46], -v[33:34]
	s_delay_alu instid0(VALU_DEP_4) | instskip(NEXT) | instid1(VALU_DEP_3)
	v_add_f64 v[35:36], v[35:36], -v[43:44]
	v_cmp_neq_f64_e64 vcc_lo, 0x7ff00000, |v[39:40]|
	s_delay_alu instid0(VALU_DEP_3) | instskip(NEXT) | instid1(VALU_DEP_3)
	v_add_f64 v[33:34], v[37:38], -v[33:34]
	v_add_f64 v[28:29], v[28:29], v[35:36]
	v_fract_f64_e32 v[35:36], v[39:40]
	s_delay_alu instid0(VALU_DEP_1) | instskip(SKIP_1) | instid1(VALU_DEP_3)
	v_cndmask_b32_e32 v36, 0, v36, vcc_lo
	v_mul_f64 v[47:48], v[41:42], v[26:27]
	v_cndmask_b32_e32 v35, 0, v35, vcc_lo
	s_delay_alu instid0(VALU_DEP_1) | instskip(NEXT) | instid1(VALU_DEP_3)
	v_ldexp_f64 v[35:36], v[35:36], 2
	v_add_f64 v[43:44], v[47:48], v[31:32]
	v_fma_f64 v[26:27], v[41:42], v[26:27], -v[47:48]
	s_delay_alu instid0(VALU_DEP_2) | instskip(NEXT) | instid1(VALU_DEP_1)
	v_add_f64 v[37:38], v[43:44], v[28:29]
	v_add_f64 v[39:40], v[33:34], v[37:38]
	v_add_f64 v[49:50], v[37:38], -v[43:44]
	s_delay_alu instid0(VALU_DEP_2) | instskip(NEXT) | instid1(VALU_DEP_2)
	v_add_f64 v[45:46], v[39:40], v[35:36]
	v_add_f64 v[55:56], v[37:38], -v[49:50]
	v_add_f64 v[28:29], v[28:29], -v[49:50]
	;; [unrolled: 1-line block ×3, first 2 shown]
	s_delay_alu instid0(VALU_DEP_4) | instskip(SKIP_2) | instid1(VALU_DEP_2)
	v_cmp_gt_f64_e32 vcc_lo, 0, v[45:46]
	v_add_f64 v[45:46], v[43:44], -v[47:48]
	v_cndmask_b32_e64 v21, 0, 0x40100000, vcc_lo
	v_add_f64 v[53:54], v[43:44], -v[45:46]
	v_add_f64 v[31:32], v[31:32], -v[45:46]
	;; [unrolled: 1-line block ×3, first 2 shown]
	s_delay_alu instid0(VALU_DEP_4) | instskip(NEXT) | instid1(VALU_DEP_4)
	v_add_f64 v[35:36], v[35:36], v[20:21]
	v_add_f64 v[45:46], v[47:48], -v[53:54]
	s_delay_alu instid0(VALU_DEP_3) | instskip(NEXT) | instid1(VALU_DEP_3)
	v_add_f64 v[28:29], v[28:29], v[43:44]
	v_add_f64 v[51:52], v[39:40], v[35:36]
	s_delay_alu instid0(VALU_DEP_3) | instskip(NEXT) | instid1(VALU_DEP_2)
	v_add_f64 v[31:32], v[31:32], v[45:46]
	v_cvt_i32_f64_e32 v21, v[51:52]
	s_delay_alu instid0(VALU_DEP_2) | instskip(SKIP_1) | instid1(VALU_DEP_3)
	v_add_f64 v[28:29], v[31:32], v[28:29]
	v_add_f64 v[31:32], v[37:38], -v[33:34]
	v_cvt_f64_i32_e32 v[49:50], v21
	s_delay_alu instid0(VALU_DEP_3) | instskip(NEXT) | instid1(VALU_DEP_2)
	v_add_f64 v[26:27], v[26:27], v[28:29]
	v_add_f64 v[35:36], v[35:36], -v[49:50]
	s_delay_alu instid0(VALU_DEP_2) | instskip(NEXT) | instid1(VALU_DEP_2)
	v_add_f64 v[26:27], v[31:32], v[26:27]
	v_add_f64 v[41:42], v[39:40], v[35:36]
	s_delay_alu instid0(VALU_DEP_1) | instskip(SKIP_1) | instid1(VALU_DEP_2)
	v_add_f64 v[28:29], v[41:42], -v[35:36]
	v_cmp_le_f64_e32 vcc_lo, 0.5, v[41:42]
	v_add_f64 v[28:29], v[39:40], -v[28:29]
	v_add_co_ci_u32_e64 v31, s0, 0, v21, vcc_lo
	v_cndmask_b32_e64 v21, 0, 0x3ff00000, vcc_lo
	s_delay_alu instid0(VALU_DEP_3) | instskip(NEXT) | instid1(VALU_DEP_2)
	v_add_f64 v[26:27], v[26:27], v[28:29]
	v_add_f64 v[28:29], v[41:42], -v[20:21]
	s_delay_alu instid0(VALU_DEP_1) | instskip(NEXT) | instid1(VALU_DEP_1)
	v_add_f64 v[32:33], v[28:29], v[26:27]
	v_mul_f64 v[34:35], v[32:33], s[4:5]
	v_add_f64 v[28:29], v[32:33], -v[28:29]
	s_delay_alu instid0(VALU_DEP_2) | instskip(NEXT) | instid1(VALU_DEP_2)
	v_fma_f64 v[36:37], v[32:33], s[4:5], -v[34:35]
	v_add_f64 v[26:27], v[26:27], -v[28:29]
	s_delay_alu instid0(VALU_DEP_2) | instskip(NEXT) | instid1(VALU_DEP_1)
	v_fma_f64 v[28:29], v[32:33], s[16:17], v[36:37]
	v_fma_f64 v[28:29], v[26:27], s[4:5], v[28:29]
	s_delay_alu instid0(VALU_DEP_1) | instskip(NEXT) | instid1(VALU_DEP_1)
	v_add_f64 v[26:27], v[34:35], v[28:29]
	v_add_f64 v[32:33], v[26:27], -v[34:35]
	s_delay_alu instid0(VALU_DEP_1)
	v_add_f64 v[28:29], v[28:29], -v[32:33]
	s_and_not1_saveexec_b32 s0, s1
	s_cbranch_execnz .LBB138_266
	s_branch .LBB138_267
.LBB138_265:                            ;   in Loop: Header=BB138_201 Depth=1
	s_and_not1_saveexec_b32 s0, s1
	s_cbranch_execz .LBB138_267
.LBB138_266:                            ;   in Loop: Header=BB138_201 Depth=1
	v_mul_f64 v[26:27], |v[18:19]|, s[18:19]
	s_mov_b32 s8, s20
	s_delay_alu instid0(VALU_DEP_1) | instskip(NEXT) | instid1(VALU_DEP_1)
	v_rndne_f64_e32 v[31:32], v[26:27]
	v_fma_f64 v[26:27], v[31:32], s[6:7], |v[18:19]|
	v_mul_f64 v[28:29], v[31:32], s[20:21]
	s_delay_alu instid0(VALU_DEP_2) | instskip(NEXT) | instid1(VALU_DEP_2)
	v_fma_f64 v[35:36], v[31:32], s[20:21], v[26:27]
	v_add_f64 v[33:34], v[26:27], v[28:29]
	s_delay_alu instid0(VALU_DEP_1) | instskip(NEXT) | instid1(VALU_DEP_3)
	v_add_f64 v[26:27], v[26:27], -v[33:34]
	v_add_f64 v[33:34], v[33:34], -v[35:36]
	s_delay_alu instid0(VALU_DEP_2) | instskip(SKIP_1) | instid1(VALU_DEP_2)
	v_add_f64 v[26:27], v[26:27], v[28:29]
	v_fma_f64 v[28:29], v[31:32], s[8:9], v[28:29]
	v_add_f64 v[26:27], v[33:34], v[26:27]
	s_delay_alu instid0(VALU_DEP_1) | instskip(NEXT) | instid1(VALU_DEP_1)
	v_add_f64 v[26:27], v[26:27], -v[28:29]
	v_fma_f64 v[28:29], v[31:32], s[22:23], v[26:27]
	v_cvt_i32_f64_e32 v31, v[31:32]
	s_delay_alu instid0(VALU_DEP_2) | instskip(NEXT) | instid1(VALU_DEP_1)
	v_add_f64 v[26:27], v[35:36], v[28:29]
	v_add_f64 v[33:34], v[26:27], -v[35:36]
	s_delay_alu instid0(VALU_DEP_1)
	v_add_f64 v[28:29], v[28:29], -v[33:34]
.LBB138_267:                            ;   in Loop: Header=BB138_201 Depth=1
	s_or_b32 exec_lo, exec_lo, s0
	v_add_f64 v[16:17], v[16:17], s[66:67]
	s_delay_alu instid0(VALU_DEP_4) | instskip(SKIP_3) | instid1(VALU_DEP_4)
	v_mul_f64 v[38:39], v[12:13], v[12:13]
	v_mul_f64 v[40:41], v[26:27], v[26:27]
	s_mov_b32 s69, s41
	s_mov_b32 s71, s43
	v_mul_f64 v[58:59], v[14:15], 0.5
	v_mul_f64 v[64:65], v[28:29], 0.5
	s_mov_b32 s72, s42
	v_cmp_class_f64_e64 s0, v[18:19], 0x1f8
	v_mul_f64 v[32:33], v[16:17], s[24:25]
	v_fma_f64 v[42:43], v[38:39], s[60:61], s[58:59]
	v_fma_f64 v[44:45], v[40:41], s[60:61], s[58:59]
	v_mul_f64 v[48:49], v[38:39], 0.5
	v_fma_f64 v[46:47], v[38:39], s[50:51], s[48:49]
	v_fma_f64 v[50:51], v[40:41], s[50:51], s[48:49]
	v_mul_f64 v[52:53], v[40:41], 0.5
	v_mul_f64 v[60:61], v[12:13], -v[38:39]
	v_mul_f64 v[66:67], v[26:27], -v[40:41]
	v_cmp_nlt_f64_e64 s1, 0x40900000, v[16:17]
	v_cmp_ngt_f64_e64 s2, 0xc090cc00, v[16:17]
	v_rndne_f64_e32 v[32:33], v[32:33]
	v_fma_f64 v[42:43], v[38:39], v[42:43], s[62:63]
	v_fma_f64 v[44:45], v[40:41], v[44:45], s[62:63]
	v_add_f64 v[54:55], -v[48:49], 1.0
	v_fma_f64 v[46:47], v[38:39], v[46:47], s[52:53]
	v_fma_f64 v[50:51], v[40:41], v[50:51], s[52:53]
	v_add_f64 v[56:57], -v[52:53], 1.0
	v_fma_f64 v[34:35], v[32:33], s[12:13], v[16:17]
	v_fma_f64 v[42:43], v[38:39], v[42:43], s[64:65]
	;; [unrolled: 1-line block ×3, first 2 shown]
	v_add_f64 v[62:63], -v[54:55], 1.0
	v_fma_f64 v[46:47], v[38:39], v[46:47], s[54:55]
	v_fma_f64 v[50:51], v[40:41], v[50:51], s[54:55]
	v_add_f64 v[68:69], -v[56:57], 1.0
	v_cvt_i32_f64_e32 v21, v[32:33]
	v_lshlrev_b32_e32 v17, 30, v30
	s_delay_alu instid0(VALU_DEP_1)
	v_and_b32_e32 v17, 0x80000000, v17
	v_fma_f64 v[34:35], v[32:33], s[14:15], v[34:35]
	v_fma_f64 v[42:43], v[38:39], v[42:43], s[40:41]
	;; [unrolled: 1-line block ×3, first 2 shown]
	v_add_f64 v[48:49], v[62:63], -v[48:49]
	v_fma_f64 v[46:47], v[38:39], v[46:47], s[56:57]
	v_fma_f64 v[50:51], v[40:41], v[50:51], s[56:57]
	v_add_f64 v[52:53], v[68:69], -v[52:53]
	v_fma_f64 v[36:37], v[34:35], s[28:29], s[26:27]
	v_fma_f64 v[42:43], v[60:61], v[42:43], v[58:59]
	;; [unrolled: 1-line block ×3, first 2 shown]
	v_fma_f64 v[48:49], v[12:13], -v[14:15], v[48:49]
	v_mul_f64 v[58:59], v[38:39], v[38:39]
	v_fma_f64 v[46:47], v[38:39], v[46:47], s[42:43]
	v_fma_f64 v[36:37], v[34:35], v[36:37], s[30:31]
	v_fma_f64 v[14:15], v[38:39], v[42:43], -v[14:15]
	v_mul_f64 v[38:39], v[40:41], v[40:41]
	v_fma_f64 v[42:43], v[40:41], v[50:51], s[42:43]
	v_fma_f64 v[50:51], v[26:27], -v[28:29], v[52:53]
	v_fma_f64 v[28:29], v[40:41], v[44:45], -v[28:29]
	v_fma_f64 v[40:41], v[58:59], v[46:47], v[48:49]
	v_fma_f64 v[36:37], v[34:35], v[36:37], s[34:35]
	;; [unrolled: 1-line block ×3, first 2 shown]
	s_delay_alu instid0(VALU_DEP_4) | instskip(NEXT) | instid1(VALU_DEP_3)
	v_fma_f64 v[28:29], v[66:67], s[72:73], v[28:29]
	v_fma_f64 v[36:37], v[34:35], v[36:37], s[36:37]
	s_delay_alu instid0(VALU_DEP_3) | instskip(NEXT) | instid1(VALU_DEP_3)
	v_add_f64 v[12:13], v[12:13], -v[14:15]
	v_add_f64 v[26:27], v[26:27], -v[28:29]
	s_delay_alu instid0(VALU_DEP_3) | instskip(NEXT) | instid1(VALU_DEP_3)
	v_fma_f64 v[36:37], v[34:35], v[36:37], s[38:39]
	v_xor_b32_e32 v13, 0x80000000, v13
	s_delay_alu instid0(VALU_DEP_2) | instskip(NEXT) | instid1(VALU_DEP_1)
	v_fma_f64 v[36:37], v[34:35], v[36:37], s[68:69]
	v_fma_f64 v[36:37], v[34:35], v[36:37], s[70:71]
	s_delay_alu instid0(VALU_DEP_1) | instskip(NEXT) | instid1(VALU_DEP_1)
	v_fma_f64 v[36:37], v[34:35], v[36:37], s[44:45]
	v_fma_f64 v[36:37], v[34:35], v[36:37], s[46:47]
	s_delay_alu instid0(VALU_DEP_1) | instskip(NEXT) | instid1(VALU_DEP_1)
	v_fma_f64 v[36:37], v[34:35], v[36:37], 1.0
	v_fma_f64 v[32:33], v[34:35], v[36:37], 1.0
	v_fma_f64 v[34:35], v[38:39], v[42:43], v[50:51]
	v_add_f64 v[36:37], v[54:55], v[40:41]
	s_delay_alu instid0(VALU_DEP_3) | instskip(NEXT) | instid1(VALU_DEP_3)
	v_ldexp_f64 v[14:15], v[32:33], v21
	v_add_f64 v[32:33], v[56:57], v[34:35]
	v_and_b32_e32 v21, 1, v30
	s_delay_alu instid0(VALU_DEP_1) | instskip(SKIP_4) | instid1(VALU_DEP_3)
	v_cmp_eq_u32_e32 vcc_lo, 0, v21
	v_dual_cndmask_b32 v13, v13, v37 :: v_dual_lshlrev_b32 v16, 30, v31
	v_cndmask_b32_e32 v12, v12, v36, vcc_lo
	s_and_b32 vcc_lo, s2, s1
	v_and_b32_e32 v18, 1, v31
	v_xor_b32_e32 v16, v16, v19
	v_xor_b32_e32 v13, v13, v17
	v_cndmask_b32_e64 v12, 0, v12, s0
	s_delay_alu instid0(VALU_DEP_3) | instskip(NEXT) | instid1(VALU_DEP_3)
	v_and_b32_e32 v16, 0x80000000, v16
	v_cndmask_b32_e64 v13, 0x7ff80000, v13, s0
	v_cndmask_b32_e32 v17, 0, v14, vcc_lo
	v_cmp_eq_u32_e64 s3, 0, v18
	v_cndmask_b32_e64 v15, 0x7ff00000, v15, s1
	s_delay_alu instid0(VALU_DEP_2) | instskip(SKIP_1) | instid1(VALU_DEP_3)
	v_cndmask_b32_e64 v19, v33, v27, s3
	v_cndmask_b32_e64 v18, v32, v26, s3
	;; [unrolled: 1-line block ×3, first 2 shown]
	s_delay_alu instid0(VALU_DEP_3) | instskip(NEXT) | instid1(VALU_DEP_3)
	v_xor_b32_e32 v16, v19, v16
	v_cndmask_b32_e64 v15, 0, v18, s0
	s_delay_alu instid0(VALU_DEP_3) | instskip(NEXT) | instid1(VALU_DEP_3)
	v_and_or_b32 v18, v21, s76, 0x7fe00000
	v_cndmask_b32_e64 v16, 0x7ff80000, v16, s0
	s_delay_alu instid0(VALU_DEP_2) | instskip(NEXT) | instid1(VALU_DEP_2)
	v_mul_f64 v[12:13], v[17:18], v[12:13]
	v_mul_f64 v[14:15], v[17:18], v[15:16]
	v_lshrrev_b32_e32 v16, 20, v21
	s_delay_alu instid0(VALU_DEP_1) | instskip(NEXT) | instid1(VALU_DEP_1)
	v_add_nc_u32_e32 v16, 0xffffff09, v16
	v_lshrrev_b16 v17, 15, v16
	s_delay_alu instid0(VALU_DEP_1) | instskip(NEXT) | instid1(VALU_DEP_1)
	v_add_nc_u16 v17, v16, v17
	v_ashrrev_i16 v17, 1, v17
	s_delay_alu instid0(VALU_DEP_1) | instskip(NEXT) | instid1(VALU_DEP_1)
	v_bfe_i32 v17, v17, 0, 16
	v_lshl_add_u32 v21, v17, 20, 0x3ff00000
	v_sub_nc_u32_e32 v17, v16, v17
	v_mov_b32_e32 v16, v20
	s_delay_alu instid0(VALU_DEP_3) | instskip(NEXT) | instid1(VALU_DEP_3)
	v_mul_f64 v[12:13], v[12:13], v[20:21]
	v_lshl_add_u32 v17, v17, 20, 0x3ff00000
	v_mul_f64 v[14:15], v[14:15], v[20:21]
	s_delay_alu instid0(VALU_DEP_2) | instskip(NEXT) | instid1(VALU_DEP_2)
	v_mul_f64 v[12:13], v[12:13], v[16:17]
	v_mul_f64 v[14:15], v[14:15], v[16:17]
.LBB138_268:                            ;   in Loop: Header=BB138_201 Depth=1
	s_or_b32 exec_lo, exec_lo, s80
                                        ; implicit-def: $vgpr16_vgpr17
                                        ; implicit-def: $vgpr21
.LBB138_269:                            ;   in Loop: Header=BB138_201 Depth=1
	s_and_not1_saveexec_b32 s1, s79
	s_cbranch_execz .LBB138_275
; %bb.270:                              ;   in Loop: Header=BB138_201 Depth=1
	v_add_f64 v[14:15], v[18:19], -v[18:19]
	v_cmp_ne_u32_e32 vcc_lo, 0, v16
	v_cmp_ne_u32_e64 s0, 0x7ff00000, v21
	s_delay_alu instid0(VALU_DEP_1) | instskip(NEXT) | instid1(SALU_CYCLE_1)
	s_or_b32 s0, vcc_lo, s0
	s_and_saveexec_b32 s2, s0
	s_delay_alu instid0(SALU_CYCLE_1)
	s_xor_b32 s0, exec_lo, s2
; %bb.271:                              ;   in Loop: Header=BB138_201 Depth=1
                                        ; implicit-def: $vgpr16_vgpr17
; %bb.272:                              ;   in Loop: Header=BB138_201 Depth=1
	s_delay_alu instid0(SALU_CYCLE_1) | instskip(NEXT) | instid1(VALU_DEP_3)
	s_or_saveexec_b32 s0, s0
	v_dual_mov_b32 v12, v14 :: v_dual_mov_b32 v13, v15
	s_xor_b32 exec_lo, exec_lo, s0
; %bb.273:                              ;   in Loop: Header=BB138_201 Depth=1
	v_cmp_lt_i64_e32 vcc_lo, -1, v[16:17]
	v_dual_cndmask_b32 v13, 0, v17 :: v_dual_cndmask_b32 v12, 0, v16
	v_dual_cndmask_b32 v15, 0, v15 :: v_dual_cndmask_b32 v14, 0, v14
; %bb.274:                              ;   in Loop: Header=BB138_201 Depth=1
	s_or_b32 exec_lo, exec_lo, s0
.LBB138_275:                            ;   in Loop: Header=BB138_201 Depth=1
	s_delay_alu instid0(SALU_CYCLE_1)
	s_or_b32 exec_lo, exec_lo, s1
                                        ; implicit-def: $vgpr18_vgpr19
.LBB138_276:                            ;   in Loop: Header=BB138_201 Depth=1
	s_and_not1_saveexec_b32 s2, s78
	s_cbranch_execz .LBB138_286
; %bb.277:                              ;   in Loop: Header=BB138_201 Depth=1
	v_cmp_ngt_f64_e64 s1, 0x41d00000, |v[18:19]|
                                        ; implicit-def: $vgpr28
                                        ; implicit-def: $vgpr12_vgpr13
                                        ; implicit-def: $vgpr14_vgpr15
	s_delay_alu instid0(VALU_DEP_1) | instskip(NEXT) | instid1(SALU_CYCLE_1)
	s_and_saveexec_b32 s0, s1
	s_xor_b32 s3, exec_lo, s0
	s_cbranch_execz .LBB138_279
; %bb.278:                              ;   in Loop: Header=BB138_201 Depth=1
	v_ldexp_f64 v[12:13], |v[18:19]|, 0xffffff80
	v_cmp_le_f64_e64 vcc_lo, 0x7b000000, |v[18:19]|
	v_trig_preop_f64 v[14:15], |v[18:19]|, 0
	v_and_b32_e32 v16, 0x7fffffff, v19
	v_trig_preop_f64 v[34:35], |v[18:19]|, 2
	s_mov_b32 s4, s6
	s_mov_b32 s17, s9
	s_delay_alu instid0(VALU_DEP_2) | instskip(SKIP_1) | instid1(VALU_DEP_2)
	v_dual_cndmask_b32 v13, v16, v13 :: v_dual_cndmask_b32 v12, v18, v12
	v_trig_preop_f64 v[16:17], |v[18:19]|, 1
	v_mul_f64 v[26:27], v[14:15], v[12:13]
	s_delay_alu instid0(VALU_DEP_4) | instskip(NEXT) | instid1(VALU_DEP_3)
	v_mul_f64 v[40:41], v[34:35], v[12:13]
	v_mul_f64 v[28:29], v[16:17], v[12:13]
	s_delay_alu instid0(VALU_DEP_3) | instskip(NEXT) | instid1(VALU_DEP_2)
	v_fma_f64 v[14:15], v[14:15], v[12:13], -v[26:27]
	v_fma_f64 v[16:17], v[16:17], v[12:13], -v[28:29]
	s_delay_alu instid0(VALU_DEP_4) | instskip(NEXT) | instid1(VALU_DEP_3)
	v_fma_f64 v[12:13], v[34:35], v[12:13], -v[40:41]
	v_add_f64 v[30:31], v[28:29], v[14:15]
	s_delay_alu instid0(VALU_DEP_1) | instskip(SKIP_1) | instid1(VALU_DEP_2)
	v_add_f64 v[32:33], v[30:31], -v[28:29]
	v_add_f64 v[38:39], v[26:27], v[30:31]
	v_add_f64 v[36:37], v[30:31], -v[32:33]
	v_add_f64 v[14:15], v[14:15], -v[32:33]
	s_delay_alu instid0(VALU_DEP_3) | instskip(SKIP_1) | instid1(VALU_DEP_4)
	v_ldexp_f64 v[32:33], v[38:39], -2
	v_add_f64 v[26:27], v[38:39], -v[26:27]
	v_add_f64 v[28:29], v[28:29], -v[36:37]
	v_add_f64 v[36:37], v[40:41], v[16:17]
	s_delay_alu instid0(VALU_DEP_4) | instskip(NEXT) | instid1(VALU_DEP_4)
	v_cmp_neq_f64_e64 vcc_lo, 0x7ff00000, |v[32:33]|
	v_add_f64 v[26:27], v[30:31], -v[26:27]
	s_delay_alu instid0(VALU_DEP_4) | instskip(SKIP_1) | instid1(VALU_DEP_2)
	v_add_f64 v[14:15], v[14:15], v[28:29]
	v_fract_f64_e32 v[28:29], v[32:33]
	v_add_f64 v[30:31], v[36:37], v[14:15]
	s_delay_alu instid0(VALU_DEP_2) | instskip(NEXT) | instid1(VALU_DEP_1)
	v_dual_cndmask_b32 v29, 0, v29 :: v_dual_cndmask_b32 v28, 0, v28
	v_ldexp_f64 v[28:29], v[28:29], 2
	s_delay_alu instid0(VALU_DEP_3) | instskip(SKIP_1) | instid1(VALU_DEP_2)
	v_add_f64 v[32:33], v[26:27], v[30:31]
	v_add_f64 v[42:43], v[30:31], -v[36:37]
	v_add_f64 v[38:39], v[32:33], v[28:29]
	s_delay_alu instid0(VALU_DEP_2) | instskip(SKIP_2) | instid1(VALU_DEP_4)
	v_add_f64 v[48:49], v[30:31], -v[42:43]
	v_add_f64 v[14:15], v[14:15], -v[42:43]
	;; [unrolled: 1-line block ×3, first 2 shown]
	v_cmp_gt_f64_e32 vcc_lo, 0, v[38:39]
	v_add_f64 v[38:39], v[36:37], -v[40:41]
	s_delay_alu instid0(VALU_DEP_3) | instskip(SKIP_1) | instid1(VALU_DEP_3)
	v_add_f64 v[26:27], v[30:31], -v[26:27]
	v_cndmask_b32_e64 v21, 0, 0x40100000, vcc_lo
	v_add_f64 v[46:47], v[36:37], -v[38:39]
	v_add_f64 v[16:17], v[16:17], -v[38:39]
	;; [unrolled: 1-line block ×3, first 2 shown]
	s_delay_alu instid0(VALU_DEP_4) | instskip(NEXT) | instid1(VALU_DEP_4)
	v_add_f64 v[28:29], v[28:29], v[20:21]
	v_add_f64 v[38:39], v[40:41], -v[46:47]
	s_delay_alu instid0(VALU_DEP_3) | instskip(NEXT) | instid1(VALU_DEP_3)
	v_add_f64 v[14:15], v[14:15], v[36:37]
	v_add_f64 v[44:45], v[32:33], v[28:29]
	s_delay_alu instid0(VALU_DEP_3) | instskip(NEXT) | instid1(VALU_DEP_2)
	v_add_f64 v[16:17], v[16:17], v[38:39]
	v_cvt_i32_f64_e32 v21, v[44:45]
	s_delay_alu instid0(VALU_DEP_2) | instskip(NEXT) | instid1(VALU_DEP_2)
	v_add_f64 v[14:15], v[16:17], v[14:15]
	v_cvt_f64_i32_e32 v[42:43], v21
	s_delay_alu instid0(VALU_DEP_2) | instskip(NEXT) | instid1(VALU_DEP_2)
	v_add_f64 v[12:13], v[12:13], v[14:15]
	v_add_f64 v[28:29], v[28:29], -v[42:43]
	s_delay_alu instid0(VALU_DEP_2) | instskip(NEXT) | instid1(VALU_DEP_2)
	v_add_f64 v[12:13], v[26:27], v[12:13]
	v_add_f64 v[16:17], v[32:33], v[28:29]
	s_delay_alu instid0(VALU_DEP_1) | instskip(SKIP_1) | instid1(VALU_DEP_2)
	v_add_f64 v[14:15], v[16:17], -v[28:29]
	v_cmp_le_f64_e32 vcc_lo, 0.5, v[16:17]
	v_add_f64 v[14:15], v[32:33], -v[14:15]
	v_add_co_ci_u32_e64 v28, s0, 0, v21, vcc_lo
	v_cndmask_b32_e64 v21, 0, 0x3ff00000, vcc_lo
	s_delay_alu instid0(VALU_DEP_3) | instskip(NEXT) | instid1(VALU_DEP_2)
	v_add_f64 v[12:13], v[12:13], v[14:15]
	v_add_f64 v[14:15], v[16:17], -v[20:21]
	s_delay_alu instid0(VALU_DEP_1) | instskip(NEXT) | instid1(VALU_DEP_1)
	v_add_f64 v[16:17], v[14:15], v[12:13]
	v_mul_f64 v[26:27], v[16:17], s[4:5]
	v_add_f64 v[14:15], v[16:17], -v[14:15]
	s_delay_alu instid0(VALU_DEP_2) | instskip(NEXT) | instid1(VALU_DEP_2)
	v_fma_f64 v[29:30], v[16:17], s[4:5], -v[26:27]
	v_add_f64 v[12:13], v[12:13], -v[14:15]
	s_delay_alu instid0(VALU_DEP_2) | instskip(NEXT) | instid1(VALU_DEP_1)
	v_fma_f64 v[14:15], v[16:17], s[16:17], v[29:30]
	v_fma_f64 v[14:15], v[12:13], s[4:5], v[14:15]
	s_delay_alu instid0(VALU_DEP_1) | instskip(NEXT) | instid1(VALU_DEP_1)
	v_add_f64 v[12:13], v[26:27], v[14:15]
	v_add_f64 v[16:17], v[12:13], -v[26:27]
	s_delay_alu instid0(VALU_DEP_1)
	v_add_f64 v[14:15], v[14:15], -v[16:17]
	s_and_not1_saveexec_b32 s0, s3
	s_cbranch_execz .LBB138_281
	s_branch .LBB138_280
.LBB138_279:                            ;   in Loop: Header=BB138_201 Depth=1
	s_and_not1_saveexec_b32 s0, s3
	s_cbranch_execz .LBB138_281
.LBB138_280:                            ;   in Loop: Header=BB138_201 Depth=1
	v_mul_f64 v[12:13], |v[18:19]|, s[18:19]
	s_mov_b32 s8, s20
	s_delay_alu instid0(VALU_DEP_1) | instskip(NEXT) | instid1(VALU_DEP_1)
	v_rndne_f64_e32 v[16:17], v[12:13]
	v_fma_f64 v[12:13], v[16:17], s[6:7], |v[18:19]|
	v_mul_f64 v[14:15], v[16:17], s[20:21]
	s_delay_alu instid0(VALU_DEP_2) | instskip(NEXT) | instid1(VALU_DEP_2)
	v_fma_f64 v[28:29], v[16:17], s[20:21], v[12:13]
	v_add_f64 v[26:27], v[12:13], v[14:15]
	s_delay_alu instid0(VALU_DEP_1) | instskip(NEXT) | instid1(VALU_DEP_3)
	v_add_f64 v[12:13], v[12:13], -v[26:27]
	v_add_f64 v[26:27], v[26:27], -v[28:29]
	s_delay_alu instid0(VALU_DEP_2) | instskip(SKIP_1) | instid1(VALU_DEP_2)
	v_add_f64 v[12:13], v[12:13], v[14:15]
	v_fma_f64 v[14:15], v[16:17], s[8:9], v[14:15]
	v_add_f64 v[12:13], v[26:27], v[12:13]
	s_delay_alu instid0(VALU_DEP_1) | instskip(NEXT) | instid1(VALU_DEP_1)
	v_add_f64 v[12:13], v[12:13], -v[14:15]
	v_fma_f64 v[14:15], v[16:17], s[22:23], v[12:13]
	s_delay_alu instid0(VALU_DEP_1) | instskip(NEXT) | instid1(VALU_DEP_1)
	v_add_f64 v[12:13], v[28:29], v[14:15]
	v_add_f64 v[26:27], v[12:13], -v[28:29]
	v_cvt_i32_f64_e32 v28, v[16:17]
	s_delay_alu instid0(VALU_DEP_2)
	v_add_f64 v[14:15], v[14:15], -v[26:27]
.LBB138_281:                            ;   in Loop: Header=BB138_201 Depth=1
	s_or_b32 exec_lo, exec_lo, s0
                                        ; implicit-def: $vgpr29
                                        ; implicit-def: $vgpr16_vgpr17
                                        ; implicit-def: $vgpr26_vgpr27
	s_and_saveexec_b32 s0, s1
	s_delay_alu instid0(SALU_CYCLE_1)
	s_xor_b32 s1, exec_lo, s0
	s_cbranch_execz .LBB138_283
; %bb.282:                              ;   in Loop: Header=BB138_201 Depth=1
	v_ldexp_f64 v[16:17], |v[18:19]|, 0xffffff80
	v_cmp_le_f64_e64 vcc_lo, 0x7b000000, |v[18:19]|
	v_trig_preop_f64 v[26:27], |v[18:19]|, 0
	v_and_b32_e32 v21, 0x7fffffff, v19
	v_trig_preop_f64 v[29:30], |v[18:19]|, 1
	v_trig_preop_f64 v[39:40], |v[18:19]|, 2
	s_mov_b32 s4, s6
	s_mov_b32 s17, s9
	v_dual_cndmask_b32 v16, v18, v16 :: v_dual_cndmask_b32 v17, v21, v17
	s_delay_alu instid0(VALU_DEP_1) | instskip(NEXT) | instid1(VALU_DEP_4)
	v_mul_f64 v[31:32], v[26:27], v[16:17]
	v_mul_f64 v[33:34], v[29:30], v[16:17]
	s_delay_alu instid0(VALU_DEP_2) | instskip(NEXT) | instid1(VALU_DEP_2)
	v_fma_f64 v[26:27], v[26:27], v[16:17], -v[31:32]
	v_fma_f64 v[29:30], v[29:30], v[16:17], -v[33:34]
	s_delay_alu instid0(VALU_DEP_2) | instskip(NEXT) | instid1(VALU_DEP_1)
	v_add_f64 v[35:36], v[33:34], v[26:27]
	v_add_f64 v[37:38], v[35:36], -v[33:34]
	v_add_f64 v[43:44], v[31:32], v[35:36]
	s_delay_alu instid0(VALU_DEP_2) | instskip(SKIP_1) | instid1(VALU_DEP_3)
	v_add_f64 v[41:42], v[35:36], -v[37:38]
	v_add_f64 v[26:27], v[26:27], -v[37:38]
	v_ldexp_f64 v[37:38], v[43:44], -2
	v_add_f64 v[31:32], v[43:44], -v[31:32]
	s_delay_alu instid0(VALU_DEP_4) | instskip(NEXT) | instid1(VALU_DEP_3)
	v_add_f64 v[33:34], v[33:34], -v[41:42]
	v_cmp_neq_f64_e64 vcc_lo, 0x7ff00000, |v[37:38]|
	s_delay_alu instid0(VALU_DEP_3) | instskip(NEXT) | instid1(VALU_DEP_3)
	v_add_f64 v[31:32], v[35:36], -v[31:32]
	v_add_f64 v[26:27], v[26:27], v[33:34]
	v_fract_f64_e32 v[33:34], v[37:38]
	s_delay_alu instid0(VALU_DEP_1) | instskip(SKIP_1) | instid1(VALU_DEP_3)
	v_cndmask_b32_e32 v34, 0, v34, vcc_lo
	v_mul_f64 v[45:46], v[39:40], v[16:17]
	v_cndmask_b32_e32 v33, 0, v33, vcc_lo
	s_delay_alu instid0(VALU_DEP_1) | instskip(NEXT) | instid1(VALU_DEP_3)
	v_ldexp_f64 v[33:34], v[33:34], 2
	v_add_f64 v[41:42], v[45:46], v[29:30]
	v_fma_f64 v[16:17], v[39:40], v[16:17], -v[45:46]
	s_delay_alu instid0(VALU_DEP_2) | instskip(NEXT) | instid1(VALU_DEP_1)
	v_add_f64 v[35:36], v[41:42], v[26:27]
	v_add_f64 v[37:38], v[31:32], v[35:36]
	v_add_f64 v[47:48], v[35:36], -v[41:42]
	s_delay_alu instid0(VALU_DEP_2) | instskip(NEXT) | instid1(VALU_DEP_2)
	v_add_f64 v[43:44], v[37:38], v[33:34]
	v_add_f64 v[53:54], v[35:36], -v[47:48]
	v_add_f64 v[26:27], v[26:27], -v[47:48]
	;; [unrolled: 1-line block ×3, first 2 shown]
	s_delay_alu instid0(VALU_DEP_4) | instskip(SKIP_2) | instid1(VALU_DEP_2)
	v_cmp_gt_f64_e32 vcc_lo, 0, v[43:44]
	v_add_f64 v[43:44], v[41:42], -v[45:46]
	v_cndmask_b32_e64 v21, 0, 0x40100000, vcc_lo
	v_add_f64 v[51:52], v[41:42], -v[43:44]
	v_add_f64 v[29:30], v[29:30], -v[43:44]
	;; [unrolled: 1-line block ×3, first 2 shown]
	s_delay_alu instid0(VALU_DEP_4) | instskip(NEXT) | instid1(VALU_DEP_4)
	v_add_f64 v[33:34], v[33:34], v[20:21]
	v_add_f64 v[43:44], v[45:46], -v[51:52]
	s_delay_alu instid0(VALU_DEP_3) | instskip(NEXT) | instid1(VALU_DEP_3)
	v_add_f64 v[26:27], v[26:27], v[41:42]
	v_add_f64 v[49:50], v[37:38], v[33:34]
	s_delay_alu instid0(VALU_DEP_3) | instskip(NEXT) | instid1(VALU_DEP_2)
	v_add_f64 v[29:30], v[29:30], v[43:44]
	v_cvt_i32_f64_e32 v21, v[49:50]
	s_delay_alu instid0(VALU_DEP_2) | instskip(SKIP_1) | instid1(VALU_DEP_3)
	v_add_f64 v[26:27], v[29:30], v[26:27]
	v_add_f64 v[29:30], v[35:36], -v[31:32]
	v_cvt_f64_i32_e32 v[47:48], v21
	s_delay_alu instid0(VALU_DEP_3) | instskip(NEXT) | instid1(VALU_DEP_2)
	v_add_f64 v[16:17], v[16:17], v[26:27]
	v_add_f64 v[33:34], v[33:34], -v[47:48]
	s_delay_alu instid0(VALU_DEP_2) | instskip(NEXT) | instid1(VALU_DEP_2)
	v_add_f64 v[16:17], v[29:30], v[16:17]
	v_add_f64 v[39:40], v[37:38], v[33:34]
	s_delay_alu instid0(VALU_DEP_1) | instskip(SKIP_1) | instid1(VALU_DEP_2)
	v_add_f64 v[26:27], v[39:40], -v[33:34]
	v_cmp_le_f64_e32 vcc_lo, 0.5, v[39:40]
	v_add_f64 v[26:27], v[37:38], -v[26:27]
	v_add_co_ci_u32_e64 v29, s0, 0, v21, vcc_lo
	v_cndmask_b32_e64 v21, 0, 0x3ff00000, vcc_lo
	s_delay_alu instid0(VALU_DEP_3) | instskip(NEXT) | instid1(VALU_DEP_2)
	v_add_f64 v[16:17], v[16:17], v[26:27]
	v_add_f64 v[26:27], v[39:40], -v[20:21]
	s_delay_alu instid0(VALU_DEP_1) | instskip(NEXT) | instid1(VALU_DEP_1)
	v_add_f64 v[30:31], v[26:27], v[16:17]
	v_mul_f64 v[32:33], v[30:31], s[4:5]
	v_add_f64 v[26:27], v[30:31], -v[26:27]
	s_delay_alu instid0(VALU_DEP_2) | instskip(NEXT) | instid1(VALU_DEP_2)
	v_fma_f64 v[34:35], v[30:31], s[4:5], -v[32:33]
	v_add_f64 v[16:17], v[16:17], -v[26:27]
	s_delay_alu instid0(VALU_DEP_2) | instskip(NEXT) | instid1(VALU_DEP_1)
	v_fma_f64 v[26:27], v[30:31], s[16:17], v[34:35]
	v_fma_f64 v[26:27], v[16:17], s[4:5], v[26:27]
	s_delay_alu instid0(VALU_DEP_1) | instskip(NEXT) | instid1(VALU_DEP_1)
	v_add_f64 v[16:17], v[32:33], v[26:27]
	v_add_f64 v[30:31], v[16:17], -v[32:33]
	s_delay_alu instid0(VALU_DEP_1)
	v_add_f64 v[26:27], v[26:27], -v[30:31]
	s_and_not1_saveexec_b32 s0, s1
	s_cbranch_execnz .LBB138_284
	s_branch .LBB138_285
.LBB138_283:                            ;   in Loop: Header=BB138_201 Depth=1
	s_and_not1_saveexec_b32 s0, s1
	s_cbranch_execz .LBB138_285
.LBB138_284:                            ;   in Loop: Header=BB138_201 Depth=1
	v_mul_f64 v[16:17], |v[18:19]|, s[18:19]
	s_mov_b32 s8, s20
	s_delay_alu instid0(VALU_DEP_1) | instskip(NEXT) | instid1(VALU_DEP_1)
	v_rndne_f64_e32 v[29:30], v[16:17]
	v_fma_f64 v[16:17], v[29:30], s[6:7], |v[18:19]|
	v_mul_f64 v[26:27], v[29:30], s[20:21]
	s_delay_alu instid0(VALU_DEP_2) | instskip(NEXT) | instid1(VALU_DEP_2)
	v_fma_f64 v[33:34], v[29:30], s[20:21], v[16:17]
	v_add_f64 v[31:32], v[16:17], v[26:27]
	s_delay_alu instid0(VALU_DEP_1) | instskip(NEXT) | instid1(VALU_DEP_3)
	v_add_f64 v[16:17], v[16:17], -v[31:32]
	v_add_f64 v[31:32], v[31:32], -v[33:34]
	s_delay_alu instid0(VALU_DEP_2) | instskip(SKIP_1) | instid1(VALU_DEP_2)
	v_add_f64 v[16:17], v[16:17], v[26:27]
	v_fma_f64 v[26:27], v[29:30], s[8:9], v[26:27]
	v_add_f64 v[16:17], v[31:32], v[16:17]
	s_delay_alu instid0(VALU_DEP_1) | instskip(NEXT) | instid1(VALU_DEP_1)
	v_add_f64 v[16:17], v[16:17], -v[26:27]
	v_fma_f64 v[26:27], v[29:30], s[22:23], v[16:17]
	v_cvt_i32_f64_e32 v29, v[29:30]
	s_delay_alu instid0(VALU_DEP_2) | instskip(NEXT) | instid1(VALU_DEP_1)
	v_add_f64 v[16:17], v[33:34], v[26:27]
	v_add_f64 v[31:32], v[16:17], -v[33:34]
	s_delay_alu instid0(VALU_DEP_1)
	v_add_f64 v[26:27], v[26:27], -v[31:32]
.LBB138_285:                            ;   in Loop: Header=BB138_201 Depth=1
	s_or_b32 exec_lo, exec_lo, s0
	s_delay_alu instid0(VALU_DEP_3) | instskip(SKIP_1) | instid1(VALU_DEP_3)
	v_mul_f64 v[30:31], v[12:13], v[12:13]
	v_mul_f64 v[32:33], v[16:17], v[16:17]
	v_mul_f64 v[50:51], v[14:15], 0.5
	s_delay_alu instid0(VALU_DEP_4) | instskip(SKIP_4) | instid1(VALU_DEP_2)
	v_mul_f64 v[56:57], v[26:27], 0.5
	s_mov_b32 s72, s42
	v_cmp_class_f64_e64 s0, v[18:19], 0x1f8
	v_and_b32_e32 v21, 1, v28
	v_lshlrev_b32_e32 v18, 30, v29
	v_cmp_eq_u32_e32 vcc_lo, 0, v21
	s_delay_alu instid0(VALU_DEP_2) | instskip(SKIP_1) | instid1(VALU_DEP_2)
	v_xor_b32_e32 v18, v18, v19
	v_and_b32_e32 v21, 1, v29
	v_and_b32_e32 v18, 0x80000000, v18
	s_delay_alu instid0(VALU_DEP_2)
	v_cmp_eq_u32_e64 s1, 0, v21
	v_fma_f64 v[34:35], v[30:31], s[60:61], s[58:59]
	v_fma_f64 v[36:37], v[32:33], s[60:61], s[58:59]
	;; [unrolled: 1-line block ×3, first 2 shown]
	v_mul_f64 v[40:41], v[30:31], 0.5
	v_fma_f64 v[42:43], v[32:33], s[50:51], s[48:49]
	v_mul_f64 v[44:45], v[32:33], 0.5
	v_mul_f64 v[52:53], v[12:13], -v[30:31]
	v_mul_f64 v[58:59], v[16:17], -v[32:33]
	v_fma_f64 v[34:35], v[30:31], v[34:35], s[62:63]
	v_fma_f64 v[36:37], v[32:33], v[36:37], s[62:63]
	;; [unrolled: 1-line block ×3, first 2 shown]
	v_add_f64 v[46:47], -v[40:41], 1.0
	v_fma_f64 v[42:43], v[32:33], v[42:43], s[52:53]
	v_add_f64 v[48:49], -v[44:45], 1.0
	v_fma_f64 v[34:35], v[30:31], v[34:35], s[64:65]
	v_fma_f64 v[36:37], v[32:33], v[36:37], s[64:65]
	;; [unrolled: 1-line block ×3, first 2 shown]
	v_add_f64 v[54:55], -v[46:47], 1.0
	v_fma_f64 v[42:43], v[32:33], v[42:43], s[54:55]
	v_add_f64 v[60:61], -v[48:49], 1.0
	v_fma_f64 v[34:35], v[30:31], v[34:35], s[40:41]
	v_fma_f64 v[36:37], v[32:33], v[36:37], s[40:41]
	;; [unrolled: 1-line block ×3, first 2 shown]
	v_add_f64 v[40:41], v[54:55], -v[40:41]
	v_fma_f64 v[42:43], v[32:33], v[42:43], s[56:57]
	v_add_f64 v[44:45], v[60:61], -v[44:45]
	v_fma_f64 v[34:35], v[52:53], v[34:35], v[50:51]
	v_fma_f64 v[36:37], v[58:59], v[36:37], v[56:57]
	v_mul_f64 v[50:51], v[30:31], v[30:31]
	v_fma_f64 v[38:39], v[30:31], v[38:39], s[42:43]
	v_fma_f64 v[40:41], v[12:13], -v[14:15], v[40:41]
	v_fma_f64 v[14:15], v[30:31], v[34:35], -v[14:15]
	v_mul_f64 v[30:31], v[32:33], v[32:33]
	v_fma_f64 v[34:35], v[32:33], v[42:43], s[42:43]
	v_fma_f64 v[42:43], v[16:17], -v[26:27], v[44:45]
	v_fma_f64 v[26:27], v[32:33], v[36:37], -v[26:27]
	v_fma_f64 v[32:33], v[50:51], v[38:39], v[40:41]
	v_fma_f64 v[14:15], v[52:53], s[72:73], v[14:15]
	s_delay_alu instid0(VALU_DEP_4) | instskip(NEXT) | instid1(VALU_DEP_4)
	v_fma_f64 v[30:31], v[30:31], v[34:35], v[42:43]
	v_fma_f64 v[26:27], v[58:59], s[72:73], v[26:27]
	s_delay_alu instid0(VALU_DEP_4) | instskip(NEXT) | instid1(VALU_DEP_4)
	v_add_f64 v[32:33], v[46:47], v[32:33]
	v_add_f64 v[12:13], v[12:13], -v[14:15]
	s_delay_alu instid0(VALU_DEP_4) | instskip(NEXT) | instid1(VALU_DEP_4)
	v_add_f64 v[14:15], v[48:49], v[30:31]
	v_add_f64 v[16:17], v[16:17], -v[26:27]
	s_delay_alu instid0(VALU_DEP_3) | instskip(NEXT) | instid1(VALU_DEP_4)
	v_cndmask_b32_e32 v12, v12, v32, vcc_lo
	v_xor_b32_e32 v13, 0x80000000, v13
	v_lshlrev_b32_e32 v26, 30, v28
	s_delay_alu instid0(VALU_DEP_4) | instskip(SKIP_1) | instid1(VALU_DEP_4)
	v_cndmask_b32_e64 v15, v15, v17, s1
	v_cndmask_b32_e64 v14, v14, v16, s1
	v_cndmask_b32_e32 v13, v13, v33, vcc_lo
	s_delay_alu instid0(VALU_DEP_4) | instskip(SKIP_3) | instid1(VALU_DEP_4)
	v_and_b32_e32 v19, 0x80000000, v26
	v_cndmask_b32_e64 v12, 0, v12, s0
	v_xor_b32_e32 v15, v15, v18
	v_cndmask_b32_e64 v14, 0, v14, s0
	v_xor_b32_e32 v13, v13, v19
	s_delay_alu instid0(VALU_DEP_3) | instskip(NEXT) | instid1(VALU_DEP_2)
	v_cndmask_b32_e64 v15, 0x7ff80000, v15, s0
	v_cndmask_b32_e64 v13, 0x7ff80000, v13, s0
.LBB138_286:                            ;   in Loop: Header=BB138_201 Depth=1
	s_or_b32 exec_lo, exec_lo, s2
                                        ; implicit-def: $vgpr16_vgpr17
.LBB138_287:                            ;   in Loop: Header=BB138_201 Depth=1
	s_and_not1_saveexec_b32 s1, s77
	s_cbranch_execz .LBB138_289
; %bb.288:                              ;   in Loop: Header=BB138_201 Depth=1
	v_mul_f64 v[12:13], v[16:17], s[24:25]
	s_mov_b32 s69, s41
	s_mov_b32 s71, s43
	v_cmp_nlt_f64_e32 vcc_lo, 0x40900000, v[16:17]
	v_cmp_ngt_f64_e64 s0, 0xc090cc00, v[16:17]
	s_delay_alu instid0(VALU_DEP_3) | instskip(NEXT) | instid1(VALU_DEP_1)
	v_rndne_f64_e32 v[12:13], v[12:13]
	v_fma_f64 v[14:15], v[12:13], s[12:13], v[16:17]
	v_cvt_i32_f64_e32 v21, v[12:13]
	s_delay_alu instid0(VALU_DEP_2) | instskip(NEXT) | instid1(VALU_DEP_1)
	v_fma_f64 v[14:15], v[12:13], s[14:15], v[14:15]
	v_fma_f64 v[26:27], v[14:15], s[28:29], s[26:27]
	s_delay_alu instid0(VALU_DEP_1) | instskip(NEXT) | instid1(VALU_DEP_1)
	v_fma_f64 v[26:27], v[14:15], v[26:27], s[30:31]
	v_fma_f64 v[26:27], v[14:15], v[26:27], s[34:35]
	s_delay_alu instid0(VALU_DEP_1) | instskip(NEXT) | instid1(VALU_DEP_1)
	v_fma_f64 v[26:27], v[14:15], v[26:27], s[36:37]
	v_fma_f64 v[26:27], v[14:15], v[26:27], s[38:39]
	s_delay_alu instid0(VALU_DEP_1) | instskip(NEXT) | instid1(VALU_DEP_1)
	v_fma_f64 v[26:27], v[14:15], v[26:27], s[68:69]
	v_fma_f64 v[26:27], v[14:15], v[26:27], s[70:71]
	s_delay_alu instid0(VALU_DEP_1) | instskip(NEXT) | instid1(VALU_DEP_1)
	v_fma_f64 v[26:27], v[14:15], v[26:27], s[44:45]
	v_fma_f64 v[26:27], v[14:15], v[26:27], s[46:47]
	s_delay_alu instid0(VALU_DEP_1) | instskip(NEXT) | instid1(VALU_DEP_1)
	v_fma_f64 v[26:27], v[14:15], v[26:27], 1.0
	v_fma_f64 v[12:13], v[14:15], v[26:27], 1.0
	v_dual_mov_b32 v14, v18 :: v_dual_mov_b32 v15, v19
	s_delay_alu instid0(VALU_DEP_2) | instskip(NEXT) | instid1(VALU_DEP_1)
	v_ldexp_f64 v[12:13], v[12:13], v21
	v_cndmask_b32_e32 v13, 0x7ff00000, v13, vcc_lo
	s_and_b32 vcc_lo, s0, vcc_lo
	s_delay_alu instid0(VALU_DEP_2) | instskip(NEXT) | instid1(VALU_DEP_2)
	v_cndmask_b32_e32 v12, 0, v12, vcc_lo
	v_cndmask_b32_e64 v13, 0, v13, s0
.LBB138_289:                            ;   in Loop: Header=BB138_201 Depth=1
	s_or_b32 exec_lo, exec_lo, s1
	s_waitcnt vmcnt(0)
	v_and_b32_e32 v16, 0x7fffffff, v11
                                        ; implicit-def: $vgpr18_vgpr19
	s_mov_b32 s0, exec_lo
	s_delay_alu instid0(VALU_DEP_1) | instskip(NEXT) | instid1(VALU_DEP_1)
	v_or_b32_e32 v17, v16, v10
	v_cmpx_ne_u32_e32 0, v17
	s_xor_b32 s77, exec_lo, s0
	s_cbranch_execz .LBB138_331
; %bb.290:                              ;   in Loop: Header=BB138_201 Depth=1
	v_and_b32_e32 v21, 0x7fffffff, v9
                                        ; implicit-def: $vgpr18_vgpr19
	s_mov_b32 s0, exec_lo
	s_delay_alu instid0(VALU_DEP_1) | instskip(NEXT) | instid1(VALU_DEP_1)
	v_or_b32_e32 v17, v21, v8
	v_cmpx_ne_u32_e32 0, v17
	s_xor_b32 s78, exec_lo, s0
	s_cbranch_execz .LBB138_320
; %bb.291:                              ;   in Loop: Header=BB138_201 Depth=1
                                        ; implicit-def: $vgpr18_vgpr19
	s_mov_b32 s0, exec_lo
	v_cmpx_gt_u32_e32 0x7ff00000, v16
	s_xor_b32 s79, exec_lo, s0
	s_cbranch_execz .LBB138_313
; %bb.292:                              ;   in Loop: Header=BB138_201 Depth=1
	v_add_nc_u32_e32 v16, 0xbf79d1be, v9
                                        ; implicit-def: $vgpr18_vgpr19
	s_mov_b32 s0, exec_lo
	s_delay_alu instid0(VALU_DEP_1)
	v_cmpx_lt_u32_e32 0x108aa2, v16
	s_xor_b32 s80, exec_lo, s0
	s_cbranch_execz .LBB138_302
; %bb.293:                              ;   in Loop: Header=BB138_201 Depth=1
	v_cmp_ngt_f64_e64 s1, 0x41d00000, |v[10:11]|
                                        ; implicit-def: $vgpr30
                                        ; implicit-def: $vgpr16_vgpr17
                                        ; implicit-def: $vgpr18_vgpr19
	s_delay_alu instid0(VALU_DEP_1) | instskip(NEXT) | instid1(SALU_CYCLE_1)
	s_and_saveexec_b32 s0, s1
	s_xor_b32 s2, exec_lo, s0
	s_cbranch_execz .LBB138_295
; %bb.294:                              ;   in Loop: Header=BB138_201 Depth=1
	v_ldexp_f64 v[16:17], |v[10:11]|, 0xffffff80
	v_cmp_le_f64_e64 vcc_lo, 0x7b000000, |v[10:11]|
	v_trig_preop_f64 v[18:19], |v[10:11]|, 0
	v_and_b32_e32 v21, 0x7fffffff, v11
	v_trig_preop_f64 v[26:27], |v[10:11]|, 1
	v_trig_preop_f64 v[36:37], |v[10:11]|, 2
	s_mov_b32 s4, s6
	s_mov_b32 s17, s9
	v_dual_cndmask_b32 v16, v10, v16 :: v_dual_cndmask_b32 v17, v21, v17
	s_delay_alu instid0(VALU_DEP_1) | instskip(NEXT) | instid1(VALU_DEP_4)
	v_mul_f64 v[28:29], v[18:19], v[16:17]
	v_mul_f64 v[30:31], v[26:27], v[16:17]
	s_delay_alu instid0(VALU_DEP_2) | instskip(NEXT) | instid1(VALU_DEP_2)
	v_fma_f64 v[18:19], v[18:19], v[16:17], -v[28:29]
	v_fma_f64 v[26:27], v[26:27], v[16:17], -v[30:31]
	s_delay_alu instid0(VALU_DEP_2) | instskip(NEXT) | instid1(VALU_DEP_1)
	v_add_f64 v[32:33], v[30:31], v[18:19]
	v_add_f64 v[34:35], v[32:33], -v[30:31]
	v_add_f64 v[40:41], v[28:29], v[32:33]
	s_delay_alu instid0(VALU_DEP_2) | instskip(SKIP_1) | instid1(VALU_DEP_3)
	v_add_f64 v[38:39], v[32:33], -v[34:35]
	v_add_f64 v[18:19], v[18:19], -v[34:35]
	v_ldexp_f64 v[34:35], v[40:41], -2
	v_add_f64 v[28:29], v[40:41], -v[28:29]
	s_delay_alu instid0(VALU_DEP_4) | instskip(NEXT) | instid1(VALU_DEP_3)
	v_add_f64 v[30:31], v[30:31], -v[38:39]
	v_cmp_neq_f64_e64 vcc_lo, 0x7ff00000, |v[34:35]|
	s_delay_alu instid0(VALU_DEP_3) | instskip(NEXT) | instid1(VALU_DEP_3)
	v_add_f64 v[28:29], v[32:33], -v[28:29]
	v_add_f64 v[18:19], v[18:19], v[30:31]
	v_fract_f64_e32 v[30:31], v[34:35]
	s_delay_alu instid0(VALU_DEP_1) | instskip(SKIP_1) | instid1(VALU_DEP_3)
	v_cndmask_b32_e32 v30, 0, v30, vcc_lo
	v_mul_f64 v[42:43], v[36:37], v[16:17]
	v_cndmask_b32_e32 v31, 0, v31, vcc_lo
	s_delay_alu instid0(VALU_DEP_1) | instskip(NEXT) | instid1(VALU_DEP_3)
	v_ldexp_f64 v[30:31], v[30:31], 2
	v_add_f64 v[38:39], v[42:43], v[26:27]
	v_fma_f64 v[16:17], v[36:37], v[16:17], -v[42:43]
	s_delay_alu instid0(VALU_DEP_2) | instskip(NEXT) | instid1(VALU_DEP_1)
	v_add_f64 v[32:33], v[38:39], v[18:19]
	v_add_f64 v[34:35], v[28:29], v[32:33]
	v_add_f64 v[44:45], v[32:33], -v[38:39]
	s_delay_alu instid0(VALU_DEP_2) | instskip(NEXT) | instid1(VALU_DEP_2)
	v_add_f64 v[40:41], v[34:35], v[30:31]
	v_add_f64 v[50:51], v[32:33], -v[44:45]
	v_add_f64 v[18:19], v[18:19], -v[44:45]
	;; [unrolled: 1-line block ×3, first 2 shown]
	s_delay_alu instid0(VALU_DEP_4) | instskip(SKIP_1) | instid1(VALU_DEP_3)
	v_cmp_gt_f64_e32 vcc_lo, 0, v[40:41]
	v_add_f64 v[40:41], v[38:39], -v[42:43]
	v_add_f64 v[28:29], v[32:33], -v[28:29]
	v_cndmask_b32_e64 v21, 0, 0x40100000, vcc_lo
	s_delay_alu instid0(VALU_DEP_3) | instskip(SKIP_2) | instid1(VALU_DEP_4)
	v_add_f64 v[48:49], v[38:39], -v[40:41]
	v_add_f64 v[26:27], v[26:27], -v[40:41]
	;; [unrolled: 1-line block ×3, first 2 shown]
	v_add_f64 v[30:31], v[30:31], v[20:21]
	s_delay_alu instid0(VALU_DEP_4) | instskip(NEXT) | instid1(VALU_DEP_3)
	v_add_f64 v[40:41], v[42:43], -v[48:49]
	v_add_f64 v[18:19], v[18:19], v[38:39]
	s_delay_alu instid0(VALU_DEP_3) | instskip(NEXT) | instid1(VALU_DEP_3)
	v_add_f64 v[46:47], v[34:35], v[30:31]
	v_add_f64 v[26:27], v[26:27], v[40:41]
	s_delay_alu instid0(VALU_DEP_2) | instskip(NEXT) | instid1(VALU_DEP_2)
	v_cvt_i32_f64_e32 v21, v[46:47]
	v_add_f64 v[18:19], v[26:27], v[18:19]
	s_delay_alu instid0(VALU_DEP_2) | instskip(NEXT) | instid1(VALU_DEP_2)
	v_cvt_f64_i32_e32 v[44:45], v21
	v_add_f64 v[16:17], v[16:17], v[18:19]
	s_delay_alu instid0(VALU_DEP_2) | instskip(NEXT) | instid1(VALU_DEP_2)
	v_add_f64 v[30:31], v[30:31], -v[44:45]
	v_add_f64 v[16:17], v[28:29], v[16:17]
	s_delay_alu instid0(VALU_DEP_2) | instskip(NEXT) | instid1(VALU_DEP_1)
	v_add_f64 v[26:27], v[34:35], v[30:31]
	v_add_f64 v[18:19], v[26:27], -v[30:31]
	v_cmp_le_f64_e32 vcc_lo, 0.5, v[26:27]
	s_delay_alu instid0(VALU_DEP_2) | instskip(SKIP_2) | instid1(VALU_DEP_3)
	v_add_f64 v[18:19], v[34:35], -v[18:19]
	v_add_co_ci_u32_e64 v30, s0, 0, v21, vcc_lo
	v_cndmask_b32_e64 v21, 0, 0x3ff00000, vcc_lo
	v_add_f64 v[16:17], v[16:17], v[18:19]
	s_delay_alu instid0(VALU_DEP_2) | instskip(NEXT) | instid1(VALU_DEP_1)
	v_add_f64 v[18:19], v[26:27], -v[20:21]
	v_add_f64 v[26:27], v[18:19], v[16:17]
	s_delay_alu instid0(VALU_DEP_1) | instskip(SKIP_1) | instid1(VALU_DEP_2)
	v_mul_f64 v[28:29], v[26:27], s[4:5]
	v_add_f64 v[18:19], v[26:27], -v[18:19]
	v_fma_f64 v[31:32], v[26:27], s[4:5], -v[28:29]
	s_delay_alu instid0(VALU_DEP_2) | instskip(NEXT) | instid1(VALU_DEP_2)
	v_add_f64 v[16:17], v[16:17], -v[18:19]
	v_fma_f64 v[18:19], v[26:27], s[16:17], v[31:32]
	s_delay_alu instid0(VALU_DEP_1) | instskip(NEXT) | instid1(VALU_DEP_1)
	v_fma_f64 v[18:19], v[16:17], s[4:5], v[18:19]
	v_add_f64 v[16:17], v[28:29], v[18:19]
	s_delay_alu instid0(VALU_DEP_1) | instskip(NEXT) | instid1(VALU_DEP_1)
	v_add_f64 v[26:27], v[16:17], -v[28:29]
	v_add_f64 v[18:19], v[18:19], -v[26:27]
	s_and_not1_saveexec_b32 s0, s2
	s_cbranch_execz .LBB138_297
	s_branch .LBB138_296
.LBB138_295:                            ;   in Loop: Header=BB138_201 Depth=1
	s_and_not1_saveexec_b32 s0, s2
	s_cbranch_execz .LBB138_297
.LBB138_296:                            ;   in Loop: Header=BB138_201 Depth=1
	v_mul_f64 v[16:17], |v[10:11]|, s[18:19]
	s_mov_b32 s8, s20
	s_delay_alu instid0(VALU_DEP_1) | instskip(NEXT) | instid1(VALU_DEP_1)
	v_rndne_f64_e32 v[26:27], v[16:17]
	v_fma_f64 v[16:17], v[26:27], s[6:7], |v[10:11]|
	v_mul_f64 v[18:19], v[26:27], s[20:21]
	s_delay_alu instid0(VALU_DEP_2) | instskip(NEXT) | instid1(VALU_DEP_2)
	v_fma_f64 v[30:31], v[26:27], s[20:21], v[16:17]
	v_add_f64 v[28:29], v[16:17], v[18:19]
	s_delay_alu instid0(VALU_DEP_1) | instskip(NEXT) | instid1(VALU_DEP_3)
	v_add_f64 v[16:17], v[16:17], -v[28:29]
	v_add_f64 v[28:29], v[28:29], -v[30:31]
	s_delay_alu instid0(VALU_DEP_2) | instskip(SKIP_1) | instid1(VALU_DEP_2)
	v_add_f64 v[16:17], v[16:17], v[18:19]
	v_fma_f64 v[18:19], v[26:27], s[8:9], v[18:19]
	v_add_f64 v[16:17], v[28:29], v[16:17]
	s_delay_alu instid0(VALU_DEP_1) | instskip(NEXT) | instid1(VALU_DEP_1)
	v_add_f64 v[16:17], v[16:17], -v[18:19]
	v_fma_f64 v[18:19], v[26:27], s[22:23], v[16:17]
	s_delay_alu instid0(VALU_DEP_1) | instskip(NEXT) | instid1(VALU_DEP_1)
	v_add_f64 v[16:17], v[30:31], v[18:19]
	v_add_f64 v[28:29], v[16:17], -v[30:31]
	v_cvt_i32_f64_e32 v30, v[26:27]
	s_delay_alu instid0(VALU_DEP_2)
	v_add_f64 v[18:19], v[18:19], -v[28:29]
.LBB138_297:                            ;   in Loop: Header=BB138_201 Depth=1
	s_or_b32 exec_lo, exec_lo, s0
                                        ; implicit-def: $vgpr31
                                        ; implicit-def: $vgpr26_vgpr27
                                        ; implicit-def: $vgpr28_vgpr29
	s_and_saveexec_b32 s0, s1
	s_delay_alu instid0(SALU_CYCLE_1)
	s_xor_b32 s1, exec_lo, s0
	s_cbranch_execz .LBB138_299
; %bb.298:                              ;   in Loop: Header=BB138_201 Depth=1
	v_ldexp_f64 v[26:27], |v[10:11]|, 0xffffff80
	v_cmp_le_f64_e64 vcc_lo, 0x7b000000, |v[10:11]|
	v_trig_preop_f64 v[28:29], |v[10:11]|, 0
	v_and_b32_e32 v21, 0x7fffffff, v11
	v_trig_preop_f64 v[31:32], |v[10:11]|, 1
	v_trig_preop_f64 v[41:42], |v[10:11]|, 2
	s_mov_b32 s4, s6
	s_mov_b32 s17, s9
	v_dual_cndmask_b32 v26, v10, v26 :: v_dual_cndmask_b32 v27, v21, v27
	s_delay_alu instid0(VALU_DEP_1) | instskip(NEXT) | instid1(VALU_DEP_4)
	v_mul_f64 v[33:34], v[28:29], v[26:27]
	v_mul_f64 v[35:36], v[31:32], v[26:27]
	s_delay_alu instid0(VALU_DEP_2) | instskip(NEXT) | instid1(VALU_DEP_2)
	v_fma_f64 v[28:29], v[28:29], v[26:27], -v[33:34]
	v_fma_f64 v[31:32], v[31:32], v[26:27], -v[35:36]
	s_delay_alu instid0(VALU_DEP_2) | instskip(NEXT) | instid1(VALU_DEP_1)
	v_add_f64 v[37:38], v[35:36], v[28:29]
	v_add_f64 v[39:40], v[37:38], -v[35:36]
	v_add_f64 v[45:46], v[33:34], v[37:38]
	s_delay_alu instid0(VALU_DEP_2) | instskip(SKIP_1) | instid1(VALU_DEP_3)
	v_add_f64 v[43:44], v[37:38], -v[39:40]
	v_add_f64 v[28:29], v[28:29], -v[39:40]
	v_ldexp_f64 v[39:40], v[45:46], -2
	v_add_f64 v[33:34], v[45:46], -v[33:34]
	s_delay_alu instid0(VALU_DEP_4) | instskip(NEXT) | instid1(VALU_DEP_3)
	v_add_f64 v[35:36], v[35:36], -v[43:44]
	v_cmp_neq_f64_e64 vcc_lo, 0x7ff00000, |v[39:40]|
	s_delay_alu instid0(VALU_DEP_3) | instskip(NEXT) | instid1(VALU_DEP_3)
	v_add_f64 v[33:34], v[37:38], -v[33:34]
	v_add_f64 v[28:29], v[28:29], v[35:36]
	v_fract_f64_e32 v[35:36], v[39:40]
	s_delay_alu instid0(VALU_DEP_1) | instskip(SKIP_1) | instid1(VALU_DEP_3)
	v_cndmask_b32_e32 v36, 0, v36, vcc_lo
	v_mul_f64 v[47:48], v[41:42], v[26:27]
	v_cndmask_b32_e32 v35, 0, v35, vcc_lo
	s_delay_alu instid0(VALU_DEP_1) | instskip(NEXT) | instid1(VALU_DEP_3)
	v_ldexp_f64 v[35:36], v[35:36], 2
	v_add_f64 v[43:44], v[47:48], v[31:32]
	v_fma_f64 v[26:27], v[41:42], v[26:27], -v[47:48]
	s_delay_alu instid0(VALU_DEP_2) | instskip(NEXT) | instid1(VALU_DEP_1)
	v_add_f64 v[37:38], v[43:44], v[28:29]
	v_add_f64 v[39:40], v[33:34], v[37:38]
	v_add_f64 v[49:50], v[37:38], -v[43:44]
	s_delay_alu instid0(VALU_DEP_2) | instskip(NEXT) | instid1(VALU_DEP_2)
	v_add_f64 v[45:46], v[39:40], v[35:36]
	v_add_f64 v[55:56], v[37:38], -v[49:50]
	v_add_f64 v[28:29], v[28:29], -v[49:50]
	;; [unrolled: 1-line block ×3, first 2 shown]
	s_delay_alu instid0(VALU_DEP_4) | instskip(SKIP_2) | instid1(VALU_DEP_2)
	v_cmp_gt_f64_e32 vcc_lo, 0, v[45:46]
	v_add_f64 v[45:46], v[43:44], -v[47:48]
	v_cndmask_b32_e64 v21, 0, 0x40100000, vcc_lo
	v_add_f64 v[53:54], v[43:44], -v[45:46]
	v_add_f64 v[31:32], v[31:32], -v[45:46]
	v_add_f64 v[43:44], v[43:44], -v[55:56]
	s_delay_alu instid0(VALU_DEP_4) | instskip(NEXT) | instid1(VALU_DEP_4)
	v_add_f64 v[35:36], v[35:36], v[20:21]
	v_add_f64 v[45:46], v[47:48], -v[53:54]
	s_delay_alu instid0(VALU_DEP_3) | instskip(NEXT) | instid1(VALU_DEP_3)
	v_add_f64 v[28:29], v[28:29], v[43:44]
	v_add_f64 v[51:52], v[39:40], v[35:36]
	s_delay_alu instid0(VALU_DEP_3) | instskip(NEXT) | instid1(VALU_DEP_2)
	v_add_f64 v[31:32], v[31:32], v[45:46]
	v_cvt_i32_f64_e32 v21, v[51:52]
	s_delay_alu instid0(VALU_DEP_2) | instskip(SKIP_1) | instid1(VALU_DEP_3)
	v_add_f64 v[28:29], v[31:32], v[28:29]
	v_add_f64 v[31:32], v[37:38], -v[33:34]
	v_cvt_f64_i32_e32 v[49:50], v21
	s_delay_alu instid0(VALU_DEP_3) | instskip(NEXT) | instid1(VALU_DEP_2)
	v_add_f64 v[26:27], v[26:27], v[28:29]
	v_add_f64 v[35:36], v[35:36], -v[49:50]
	s_delay_alu instid0(VALU_DEP_2) | instskip(NEXT) | instid1(VALU_DEP_2)
	v_add_f64 v[26:27], v[31:32], v[26:27]
	v_add_f64 v[41:42], v[39:40], v[35:36]
	s_delay_alu instid0(VALU_DEP_1) | instskip(SKIP_1) | instid1(VALU_DEP_2)
	v_add_f64 v[28:29], v[41:42], -v[35:36]
	v_cmp_le_f64_e32 vcc_lo, 0.5, v[41:42]
	v_add_f64 v[28:29], v[39:40], -v[28:29]
	v_add_co_ci_u32_e64 v31, s0, 0, v21, vcc_lo
	v_cndmask_b32_e64 v21, 0, 0x3ff00000, vcc_lo
	s_delay_alu instid0(VALU_DEP_3) | instskip(NEXT) | instid1(VALU_DEP_2)
	v_add_f64 v[26:27], v[26:27], v[28:29]
	v_add_f64 v[28:29], v[41:42], -v[20:21]
	s_delay_alu instid0(VALU_DEP_1) | instskip(NEXT) | instid1(VALU_DEP_1)
	v_add_f64 v[32:33], v[28:29], v[26:27]
	v_mul_f64 v[34:35], v[32:33], s[4:5]
	v_add_f64 v[28:29], v[32:33], -v[28:29]
	s_delay_alu instid0(VALU_DEP_2) | instskip(NEXT) | instid1(VALU_DEP_2)
	v_fma_f64 v[36:37], v[32:33], s[4:5], -v[34:35]
	v_add_f64 v[26:27], v[26:27], -v[28:29]
	s_delay_alu instid0(VALU_DEP_2) | instskip(NEXT) | instid1(VALU_DEP_1)
	v_fma_f64 v[28:29], v[32:33], s[16:17], v[36:37]
	v_fma_f64 v[28:29], v[26:27], s[4:5], v[28:29]
	s_delay_alu instid0(VALU_DEP_1) | instskip(NEXT) | instid1(VALU_DEP_1)
	v_add_f64 v[26:27], v[34:35], v[28:29]
	v_add_f64 v[32:33], v[26:27], -v[34:35]
	s_delay_alu instid0(VALU_DEP_1)
	v_add_f64 v[28:29], v[28:29], -v[32:33]
	s_and_not1_saveexec_b32 s0, s1
	s_cbranch_execnz .LBB138_300
	s_branch .LBB138_301
.LBB138_299:                            ;   in Loop: Header=BB138_201 Depth=1
	s_and_not1_saveexec_b32 s0, s1
	s_cbranch_execz .LBB138_301
.LBB138_300:                            ;   in Loop: Header=BB138_201 Depth=1
	v_mul_f64 v[26:27], |v[10:11]|, s[18:19]
	s_mov_b32 s8, s20
	s_delay_alu instid0(VALU_DEP_1) | instskip(NEXT) | instid1(VALU_DEP_1)
	v_rndne_f64_e32 v[31:32], v[26:27]
	v_fma_f64 v[26:27], v[31:32], s[6:7], |v[10:11]|
	v_mul_f64 v[28:29], v[31:32], s[20:21]
	s_delay_alu instid0(VALU_DEP_2) | instskip(NEXT) | instid1(VALU_DEP_2)
	v_fma_f64 v[35:36], v[31:32], s[20:21], v[26:27]
	v_add_f64 v[33:34], v[26:27], v[28:29]
	s_delay_alu instid0(VALU_DEP_1) | instskip(NEXT) | instid1(VALU_DEP_3)
	v_add_f64 v[26:27], v[26:27], -v[33:34]
	v_add_f64 v[33:34], v[33:34], -v[35:36]
	s_delay_alu instid0(VALU_DEP_2) | instskip(SKIP_1) | instid1(VALU_DEP_2)
	v_add_f64 v[26:27], v[26:27], v[28:29]
	v_fma_f64 v[28:29], v[31:32], s[8:9], v[28:29]
	v_add_f64 v[26:27], v[33:34], v[26:27]
	s_delay_alu instid0(VALU_DEP_1) | instskip(NEXT) | instid1(VALU_DEP_1)
	v_add_f64 v[26:27], v[26:27], -v[28:29]
	v_fma_f64 v[28:29], v[31:32], s[22:23], v[26:27]
	v_cvt_i32_f64_e32 v31, v[31:32]
	s_delay_alu instid0(VALU_DEP_2) | instskip(NEXT) | instid1(VALU_DEP_1)
	v_add_f64 v[26:27], v[35:36], v[28:29]
	v_add_f64 v[33:34], v[26:27], -v[35:36]
	s_delay_alu instid0(VALU_DEP_1)
	v_add_f64 v[28:29], v[28:29], -v[33:34]
.LBB138_301:                            ;   in Loop: Header=BB138_201 Depth=1
	s_or_b32 exec_lo, exec_lo, s0
	v_mul_f64 v[32:33], v[8:9], s[24:25]
	v_mul_f64 v[38:39], v[16:17], v[16:17]
	v_mul_f64 v[40:41], v[26:27], v[26:27]
	s_mov_b32 s69, s41
	s_mov_b32 s71, s43
	s_delay_alu instid0(VALU_DEP_4)
	v_mul_f64 v[58:59], v[18:19], 0.5
	v_mul_f64 v[64:65], v[28:29], 0.5
	s_mov_b32 s72, s42
	v_cmp_nlt_f64_e64 s1, 0x40900000, v[8:9]
	v_cmp_ngt_f64_e64 s2, 0xc090cc00, v[8:9]
	v_cmp_class_f64_e64 s0, v[10:11], 0x1f8
	v_and_b32_e32 v10, 1, v31
	s_delay_alu instid0(VALU_DEP_1)
	v_cmp_eq_u32_e64 s3, 0, v10
	v_rndne_f64_e32 v[32:33], v[32:33]
	v_fma_f64 v[42:43], v[38:39], s[60:61], s[58:59]
	v_fma_f64 v[44:45], v[40:41], s[60:61], s[58:59]
	v_mul_f64 v[48:49], v[38:39], 0.5
	v_fma_f64 v[46:47], v[38:39], s[50:51], s[48:49]
	v_fma_f64 v[50:51], v[40:41], s[50:51], s[48:49]
	v_mul_f64 v[52:53], v[40:41], 0.5
	v_mul_f64 v[60:61], v[16:17], -v[38:39]
	v_mul_f64 v[66:67], v[26:27], -v[40:41]
	v_fma_f64 v[34:35], v[32:33], s[12:13], v[8:9]
	v_fma_f64 v[42:43], v[38:39], v[42:43], s[62:63]
	;; [unrolled: 1-line block ×3, first 2 shown]
	v_add_f64 v[54:55], -v[48:49], 1.0
	v_fma_f64 v[46:47], v[38:39], v[46:47], s[52:53]
	v_fma_f64 v[50:51], v[40:41], v[50:51], s[52:53]
	v_add_f64 v[56:57], -v[52:53], 1.0
	v_cvt_i32_f64_e32 v21, v[32:33]
	v_lshlrev_b32_e32 v8, 30, v31
	s_delay_alu instid0(VALU_DEP_1) | instskip(NEXT) | instid1(VALU_DEP_1)
	v_xor_b32_e32 v8, v8, v11
	v_and_b32_e32 v11, 0x80000000, v8
	v_fma_f64 v[34:35], v[32:33], s[14:15], v[34:35]
	v_fma_f64 v[42:43], v[38:39], v[42:43], s[64:65]
	;; [unrolled: 1-line block ×3, first 2 shown]
	v_add_f64 v[62:63], -v[54:55], 1.0
	v_fma_f64 v[46:47], v[38:39], v[46:47], s[54:55]
	v_fma_f64 v[50:51], v[40:41], v[50:51], s[54:55]
	v_add_f64 v[68:69], -v[56:57], 1.0
	v_fma_f64 v[36:37], v[34:35], s[28:29], s[26:27]
	v_fma_f64 v[42:43], v[38:39], v[42:43], s[40:41]
	;; [unrolled: 1-line block ×3, first 2 shown]
	v_add_f64 v[48:49], v[62:63], -v[48:49]
	v_fma_f64 v[46:47], v[38:39], v[46:47], s[56:57]
	v_fma_f64 v[50:51], v[40:41], v[50:51], s[56:57]
	v_add_f64 v[52:53], v[68:69], -v[52:53]
	v_fma_f64 v[36:37], v[34:35], v[36:37], s[30:31]
	v_fma_f64 v[42:43], v[60:61], v[42:43], v[58:59]
	;; [unrolled: 1-line block ×3, first 2 shown]
	v_fma_f64 v[48:49], v[16:17], -v[18:19], v[48:49]
	v_mul_f64 v[58:59], v[38:39], v[38:39]
	v_fma_f64 v[46:47], v[38:39], v[46:47], s[42:43]
	v_fma_f64 v[36:37], v[34:35], v[36:37], s[34:35]
	v_fma_f64 v[18:19], v[38:39], v[42:43], -v[18:19]
	v_mul_f64 v[38:39], v[40:41], v[40:41]
	v_fma_f64 v[42:43], v[40:41], v[50:51], s[42:43]
	v_fma_f64 v[50:51], v[26:27], -v[28:29], v[52:53]
	v_fma_f64 v[28:29], v[40:41], v[44:45], -v[28:29]
	v_fma_f64 v[40:41], v[58:59], v[46:47], v[48:49]
	v_fma_f64 v[36:37], v[34:35], v[36:37], s[36:37]
	;; [unrolled: 1-line block ×3, first 2 shown]
	s_delay_alu instid0(VALU_DEP_4) | instskip(NEXT) | instid1(VALU_DEP_3)
	v_fma_f64 v[28:29], v[66:67], s[72:73], v[28:29]
	v_fma_f64 v[36:37], v[34:35], v[36:37], s[38:39]
	s_delay_alu instid0(VALU_DEP_3) | instskip(NEXT) | instid1(VALU_DEP_3)
	v_add_f64 v[16:17], v[16:17], -v[18:19]
	v_add_f64 v[26:27], v[26:27], -v[28:29]
	s_delay_alu instid0(VALU_DEP_3) | instskip(NEXT) | instid1(VALU_DEP_3)
	v_fma_f64 v[36:37], v[34:35], v[36:37], s[68:69]
	v_xor_b32_e32 v17, 0x80000000, v17
	s_delay_alu instid0(VALU_DEP_2) | instskip(NEXT) | instid1(VALU_DEP_1)
	v_fma_f64 v[36:37], v[34:35], v[36:37], s[70:71]
	v_fma_f64 v[36:37], v[34:35], v[36:37], s[44:45]
	s_delay_alu instid0(VALU_DEP_1) | instskip(NEXT) | instid1(VALU_DEP_1)
	v_fma_f64 v[36:37], v[34:35], v[36:37], s[46:47]
	v_fma_f64 v[36:37], v[34:35], v[36:37], 1.0
	s_delay_alu instid0(VALU_DEP_1) | instskip(SKIP_2) | instid1(VALU_DEP_3)
	v_fma_f64 v[32:33], v[34:35], v[36:37], 1.0
	v_fma_f64 v[34:35], v[38:39], v[42:43], v[50:51]
	v_add_f64 v[36:37], v[54:55], v[40:41]
	v_ldexp_f64 v[18:19], v[32:33], v21
	s_delay_alu instid0(VALU_DEP_3) | instskip(SKIP_1) | instid1(VALU_DEP_1)
	v_add_f64 v[32:33], v[56:57], v[34:35]
	v_and_b32_e32 v21, 1, v30
	v_cmp_eq_u32_e32 vcc_lo, 0, v21
	v_dual_cndmask_b32 v10, v17, v37 :: v_dual_lshlrev_b32 v9, 30, v30
	v_cndmask_b32_e32 v16, v16, v36, vcc_lo
	s_and_b32 vcc_lo, s2, s1
	s_delay_alu instid0(VALU_DEP_2) | instskip(NEXT) | instid1(VALU_DEP_2)
	v_and_b32_e32 v9, 0x80000000, v9
	v_cndmask_b32_e64 v8, 0, v16, s0
	v_cndmask_b32_e32 v18, 0, v18, vcc_lo
	v_cndmask_b32_e64 v21, v33, v27, s3
	v_cndmask_b32_e64 v19, 0x7ff00000, v19, s1
	;; [unrolled: 1-line block ×3, first 2 shown]
	v_xor_b32_e32 v9, v10, v9
	s_delay_alu instid0(VALU_DEP_4) | instskip(NEXT) | instid1(VALU_DEP_4)
	v_xor_b32_e32 v11, v21, v11
	v_cndmask_b32_e64 v19, 0, v19, s2
	s_delay_alu instid0(VALU_DEP_4) | instskip(NEXT) | instid1(VALU_DEP_4)
	v_cndmask_b32_e64 v10, 0, v17, s0
	v_cndmask_b32_e64 v9, 0x7ff80000, v9, s0
	s_delay_alu instid0(VALU_DEP_4) | instskip(NEXT) | instid1(VALU_DEP_2)
	v_cndmask_b32_e64 v11, 0x7ff80000, v11, s0
	v_mul_f64 v[16:17], v[18:19], v[8:9]
	s_delay_alu instid0(VALU_DEP_2)
	v_mul_f64 v[18:19], v[18:19], v[10:11]
                                        ; implicit-def: $vgpr10_vgpr11
.LBB138_302:                            ;   in Loop: Header=BB138_201 Depth=1
	s_and_not1_saveexec_b32 s80, s80
	s_cbranch_execz .LBB138_312
; %bb.303:                              ;   in Loop: Header=BB138_201 Depth=1
	v_cmp_ngt_f64_e64 s1, 0x41d00000, |v[10:11]|
                                        ; implicit-def: $vgpr30
                                        ; implicit-def: $vgpr16_vgpr17
                                        ; implicit-def: $vgpr18_vgpr19
	s_delay_alu instid0(VALU_DEP_1) | instskip(NEXT) | instid1(SALU_CYCLE_1)
	s_and_saveexec_b32 s0, s1
	s_xor_b32 s2, exec_lo, s0
	s_cbranch_execz .LBB138_305
; %bb.304:                              ;   in Loop: Header=BB138_201 Depth=1
	v_ldexp_f64 v[16:17], |v[10:11]|, 0xffffff80
	v_cmp_le_f64_e64 vcc_lo, 0x7b000000, |v[10:11]|
	v_trig_preop_f64 v[18:19], |v[10:11]|, 0
	v_and_b32_e32 v21, 0x7fffffff, v11
	v_trig_preop_f64 v[26:27], |v[10:11]|, 1
	v_trig_preop_f64 v[36:37], |v[10:11]|, 2
	s_mov_b32 s4, s6
	s_mov_b32 s17, s9
	v_dual_cndmask_b32 v16, v10, v16 :: v_dual_cndmask_b32 v17, v21, v17
	s_delay_alu instid0(VALU_DEP_1) | instskip(NEXT) | instid1(VALU_DEP_4)
	v_mul_f64 v[28:29], v[18:19], v[16:17]
	v_mul_f64 v[30:31], v[26:27], v[16:17]
	s_delay_alu instid0(VALU_DEP_2) | instskip(NEXT) | instid1(VALU_DEP_2)
	v_fma_f64 v[18:19], v[18:19], v[16:17], -v[28:29]
	v_fma_f64 v[26:27], v[26:27], v[16:17], -v[30:31]
	s_delay_alu instid0(VALU_DEP_2) | instskip(NEXT) | instid1(VALU_DEP_1)
	v_add_f64 v[32:33], v[30:31], v[18:19]
	v_add_f64 v[34:35], v[32:33], -v[30:31]
	v_add_f64 v[40:41], v[28:29], v[32:33]
	s_delay_alu instid0(VALU_DEP_2) | instskip(SKIP_1) | instid1(VALU_DEP_3)
	v_add_f64 v[38:39], v[32:33], -v[34:35]
	v_add_f64 v[18:19], v[18:19], -v[34:35]
	v_ldexp_f64 v[34:35], v[40:41], -2
	v_add_f64 v[28:29], v[40:41], -v[28:29]
	s_delay_alu instid0(VALU_DEP_4) | instskip(NEXT) | instid1(VALU_DEP_3)
	v_add_f64 v[30:31], v[30:31], -v[38:39]
	v_cmp_neq_f64_e64 vcc_lo, 0x7ff00000, |v[34:35]|
	s_delay_alu instid0(VALU_DEP_3) | instskip(NEXT) | instid1(VALU_DEP_3)
	v_add_f64 v[28:29], v[32:33], -v[28:29]
	v_add_f64 v[18:19], v[18:19], v[30:31]
	v_fract_f64_e32 v[30:31], v[34:35]
	s_delay_alu instid0(VALU_DEP_1) | instskip(SKIP_1) | instid1(VALU_DEP_3)
	v_cndmask_b32_e32 v30, 0, v30, vcc_lo
	v_mul_f64 v[42:43], v[36:37], v[16:17]
	v_cndmask_b32_e32 v31, 0, v31, vcc_lo
	s_delay_alu instid0(VALU_DEP_1) | instskip(NEXT) | instid1(VALU_DEP_3)
	v_ldexp_f64 v[30:31], v[30:31], 2
	v_add_f64 v[38:39], v[42:43], v[26:27]
	v_fma_f64 v[16:17], v[36:37], v[16:17], -v[42:43]
	s_delay_alu instid0(VALU_DEP_2) | instskip(NEXT) | instid1(VALU_DEP_1)
	v_add_f64 v[32:33], v[38:39], v[18:19]
	v_add_f64 v[34:35], v[28:29], v[32:33]
	v_add_f64 v[44:45], v[32:33], -v[38:39]
	s_delay_alu instid0(VALU_DEP_2) | instskip(NEXT) | instid1(VALU_DEP_2)
	v_add_f64 v[40:41], v[34:35], v[30:31]
	v_add_f64 v[50:51], v[32:33], -v[44:45]
	v_add_f64 v[18:19], v[18:19], -v[44:45]
	;; [unrolled: 1-line block ×3, first 2 shown]
	s_delay_alu instid0(VALU_DEP_4) | instskip(SKIP_1) | instid1(VALU_DEP_3)
	v_cmp_gt_f64_e32 vcc_lo, 0, v[40:41]
	v_add_f64 v[40:41], v[38:39], -v[42:43]
	v_add_f64 v[28:29], v[32:33], -v[28:29]
	v_cndmask_b32_e64 v21, 0, 0x40100000, vcc_lo
	s_delay_alu instid0(VALU_DEP_3) | instskip(SKIP_2) | instid1(VALU_DEP_4)
	v_add_f64 v[48:49], v[38:39], -v[40:41]
	v_add_f64 v[26:27], v[26:27], -v[40:41]
	;; [unrolled: 1-line block ×3, first 2 shown]
	v_add_f64 v[30:31], v[30:31], v[20:21]
	s_delay_alu instid0(VALU_DEP_4) | instskip(NEXT) | instid1(VALU_DEP_3)
	v_add_f64 v[40:41], v[42:43], -v[48:49]
	v_add_f64 v[18:19], v[18:19], v[38:39]
	s_delay_alu instid0(VALU_DEP_3) | instskip(NEXT) | instid1(VALU_DEP_3)
	v_add_f64 v[46:47], v[34:35], v[30:31]
	v_add_f64 v[26:27], v[26:27], v[40:41]
	s_delay_alu instid0(VALU_DEP_2) | instskip(NEXT) | instid1(VALU_DEP_2)
	v_cvt_i32_f64_e32 v21, v[46:47]
	v_add_f64 v[18:19], v[26:27], v[18:19]
	s_delay_alu instid0(VALU_DEP_2) | instskip(NEXT) | instid1(VALU_DEP_2)
	v_cvt_f64_i32_e32 v[44:45], v21
	v_add_f64 v[16:17], v[16:17], v[18:19]
	s_delay_alu instid0(VALU_DEP_2) | instskip(NEXT) | instid1(VALU_DEP_2)
	v_add_f64 v[30:31], v[30:31], -v[44:45]
	v_add_f64 v[16:17], v[28:29], v[16:17]
	s_delay_alu instid0(VALU_DEP_2) | instskip(NEXT) | instid1(VALU_DEP_1)
	v_add_f64 v[26:27], v[34:35], v[30:31]
	v_add_f64 v[18:19], v[26:27], -v[30:31]
	v_cmp_le_f64_e32 vcc_lo, 0.5, v[26:27]
	s_delay_alu instid0(VALU_DEP_2) | instskip(SKIP_2) | instid1(VALU_DEP_3)
	v_add_f64 v[18:19], v[34:35], -v[18:19]
	v_add_co_ci_u32_e64 v30, s0, 0, v21, vcc_lo
	v_cndmask_b32_e64 v21, 0, 0x3ff00000, vcc_lo
	v_add_f64 v[16:17], v[16:17], v[18:19]
	s_delay_alu instid0(VALU_DEP_2) | instskip(NEXT) | instid1(VALU_DEP_1)
	v_add_f64 v[18:19], v[26:27], -v[20:21]
	v_add_f64 v[26:27], v[18:19], v[16:17]
	s_delay_alu instid0(VALU_DEP_1) | instskip(SKIP_1) | instid1(VALU_DEP_2)
	v_mul_f64 v[28:29], v[26:27], s[4:5]
	v_add_f64 v[18:19], v[26:27], -v[18:19]
	v_fma_f64 v[31:32], v[26:27], s[4:5], -v[28:29]
	s_delay_alu instid0(VALU_DEP_2) | instskip(NEXT) | instid1(VALU_DEP_2)
	v_add_f64 v[16:17], v[16:17], -v[18:19]
	v_fma_f64 v[18:19], v[26:27], s[16:17], v[31:32]
	s_delay_alu instid0(VALU_DEP_1) | instskip(NEXT) | instid1(VALU_DEP_1)
	v_fma_f64 v[18:19], v[16:17], s[4:5], v[18:19]
	v_add_f64 v[16:17], v[28:29], v[18:19]
	s_delay_alu instid0(VALU_DEP_1) | instskip(NEXT) | instid1(VALU_DEP_1)
	v_add_f64 v[26:27], v[16:17], -v[28:29]
	v_add_f64 v[18:19], v[18:19], -v[26:27]
	s_and_not1_saveexec_b32 s0, s2
	s_cbranch_execz .LBB138_307
	s_branch .LBB138_306
.LBB138_305:                            ;   in Loop: Header=BB138_201 Depth=1
	s_and_not1_saveexec_b32 s0, s2
	s_cbranch_execz .LBB138_307
.LBB138_306:                            ;   in Loop: Header=BB138_201 Depth=1
	v_mul_f64 v[16:17], |v[10:11]|, s[18:19]
	s_mov_b32 s8, s20
	s_delay_alu instid0(VALU_DEP_1) | instskip(NEXT) | instid1(VALU_DEP_1)
	v_rndne_f64_e32 v[26:27], v[16:17]
	v_fma_f64 v[16:17], v[26:27], s[6:7], |v[10:11]|
	v_mul_f64 v[18:19], v[26:27], s[20:21]
	s_delay_alu instid0(VALU_DEP_2) | instskip(NEXT) | instid1(VALU_DEP_2)
	v_fma_f64 v[30:31], v[26:27], s[20:21], v[16:17]
	v_add_f64 v[28:29], v[16:17], v[18:19]
	s_delay_alu instid0(VALU_DEP_1) | instskip(NEXT) | instid1(VALU_DEP_3)
	v_add_f64 v[16:17], v[16:17], -v[28:29]
	v_add_f64 v[28:29], v[28:29], -v[30:31]
	s_delay_alu instid0(VALU_DEP_2) | instskip(SKIP_1) | instid1(VALU_DEP_2)
	v_add_f64 v[16:17], v[16:17], v[18:19]
	v_fma_f64 v[18:19], v[26:27], s[8:9], v[18:19]
	v_add_f64 v[16:17], v[28:29], v[16:17]
	s_delay_alu instid0(VALU_DEP_1) | instskip(NEXT) | instid1(VALU_DEP_1)
	v_add_f64 v[16:17], v[16:17], -v[18:19]
	v_fma_f64 v[18:19], v[26:27], s[22:23], v[16:17]
	s_delay_alu instid0(VALU_DEP_1) | instskip(NEXT) | instid1(VALU_DEP_1)
	v_add_f64 v[16:17], v[30:31], v[18:19]
	v_add_f64 v[28:29], v[16:17], -v[30:31]
	v_cvt_i32_f64_e32 v30, v[26:27]
	s_delay_alu instid0(VALU_DEP_2)
	v_add_f64 v[18:19], v[18:19], -v[28:29]
.LBB138_307:                            ;   in Loop: Header=BB138_201 Depth=1
	s_or_b32 exec_lo, exec_lo, s0
                                        ; implicit-def: $vgpr31
                                        ; implicit-def: $vgpr26_vgpr27
                                        ; implicit-def: $vgpr28_vgpr29
	s_and_saveexec_b32 s0, s1
	s_delay_alu instid0(SALU_CYCLE_1)
	s_xor_b32 s1, exec_lo, s0
	s_cbranch_execz .LBB138_309
; %bb.308:                              ;   in Loop: Header=BB138_201 Depth=1
	v_ldexp_f64 v[26:27], |v[10:11]|, 0xffffff80
	v_cmp_le_f64_e64 vcc_lo, 0x7b000000, |v[10:11]|
	v_trig_preop_f64 v[28:29], |v[10:11]|, 0
	v_and_b32_e32 v21, 0x7fffffff, v11
	v_trig_preop_f64 v[31:32], |v[10:11]|, 1
	v_trig_preop_f64 v[41:42], |v[10:11]|, 2
	s_mov_b32 s4, s6
	s_mov_b32 s17, s9
	v_dual_cndmask_b32 v26, v10, v26 :: v_dual_cndmask_b32 v27, v21, v27
	s_delay_alu instid0(VALU_DEP_1) | instskip(NEXT) | instid1(VALU_DEP_4)
	v_mul_f64 v[33:34], v[28:29], v[26:27]
	v_mul_f64 v[35:36], v[31:32], v[26:27]
	s_delay_alu instid0(VALU_DEP_2) | instskip(NEXT) | instid1(VALU_DEP_2)
	v_fma_f64 v[28:29], v[28:29], v[26:27], -v[33:34]
	v_fma_f64 v[31:32], v[31:32], v[26:27], -v[35:36]
	s_delay_alu instid0(VALU_DEP_2) | instskip(NEXT) | instid1(VALU_DEP_1)
	v_add_f64 v[37:38], v[35:36], v[28:29]
	v_add_f64 v[39:40], v[37:38], -v[35:36]
	v_add_f64 v[45:46], v[33:34], v[37:38]
	s_delay_alu instid0(VALU_DEP_2) | instskip(SKIP_1) | instid1(VALU_DEP_3)
	v_add_f64 v[43:44], v[37:38], -v[39:40]
	v_add_f64 v[28:29], v[28:29], -v[39:40]
	v_ldexp_f64 v[39:40], v[45:46], -2
	v_add_f64 v[33:34], v[45:46], -v[33:34]
	s_delay_alu instid0(VALU_DEP_4) | instskip(NEXT) | instid1(VALU_DEP_3)
	v_add_f64 v[35:36], v[35:36], -v[43:44]
	v_cmp_neq_f64_e64 vcc_lo, 0x7ff00000, |v[39:40]|
	s_delay_alu instid0(VALU_DEP_3) | instskip(NEXT) | instid1(VALU_DEP_3)
	v_add_f64 v[33:34], v[37:38], -v[33:34]
	v_add_f64 v[28:29], v[28:29], v[35:36]
	v_fract_f64_e32 v[35:36], v[39:40]
	s_delay_alu instid0(VALU_DEP_1) | instskip(SKIP_1) | instid1(VALU_DEP_3)
	v_cndmask_b32_e32 v36, 0, v36, vcc_lo
	v_mul_f64 v[47:48], v[41:42], v[26:27]
	v_cndmask_b32_e32 v35, 0, v35, vcc_lo
	s_delay_alu instid0(VALU_DEP_1) | instskip(NEXT) | instid1(VALU_DEP_3)
	v_ldexp_f64 v[35:36], v[35:36], 2
	v_add_f64 v[43:44], v[47:48], v[31:32]
	v_fma_f64 v[26:27], v[41:42], v[26:27], -v[47:48]
	s_delay_alu instid0(VALU_DEP_2) | instskip(NEXT) | instid1(VALU_DEP_1)
	v_add_f64 v[37:38], v[43:44], v[28:29]
	v_add_f64 v[39:40], v[33:34], v[37:38]
	v_add_f64 v[49:50], v[37:38], -v[43:44]
	s_delay_alu instid0(VALU_DEP_2) | instskip(NEXT) | instid1(VALU_DEP_2)
	v_add_f64 v[45:46], v[39:40], v[35:36]
	v_add_f64 v[55:56], v[37:38], -v[49:50]
	v_add_f64 v[28:29], v[28:29], -v[49:50]
	;; [unrolled: 1-line block ×3, first 2 shown]
	s_delay_alu instid0(VALU_DEP_4) | instskip(SKIP_2) | instid1(VALU_DEP_2)
	v_cmp_gt_f64_e32 vcc_lo, 0, v[45:46]
	v_add_f64 v[45:46], v[43:44], -v[47:48]
	v_cndmask_b32_e64 v21, 0, 0x40100000, vcc_lo
	v_add_f64 v[53:54], v[43:44], -v[45:46]
	v_add_f64 v[31:32], v[31:32], -v[45:46]
	;; [unrolled: 1-line block ×3, first 2 shown]
	s_delay_alu instid0(VALU_DEP_4) | instskip(NEXT) | instid1(VALU_DEP_4)
	v_add_f64 v[35:36], v[35:36], v[20:21]
	v_add_f64 v[45:46], v[47:48], -v[53:54]
	s_delay_alu instid0(VALU_DEP_3) | instskip(NEXT) | instid1(VALU_DEP_3)
	v_add_f64 v[28:29], v[28:29], v[43:44]
	v_add_f64 v[51:52], v[39:40], v[35:36]
	s_delay_alu instid0(VALU_DEP_3) | instskip(NEXT) | instid1(VALU_DEP_2)
	v_add_f64 v[31:32], v[31:32], v[45:46]
	v_cvt_i32_f64_e32 v21, v[51:52]
	s_delay_alu instid0(VALU_DEP_2) | instskip(SKIP_1) | instid1(VALU_DEP_3)
	v_add_f64 v[28:29], v[31:32], v[28:29]
	v_add_f64 v[31:32], v[37:38], -v[33:34]
	v_cvt_f64_i32_e32 v[49:50], v21
	s_delay_alu instid0(VALU_DEP_3) | instskip(NEXT) | instid1(VALU_DEP_2)
	v_add_f64 v[26:27], v[26:27], v[28:29]
	v_add_f64 v[35:36], v[35:36], -v[49:50]
	s_delay_alu instid0(VALU_DEP_2) | instskip(NEXT) | instid1(VALU_DEP_2)
	v_add_f64 v[26:27], v[31:32], v[26:27]
	v_add_f64 v[41:42], v[39:40], v[35:36]
	s_delay_alu instid0(VALU_DEP_1) | instskip(SKIP_1) | instid1(VALU_DEP_2)
	v_add_f64 v[28:29], v[41:42], -v[35:36]
	v_cmp_le_f64_e32 vcc_lo, 0.5, v[41:42]
	v_add_f64 v[28:29], v[39:40], -v[28:29]
	v_add_co_ci_u32_e64 v31, s0, 0, v21, vcc_lo
	v_cndmask_b32_e64 v21, 0, 0x3ff00000, vcc_lo
	s_delay_alu instid0(VALU_DEP_3) | instskip(NEXT) | instid1(VALU_DEP_2)
	v_add_f64 v[26:27], v[26:27], v[28:29]
	v_add_f64 v[28:29], v[41:42], -v[20:21]
	s_delay_alu instid0(VALU_DEP_1) | instskip(NEXT) | instid1(VALU_DEP_1)
	v_add_f64 v[32:33], v[28:29], v[26:27]
	v_mul_f64 v[34:35], v[32:33], s[4:5]
	v_add_f64 v[28:29], v[32:33], -v[28:29]
	s_delay_alu instid0(VALU_DEP_2) | instskip(NEXT) | instid1(VALU_DEP_2)
	v_fma_f64 v[36:37], v[32:33], s[4:5], -v[34:35]
	v_add_f64 v[26:27], v[26:27], -v[28:29]
	s_delay_alu instid0(VALU_DEP_2) | instskip(NEXT) | instid1(VALU_DEP_1)
	v_fma_f64 v[28:29], v[32:33], s[16:17], v[36:37]
	v_fma_f64 v[28:29], v[26:27], s[4:5], v[28:29]
	s_delay_alu instid0(VALU_DEP_1) | instskip(NEXT) | instid1(VALU_DEP_1)
	v_add_f64 v[26:27], v[34:35], v[28:29]
	v_add_f64 v[32:33], v[26:27], -v[34:35]
	s_delay_alu instid0(VALU_DEP_1)
	v_add_f64 v[28:29], v[28:29], -v[32:33]
	s_and_not1_saveexec_b32 s0, s1
	s_cbranch_execnz .LBB138_310
	s_branch .LBB138_311
.LBB138_309:                            ;   in Loop: Header=BB138_201 Depth=1
	s_and_not1_saveexec_b32 s0, s1
	s_cbranch_execz .LBB138_311
.LBB138_310:                            ;   in Loop: Header=BB138_201 Depth=1
	v_mul_f64 v[26:27], |v[10:11]|, s[18:19]
	s_mov_b32 s8, s20
	s_delay_alu instid0(VALU_DEP_1) | instskip(NEXT) | instid1(VALU_DEP_1)
	v_rndne_f64_e32 v[31:32], v[26:27]
	v_fma_f64 v[26:27], v[31:32], s[6:7], |v[10:11]|
	v_mul_f64 v[28:29], v[31:32], s[20:21]
	s_delay_alu instid0(VALU_DEP_2) | instskip(NEXT) | instid1(VALU_DEP_2)
	v_fma_f64 v[35:36], v[31:32], s[20:21], v[26:27]
	v_add_f64 v[33:34], v[26:27], v[28:29]
	s_delay_alu instid0(VALU_DEP_1) | instskip(NEXT) | instid1(VALU_DEP_3)
	v_add_f64 v[26:27], v[26:27], -v[33:34]
	v_add_f64 v[33:34], v[33:34], -v[35:36]
	s_delay_alu instid0(VALU_DEP_2) | instskip(SKIP_1) | instid1(VALU_DEP_2)
	v_add_f64 v[26:27], v[26:27], v[28:29]
	v_fma_f64 v[28:29], v[31:32], s[8:9], v[28:29]
	v_add_f64 v[26:27], v[33:34], v[26:27]
	s_delay_alu instid0(VALU_DEP_1) | instskip(NEXT) | instid1(VALU_DEP_1)
	v_add_f64 v[26:27], v[26:27], -v[28:29]
	v_fma_f64 v[28:29], v[31:32], s[22:23], v[26:27]
	v_cvt_i32_f64_e32 v31, v[31:32]
	s_delay_alu instid0(VALU_DEP_2) | instskip(NEXT) | instid1(VALU_DEP_1)
	v_add_f64 v[26:27], v[35:36], v[28:29]
	v_add_f64 v[33:34], v[26:27], -v[35:36]
	s_delay_alu instid0(VALU_DEP_1)
	v_add_f64 v[28:29], v[28:29], -v[33:34]
.LBB138_311:                            ;   in Loop: Header=BB138_201 Depth=1
	s_or_b32 exec_lo, exec_lo, s0
	v_add_f64 v[8:9], v[8:9], s[66:67]
	s_delay_alu instid0(VALU_DEP_4) | instskip(SKIP_3) | instid1(VALU_DEP_4)
	v_mul_f64 v[38:39], v[16:17], v[16:17]
	v_mul_f64 v[40:41], v[26:27], v[26:27]
	s_mov_b32 s69, s41
	s_mov_b32 s71, s43
	v_mul_f64 v[58:59], v[18:19], 0.5
	v_mul_f64 v[64:65], v[28:29], 0.5
	s_mov_b32 s72, s42
	v_cmp_class_f64_e64 s0, v[10:11], 0x1f8
	v_mul_f64 v[32:33], v[8:9], s[24:25]
	v_fma_f64 v[42:43], v[38:39], s[60:61], s[58:59]
	v_fma_f64 v[44:45], v[40:41], s[60:61], s[58:59]
	v_mul_f64 v[48:49], v[38:39], 0.5
	v_fma_f64 v[46:47], v[38:39], s[50:51], s[48:49]
	v_fma_f64 v[50:51], v[40:41], s[50:51], s[48:49]
	v_mul_f64 v[52:53], v[40:41], 0.5
	v_mul_f64 v[60:61], v[16:17], -v[38:39]
	v_mul_f64 v[66:67], v[26:27], -v[40:41]
	v_cmp_nlt_f64_e64 s1, 0x40900000, v[8:9]
	v_cmp_ngt_f64_e64 s2, 0xc090cc00, v[8:9]
	v_rndne_f64_e32 v[32:33], v[32:33]
	v_fma_f64 v[42:43], v[38:39], v[42:43], s[62:63]
	v_fma_f64 v[44:45], v[40:41], v[44:45], s[62:63]
	v_add_f64 v[54:55], -v[48:49], 1.0
	v_fma_f64 v[46:47], v[38:39], v[46:47], s[52:53]
	v_fma_f64 v[50:51], v[40:41], v[50:51], s[52:53]
	v_add_f64 v[56:57], -v[52:53], 1.0
	v_fma_f64 v[34:35], v[32:33], s[12:13], v[8:9]
	v_fma_f64 v[42:43], v[38:39], v[42:43], s[64:65]
	;; [unrolled: 1-line block ×3, first 2 shown]
	v_add_f64 v[62:63], -v[54:55], 1.0
	v_fma_f64 v[46:47], v[38:39], v[46:47], s[54:55]
	v_fma_f64 v[50:51], v[40:41], v[50:51], s[54:55]
	v_add_f64 v[68:69], -v[56:57], 1.0
	v_cvt_i32_f64_e32 v21, v[32:33]
	v_lshlrev_b32_e32 v9, 30, v30
	v_fma_f64 v[34:35], v[32:33], s[14:15], v[34:35]
	v_fma_f64 v[42:43], v[38:39], v[42:43], s[40:41]
	;; [unrolled: 1-line block ×3, first 2 shown]
	v_add_f64 v[48:49], v[62:63], -v[48:49]
	v_fma_f64 v[46:47], v[38:39], v[46:47], s[56:57]
	v_fma_f64 v[50:51], v[40:41], v[50:51], s[56:57]
	v_add_f64 v[52:53], v[68:69], -v[52:53]
	v_fma_f64 v[36:37], v[34:35], s[28:29], s[26:27]
	v_fma_f64 v[42:43], v[60:61], v[42:43], v[58:59]
	;; [unrolled: 1-line block ×3, first 2 shown]
	v_fma_f64 v[48:49], v[16:17], -v[18:19], v[48:49]
	v_mul_f64 v[58:59], v[38:39], v[38:39]
	v_fma_f64 v[46:47], v[38:39], v[46:47], s[42:43]
	v_fma_f64 v[36:37], v[34:35], v[36:37], s[30:31]
	v_fma_f64 v[18:19], v[38:39], v[42:43], -v[18:19]
	v_mul_f64 v[38:39], v[40:41], v[40:41]
	v_fma_f64 v[42:43], v[40:41], v[50:51], s[42:43]
	v_fma_f64 v[50:51], v[26:27], -v[28:29], v[52:53]
	v_fma_f64 v[28:29], v[40:41], v[44:45], -v[28:29]
	v_fma_f64 v[40:41], v[58:59], v[46:47], v[48:49]
	v_fma_f64 v[36:37], v[34:35], v[36:37], s[34:35]
	v_fma_f64 v[18:19], v[60:61], s[72:73], v[18:19]
	s_delay_alu instid0(VALU_DEP_4) | instskip(NEXT) | instid1(VALU_DEP_3)
	v_fma_f64 v[28:29], v[66:67], s[72:73], v[28:29]
	v_fma_f64 v[36:37], v[34:35], v[36:37], s[36:37]
	s_delay_alu instid0(VALU_DEP_3) | instskip(NEXT) | instid1(VALU_DEP_3)
	v_add_f64 v[16:17], v[16:17], -v[18:19]
	v_add_f64 v[26:27], v[26:27], -v[28:29]
	s_delay_alu instid0(VALU_DEP_3) | instskip(NEXT) | instid1(VALU_DEP_3)
	v_fma_f64 v[36:37], v[34:35], v[36:37], s[38:39]
	v_xor_b32_e32 v17, 0x80000000, v17
	s_delay_alu instid0(VALU_DEP_2) | instskip(NEXT) | instid1(VALU_DEP_1)
	v_fma_f64 v[36:37], v[34:35], v[36:37], s[68:69]
	v_fma_f64 v[36:37], v[34:35], v[36:37], s[70:71]
	s_delay_alu instid0(VALU_DEP_1) | instskip(NEXT) | instid1(VALU_DEP_1)
	v_fma_f64 v[36:37], v[34:35], v[36:37], s[44:45]
	v_fma_f64 v[36:37], v[34:35], v[36:37], s[46:47]
	s_delay_alu instid0(VALU_DEP_1) | instskip(NEXT) | instid1(VALU_DEP_1)
	v_fma_f64 v[36:37], v[34:35], v[36:37], 1.0
	v_fma_f64 v[32:33], v[34:35], v[36:37], 1.0
	v_fma_f64 v[34:35], v[38:39], v[42:43], v[50:51]
	v_add_f64 v[36:37], v[54:55], v[40:41]
	s_delay_alu instid0(VALU_DEP_3) | instskip(NEXT) | instid1(VALU_DEP_3)
	v_ldexp_f64 v[18:19], v[32:33], v21
	v_add_f64 v[32:33], v[56:57], v[34:35]
	v_and_b32_e32 v21, 1, v30
	s_delay_alu instid0(VALU_DEP_1) | instskip(SKIP_2) | instid1(VALU_DEP_2)
	v_cmp_eq_u32_e32 vcc_lo, 0, v21
	v_lshlrev_b32_e32 v8, 30, v31
	v_cndmask_b32_e32 v16, v16, v36, vcc_lo
	v_xor_b32_e32 v8, v8, v11
	v_cndmask_b32_e32 v11, v17, v37, vcc_lo
	s_and_b32 vcc_lo, s2, s1
	s_delay_alu instid0(VALU_DEP_2) | instskip(SKIP_4) | instid1(VALU_DEP_2)
	v_and_b32_e32 v17, 0x80000000, v8
	v_cndmask_b32_e64 v8, 0, v16, s0
	v_cndmask_b32_e64 v10, 0x7ff00000, v19, s1
	v_dual_cndmask_b32 v16, 0, v18 :: v_dual_and_b32 v19, 1, v31
	v_dual_mov_b32 v18, v20 :: v_dual_and_b32 v9, 0x80000000, v9
	v_cmp_eq_u32_e64 s3, 0, v19
	s_delay_alu instid0(VALU_DEP_2) | instskip(NEXT) | instid1(VALU_DEP_2)
	v_xor_b32_e32 v9, v11, v9
	v_cndmask_b32_e64 v21, v33, v27, s3
	v_cndmask_b32_e64 v19, v32, v26, s3
	;; [unrolled: 1-line block ×3, first 2 shown]
	s_delay_alu instid0(VALU_DEP_4) | instskip(NEXT) | instid1(VALU_DEP_4)
	v_cndmask_b32_e64 v9, 0x7ff80000, v9, s0
	v_xor_b32_e32 v11, v21, v17
	s_delay_alu instid0(VALU_DEP_4) | instskip(NEXT) | instid1(VALU_DEP_4)
	v_cndmask_b32_e64 v10, 0, v19, s0
	v_and_or_b32 v17, v26, s76, 0x7fe00000
	s_delay_alu instid0(VALU_DEP_3) | instskip(NEXT) | instid1(VALU_DEP_2)
	v_cndmask_b32_e64 v11, 0x7ff80000, v11, s0
	v_mul_f64 v[8:9], v[16:17], v[8:9]
	s_delay_alu instid0(VALU_DEP_2) | instskip(SKIP_1) | instid1(VALU_DEP_1)
	v_mul_f64 v[10:11], v[16:17], v[10:11]
	v_lshrrev_b32_e32 v16, 20, v26
	v_add_nc_u32_e32 v16, 0xffffff09, v16
	s_delay_alu instid0(VALU_DEP_1) | instskip(NEXT) | instid1(VALU_DEP_1)
	v_lshrrev_b16 v17, 15, v16
	v_add_nc_u16 v17, v16, v17
	s_delay_alu instid0(VALU_DEP_1) | instskip(NEXT) | instid1(VALU_DEP_1)
	v_ashrrev_i16 v17, 1, v17
	v_bfe_i32 v17, v17, 0, 16
	s_delay_alu instid0(VALU_DEP_1) | instskip(SKIP_1) | instid1(VALU_DEP_2)
	v_lshl_add_u32 v21, v17, 20, 0x3ff00000
	v_sub_nc_u32_e32 v16, v16, v17
	v_mul_f64 v[8:9], v[8:9], v[20:21]
	s_delay_alu instid0(VALU_DEP_2) | instskip(SKIP_1) | instid1(VALU_DEP_2)
	v_lshl_add_u32 v19, v16, 20, 0x3ff00000
	v_mul_f64 v[10:11], v[10:11], v[20:21]
	v_mul_f64 v[16:17], v[8:9], v[18:19]
	s_delay_alu instid0(VALU_DEP_2)
	v_mul_f64 v[18:19], v[10:11], v[18:19]
.LBB138_312:                            ;   in Loop: Header=BB138_201 Depth=1
	s_or_b32 exec_lo, exec_lo, s80
                                        ; implicit-def: $vgpr8_vgpr9
                                        ; implicit-def: $vgpr21
.LBB138_313:                            ;   in Loop: Header=BB138_201 Depth=1
	s_and_not1_saveexec_b32 s1, s79
	s_cbranch_execz .LBB138_319
; %bb.314:                              ;   in Loop: Header=BB138_201 Depth=1
	v_add_f64 v[18:19], v[10:11], -v[10:11]
	v_cmp_ne_u32_e32 vcc_lo, 0, v8
	v_cmp_ne_u32_e64 s0, 0x7ff00000, v21
	s_delay_alu instid0(VALU_DEP_1) | instskip(NEXT) | instid1(SALU_CYCLE_1)
	s_or_b32 s0, vcc_lo, s0
	s_and_saveexec_b32 s2, s0
	s_delay_alu instid0(SALU_CYCLE_1)
	s_xor_b32 s0, exec_lo, s2
; %bb.315:                              ;   in Loop: Header=BB138_201 Depth=1
                                        ; implicit-def: $vgpr8_vgpr9
; %bb.316:                              ;   in Loop: Header=BB138_201 Depth=1
	s_delay_alu instid0(SALU_CYCLE_1) | instskip(NEXT) | instid1(VALU_DEP_3)
	s_or_saveexec_b32 s0, s0
	v_dual_mov_b32 v16, v18 :: v_dual_mov_b32 v17, v19
	s_xor_b32 exec_lo, exec_lo, s0
; %bb.317:                              ;   in Loop: Header=BB138_201 Depth=1
	v_cmp_lt_i64_e32 vcc_lo, -1, v[8:9]
	v_dual_cndmask_b32 v17, 0, v9 :: v_dual_cndmask_b32 v16, 0, v8
	v_dual_cndmask_b32 v19, 0, v19 :: v_dual_cndmask_b32 v18, 0, v18
; %bb.318:                              ;   in Loop: Header=BB138_201 Depth=1
	s_or_b32 exec_lo, exec_lo, s0
.LBB138_319:                            ;   in Loop: Header=BB138_201 Depth=1
	s_delay_alu instid0(SALU_CYCLE_1)
	s_or_b32 exec_lo, exec_lo, s1
                                        ; implicit-def: $vgpr10_vgpr11
.LBB138_320:                            ;   in Loop: Header=BB138_201 Depth=1
	s_and_not1_saveexec_b32 s2, s78
	s_cbranch_execz .LBB138_330
; %bb.321:                              ;   in Loop: Header=BB138_201 Depth=1
	v_cmp_ngt_f64_e64 s1, 0x41d00000, |v[10:11]|
                                        ; implicit-def: $vgpr28
                                        ; implicit-def: $vgpr8_vgpr9
                                        ; implicit-def: $vgpr16_vgpr17
	s_delay_alu instid0(VALU_DEP_1) | instskip(NEXT) | instid1(SALU_CYCLE_1)
	s_and_saveexec_b32 s0, s1
	s_xor_b32 s3, exec_lo, s0
	s_cbranch_execz .LBB138_323
; %bb.322:                              ;   in Loop: Header=BB138_201 Depth=1
	v_ldexp_f64 v[8:9], |v[10:11]|, 0xffffff80
	v_cmp_le_f64_e64 vcc_lo, 0x7b000000, |v[10:11]|
	v_trig_preop_f64 v[16:17], |v[10:11]|, 0
	v_and_b32_e32 v18, 0x7fffffff, v11
	v_trig_preop_f64 v[34:35], |v[10:11]|, 2
	s_mov_b32 s4, s6
	s_mov_b32 s17, s9
	s_delay_alu instid0(VALU_DEP_2) | instskip(SKIP_2) | instid1(VALU_DEP_2)
	v_cndmask_b32_e32 v9, v18, v9, vcc_lo
	v_cndmask_b32_e32 v8, v10, v8, vcc_lo
	v_trig_preop_f64 v[18:19], |v[10:11]|, 1
	v_mul_f64 v[26:27], v[16:17], v[8:9]
	s_delay_alu instid0(VALU_DEP_2) | instskip(NEXT) | instid1(VALU_DEP_2)
	v_mul_f64 v[28:29], v[18:19], v[8:9]
	v_fma_f64 v[16:17], v[16:17], v[8:9], -v[26:27]
	s_delay_alu instid0(VALU_DEP_2) | instskip(NEXT) | instid1(VALU_DEP_2)
	v_fma_f64 v[18:19], v[18:19], v[8:9], -v[28:29]
	v_add_f64 v[30:31], v[28:29], v[16:17]
	s_delay_alu instid0(VALU_DEP_1) | instskip(SKIP_1) | instid1(VALU_DEP_2)
	v_add_f64 v[32:33], v[30:31], -v[28:29]
	v_add_f64 v[38:39], v[26:27], v[30:31]
	v_add_f64 v[36:37], v[30:31], -v[32:33]
	v_add_f64 v[16:17], v[16:17], -v[32:33]
	s_delay_alu instid0(VALU_DEP_3) | instskip(SKIP_1) | instid1(VALU_DEP_4)
	v_ldexp_f64 v[32:33], v[38:39], -2
	v_add_f64 v[26:27], v[38:39], -v[26:27]
	v_add_f64 v[28:29], v[28:29], -v[36:37]
	s_delay_alu instid0(VALU_DEP_3) | instskip(NEXT) | instid1(VALU_DEP_3)
	v_cmp_neq_f64_e64 vcc_lo, 0x7ff00000, |v[32:33]|
	v_add_f64 v[26:27], v[30:31], -v[26:27]
	s_delay_alu instid0(VALU_DEP_3) | instskip(SKIP_1) | instid1(VALU_DEP_1)
	v_add_f64 v[16:17], v[16:17], v[28:29]
	v_fract_f64_e32 v[28:29], v[32:33]
	v_cndmask_b32_e32 v28, 0, v28, vcc_lo
	v_mul_f64 v[40:41], v[34:35], v[8:9]
	s_delay_alu instid0(VALU_DEP_3) | instskip(NEXT) | instid1(VALU_DEP_1)
	v_cndmask_b32_e32 v29, 0, v29, vcc_lo
	v_ldexp_f64 v[28:29], v[28:29], 2
	s_delay_alu instid0(VALU_DEP_3) | instskip(SKIP_1) | instid1(VALU_DEP_2)
	v_add_f64 v[36:37], v[40:41], v[18:19]
	v_fma_f64 v[8:9], v[34:35], v[8:9], -v[40:41]
	v_add_f64 v[30:31], v[36:37], v[16:17]
	s_delay_alu instid0(VALU_DEP_1) | instskip(SKIP_1) | instid1(VALU_DEP_2)
	v_add_f64 v[32:33], v[26:27], v[30:31]
	v_add_f64 v[42:43], v[30:31], -v[36:37]
	v_add_f64 v[38:39], v[32:33], v[28:29]
	s_delay_alu instid0(VALU_DEP_2) | instskip(SKIP_2) | instid1(VALU_DEP_4)
	v_add_f64 v[48:49], v[30:31], -v[42:43]
	v_add_f64 v[16:17], v[16:17], -v[42:43]
	;; [unrolled: 1-line block ×3, first 2 shown]
	v_cmp_gt_f64_e32 vcc_lo, 0, v[38:39]
	v_add_f64 v[38:39], v[36:37], -v[40:41]
	s_delay_alu instid0(VALU_DEP_3) | instskip(SKIP_1) | instid1(VALU_DEP_3)
	v_add_f64 v[26:27], v[30:31], -v[26:27]
	v_cndmask_b32_e64 v21, 0, 0x40100000, vcc_lo
	v_add_f64 v[46:47], v[36:37], -v[38:39]
	v_add_f64 v[18:19], v[18:19], -v[38:39]
	;; [unrolled: 1-line block ×3, first 2 shown]
	s_delay_alu instid0(VALU_DEP_4) | instskip(NEXT) | instid1(VALU_DEP_4)
	v_add_f64 v[28:29], v[28:29], v[20:21]
	v_add_f64 v[38:39], v[40:41], -v[46:47]
	s_delay_alu instid0(VALU_DEP_3) | instskip(NEXT) | instid1(VALU_DEP_3)
	v_add_f64 v[16:17], v[16:17], v[36:37]
	v_add_f64 v[44:45], v[32:33], v[28:29]
	s_delay_alu instid0(VALU_DEP_3) | instskip(NEXT) | instid1(VALU_DEP_2)
	v_add_f64 v[18:19], v[18:19], v[38:39]
	v_cvt_i32_f64_e32 v21, v[44:45]
	s_delay_alu instid0(VALU_DEP_2) | instskip(NEXT) | instid1(VALU_DEP_2)
	v_add_f64 v[16:17], v[18:19], v[16:17]
	v_cvt_f64_i32_e32 v[42:43], v21
	s_delay_alu instid0(VALU_DEP_2) | instskip(NEXT) | instid1(VALU_DEP_2)
	v_add_f64 v[8:9], v[8:9], v[16:17]
	v_add_f64 v[28:29], v[28:29], -v[42:43]
	s_delay_alu instid0(VALU_DEP_2) | instskip(NEXT) | instid1(VALU_DEP_2)
	v_add_f64 v[8:9], v[26:27], v[8:9]
	v_add_f64 v[18:19], v[32:33], v[28:29]
	s_delay_alu instid0(VALU_DEP_1) | instskip(SKIP_1) | instid1(VALU_DEP_2)
	v_add_f64 v[16:17], v[18:19], -v[28:29]
	v_cmp_le_f64_e32 vcc_lo, 0.5, v[18:19]
	v_add_f64 v[16:17], v[32:33], -v[16:17]
	v_add_co_ci_u32_e64 v28, s0, 0, v21, vcc_lo
	v_cndmask_b32_e64 v21, 0, 0x3ff00000, vcc_lo
	s_delay_alu instid0(VALU_DEP_3) | instskip(NEXT) | instid1(VALU_DEP_2)
	v_add_f64 v[8:9], v[8:9], v[16:17]
	v_add_f64 v[16:17], v[18:19], -v[20:21]
	s_delay_alu instid0(VALU_DEP_1) | instskip(NEXT) | instid1(VALU_DEP_1)
	v_add_f64 v[18:19], v[16:17], v[8:9]
	v_mul_f64 v[26:27], v[18:19], s[4:5]
	v_add_f64 v[16:17], v[18:19], -v[16:17]
	s_delay_alu instid0(VALU_DEP_2) | instskip(NEXT) | instid1(VALU_DEP_2)
	v_fma_f64 v[29:30], v[18:19], s[4:5], -v[26:27]
	v_add_f64 v[8:9], v[8:9], -v[16:17]
	s_delay_alu instid0(VALU_DEP_2) | instskip(NEXT) | instid1(VALU_DEP_1)
	v_fma_f64 v[16:17], v[18:19], s[16:17], v[29:30]
	v_fma_f64 v[16:17], v[8:9], s[4:5], v[16:17]
	s_delay_alu instid0(VALU_DEP_1) | instskip(NEXT) | instid1(VALU_DEP_1)
	v_add_f64 v[8:9], v[26:27], v[16:17]
	v_add_f64 v[18:19], v[8:9], -v[26:27]
	s_delay_alu instid0(VALU_DEP_1)
	v_add_f64 v[16:17], v[16:17], -v[18:19]
	s_and_not1_saveexec_b32 s0, s3
	s_cbranch_execz .LBB138_325
	s_branch .LBB138_324
.LBB138_323:                            ;   in Loop: Header=BB138_201 Depth=1
	s_and_not1_saveexec_b32 s0, s3
	s_cbranch_execz .LBB138_325
.LBB138_324:                            ;   in Loop: Header=BB138_201 Depth=1
	v_mul_f64 v[8:9], |v[10:11]|, s[18:19]
	s_mov_b32 s8, s20
	s_delay_alu instid0(VALU_DEP_1) | instskip(NEXT) | instid1(VALU_DEP_1)
	v_rndne_f64_e32 v[18:19], v[8:9]
	v_fma_f64 v[8:9], v[18:19], s[6:7], |v[10:11]|
	v_mul_f64 v[16:17], v[18:19], s[20:21]
	s_delay_alu instid0(VALU_DEP_2) | instskip(NEXT) | instid1(VALU_DEP_2)
	v_fma_f64 v[28:29], v[18:19], s[20:21], v[8:9]
	v_add_f64 v[26:27], v[8:9], v[16:17]
	s_delay_alu instid0(VALU_DEP_1) | instskip(NEXT) | instid1(VALU_DEP_3)
	v_add_f64 v[8:9], v[8:9], -v[26:27]
	v_add_f64 v[26:27], v[26:27], -v[28:29]
	s_delay_alu instid0(VALU_DEP_2) | instskip(SKIP_1) | instid1(VALU_DEP_2)
	v_add_f64 v[8:9], v[8:9], v[16:17]
	v_fma_f64 v[16:17], v[18:19], s[8:9], v[16:17]
	v_add_f64 v[8:9], v[26:27], v[8:9]
	s_delay_alu instid0(VALU_DEP_1) | instskip(NEXT) | instid1(VALU_DEP_1)
	v_add_f64 v[8:9], v[8:9], -v[16:17]
	v_fma_f64 v[16:17], v[18:19], s[22:23], v[8:9]
	s_delay_alu instid0(VALU_DEP_1) | instskip(NEXT) | instid1(VALU_DEP_1)
	v_add_f64 v[8:9], v[28:29], v[16:17]
	v_add_f64 v[26:27], v[8:9], -v[28:29]
	v_cvt_i32_f64_e32 v28, v[18:19]
	s_delay_alu instid0(VALU_DEP_2)
	v_add_f64 v[16:17], v[16:17], -v[26:27]
.LBB138_325:                            ;   in Loop: Header=BB138_201 Depth=1
	s_or_b32 exec_lo, exec_lo, s0
                                        ; implicit-def: $vgpr29
                                        ; implicit-def: $vgpr18_vgpr19
                                        ; implicit-def: $vgpr26_vgpr27
	s_and_saveexec_b32 s0, s1
	s_delay_alu instid0(SALU_CYCLE_1)
	s_xor_b32 s1, exec_lo, s0
	s_cbranch_execz .LBB138_327
; %bb.326:                              ;   in Loop: Header=BB138_201 Depth=1
	v_ldexp_f64 v[18:19], |v[10:11]|, 0xffffff80
	v_cmp_le_f64_e64 vcc_lo, 0x7b000000, |v[10:11]|
	v_trig_preop_f64 v[26:27], |v[10:11]|, 0
	v_and_b32_e32 v21, 0x7fffffff, v11
	v_trig_preop_f64 v[29:30], |v[10:11]|, 1
	v_trig_preop_f64 v[39:40], |v[10:11]|, 2
	s_mov_b32 s4, s6
	s_mov_b32 s17, s9
	v_dual_cndmask_b32 v18, v10, v18 :: v_dual_cndmask_b32 v19, v21, v19
	s_delay_alu instid0(VALU_DEP_1) | instskip(NEXT) | instid1(VALU_DEP_4)
	v_mul_f64 v[31:32], v[26:27], v[18:19]
	v_mul_f64 v[33:34], v[29:30], v[18:19]
	s_delay_alu instid0(VALU_DEP_2) | instskip(NEXT) | instid1(VALU_DEP_2)
	v_fma_f64 v[26:27], v[26:27], v[18:19], -v[31:32]
	v_fma_f64 v[29:30], v[29:30], v[18:19], -v[33:34]
	s_delay_alu instid0(VALU_DEP_2) | instskip(NEXT) | instid1(VALU_DEP_1)
	v_add_f64 v[35:36], v[33:34], v[26:27]
	v_add_f64 v[37:38], v[35:36], -v[33:34]
	v_add_f64 v[43:44], v[31:32], v[35:36]
	s_delay_alu instid0(VALU_DEP_2) | instskip(SKIP_1) | instid1(VALU_DEP_3)
	v_add_f64 v[41:42], v[35:36], -v[37:38]
	v_add_f64 v[26:27], v[26:27], -v[37:38]
	v_ldexp_f64 v[37:38], v[43:44], -2
	v_add_f64 v[31:32], v[43:44], -v[31:32]
	s_delay_alu instid0(VALU_DEP_4) | instskip(NEXT) | instid1(VALU_DEP_3)
	v_add_f64 v[33:34], v[33:34], -v[41:42]
	v_cmp_neq_f64_e64 vcc_lo, 0x7ff00000, |v[37:38]|
	s_delay_alu instid0(VALU_DEP_3) | instskip(NEXT) | instid1(VALU_DEP_3)
	v_add_f64 v[31:32], v[35:36], -v[31:32]
	v_add_f64 v[26:27], v[26:27], v[33:34]
	v_fract_f64_e32 v[33:34], v[37:38]
	s_delay_alu instid0(VALU_DEP_1) | instskip(SKIP_1) | instid1(VALU_DEP_3)
	v_cndmask_b32_e32 v34, 0, v34, vcc_lo
	v_mul_f64 v[45:46], v[39:40], v[18:19]
	v_cndmask_b32_e32 v33, 0, v33, vcc_lo
	s_delay_alu instid0(VALU_DEP_1) | instskip(NEXT) | instid1(VALU_DEP_3)
	v_ldexp_f64 v[33:34], v[33:34], 2
	v_add_f64 v[41:42], v[45:46], v[29:30]
	v_fma_f64 v[18:19], v[39:40], v[18:19], -v[45:46]
	s_delay_alu instid0(VALU_DEP_2) | instskip(NEXT) | instid1(VALU_DEP_1)
	v_add_f64 v[35:36], v[41:42], v[26:27]
	v_add_f64 v[37:38], v[31:32], v[35:36]
	v_add_f64 v[47:48], v[35:36], -v[41:42]
	s_delay_alu instid0(VALU_DEP_2) | instskip(NEXT) | instid1(VALU_DEP_2)
	v_add_f64 v[43:44], v[37:38], v[33:34]
	v_add_f64 v[53:54], v[35:36], -v[47:48]
	v_add_f64 v[26:27], v[26:27], -v[47:48]
	;; [unrolled: 1-line block ×3, first 2 shown]
	s_delay_alu instid0(VALU_DEP_4) | instskip(SKIP_2) | instid1(VALU_DEP_2)
	v_cmp_gt_f64_e32 vcc_lo, 0, v[43:44]
	v_add_f64 v[43:44], v[41:42], -v[45:46]
	v_cndmask_b32_e64 v21, 0, 0x40100000, vcc_lo
	v_add_f64 v[51:52], v[41:42], -v[43:44]
	v_add_f64 v[29:30], v[29:30], -v[43:44]
	;; [unrolled: 1-line block ×3, first 2 shown]
	s_delay_alu instid0(VALU_DEP_4) | instskip(NEXT) | instid1(VALU_DEP_4)
	v_add_f64 v[33:34], v[33:34], v[20:21]
	v_add_f64 v[43:44], v[45:46], -v[51:52]
	s_delay_alu instid0(VALU_DEP_3) | instskip(NEXT) | instid1(VALU_DEP_3)
	v_add_f64 v[26:27], v[26:27], v[41:42]
	v_add_f64 v[49:50], v[37:38], v[33:34]
	s_delay_alu instid0(VALU_DEP_3) | instskip(NEXT) | instid1(VALU_DEP_2)
	v_add_f64 v[29:30], v[29:30], v[43:44]
	v_cvt_i32_f64_e32 v21, v[49:50]
	s_delay_alu instid0(VALU_DEP_2) | instskip(SKIP_1) | instid1(VALU_DEP_3)
	v_add_f64 v[26:27], v[29:30], v[26:27]
	v_add_f64 v[29:30], v[35:36], -v[31:32]
	v_cvt_f64_i32_e32 v[47:48], v21
	s_delay_alu instid0(VALU_DEP_3) | instskip(NEXT) | instid1(VALU_DEP_2)
	v_add_f64 v[18:19], v[18:19], v[26:27]
	v_add_f64 v[33:34], v[33:34], -v[47:48]
	s_delay_alu instid0(VALU_DEP_2) | instskip(NEXT) | instid1(VALU_DEP_2)
	v_add_f64 v[18:19], v[29:30], v[18:19]
	v_add_f64 v[39:40], v[37:38], v[33:34]
	s_delay_alu instid0(VALU_DEP_1) | instskip(SKIP_1) | instid1(VALU_DEP_2)
	v_add_f64 v[26:27], v[39:40], -v[33:34]
	v_cmp_le_f64_e32 vcc_lo, 0.5, v[39:40]
	v_add_f64 v[26:27], v[37:38], -v[26:27]
	v_add_co_ci_u32_e64 v29, s0, 0, v21, vcc_lo
	v_cndmask_b32_e64 v21, 0, 0x3ff00000, vcc_lo
	s_delay_alu instid0(VALU_DEP_3) | instskip(NEXT) | instid1(VALU_DEP_2)
	v_add_f64 v[18:19], v[18:19], v[26:27]
	v_add_f64 v[26:27], v[39:40], -v[20:21]
	s_delay_alu instid0(VALU_DEP_1) | instskip(NEXT) | instid1(VALU_DEP_1)
	v_add_f64 v[30:31], v[26:27], v[18:19]
	v_mul_f64 v[32:33], v[30:31], s[4:5]
	v_add_f64 v[26:27], v[30:31], -v[26:27]
	s_delay_alu instid0(VALU_DEP_2) | instskip(NEXT) | instid1(VALU_DEP_2)
	v_fma_f64 v[34:35], v[30:31], s[4:5], -v[32:33]
	v_add_f64 v[18:19], v[18:19], -v[26:27]
	s_delay_alu instid0(VALU_DEP_2) | instskip(NEXT) | instid1(VALU_DEP_1)
	v_fma_f64 v[26:27], v[30:31], s[16:17], v[34:35]
	v_fma_f64 v[26:27], v[18:19], s[4:5], v[26:27]
	s_delay_alu instid0(VALU_DEP_1) | instskip(NEXT) | instid1(VALU_DEP_1)
	v_add_f64 v[18:19], v[32:33], v[26:27]
	v_add_f64 v[30:31], v[18:19], -v[32:33]
	s_delay_alu instid0(VALU_DEP_1)
	v_add_f64 v[26:27], v[26:27], -v[30:31]
	s_and_not1_saveexec_b32 s0, s1
	s_cbranch_execnz .LBB138_328
	s_branch .LBB138_329
.LBB138_327:                            ;   in Loop: Header=BB138_201 Depth=1
	s_and_not1_saveexec_b32 s0, s1
	s_cbranch_execz .LBB138_329
.LBB138_328:                            ;   in Loop: Header=BB138_201 Depth=1
	v_mul_f64 v[18:19], |v[10:11]|, s[18:19]
	s_mov_b32 s8, s20
	s_delay_alu instid0(VALU_DEP_1) | instskip(NEXT) | instid1(VALU_DEP_1)
	v_rndne_f64_e32 v[29:30], v[18:19]
	v_fma_f64 v[18:19], v[29:30], s[6:7], |v[10:11]|
	v_mul_f64 v[26:27], v[29:30], s[20:21]
	s_delay_alu instid0(VALU_DEP_2) | instskip(NEXT) | instid1(VALU_DEP_2)
	v_fma_f64 v[33:34], v[29:30], s[20:21], v[18:19]
	v_add_f64 v[31:32], v[18:19], v[26:27]
	s_delay_alu instid0(VALU_DEP_1) | instskip(NEXT) | instid1(VALU_DEP_3)
	v_add_f64 v[18:19], v[18:19], -v[31:32]
	v_add_f64 v[31:32], v[31:32], -v[33:34]
	s_delay_alu instid0(VALU_DEP_2) | instskip(SKIP_1) | instid1(VALU_DEP_2)
	v_add_f64 v[18:19], v[18:19], v[26:27]
	v_fma_f64 v[26:27], v[29:30], s[8:9], v[26:27]
	v_add_f64 v[18:19], v[31:32], v[18:19]
	s_delay_alu instid0(VALU_DEP_1) | instskip(NEXT) | instid1(VALU_DEP_1)
	v_add_f64 v[18:19], v[18:19], -v[26:27]
	v_fma_f64 v[26:27], v[29:30], s[22:23], v[18:19]
	v_cvt_i32_f64_e32 v29, v[29:30]
	s_delay_alu instid0(VALU_DEP_2) | instskip(NEXT) | instid1(VALU_DEP_1)
	v_add_f64 v[18:19], v[33:34], v[26:27]
	v_add_f64 v[31:32], v[18:19], -v[33:34]
	s_delay_alu instid0(VALU_DEP_1)
	v_add_f64 v[26:27], v[26:27], -v[31:32]
.LBB138_329:                            ;   in Loop: Header=BB138_201 Depth=1
	s_or_b32 exec_lo, exec_lo, s0
	v_mul_f64 v[30:31], v[8:9], v[8:9]
	s_delay_alu instid0(VALU_DEP_3) | instskip(NEXT) | instid1(VALU_DEP_3)
	v_mul_f64 v[32:33], v[18:19], v[18:19]
	v_mul_f64 v[50:51], v[16:17], 0.5
	s_delay_alu instid0(VALU_DEP_4) | instskip(SKIP_4) | instid1(VALU_DEP_2)
	v_mul_f64 v[56:57], v[26:27], 0.5
	s_mov_b32 s72, s42
	v_cmp_class_f64_e64 s0, v[10:11], 0x1f8
	v_and_b32_e32 v21, 1, v28
	v_lshlrev_b32_e32 v10, 30, v29
	v_cmp_eq_u32_e32 vcc_lo, 0, v21
	s_delay_alu instid0(VALU_DEP_2) | instskip(SKIP_1) | instid1(VALU_DEP_2)
	v_xor_b32_e32 v10, v10, v11
	v_and_b32_e32 v21, 1, v29
	v_and_b32_e32 v10, 0x80000000, v10
	s_delay_alu instid0(VALU_DEP_2)
	v_cmp_eq_u32_e64 s1, 0, v21
	v_fma_f64 v[34:35], v[30:31], s[60:61], s[58:59]
	v_fma_f64 v[36:37], v[32:33], s[60:61], s[58:59]
	;; [unrolled: 1-line block ×3, first 2 shown]
	v_mul_f64 v[40:41], v[30:31], 0.5
	v_fma_f64 v[42:43], v[32:33], s[50:51], s[48:49]
	v_mul_f64 v[44:45], v[32:33], 0.5
	v_mul_f64 v[52:53], v[8:9], -v[30:31]
	v_mul_f64 v[58:59], v[18:19], -v[32:33]
	v_fma_f64 v[34:35], v[30:31], v[34:35], s[62:63]
	v_fma_f64 v[36:37], v[32:33], v[36:37], s[62:63]
	;; [unrolled: 1-line block ×3, first 2 shown]
	v_add_f64 v[46:47], -v[40:41], 1.0
	v_fma_f64 v[42:43], v[32:33], v[42:43], s[52:53]
	v_add_f64 v[48:49], -v[44:45], 1.0
	v_fma_f64 v[34:35], v[30:31], v[34:35], s[64:65]
	v_fma_f64 v[36:37], v[32:33], v[36:37], s[64:65]
	;; [unrolled: 1-line block ×3, first 2 shown]
	v_add_f64 v[54:55], -v[46:47], 1.0
	v_fma_f64 v[42:43], v[32:33], v[42:43], s[54:55]
	v_add_f64 v[60:61], -v[48:49], 1.0
	v_fma_f64 v[34:35], v[30:31], v[34:35], s[40:41]
	v_fma_f64 v[36:37], v[32:33], v[36:37], s[40:41]
	;; [unrolled: 1-line block ×3, first 2 shown]
	v_add_f64 v[40:41], v[54:55], -v[40:41]
	v_fma_f64 v[42:43], v[32:33], v[42:43], s[56:57]
	v_add_f64 v[44:45], v[60:61], -v[44:45]
	v_fma_f64 v[34:35], v[52:53], v[34:35], v[50:51]
	v_fma_f64 v[36:37], v[58:59], v[36:37], v[56:57]
	v_mul_f64 v[50:51], v[30:31], v[30:31]
	v_fma_f64 v[38:39], v[30:31], v[38:39], s[42:43]
	v_fma_f64 v[40:41], v[8:9], -v[16:17], v[40:41]
	v_fma_f64 v[16:17], v[30:31], v[34:35], -v[16:17]
	v_mul_f64 v[30:31], v[32:33], v[32:33]
	v_fma_f64 v[34:35], v[32:33], v[42:43], s[42:43]
	v_fma_f64 v[42:43], v[18:19], -v[26:27], v[44:45]
	v_fma_f64 v[26:27], v[32:33], v[36:37], -v[26:27]
	v_fma_f64 v[32:33], v[50:51], v[38:39], v[40:41]
	v_fma_f64 v[16:17], v[52:53], s[72:73], v[16:17]
	s_delay_alu instid0(VALU_DEP_4) | instskip(NEXT) | instid1(VALU_DEP_4)
	v_fma_f64 v[30:31], v[30:31], v[34:35], v[42:43]
	v_fma_f64 v[26:27], v[58:59], s[72:73], v[26:27]
	s_delay_alu instid0(VALU_DEP_4) | instskip(NEXT) | instid1(VALU_DEP_4)
	v_add_f64 v[32:33], v[46:47], v[32:33]
	v_add_f64 v[8:9], v[8:9], -v[16:17]
	s_delay_alu instid0(VALU_DEP_4) | instskip(NEXT) | instid1(VALU_DEP_4)
	v_add_f64 v[16:17], v[48:49], v[30:31]
	v_add_f64 v[18:19], v[18:19], -v[26:27]
	s_delay_alu instid0(VALU_DEP_3) | instskip(NEXT) | instid1(VALU_DEP_4)
	v_cndmask_b32_e32 v8, v8, v32, vcc_lo
	v_xor_b32_e32 v9, 0x80000000, v9
	v_lshlrev_b32_e32 v26, 30, v28
	s_delay_alu instid0(VALU_DEP_4) | instskip(SKIP_1) | instid1(VALU_DEP_4)
	v_cndmask_b32_e64 v18, v16, v18, s1
	v_cndmask_b32_e64 v16, v17, v19, s1
	v_cndmask_b32_e32 v9, v9, v33, vcc_lo
	s_delay_alu instid0(VALU_DEP_4) | instskip(NEXT) | instid1(VALU_DEP_4)
	v_and_b32_e32 v11, 0x80000000, v26
	v_cndmask_b32_e64 v18, 0, v18, s0
	s_delay_alu instid0(VALU_DEP_4) | instskip(SKIP_1) | instid1(VALU_DEP_4)
	v_xor_b32_e32 v10, v16, v10
	v_cndmask_b32_e64 v16, 0, v8, s0
	v_xor_b32_e32 v9, v9, v11
	s_delay_alu instid0(VALU_DEP_3) | instskip(NEXT) | instid1(VALU_DEP_2)
	v_cndmask_b32_e64 v19, 0x7ff80000, v10, s0
	v_cndmask_b32_e64 v17, 0x7ff80000, v9, s0
.LBB138_330:                            ;   in Loop: Header=BB138_201 Depth=1
	s_or_b32 exec_lo, exec_lo, s2
                                        ; implicit-def: $vgpr8_vgpr9
.LBB138_331:                            ;   in Loop: Header=BB138_201 Depth=1
	s_and_not1_saveexec_b32 s1, s77
	s_cbranch_execz .LBB138_333
; %bb.332:                              ;   in Loop: Header=BB138_201 Depth=1
	v_mul_f64 v[16:17], v[8:9], s[24:25]
	s_mov_b32 s69, s41
	s_mov_b32 s71, s43
	v_cmp_nlt_f64_e32 vcc_lo, 0x40900000, v[8:9]
	v_cmp_ngt_f64_e64 s0, 0xc090cc00, v[8:9]
	s_delay_alu instid0(VALU_DEP_3) | instskip(NEXT) | instid1(VALU_DEP_1)
	v_rndne_f64_e32 v[16:17], v[16:17]
	v_fma_f64 v[18:19], v[16:17], s[12:13], v[8:9]
	v_cvt_i32_f64_e32 v21, v[16:17]
	s_delay_alu instid0(VALU_DEP_2) | instskip(NEXT) | instid1(VALU_DEP_1)
	v_fma_f64 v[18:19], v[16:17], s[14:15], v[18:19]
	v_fma_f64 v[26:27], v[18:19], s[28:29], s[26:27]
	s_delay_alu instid0(VALU_DEP_1) | instskip(NEXT) | instid1(VALU_DEP_1)
	v_fma_f64 v[26:27], v[18:19], v[26:27], s[30:31]
	v_fma_f64 v[26:27], v[18:19], v[26:27], s[34:35]
	s_delay_alu instid0(VALU_DEP_1) | instskip(NEXT) | instid1(VALU_DEP_1)
	;; [unrolled: 3-line block ×5, first 2 shown]
	v_fma_f64 v[26:27], v[18:19], v[26:27], 1.0
	v_fma_f64 v[16:17], v[18:19], v[26:27], 1.0
	v_dual_mov_b32 v19, v11 :: v_dual_mov_b32 v18, v10
	s_delay_alu instid0(VALU_DEP_2) | instskip(NEXT) | instid1(VALU_DEP_1)
	v_ldexp_f64 v[16:17], v[16:17], v21
	v_cndmask_b32_e32 v17, 0x7ff00000, v17, vcc_lo
	s_and_b32 vcc_lo, s0, vcc_lo
	s_delay_alu instid0(VALU_DEP_2) | instskip(NEXT) | instid1(VALU_DEP_2)
	v_cndmask_b32_e32 v16, 0, v16, vcc_lo
	v_cndmask_b32_e64 v17, 0, v17, s0
.LBB138_333:                            ;   in Loop: Header=BB138_201 Depth=1
	s_or_b32 exec_lo, exec_lo, s1
	v_and_b32_e32 v8, 0x7fffffff, v3
                                        ; implicit-def: $vgpr10_vgpr11
	s_mov_b32 s0, exec_lo
	s_delay_alu instid0(VALU_DEP_1) | instskip(NEXT) | instid1(VALU_DEP_1)
	v_or_b32_e32 v9, v8, v2
	v_cmpx_ne_u32_e32 0, v9
	s_xor_b32 s77, exec_lo, s0
	s_cbranch_execz .LBB138_375
; %bb.334:                              ;   in Loop: Header=BB138_201 Depth=1
	v_and_b32_e32 v21, 0x7fffffff, v1
                                        ; implicit-def: $vgpr10_vgpr11
	s_mov_b32 s0, exec_lo
	s_delay_alu instid0(VALU_DEP_1) | instskip(NEXT) | instid1(VALU_DEP_1)
	v_or_b32_e32 v9, v21, v0
	v_cmpx_ne_u32_e32 0, v9
	s_xor_b32 s78, exec_lo, s0
	s_cbranch_execz .LBB138_364
; %bb.335:                              ;   in Loop: Header=BB138_201 Depth=1
                                        ; implicit-def: $vgpr10_vgpr11
	s_mov_b32 s0, exec_lo
	v_cmpx_gt_u32_e32 0x7ff00000, v8
	s_xor_b32 s79, exec_lo, s0
	s_cbranch_execz .LBB138_357
; %bb.336:                              ;   in Loop: Header=BB138_201 Depth=1
	v_add_nc_u32_e32 v8, 0xbf79d1be, v1
                                        ; implicit-def: $vgpr10_vgpr11
	s_mov_b32 s0, exec_lo
	s_delay_alu instid0(VALU_DEP_1)
	v_cmpx_lt_u32_e32 0x108aa2, v8
	s_xor_b32 s80, exec_lo, s0
	s_cbranch_execz .LBB138_346
; %bb.337:                              ;   in Loop: Header=BB138_201 Depth=1
	v_cmp_ngt_f64_e64 s1, 0x41d00000, |v[2:3]|
                                        ; implicit-def: $vgpr30
                                        ; implicit-def: $vgpr8_vgpr9
                                        ; implicit-def: $vgpr10_vgpr11
	s_delay_alu instid0(VALU_DEP_1) | instskip(NEXT) | instid1(SALU_CYCLE_1)
	s_and_saveexec_b32 s0, s1
	s_xor_b32 s2, exec_lo, s0
	s_cbranch_execz .LBB138_339
; %bb.338:                              ;   in Loop: Header=BB138_201 Depth=1
	v_ldexp_f64 v[8:9], |v[2:3]|, 0xffffff80
	v_cmp_le_f64_e64 vcc_lo, 0x7b000000, |v[2:3]|
	v_trig_preop_f64 v[10:11], |v[2:3]|, 0
	v_and_b32_e32 v21, 0x7fffffff, v3
	v_trig_preop_f64 v[26:27], |v[2:3]|, 1
	v_trig_preop_f64 v[36:37], |v[2:3]|, 2
	s_mov_b32 s4, s6
	s_mov_b32 s17, s9
	v_dual_cndmask_b32 v8, v2, v8 :: v_dual_cndmask_b32 v9, v21, v9
	s_delay_alu instid0(VALU_DEP_1) | instskip(NEXT) | instid1(VALU_DEP_4)
	v_mul_f64 v[28:29], v[10:11], v[8:9]
	v_mul_f64 v[30:31], v[26:27], v[8:9]
	s_delay_alu instid0(VALU_DEP_2) | instskip(NEXT) | instid1(VALU_DEP_2)
	v_fma_f64 v[10:11], v[10:11], v[8:9], -v[28:29]
	v_fma_f64 v[26:27], v[26:27], v[8:9], -v[30:31]
	s_delay_alu instid0(VALU_DEP_2) | instskip(NEXT) | instid1(VALU_DEP_1)
	v_add_f64 v[32:33], v[30:31], v[10:11]
	v_add_f64 v[34:35], v[32:33], -v[30:31]
	v_add_f64 v[40:41], v[28:29], v[32:33]
	s_delay_alu instid0(VALU_DEP_2) | instskip(SKIP_1) | instid1(VALU_DEP_3)
	v_add_f64 v[38:39], v[32:33], -v[34:35]
	v_add_f64 v[10:11], v[10:11], -v[34:35]
	v_ldexp_f64 v[34:35], v[40:41], -2
	v_add_f64 v[28:29], v[40:41], -v[28:29]
	s_delay_alu instid0(VALU_DEP_4) | instskip(NEXT) | instid1(VALU_DEP_3)
	v_add_f64 v[30:31], v[30:31], -v[38:39]
	v_cmp_neq_f64_e64 vcc_lo, 0x7ff00000, |v[34:35]|
	s_delay_alu instid0(VALU_DEP_3) | instskip(NEXT) | instid1(VALU_DEP_3)
	v_add_f64 v[28:29], v[32:33], -v[28:29]
	v_add_f64 v[10:11], v[10:11], v[30:31]
	v_fract_f64_e32 v[30:31], v[34:35]
	s_delay_alu instid0(VALU_DEP_1) | instskip(SKIP_1) | instid1(VALU_DEP_3)
	v_cndmask_b32_e32 v30, 0, v30, vcc_lo
	v_mul_f64 v[42:43], v[36:37], v[8:9]
	v_cndmask_b32_e32 v31, 0, v31, vcc_lo
	s_delay_alu instid0(VALU_DEP_1) | instskip(NEXT) | instid1(VALU_DEP_3)
	v_ldexp_f64 v[30:31], v[30:31], 2
	v_add_f64 v[38:39], v[42:43], v[26:27]
	v_fma_f64 v[8:9], v[36:37], v[8:9], -v[42:43]
	s_delay_alu instid0(VALU_DEP_2) | instskip(NEXT) | instid1(VALU_DEP_1)
	v_add_f64 v[32:33], v[38:39], v[10:11]
	v_add_f64 v[34:35], v[28:29], v[32:33]
	v_add_f64 v[44:45], v[32:33], -v[38:39]
	s_delay_alu instid0(VALU_DEP_2) | instskip(NEXT) | instid1(VALU_DEP_2)
	v_add_f64 v[40:41], v[34:35], v[30:31]
	v_add_f64 v[50:51], v[32:33], -v[44:45]
	v_add_f64 v[10:11], v[10:11], -v[44:45]
	;; [unrolled: 1-line block ×3, first 2 shown]
	s_delay_alu instid0(VALU_DEP_4) | instskip(SKIP_1) | instid1(VALU_DEP_3)
	v_cmp_gt_f64_e32 vcc_lo, 0, v[40:41]
	v_add_f64 v[40:41], v[38:39], -v[42:43]
	v_add_f64 v[28:29], v[32:33], -v[28:29]
	v_cndmask_b32_e64 v21, 0, 0x40100000, vcc_lo
	s_delay_alu instid0(VALU_DEP_3) | instskip(SKIP_2) | instid1(VALU_DEP_4)
	v_add_f64 v[48:49], v[38:39], -v[40:41]
	v_add_f64 v[26:27], v[26:27], -v[40:41]
	;; [unrolled: 1-line block ×3, first 2 shown]
	v_add_f64 v[30:31], v[30:31], v[20:21]
	s_delay_alu instid0(VALU_DEP_4) | instskip(NEXT) | instid1(VALU_DEP_3)
	v_add_f64 v[40:41], v[42:43], -v[48:49]
	v_add_f64 v[10:11], v[10:11], v[38:39]
	s_delay_alu instid0(VALU_DEP_3) | instskip(NEXT) | instid1(VALU_DEP_3)
	v_add_f64 v[46:47], v[34:35], v[30:31]
	v_add_f64 v[26:27], v[26:27], v[40:41]
	s_delay_alu instid0(VALU_DEP_2) | instskip(NEXT) | instid1(VALU_DEP_2)
	v_cvt_i32_f64_e32 v21, v[46:47]
	v_add_f64 v[10:11], v[26:27], v[10:11]
	s_delay_alu instid0(VALU_DEP_2) | instskip(NEXT) | instid1(VALU_DEP_2)
	v_cvt_f64_i32_e32 v[44:45], v21
	v_add_f64 v[8:9], v[8:9], v[10:11]
	s_delay_alu instid0(VALU_DEP_2) | instskip(NEXT) | instid1(VALU_DEP_2)
	v_add_f64 v[30:31], v[30:31], -v[44:45]
	v_add_f64 v[8:9], v[28:29], v[8:9]
	s_delay_alu instid0(VALU_DEP_2) | instskip(NEXT) | instid1(VALU_DEP_1)
	v_add_f64 v[26:27], v[34:35], v[30:31]
	v_add_f64 v[10:11], v[26:27], -v[30:31]
	v_cmp_le_f64_e32 vcc_lo, 0.5, v[26:27]
	s_delay_alu instid0(VALU_DEP_2) | instskip(SKIP_2) | instid1(VALU_DEP_3)
	v_add_f64 v[10:11], v[34:35], -v[10:11]
	v_add_co_ci_u32_e64 v30, s0, 0, v21, vcc_lo
	v_cndmask_b32_e64 v21, 0, 0x3ff00000, vcc_lo
	v_add_f64 v[8:9], v[8:9], v[10:11]
	s_delay_alu instid0(VALU_DEP_2) | instskip(NEXT) | instid1(VALU_DEP_1)
	v_add_f64 v[10:11], v[26:27], -v[20:21]
	v_add_f64 v[26:27], v[10:11], v[8:9]
	s_delay_alu instid0(VALU_DEP_1) | instskip(SKIP_1) | instid1(VALU_DEP_2)
	v_mul_f64 v[28:29], v[26:27], s[4:5]
	v_add_f64 v[10:11], v[26:27], -v[10:11]
	v_fma_f64 v[31:32], v[26:27], s[4:5], -v[28:29]
	s_delay_alu instid0(VALU_DEP_2) | instskip(NEXT) | instid1(VALU_DEP_2)
	v_add_f64 v[8:9], v[8:9], -v[10:11]
	v_fma_f64 v[10:11], v[26:27], s[16:17], v[31:32]
	s_delay_alu instid0(VALU_DEP_1) | instskip(NEXT) | instid1(VALU_DEP_1)
	v_fma_f64 v[10:11], v[8:9], s[4:5], v[10:11]
	v_add_f64 v[8:9], v[28:29], v[10:11]
	s_delay_alu instid0(VALU_DEP_1) | instskip(NEXT) | instid1(VALU_DEP_1)
	v_add_f64 v[26:27], v[8:9], -v[28:29]
	v_add_f64 v[10:11], v[10:11], -v[26:27]
	s_and_not1_saveexec_b32 s0, s2
	s_cbranch_execz .LBB138_341
	s_branch .LBB138_340
.LBB138_339:                            ;   in Loop: Header=BB138_201 Depth=1
	s_and_not1_saveexec_b32 s0, s2
	s_cbranch_execz .LBB138_341
.LBB138_340:                            ;   in Loop: Header=BB138_201 Depth=1
	v_mul_f64 v[8:9], |v[2:3]|, s[18:19]
	s_mov_b32 s8, s20
	s_delay_alu instid0(VALU_DEP_1) | instskip(NEXT) | instid1(VALU_DEP_1)
	v_rndne_f64_e32 v[26:27], v[8:9]
	v_fma_f64 v[8:9], v[26:27], s[6:7], |v[2:3]|
	v_mul_f64 v[10:11], v[26:27], s[20:21]
	s_delay_alu instid0(VALU_DEP_2) | instskip(NEXT) | instid1(VALU_DEP_2)
	v_fma_f64 v[30:31], v[26:27], s[20:21], v[8:9]
	v_add_f64 v[28:29], v[8:9], v[10:11]
	s_delay_alu instid0(VALU_DEP_1) | instskip(NEXT) | instid1(VALU_DEP_3)
	v_add_f64 v[8:9], v[8:9], -v[28:29]
	v_add_f64 v[28:29], v[28:29], -v[30:31]
	s_delay_alu instid0(VALU_DEP_2) | instskip(SKIP_1) | instid1(VALU_DEP_2)
	v_add_f64 v[8:9], v[8:9], v[10:11]
	v_fma_f64 v[10:11], v[26:27], s[8:9], v[10:11]
	v_add_f64 v[8:9], v[28:29], v[8:9]
	s_delay_alu instid0(VALU_DEP_1) | instskip(NEXT) | instid1(VALU_DEP_1)
	v_add_f64 v[8:9], v[8:9], -v[10:11]
	v_fma_f64 v[10:11], v[26:27], s[22:23], v[8:9]
	s_delay_alu instid0(VALU_DEP_1) | instskip(NEXT) | instid1(VALU_DEP_1)
	v_add_f64 v[8:9], v[30:31], v[10:11]
	v_add_f64 v[28:29], v[8:9], -v[30:31]
	v_cvt_i32_f64_e32 v30, v[26:27]
	s_delay_alu instid0(VALU_DEP_2)
	v_add_f64 v[10:11], v[10:11], -v[28:29]
.LBB138_341:                            ;   in Loop: Header=BB138_201 Depth=1
	s_or_b32 exec_lo, exec_lo, s0
                                        ; implicit-def: $vgpr31
                                        ; implicit-def: $vgpr26_vgpr27
                                        ; implicit-def: $vgpr28_vgpr29
	s_and_saveexec_b32 s0, s1
	s_delay_alu instid0(SALU_CYCLE_1)
	s_xor_b32 s1, exec_lo, s0
	s_cbranch_execz .LBB138_343
; %bb.342:                              ;   in Loop: Header=BB138_201 Depth=1
	v_ldexp_f64 v[26:27], |v[2:3]|, 0xffffff80
	v_cmp_le_f64_e64 vcc_lo, 0x7b000000, |v[2:3]|
	v_trig_preop_f64 v[28:29], |v[2:3]|, 0
	v_and_b32_e32 v21, 0x7fffffff, v3
	v_trig_preop_f64 v[31:32], |v[2:3]|, 1
	v_trig_preop_f64 v[41:42], |v[2:3]|, 2
	s_mov_b32 s4, s6
	s_mov_b32 s17, s9
	v_dual_cndmask_b32 v26, v2, v26 :: v_dual_cndmask_b32 v27, v21, v27
	s_delay_alu instid0(VALU_DEP_1) | instskip(NEXT) | instid1(VALU_DEP_4)
	v_mul_f64 v[33:34], v[28:29], v[26:27]
	v_mul_f64 v[35:36], v[31:32], v[26:27]
	s_delay_alu instid0(VALU_DEP_2) | instskip(NEXT) | instid1(VALU_DEP_2)
	v_fma_f64 v[28:29], v[28:29], v[26:27], -v[33:34]
	v_fma_f64 v[31:32], v[31:32], v[26:27], -v[35:36]
	s_delay_alu instid0(VALU_DEP_2) | instskip(NEXT) | instid1(VALU_DEP_1)
	v_add_f64 v[37:38], v[35:36], v[28:29]
	v_add_f64 v[39:40], v[37:38], -v[35:36]
	v_add_f64 v[45:46], v[33:34], v[37:38]
	s_delay_alu instid0(VALU_DEP_2) | instskip(SKIP_1) | instid1(VALU_DEP_3)
	v_add_f64 v[43:44], v[37:38], -v[39:40]
	v_add_f64 v[28:29], v[28:29], -v[39:40]
	v_ldexp_f64 v[39:40], v[45:46], -2
	v_add_f64 v[33:34], v[45:46], -v[33:34]
	s_delay_alu instid0(VALU_DEP_4) | instskip(NEXT) | instid1(VALU_DEP_3)
	v_add_f64 v[35:36], v[35:36], -v[43:44]
	v_cmp_neq_f64_e64 vcc_lo, 0x7ff00000, |v[39:40]|
	s_delay_alu instid0(VALU_DEP_3) | instskip(NEXT) | instid1(VALU_DEP_3)
	v_add_f64 v[33:34], v[37:38], -v[33:34]
	v_add_f64 v[28:29], v[28:29], v[35:36]
	v_fract_f64_e32 v[35:36], v[39:40]
	s_delay_alu instid0(VALU_DEP_1) | instskip(SKIP_1) | instid1(VALU_DEP_3)
	v_cndmask_b32_e32 v36, 0, v36, vcc_lo
	v_mul_f64 v[47:48], v[41:42], v[26:27]
	v_cndmask_b32_e32 v35, 0, v35, vcc_lo
	s_delay_alu instid0(VALU_DEP_1) | instskip(NEXT) | instid1(VALU_DEP_3)
	v_ldexp_f64 v[35:36], v[35:36], 2
	v_add_f64 v[43:44], v[47:48], v[31:32]
	v_fma_f64 v[26:27], v[41:42], v[26:27], -v[47:48]
	s_delay_alu instid0(VALU_DEP_2) | instskip(NEXT) | instid1(VALU_DEP_1)
	v_add_f64 v[37:38], v[43:44], v[28:29]
	v_add_f64 v[39:40], v[33:34], v[37:38]
	v_add_f64 v[49:50], v[37:38], -v[43:44]
	s_delay_alu instid0(VALU_DEP_2) | instskip(NEXT) | instid1(VALU_DEP_2)
	v_add_f64 v[45:46], v[39:40], v[35:36]
	v_add_f64 v[55:56], v[37:38], -v[49:50]
	v_add_f64 v[28:29], v[28:29], -v[49:50]
	;; [unrolled: 1-line block ×3, first 2 shown]
	s_delay_alu instid0(VALU_DEP_4) | instskip(SKIP_2) | instid1(VALU_DEP_2)
	v_cmp_gt_f64_e32 vcc_lo, 0, v[45:46]
	v_add_f64 v[45:46], v[43:44], -v[47:48]
	v_cndmask_b32_e64 v21, 0, 0x40100000, vcc_lo
	v_add_f64 v[53:54], v[43:44], -v[45:46]
	v_add_f64 v[31:32], v[31:32], -v[45:46]
	v_add_f64 v[43:44], v[43:44], -v[55:56]
	s_delay_alu instid0(VALU_DEP_4) | instskip(NEXT) | instid1(VALU_DEP_4)
	v_add_f64 v[35:36], v[35:36], v[20:21]
	v_add_f64 v[45:46], v[47:48], -v[53:54]
	s_delay_alu instid0(VALU_DEP_3) | instskip(NEXT) | instid1(VALU_DEP_3)
	v_add_f64 v[28:29], v[28:29], v[43:44]
	v_add_f64 v[51:52], v[39:40], v[35:36]
	s_delay_alu instid0(VALU_DEP_3) | instskip(NEXT) | instid1(VALU_DEP_2)
	v_add_f64 v[31:32], v[31:32], v[45:46]
	v_cvt_i32_f64_e32 v21, v[51:52]
	s_delay_alu instid0(VALU_DEP_2) | instskip(SKIP_1) | instid1(VALU_DEP_3)
	v_add_f64 v[28:29], v[31:32], v[28:29]
	v_add_f64 v[31:32], v[37:38], -v[33:34]
	v_cvt_f64_i32_e32 v[49:50], v21
	s_delay_alu instid0(VALU_DEP_3) | instskip(NEXT) | instid1(VALU_DEP_2)
	v_add_f64 v[26:27], v[26:27], v[28:29]
	v_add_f64 v[35:36], v[35:36], -v[49:50]
	s_delay_alu instid0(VALU_DEP_2) | instskip(NEXT) | instid1(VALU_DEP_2)
	v_add_f64 v[26:27], v[31:32], v[26:27]
	v_add_f64 v[41:42], v[39:40], v[35:36]
	s_delay_alu instid0(VALU_DEP_1) | instskip(SKIP_1) | instid1(VALU_DEP_2)
	v_add_f64 v[28:29], v[41:42], -v[35:36]
	v_cmp_le_f64_e32 vcc_lo, 0.5, v[41:42]
	v_add_f64 v[28:29], v[39:40], -v[28:29]
	v_add_co_ci_u32_e64 v31, s0, 0, v21, vcc_lo
	v_cndmask_b32_e64 v21, 0, 0x3ff00000, vcc_lo
	s_delay_alu instid0(VALU_DEP_3) | instskip(NEXT) | instid1(VALU_DEP_2)
	v_add_f64 v[26:27], v[26:27], v[28:29]
	v_add_f64 v[28:29], v[41:42], -v[20:21]
	s_delay_alu instid0(VALU_DEP_1) | instskip(NEXT) | instid1(VALU_DEP_1)
	v_add_f64 v[32:33], v[28:29], v[26:27]
	v_mul_f64 v[34:35], v[32:33], s[4:5]
	v_add_f64 v[28:29], v[32:33], -v[28:29]
	s_delay_alu instid0(VALU_DEP_2) | instskip(NEXT) | instid1(VALU_DEP_2)
	v_fma_f64 v[36:37], v[32:33], s[4:5], -v[34:35]
	v_add_f64 v[26:27], v[26:27], -v[28:29]
	s_delay_alu instid0(VALU_DEP_2) | instskip(NEXT) | instid1(VALU_DEP_1)
	v_fma_f64 v[28:29], v[32:33], s[16:17], v[36:37]
	v_fma_f64 v[28:29], v[26:27], s[4:5], v[28:29]
	s_delay_alu instid0(VALU_DEP_1) | instskip(NEXT) | instid1(VALU_DEP_1)
	v_add_f64 v[26:27], v[34:35], v[28:29]
	v_add_f64 v[32:33], v[26:27], -v[34:35]
	s_delay_alu instid0(VALU_DEP_1)
	v_add_f64 v[28:29], v[28:29], -v[32:33]
	s_and_not1_saveexec_b32 s0, s1
	s_cbranch_execnz .LBB138_344
	s_branch .LBB138_345
.LBB138_343:                            ;   in Loop: Header=BB138_201 Depth=1
	s_and_not1_saveexec_b32 s0, s1
	s_cbranch_execz .LBB138_345
.LBB138_344:                            ;   in Loop: Header=BB138_201 Depth=1
	v_mul_f64 v[26:27], |v[2:3]|, s[18:19]
	s_mov_b32 s8, s20
	s_delay_alu instid0(VALU_DEP_1) | instskip(NEXT) | instid1(VALU_DEP_1)
	v_rndne_f64_e32 v[31:32], v[26:27]
	v_fma_f64 v[26:27], v[31:32], s[6:7], |v[2:3]|
	v_mul_f64 v[28:29], v[31:32], s[20:21]
	s_delay_alu instid0(VALU_DEP_2) | instskip(NEXT) | instid1(VALU_DEP_2)
	v_fma_f64 v[35:36], v[31:32], s[20:21], v[26:27]
	v_add_f64 v[33:34], v[26:27], v[28:29]
	s_delay_alu instid0(VALU_DEP_1) | instskip(NEXT) | instid1(VALU_DEP_3)
	v_add_f64 v[26:27], v[26:27], -v[33:34]
	v_add_f64 v[33:34], v[33:34], -v[35:36]
	s_delay_alu instid0(VALU_DEP_2) | instskip(SKIP_1) | instid1(VALU_DEP_2)
	v_add_f64 v[26:27], v[26:27], v[28:29]
	v_fma_f64 v[28:29], v[31:32], s[8:9], v[28:29]
	v_add_f64 v[26:27], v[33:34], v[26:27]
	s_delay_alu instid0(VALU_DEP_1) | instskip(NEXT) | instid1(VALU_DEP_1)
	v_add_f64 v[26:27], v[26:27], -v[28:29]
	v_fma_f64 v[28:29], v[31:32], s[22:23], v[26:27]
	v_cvt_i32_f64_e32 v31, v[31:32]
	s_delay_alu instid0(VALU_DEP_2) | instskip(NEXT) | instid1(VALU_DEP_1)
	v_add_f64 v[26:27], v[35:36], v[28:29]
	v_add_f64 v[33:34], v[26:27], -v[35:36]
	s_delay_alu instid0(VALU_DEP_1)
	v_add_f64 v[28:29], v[28:29], -v[33:34]
.LBB138_345:                            ;   in Loop: Header=BB138_201 Depth=1
	s_or_b32 exec_lo, exec_lo, s0
	v_mul_f64 v[32:33], v[0:1], s[24:25]
	v_mul_f64 v[38:39], v[8:9], v[8:9]
	;; [unrolled: 1-line block ×3, first 2 shown]
	s_mov_b32 s69, s41
	s_mov_b32 s71, s43
	s_delay_alu instid0(VALU_DEP_4)
	v_mul_f64 v[58:59], v[10:11], 0.5
	v_mul_f64 v[64:65], v[28:29], 0.5
	s_mov_b32 s72, s42
	v_cmp_nlt_f64_e64 s1, 0x40900000, v[0:1]
	v_cmp_ngt_f64_e64 s2, 0xc090cc00, v[0:1]
	v_cmp_class_f64_e64 s0, v[2:3], 0x1f8
	v_and_b32_e32 v2, 1, v31
	s_delay_alu instid0(VALU_DEP_1)
	v_cmp_eq_u32_e64 s3, 0, v2
	v_rndne_f64_e32 v[32:33], v[32:33]
	v_fma_f64 v[42:43], v[38:39], s[60:61], s[58:59]
	v_fma_f64 v[44:45], v[40:41], s[60:61], s[58:59]
	v_mul_f64 v[48:49], v[38:39], 0.5
	v_fma_f64 v[46:47], v[38:39], s[50:51], s[48:49]
	v_fma_f64 v[50:51], v[40:41], s[50:51], s[48:49]
	v_mul_f64 v[52:53], v[40:41], 0.5
	v_mul_f64 v[60:61], v[8:9], -v[38:39]
	v_mul_f64 v[66:67], v[26:27], -v[40:41]
	v_fma_f64 v[34:35], v[32:33], s[12:13], v[0:1]
	v_fma_f64 v[42:43], v[38:39], v[42:43], s[62:63]
	;; [unrolled: 1-line block ×3, first 2 shown]
	v_add_f64 v[54:55], -v[48:49], 1.0
	v_fma_f64 v[46:47], v[38:39], v[46:47], s[52:53]
	v_fma_f64 v[50:51], v[40:41], v[50:51], s[52:53]
	v_add_f64 v[56:57], -v[52:53], 1.0
	v_cvt_i32_f64_e32 v21, v[32:33]
	v_lshlrev_b32_e32 v0, 30, v31
	s_delay_alu instid0(VALU_DEP_1) | instskip(NEXT) | instid1(VALU_DEP_1)
	v_xor_b32_e32 v0, v0, v3
	v_and_b32_e32 v3, 0x80000000, v0
	v_fma_f64 v[34:35], v[32:33], s[14:15], v[34:35]
	v_fma_f64 v[42:43], v[38:39], v[42:43], s[64:65]
	;; [unrolled: 1-line block ×3, first 2 shown]
	v_add_f64 v[62:63], -v[54:55], 1.0
	v_fma_f64 v[46:47], v[38:39], v[46:47], s[54:55]
	v_fma_f64 v[50:51], v[40:41], v[50:51], s[54:55]
	v_add_f64 v[68:69], -v[56:57], 1.0
	v_fma_f64 v[36:37], v[34:35], s[28:29], s[26:27]
	v_fma_f64 v[42:43], v[38:39], v[42:43], s[40:41]
	;; [unrolled: 1-line block ×3, first 2 shown]
	v_add_f64 v[48:49], v[62:63], -v[48:49]
	v_fma_f64 v[46:47], v[38:39], v[46:47], s[56:57]
	v_fma_f64 v[50:51], v[40:41], v[50:51], s[56:57]
	v_add_f64 v[52:53], v[68:69], -v[52:53]
	v_fma_f64 v[36:37], v[34:35], v[36:37], s[30:31]
	v_fma_f64 v[42:43], v[60:61], v[42:43], v[58:59]
	;; [unrolled: 1-line block ×3, first 2 shown]
	v_fma_f64 v[48:49], v[8:9], -v[10:11], v[48:49]
	v_mul_f64 v[58:59], v[38:39], v[38:39]
	v_fma_f64 v[46:47], v[38:39], v[46:47], s[42:43]
	v_fma_f64 v[36:37], v[34:35], v[36:37], s[34:35]
	v_fma_f64 v[10:11], v[38:39], v[42:43], -v[10:11]
	v_mul_f64 v[38:39], v[40:41], v[40:41]
	v_fma_f64 v[42:43], v[40:41], v[50:51], s[42:43]
	v_fma_f64 v[50:51], v[26:27], -v[28:29], v[52:53]
	v_fma_f64 v[28:29], v[40:41], v[44:45], -v[28:29]
	v_fma_f64 v[40:41], v[58:59], v[46:47], v[48:49]
	v_fma_f64 v[36:37], v[34:35], v[36:37], s[36:37]
	;; [unrolled: 1-line block ×3, first 2 shown]
	s_delay_alu instid0(VALU_DEP_4) | instskip(NEXT) | instid1(VALU_DEP_3)
	v_fma_f64 v[28:29], v[66:67], s[72:73], v[28:29]
	v_fma_f64 v[36:37], v[34:35], v[36:37], s[38:39]
	s_delay_alu instid0(VALU_DEP_3) | instskip(NEXT) | instid1(VALU_DEP_3)
	v_add_f64 v[8:9], v[8:9], -v[10:11]
	v_add_f64 v[26:27], v[26:27], -v[28:29]
	s_delay_alu instid0(VALU_DEP_3) | instskip(NEXT) | instid1(VALU_DEP_3)
	v_fma_f64 v[36:37], v[34:35], v[36:37], s[68:69]
	v_xor_b32_e32 v9, 0x80000000, v9
	s_delay_alu instid0(VALU_DEP_2) | instskip(NEXT) | instid1(VALU_DEP_1)
	v_fma_f64 v[36:37], v[34:35], v[36:37], s[70:71]
	v_fma_f64 v[36:37], v[34:35], v[36:37], s[44:45]
	s_delay_alu instid0(VALU_DEP_1) | instskip(NEXT) | instid1(VALU_DEP_1)
	v_fma_f64 v[36:37], v[34:35], v[36:37], s[46:47]
	v_fma_f64 v[36:37], v[34:35], v[36:37], 1.0
	s_delay_alu instid0(VALU_DEP_1) | instskip(SKIP_2) | instid1(VALU_DEP_3)
	v_fma_f64 v[32:33], v[34:35], v[36:37], 1.0
	v_fma_f64 v[34:35], v[38:39], v[42:43], v[50:51]
	v_add_f64 v[36:37], v[54:55], v[40:41]
	v_ldexp_f64 v[10:11], v[32:33], v21
	s_delay_alu instid0(VALU_DEP_3) | instskip(SKIP_1) | instid1(VALU_DEP_1)
	v_add_f64 v[32:33], v[56:57], v[34:35]
	v_and_b32_e32 v21, 1, v30
	v_cmp_eq_u32_e32 vcc_lo, 0, v21
	v_dual_cndmask_b32 v2, v9, v37 :: v_dual_lshlrev_b32 v1, 30, v30
	v_cndmask_b32_e32 v8, v8, v36, vcc_lo
	s_and_b32 vcc_lo, s2, s1
	s_delay_alu instid0(VALU_DEP_2) | instskip(NEXT) | instid1(VALU_DEP_2)
	v_and_b32_e32 v1, 0x80000000, v1
	v_cndmask_b32_e64 v0, 0, v8, s0
	v_cndmask_b32_e32 v10, 0, v10, vcc_lo
	v_cndmask_b32_e64 v21, v33, v27, s3
	v_cndmask_b32_e64 v11, 0x7ff00000, v11, s1
	;; [unrolled: 1-line block ×3, first 2 shown]
	v_xor_b32_e32 v1, v2, v1
	s_delay_alu instid0(VALU_DEP_4) | instskip(NEXT) | instid1(VALU_DEP_4)
	v_xor_b32_e32 v3, v21, v3
	v_cndmask_b32_e64 v11, 0, v11, s2
	s_delay_alu instid0(VALU_DEP_4) | instskip(NEXT) | instid1(VALU_DEP_4)
	v_cndmask_b32_e64 v2, 0, v9, s0
	v_cndmask_b32_e64 v1, 0x7ff80000, v1, s0
	s_delay_alu instid0(VALU_DEP_4) | instskip(NEXT) | instid1(VALU_DEP_2)
	v_cndmask_b32_e64 v3, 0x7ff80000, v3, s0
	v_mul_f64 v[8:9], v[10:11], v[0:1]
	s_delay_alu instid0(VALU_DEP_2)
	v_mul_f64 v[10:11], v[10:11], v[2:3]
                                        ; implicit-def: $vgpr2_vgpr3
.LBB138_346:                            ;   in Loop: Header=BB138_201 Depth=1
	s_and_not1_saveexec_b32 s80, s80
	s_cbranch_execz .LBB138_356
; %bb.347:                              ;   in Loop: Header=BB138_201 Depth=1
	v_cmp_ngt_f64_e64 s1, 0x41d00000, |v[2:3]|
                                        ; implicit-def: $vgpr30
                                        ; implicit-def: $vgpr8_vgpr9
                                        ; implicit-def: $vgpr10_vgpr11
	s_delay_alu instid0(VALU_DEP_1) | instskip(NEXT) | instid1(SALU_CYCLE_1)
	s_and_saveexec_b32 s0, s1
	s_xor_b32 s2, exec_lo, s0
	s_cbranch_execz .LBB138_349
; %bb.348:                              ;   in Loop: Header=BB138_201 Depth=1
	v_ldexp_f64 v[8:9], |v[2:3]|, 0xffffff80
	v_cmp_le_f64_e64 vcc_lo, 0x7b000000, |v[2:3]|
	v_trig_preop_f64 v[10:11], |v[2:3]|, 0
	v_and_b32_e32 v21, 0x7fffffff, v3
	v_trig_preop_f64 v[26:27], |v[2:3]|, 1
	v_trig_preop_f64 v[36:37], |v[2:3]|, 2
	s_mov_b32 s4, s6
	s_mov_b32 s17, s9
	v_dual_cndmask_b32 v8, v2, v8 :: v_dual_cndmask_b32 v9, v21, v9
	s_delay_alu instid0(VALU_DEP_1) | instskip(NEXT) | instid1(VALU_DEP_4)
	v_mul_f64 v[28:29], v[10:11], v[8:9]
	v_mul_f64 v[30:31], v[26:27], v[8:9]
	s_delay_alu instid0(VALU_DEP_2) | instskip(NEXT) | instid1(VALU_DEP_2)
	v_fma_f64 v[10:11], v[10:11], v[8:9], -v[28:29]
	v_fma_f64 v[26:27], v[26:27], v[8:9], -v[30:31]
	s_delay_alu instid0(VALU_DEP_2) | instskip(NEXT) | instid1(VALU_DEP_1)
	v_add_f64 v[32:33], v[30:31], v[10:11]
	v_add_f64 v[34:35], v[32:33], -v[30:31]
	v_add_f64 v[40:41], v[28:29], v[32:33]
	s_delay_alu instid0(VALU_DEP_2) | instskip(SKIP_1) | instid1(VALU_DEP_3)
	v_add_f64 v[38:39], v[32:33], -v[34:35]
	v_add_f64 v[10:11], v[10:11], -v[34:35]
	v_ldexp_f64 v[34:35], v[40:41], -2
	v_add_f64 v[28:29], v[40:41], -v[28:29]
	s_delay_alu instid0(VALU_DEP_4) | instskip(NEXT) | instid1(VALU_DEP_3)
	v_add_f64 v[30:31], v[30:31], -v[38:39]
	v_cmp_neq_f64_e64 vcc_lo, 0x7ff00000, |v[34:35]|
	s_delay_alu instid0(VALU_DEP_3) | instskip(NEXT) | instid1(VALU_DEP_3)
	v_add_f64 v[28:29], v[32:33], -v[28:29]
	v_add_f64 v[10:11], v[10:11], v[30:31]
	v_fract_f64_e32 v[30:31], v[34:35]
	s_delay_alu instid0(VALU_DEP_1) | instskip(SKIP_1) | instid1(VALU_DEP_3)
	v_cndmask_b32_e32 v30, 0, v30, vcc_lo
	v_mul_f64 v[42:43], v[36:37], v[8:9]
	v_cndmask_b32_e32 v31, 0, v31, vcc_lo
	s_delay_alu instid0(VALU_DEP_1) | instskip(NEXT) | instid1(VALU_DEP_3)
	v_ldexp_f64 v[30:31], v[30:31], 2
	v_add_f64 v[38:39], v[42:43], v[26:27]
	v_fma_f64 v[8:9], v[36:37], v[8:9], -v[42:43]
	s_delay_alu instid0(VALU_DEP_2) | instskip(NEXT) | instid1(VALU_DEP_1)
	v_add_f64 v[32:33], v[38:39], v[10:11]
	v_add_f64 v[34:35], v[28:29], v[32:33]
	v_add_f64 v[44:45], v[32:33], -v[38:39]
	s_delay_alu instid0(VALU_DEP_2) | instskip(NEXT) | instid1(VALU_DEP_2)
	v_add_f64 v[40:41], v[34:35], v[30:31]
	v_add_f64 v[50:51], v[32:33], -v[44:45]
	v_add_f64 v[10:11], v[10:11], -v[44:45]
	;; [unrolled: 1-line block ×3, first 2 shown]
	s_delay_alu instid0(VALU_DEP_4) | instskip(SKIP_1) | instid1(VALU_DEP_3)
	v_cmp_gt_f64_e32 vcc_lo, 0, v[40:41]
	v_add_f64 v[40:41], v[38:39], -v[42:43]
	v_add_f64 v[28:29], v[32:33], -v[28:29]
	v_cndmask_b32_e64 v21, 0, 0x40100000, vcc_lo
	s_delay_alu instid0(VALU_DEP_3) | instskip(SKIP_2) | instid1(VALU_DEP_4)
	v_add_f64 v[48:49], v[38:39], -v[40:41]
	v_add_f64 v[26:27], v[26:27], -v[40:41]
	;; [unrolled: 1-line block ×3, first 2 shown]
	v_add_f64 v[30:31], v[30:31], v[20:21]
	s_delay_alu instid0(VALU_DEP_4) | instskip(NEXT) | instid1(VALU_DEP_3)
	v_add_f64 v[40:41], v[42:43], -v[48:49]
	v_add_f64 v[10:11], v[10:11], v[38:39]
	s_delay_alu instid0(VALU_DEP_3) | instskip(NEXT) | instid1(VALU_DEP_3)
	v_add_f64 v[46:47], v[34:35], v[30:31]
	v_add_f64 v[26:27], v[26:27], v[40:41]
	s_delay_alu instid0(VALU_DEP_2) | instskip(NEXT) | instid1(VALU_DEP_2)
	v_cvt_i32_f64_e32 v21, v[46:47]
	v_add_f64 v[10:11], v[26:27], v[10:11]
	s_delay_alu instid0(VALU_DEP_2) | instskip(NEXT) | instid1(VALU_DEP_2)
	v_cvt_f64_i32_e32 v[44:45], v21
	v_add_f64 v[8:9], v[8:9], v[10:11]
	s_delay_alu instid0(VALU_DEP_2) | instskip(NEXT) | instid1(VALU_DEP_2)
	v_add_f64 v[30:31], v[30:31], -v[44:45]
	v_add_f64 v[8:9], v[28:29], v[8:9]
	s_delay_alu instid0(VALU_DEP_2) | instskip(NEXT) | instid1(VALU_DEP_1)
	v_add_f64 v[26:27], v[34:35], v[30:31]
	v_add_f64 v[10:11], v[26:27], -v[30:31]
	v_cmp_le_f64_e32 vcc_lo, 0.5, v[26:27]
	s_delay_alu instid0(VALU_DEP_2) | instskip(SKIP_2) | instid1(VALU_DEP_3)
	v_add_f64 v[10:11], v[34:35], -v[10:11]
	v_add_co_ci_u32_e64 v30, s0, 0, v21, vcc_lo
	v_cndmask_b32_e64 v21, 0, 0x3ff00000, vcc_lo
	v_add_f64 v[8:9], v[8:9], v[10:11]
	s_delay_alu instid0(VALU_DEP_2) | instskip(NEXT) | instid1(VALU_DEP_1)
	v_add_f64 v[10:11], v[26:27], -v[20:21]
	v_add_f64 v[26:27], v[10:11], v[8:9]
	s_delay_alu instid0(VALU_DEP_1) | instskip(SKIP_1) | instid1(VALU_DEP_2)
	v_mul_f64 v[28:29], v[26:27], s[4:5]
	v_add_f64 v[10:11], v[26:27], -v[10:11]
	v_fma_f64 v[31:32], v[26:27], s[4:5], -v[28:29]
	s_delay_alu instid0(VALU_DEP_2) | instskip(NEXT) | instid1(VALU_DEP_2)
	v_add_f64 v[8:9], v[8:9], -v[10:11]
	v_fma_f64 v[10:11], v[26:27], s[16:17], v[31:32]
	s_delay_alu instid0(VALU_DEP_1) | instskip(NEXT) | instid1(VALU_DEP_1)
	v_fma_f64 v[10:11], v[8:9], s[4:5], v[10:11]
	v_add_f64 v[8:9], v[28:29], v[10:11]
	s_delay_alu instid0(VALU_DEP_1) | instskip(NEXT) | instid1(VALU_DEP_1)
	v_add_f64 v[26:27], v[8:9], -v[28:29]
	v_add_f64 v[10:11], v[10:11], -v[26:27]
	s_and_not1_saveexec_b32 s0, s2
	s_cbranch_execz .LBB138_351
	s_branch .LBB138_350
.LBB138_349:                            ;   in Loop: Header=BB138_201 Depth=1
	s_and_not1_saveexec_b32 s0, s2
	s_cbranch_execz .LBB138_351
.LBB138_350:                            ;   in Loop: Header=BB138_201 Depth=1
	v_mul_f64 v[8:9], |v[2:3]|, s[18:19]
	s_mov_b32 s8, s20
	s_delay_alu instid0(VALU_DEP_1) | instskip(NEXT) | instid1(VALU_DEP_1)
	v_rndne_f64_e32 v[26:27], v[8:9]
	v_fma_f64 v[8:9], v[26:27], s[6:7], |v[2:3]|
	v_mul_f64 v[10:11], v[26:27], s[20:21]
	s_delay_alu instid0(VALU_DEP_2) | instskip(NEXT) | instid1(VALU_DEP_2)
	v_fma_f64 v[30:31], v[26:27], s[20:21], v[8:9]
	v_add_f64 v[28:29], v[8:9], v[10:11]
	s_delay_alu instid0(VALU_DEP_1) | instskip(NEXT) | instid1(VALU_DEP_3)
	v_add_f64 v[8:9], v[8:9], -v[28:29]
	v_add_f64 v[28:29], v[28:29], -v[30:31]
	s_delay_alu instid0(VALU_DEP_2) | instskip(SKIP_1) | instid1(VALU_DEP_2)
	v_add_f64 v[8:9], v[8:9], v[10:11]
	v_fma_f64 v[10:11], v[26:27], s[8:9], v[10:11]
	v_add_f64 v[8:9], v[28:29], v[8:9]
	s_delay_alu instid0(VALU_DEP_1) | instskip(NEXT) | instid1(VALU_DEP_1)
	v_add_f64 v[8:9], v[8:9], -v[10:11]
	v_fma_f64 v[10:11], v[26:27], s[22:23], v[8:9]
	s_delay_alu instid0(VALU_DEP_1) | instskip(NEXT) | instid1(VALU_DEP_1)
	v_add_f64 v[8:9], v[30:31], v[10:11]
	v_add_f64 v[28:29], v[8:9], -v[30:31]
	v_cvt_i32_f64_e32 v30, v[26:27]
	s_delay_alu instid0(VALU_DEP_2)
	v_add_f64 v[10:11], v[10:11], -v[28:29]
.LBB138_351:                            ;   in Loop: Header=BB138_201 Depth=1
	s_or_b32 exec_lo, exec_lo, s0
                                        ; implicit-def: $vgpr31
                                        ; implicit-def: $vgpr26_vgpr27
                                        ; implicit-def: $vgpr28_vgpr29
	s_and_saveexec_b32 s0, s1
	s_delay_alu instid0(SALU_CYCLE_1)
	s_xor_b32 s1, exec_lo, s0
	s_cbranch_execz .LBB138_353
; %bb.352:                              ;   in Loop: Header=BB138_201 Depth=1
	v_ldexp_f64 v[26:27], |v[2:3]|, 0xffffff80
	v_cmp_le_f64_e64 vcc_lo, 0x7b000000, |v[2:3]|
	v_trig_preop_f64 v[28:29], |v[2:3]|, 0
	v_and_b32_e32 v21, 0x7fffffff, v3
	v_trig_preop_f64 v[31:32], |v[2:3]|, 1
	v_trig_preop_f64 v[41:42], |v[2:3]|, 2
	s_mov_b32 s4, s6
	s_mov_b32 s17, s9
	v_dual_cndmask_b32 v26, v2, v26 :: v_dual_cndmask_b32 v27, v21, v27
	s_delay_alu instid0(VALU_DEP_1) | instskip(NEXT) | instid1(VALU_DEP_4)
	v_mul_f64 v[33:34], v[28:29], v[26:27]
	v_mul_f64 v[35:36], v[31:32], v[26:27]
	s_delay_alu instid0(VALU_DEP_2) | instskip(NEXT) | instid1(VALU_DEP_2)
	v_fma_f64 v[28:29], v[28:29], v[26:27], -v[33:34]
	v_fma_f64 v[31:32], v[31:32], v[26:27], -v[35:36]
	s_delay_alu instid0(VALU_DEP_2) | instskip(NEXT) | instid1(VALU_DEP_1)
	v_add_f64 v[37:38], v[35:36], v[28:29]
	v_add_f64 v[39:40], v[37:38], -v[35:36]
	v_add_f64 v[45:46], v[33:34], v[37:38]
	s_delay_alu instid0(VALU_DEP_2) | instskip(SKIP_1) | instid1(VALU_DEP_3)
	v_add_f64 v[43:44], v[37:38], -v[39:40]
	v_add_f64 v[28:29], v[28:29], -v[39:40]
	v_ldexp_f64 v[39:40], v[45:46], -2
	v_add_f64 v[33:34], v[45:46], -v[33:34]
	s_delay_alu instid0(VALU_DEP_4) | instskip(NEXT) | instid1(VALU_DEP_3)
	v_add_f64 v[35:36], v[35:36], -v[43:44]
	v_cmp_neq_f64_e64 vcc_lo, 0x7ff00000, |v[39:40]|
	s_delay_alu instid0(VALU_DEP_3) | instskip(NEXT) | instid1(VALU_DEP_3)
	v_add_f64 v[33:34], v[37:38], -v[33:34]
	v_add_f64 v[28:29], v[28:29], v[35:36]
	v_fract_f64_e32 v[35:36], v[39:40]
	s_delay_alu instid0(VALU_DEP_1) | instskip(SKIP_1) | instid1(VALU_DEP_3)
	v_cndmask_b32_e32 v36, 0, v36, vcc_lo
	v_mul_f64 v[47:48], v[41:42], v[26:27]
	v_cndmask_b32_e32 v35, 0, v35, vcc_lo
	s_delay_alu instid0(VALU_DEP_1) | instskip(NEXT) | instid1(VALU_DEP_3)
	v_ldexp_f64 v[35:36], v[35:36], 2
	v_add_f64 v[43:44], v[47:48], v[31:32]
	v_fma_f64 v[26:27], v[41:42], v[26:27], -v[47:48]
	s_delay_alu instid0(VALU_DEP_2) | instskip(NEXT) | instid1(VALU_DEP_1)
	v_add_f64 v[37:38], v[43:44], v[28:29]
	v_add_f64 v[39:40], v[33:34], v[37:38]
	v_add_f64 v[49:50], v[37:38], -v[43:44]
	s_delay_alu instid0(VALU_DEP_2) | instskip(NEXT) | instid1(VALU_DEP_2)
	v_add_f64 v[45:46], v[39:40], v[35:36]
	v_add_f64 v[55:56], v[37:38], -v[49:50]
	v_add_f64 v[28:29], v[28:29], -v[49:50]
	;; [unrolled: 1-line block ×3, first 2 shown]
	s_delay_alu instid0(VALU_DEP_4) | instskip(SKIP_2) | instid1(VALU_DEP_2)
	v_cmp_gt_f64_e32 vcc_lo, 0, v[45:46]
	v_add_f64 v[45:46], v[43:44], -v[47:48]
	v_cndmask_b32_e64 v21, 0, 0x40100000, vcc_lo
	v_add_f64 v[53:54], v[43:44], -v[45:46]
	v_add_f64 v[31:32], v[31:32], -v[45:46]
	;; [unrolled: 1-line block ×3, first 2 shown]
	s_delay_alu instid0(VALU_DEP_4) | instskip(NEXT) | instid1(VALU_DEP_4)
	v_add_f64 v[35:36], v[35:36], v[20:21]
	v_add_f64 v[45:46], v[47:48], -v[53:54]
	s_delay_alu instid0(VALU_DEP_3) | instskip(NEXT) | instid1(VALU_DEP_3)
	v_add_f64 v[28:29], v[28:29], v[43:44]
	v_add_f64 v[51:52], v[39:40], v[35:36]
	s_delay_alu instid0(VALU_DEP_3) | instskip(NEXT) | instid1(VALU_DEP_2)
	v_add_f64 v[31:32], v[31:32], v[45:46]
	v_cvt_i32_f64_e32 v21, v[51:52]
	s_delay_alu instid0(VALU_DEP_2) | instskip(SKIP_1) | instid1(VALU_DEP_3)
	v_add_f64 v[28:29], v[31:32], v[28:29]
	v_add_f64 v[31:32], v[37:38], -v[33:34]
	v_cvt_f64_i32_e32 v[49:50], v21
	s_delay_alu instid0(VALU_DEP_3) | instskip(NEXT) | instid1(VALU_DEP_2)
	v_add_f64 v[26:27], v[26:27], v[28:29]
	v_add_f64 v[35:36], v[35:36], -v[49:50]
	s_delay_alu instid0(VALU_DEP_2) | instskip(NEXT) | instid1(VALU_DEP_2)
	v_add_f64 v[26:27], v[31:32], v[26:27]
	v_add_f64 v[41:42], v[39:40], v[35:36]
	s_delay_alu instid0(VALU_DEP_1) | instskip(SKIP_1) | instid1(VALU_DEP_2)
	v_add_f64 v[28:29], v[41:42], -v[35:36]
	v_cmp_le_f64_e32 vcc_lo, 0.5, v[41:42]
	v_add_f64 v[28:29], v[39:40], -v[28:29]
	v_add_co_ci_u32_e64 v31, s0, 0, v21, vcc_lo
	v_cndmask_b32_e64 v21, 0, 0x3ff00000, vcc_lo
	s_delay_alu instid0(VALU_DEP_3) | instskip(NEXT) | instid1(VALU_DEP_2)
	v_add_f64 v[26:27], v[26:27], v[28:29]
	v_add_f64 v[28:29], v[41:42], -v[20:21]
	s_delay_alu instid0(VALU_DEP_1) | instskip(NEXT) | instid1(VALU_DEP_1)
	v_add_f64 v[32:33], v[28:29], v[26:27]
	v_mul_f64 v[34:35], v[32:33], s[4:5]
	v_add_f64 v[28:29], v[32:33], -v[28:29]
	s_delay_alu instid0(VALU_DEP_2) | instskip(NEXT) | instid1(VALU_DEP_2)
	v_fma_f64 v[36:37], v[32:33], s[4:5], -v[34:35]
	v_add_f64 v[26:27], v[26:27], -v[28:29]
	s_delay_alu instid0(VALU_DEP_2) | instskip(NEXT) | instid1(VALU_DEP_1)
	v_fma_f64 v[28:29], v[32:33], s[16:17], v[36:37]
	v_fma_f64 v[28:29], v[26:27], s[4:5], v[28:29]
	s_delay_alu instid0(VALU_DEP_1) | instskip(NEXT) | instid1(VALU_DEP_1)
	v_add_f64 v[26:27], v[34:35], v[28:29]
	v_add_f64 v[32:33], v[26:27], -v[34:35]
	s_delay_alu instid0(VALU_DEP_1)
	v_add_f64 v[28:29], v[28:29], -v[32:33]
	s_and_not1_saveexec_b32 s0, s1
	s_cbranch_execnz .LBB138_354
	s_branch .LBB138_355
.LBB138_353:                            ;   in Loop: Header=BB138_201 Depth=1
	s_and_not1_saveexec_b32 s0, s1
	s_cbranch_execz .LBB138_355
.LBB138_354:                            ;   in Loop: Header=BB138_201 Depth=1
	v_mul_f64 v[26:27], |v[2:3]|, s[18:19]
	s_mov_b32 s8, s20
	s_delay_alu instid0(VALU_DEP_1) | instskip(NEXT) | instid1(VALU_DEP_1)
	v_rndne_f64_e32 v[31:32], v[26:27]
	v_fma_f64 v[26:27], v[31:32], s[6:7], |v[2:3]|
	v_mul_f64 v[28:29], v[31:32], s[20:21]
	s_delay_alu instid0(VALU_DEP_2) | instskip(NEXT) | instid1(VALU_DEP_2)
	v_fma_f64 v[35:36], v[31:32], s[20:21], v[26:27]
	v_add_f64 v[33:34], v[26:27], v[28:29]
	s_delay_alu instid0(VALU_DEP_1) | instskip(NEXT) | instid1(VALU_DEP_3)
	v_add_f64 v[26:27], v[26:27], -v[33:34]
	v_add_f64 v[33:34], v[33:34], -v[35:36]
	s_delay_alu instid0(VALU_DEP_2) | instskip(SKIP_1) | instid1(VALU_DEP_2)
	v_add_f64 v[26:27], v[26:27], v[28:29]
	v_fma_f64 v[28:29], v[31:32], s[8:9], v[28:29]
	v_add_f64 v[26:27], v[33:34], v[26:27]
	s_delay_alu instid0(VALU_DEP_1) | instskip(NEXT) | instid1(VALU_DEP_1)
	v_add_f64 v[26:27], v[26:27], -v[28:29]
	v_fma_f64 v[28:29], v[31:32], s[22:23], v[26:27]
	v_cvt_i32_f64_e32 v31, v[31:32]
	s_delay_alu instid0(VALU_DEP_2) | instskip(NEXT) | instid1(VALU_DEP_1)
	v_add_f64 v[26:27], v[35:36], v[28:29]
	v_add_f64 v[33:34], v[26:27], -v[35:36]
	s_delay_alu instid0(VALU_DEP_1)
	v_add_f64 v[28:29], v[28:29], -v[33:34]
.LBB138_355:                            ;   in Loop: Header=BB138_201 Depth=1
	s_or_b32 exec_lo, exec_lo, s0
	v_add_f64 v[0:1], v[0:1], s[66:67]
	s_delay_alu instid0(VALU_DEP_4) | instskip(SKIP_3) | instid1(VALU_DEP_4)
	v_mul_f64 v[38:39], v[8:9], v[8:9]
	v_mul_f64 v[40:41], v[26:27], v[26:27]
	s_mov_b32 s69, s41
	s_mov_b32 s71, s43
	v_mul_f64 v[58:59], v[10:11], 0.5
	v_mul_f64 v[64:65], v[28:29], 0.5
	s_mov_b32 s72, s42
	v_cmp_class_f64_e64 s0, v[2:3], 0x1f8
	v_mul_f64 v[32:33], v[0:1], s[24:25]
	v_fma_f64 v[42:43], v[38:39], s[60:61], s[58:59]
	v_fma_f64 v[44:45], v[40:41], s[60:61], s[58:59]
	v_mul_f64 v[48:49], v[38:39], 0.5
	v_fma_f64 v[46:47], v[38:39], s[50:51], s[48:49]
	v_fma_f64 v[50:51], v[40:41], s[50:51], s[48:49]
	v_mul_f64 v[52:53], v[40:41], 0.5
	v_mul_f64 v[60:61], v[8:9], -v[38:39]
	v_mul_f64 v[66:67], v[26:27], -v[40:41]
	v_cmp_nlt_f64_e64 s1, 0x40900000, v[0:1]
	v_cmp_ngt_f64_e64 s2, 0xc090cc00, v[0:1]
	v_rndne_f64_e32 v[32:33], v[32:33]
	v_fma_f64 v[42:43], v[38:39], v[42:43], s[62:63]
	v_fma_f64 v[44:45], v[40:41], v[44:45], s[62:63]
	v_add_f64 v[54:55], -v[48:49], 1.0
	v_fma_f64 v[46:47], v[38:39], v[46:47], s[52:53]
	v_fma_f64 v[50:51], v[40:41], v[50:51], s[52:53]
	v_add_f64 v[56:57], -v[52:53], 1.0
	v_fma_f64 v[34:35], v[32:33], s[12:13], v[0:1]
	v_fma_f64 v[42:43], v[38:39], v[42:43], s[64:65]
	;; [unrolled: 1-line block ×3, first 2 shown]
	v_add_f64 v[62:63], -v[54:55], 1.0
	v_fma_f64 v[46:47], v[38:39], v[46:47], s[54:55]
	v_fma_f64 v[50:51], v[40:41], v[50:51], s[54:55]
	v_add_f64 v[68:69], -v[56:57], 1.0
	v_cvt_i32_f64_e32 v21, v[32:33]
	v_lshlrev_b32_e32 v1, 30, v30
	v_fma_f64 v[34:35], v[32:33], s[14:15], v[34:35]
	v_fma_f64 v[42:43], v[38:39], v[42:43], s[40:41]
	;; [unrolled: 1-line block ×3, first 2 shown]
	v_add_f64 v[48:49], v[62:63], -v[48:49]
	v_fma_f64 v[46:47], v[38:39], v[46:47], s[56:57]
	v_fma_f64 v[50:51], v[40:41], v[50:51], s[56:57]
	v_add_f64 v[52:53], v[68:69], -v[52:53]
	v_fma_f64 v[36:37], v[34:35], s[28:29], s[26:27]
	v_fma_f64 v[42:43], v[60:61], v[42:43], v[58:59]
	;; [unrolled: 1-line block ×3, first 2 shown]
	v_fma_f64 v[48:49], v[8:9], -v[10:11], v[48:49]
	v_mul_f64 v[58:59], v[38:39], v[38:39]
	v_fma_f64 v[46:47], v[38:39], v[46:47], s[42:43]
	v_fma_f64 v[36:37], v[34:35], v[36:37], s[30:31]
	v_fma_f64 v[10:11], v[38:39], v[42:43], -v[10:11]
	v_mul_f64 v[38:39], v[40:41], v[40:41]
	v_fma_f64 v[42:43], v[40:41], v[50:51], s[42:43]
	v_fma_f64 v[50:51], v[26:27], -v[28:29], v[52:53]
	v_fma_f64 v[28:29], v[40:41], v[44:45], -v[28:29]
	v_fma_f64 v[40:41], v[58:59], v[46:47], v[48:49]
	v_fma_f64 v[36:37], v[34:35], v[36:37], s[34:35]
	;; [unrolled: 1-line block ×3, first 2 shown]
	s_delay_alu instid0(VALU_DEP_4) | instskip(NEXT) | instid1(VALU_DEP_3)
	v_fma_f64 v[28:29], v[66:67], s[72:73], v[28:29]
	v_fma_f64 v[36:37], v[34:35], v[36:37], s[36:37]
	s_delay_alu instid0(VALU_DEP_3) | instskip(NEXT) | instid1(VALU_DEP_3)
	v_add_f64 v[8:9], v[8:9], -v[10:11]
	v_add_f64 v[26:27], v[26:27], -v[28:29]
	s_delay_alu instid0(VALU_DEP_3) | instskip(NEXT) | instid1(VALU_DEP_3)
	v_fma_f64 v[36:37], v[34:35], v[36:37], s[38:39]
	v_xor_b32_e32 v9, 0x80000000, v9
	s_delay_alu instid0(VALU_DEP_2) | instskip(NEXT) | instid1(VALU_DEP_1)
	v_fma_f64 v[36:37], v[34:35], v[36:37], s[68:69]
	v_fma_f64 v[36:37], v[34:35], v[36:37], s[70:71]
	s_delay_alu instid0(VALU_DEP_1) | instskip(NEXT) | instid1(VALU_DEP_1)
	v_fma_f64 v[36:37], v[34:35], v[36:37], s[44:45]
	v_fma_f64 v[36:37], v[34:35], v[36:37], s[46:47]
	s_delay_alu instid0(VALU_DEP_1) | instskip(NEXT) | instid1(VALU_DEP_1)
	v_fma_f64 v[36:37], v[34:35], v[36:37], 1.0
	v_fma_f64 v[32:33], v[34:35], v[36:37], 1.0
	v_fma_f64 v[34:35], v[38:39], v[42:43], v[50:51]
	v_add_f64 v[36:37], v[54:55], v[40:41]
	s_delay_alu instid0(VALU_DEP_3) | instskip(NEXT) | instid1(VALU_DEP_3)
	v_ldexp_f64 v[10:11], v[32:33], v21
	v_add_f64 v[32:33], v[56:57], v[34:35]
	v_and_b32_e32 v21, 1, v30
	s_delay_alu instid0(VALU_DEP_1) | instskip(SKIP_2) | instid1(VALU_DEP_2)
	v_cmp_eq_u32_e32 vcc_lo, 0, v21
	v_lshlrev_b32_e32 v0, 30, v31
	v_cndmask_b32_e32 v8, v8, v36, vcc_lo
	v_xor_b32_e32 v0, v0, v3
	v_cndmask_b32_e32 v3, v9, v37, vcc_lo
	s_and_b32 vcc_lo, s2, s1
	s_delay_alu instid0(VALU_DEP_2) | instskip(SKIP_4) | instid1(VALU_DEP_2)
	v_and_b32_e32 v9, 0x80000000, v0
	v_cndmask_b32_e64 v0, 0, v8, s0
	v_cndmask_b32_e64 v2, 0x7ff00000, v11, s1
	v_dual_cndmask_b32 v8, 0, v10 :: v_dual_and_b32 v11, 1, v31
	v_dual_mov_b32 v10, v20 :: v_dual_and_b32 v1, 0x80000000, v1
	v_cmp_eq_u32_e64 s3, 0, v11
	s_delay_alu instid0(VALU_DEP_2) | instskip(NEXT) | instid1(VALU_DEP_2)
	v_xor_b32_e32 v1, v3, v1
	v_cndmask_b32_e64 v21, v33, v27, s3
	v_cndmask_b32_e64 v11, v32, v26, s3
	;; [unrolled: 1-line block ×3, first 2 shown]
	s_delay_alu instid0(VALU_DEP_4) | instskip(NEXT) | instid1(VALU_DEP_4)
	v_cndmask_b32_e64 v1, 0x7ff80000, v1, s0
	v_xor_b32_e32 v3, v21, v9
	s_delay_alu instid0(VALU_DEP_4) | instskip(NEXT) | instid1(VALU_DEP_4)
	v_cndmask_b32_e64 v2, 0, v11, s0
	v_and_or_b32 v9, v26, s76, 0x7fe00000
	s_delay_alu instid0(VALU_DEP_3) | instskip(NEXT) | instid1(VALU_DEP_2)
	v_cndmask_b32_e64 v3, 0x7ff80000, v3, s0
	v_mul_f64 v[0:1], v[8:9], v[0:1]
	s_delay_alu instid0(VALU_DEP_2) | instskip(SKIP_1) | instid1(VALU_DEP_1)
	v_mul_f64 v[2:3], v[8:9], v[2:3]
	v_lshrrev_b32_e32 v8, 20, v26
	v_add_nc_u32_e32 v8, 0xffffff09, v8
	s_delay_alu instid0(VALU_DEP_1) | instskip(NEXT) | instid1(VALU_DEP_1)
	v_lshrrev_b16 v9, 15, v8
	v_add_nc_u16 v9, v8, v9
	s_delay_alu instid0(VALU_DEP_1) | instskip(NEXT) | instid1(VALU_DEP_1)
	v_ashrrev_i16 v9, 1, v9
	v_bfe_i32 v9, v9, 0, 16
	s_delay_alu instid0(VALU_DEP_1) | instskip(SKIP_1) | instid1(VALU_DEP_2)
	v_lshl_add_u32 v21, v9, 20, 0x3ff00000
	v_sub_nc_u32_e32 v8, v8, v9
	v_mul_f64 v[0:1], v[0:1], v[20:21]
	s_delay_alu instid0(VALU_DEP_2) | instskip(SKIP_1) | instid1(VALU_DEP_2)
	v_lshl_add_u32 v11, v8, 20, 0x3ff00000
	v_mul_f64 v[2:3], v[2:3], v[20:21]
	v_mul_f64 v[8:9], v[0:1], v[10:11]
	s_delay_alu instid0(VALU_DEP_2)
	v_mul_f64 v[10:11], v[2:3], v[10:11]
.LBB138_356:                            ;   in Loop: Header=BB138_201 Depth=1
	s_or_b32 exec_lo, exec_lo, s80
                                        ; implicit-def: $vgpr0_vgpr1
                                        ; implicit-def: $vgpr21
.LBB138_357:                            ;   in Loop: Header=BB138_201 Depth=1
	s_and_not1_saveexec_b32 s1, s79
	s_cbranch_execz .LBB138_363
; %bb.358:                              ;   in Loop: Header=BB138_201 Depth=1
	v_add_f64 v[10:11], v[2:3], -v[2:3]
	v_cmp_ne_u32_e32 vcc_lo, 0, v0
	v_cmp_ne_u32_e64 s0, 0x7ff00000, v21
	s_delay_alu instid0(VALU_DEP_1) | instskip(NEXT) | instid1(SALU_CYCLE_1)
	s_or_b32 s0, vcc_lo, s0
	s_and_saveexec_b32 s2, s0
	s_delay_alu instid0(SALU_CYCLE_1)
	s_xor_b32 s0, exec_lo, s2
; %bb.359:                              ;   in Loop: Header=BB138_201 Depth=1
                                        ; implicit-def: $vgpr0_vgpr1
; %bb.360:                              ;   in Loop: Header=BB138_201 Depth=1
	s_delay_alu instid0(SALU_CYCLE_1) | instskip(NEXT) | instid1(VALU_DEP_3)
	s_or_saveexec_b32 s0, s0
	v_dual_mov_b32 v8, v10 :: v_dual_mov_b32 v9, v11
	s_xor_b32 exec_lo, exec_lo, s0
; %bb.361:                              ;   in Loop: Header=BB138_201 Depth=1
	v_cmp_lt_i64_e32 vcc_lo, -1, v[0:1]
	v_dual_cndmask_b32 v9, 0, v1 :: v_dual_cndmask_b32 v8, 0, v0
	v_dual_cndmask_b32 v11, 0, v11 :: v_dual_cndmask_b32 v10, 0, v10
; %bb.362:                              ;   in Loop: Header=BB138_201 Depth=1
	s_or_b32 exec_lo, exec_lo, s0
.LBB138_363:                            ;   in Loop: Header=BB138_201 Depth=1
	s_delay_alu instid0(SALU_CYCLE_1)
	s_or_b32 exec_lo, exec_lo, s1
                                        ; implicit-def: $vgpr2_vgpr3
.LBB138_364:                            ;   in Loop: Header=BB138_201 Depth=1
	s_and_not1_saveexec_b32 s2, s78
	s_cbranch_execz .LBB138_374
; %bb.365:                              ;   in Loop: Header=BB138_201 Depth=1
	v_cmp_ngt_f64_e64 s1, 0x41d00000, |v[2:3]|
                                        ; implicit-def: $vgpr28
                                        ; implicit-def: $vgpr0_vgpr1
                                        ; implicit-def: $vgpr8_vgpr9
	s_delay_alu instid0(VALU_DEP_1) | instskip(NEXT) | instid1(SALU_CYCLE_1)
	s_and_saveexec_b32 s0, s1
	s_xor_b32 s3, exec_lo, s0
	s_cbranch_execz .LBB138_367
; %bb.366:                              ;   in Loop: Header=BB138_201 Depth=1
	v_ldexp_f64 v[0:1], |v[2:3]|, 0xffffff80
	v_cmp_le_f64_e64 vcc_lo, 0x7b000000, |v[2:3]|
	v_trig_preop_f64 v[8:9], |v[2:3]|, 0
	v_and_b32_e32 v10, 0x7fffffff, v3
	v_trig_preop_f64 v[34:35], |v[2:3]|, 2
	s_mov_b32 s4, s6
	s_mov_b32 s17, s9
	s_delay_alu instid0(VALU_DEP_2) | instskip(SKIP_2) | instid1(VALU_DEP_2)
	v_cndmask_b32_e32 v1, v10, v1, vcc_lo
	v_cndmask_b32_e32 v0, v2, v0, vcc_lo
	v_trig_preop_f64 v[10:11], |v[2:3]|, 1
	v_mul_f64 v[26:27], v[8:9], v[0:1]
	s_delay_alu instid0(VALU_DEP_2) | instskip(NEXT) | instid1(VALU_DEP_2)
	v_mul_f64 v[28:29], v[10:11], v[0:1]
	v_fma_f64 v[8:9], v[8:9], v[0:1], -v[26:27]
	s_delay_alu instid0(VALU_DEP_2) | instskip(NEXT) | instid1(VALU_DEP_2)
	v_fma_f64 v[10:11], v[10:11], v[0:1], -v[28:29]
	v_add_f64 v[30:31], v[28:29], v[8:9]
	s_delay_alu instid0(VALU_DEP_1) | instskip(SKIP_1) | instid1(VALU_DEP_2)
	v_add_f64 v[32:33], v[30:31], -v[28:29]
	v_add_f64 v[38:39], v[26:27], v[30:31]
	v_add_f64 v[36:37], v[30:31], -v[32:33]
	v_add_f64 v[8:9], v[8:9], -v[32:33]
	s_delay_alu instid0(VALU_DEP_3) | instskip(SKIP_1) | instid1(VALU_DEP_4)
	v_ldexp_f64 v[32:33], v[38:39], -2
	v_add_f64 v[26:27], v[38:39], -v[26:27]
	v_add_f64 v[28:29], v[28:29], -v[36:37]
	s_delay_alu instid0(VALU_DEP_3) | instskip(NEXT) | instid1(VALU_DEP_3)
	v_cmp_neq_f64_e64 vcc_lo, 0x7ff00000, |v[32:33]|
	v_add_f64 v[26:27], v[30:31], -v[26:27]
	s_delay_alu instid0(VALU_DEP_3) | instskip(SKIP_1) | instid1(VALU_DEP_1)
	v_add_f64 v[8:9], v[8:9], v[28:29]
	v_fract_f64_e32 v[28:29], v[32:33]
	v_cndmask_b32_e32 v28, 0, v28, vcc_lo
	v_mul_f64 v[40:41], v[34:35], v[0:1]
	s_delay_alu instid0(VALU_DEP_3) | instskip(NEXT) | instid1(VALU_DEP_1)
	v_cndmask_b32_e32 v29, 0, v29, vcc_lo
	v_ldexp_f64 v[28:29], v[28:29], 2
	s_delay_alu instid0(VALU_DEP_3) | instskip(SKIP_1) | instid1(VALU_DEP_2)
	v_add_f64 v[36:37], v[40:41], v[10:11]
	v_fma_f64 v[0:1], v[34:35], v[0:1], -v[40:41]
	v_add_f64 v[30:31], v[36:37], v[8:9]
	s_delay_alu instid0(VALU_DEP_1) | instskip(SKIP_1) | instid1(VALU_DEP_2)
	v_add_f64 v[32:33], v[26:27], v[30:31]
	v_add_f64 v[42:43], v[30:31], -v[36:37]
	v_add_f64 v[38:39], v[32:33], v[28:29]
	s_delay_alu instid0(VALU_DEP_2) | instskip(SKIP_2) | instid1(VALU_DEP_4)
	v_add_f64 v[48:49], v[30:31], -v[42:43]
	v_add_f64 v[8:9], v[8:9], -v[42:43]
	;; [unrolled: 1-line block ×3, first 2 shown]
	v_cmp_gt_f64_e32 vcc_lo, 0, v[38:39]
	v_add_f64 v[38:39], v[36:37], -v[40:41]
	s_delay_alu instid0(VALU_DEP_3) | instskip(SKIP_1) | instid1(VALU_DEP_3)
	v_add_f64 v[26:27], v[30:31], -v[26:27]
	v_cndmask_b32_e64 v21, 0, 0x40100000, vcc_lo
	v_add_f64 v[46:47], v[36:37], -v[38:39]
	v_add_f64 v[10:11], v[10:11], -v[38:39]
	;; [unrolled: 1-line block ×3, first 2 shown]
	s_delay_alu instid0(VALU_DEP_4) | instskip(NEXT) | instid1(VALU_DEP_4)
	v_add_f64 v[28:29], v[28:29], v[20:21]
	v_add_f64 v[38:39], v[40:41], -v[46:47]
	s_delay_alu instid0(VALU_DEP_3) | instskip(NEXT) | instid1(VALU_DEP_3)
	v_add_f64 v[8:9], v[8:9], v[36:37]
	v_add_f64 v[44:45], v[32:33], v[28:29]
	s_delay_alu instid0(VALU_DEP_3) | instskip(NEXT) | instid1(VALU_DEP_2)
	v_add_f64 v[10:11], v[10:11], v[38:39]
	v_cvt_i32_f64_e32 v21, v[44:45]
	s_delay_alu instid0(VALU_DEP_2) | instskip(NEXT) | instid1(VALU_DEP_2)
	v_add_f64 v[8:9], v[10:11], v[8:9]
	v_cvt_f64_i32_e32 v[42:43], v21
	s_delay_alu instid0(VALU_DEP_2) | instskip(NEXT) | instid1(VALU_DEP_2)
	v_add_f64 v[0:1], v[0:1], v[8:9]
	v_add_f64 v[28:29], v[28:29], -v[42:43]
	s_delay_alu instid0(VALU_DEP_2) | instskip(NEXT) | instid1(VALU_DEP_2)
	v_add_f64 v[0:1], v[26:27], v[0:1]
	v_add_f64 v[10:11], v[32:33], v[28:29]
	s_delay_alu instid0(VALU_DEP_1) | instskip(SKIP_1) | instid1(VALU_DEP_2)
	v_add_f64 v[8:9], v[10:11], -v[28:29]
	v_cmp_le_f64_e32 vcc_lo, 0.5, v[10:11]
	v_add_f64 v[8:9], v[32:33], -v[8:9]
	v_add_co_ci_u32_e64 v28, s0, 0, v21, vcc_lo
	v_cndmask_b32_e64 v21, 0, 0x3ff00000, vcc_lo
	s_delay_alu instid0(VALU_DEP_3) | instskip(NEXT) | instid1(VALU_DEP_2)
	v_add_f64 v[0:1], v[0:1], v[8:9]
	v_add_f64 v[8:9], v[10:11], -v[20:21]
	s_delay_alu instid0(VALU_DEP_1) | instskip(NEXT) | instid1(VALU_DEP_1)
	v_add_f64 v[10:11], v[8:9], v[0:1]
	v_mul_f64 v[26:27], v[10:11], s[4:5]
	v_add_f64 v[8:9], v[10:11], -v[8:9]
	s_delay_alu instid0(VALU_DEP_2) | instskip(NEXT) | instid1(VALU_DEP_2)
	v_fma_f64 v[29:30], v[10:11], s[4:5], -v[26:27]
	v_add_f64 v[0:1], v[0:1], -v[8:9]
	s_delay_alu instid0(VALU_DEP_2) | instskip(NEXT) | instid1(VALU_DEP_1)
	v_fma_f64 v[8:9], v[10:11], s[16:17], v[29:30]
	v_fma_f64 v[8:9], v[0:1], s[4:5], v[8:9]
	s_delay_alu instid0(VALU_DEP_1) | instskip(NEXT) | instid1(VALU_DEP_1)
	v_add_f64 v[0:1], v[26:27], v[8:9]
	v_add_f64 v[10:11], v[0:1], -v[26:27]
	s_delay_alu instid0(VALU_DEP_1)
	v_add_f64 v[8:9], v[8:9], -v[10:11]
	s_and_not1_saveexec_b32 s0, s3
	s_cbranch_execz .LBB138_369
	s_branch .LBB138_368
.LBB138_367:                            ;   in Loop: Header=BB138_201 Depth=1
	s_and_not1_saveexec_b32 s0, s3
	s_cbranch_execz .LBB138_369
.LBB138_368:                            ;   in Loop: Header=BB138_201 Depth=1
	v_mul_f64 v[0:1], |v[2:3]|, s[18:19]
	s_mov_b32 s8, s20
	s_delay_alu instid0(VALU_DEP_1) | instskip(NEXT) | instid1(VALU_DEP_1)
	v_rndne_f64_e32 v[10:11], v[0:1]
	v_fma_f64 v[0:1], v[10:11], s[6:7], |v[2:3]|
	v_mul_f64 v[8:9], v[10:11], s[20:21]
	s_delay_alu instid0(VALU_DEP_2) | instskip(NEXT) | instid1(VALU_DEP_2)
	v_fma_f64 v[28:29], v[10:11], s[20:21], v[0:1]
	v_add_f64 v[26:27], v[0:1], v[8:9]
	s_delay_alu instid0(VALU_DEP_1) | instskip(NEXT) | instid1(VALU_DEP_3)
	v_add_f64 v[0:1], v[0:1], -v[26:27]
	v_add_f64 v[26:27], v[26:27], -v[28:29]
	s_delay_alu instid0(VALU_DEP_2) | instskip(SKIP_1) | instid1(VALU_DEP_2)
	v_add_f64 v[0:1], v[0:1], v[8:9]
	v_fma_f64 v[8:9], v[10:11], s[8:9], v[8:9]
	v_add_f64 v[0:1], v[26:27], v[0:1]
	s_delay_alu instid0(VALU_DEP_1) | instskip(NEXT) | instid1(VALU_DEP_1)
	v_add_f64 v[0:1], v[0:1], -v[8:9]
	v_fma_f64 v[8:9], v[10:11], s[22:23], v[0:1]
	s_delay_alu instid0(VALU_DEP_1) | instskip(NEXT) | instid1(VALU_DEP_1)
	v_add_f64 v[0:1], v[28:29], v[8:9]
	v_add_f64 v[26:27], v[0:1], -v[28:29]
	v_cvt_i32_f64_e32 v28, v[10:11]
	s_delay_alu instid0(VALU_DEP_2)
	v_add_f64 v[8:9], v[8:9], -v[26:27]
.LBB138_369:                            ;   in Loop: Header=BB138_201 Depth=1
	s_or_b32 exec_lo, exec_lo, s0
                                        ; implicit-def: $vgpr29
                                        ; implicit-def: $vgpr10_vgpr11
                                        ; implicit-def: $vgpr26_vgpr27
	s_and_saveexec_b32 s0, s1
	s_delay_alu instid0(SALU_CYCLE_1)
	s_xor_b32 s1, exec_lo, s0
	s_cbranch_execz .LBB138_371
; %bb.370:                              ;   in Loop: Header=BB138_201 Depth=1
	v_ldexp_f64 v[10:11], |v[2:3]|, 0xffffff80
	v_cmp_le_f64_e64 vcc_lo, 0x7b000000, |v[2:3]|
	v_trig_preop_f64 v[26:27], |v[2:3]|, 0
	v_and_b32_e32 v21, 0x7fffffff, v3
	v_trig_preop_f64 v[29:30], |v[2:3]|, 1
	v_trig_preop_f64 v[39:40], |v[2:3]|, 2
	s_mov_b32 s4, s6
	s_mov_b32 s17, s9
	v_dual_cndmask_b32 v10, v2, v10 :: v_dual_cndmask_b32 v11, v21, v11
	s_delay_alu instid0(VALU_DEP_1) | instskip(NEXT) | instid1(VALU_DEP_4)
	v_mul_f64 v[31:32], v[26:27], v[10:11]
	v_mul_f64 v[33:34], v[29:30], v[10:11]
	s_delay_alu instid0(VALU_DEP_2) | instskip(NEXT) | instid1(VALU_DEP_2)
	v_fma_f64 v[26:27], v[26:27], v[10:11], -v[31:32]
	v_fma_f64 v[29:30], v[29:30], v[10:11], -v[33:34]
	s_delay_alu instid0(VALU_DEP_2) | instskip(NEXT) | instid1(VALU_DEP_1)
	v_add_f64 v[35:36], v[33:34], v[26:27]
	v_add_f64 v[37:38], v[35:36], -v[33:34]
	v_add_f64 v[43:44], v[31:32], v[35:36]
	s_delay_alu instid0(VALU_DEP_2) | instskip(SKIP_1) | instid1(VALU_DEP_3)
	v_add_f64 v[41:42], v[35:36], -v[37:38]
	v_add_f64 v[26:27], v[26:27], -v[37:38]
	v_ldexp_f64 v[37:38], v[43:44], -2
	v_add_f64 v[31:32], v[43:44], -v[31:32]
	s_delay_alu instid0(VALU_DEP_4) | instskip(NEXT) | instid1(VALU_DEP_3)
	v_add_f64 v[33:34], v[33:34], -v[41:42]
	v_cmp_neq_f64_e64 vcc_lo, 0x7ff00000, |v[37:38]|
	s_delay_alu instid0(VALU_DEP_3) | instskip(NEXT) | instid1(VALU_DEP_3)
	v_add_f64 v[31:32], v[35:36], -v[31:32]
	v_add_f64 v[26:27], v[26:27], v[33:34]
	v_fract_f64_e32 v[33:34], v[37:38]
	s_delay_alu instid0(VALU_DEP_1) | instskip(SKIP_1) | instid1(VALU_DEP_3)
	v_cndmask_b32_e32 v34, 0, v34, vcc_lo
	v_mul_f64 v[45:46], v[39:40], v[10:11]
	v_cndmask_b32_e32 v33, 0, v33, vcc_lo
	s_delay_alu instid0(VALU_DEP_1) | instskip(NEXT) | instid1(VALU_DEP_3)
	v_ldexp_f64 v[33:34], v[33:34], 2
	v_add_f64 v[41:42], v[45:46], v[29:30]
	v_fma_f64 v[10:11], v[39:40], v[10:11], -v[45:46]
	s_delay_alu instid0(VALU_DEP_2) | instskip(NEXT) | instid1(VALU_DEP_1)
	v_add_f64 v[35:36], v[41:42], v[26:27]
	v_add_f64 v[37:38], v[31:32], v[35:36]
	v_add_f64 v[47:48], v[35:36], -v[41:42]
	s_delay_alu instid0(VALU_DEP_2) | instskip(NEXT) | instid1(VALU_DEP_2)
	v_add_f64 v[43:44], v[37:38], v[33:34]
	v_add_f64 v[53:54], v[35:36], -v[47:48]
	v_add_f64 v[26:27], v[26:27], -v[47:48]
	;; [unrolled: 1-line block ×3, first 2 shown]
	s_delay_alu instid0(VALU_DEP_4) | instskip(SKIP_2) | instid1(VALU_DEP_2)
	v_cmp_gt_f64_e32 vcc_lo, 0, v[43:44]
	v_add_f64 v[43:44], v[41:42], -v[45:46]
	v_cndmask_b32_e64 v21, 0, 0x40100000, vcc_lo
	v_add_f64 v[51:52], v[41:42], -v[43:44]
	v_add_f64 v[29:30], v[29:30], -v[43:44]
	;; [unrolled: 1-line block ×3, first 2 shown]
	s_delay_alu instid0(VALU_DEP_4) | instskip(NEXT) | instid1(VALU_DEP_4)
	v_add_f64 v[33:34], v[33:34], v[20:21]
	v_add_f64 v[43:44], v[45:46], -v[51:52]
	s_delay_alu instid0(VALU_DEP_3) | instskip(NEXT) | instid1(VALU_DEP_3)
	v_add_f64 v[26:27], v[26:27], v[41:42]
	v_add_f64 v[49:50], v[37:38], v[33:34]
	s_delay_alu instid0(VALU_DEP_3) | instskip(NEXT) | instid1(VALU_DEP_2)
	v_add_f64 v[29:30], v[29:30], v[43:44]
	v_cvt_i32_f64_e32 v21, v[49:50]
	s_delay_alu instid0(VALU_DEP_2) | instskip(SKIP_1) | instid1(VALU_DEP_3)
	v_add_f64 v[26:27], v[29:30], v[26:27]
	v_add_f64 v[29:30], v[35:36], -v[31:32]
	v_cvt_f64_i32_e32 v[47:48], v21
	s_delay_alu instid0(VALU_DEP_3) | instskip(NEXT) | instid1(VALU_DEP_2)
	v_add_f64 v[10:11], v[10:11], v[26:27]
	v_add_f64 v[33:34], v[33:34], -v[47:48]
	s_delay_alu instid0(VALU_DEP_2) | instskip(NEXT) | instid1(VALU_DEP_2)
	v_add_f64 v[10:11], v[29:30], v[10:11]
	v_add_f64 v[39:40], v[37:38], v[33:34]
	s_delay_alu instid0(VALU_DEP_1) | instskip(SKIP_1) | instid1(VALU_DEP_2)
	v_add_f64 v[26:27], v[39:40], -v[33:34]
	v_cmp_le_f64_e32 vcc_lo, 0.5, v[39:40]
	v_add_f64 v[26:27], v[37:38], -v[26:27]
	v_add_co_ci_u32_e64 v29, s0, 0, v21, vcc_lo
	v_cndmask_b32_e64 v21, 0, 0x3ff00000, vcc_lo
	s_delay_alu instid0(VALU_DEP_3) | instskip(NEXT) | instid1(VALU_DEP_2)
	v_add_f64 v[10:11], v[10:11], v[26:27]
	v_add_f64 v[26:27], v[39:40], -v[20:21]
	s_delay_alu instid0(VALU_DEP_1) | instskip(NEXT) | instid1(VALU_DEP_1)
	v_add_f64 v[30:31], v[26:27], v[10:11]
	v_mul_f64 v[32:33], v[30:31], s[4:5]
	v_add_f64 v[26:27], v[30:31], -v[26:27]
	s_delay_alu instid0(VALU_DEP_2) | instskip(NEXT) | instid1(VALU_DEP_2)
	v_fma_f64 v[34:35], v[30:31], s[4:5], -v[32:33]
	v_add_f64 v[10:11], v[10:11], -v[26:27]
	s_delay_alu instid0(VALU_DEP_2) | instskip(NEXT) | instid1(VALU_DEP_1)
	v_fma_f64 v[26:27], v[30:31], s[16:17], v[34:35]
	v_fma_f64 v[26:27], v[10:11], s[4:5], v[26:27]
	s_delay_alu instid0(VALU_DEP_1) | instskip(NEXT) | instid1(VALU_DEP_1)
	v_add_f64 v[10:11], v[32:33], v[26:27]
	v_add_f64 v[30:31], v[10:11], -v[32:33]
	s_delay_alu instid0(VALU_DEP_1)
	v_add_f64 v[26:27], v[26:27], -v[30:31]
	s_and_not1_saveexec_b32 s0, s1
	s_cbranch_execnz .LBB138_372
	s_branch .LBB138_373
.LBB138_371:                            ;   in Loop: Header=BB138_201 Depth=1
	s_and_not1_saveexec_b32 s0, s1
	s_cbranch_execz .LBB138_373
.LBB138_372:                            ;   in Loop: Header=BB138_201 Depth=1
	v_mul_f64 v[10:11], |v[2:3]|, s[18:19]
	s_mov_b32 s8, s20
	s_delay_alu instid0(VALU_DEP_1) | instskip(NEXT) | instid1(VALU_DEP_1)
	v_rndne_f64_e32 v[29:30], v[10:11]
	v_fma_f64 v[10:11], v[29:30], s[6:7], |v[2:3]|
	v_mul_f64 v[26:27], v[29:30], s[20:21]
	s_delay_alu instid0(VALU_DEP_2) | instskip(NEXT) | instid1(VALU_DEP_2)
	v_fma_f64 v[33:34], v[29:30], s[20:21], v[10:11]
	v_add_f64 v[31:32], v[10:11], v[26:27]
	s_delay_alu instid0(VALU_DEP_1) | instskip(NEXT) | instid1(VALU_DEP_3)
	v_add_f64 v[10:11], v[10:11], -v[31:32]
	v_add_f64 v[31:32], v[31:32], -v[33:34]
	s_delay_alu instid0(VALU_DEP_2) | instskip(SKIP_1) | instid1(VALU_DEP_2)
	v_add_f64 v[10:11], v[10:11], v[26:27]
	v_fma_f64 v[26:27], v[29:30], s[8:9], v[26:27]
	v_add_f64 v[10:11], v[31:32], v[10:11]
	s_delay_alu instid0(VALU_DEP_1) | instskip(NEXT) | instid1(VALU_DEP_1)
	v_add_f64 v[10:11], v[10:11], -v[26:27]
	v_fma_f64 v[26:27], v[29:30], s[22:23], v[10:11]
	v_cvt_i32_f64_e32 v29, v[29:30]
	s_delay_alu instid0(VALU_DEP_2) | instskip(NEXT) | instid1(VALU_DEP_1)
	v_add_f64 v[10:11], v[33:34], v[26:27]
	v_add_f64 v[31:32], v[10:11], -v[33:34]
	s_delay_alu instid0(VALU_DEP_1)
	v_add_f64 v[26:27], v[26:27], -v[31:32]
.LBB138_373:                            ;   in Loop: Header=BB138_201 Depth=1
	s_or_b32 exec_lo, exec_lo, s0
	v_mul_f64 v[30:31], v[0:1], v[0:1]
	s_delay_alu instid0(VALU_DEP_3) | instskip(NEXT) | instid1(VALU_DEP_3)
	v_mul_f64 v[32:33], v[10:11], v[10:11]
	v_mul_f64 v[50:51], v[8:9], 0.5
	s_delay_alu instid0(VALU_DEP_4) | instskip(SKIP_4) | instid1(VALU_DEP_2)
	v_mul_f64 v[56:57], v[26:27], 0.5
	s_mov_b32 s72, s42
	v_cmp_class_f64_e64 s0, v[2:3], 0x1f8
	v_and_b32_e32 v21, 1, v28
	v_lshlrev_b32_e32 v2, 30, v29
	v_cmp_eq_u32_e32 vcc_lo, 0, v21
	s_delay_alu instid0(VALU_DEP_2) | instskip(SKIP_1) | instid1(VALU_DEP_2)
	v_xor_b32_e32 v2, v2, v3
	v_and_b32_e32 v21, 1, v29
	v_and_b32_e32 v2, 0x80000000, v2
	s_delay_alu instid0(VALU_DEP_2)
	v_cmp_eq_u32_e64 s1, 0, v21
	v_fma_f64 v[34:35], v[30:31], s[60:61], s[58:59]
	v_fma_f64 v[36:37], v[32:33], s[60:61], s[58:59]
	;; [unrolled: 1-line block ×3, first 2 shown]
	v_mul_f64 v[40:41], v[30:31], 0.5
	v_fma_f64 v[42:43], v[32:33], s[50:51], s[48:49]
	v_mul_f64 v[44:45], v[32:33], 0.5
	v_mul_f64 v[52:53], v[0:1], -v[30:31]
	v_mul_f64 v[58:59], v[10:11], -v[32:33]
	v_fma_f64 v[34:35], v[30:31], v[34:35], s[62:63]
	v_fma_f64 v[36:37], v[32:33], v[36:37], s[62:63]
	;; [unrolled: 1-line block ×3, first 2 shown]
	v_add_f64 v[46:47], -v[40:41], 1.0
	v_fma_f64 v[42:43], v[32:33], v[42:43], s[52:53]
	v_add_f64 v[48:49], -v[44:45], 1.0
	v_fma_f64 v[34:35], v[30:31], v[34:35], s[64:65]
	v_fma_f64 v[36:37], v[32:33], v[36:37], s[64:65]
	;; [unrolled: 1-line block ×3, first 2 shown]
	v_add_f64 v[54:55], -v[46:47], 1.0
	v_fma_f64 v[42:43], v[32:33], v[42:43], s[54:55]
	v_add_f64 v[60:61], -v[48:49], 1.0
	v_fma_f64 v[34:35], v[30:31], v[34:35], s[40:41]
	v_fma_f64 v[36:37], v[32:33], v[36:37], s[40:41]
	;; [unrolled: 1-line block ×3, first 2 shown]
	v_add_f64 v[40:41], v[54:55], -v[40:41]
	v_fma_f64 v[42:43], v[32:33], v[42:43], s[56:57]
	v_add_f64 v[44:45], v[60:61], -v[44:45]
	v_fma_f64 v[34:35], v[52:53], v[34:35], v[50:51]
	v_fma_f64 v[36:37], v[58:59], v[36:37], v[56:57]
	v_mul_f64 v[50:51], v[30:31], v[30:31]
	v_fma_f64 v[38:39], v[30:31], v[38:39], s[42:43]
	v_fma_f64 v[40:41], v[0:1], -v[8:9], v[40:41]
	v_fma_f64 v[8:9], v[30:31], v[34:35], -v[8:9]
	v_mul_f64 v[30:31], v[32:33], v[32:33]
	v_fma_f64 v[34:35], v[32:33], v[42:43], s[42:43]
	v_fma_f64 v[42:43], v[10:11], -v[26:27], v[44:45]
	v_fma_f64 v[26:27], v[32:33], v[36:37], -v[26:27]
	v_fma_f64 v[32:33], v[50:51], v[38:39], v[40:41]
	v_fma_f64 v[8:9], v[52:53], s[72:73], v[8:9]
	s_delay_alu instid0(VALU_DEP_4) | instskip(NEXT) | instid1(VALU_DEP_4)
	v_fma_f64 v[30:31], v[30:31], v[34:35], v[42:43]
	v_fma_f64 v[26:27], v[58:59], s[72:73], v[26:27]
	s_delay_alu instid0(VALU_DEP_4) | instskip(NEXT) | instid1(VALU_DEP_4)
	v_add_f64 v[32:33], v[46:47], v[32:33]
	v_add_f64 v[0:1], v[0:1], -v[8:9]
	s_delay_alu instid0(VALU_DEP_4) | instskip(NEXT) | instid1(VALU_DEP_4)
	v_add_f64 v[8:9], v[48:49], v[30:31]
	v_add_f64 v[10:11], v[10:11], -v[26:27]
	s_delay_alu instid0(VALU_DEP_3) | instskip(NEXT) | instid1(VALU_DEP_4)
	v_cndmask_b32_e32 v0, v0, v32, vcc_lo
	v_xor_b32_e32 v1, 0x80000000, v1
	v_lshlrev_b32_e32 v26, 30, v28
	s_delay_alu instid0(VALU_DEP_4) | instskip(SKIP_1) | instid1(VALU_DEP_4)
	v_cndmask_b32_e64 v10, v8, v10, s1
	v_cndmask_b32_e64 v8, v9, v11, s1
	v_cndmask_b32_e32 v1, v1, v33, vcc_lo
	s_delay_alu instid0(VALU_DEP_4) | instskip(NEXT) | instid1(VALU_DEP_4)
	v_and_b32_e32 v3, 0x80000000, v26
	v_cndmask_b32_e64 v10, 0, v10, s0
	s_delay_alu instid0(VALU_DEP_4) | instskip(SKIP_1) | instid1(VALU_DEP_4)
	v_xor_b32_e32 v2, v8, v2
	v_cndmask_b32_e64 v8, 0, v0, s0
	v_xor_b32_e32 v1, v1, v3
	s_delay_alu instid0(VALU_DEP_3) | instskip(NEXT) | instid1(VALU_DEP_2)
	v_cndmask_b32_e64 v11, 0x7ff80000, v2, s0
	v_cndmask_b32_e64 v9, 0x7ff80000, v1, s0
.LBB138_374:                            ;   in Loop: Header=BB138_201 Depth=1
	s_or_b32 exec_lo, exec_lo, s2
                                        ; implicit-def: $vgpr0_vgpr1
.LBB138_375:                            ;   in Loop: Header=BB138_201 Depth=1
	s_and_not1_saveexec_b32 s1, s77
	s_cbranch_execz .LBB138_200
; %bb.376:                              ;   in Loop: Header=BB138_201 Depth=1
	v_mul_f64 v[8:9], v[0:1], s[24:25]
	s_mov_b32 s69, s41
	s_mov_b32 s71, s43
	v_cmp_nlt_f64_e32 vcc_lo, 0x40900000, v[0:1]
	v_cmp_ngt_f64_e64 s0, 0xc090cc00, v[0:1]
	s_delay_alu instid0(VALU_DEP_3) | instskip(NEXT) | instid1(VALU_DEP_1)
	v_rndne_f64_e32 v[8:9], v[8:9]
	v_fma_f64 v[10:11], v[8:9], s[12:13], v[0:1]
	v_cvt_i32_f64_e32 v21, v[8:9]
	s_delay_alu instid0(VALU_DEP_2) | instskip(NEXT) | instid1(VALU_DEP_1)
	v_fma_f64 v[10:11], v[8:9], s[14:15], v[10:11]
	v_fma_f64 v[26:27], v[10:11], s[28:29], s[26:27]
	s_delay_alu instid0(VALU_DEP_1) | instskip(NEXT) | instid1(VALU_DEP_1)
	v_fma_f64 v[26:27], v[10:11], v[26:27], s[30:31]
	v_fma_f64 v[26:27], v[10:11], v[26:27], s[34:35]
	s_delay_alu instid0(VALU_DEP_1) | instskip(NEXT) | instid1(VALU_DEP_1)
	;; [unrolled: 3-line block ×5, first 2 shown]
	v_fma_f64 v[26:27], v[10:11], v[26:27], 1.0
	v_fma_f64 v[8:9], v[10:11], v[26:27], 1.0
	v_dual_mov_b32 v11, v3 :: v_dual_mov_b32 v10, v2
	s_delay_alu instid0(VALU_DEP_2) | instskip(NEXT) | instid1(VALU_DEP_1)
	v_ldexp_f64 v[8:9], v[8:9], v21
	v_cndmask_b32_e32 v9, 0x7ff00000, v9, vcc_lo
	s_and_b32 vcc_lo, s0, vcc_lo
	s_delay_alu instid0(VALU_DEP_2) | instskip(NEXT) | instid1(VALU_DEP_2)
	v_cndmask_b32_e32 v8, 0, v8, vcc_lo
	v_cndmask_b32_e64 v9, 0, v9, s0
	s_branch .LBB138_200
.LBB138_377:
	s_nop 0
	s_sendmsg sendmsg(MSG_DEALLOC_VGPRS)
	s_endpgm
	.section	.rodata,"a",@progbits
	.p2align	6, 0x0
	.amdhsa_kernel _ZN2at6native12_GLOBAL__N_125multi_tensor_apply_kernelINS1_18TensorListMetadataILi1EEENS1_14UnaryOpFunctorIN3c107complexIdEELi1ELi1ELi0EEEJNS0_3ExpIS8_EEEEEvT_T0_DpT1_
		.amdhsa_group_segment_fixed_size 0
		.amdhsa_private_segment_fixed_size 0
		.amdhsa_kernarg_size 3632
		.amdhsa_user_sgpr_count 15
		.amdhsa_user_sgpr_dispatch_ptr 0
		.amdhsa_user_sgpr_queue_ptr 0
		.amdhsa_user_sgpr_kernarg_segment_ptr 1
		.amdhsa_user_sgpr_dispatch_id 0
		.amdhsa_user_sgpr_private_segment_size 0
		.amdhsa_wavefront_size32 1
		.amdhsa_uses_dynamic_stack 0
		.amdhsa_enable_private_segment 0
		.amdhsa_system_sgpr_workgroup_id_x 1
		.amdhsa_system_sgpr_workgroup_id_y 0
		.amdhsa_system_sgpr_workgroup_id_z 0
		.amdhsa_system_sgpr_workgroup_info 0
		.amdhsa_system_vgpr_workitem_id 0
		.amdhsa_next_free_vgpr 79
		.amdhsa_next_free_sgpr 96
		.amdhsa_reserve_vcc 1
		.amdhsa_float_round_mode_32 0
		.amdhsa_float_round_mode_16_64 0
		.amdhsa_float_denorm_mode_32 3
		.amdhsa_float_denorm_mode_16_64 3
		.amdhsa_dx10_clamp 1
		.amdhsa_ieee_mode 1
		.amdhsa_fp16_overflow 0
		.amdhsa_workgroup_processor_mode 1
		.amdhsa_memory_ordered 1
		.amdhsa_forward_progress 0
		.amdhsa_shared_vgpr_count 0
		.amdhsa_exception_fp_ieee_invalid_op 0
		.amdhsa_exception_fp_denorm_src 0
		.amdhsa_exception_fp_ieee_div_zero 0
		.amdhsa_exception_fp_ieee_overflow 0
		.amdhsa_exception_fp_ieee_underflow 0
		.amdhsa_exception_fp_ieee_inexact 0
		.amdhsa_exception_int_div_zero 0
	.end_amdhsa_kernel
	.section	.text._ZN2at6native12_GLOBAL__N_125multi_tensor_apply_kernelINS1_18TensorListMetadataILi1EEENS1_14UnaryOpFunctorIN3c107complexIdEELi1ELi1ELi0EEEJNS0_3ExpIS8_EEEEEvT_T0_DpT1_,"axG",@progbits,_ZN2at6native12_GLOBAL__N_125multi_tensor_apply_kernelINS1_18TensorListMetadataILi1EEENS1_14UnaryOpFunctorIN3c107complexIdEELi1ELi1ELi0EEEJNS0_3ExpIS8_EEEEEvT_T0_DpT1_,comdat
.Lfunc_end138:
	.size	_ZN2at6native12_GLOBAL__N_125multi_tensor_apply_kernelINS1_18TensorListMetadataILi1EEENS1_14UnaryOpFunctorIN3c107complexIdEELi1ELi1ELi0EEEJNS0_3ExpIS8_EEEEEvT_T0_DpT1_, .Lfunc_end138-_ZN2at6native12_GLOBAL__N_125multi_tensor_apply_kernelINS1_18TensorListMetadataILi1EEENS1_14UnaryOpFunctorIN3c107complexIdEELi1ELi1ELi0EEEJNS0_3ExpIS8_EEEEEvT_T0_DpT1_
                                        ; -- End function
	.section	.AMDGPU.csdata,"",@progbits
; Kernel info:
; codeLenInByte = 67428
; NumSgprs: 98
; NumVgprs: 79
; ScratchSize: 0
; MemoryBound: 1
; FloatMode: 240
; IeeeMode: 1
; LDSByteSize: 0 bytes/workgroup (compile time only)
; SGPRBlocks: 12
; VGPRBlocks: 9
; NumSGPRsForWavesPerEU: 98
; NumVGPRsForWavesPerEU: 79
; Occupancy: 16
; WaveLimiterHint : 0
; COMPUTE_PGM_RSRC2:SCRATCH_EN: 0
; COMPUTE_PGM_RSRC2:USER_SGPR: 15
; COMPUTE_PGM_RSRC2:TRAP_HANDLER: 0
; COMPUTE_PGM_RSRC2:TGID_X_EN: 1
; COMPUTE_PGM_RSRC2:TGID_Y_EN: 0
; COMPUTE_PGM_RSRC2:TGID_Z_EN: 0
; COMPUTE_PGM_RSRC2:TIDIG_COMP_CNT: 0
	.section	.text._ZN2at6native12_GLOBAL__N_125multi_tensor_apply_kernelINS1_18TensorListMetadataILi1EEENS1_14UnaryOpFunctorIN3c107complexIfEELi1ELi1ELi0EEEJNS0_3ExpIS8_EEEEEvT_T0_DpT1_,"axG",@progbits,_ZN2at6native12_GLOBAL__N_125multi_tensor_apply_kernelINS1_18TensorListMetadataILi1EEENS1_14UnaryOpFunctorIN3c107complexIfEELi1ELi1ELi0EEEJNS0_3ExpIS8_EEEEEvT_T0_DpT1_,comdat
	.globl	_ZN2at6native12_GLOBAL__N_125multi_tensor_apply_kernelINS1_18TensorListMetadataILi1EEENS1_14UnaryOpFunctorIN3c107complexIfEELi1ELi1ELi0EEEJNS0_3ExpIS8_EEEEEvT_T0_DpT1_ ; -- Begin function _ZN2at6native12_GLOBAL__N_125multi_tensor_apply_kernelINS1_18TensorListMetadataILi1EEENS1_14UnaryOpFunctorIN3c107complexIfEELi1ELi1ELi0EEEJNS0_3ExpIS8_EEEEEvT_T0_DpT1_
	.p2align	8
	.type	_ZN2at6native12_GLOBAL__N_125multi_tensor_apply_kernelINS1_18TensorListMetadataILi1EEENS1_14UnaryOpFunctorIN3c107complexIfEELi1ELi1ELi0EEEJNS0_3ExpIS8_EEEEEvT_T0_DpT1_,@function
_ZN2at6native12_GLOBAL__N_125multi_tensor_apply_kernelINS1_18TensorListMetadataILi1EEENS1_14UnaryOpFunctorIN3c107complexIfEELi1ELi1ELi0EEEJNS0_3ExpIS8_EEEEEvT_T0_DpT1_: ; @_ZN2at6native12_GLOBAL__N_125multi_tensor_apply_kernelINS1_18TensorListMetadataILi1EEENS1_14UnaryOpFunctorIN3c107complexIfEELi1ELi1ELi0EEEJNS0_3ExpIS8_EEEEEvT_T0_DpT1_
; %bb.0:
	v_mov_b32_e32 v1, s15
	s_add_u32 s2, s0, s15
	s_mul_hi_u32 s3, s15, 3
	s_mul_i32 s15, s15, 3
	s_addc_u32 s4, s1, 0
	global_load_u8 v1, v1, s[0:1] offset:1760
	s_add_u32 s2, s2, s15
	s_addc_u32 s3, s4, s3
	s_mov_b32 s7, 0
	s_load_b32 s2, s[2:3], 0x820
	s_waitcnt vmcnt(0)
	v_readfirstlane_b32 s5, v1
	s_delay_alu instid0(VALU_DEP_1)
	s_lshl_b32 s3, s5, 3
	s_clause 0x1
	s_load_b64 s[12:13], s[0:1], s3 offset:0x0
	s_load_b64 s[4:5], s[0:1], s3 offset:0x370
	s_waitcnt lgkmcnt(0)
	s_ashr_i32 s3, s2, 31
	s_delay_alu instid0(SALU_CYCLE_1) | instskip(NEXT) | instid1(SALU_CYCLE_1)
	s_lshl_b64 s[14:15], s[2:3], 19
	s_add_u32 s9, s12, s14
	s_addc_u32 s20, s13, s15
	s_lshl_b64 s[2:3], s[2:3], 16
	s_and_b32 s6, s9, 31
	s_sub_u32 s10, s4, s2
	s_subb_u32 s11, s5, s3
	s_and_b32 s2, s4, 3
	s_mov_b32 s3, s7
	s_delay_alu instid0(SALU_CYCLE_1) | instskip(NEXT) | instid1(SALU_CYCLE_1)
	s_or_b64 s[2:3], s[6:7], s[2:3]
	s_cmp_eq_u64 s[2:3], 0
	s_cbranch_scc1 .LBB139_197
; %bb.1:
	v_cmp_lt_i64_e64 s2, s[10:11], 1
	s_delay_alu instid0(VALU_DEP_1)
	s_and_b32 vcc_lo, exec_lo, s2
	s_cbranch_vccnz .LBB139_196
; %bb.2:
	s_load_b32 s2, s[0:1], 0xd3c
	v_dual_mov_b32 v2, 0 :: v_dual_lshlrev_b32 v3, 3, v0
	v_cmp_gt_u64_e64 s3, 0x10000, s[10:11]
	s_mov_b64 s[18:19], 0
	s_mov_b32 s23, 0x7fffff
	s_mov_b32 s24, 0xb94c1982
	;; [unrolled: 1-line block ×4, first 2 shown]
	s_waitcnt lgkmcnt(0)
	s_and_b32 s2, s2, 0xffff
	s_and_b32 s3, s3, exec_lo
	v_add_co_u32 v17, s5, v0, s2
	v_mov_b32_e32 v4, v2
	s_cselect_b32 s17, s11, 0
	s_cselect_b32 s16, s10, 0x10000
	s_delay_alu instid0(VALU_DEP_2)
	v_lshlrev_b32_e32 v21, 3, v17
	s_lshl_b32 s3, s2, 1
	v_mad_u64_u32 v[5:6], null, s2, 24, v[3:4]
	s_mul_i32 s4, s2, 3
	s_lshl_b32 s21, s2, 2
	s_lshl_b32 s22, s2, 5
	;; [unrolled: 1-line block ×3, first 2 shown]
	v_add_co_u32 v4, s4, s4, v0
	v_add_co_u32 v1, s2, s2, v3
	s_delay_alu instid0(VALU_DEP_1)
	v_add_co_ci_u32_e64 v20, null, 0, 0, s2
	v_add_co_u32 v23, s2, s3, v0
	v_add_co_ci_u32_e64 v18, null, 0, 0, s5
	v_add_co_ci_u32_e64 v19, null, 0, 0, s4
	v_or_b32_e32 v22, 4, v1
	v_or_b32_e32 v5, 4, v5
	v_add_co_ci_u32_e64 v24, null, 0, 0, s2
	s_branch .LBB139_4
.LBB139_3:                              ;   in Loop: Header=BB139_4 Depth=1
	s_or_b32 exec_lo, exec_lo, s2
	s_add_u32 s18, s18, s21
	s_addc_u32 s19, s19, 0
	s_delay_alu instid0(SALU_CYCLE_1) | instskip(SKIP_1) | instid1(VALU_DEP_1)
	v_cmp_ge_i64_e64 s2, s[18:19], s[10:11]
	v_cmp_lt_u64_e64 s3, 0xffff, s[18:19]
	s_or_b32 s2, s2, s3
	s_add_u32 s9, s9, s22
	s_addc_u32 s20, s20, 0
	s_and_b32 vcc_lo, exec_lo, s2
	s_cbranch_vccnz .LBB139_196
.LBB139_4:                              ; =>This Inner Loop Header: Depth=1
	v_add_co_u32 v7, s2, v0, s18
	s_delay_alu instid0(VALU_DEP_1) | instskip(SKIP_1) | instid1(VALU_DEP_2)
	v_add_co_ci_u32_e64 v8, null, 0, s19, s2
	v_dual_mov_b32 v14, 0 :: v_dual_mov_b32 v13, 0
	v_cmp_gt_u64_e32 vcc_lo, s[16:17], v[7:8]
	s_and_saveexec_b32 s2, vcc_lo
	s_cbranch_execz .LBB139_6
; %bb.5:                                ;   in Loop: Header=BB139_4 Depth=1
	v_add_co_u32 v7, s3, s9, v3
	s_delay_alu instid0(VALU_DEP_1)
	v_add_co_ci_u32_e64 v8, null, s20, 0, s3
	global_load_b64 v[13:14], v[7:8], off
.LBB139_6:                              ;   in Loop: Header=BB139_4 Depth=1
	s_or_b32 exec_lo, exec_lo, s2
	v_add_co_u32 v7, s2, v17, s18
	s_delay_alu instid0(VALU_DEP_1) | instskip(SKIP_2) | instid1(VALU_DEP_3)
	v_add_co_ci_u32_e64 v8, s2, s19, v18, s2
	v_dual_mov_b32 v12, 0 :: v_dual_mov_b32 v15, 0
	v_mov_b32_e32 v16, 0
	v_cmp_gt_u64_e64 s2, s[16:17], v[7:8]
	s_delay_alu instid0(VALU_DEP_1)
	s_and_saveexec_b32 s3, s2
	s_cbranch_execz .LBB139_8
; %bb.7:                                ;   in Loop: Header=BB139_4 Depth=1
	v_add_co_u32 v7, s4, s9, v21
	s_delay_alu instid0(VALU_DEP_1)
	v_add_co_ci_u32_e64 v8, null, s20, 0, s4
	global_load_b64 v[15:16], v[7:8], off
.LBB139_8:                              ;   in Loop: Header=BB139_4 Depth=1
	s_or_b32 exec_lo, exec_lo, s3
	v_add_co_u32 v7, s3, v23, s18
	s_delay_alu instid0(VALU_DEP_1) | instskip(SKIP_1) | instid1(VALU_DEP_2)
	v_add_co_ci_u32_e64 v8, s3, s19, v24, s3
	v_mov_b32_e32 v11, 0
	v_cmp_gt_u64_e64 s3, s[16:17], v[7:8]
	s_delay_alu instid0(VALU_DEP_1)
	s_and_saveexec_b32 s5, s3
	s_cbranch_execz .LBB139_10
; %bb.9:                                ;   in Loop: Header=BB139_4 Depth=1
	v_add_co_u32 v7, s4, s9, v22
	s_delay_alu instid0(VALU_DEP_1)
	v_add_co_ci_u32_e64 v8, s4, s20, v20, s4
	global_load_b64 v[11:12], v[7:8], off offset:-4
.LBB139_10:                             ;   in Loop: Header=BB139_4 Depth=1
	s_or_b32 exec_lo, exec_lo, s5
	v_add_co_u32 v7, s4, v4, s18
	s_delay_alu instid0(VALU_DEP_1) | instskip(NEXT) | instid1(VALU_DEP_1)
	v_add_co_ci_u32_e64 v8, s4, s19, v19, s4
	v_cmp_gt_u64_e64 s4, s[16:17], v[7:8]
	v_dual_mov_b32 v8, 0 :: v_dual_mov_b32 v7, 0
	s_delay_alu instid0(VALU_DEP_2)
	s_and_saveexec_b32 s6, s4
	s_cbranch_execz .LBB139_12
; %bb.11:                               ;   in Loop: Header=BB139_4 Depth=1
	v_add_co_u32 v7, s5, s9, v5
	s_delay_alu instid0(VALU_DEP_1)
	v_add_co_ci_u32_e64 v8, s5, s20, v6, s5
	global_load_b64 v[7:8], v[7:8], off offset:-4
.LBB139_12:                             ;   in Loop: Header=BB139_4 Depth=1
	s_or_b32 exec_lo, exec_lo, s6
	s_waitcnt vmcnt(0)
	v_and_b32_e32 v25, 0x7fffffff, v14
                                        ; implicit-def: $vgpr10
	s_mov_b32 s6, exec_lo
	s_delay_alu instid0(VALU_DEP_1)
	v_cmpx_ne_u32_e32 0, v25
	s_xor_b32 s27, exec_lo, s6
	s_cbranch_execz .LBB139_54
; %bb.13:                               ;   in Loop: Header=BB139_4 Depth=1
	v_and_b32_e32 v1, 0x7fffffff, v13
                                        ; implicit-def: $vgpr10
	s_mov_b32 s6, exec_lo
	s_delay_alu instid0(VALU_DEP_1)
	v_cmpx_ne_u32_e32 0, v1
	s_xor_b32 s28, exec_lo, s6
	s_cbranch_execz .LBB139_43
; %bb.14:                               ;   in Loop: Header=BB139_4 Depth=1
                                        ; implicit-def: $vgpr10
	s_mov_b32 s6, exec_lo
	v_cmpx_gt_u32_e32 0x7f800000, v25
	s_xor_b32 s29, exec_lo, s6
	s_cbranch_execz .LBB139_36
; %bb.15:                               ;   in Loop: Header=BB139_4 Depth=1
	v_add_nc_u32_e32 v1, 0xbd4e8de8, v13
                                        ; implicit-def: $vgpr10
	s_mov_b32 s6, exec_lo
	s_delay_alu instid0(VALU_DEP_1)
	v_cmpx_lt_u32_e32 0x8e8e5c, v1
	s_xor_b32 s30, exec_lo, s6
	s_cbranch_execz .LBB139_25
; %bb.16:                               ;   in Loop: Header=BB139_4 Depth=1
	v_cmp_ngt_f32_e64 s31, 0x48000000, |v14|
                                        ; implicit-def: $vgpr10
                                        ; implicit-def: $vgpr9
	s_delay_alu instid0(VALU_DEP_1) | instskip(NEXT) | instid1(SALU_CYCLE_1)
	s_and_saveexec_b32 s5, s31
	s_xor_b32 s33, exec_lo, s5
	s_cbranch_execz .LBB139_18
; %bb.17:                               ;   in Loop: Header=BB139_4 Depth=1
	v_and_or_b32 v33, v25, s23, 0x800000
	s_delay_alu instid0(VALU_DEP_1) | instskip(NEXT) | instid1(VALU_DEP_1)
	v_mad_u64_u32 v[9:10], null, 0xfe5163ab, v33, 0
	v_mov_b32_e32 v1, v10
	v_lshrrev_b32_e32 v10, 23, v25
	s_delay_alu instid0(VALU_DEP_1) | instskip(NEXT) | instid1(VALU_DEP_3)
	v_add_nc_u32_e32 v10, 0xffffff88, v10
	v_mad_u64_u32 v[26:27], null, 0x3c439041, v33, v[1:2]
	s_delay_alu instid0(VALU_DEP_2) | instskip(NEXT) | instid1(VALU_DEP_1)
	v_cmp_lt_u32_e64 s5, 63, v10
	v_cndmask_b32_e64 v31, 0, 0xffffffc0, s5
	s_delay_alu instid0(VALU_DEP_1) | instskip(NEXT) | instid1(VALU_DEP_1)
	v_add_nc_u32_e32 v10, v31, v10
	v_cmp_lt_u32_e64 s6, 31, v10
	s_delay_alu instid0(VALU_DEP_1) | instskip(NEXT) | instid1(VALU_DEP_1)
	v_cndmask_b32_e64 v32, 0, 0xffffffe0, s6
	v_dual_mov_b32 v1, v27 :: v_dual_add_nc_u32 v10, v32, v10
	s_delay_alu instid0(VALU_DEP_1) | instskip(NEXT) | instid1(VALU_DEP_2)
	v_mad_u64_u32 v[27:28], null, 0xdb629599, v33, v[1:2]
	v_cmp_lt_u32_e64 s7, 31, v10
	s_delay_alu instid0(VALU_DEP_2) | instskip(NEXT) | instid1(VALU_DEP_3)
	v_mov_b32_e32 v1, v28
	v_cndmask_b32_e64 v9, v27, v9, s5
	s_delay_alu instid0(VALU_DEP_2) | instskip(NEXT) | instid1(VALU_DEP_1)
	v_mad_u64_u32 v[28:29], null, 0xf534ddc0, v33, v[1:2]
	v_mov_b32_e32 v1, v29
	s_delay_alu instid0(VALU_DEP_1) | instskip(NEXT) | instid1(VALU_DEP_1)
	v_mad_u64_u32 v[29:30], null, 0xfc2757d1, v33, v[1:2]
	v_mov_b32_e32 v1, v30
	s_delay_alu instid0(VALU_DEP_1) | instskip(NEXT) | instid1(VALU_DEP_1)
	v_mad_u64_u32 v[30:31], null, 0x4e441529, v33, v[1:2]
	v_mov_b32_e32 v1, v31
	s_delay_alu instid0(VALU_DEP_1) | instskip(SKIP_1) | instid1(VALU_DEP_4)
	v_mad_u64_u32 v[31:32], null, 0xa2f9836e, v33, v[1:2]
	v_cndmask_b32_e64 v1, 0, 0xffffffe0, s7
	v_cndmask_b32_e64 v33, v30, v28, s5
	s_delay_alu instid0(VALU_DEP_2) | instskip(NEXT) | instid1(VALU_DEP_4)
	v_add_nc_u32_e32 v1, v1, v10
	v_cndmask_b32_e64 v31, v31, v29, s5
	v_cndmask_b32_e64 v30, v32, v30, s5
	;; [unrolled: 1-line block ×4, first 2 shown]
	v_cmp_eq_u32_e64 s8, 0, v1
	v_cndmask_b32_e64 v26, v31, v33, s6
	v_cndmask_b32_e64 v28, v30, v31, s6
	;; [unrolled: 1-line block ×3, first 2 shown]
	v_sub_nc_u32_e32 v31, 32, v1
	v_cndmask_b32_e64 v29, v29, v10, s6
	v_cndmask_b32_e64 v9, v10, v9, s6
	;; [unrolled: 1-line block ×4, first 2 shown]
	s_delay_alu instid0(VALU_DEP_4) | instskip(NEXT) | instid1(VALU_DEP_4)
	v_cndmask_b32_e64 v30, v30, v29, s7
	v_cndmask_b32_e64 v9, v29, v9, s7
	s_delay_alu instid0(VALU_DEP_3) | instskip(NEXT) | instid1(VALU_DEP_3)
	v_alignbit_b32 v32, v28, v26, v31
	v_alignbit_b32 v33, v26, v30, v31
	s_delay_alu instid0(VALU_DEP_3) | instskip(NEXT) | instid1(VALU_DEP_3)
	v_alignbit_b32 v31, v30, v9, v31
	v_cndmask_b32_e64 v1, v32, v28, s8
	s_delay_alu instid0(VALU_DEP_3) | instskip(NEXT) | instid1(VALU_DEP_3)
	v_cndmask_b32_e64 v26, v33, v26, s8
	v_cndmask_b32_e64 v30, v31, v30, s8
	s_delay_alu instid0(VALU_DEP_3) | instskip(NEXT) | instid1(VALU_DEP_3)
	v_bfe_u32 v27, v1, 29, 1
	v_alignbit_b32 v10, v1, v26, 30
	s_delay_alu instid0(VALU_DEP_3) | instskip(SKIP_1) | instid1(VALU_DEP_4)
	v_alignbit_b32 v26, v26, v30, 30
	v_alignbit_b32 v9, v30, v9, 30
	v_sub_nc_u32_e32 v28, 0, v27
	s_delay_alu instid0(VALU_DEP_1) | instskip(SKIP_3) | instid1(VALU_DEP_4)
	v_xor_b32_e32 v29, v10, v28
	v_cmp_ne_u32_e64 s5, v10, v28
	v_xor_b32_e32 v26, v26, v28
	v_xor_b32_e32 v9, v9, v28
	v_clz_i32_u32_e32 v32, v29
	s_delay_alu instid0(VALU_DEP_1) | instskip(NEXT) | instid1(VALU_DEP_1)
	v_add_nc_u32_e32 v31, 1, v32
	v_cndmask_b32_e64 v10, 33, v31, s5
	s_delay_alu instid0(VALU_DEP_1) | instskip(NEXT) | instid1(VALU_DEP_1)
	v_sub_nc_u32_e32 v30, 32, v10
	v_alignbit_b32 v28, v29, v26, v30
	v_alignbit_b32 v9, v26, v9, v30
	v_lshrrev_b32_e32 v26, 29, v1
	v_lshrrev_b32_e32 v1, 30, v1
	s_delay_alu instid0(VALU_DEP_3) | instskip(NEXT) | instid1(VALU_DEP_3)
	v_alignbit_b32 v29, v28, v9, 9
	v_lshlrev_b32_e32 v26, 31, v26
	v_alignbit_b32 v28, v10, v28, 9
	s_delay_alu instid0(VALU_DEP_3) | instskip(NEXT) | instid1(VALU_DEP_2)
	v_clz_i32_u32_e32 v30, v29
	v_or_b32_e32 v28, v28, v26
	v_or_b32_e32 v26, 0x33800000, v26
	s_delay_alu instid0(VALU_DEP_3) | instskip(NEXT) | instid1(VALU_DEP_3)
	v_min_u32_e32 v30, 32, v30
	v_xor_b32_e32 v28, 1.0, v28
	s_delay_alu instid0(VALU_DEP_2) | instskip(SKIP_1) | instid1(VALU_DEP_3)
	v_sub_nc_u32_e32 v31, 31, v30
	v_add_lshl_u32 v10, v30, v10, 23
	v_mul_f32_e32 v30, 0x3fc90fda, v28
	s_delay_alu instid0(VALU_DEP_3) | instskip(NEXT) | instid1(VALU_DEP_3)
	v_alignbit_b32 v9, v29, v9, v31
	v_sub_nc_u32_e32 v10, v26, v10
	s_delay_alu instid0(VALU_DEP_3) | instskip(NEXT) | instid1(VALU_DEP_3)
	v_fma_f32 v26, 0x3fc90fda, v28, -v30
	v_lshrrev_b32_e32 v9, 9, v9
	s_delay_alu instid0(VALU_DEP_2) | instskip(NEXT) | instid1(VALU_DEP_2)
	v_fmac_f32_e32 v26, 0x33a22168, v28
	v_or_b32_e32 v9, v10, v9
	v_add_nc_u32_e32 v10, v27, v1
	s_delay_alu instid0(VALU_DEP_2) | instskip(NEXT) | instid1(VALU_DEP_1)
	v_fmac_f32_e32 v26, 0x3fc90fda, v9
	v_add_f32_e32 v9, v30, v26
	s_and_not1_saveexec_b32 s5, s33
	s_branch .LBB139_19
.LBB139_18:                             ;   in Loop: Header=BB139_4 Depth=1
	s_and_not1_saveexec_b32 s5, s33
.LBB139_19:                             ;   in Loop: Header=BB139_4 Depth=1
	v_mul_f32_e64 v1, 0x3f22f983, |v14|
	s_delay_alu instid0(VALU_DEP_1) | instskip(NEXT) | instid1(VALU_DEP_1)
	v_rndne_f32_e32 v1, v1
	v_fma_f32 v9, 0xbfc90fda, v1, |v14|
	v_cvt_i32_f32_e32 v10, v1
	s_delay_alu instid0(VALU_DEP_2) | instskip(NEXT) | instid1(VALU_DEP_1)
	v_fmac_f32_e32 v9, 0xb3a22168, v1
	v_fmac_f32_e32 v9, 0xa7c234c4, v1
; %bb.20:                               ;   in Loop: Header=BB139_4 Depth=1
	s_or_b32 exec_lo, exec_lo, s5
                                        ; implicit-def: $vgpr26
                                        ; implicit-def: $vgpr1
	s_and_saveexec_b32 s5, s31
	s_delay_alu instid0(SALU_CYCLE_1)
	s_xor_b32 s31, exec_lo, s5
	s_cbranch_execz .LBB139_22
; %bb.21:                               ;   in Loop: Header=BB139_4 Depth=1
	v_and_or_b32 v34, v25, s23, 0x800000
	v_lshrrev_b32_e32 v31, 23, v25
	s_delay_alu instid0(VALU_DEP_2) | instskip(NEXT) | instid1(VALU_DEP_2)
	v_mad_u64_u32 v[26:27], null, 0xfe5163ab, v34, 0
	v_add_nc_u32_e32 v32, 0xffffff88, v31
	s_delay_alu instid0(VALU_DEP_1) | instskip(NEXT) | instid1(VALU_DEP_3)
	v_cmp_lt_u32_e64 s5, 63, v32
	v_mov_b32_e32 v1, v27
	s_delay_alu instid0(VALU_DEP_2) | instskip(NEXT) | instid1(VALU_DEP_2)
	v_cndmask_b32_e64 v33, 0, 0xffffffc0, s5
	v_mad_u64_u32 v[27:28], null, 0x3c439041, v34, v[1:2]
	s_delay_alu instid0(VALU_DEP_2) | instskip(NEXT) | instid1(VALU_DEP_2)
	v_add_nc_u32_e32 v33, v33, v32
	v_mov_b32_e32 v1, v28
	s_delay_alu instid0(VALU_DEP_2) | instskip(NEXT) | instid1(VALU_DEP_2)
	v_cmp_lt_u32_e64 s6, 31, v33
	v_mad_u64_u32 v[28:29], null, 0xdb629599, v34, v[1:2]
	s_delay_alu instid0(VALU_DEP_2) | instskip(NEXT) | instid1(VALU_DEP_1)
	v_cndmask_b32_e64 v35, 0, 0xffffffe0, s6
	v_add_nc_u32_e32 v35, v35, v33
	s_delay_alu instid0(VALU_DEP_3) | instskip(NEXT) | instid1(VALU_DEP_4)
	v_mov_b32_e32 v1, v29
	v_cndmask_b32_e64 v26, v28, v26, s5
	s_delay_alu instid0(VALU_DEP_3) | instskip(NEXT) | instid1(VALU_DEP_3)
	v_cmp_lt_u32_e64 s7, 31, v35
	v_mad_u64_u32 v[29:30], null, 0xf534ddc0, v34, v[1:2]
	s_delay_alu instid0(VALU_DEP_1) | instskip(NEXT) | instid1(VALU_DEP_2)
	v_mov_b32_e32 v1, v30
	v_cndmask_b32_e64 v27, v29, v27, s5
	s_delay_alu instid0(VALU_DEP_2) | instskip(NEXT) | instid1(VALU_DEP_2)
	v_mad_u64_u32 v[30:31], null, 0xfc2757d1, v34, v[1:2]
	v_cndmask_b32_e64 v26, v27, v26, s6
	s_delay_alu instid0(VALU_DEP_2) | instskip(NEXT) | instid1(VALU_DEP_1)
	v_mov_b32_e32 v1, v31
	v_mad_u64_u32 v[31:32], null, 0x4e441529, v34, v[1:2]
	s_delay_alu instid0(VALU_DEP_1) | instskip(NEXT) | instid1(VALU_DEP_1)
	v_mov_b32_e32 v1, v32
	v_mad_u64_u32 v[32:33], null, 0xa2f9836e, v34, v[1:2]
	v_cndmask_b32_e64 v1, 0, 0xffffffe0, s7
	s_delay_alu instid0(VALU_DEP_4) | instskip(NEXT) | instid1(VALU_DEP_2)
	v_cndmask_b32_e64 v34, v31, v29, s5
	v_add_nc_u32_e32 v1, v1, v35
	s_delay_alu instid0(VALU_DEP_4) | instskip(SKIP_2) | instid1(VALU_DEP_4)
	v_cndmask_b32_e64 v32, v32, v30, s5
	v_cndmask_b32_e64 v31, v33, v31, s5
	;; [unrolled: 1-line block ×3, first 2 shown]
	v_sub_nc_u32_e32 v33, 32, v1
	s_delay_alu instid0(VALU_DEP_4) | instskip(NEXT) | instid1(VALU_DEP_4)
	v_cndmask_b32_e64 v29, v32, v34, s6
	v_cndmask_b32_e64 v31, v31, v32, s6
	s_delay_alu instid0(VALU_DEP_4) | instskip(SKIP_2) | instid1(VALU_DEP_4)
	v_cndmask_b32_e64 v32, v34, v30, s6
	v_cndmask_b32_e64 v30, v30, v27, s6
	v_cmp_eq_u32_e64 s8, 0, v1
	v_cndmask_b32_e64 v31, v31, v29, s7
	s_delay_alu instid0(VALU_DEP_4) | instskip(NEXT) | instid1(VALU_DEP_4)
	v_cndmask_b32_e64 v29, v29, v32, s7
	v_cndmask_b32_e64 v32, v32, v30, s7
	;; [unrolled: 1-line block ×3, first 2 shown]
	s_delay_alu instid0(VALU_DEP_3) | instskip(NEXT) | instid1(VALU_DEP_3)
	v_alignbit_b32 v34, v31, v29, v33
	v_alignbit_b32 v35, v29, v32, v33
	s_delay_alu instid0(VALU_DEP_3) | instskip(NEXT) | instid1(VALU_DEP_3)
	v_alignbit_b32 v33, v32, v26, v33
	v_cndmask_b32_e64 v1, v34, v31, s8
	s_delay_alu instid0(VALU_DEP_3) | instskip(NEXT) | instid1(VALU_DEP_3)
	v_cndmask_b32_e64 v28, v35, v29, s8
	v_cndmask_b32_e64 v32, v33, v32, s8
	s_delay_alu instid0(VALU_DEP_3) | instskip(NEXT) | instid1(VALU_DEP_3)
	v_bfe_u32 v29, v1, 29, 1
	v_alignbit_b32 v27, v1, v28, 30
	s_delay_alu instid0(VALU_DEP_3) | instskip(SKIP_1) | instid1(VALU_DEP_4)
	v_alignbit_b32 v28, v28, v32, 30
	v_alignbit_b32 v26, v32, v26, 30
	v_sub_nc_u32_e32 v31, 0, v29
	s_delay_alu instid0(VALU_DEP_1) | instskip(SKIP_3) | instid1(VALU_DEP_4)
	v_xor_b32_e32 v30, v27, v31
	v_cmp_ne_u32_e64 s5, v27, v31
	v_xor_b32_e32 v28, v28, v31
	v_xor_b32_e32 v26, v26, v31
	v_clz_i32_u32_e32 v34, v30
	s_delay_alu instid0(VALU_DEP_1) | instskip(NEXT) | instid1(VALU_DEP_1)
	v_add_nc_u32_e32 v33, 1, v34
	v_cndmask_b32_e64 v27, 33, v33, s5
	s_delay_alu instid0(VALU_DEP_1) | instskip(NEXT) | instid1(VALU_DEP_1)
	v_sub_nc_u32_e32 v32, 32, v27
	v_alignbit_b32 v30, v30, v28, v32
	v_alignbit_b32 v26, v28, v26, v32
	v_lshrrev_b32_e32 v28, 29, v1
	s_delay_alu instid0(VALU_DEP_2) | instskip(NEXT) | instid1(VALU_DEP_2)
	v_alignbit_b32 v31, v30, v26, 9
	v_lshlrev_b32_e32 v28, 31, v28
	v_alignbit_b32 v30, v27, v30, 9
	s_delay_alu instid0(VALU_DEP_3) | instskip(NEXT) | instid1(VALU_DEP_2)
	v_clz_i32_u32_e32 v32, v31
	v_or_b32_e32 v30, v30, v28
	v_or_b32_e32 v28, 0x33800000, v28
	s_delay_alu instid0(VALU_DEP_3) | instskip(NEXT) | instid1(VALU_DEP_3)
	v_min_u32_e32 v32, 32, v32
	v_xor_b32_e32 v30, 1.0, v30
	s_delay_alu instid0(VALU_DEP_2) | instskip(SKIP_1) | instid1(VALU_DEP_3)
	v_sub_nc_u32_e32 v33, 31, v32
	v_add_lshl_u32 v27, v32, v27, 23
	v_mul_f32_e32 v32, 0x3fc90fda, v30
	s_delay_alu instid0(VALU_DEP_3) | instskip(NEXT) | instid1(VALU_DEP_3)
	v_alignbit_b32 v26, v31, v26, v33
	v_sub_nc_u32_e32 v27, v28, v27
	s_delay_alu instid0(VALU_DEP_3) | instskip(NEXT) | instid1(VALU_DEP_3)
	v_fma_f32 v28, 0x3fc90fda, v30, -v32
	v_lshrrev_b32_e32 v26, 9, v26
	s_delay_alu instid0(VALU_DEP_2) | instskip(NEXT) | instid1(VALU_DEP_2)
	v_fmac_f32_e32 v28, 0x33a22168, v30
	v_or_b32_e32 v26, v27, v26
	s_delay_alu instid0(VALU_DEP_1) | instskip(SKIP_1) | instid1(VALU_DEP_1)
	v_fmac_f32_e32 v28, 0x3fc90fda, v26
	v_lshrrev_b32_e32 v26, 30, v1
	v_dual_add_f32 v1, v32, v28 :: v_dual_add_nc_u32 v26, v29, v26
	s_and_not1_saveexec_b32 s5, s31
	s_cbranch_execnz .LBB139_23
	s_branch .LBB139_24
.LBB139_22:                             ;   in Loop: Header=BB139_4 Depth=1
	s_and_not1_saveexec_b32 s5, s31
.LBB139_23:                             ;   in Loop: Header=BB139_4 Depth=1
	v_mul_f32_e64 v1, 0x3f22f983, |v14|
	s_delay_alu instid0(VALU_DEP_1) | instskip(NEXT) | instid1(VALU_DEP_1)
	v_rndne_f32_e32 v26, v1
	v_fma_f32 v1, 0xbfc90fda, v26, |v14|
	s_delay_alu instid0(VALU_DEP_1) | instskip(NEXT) | instid1(VALU_DEP_1)
	v_fmac_f32_e32 v1, 0xb3a22168, v26
	v_fmac_f32_e32 v1, 0xa7c234c4, v26
	v_cvt_i32_f32_e32 v26, v26
.LBB139_24:                             ;   in Loop: Header=BB139_4 Depth=1
	s_or_b32 exec_lo, exec_lo, s5
	v_mul_f32_e32 v27, 0x3fb8aa3b, v13
	v_dual_mul_f32 v28, v9, v9 :: v_dual_and_b32 v29, 1, v10
	v_lshlrev_b32_e32 v10, 30, v10
	v_dual_mul_f32 v32, v1, v1 :: v_dual_and_b32 v33, 1, v26
	s_delay_alu instid0(VALU_DEP_4) | instskip(SKIP_2) | instid1(VALU_DEP_3)
	v_rndne_f32_e32 v30, v27
	v_fma_f32 v31, 0x3fb8aa3b, v13, -v27
	v_dual_fmaak_f32 v35, s25, v28, 0xbab64f3b :: v_dual_lshlrev_b32 v26, 30, v26
	v_dual_fmaak_f32 v34, s24, v28, 0x3c0881c4 :: v_dual_sub_f32 v27, v27, v30
	s_delay_alu instid0(VALU_DEP_3)
	v_fmac_f32_e32 v31, 0x32a5705f, v13
	v_fmaak_f32 v36, s24, v32, 0x3c0881c4
	v_fmaak_f32 v37, s25, v32, 0xbab64f3b
	v_cmp_eq_u32_e64 s5, 0, v29
	v_cvt_i32_f32_e32 v30, v30
	v_add_f32_e32 v27, v27, v31
	v_fmaak_f32 v31, v28, v34, 0xbe2aaa9d
	v_fmaak_f32 v34, v28, v35, 0x3d2aabf7
	;; [unrolled: 1-line block ×3, first 2 shown]
	v_and_b32_e32 v10, 0x80000000, v10
	v_exp_f32_e32 v27, v27
	v_mul_f32_e32 v31, v28, v31
	v_fmaak_f32 v36, v32, v37, 0x3d2aabf7
	v_mul_f32_e32 v35, v32, v35
	v_fmaak_f32 v34, v28, v34, 0xbf000004
	v_and_or_b32 v25, 0x80000000, v26, v25
	s_delay_alu instid0(VALU_DEP_4) | instskip(NEXT) | instid1(VALU_DEP_4)
	v_dual_fmac_f32 v9, v9, v31 :: v_dual_fmaak_f32 v36, v32, v36, 0xbf000004
	v_fmac_f32_e32 v1, v1, v35
	s_delay_alu instid0(VALU_DEP_4) | instskip(NEXT) | instid1(TRANS32_DEP_1)
	v_fma_f32 v28, v28, v34, 1.0
	v_ldexp_f32 v27, v27, v30
	v_cmp_nlt_f32_e64 s6, 0x42b17218, v13
	v_fma_f32 v31, v32, v36, 1.0
	s_delay_alu instid0(VALU_DEP_4) | instskip(SKIP_1) | instid1(VALU_DEP_2)
	v_cndmask_b32_e64 v9, -v9, v28, s5
	v_cmp_eq_u32_e64 s5, 0, v33
	v_xor_b32_e32 v9, v10, v9
	s_delay_alu instid0(VALU_DEP_2) | instskip(SKIP_1) | instid1(VALU_DEP_2)
	v_cndmask_b32_e64 v1, v31, v1, s5
	v_cmp_ngt_f32_e64 s5, 0xc2ce8ed0, v13
	v_xor3_b32 v1, v25, v1, v14
	s_delay_alu instid0(VALU_DEP_2) | instskip(SKIP_1) | instid1(VALU_DEP_2)
	v_cndmask_b32_e64 v26, 0, v27, s5
	v_cmp_class_f32_e64 s5, v14, 0x1f8
                                        ; implicit-def: $vgpr14
                                        ; implicit-def: $vgpr25
	v_cndmask_b32_e64 v10, 0x7f800000, v26, s6
	s_delay_alu instid0(VALU_DEP_2) | instskip(SKIP_1) | instid1(VALU_DEP_2)
	v_cndmask_b32_e64 v9, 0x7fc00000, v9, s5
	v_cndmask_b32_e64 v1, 0x7fc00000, v1, s5
	v_mul_f32_e32 v9, v10, v9
	s_delay_alu instid0(VALU_DEP_2)
	v_mul_f32_e32 v10, v10, v1
.LBB139_25:                             ;   in Loop: Header=BB139_4 Depth=1
	s_and_not1_saveexec_b32 s30, s30
	s_cbranch_execz .LBB139_28
; %bb.26:                               ;   in Loop: Header=BB139_4 Depth=1
	v_cmp_ngt_f32_e64 s31, 0x48000000, |v14|
                                        ; implicit-def: $vgpr10
                                        ; implicit-def: $vgpr9
	s_delay_alu instid0(VALU_DEP_1) | instskip(NEXT) | instid1(SALU_CYCLE_1)
	s_and_saveexec_b32 s5, s31
	s_xor_b32 s33, exec_lo, s5
	s_cbranch_execz .LBB139_29
; %bb.27:                               ;   in Loop: Header=BB139_4 Depth=1
	v_and_or_b32 v33, v25, s23, 0x800000
	s_delay_alu instid0(VALU_DEP_1) | instskip(NEXT) | instid1(VALU_DEP_1)
	v_mad_u64_u32 v[9:10], null, 0xfe5163ab, v33, 0
	v_mov_b32_e32 v1, v10
	v_lshrrev_b32_e32 v10, 23, v25
	s_delay_alu instid0(VALU_DEP_1) | instskip(NEXT) | instid1(VALU_DEP_3)
	v_add_nc_u32_e32 v10, 0xffffff88, v10
	v_mad_u64_u32 v[26:27], null, 0x3c439041, v33, v[1:2]
	s_delay_alu instid0(VALU_DEP_2) | instskip(NEXT) | instid1(VALU_DEP_1)
	v_cmp_lt_u32_e64 s5, 63, v10
	v_cndmask_b32_e64 v31, 0, 0xffffffc0, s5
	s_delay_alu instid0(VALU_DEP_1) | instskip(NEXT) | instid1(VALU_DEP_1)
	v_add_nc_u32_e32 v10, v31, v10
	v_cmp_lt_u32_e64 s6, 31, v10
	s_delay_alu instid0(VALU_DEP_1) | instskip(NEXT) | instid1(VALU_DEP_1)
	v_cndmask_b32_e64 v32, 0, 0xffffffe0, s6
	v_dual_mov_b32 v1, v27 :: v_dual_add_nc_u32 v10, v32, v10
	s_delay_alu instid0(VALU_DEP_1) | instskip(NEXT) | instid1(VALU_DEP_2)
	v_mad_u64_u32 v[27:28], null, 0xdb629599, v33, v[1:2]
	v_cmp_lt_u32_e64 s7, 31, v10
	s_delay_alu instid0(VALU_DEP_2) | instskip(NEXT) | instid1(VALU_DEP_3)
	v_mov_b32_e32 v1, v28
	v_cndmask_b32_e64 v9, v27, v9, s5
	s_delay_alu instid0(VALU_DEP_2) | instskip(NEXT) | instid1(VALU_DEP_1)
	v_mad_u64_u32 v[28:29], null, 0xf534ddc0, v33, v[1:2]
	v_mov_b32_e32 v1, v29
	s_delay_alu instid0(VALU_DEP_1) | instskip(NEXT) | instid1(VALU_DEP_1)
	v_mad_u64_u32 v[29:30], null, 0xfc2757d1, v33, v[1:2]
	v_mov_b32_e32 v1, v30
	s_delay_alu instid0(VALU_DEP_1) | instskip(NEXT) | instid1(VALU_DEP_1)
	v_mad_u64_u32 v[30:31], null, 0x4e441529, v33, v[1:2]
	v_mov_b32_e32 v1, v31
	s_delay_alu instid0(VALU_DEP_1) | instskip(SKIP_1) | instid1(VALU_DEP_4)
	v_mad_u64_u32 v[31:32], null, 0xa2f9836e, v33, v[1:2]
	v_cndmask_b32_e64 v1, 0, 0xffffffe0, s7
	v_cndmask_b32_e64 v33, v30, v28, s5
	s_delay_alu instid0(VALU_DEP_2) | instskip(NEXT) | instid1(VALU_DEP_4)
	v_add_nc_u32_e32 v1, v1, v10
	v_cndmask_b32_e64 v31, v31, v29, s5
	v_cndmask_b32_e64 v30, v32, v30, s5
	;; [unrolled: 1-line block ×4, first 2 shown]
	v_cmp_eq_u32_e64 s8, 0, v1
	v_cndmask_b32_e64 v26, v31, v33, s6
	v_cndmask_b32_e64 v28, v30, v31, s6
	;; [unrolled: 1-line block ×3, first 2 shown]
	v_sub_nc_u32_e32 v31, 32, v1
	v_cndmask_b32_e64 v29, v29, v10, s6
	v_cndmask_b32_e64 v9, v10, v9, s6
	;; [unrolled: 1-line block ×4, first 2 shown]
	s_delay_alu instid0(VALU_DEP_4) | instskip(NEXT) | instid1(VALU_DEP_4)
	v_cndmask_b32_e64 v30, v30, v29, s7
	v_cndmask_b32_e64 v9, v29, v9, s7
	s_delay_alu instid0(VALU_DEP_3) | instskip(NEXT) | instid1(VALU_DEP_3)
	v_alignbit_b32 v32, v28, v26, v31
	v_alignbit_b32 v33, v26, v30, v31
	s_delay_alu instid0(VALU_DEP_3) | instskip(NEXT) | instid1(VALU_DEP_3)
	v_alignbit_b32 v31, v30, v9, v31
	v_cndmask_b32_e64 v1, v32, v28, s8
	s_delay_alu instid0(VALU_DEP_3) | instskip(NEXT) | instid1(VALU_DEP_3)
	v_cndmask_b32_e64 v26, v33, v26, s8
	v_cndmask_b32_e64 v30, v31, v30, s8
	s_delay_alu instid0(VALU_DEP_3) | instskip(NEXT) | instid1(VALU_DEP_3)
	v_bfe_u32 v27, v1, 29, 1
	v_alignbit_b32 v10, v1, v26, 30
	s_delay_alu instid0(VALU_DEP_3) | instskip(SKIP_1) | instid1(VALU_DEP_4)
	v_alignbit_b32 v26, v26, v30, 30
	v_alignbit_b32 v9, v30, v9, 30
	v_sub_nc_u32_e32 v28, 0, v27
	s_delay_alu instid0(VALU_DEP_1) | instskip(SKIP_3) | instid1(VALU_DEP_4)
	v_xor_b32_e32 v29, v10, v28
	v_cmp_ne_u32_e64 s5, v10, v28
	v_xor_b32_e32 v26, v26, v28
	v_xor_b32_e32 v9, v9, v28
	v_clz_i32_u32_e32 v32, v29
	s_delay_alu instid0(VALU_DEP_1) | instskip(NEXT) | instid1(VALU_DEP_1)
	v_add_nc_u32_e32 v31, 1, v32
	v_cndmask_b32_e64 v10, 33, v31, s5
	s_delay_alu instid0(VALU_DEP_1) | instskip(NEXT) | instid1(VALU_DEP_1)
	v_sub_nc_u32_e32 v30, 32, v10
	v_alignbit_b32 v28, v29, v26, v30
	v_alignbit_b32 v9, v26, v9, v30
	v_lshrrev_b32_e32 v26, 29, v1
	v_lshrrev_b32_e32 v1, 30, v1
	s_delay_alu instid0(VALU_DEP_3) | instskip(NEXT) | instid1(VALU_DEP_3)
	v_alignbit_b32 v29, v28, v9, 9
	v_lshlrev_b32_e32 v26, 31, v26
	v_alignbit_b32 v28, v10, v28, 9
	s_delay_alu instid0(VALU_DEP_3) | instskip(NEXT) | instid1(VALU_DEP_2)
	v_clz_i32_u32_e32 v30, v29
	v_or_b32_e32 v28, v28, v26
	v_or_b32_e32 v26, 0x33800000, v26
	s_delay_alu instid0(VALU_DEP_3) | instskip(NEXT) | instid1(VALU_DEP_3)
	v_min_u32_e32 v30, 32, v30
	v_xor_b32_e32 v28, 1.0, v28
	s_delay_alu instid0(VALU_DEP_2) | instskip(SKIP_1) | instid1(VALU_DEP_3)
	v_sub_nc_u32_e32 v31, 31, v30
	v_add_lshl_u32 v10, v30, v10, 23
	v_mul_f32_e32 v30, 0x3fc90fda, v28
	s_delay_alu instid0(VALU_DEP_3) | instskip(NEXT) | instid1(VALU_DEP_3)
	v_alignbit_b32 v9, v29, v9, v31
	v_sub_nc_u32_e32 v10, v26, v10
	s_delay_alu instid0(VALU_DEP_3) | instskip(NEXT) | instid1(VALU_DEP_3)
	v_fma_f32 v26, 0x3fc90fda, v28, -v30
	v_lshrrev_b32_e32 v9, 9, v9
	s_delay_alu instid0(VALU_DEP_2) | instskip(NEXT) | instid1(VALU_DEP_2)
	v_fmac_f32_e32 v26, 0x33a22168, v28
	v_or_b32_e32 v9, v10, v9
	v_add_nc_u32_e32 v10, v27, v1
	s_delay_alu instid0(VALU_DEP_2) | instskip(NEXT) | instid1(VALU_DEP_1)
	v_fmac_f32_e32 v26, 0x3fc90fda, v9
	v_add_f32_e32 v9, v30, v26
	s_and_not1_saveexec_b32 s5, s33
	s_branch .LBB139_30
.LBB139_28:                             ;   in Loop: Header=BB139_4 Depth=1
	s_or_b32 exec_lo, exec_lo, s30
                                        ; implicit-def: $vgpr13
                                        ; implicit-def: $vgpr1
	s_and_not1_saveexec_b32 s6, s29
	s_cbranch_execnz .LBB139_37
	s_branch .LBB139_42
.LBB139_29:                             ;   in Loop: Header=BB139_4 Depth=1
	s_and_not1_saveexec_b32 s5, s33
.LBB139_30:                             ;   in Loop: Header=BB139_4 Depth=1
	v_mul_f32_e64 v1, 0x3f22f983, |v14|
	s_delay_alu instid0(VALU_DEP_1) | instskip(NEXT) | instid1(VALU_DEP_1)
	v_rndne_f32_e32 v1, v1
	v_fma_f32 v9, 0xbfc90fda, v1, |v14|
	v_cvt_i32_f32_e32 v10, v1
	s_delay_alu instid0(VALU_DEP_2) | instskip(NEXT) | instid1(VALU_DEP_1)
	v_fmac_f32_e32 v9, 0xb3a22168, v1
	v_fmac_f32_e32 v9, 0xa7c234c4, v1
; %bb.31:                               ;   in Loop: Header=BB139_4 Depth=1
	s_or_b32 exec_lo, exec_lo, s5
                                        ; implicit-def: $vgpr26
                                        ; implicit-def: $vgpr1
	s_and_saveexec_b32 s5, s31
	s_delay_alu instid0(SALU_CYCLE_1)
	s_xor_b32 s31, exec_lo, s5
	s_cbranch_execz .LBB139_33
; %bb.32:                               ;   in Loop: Header=BB139_4 Depth=1
	v_and_or_b32 v34, v25, s23, 0x800000
	v_lshrrev_b32_e32 v31, 23, v25
	s_delay_alu instid0(VALU_DEP_2) | instskip(NEXT) | instid1(VALU_DEP_2)
	v_mad_u64_u32 v[26:27], null, 0xfe5163ab, v34, 0
	v_add_nc_u32_e32 v32, 0xffffff88, v31
	s_delay_alu instid0(VALU_DEP_1) | instskip(NEXT) | instid1(VALU_DEP_3)
	v_cmp_lt_u32_e64 s5, 63, v32
	v_mov_b32_e32 v1, v27
	s_delay_alu instid0(VALU_DEP_2) | instskip(NEXT) | instid1(VALU_DEP_2)
	v_cndmask_b32_e64 v33, 0, 0xffffffc0, s5
	v_mad_u64_u32 v[27:28], null, 0x3c439041, v34, v[1:2]
	s_delay_alu instid0(VALU_DEP_2) | instskip(NEXT) | instid1(VALU_DEP_2)
	v_add_nc_u32_e32 v33, v33, v32
	v_mov_b32_e32 v1, v28
	s_delay_alu instid0(VALU_DEP_2) | instskip(NEXT) | instid1(VALU_DEP_2)
	v_cmp_lt_u32_e64 s6, 31, v33
	v_mad_u64_u32 v[28:29], null, 0xdb629599, v34, v[1:2]
	s_delay_alu instid0(VALU_DEP_2) | instskip(NEXT) | instid1(VALU_DEP_1)
	v_cndmask_b32_e64 v35, 0, 0xffffffe0, s6
	v_add_nc_u32_e32 v35, v35, v33
	s_delay_alu instid0(VALU_DEP_3) | instskip(NEXT) | instid1(VALU_DEP_4)
	v_mov_b32_e32 v1, v29
	v_cndmask_b32_e64 v26, v28, v26, s5
	s_delay_alu instid0(VALU_DEP_3) | instskip(NEXT) | instid1(VALU_DEP_3)
	v_cmp_lt_u32_e64 s7, 31, v35
	v_mad_u64_u32 v[29:30], null, 0xf534ddc0, v34, v[1:2]
	s_delay_alu instid0(VALU_DEP_1) | instskip(NEXT) | instid1(VALU_DEP_2)
	v_mov_b32_e32 v1, v30
	v_cndmask_b32_e64 v27, v29, v27, s5
	s_delay_alu instid0(VALU_DEP_2) | instskip(NEXT) | instid1(VALU_DEP_2)
	v_mad_u64_u32 v[30:31], null, 0xfc2757d1, v34, v[1:2]
	v_cndmask_b32_e64 v26, v27, v26, s6
	s_delay_alu instid0(VALU_DEP_2) | instskip(NEXT) | instid1(VALU_DEP_1)
	v_mov_b32_e32 v1, v31
	v_mad_u64_u32 v[31:32], null, 0x4e441529, v34, v[1:2]
	s_delay_alu instid0(VALU_DEP_1) | instskip(NEXT) | instid1(VALU_DEP_1)
	v_mov_b32_e32 v1, v32
	v_mad_u64_u32 v[32:33], null, 0xa2f9836e, v34, v[1:2]
	v_cndmask_b32_e64 v1, 0, 0xffffffe0, s7
	s_delay_alu instid0(VALU_DEP_4) | instskip(NEXT) | instid1(VALU_DEP_2)
	v_cndmask_b32_e64 v34, v31, v29, s5
	v_add_nc_u32_e32 v1, v1, v35
	s_delay_alu instid0(VALU_DEP_4) | instskip(SKIP_2) | instid1(VALU_DEP_4)
	v_cndmask_b32_e64 v32, v32, v30, s5
	v_cndmask_b32_e64 v31, v33, v31, s5
	;; [unrolled: 1-line block ×3, first 2 shown]
	v_sub_nc_u32_e32 v33, 32, v1
	s_delay_alu instid0(VALU_DEP_4) | instskip(NEXT) | instid1(VALU_DEP_4)
	v_cndmask_b32_e64 v29, v32, v34, s6
	v_cndmask_b32_e64 v31, v31, v32, s6
	s_delay_alu instid0(VALU_DEP_4) | instskip(SKIP_2) | instid1(VALU_DEP_4)
	v_cndmask_b32_e64 v32, v34, v30, s6
	v_cndmask_b32_e64 v30, v30, v27, s6
	v_cmp_eq_u32_e64 s8, 0, v1
	v_cndmask_b32_e64 v31, v31, v29, s7
	s_delay_alu instid0(VALU_DEP_4) | instskip(NEXT) | instid1(VALU_DEP_4)
	v_cndmask_b32_e64 v29, v29, v32, s7
	v_cndmask_b32_e64 v32, v32, v30, s7
	;; [unrolled: 1-line block ×3, first 2 shown]
	s_delay_alu instid0(VALU_DEP_3) | instskip(NEXT) | instid1(VALU_DEP_3)
	v_alignbit_b32 v34, v31, v29, v33
	v_alignbit_b32 v35, v29, v32, v33
	s_delay_alu instid0(VALU_DEP_3) | instskip(NEXT) | instid1(VALU_DEP_3)
	v_alignbit_b32 v33, v32, v26, v33
	v_cndmask_b32_e64 v1, v34, v31, s8
	s_delay_alu instid0(VALU_DEP_3) | instskip(NEXT) | instid1(VALU_DEP_3)
	v_cndmask_b32_e64 v28, v35, v29, s8
	v_cndmask_b32_e64 v32, v33, v32, s8
	s_delay_alu instid0(VALU_DEP_3) | instskip(NEXT) | instid1(VALU_DEP_3)
	v_bfe_u32 v29, v1, 29, 1
	v_alignbit_b32 v27, v1, v28, 30
	s_delay_alu instid0(VALU_DEP_3) | instskip(SKIP_1) | instid1(VALU_DEP_4)
	v_alignbit_b32 v28, v28, v32, 30
	v_alignbit_b32 v26, v32, v26, 30
	v_sub_nc_u32_e32 v31, 0, v29
	s_delay_alu instid0(VALU_DEP_1) | instskip(SKIP_3) | instid1(VALU_DEP_4)
	v_xor_b32_e32 v30, v27, v31
	v_cmp_ne_u32_e64 s5, v27, v31
	v_xor_b32_e32 v28, v28, v31
	v_xor_b32_e32 v26, v26, v31
	v_clz_i32_u32_e32 v34, v30
	s_delay_alu instid0(VALU_DEP_1) | instskip(NEXT) | instid1(VALU_DEP_1)
	v_add_nc_u32_e32 v33, 1, v34
	v_cndmask_b32_e64 v27, 33, v33, s5
	s_delay_alu instid0(VALU_DEP_1) | instskip(NEXT) | instid1(VALU_DEP_1)
	v_sub_nc_u32_e32 v32, 32, v27
	v_alignbit_b32 v30, v30, v28, v32
	v_alignbit_b32 v26, v28, v26, v32
	v_lshrrev_b32_e32 v28, 29, v1
	s_delay_alu instid0(VALU_DEP_2) | instskip(NEXT) | instid1(VALU_DEP_2)
	v_alignbit_b32 v31, v30, v26, 9
	v_lshlrev_b32_e32 v28, 31, v28
	v_alignbit_b32 v30, v27, v30, 9
	s_delay_alu instid0(VALU_DEP_3) | instskip(NEXT) | instid1(VALU_DEP_2)
	v_clz_i32_u32_e32 v32, v31
	v_or_b32_e32 v30, v30, v28
	v_or_b32_e32 v28, 0x33800000, v28
	s_delay_alu instid0(VALU_DEP_3) | instskip(NEXT) | instid1(VALU_DEP_3)
	v_min_u32_e32 v32, 32, v32
	v_xor_b32_e32 v30, 1.0, v30
	s_delay_alu instid0(VALU_DEP_2) | instskip(SKIP_1) | instid1(VALU_DEP_3)
	v_sub_nc_u32_e32 v33, 31, v32
	v_add_lshl_u32 v27, v32, v27, 23
	v_mul_f32_e32 v32, 0x3fc90fda, v30
	s_delay_alu instid0(VALU_DEP_3) | instskip(NEXT) | instid1(VALU_DEP_3)
	v_alignbit_b32 v26, v31, v26, v33
	v_sub_nc_u32_e32 v27, v28, v27
	s_delay_alu instid0(VALU_DEP_3) | instskip(NEXT) | instid1(VALU_DEP_3)
	v_fma_f32 v28, 0x3fc90fda, v30, -v32
	v_lshrrev_b32_e32 v26, 9, v26
	s_delay_alu instid0(VALU_DEP_2) | instskip(NEXT) | instid1(VALU_DEP_2)
	v_fmac_f32_e32 v28, 0x33a22168, v30
	v_or_b32_e32 v26, v27, v26
	s_delay_alu instid0(VALU_DEP_1) | instskip(SKIP_1) | instid1(VALU_DEP_1)
	v_fmac_f32_e32 v28, 0x3fc90fda, v26
	v_lshrrev_b32_e32 v26, 30, v1
	v_dual_add_f32 v1, v32, v28 :: v_dual_add_nc_u32 v26, v29, v26
	s_and_not1_saveexec_b32 s5, s31
	s_cbranch_execnz .LBB139_34
	s_branch .LBB139_35
.LBB139_33:                             ;   in Loop: Header=BB139_4 Depth=1
	s_and_not1_saveexec_b32 s5, s31
.LBB139_34:                             ;   in Loop: Header=BB139_4 Depth=1
	v_mul_f32_e64 v1, 0x3f22f983, |v14|
	s_delay_alu instid0(VALU_DEP_1) | instskip(NEXT) | instid1(VALU_DEP_1)
	v_rndne_f32_e32 v26, v1
	v_fma_f32 v1, 0xbfc90fda, v26, |v14|
	s_delay_alu instid0(VALU_DEP_1) | instskip(NEXT) | instid1(VALU_DEP_1)
	v_fmac_f32_e32 v1, 0xb3a22168, v26
	v_fmac_f32_e32 v1, 0xa7c234c4, v26
	v_cvt_i32_f32_e32 v26, v26
.LBB139_35:                             ;   in Loop: Header=BB139_4 Depth=1
	s_or_b32 exec_lo, exec_lo, s5
	v_add_f32_e32 v13, 0xc322e3bc, v13
	v_mul_f32_e32 v30, v9, v9
	v_mul_f32_e32 v31, v1, v1
	s_delay_alu instid0(VALU_DEP_3) | instskip(NEXT) | instid1(VALU_DEP_3)
	v_mul_f32_e32 v27, 0x3fb8aa3b, v13
	v_fmaak_f32 v32, s25, v30, 0xbab64f3b
	s_delay_alu instid0(VALU_DEP_3) | instskip(NEXT) | instid1(VALU_DEP_3)
	v_dual_fmaak_f32 v33, s24, v30, 0x3c0881c4 :: v_dual_fmaak_f32 v34, s24, v31, 0x3c0881c4
	v_fma_f32 v28, 0x3fb8aa3b, v13, -v27
	v_rndne_f32_e32 v29, v27
	s_delay_alu instid0(VALU_DEP_3) | instskip(NEXT) | instid1(VALU_DEP_3)
	v_fmaak_f32 v34, v31, v34, 0xbe2aaa9d
	v_fmac_f32_e32 v28, 0x32a5705f, v13
	s_delay_alu instid0(VALU_DEP_3) | instskip(NEXT) | instid1(VALU_DEP_3)
	v_sub_f32_e32 v27, v27, v29
	v_mul_f32_e32 v34, v31, v34
	s_delay_alu instid0(VALU_DEP_2)
	v_add_f32_e32 v27, v27, v28
	v_cvt_i32_f32_e32 v28, v29
	v_lshlrev_b32_e32 v29, 30, v10
	v_and_b32_e32 v10, 1, v10
	v_cmp_ngt_f32_e64 s5, 0xc2ce8ed0, v13
	v_exp_f32_e32 v27, v27
	v_fmac_f32_e32 v1, v1, v34
	s_waitcnt_depctr 0xfff
	v_ldexp_f32 v27, v27, v28
	v_and_b32_e32 v28, 1, v26
	v_lshlrev_b32_e32 v26, 30, v26
	s_delay_alu instid0(VALU_DEP_3) | instskip(SKIP_1) | instid1(VALU_DEP_3)
	v_cndmask_b32_e64 v27, 0, v27, s5
	v_cmp_nlt_f32_e64 s5, 0x42b17218, v13
	v_and_or_b32 v25, 0x80000000, v26, v25
	s_delay_alu instid0(VALU_DEP_2)
	v_cndmask_b32_e64 v13, 0x7f800000, v27, s5
	v_fmaak_f32 v27, s25, v31, 0xbab64f3b
	v_fmaak_f32 v26, v30, v32, 0x3d2aabf7
	v_fmaak_f32 v32, v30, v33, 0xbe2aaa9d
	v_and_b32_e32 v29, 0x80000000, v29
	v_lshrrev_b32_e32 v33, 23, v13
	v_fmaak_f32 v27, v31, v27, 0x3d2aabf7
	v_fmaak_f32 v26, v30, v26, 0xbf000004
	v_mul_f32_e32 v32, v30, v32
	v_cmp_eq_u32_e64 s5, 0, v10
	v_subrev_nc_u32_e32 v33, 19, v33
	v_fmaak_f32 v27, v31, v27, 0xbf000004
	v_fma_f32 v26, v30, v26, 1.0
	v_fmac_f32_e32 v9, v9, v32
	v_and_or_b32 v13, 0x7fffff, v13, s26
	v_lshrrev_b16 v30, 15, v33
	v_fma_f32 v27, v31, v27, 1.0
	s_delay_alu instid0(VALU_DEP_4) | instskip(SKIP_1) | instid1(VALU_DEP_4)
	v_cndmask_b32_e64 v9, -v9, v26, s5
	v_cmp_eq_u32_e64 s5, 0, v28
	v_add_nc_u16 v10, v33, v30
	s_delay_alu instid0(VALU_DEP_3) | instskip(NEXT) | instid1(VALU_DEP_3)
	v_xor_b32_e32 v9, v29, v9
	v_cndmask_b32_e64 v1, v27, v1, s5
	s_delay_alu instid0(VALU_DEP_3) | instskip(SKIP_1) | instid1(VALU_DEP_3)
	v_ashrrev_i16 v10, 1, v10
	v_cmp_class_f32_e64 s5, v14, 0x1f8
	v_xor3_b32 v1, v25, v1, v14
	s_delay_alu instid0(VALU_DEP_3) | instskip(NEXT) | instid1(VALU_DEP_3)
	v_bfe_i32 v10, v10, 0, 16
	v_cndmask_b32_e64 v9, 0x7fc00000, v9, s5
	s_delay_alu instid0(VALU_DEP_3) | instskip(NEXT) | instid1(VALU_DEP_3)
	v_cndmask_b32_e64 v1, 0x7fc00000, v1, s5
	v_lshl_add_u32 v14, v10, 23, 1.0
	s_delay_alu instid0(VALU_DEP_3) | instskip(SKIP_1) | instid1(VALU_DEP_4)
	v_mul_f32_e32 v9, v9, v13
	v_sub_nc_u32_e32 v10, v33, v10
	v_mul_f32_e32 v1, v1, v13
	s_delay_alu instid0(VALU_DEP_3) | instskip(NEXT) | instid1(VALU_DEP_3)
	v_mul_f32_e32 v9, v9, v14
	v_lshl_add_u32 v10, v10, 23, 1.0
	s_delay_alu instid0(VALU_DEP_3) | instskip(NEXT) | instid1(VALU_DEP_2)
	v_mul_f32_e32 v1, v1, v14
	v_mul_f32_e32 v9, v9, v10
	s_delay_alu instid0(VALU_DEP_2)
	v_mul_f32_e32 v10, v1, v10
	s_or_b32 exec_lo, exec_lo, s30
                                        ; implicit-def: $vgpr13
                                        ; implicit-def: $vgpr1
.LBB139_36:                             ;   in Loop: Header=BB139_4 Depth=1
	s_and_not1_saveexec_b32 s6, s29
	s_cbranch_execz .LBB139_42
.LBB139_37:                             ;   in Loop: Header=BB139_4 Depth=1
	v_cmp_ne_u32_e64 s5, 0x7f800000, v1
	v_sub_f32_e32 v10, v14, v14
	s_delay_alu instid0(VALU_DEP_2) | instskip(NEXT) | instid1(SALU_CYCLE_1)
	s_and_saveexec_b32 s7, s5
	s_xor_b32 s5, exec_lo, s7
; %bb.38:                               ;   in Loop: Header=BB139_4 Depth=1
                                        ; implicit-def: $vgpr13
; %bb.39:                               ;   in Loop: Header=BB139_4 Depth=1
	s_delay_alu instid0(SALU_CYCLE_1) | instskip(NEXT) | instid1(VALU_DEP_1)
	s_or_saveexec_b32 s7, s5
	v_mov_b32_e32 v9, v10
	s_xor_b32 exec_lo, exec_lo, s7
; %bb.40:                               ;   in Loop: Header=BB139_4 Depth=1
	v_cmp_lt_i32_e64 s5, -1, v13
	s_delay_alu instid0(VALU_DEP_1)
	v_cndmask_b32_e64 v9, 0, v13, s5
	v_cndmask_b32_e64 v10, 0, v10, s5
; %bb.41:                               ;   in Loop: Header=BB139_4 Depth=1
	s_or_b32 exec_lo, exec_lo, s7
.LBB139_42:                             ;   in Loop: Header=BB139_4 Depth=1
	s_delay_alu instid0(SALU_CYCLE_1)
	s_or_b32 exec_lo, exec_lo, s6
                                        ; implicit-def: $vgpr14
                                        ; implicit-def: $vgpr25
.LBB139_43:                             ;   in Loop: Header=BB139_4 Depth=1
	s_and_not1_saveexec_b32 s28, s28
	s_cbranch_execz .LBB139_53
; %bb.44:                               ;   in Loop: Header=BB139_4 Depth=1
	v_lshrrev_b32_e32 v1, 23, v25
	v_cmp_ngt_f32_e64 s29, 0x48000000, |v14|
	v_and_or_b32 v13, v25, s23, 0x800000
                                        ; implicit-def: $vgpr10
                                        ; implicit-def: $vgpr9
	s_delay_alu instid0(VALU_DEP_3) | instskip(NEXT) | instid1(VALU_DEP_3)
	v_add_nc_u32_e32 v26, 0xffffff88, v1
	s_and_saveexec_b32 s5, s29
	s_delay_alu instid0(SALU_CYCLE_1)
	s_xor_b32 s30, exec_lo, s5
	s_cbranch_execz .LBB139_46
; %bb.45:                               ;   in Loop: Header=BB139_4 Depth=1
	v_mad_u64_u32 v[9:10], null, 0xfe5163ab, v13, 0
	v_cmp_lt_u32_e64 s5, 63, v26
	s_delay_alu instid0(VALU_DEP_2) | instskip(NEXT) | instid1(VALU_DEP_2)
	v_mov_b32_e32 v1, v10
	v_cndmask_b32_e64 v10, 0, 0xffffffc0, s5
	s_delay_alu instid0(VALU_DEP_1) | instskip(NEXT) | instid1(VALU_DEP_1)
	v_add_nc_u32_e32 v10, v10, v26
	v_cmp_lt_u32_e64 s6, 31, v10
	s_delay_alu instid0(VALU_DEP_1) | instskip(NEXT) | instid1(VALU_DEP_1)
	v_cndmask_b32_e64 v33, 0, 0xffffffe0, s6
	v_add_nc_u32_e32 v10, v33, v10
	v_mad_u64_u32 v[27:28], null, 0x3c439041, v13, v[1:2]
	s_delay_alu instid0(VALU_DEP_2) | instskip(NEXT) | instid1(VALU_DEP_2)
	v_cmp_lt_u32_e64 s7, 31, v10
	v_mov_b32_e32 v1, v28
	s_delay_alu instid0(VALU_DEP_1) | instskip(NEXT) | instid1(VALU_DEP_1)
	v_mad_u64_u32 v[28:29], null, 0xdb629599, v13, v[1:2]
	v_mov_b32_e32 v1, v29
	s_delay_alu instid0(VALU_DEP_2) | instskip(NEXT) | instid1(VALU_DEP_2)
	v_cndmask_b32_e64 v9, v28, v9, s5
	v_mad_u64_u32 v[29:30], null, 0xf534ddc0, v13, v[1:2]
	s_delay_alu instid0(VALU_DEP_1) | instskip(NEXT) | instid1(VALU_DEP_1)
	v_mov_b32_e32 v1, v30
	v_mad_u64_u32 v[30:31], null, 0xfc2757d1, v13, v[1:2]
	s_delay_alu instid0(VALU_DEP_1) | instskip(NEXT) | instid1(VALU_DEP_1)
	v_mov_b32_e32 v1, v31
	v_mad_u64_u32 v[31:32], null, 0x4e441529, v13, v[1:2]
	s_delay_alu instid0(VALU_DEP_1) | instskip(NEXT) | instid1(VALU_DEP_2)
	v_mov_b32_e32 v1, v32
	v_cndmask_b32_e64 v34, v31, v29, s5
	s_delay_alu instid0(VALU_DEP_2) | instskip(SKIP_1) | instid1(VALU_DEP_1)
	v_mad_u64_u32 v[32:33], null, 0xa2f9836e, v13, v[1:2]
	v_cndmask_b32_e64 v1, 0, 0xffffffe0, s7
	v_add_nc_u32_e32 v1, v1, v10
	s_delay_alu instid0(VALU_DEP_3) | instskip(NEXT) | instid1(VALU_DEP_4)
	v_cndmask_b32_e64 v32, v32, v30, s5
	v_cndmask_b32_e64 v31, v33, v31, s5
	;; [unrolled: 1-line block ×4, first 2 shown]
	v_cmp_eq_u32_e64 s8, 0, v1
	v_cndmask_b32_e64 v27, v32, v34, s6
	v_cndmask_b32_e64 v29, v31, v32, s6
	;; [unrolled: 1-line block ×3, first 2 shown]
	v_sub_nc_u32_e32 v32, 32, v1
	v_cndmask_b32_e64 v30, v30, v10, s6
	v_cndmask_b32_e64 v9, v10, v9, s6
	;; [unrolled: 1-line block ×4, first 2 shown]
	s_delay_alu instid0(VALU_DEP_4) | instskip(NEXT) | instid1(VALU_DEP_4)
	v_cndmask_b32_e64 v31, v31, v30, s7
	v_cndmask_b32_e64 v9, v30, v9, s7
	s_delay_alu instid0(VALU_DEP_3) | instskip(NEXT) | instid1(VALU_DEP_3)
	v_alignbit_b32 v33, v29, v27, v32
	v_alignbit_b32 v34, v27, v31, v32
	s_delay_alu instid0(VALU_DEP_3) | instskip(NEXT) | instid1(VALU_DEP_3)
	v_alignbit_b32 v32, v31, v9, v32
	v_cndmask_b32_e64 v1, v33, v29, s8
	s_delay_alu instid0(VALU_DEP_3) | instskip(NEXT) | instid1(VALU_DEP_3)
	v_cndmask_b32_e64 v27, v34, v27, s8
	v_cndmask_b32_e64 v31, v32, v31, s8
	s_delay_alu instid0(VALU_DEP_3) | instskip(NEXT) | instid1(VALU_DEP_3)
	v_bfe_u32 v28, v1, 29, 1
	v_alignbit_b32 v10, v1, v27, 30
	s_delay_alu instid0(VALU_DEP_3) | instskip(SKIP_1) | instid1(VALU_DEP_4)
	v_alignbit_b32 v27, v27, v31, 30
	v_alignbit_b32 v9, v31, v9, 30
	v_sub_nc_u32_e32 v29, 0, v28
	s_delay_alu instid0(VALU_DEP_1) | instskip(SKIP_3) | instid1(VALU_DEP_4)
	v_xor_b32_e32 v30, v10, v29
	v_cmp_ne_u32_e64 s5, v10, v29
	v_xor_b32_e32 v27, v27, v29
	v_xor_b32_e32 v9, v9, v29
	v_clz_i32_u32_e32 v33, v30
	s_delay_alu instid0(VALU_DEP_1) | instskip(NEXT) | instid1(VALU_DEP_1)
	v_add_nc_u32_e32 v32, 1, v33
	v_cndmask_b32_e64 v10, 33, v32, s5
	s_delay_alu instid0(VALU_DEP_1) | instskip(NEXT) | instid1(VALU_DEP_1)
	v_sub_nc_u32_e32 v31, 32, v10
	v_alignbit_b32 v29, v30, v27, v31
	v_alignbit_b32 v9, v27, v9, v31
	v_lshrrev_b32_e32 v27, 29, v1
	v_lshrrev_b32_e32 v1, 30, v1
	s_delay_alu instid0(VALU_DEP_3) | instskip(NEXT) | instid1(VALU_DEP_3)
	v_alignbit_b32 v30, v29, v9, 9
	v_lshlrev_b32_e32 v27, 31, v27
	v_alignbit_b32 v29, v10, v29, 9
	s_delay_alu instid0(VALU_DEP_3) | instskip(NEXT) | instid1(VALU_DEP_2)
	v_clz_i32_u32_e32 v31, v30
	v_or_b32_e32 v29, v29, v27
	v_or_b32_e32 v27, 0x33800000, v27
	s_delay_alu instid0(VALU_DEP_3) | instskip(NEXT) | instid1(VALU_DEP_3)
	v_min_u32_e32 v31, 32, v31
	v_xor_b32_e32 v29, 1.0, v29
	s_delay_alu instid0(VALU_DEP_2) | instskip(SKIP_1) | instid1(VALU_DEP_3)
	v_sub_nc_u32_e32 v32, 31, v31
	v_add_lshl_u32 v10, v31, v10, 23
	v_mul_f32_e32 v31, 0x3fc90fda, v29
	s_delay_alu instid0(VALU_DEP_3) | instskip(NEXT) | instid1(VALU_DEP_3)
	v_alignbit_b32 v9, v30, v9, v32
	v_sub_nc_u32_e32 v10, v27, v10
	s_delay_alu instid0(VALU_DEP_3) | instskip(NEXT) | instid1(VALU_DEP_3)
	v_fma_f32 v27, 0x3fc90fda, v29, -v31
	v_lshrrev_b32_e32 v9, 9, v9
	s_delay_alu instid0(VALU_DEP_2) | instskip(NEXT) | instid1(VALU_DEP_2)
	v_fmac_f32_e32 v27, 0x33a22168, v29
	v_or_b32_e32 v9, v10, v9
	v_add_nc_u32_e32 v10, v28, v1
	s_delay_alu instid0(VALU_DEP_2) | instskip(NEXT) | instid1(VALU_DEP_1)
	v_fmac_f32_e32 v27, 0x3fc90fda, v9
	v_add_f32_e32 v9, v31, v27
.LBB139_46:                             ;   in Loop: Header=BB139_4 Depth=1
	s_or_saveexec_b32 s5, s30
	v_mul_f32_e64 v1, 0x3f22f983, |v14|
	s_delay_alu instid0(VALU_DEP_1)
	v_rndne_f32_e32 v28, v1
	s_xor_b32 exec_lo, exec_lo, s5
; %bb.47:                               ;   in Loop: Header=BB139_4 Depth=1
	s_delay_alu instid0(VALU_DEP_1) | instskip(SKIP_1) | instid1(VALU_DEP_2)
	v_fma_f32 v9, 0xbfc90fda, v28, |v14|
	v_cvt_i32_f32_e32 v10, v28
	v_fmac_f32_e32 v9, 0xb3a22168, v28
	s_delay_alu instid0(VALU_DEP_1)
	v_fmac_f32_e32 v9, 0xa7c234c4, v28
; %bb.48:                               ;   in Loop: Header=BB139_4 Depth=1
	s_or_b32 exec_lo, exec_lo, s5
                                        ; implicit-def: $vgpr27
                                        ; implicit-def: $vgpr1
	s_and_saveexec_b32 s5, s29
	s_delay_alu instid0(SALU_CYCLE_1)
	s_xor_b32 s29, exec_lo, s5
	s_cbranch_execz .LBB139_50
; %bb.49:                               ;   in Loop: Header=BB139_4 Depth=1
	v_mad_u64_u32 v[27:28], null, 0xfe5163ab, v13, 0
	v_cmp_lt_u32_e64 s5, 63, v26
	s_delay_alu instid0(VALU_DEP_1) | instskip(NEXT) | instid1(VALU_DEP_1)
	v_cndmask_b32_e64 v33, 0, 0xffffffc0, s5
	v_dual_mov_b32 v1, v28 :: v_dual_add_nc_u32 v26, v33, v26
	s_delay_alu instid0(VALU_DEP_1) | instskip(NEXT) | instid1(VALU_DEP_2)
	v_mad_u64_u32 v[28:29], null, 0x3c439041, v13, v[1:2]
	v_cmp_lt_u32_e64 s6, 31, v26
	s_delay_alu instid0(VALU_DEP_1) | instskip(NEXT) | instid1(VALU_DEP_1)
	v_cndmask_b32_e64 v34, 0, 0xffffffe0, s6
	v_dual_mov_b32 v1, v29 :: v_dual_add_nc_u32 v26, v34, v26
	s_delay_alu instid0(VALU_DEP_1) | instskip(NEXT) | instid1(VALU_DEP_2)
	v_mad_u64_u32 v[29:30], null, 0xdb629599, v13, v[1:2]
	v_cmp_lt_u32_e64 s7, 31, v26
	s_delay_alu instid0(VALU_DEP_2) | instskip(NEXT) | instid1(VALU_DEP_3)
	v_mov_b32_e32 v1, v30
	v_cndmask_b32_e64 v27, v29, v27, s5
	s_delay_alu instid0(VALU_DEP_2) | instskip(NEXT) | instid1(VALU_DEP_1)
	v_mad_u64_u32 v[30:31], null, 0xf534ddc0, v13, v[1:2]
	v_mov_b32_e32 v1, v31
	s_delay_alu instid0(VALU_DEP_1) | instskip(NEXT) | instid1(VALU_DEP_1)
	v_mad_u64_u32 v[31:32], null, 0xfc2757d1, v13, v[1:2]
	v_mov_b32_e32 v1, v32
	s_delay_alu instid0(VALU_DEP_1) | instskip(NEXT) | instid1(VALU_DEP_1)
	v_mad_u64_u32 v[32:33], null, 0x4e441529, v13, v[1:2]
	v_mov_b32_e32 v1, v33
	s_delay_alu instid0(VALU_DEP_1) | instskip(SKIP_1) | instid1(VALU_DEP_4)
	v_mad_u64_u32 v[33:34], null, 0xa2f9836e, v13, v[1:2]
	v_cndmask_b32_e64 v1, 0, 0xffffffe0, s7
	v_cndmask_b32_e64 v13, v32, v30, s5
	s_delay_alu instid0(VALU_DEP_2) | instskip(NEXT) | instid1(VALU_DEP_4)
	v_add_nc_u32_e32 v1, v1, v26
	v_cndmask_b32_e64 v33, v33, v31, s5
	v_cndmask_b32_e64 v32, v34, v32, s5
	v_cndmask_b32_e64 v31, v31, v29, s5
	v_cndmask_b32_e64 v26, v30, v28, s5
	v_cmp_eq_u32_e64 s8, 0, v1
	v_cndmask_b32_e64 v28, v33, v13, s6
	v_cndmask_b32_e64 v30, v32, v33, s6
	;; [unrolled: 1-line block ×3, first 2 shown]
	v_sub_nc_u32_e32 v32, 32, v1
	v_cndmask_b32_e64 v31, v31, v26, s6
	v_cndmask_b32_e64 v26, v26, v27, s6
	;; [unrolled: 1-line block ×4, first 2 shown]
	s_delay_alu instid0(VALU_DEP_4) | instskip(NEXT) | instid1(VALU_DEP_4)
	v_cndmask_b32_e64 v13, v13, v31, s7
	v_cndmask_b32_e64 v26, v31, v26, s7
	s_delay_alu instid0(VALU_DEP_3) | instskip(NEXT) | instid1(VALU_DEP_3)
	v_alignbit_b32 v33, v30, v28, v32
	v_alignbit_b32 v34, v28, v13, v32
	s_delay_alu instid0(VALU_DEP_3) | instskip(NEXT) | instid1(VALU_DEP_3)
	v_alignbit_b32 v32, v13, v26, v32
	v_cndmask_b32_e64 v1, v33, v30, s8
	s_delay_alu instid0(VALU_DEP_3) | instskip(NEXT) | instid1(VALU_DEP_3)
	v_cndmask_b32_e64 v28, v34, v28, s8
	v_cndmask_b32_e64 v13, v32, v13, s8
	s_delay_alu instid0(VALU_DEP_3) | instskip(NEXT) | instid1(VALU_DEP_3)
	v_bfe_u32 v29, v1, 29, 1
	v_alignbit_b32 v27, v1, v28, 30
	s_delay_alu instid0(VALU_DEP_3) | instskip(SKIP_1) | instid1(VALU_DEP_4)
	v_alignbit_b32 v28, v28, v13, 30
	v_alignbit_b32 v13, v13, v26, 30
	v_sub_nc_u32_e32 v30, 0, v29
	s_delay_alu instid0(VALU_DEP_1) | instskip(SKIP_3) | instid1(VALU_DEP_4)
	v_xor_b32_e32 v31, v27, v30
	v_cmp_ne_u32_e64 s5, v27, v30
	v_xor_b32_e32 v26, v28, v30
	v_xor_b32_e32 v13, v13, v30
	v_clz_i32_u32_e32 v33, v31
	s_delay_alu instid0(VALU_DEP_1) | instskip(NEXT) | instid1(VALU_DEP_1)
	v_add_nc_u32_e32 v32, 1, v33
	v_cndmask_b32_e64 v27, 33, v32, s5
	s_delay_alu instid0(VALU_DEP_1) | instskip(NEXT) | instid1(VALU_DEP_1)
	v_sub_nc_u32_e32 v28, 32, v27
	v_alignbit_b32 v30, v31, v26, v28
	v_alignbit_b32 v13, v26, v13, v28
	v_lshrrev_b32_e32 v26, 29, v1
	s_delay_alu instid0(VALU_DEP_2) | instskip(NEXT) | instid1(VALU_DEP_2)
	v_alignbit_b32 v28, v30, v13, 9
	v_lshlrev_b32_e32 v26, 31, v26
	v_alignbit_b32 v30, v27, v30, 9
	s_delay_alu instid0(VALU_DEP_3) | instskip(NEXT) | instid1(VALU_DEP_2)
	v_clz_i32_u32_e32 v31, v28
	v_or_b32_e32 v30, v30, v26
	v_or_b32_e32 v26, 0x33800000, v26
	s_delay_alu instid0(VALU_DEP_3) | instskip(NEXT) | instid1(VALU_DEP_3)
	v_min_u32_e32 v31, 32, v31
	v_xor_b32_e32 v30, 1.0, v30
	s_delay_alu instid0(VALU_DEP_2) | instskip(SKIP_1) | instid1(VALU_DEP_3)
	v_sub_nc_u32_e32 v32, 31, v31
	v_add_lshl_u32 v27, v31, v27, 23
	v_mul_f32_e32 v31, 0x3fc90fda, v30
	s_delay_alu instid0(VALU_DEP_3) | instskip(NEXT) | instid1(VALU_DEP_3)
	v_alignbit_b32 v13, v28, v13, v32
	v_sub_nc_u32_e32 v26, v26, v27
	s_delay_alu instid0(VALU_DEP_3) | instskip(NEXT) | instid1(VALU_DEP_3)
	v_fma_f32 v27, 0x3fc90fda, v30, -v31
                                        ; implicit-def: $vgpr28
	v_lshrrev_b32_e32 v13, 9, v13
	s_delay_alu instid0(VALU_DEP_2) | instskip(NEXT) | instid1(VALU_DEP_2)
	v_fmac_f32_e32 v27, 0x33a22168, v30
	v_or_b32_e32 v13, v26, v13
	s_delay_alu instid0(VALU_DEP_1) | instskip(SKIP_1) | instid1(VALU_DEP_2)
	v_fmac_f32_e32 v27, 0x3fc90fda, v13
	v_lshrrev_b32_e32 v13, 30, v1
	v_add_f32_e32 v1, v31, v27
	s_delay_alu instid0(VALU_DEP_2)
	v_add_nc_u32_e32 v27, v29, v13
	s_and_not1_saveexec_b32 s5, s29
	s_cbranch_execnz .LBB139_51
	s_branch .LBB139_52
.LBB139_50:                             ;   in Loop: Header=BB139_4 Depth=1
	s_and_not1_saveexec_b32 s5, s29
.LBB139_51:                             ;   in Loop: Header=BB139_4 Depth=1
	v_fma_f32 v1, 0xbfc90fda, v28, |v14|
	v_cvt_i32_f32_e32 v27, v28
	s_delay_alu instid0(VALU_DEP_2) | instskip(NEXT) | instid1(VALU_DEP_1)
	v_fmac_f32_e32 v1, 0xb3a22168, v28
	v_fmac_f32_e32 v1, 0xa7c234c4, v28
.LBB139_52:                             ;   in Loop: Header=BB139_4 Depth=1
	s_or_b32 exec_lo, exec_lo, s5
	v_dual_mul_f32 v13, v9, v9 :: v_dual_and_b32 v28, 1, v10
	s_delay_alu instid0(VALU_DEP_2) | instskip(NEXT) | instid1(VALU_DEP_2)
	v_dual_mul_f32 v26, v1, v1 :: v_dual_and_b32 v33, 1, v27
	v_dual_fmaak_f32 v29, s24, v13, 0x3c0881c4 :: v_dual_lshlrev_b32 v10, 30, v10
	v_dual_fmaak_f32 v30, s25, v13, 0xbab64f3b :: v_dual_lshlrev_b32 v27, 30, v27
	s_delay_alu instid0(VALU_DEP_3) | instskip(SKIP_1) | instid1(VALU_DEP_4)
	v_fmaak_f32 v31, s24, v26, 0x3c0881c4
	v_cmp_eq_u32_e64 s5, 0, v28
	v_fmaak_f32 v29, v13, v29, 0xbe2aaa9d
	v_fmaak_f32 v32, s25, v26, 0xbab64f3b
	v_and_b32_e32 v10, 0x80000000, v10
	v_fmaak_f32 v31, v26, v31, 0xbe2aaa9d
	v_fmaak_f32 v30, v13, v30, 0x3d2aabf7
	s_delay_alu instid0(VALU_DEP_4) | instskip(SKIP_1) | instid1(VALU_DEP_3)
	v_dual_mul_f32 v29, v13, v29 :: v_dual_fmaak_f32 v32, v26, v32, 0x3d2aabf7
	v_and_or_b32 v25, 0x80000000, v27, v25
	v_dual_mul_f32 v31, v26, v31 :: v_dual_fmaak_f32 v30, v13, v30, 0xbf000004
	s_delay_alu instid0(VALU_DEP_3) | instskip(NEXT) | instid1(VALU_DEP_2)
	v_dual_fmac_f32 v9, v9, v29 :: v_dual_fmaak_f32 v32, v26, v32, 0xbf000004
	v_fmac_f32_e32 v1, v1, v31
	s_delay_alu instid0(VALU_DEP_3) | instskip(NEXT) | instid1(VALU_DEP_3)
	v_fma_f32 v13, v13, v30, 1.0
	v_fma_f32 v26, v26, v32, 1.0
	s_delay_alu instid0(VALU_DEP_2) | instskip(SKIP_1) | instid1(VALU_DEP_2)
	v_cndmask_b32_e64 v9, -v9, v13, s5
	v_cmp_eq_u32_e64 s5, 0, v33
	v_xor_b32_e32 v9, v10, v9
	s_delay_alu instid0(VALU_DEP_2) | instskip(SKIP_1) | instid1(VALU_DEP_2)
	v_cndmask_b32_e64 v1, v26, v1, s5
	v_cmp_class_f32_e64 s5, v14, 0x1f8
	v_xor3_b32 v1, v25, v1, v14
	s_delay_alu instid0(VALU_DEP_2) | instskip(NEXT) | instid1(VALU_DEP_2)
	v_cndmask_b32_e64 v9, 0x7fc00000, v9, s5
	v_cndmask_b32_e64 v10, 0x7fc00000, v1, s5
.LBB139_53:                             ;   in Loop: Header=BB139_4 Depth=1
	s_or_b32 exec_lo, exec_lo, s28
                                        ; implicit-def: $vgpr13
.LBB139_54:                             ;   in Loop: Header=BB139_4 Depth=1
	s_and_not1_saveexec_b32 s6, s27
	s_cbranch_execz .LBB139_56
; %bb.55:                               ;   in Loop: Header=BB139_4 Depth=1
	v_mul_f32_e32 v1, 0x3fb8aa3b, v13
	v_cmp_ngt_f32_e64 s5, 0xc2ce8ed0, v13
	s_delay_alu instid0(VALU_DEP_2) | instskip(SKIP_1) | instid1(VALU_DEP_2)
	v_rndne_f32_e32 v9, v1
	v_fma_f32 v10, 0x3fb8aa3b, v13, -v1
	v_sub_f32_e32 v1, v1, v9
	s_delay_alu instid0(VALU_DEP_2) | instskip(SKIP_1) | instid1(VALU_DEP_2)
	v_fmac_f32_e32 v10, 0x32a5705f, v13
	v_cvt_i32_f32_e32 v9, v9
	v_dual_add_f32 v1, v1, v10 :: v_dual_mov_b32 v10, v14
	s_delay_alu instid0(VALU_DEP_1) | instskip(SKIP_2) | instid1(VALU_DEP_1)
	v_exp_f32_e32 v1, v1
	s_waitcnt_depctr 0xfff
	v_ldexp_f32 v1, v1, v9
	v_cndmask_b32_e64 v1, 0, v1, s5
	v_cmp_nlt_f32_e64 s5, 0x42b17218, v13
	s_delay_alu instid0(VALU_DEP_1)
	v_cndmask_b32_e64 v9, 0x7f800000, v1, s5
.LBB139_56:                             ;   in Loop: Header=BB139_4 Depth=1
	s_or_b32 exec_lo, exec_lo, s6
	v_and_b32_e32 v25, 0x7fffffff, v16
                                        ; implicit-def: $vgpr14
	s_mov_b32 s6, exec_lo
	s_delay_alu instid0(VALU_DEP_1)
	v_cmpx_ne_u32_e32 0, v25
	s_xor_b32 s27, exec_lo, s6
	s_cbranch_execz .LBB139_98
; %bb.57:                               ;   in Loop: Header=BB139_4 Depth=1
	v_and_b32_e32 v1, 0x7fffffff, v15
                                        ; implicit-def: $vgpr14
	s_mov_b32 s6, exec_lo
	s_delay_alu instid0(VALU_DEP_1)
	v_cmpx_ne_u32_e32 0, v1
	s_xor_b32 s28, exec_lo, s6
	s_cbranch_execz .LBB139_87
; %bb.58:                               ;   in Loop: Header=BB139_4 Depth=1
                                        ; implicit-def: $vgpr14
	s_mov_b32 s6, exec_lo
	v_cmpx_gt_u32_e32 0x7f800000, v25
	s_xor_b32 s29, exec_lo, s6
	s_cbranch_execz .LBB139_80
; %bb.59:                               ;   in Loop: Header=BB139_4 Depth=1
	v_add_nc_u32_e32 v1, 0xbd4e8de8, v15
                                        ; implicit-def: $vgpr14
	s_mov_b32 s6, exec_lo
	s_delay_alu instid0(VALU_DEP_1)
	v_cmpx_lt_u32_e32 0x8e8e5c, v1
	s_xor_b32 s30, exec_lo, s6
	s_cbranch_execz .LBB139_69
; %bb.60:                               ;   in Loop: Header=BB139_4 Depth=1
	v_cmp_ngt_f32_e64 s31, 0x48000000, |v16|
                                        ; implicit-def: $vgpr14
                                        ; implicit-def: $vgpr13
	s_delay_alu instid0(VALU_DEP_1) | instskip(NEXT) | instid1(SALU_CYCLE_1)
	s_and_saveexec_b32 s5, s31
	s_xor_b32 s33, exec_lo, s5
	s_cbranch_execz .LBB139_62
; %bb.61:                               ;   in Loop: Header=BB139_4 Depth=1
	v_and_or_b32 v33, v25, s23, 0x800000
	s_delay_alu instid0(VALU_DEP_1) | instskip(NEXT) | instid1(VALU_DEP_1)
	v_mad_u64_u32 v[13:14], null, 0xfe5163ab, v33, 0
	v_mov_b32_e32 v1, v14
	v_lshrrev_b32_e32 v14, 23, v25
	s_delay_alu instid0(VALU_DEP_1) | instskip(NEXT) | instid1(VALU_DEP_3)
	v_add_nc_u32_e32 v14, 0xffffff88, v14
	v_mad_u64_u32 v[26:27], null, 0x3c439041, v33, v[1:2]
	s_delay_alu instid0(VALU_DEP_2) | instskip(NEXT) | instid1(VALU_DEP_1)
	v_cmp_lt_u32_e64 s5, 63, v14
	v_cndmask_b32_e64 v31, 0, 0xffffffc0, s5
	s_delay_alu instid0(VALU_DEP_1) | instskip(NEXT) | instid1(VALU_DEP_1)
	v_add_nc_u32_e32 v14, v31, v14
	v_cmp_lt_u32_e64 s6, 31, v14
	s_delay_alu instid0(VALU_DEP_1) | instskip(NEXT) | instid1(VALU_DEP_1)
	v_cndmask_b32_e64 v32, 0, 0xffffffe0, s6
	v_dual_mov_b32 v1, v27 :: v_dual_add_nc_u32 v14, v32, v14
	s_delay_alu instid0(VALU_DEP_1) | instskip(NEXT) | instid1(VALU_DEP_2)
	v_mad_u64_u32 v[27:28], null, 0xdb629599, v33, v[1:2]
	v_cmp_lt_u32_e64 s7, 31, v14
	s_delay_alu instid0(VALU_DEP_2) | instskip(NEXT) | instid1(VALU_DEP_3)
	v_mov_b32_e32 v1, v28
	v_cndmask_b32_e64 v13, v27, v13, s5
	s_delay_alu instid0(VALU_DEP_2) | instskip(NEXT) | instid1(VALU_DEP_1)
	v_mad_u64_u32 v[28:29], null, 0xf534ddc0, v33, v[1:2]
	v_mov_b32_e32 v1, v29
	s_delay_alu instid0(VALU_DEP_1) | instskip(NEXT) | instid1(VALU_DEP_1)
	v_mad_u64_u32 v[29:30], null, 0xfc2757d1, v33, v[1:2]
	v_mov_b32_e32 v1, v30
	s_delay_alu instid0(VALU_DEP_1) | instskip(NEXT) | instid1(VALU_DEP_1)
	v_mad_u64_u32 v[30:31], null, 0x4e441529, v33, v[1:2]
	v_mov_b32_e32 v1, v31
	s_delay_alu instid0(VALU_DEP_1) | instskip(SKIP_1) | instid1(VALU_DEP_4)
	v_mad_u64_u32 v[31:32], null, 0xa2f9836e, v33, v[1:2]
	v_cndmask_b32_e64 v1, 0, 0xffffffe0, s7
	v_cndmask_b32_e64 v33, v30, v28, s5
	s_delay_alu instid0(VALU_DEP_2) | instskip(NEXT) | instid1(VALU_DEP_4)
	v_add_nc_u32_e32 v1, v1, v14
	v_cndmask_b32_e64 v31, v31, v29, s5
	v_cndmask_b32_e64 v30, v32, v30, s5
	;; [unrolled: 1-line block ×4, first 2 shown]
	v_cmp_eq_u32_e64 s8, 0, v1
	v_cndmask_b32_e64 v26, v31, v33, s6
	v_cndmask_b32_e64 v28, v30, v31, s6
	;; [unrolled: 1-line block ×3, first 2 shown]
	v_sub_nc_u32_e32 v31, 32, v1
	v_cndmask_b32_e64 v29, v29, v14, s6
	v_cndmask_b32_e64 v13, v14, v13, s6
	;; [unrolled: 1-line block ×4, first 2 shown]
	s_delay_alu instid0(VALU_DEP_4) | instskip(NEXT) | instid1(VALU_DEP_4)
	v_cndmask_b32_e64 v30, v30, v29, s7
	v_cndmask_b32_e64 v13, v29, v13, s7
	s_delay_alu instid0(VALU_DEP_3) | instskip(NEXT) | instid1(VALU_DEP_3)
	v_alignbit_b32 v32, v28, v26, v31
	v_alignbit_b32 v33, v26, v30, v31
	s_delay_alu instid0(VALU_DEP_3) | instskip(NEXT) | instid1(VALU_DEP_3)
	v_alignbit_b32 v31, v30, v13, v31
	v_cndmask_b32_e64 v1, v32, v28, s8
	s_delay_alu instid0(VALU_DEP_3) | instskip(NEXT) | instid1(VALU_DEP_3)
	v_cndmask_b32_e64 v26, v33, v26, s8
	v_cndmask_b32_e64 v30, v31, v30, s8
	s_delay_alu instid0(VALU_DEP_3) | instskip(NEXT) | instid1(VALU_DEP_3)
	v_bfe_u32 v27, v1, 29, 1
	v_alignbit_b32 v14, v1, v26, 30
	s_delay_alu instid0(VALU_DEP_3) | instskip(SKIP_1) | instid1(VALU_DEP_4)
	v_alignbit_b32 v26, v26, v30, 30
	v_alignbit_b32 v13, v30, v13, 30
	v_sub_nc_u32_e32 v28, 0, v27
	s_delay_alu instid0(VALU_DEP_1) | instskip(SKIP_3) | instid1(VALU_DEP_4)
	v_xor_b32_e32 v29, v14, v28
	v_cmp_ne_u32_e64 s5, v14, v28
	v_xor_b32_e32 v26, v26, v28
	v_xor_b32_e32 v13, v13, v28
	v_clz_i32_u32_e32 v32, v29
	s_delay_alu instid0(VALU_DEP_1) | instskip(NEXT) | instid1(VALU_DEP_1)
	v_add_nc_u32_e32 v31, 1, v32
	v_cndmask_b32_e64 v14, 33, v31, s5
	s_delay_alu instid0(VALU_DEP_1) | instskip(NEXT) | instid1(VALU_DEP_1)
	v_sub_nc_u32_e32 v30, 32, v14
	v_alignbit_b32 v28, v29, v26, v30
	v_alignbit_b32 v13, v26, v13, v30
	v_lshrrev_b32_e32 v26, 29, v1
	v_lshrrev_b32_e32 v1, 30, v1
	s_delay_alu instid0(VALU_DEP_3) | instskip(NEXT) | instid1(VALU_DEP_3)
	v_alignbit_b32 v29, v28, v13, 9
	v_lshlrev_b32_e32 v26, 31, v26
	v_alignbit_b32 v28, v14, v28, 9
	s_delay_alu instid0(VALU_DEP_3) | instskip(NEXT) | instid1(VALU_DEP_2)
	v_clz_i32_u32_e32 v30, v29
	v_or_b32_e32 v28, v28, v26
	v_or_b32_e32 v26, 0x33800000, v26
	s_delay_alu instid0(VALU_DEP_3) | instskip(NEXT) | instid1(VALU_DEP_3)
	v_min_u32_e32 v30, 32, v30
	v_xor_b32_e32 v28, 1.0, v28
	s_delay_alu instid0(VALU_DEP_2) | instskip(SKIP_1) | instid1(VALU_DEP_3)
	v_sub_nc_u32_e32 v31, 31, v30
	v_add_lshl_u32 v14, v30, v14, 23
	v_mul_f32_e32 v30, 0x3fc90fda, v28
	s_delay_alu instid0(VALU_DEP_3) | instskip(NEXT) | instid1(VALU_DEP_3)
	v_alignbit_b32 v13, v29, v13, v31
	v_sub_nc_u32_e32 v14, v26, v14
	s_delay_alu instid0(VALU_DEP_3) | instskip(NEXT) | instid1(VALU_DEP_3)
	v_fma_f32 v26, 0x3fc90fda, v28, -v30
	v_lshrrev_b32_e32 v13, 9, v13
	s_delay_alu instid0(VALU_DEP_2) | instskip(NEXT) | instid1(VALU_DEP_2)
	v_fmac_f32_e32 v26, 0x33a22168, v28
	v_or_b32_e32 v13, v14, v13
	v_add_nc_u32_e32 v14, v27, v1
	s_delay_alu instid0(VALU_DEP_2) | instskip(NEXT) | instid1(VALU_DEP_1)
	v_fmac_f32_e32 v26, 0x3fc90fda, v13
	v_add_f32_e32 v13, v30, v26
	s_and_not1_saveexec_b32 s5, s33
	s_branch .LBB139_63
.LBB139_62:                             ;   in Loop: Header=BB139_4 Depth=1
	s_and_not1_saveexec_b32 s5, s33
.LBB139_63:                             ;   in Loop: Header=BB139_4 Depth=1
	v_mul_f32_e64 v1, 0x3f22f983, |v16|
	s_delay_alu instid0(VALU_DEP_1) | instskip(NEXT) | instid1(VALU_DEP_1)
	v_rndne_f32_e32 v1, v1
	v_fma_f32 v13, 0xbfc90fda, v1, |v16|
	v_cvt_i32_f32_e32 v14, v1
	s_delay_alu instid0(VALU_DEP_2) | instskip(NEXT) | instid1(VALU_DEP_1)
	v_fmac_f32_e32 v13, 0xb3a22168, v1
	v_fmac_f32_e32 v13, 0xa7c234c4, v1
; %bb.64:                               ;   in Loop: Header=BB139_4 Depth=1
	s_or_b32 exec_lo, exec_lo, s5
                                        ; implicit-def: $vgpr26
                                        ; implicit-def: $vgpr1
	s_and_saveexec_b32 s5, s31
	s_delay_alu instid0(SALU_CYCLE_1)
	s_xor_b32 s31, exec_lo, s5
	s_cbranch_execz .LBB139_66
; %bb.65:                               ;   in Loop: Header=BB139_4 Depth=1
	v_and_or_b32 v34, v25, s23, 0x800000
	v_lshrrev_b32_e32 v31, 23, v25
	s_delay_alu instid0(VALU_DEP_2) | instskip(NEXT) | instid1(VALU_DEP_2)
	v_mad_u64_u32 v[26:27], null, 0xfe5163ab, v34, 0
	v_add_nc_u32_e32 v32, 0xffffff88, v31
	s_delay_alu instid0(VALU_DEP_1) | instskip(NEXT) | instid1(VALU_DEP_3)
	v_cmp_lt_u32_e64 s5, 63, v32
	v_mov_b32_e32 v1, v27
	s_delay_alu instid0(VALU_DEP_2) | instskip(NEXT) | instid1(VALU_DEP_2)
	v_cndmask_b32_e64 v33, 0, 0xffffffc0, s5
	v_mad_u64_u32 v[27:28], null, 0x3c439041, v34, v[1:2]
	s_delay_alu instid0(VALU_DEP_2) | instskip(NEXT) | instid1(VALU_DEP_2)
	v_add_nc_u32_e32 v33, v33, v32
	v_mov_b32_e32 v1, v28
	s_delay_alu instid0(VALU_DEP_2) | instskip(NEXT) | instid1(VALU_DEP_2)
	v_cmp_lt_u32_e64 s6, 31, v33
	v_mad_u64_u32 v[28:29], null, 0xdb629599, v34, v[1:2]
	s_delay_alu instid0(VALU_DEP_2) | instskip(NEXT) | instid1(VALU_DEP_1)
	v_cndmask_b32_e64 v35, 0, 0xffffffe0, s6
	v_add_nc_u32_e32 v35, v35, v33
	s_delay_alu instid0(VALU_DEP_3) | instskip(NEXT) | instid1(VALU_DEP_4)
	v_mov_b32_e32 v1, v29
	v_cndmask_b32_e64 v26, v28, v26, s5
	s_delay_alu instid0(VALU_DEP_3) | instskip(NEXT) | instid1(VALU_DEP_3)
	v_cmp_lt_u32_e64 s7, 31, v35
	v_mad_u64_u32 v[29:30], null, 0xf534ddc0, v34, v[1:2]
	s_delay_alu instid0(VALU_DEP_1) | instskip(NEXT) | instid1(VALU_DEP_2)
	v_mov_b32_e32 v1, v30
	v_cndmask_b32_e64 v27, v29, v27, s5
	s_delay_alu instid0(VALU_DEP_2) | instskip(NEXT) | instid1(VALU_DEP_2)
	v_mad_u64_u32 v[30:31], null, 0xfc2757d1, v34, v[1:2]
	v_cndmask_b32_e64 v26, v27, v26, s6
	s_delay_alu instid0(VALU_DEP_2) | instskip(NEXT) | instid1(VALU_DEP_1)
	v_mov_b32_e32 v1, v31
	v_mad_u64_u32 v[31:32], null, 0x4e441529, v34, v[1:2]
	s_delay_alu instid0(VALU_DEP_1) | instskip(NEXT) | instid1(VALU_DEP_1)
	v_mov_b32_e32 v1, v32
	v_mad_u64_u32 v[32:33], null, 0xa2f9836e, v34, v[1:2]
	v_cndmask_b32_e64 v1, 0, 0xffffffe0, s7
	s_delay_alu instid0(VALU_DEP_4) | instskip(NEXT) | instid1(VALU_DEP_2)
	v_cndmask_b32_e64 v34, v31, v29, s5
	v_add_nc_u32_e32 v1, v1, v35
	s_delay_alu instid0(VALU_DEP_4) | instskip(SKIP_2) | instid1(VALU_DEP_4)
	v_cndmask_b32_e64 v32, v32, v30, s5
	v_cndmask_b32_e64 v31, v33, v31, s5
	;; [unrolled: 1-line block ×3, first 2 shown]
	v_sub_nc_u32_e32 v33, 32, v1
	s_delay_alu instid0(VALU_DEP_4) | instskip(NEXT) | instid1(VALU_DEP_4)
	v_cndmask_b32_e64 v29, v32, v34, s6
	v_cndmask_b32_e64 v31, v31, v32, s6
	s_delay_alu instid0(VALU_DEP_4) | instskip(SKIP_2) | instid1(VALU_DEP_4)
	v_cndmask_b32_e64 v32, v34, v30, s6
	v_cndmask_b32_e64 v30, v30, v27, s6
	v_cmp_eq_u32_e64 s8, 0, v1
	v_cndmask_b32_e64 v31, v31, v29, s7
	s_delay_alu instid0(VALU_DEP_4) | instskip(NEXT) | instid1(VALU_DEP_4)
	v_cndmask_b32_e64 v29, v29, v32, s7
	v_cndmask_b32_e64 v32, v32, v30, s7
	;; [unrolled: 1-line block ×3, first 2 shown]
	s_delay_alu instid0(VALU_DEP_3) | instskip(NEXT) | instid1(VALU_DEP_3)
	v_alignbit_b32 v34, v31, v29, v33
	v_alignbit_b32 v35, v29, v32, v33
	s_delay_alu instid0(VALU_DEP_3) | instskip(NEXT) | instid1(VALU_DEP_3)
	v_alignbit_b32 v33, v32, v26, v33
	v_cndmask_b32_e64 v1, v34, v31, s8
	s_delay_alu instid0(VALU_DEP_3) | instskip(NEXT) | instid1(VALU_DEP_3)
	v_cndmask_b32_e64 v28, v35, v29, s8
	v_cndmask_b32_e64 v32, v33, v32, s8
	s_delay_alu instid0(VALU_DEP_3) | instskip(NEXT) | instid1(VALU_DEP_3)
	v_bfe_u32 v29, v1, 29, 1
	v_alignbit_b32 v27, v1, v28, 30
	s_delay_alu instid0(VALU_DEP_3) | instskip(SKIP_1) | instid1(VALU_DEP_4)
	v_alignbit_b32 v28, v28, v32, 30
	v_alignbit_b32 v26, v32, v26, 30
	v_sub_nc_u32_e32 v31, 0, v29
	s_delay_alu instid0(VALU_DEP_1) | instskip(SKIP_3) | instid1(VALU_DEP_4)
	v_xor_b32_e32 v30, v27, v31
	v_cmp_ne_u32_e64 s5, v27, v31
	v_xor_b32_e32 v28, v28, v31
	v_xor_b32_e32 v26, v26, v31
	v_clz_i32_u32_e32 v34, v30
	s_delay_alu instid0(VALU_DEP_1) | instskip(NEXT) | instid1(VALU_DEP_1)
	v_add_nc_u32_e32 v33, 1, v34
	v_cndmask_b32_e64 v27, 33, v33, s5
	s_delay_alu instid0(VALU_DEP_1) | instskip(NEXT) | instid1(VALU_DEP_1)
	v_sub_nc_u32_e32 v32, 32, v27
	v_alignbit_b32 v30, v30, v28, v32
	v_alignbit_b32 v26, v28, v26, v32
	v_lshrrev_b32_e32 v28, 29, v1
	s_delay_alu instid0(VALU_DEP_2) | instskip(NEXT) | instid1(VALU_DEP_2)
	v_alignbit_b32 v31, v30, v26, 9
	v_lshlrev_b32_e32 v28, 31, v28
	v_alignbit_b32 v30, v27, v30, 9
	s_delay_alu instid0(VALU_DEP_3) | instskip(NEXT) | instid1(VALU_DEP_2)
	v_clz_i32_u32_e32 v32, v31
	v_or_b32_e32 v30, v30, v28
	v_or_b32_e32 v28, 0x33800000, v28
	s_delay_alu instid0(VALU_DEP_3) | instskip(NEXT) | instid1(VALU_DEP_3)
	v_min_u32_e32 v32, 32, v32
	v_xor_b32_e32 v30, 1.0, v30
	s_delay_alu instid0(VALU_DEP_2) | instskip(SKIP_1) | instid1(VALU_DEP_3)
	v_sub_nc_u32_e32 v33, 31, v32
	v_add_lshl_u32 v27, v32, v27, 23
	v_mul_f32_e32 v32, 0x3fc90fda, v30
	s_delay_alu instid0(VALU_DEP_3) | instskip(NEXT) | instid1(VALU_DEP_3)
	v_alignbit_b32 v26, v31, v26, v33
	v_sub_nc_u32_e32 v27, v28, v27
	s_delay_alu instid0(VALU_DEP_3) | instskip(NEXT) | instid1(VALU_DEP_3)
	v_fma_f32 v28, 0x3fc90fda, v30, -v32
	v_lshrrev_b32_e32 v26, 9, v26
	s_delay_alu instid0(VALU_DEP_2) | instskip(NEXT) | instid1(VALU_DEP_2)
	v_fmac_f32_e32 v28, 0x33a22168, v30
	v_or_b32_e32 v26, v27, v26
	s_delay_alu instid0(VALU_DEP_1) | instskip(SKIP_1) | instid1(VALU_DEP_1)
	v_fmac_f32_e32 v28, 0x3fc90fda, v26
	v_lshrrev_b32_e32 v26, 30, v1
	v_dual_add_f32 v1, v32, v28 :: v_dual_add_nc_u32 v26, v29, v26
	s_and_not1_saveexec_b32 s5, s31
	s_cbranch_execnz .LBB139_67
	s_branch .LBB139_68
.LBB139_66:                             ;   in Loop: Header=BB139_4 Depth=1
	s_and_not1_saveexec_b32 s5, s31
.LBB139_67:                             ;   in Loop: Header=BB139_4 Depth=1
	v_mul_f32_e64 v1, 0x3f22f983, |v16|
	s_delay_alu instid0(VALU_DEP_1) | instskip(NEXT) | instid1(VALU_DEP_1)
	v_rndne_f32_e32 v26, v1
	v_fma_f32 v1, 0xbfc90fda, v26, |v16|
	s_delay_alu instid0(VALU_DEP_1) | instskip(NEXT) | instid1(VALU_DEP_1)
	v_fmac_f32_e32 v1, 0xb3a22168, v26
	v_fmac_f32_e32 v1, 0xa7c234c4, v26
	v_cvt_i32_f32_e32 v26, v26
.LBB139_68:                             ;   in Loop: Header=BB139_4 Depth=1
	s_or_b32 exec_lo, exec_lo, s5
	v_dual_mul_f32 v27, 0x3fb8aa3b, v15 :: v_dual_mul_f32 v28, v13, v13
	s_delay_alu instid0(VALU_DEP_2) | instskip(NEXT) | instid1(VALU_DEP_3)
	v_dual_mul_f32 v32, v1, v1 :: v_dual_and_b32 v29, 1, v14
	v_and_b32_e32 v33, 1, v26
	s_delay_alu instid0(VALU_DEP_3) | instskip(NEXT) | instid1(VALU_DEP_4)
	v_rndne_f32_e32 v30, v27
	v_fmaak_f32 v34, s24, v28, 0x3c0881c4
	v_fma_f32 v31, 0x3fb8aa3b, v15, -v27
	v_lshlrev_b32_e32 v14, 30, v14
	v_dual_fmaak_f32 v35, s25, v28, 0xbab64f3b :: v_dual_lshlrev_b32 v26, 30, v26
	v_dual_sub_f32 v27, v27, v30 :: v_dual_fmaak_f32 v36, s24, v32, 0x3c0881c4
	s_delay_alu instid0(VALU_DEP_4)
	v_fmac_f32_e32 v31, 0x32a5705f, v15
	v_fmaak_f32 v37, s25, v32, 0xbab64f3b
	v_cmp_eq_u32_e64 s5, 0, v29
	v_cvt_i32_f32_e32 v30, v30
	v_and_or_b32 v25, 0x80000000, v26, v25
	v_add_f32_e32 v27, v27, v31
	v_fmaak_f32 v31, v28, v34, 0xbe2aaa9d
	v_fmaak_f32 v34, v28, v35, 0x3d2aabf7
	;; [unrolled: 1-line block ×4, first 2 shown]
	s_delay_alu instid0(VALU_DEP_4) | instskip(NEXT) | instid1(VALU_DEP_4)
	v_dual_mul_f32 v31, v28, v31 :: v_dual_and_b32 v14, 0x80000000, v14
	v_fmaak_f32 v34, v28, v34, 0xbf000004
	v_exp_f32_e32 v27, v27
	v_mul_f32_e32 v35, v32, v35
	s_delay_alu instid0(VALU_DEP_3) | instskip(NEXT) | instid1(VALU_DEP_3)
	v_dual_fmaak_f32 v36, v32, v36, 0xbf000004 :: v_dual_fmac_f32 v13, v13, v31
	v_fma_f32 v28, v28, v34, 1.0
	v_cmp_nlt_f32_e64 s6, 0x42b17218, v15
	s_delay_alu instid0(VALU_DEP_4) | instskip(NEXT) | instid1(VALU_DEP_4)
	v_fmac_f32_e32 v1, v1, v35
	v_fma_f32 v31, v32, v36, 1.0
	s_delay_alu instid0(VALU_DEP_4) | instskip(SKIP_1) | instid1(TRANS32_DEP_1)
	v_cndmask_b32_e64 v13, -v13, v28, s5
	v_cmp_eq_u32_e64 s5, 0, v33
	v_ldexp_f32 v27, v27, v30
	s_delay_alu instid0(VALU_DEP_3) | instskip(NEXT) | instid1(VALU_DEP_3)
	v_xor_b32_e32 v13, v14, v13
	v_cndmask_b32_e64 v1, v31, v1, s5
	v_cmp_ngt_f32_e64 s5, 0xc2ce8ed0, v15
	s_delay_alu instid0(VALU_DEP_2) | instskip(NEXT) | instid1(VALU_DEP_2)
	v_xor3_b32 v1, v25, v1, v16
	v_cndmask_b32_e64 v26, 0, v27, s5
	v_cmp_class_f32_e64 s5, v16, 0x1f8
                                        ; implicit-def: $vgpr16
                                        ; implicit-def: $vgpr25
	s_delay_alu instid0(VALU_DEP_2) | instskip(NEXT) | instid1(VALU_DEP_2)
	v_cndmask_b32_e64 v14, 0x7f800000, v26, s6
	v_cndmask_b32_e64 v13, 0x7fc00000, v13, s5
	;; [unrolled: 1-line block ×3, first 2 shown]
	s_delay_alu instid0(VALU_DEP_2) | instskip(NEXT) | instid1(VALU_DEP_2)
	v_mul_f32_e32 v13, v14, v13
	v_mul_f32_e32 v14, v14, v1
.LBB139_69:                             ;   in Loop: Header=BB139_4 Depth=1
	s_and_not1_saveexec_b32 s30, s30
	s_cbranch_execz .LBB139_79
; %bb.70:                               ;   in Loop: Header=BB139_4 Depth=1
	v_cmp_ngt_f32_e64 s31, 0x48000000, |v16|
                                        ; implicit-def: $vgpr14
                                        ; implicit-def: $vgpr13
	s_delay_alu instid0(VALU_DEP_1) | instskip(NEXT) | instid1(SALU_CYCLE_1)
	s_and_saveexec_b32 s5, s31
	s_xor_b32 s33, exec_lo, s5
	s_cbranch_execz .LBB139_72
; %bb.71:                               ;   in Loop: Header=BB139_4 Depth=1
	v_and_or_b32 v33, v25, s23, 0x800000
	s_delay_alu instid0(VALU_DEP_1) | instskip(NEXT) | instid1(VALU_DEP_1)
	v_mad_u64_u32 v[13:14], null, 0xfe5163ab, v33, 0
	v_mov_b32_e32 v1, v14
	v_lshrrev_b32_e32 v14, 23, v25
	s_delay_alu instid0(VALU_DEP_1) | instskip(NEXT) | instid1(VALU_DEP_3)
	v_add_nc_u32_e32 v14, 0xffffff88, v14
	v_mad_u64_u32 v[26:27], null, 0x3c439041, v33, v[1:2]
	s_delay_alu instid0(VALU_DEP_2) | instskip(NEXT) | instid1(VALU_DEP_1)
	v_cmp_lt_u32_e64 s5, 63, v14
	v_cndmask_b32_e64 v31, 0, 0xffffffc0, s5
	s_delay_alu instid0(VALU_DEP_1) | instskip(NEXT) | instid1(VALU_DEP_1)
	v_add_nc_u32_e32 v14, v31, v14
	v_cmp_lt_u32_e64 s6, 31, v14
	s_delay_alu instid0(VALU_DEP_1) | instskip(NEXT) | instid1(VALU_DEP_1)
	v_cndmask_b32_e64 v32, 0, 0xffffffe0, s6
	v_dual_mov_b32 v1, v27 :: v_dual_add_nc_u32 v14, v32, v14
	s_delay_alu instid0(VALU_DEP_1) | instskip(NEXT) | instid1(VALU_DEP_2)
	v_mad_u64_u32 v[27:28], null, 0xdb629599, v33, v[1:2]
	v_cmp_lt_u32_e64 s7, 31, v14
	s_delay_alu instid0(VALU_DEP_2) | instskip(NEXT) | instid1(VALU_DEP_3)
	v_mov_b32_e32 v1, v28
	v_cndmask_b32_e64 v13, v27, v13, s5
	s_delay_alu instid0(VALU_DEP_2) | instskip(NEXT) | instid1(VALU_DEP_1)
	v_mad_u64_u32 v[28:29], null, 0xf534ddc0, v33, v[1:2]
	v_mov_b32_e32 v1, v29
	s_delay_alu instid0(VALU_DEP_1) | instskip(NEXT) | instid1(VALU_DEP_1)
	v_mad_u64_u32 v[29:30], null, 0xfc2757d1, v33, v[1:2]
	v_mov_b32_e32 v1, v30
	s_delay_alu instid0(VALU_DEP_1) | instskip(NEXT) | instid1(VALU_DEP_1)
	v_mad_u64_u32 v[30:31], null, 0x4e441529, v33, v[1:2]
	v_mov_b32_e32 v1, v31
	s_delay_alu instid0(VALU_DEP_1) | instskip(SKIP_1) | instid1(VALU_DEP_4)
	v_mad_u64_u32 v[31:32], null, 0xa2f9836e, v33, v[1:2]
	v_cndmask_b32_e64 v1, 0, 0xffffffe0, s7
	v_cndmask_b32_e64 v33, v30, v28, s5
	s_delay_alu instid0(VALU_DEP_2) | instskip(NEXT) | instid1(VALU_DEP_4)
	v_add_nc_u32_e32 v1, v1, v14
	v_cndmask_b32_e64 v31, v31, v29, s5
	v_cndmask_b32_e64 v30, v32, v30, s5
	;; [unrolled: 1-line block ×4, first 2 shown]
	v_cmp_eq_u32_e64 s8, 0, v1
	v_cndmask_b32_e64 v26, v31, v33, s6
	v_cndmask_b32_e64 v28, v30, v31, s6
	;; [unrolled: 1-line block ×3, first 2 shown]
	v_sub_nc_u32_e32 v31, 32, v1
	v_cndmask_b32_e64 v29, v29, v14, s6
	v_cndmask_b32_e64 v13, v14, v13, s6
	;; [unrolled: 1-line block ×4, first 2 shown]
	s_delay_alu instid0(VALU_DEP_4) | instskip(NEXT) | instid1(VALU_DEP_4)
	v_cndmask_b32_e64 v30, v30, v29, s7
	v_cndmask_b32_e64 v13, v29, v13, s7
	s_delay_alu instid0(VALU_DEP_3) | instskip(NEXT) | instid1(VALU_DEP_3)
	v_alignbit_b32 v32, v28, v26, v31
	v_alignbit_b32 v33, v26, v30, v31
	s_delay_alu instid0(VALU_DEP_3) | instskip(NEXT) | instid1(VALU_DEP_3)
	v_alignbit_b32 v31, v30, v13, v31
	v_cndmask_b32_e64 v1, v32, v28, s8
	s_delay_alu instid0(VALU_DEP_3) | instskip(NEXT) | instid1(VALU_DEP_3)
	v_cndmask_b32_e64 v26, v33, v26, s8
	v_cndmask_b32_e64 v30, v31, v30, s8
	s_delay_alu instid0(VALU_DEP_3) | instskip(NEXT) | instid1(VALU_DEP_3)
	v_bfe_u32 v27, v1, 29, 1
	v_alignbit_b32 v14, v1, v26, 30
	s_delay_alu instid0(VALU_DEP_3) | instskip(SKIP_1) | instid1(VALU_DEP_4)
	v_alignbit_b32 v26, v26, v30, 30
	v_alignbit_b32 v13, v30, v13, 30
	v_sub_nc_u32_e32 v28, 0, v27
	s_delay_alu instid0(VALU_DEP_1) | instskip(SKIP_3) | instid1(VALU_DEP_4)
	v_xor_b32_e32 v29, v14, v28
	v_cmp_ne_u32_e64 s5, v14, v28
	v_xor_b32_e32 v26, v26, v28
	v_xor_b32_e32 v13, v13, v28
	v_clz_i32_u32_e32 v32, v29
	s_delay_alu instid0(VALU_DEP_1) | instskip(NEXT) | instid1(VALU_DEP_1)
	v_add_nc_u32_e32 v31, 1, v32
	v_cndmask_b32_e64 v14, 33, v31, s5
	s_delay_alu instid0(VALU_DEP_1) | instskip(NEXT) | instid1(VALU_DEP_1)
	v_sub_nc_u32_e32 v30, 32, v14
	v_alignbit_b32 v28, v29, v26, v30
	v_alignbit_b32 v13, v26, v13, v30
	v_lshrrev_b32_e32 v26, 29, v1
	v_lshrrev_b32_e32 v1, 30, v1
	s_delay_alu instid0(VALU_DEP_3) | instskip(NEXT) | instid1(VALU_DEP_3)
	v_alignbit_b32 v29, v28, v13, 9
	v_lshlrev_b32_e32 v26, 31, v26
	v_alignbit_b32 v28, v14, v28, 9
	s_delay_alu instid0(VALU_DEP_3) | instskip(NEXT) | instid1(VALU_DEP_2)
	v_clz_i32_u32_e32 v30, v29
	v_or_b32_e32 v28, v28, v26
	v_or_b32_e32 v26, 0x33800000, v26
	s_delay_alu instid0(VALU_DEP_3) | instskip(NEXT) | instid1(VALU_DEP_3)
	v_min_u32_e32 v30, 32, v30
	v_xor_b32_e32 v28, 1.0, v28
	s_delay_alu instid0(VALU_DEP_2) | instskip(SKIP_1) | instid1(VALU_DEP_3)
	v_sub_nc_u32_e32 v31, 31, v30
	v_add_lshl_u32 v14, v30, v14, 23
	v_mul_f32_e32 v30, 0x3fc90fda, v28
	s_delay_alu instid0(VALU_DEP_3) | instskip(NEXT) | instid1(VALU_DEP_3)
	v_alignbit_b32 v13, v29, v13, v31
	v_sub_nc_u32_e32 v14, v26, v14
	s_delay_alu instid0(VALU_DEP_3) | instskip(NEXT) | instid1(VALU_DEP_3)
	v_fma_f32 v26, 0x3fc90fda, v28, -v30
	v_lshrrev_b32_e32 v13, 9, v13
	s_delay_alu instid0(VALU_DEP_2) | instskip(NEXT) | instid1(VALU_DEP_2)
	v_fmac_f32_e32 v26, 0x33a22168, v28
	v_or_b32_e32 v13, v14, v13
	v_add_nc_u32_e32 v14, v27, v1
	s_delay_alu instid0(VALU_DEP_2) | instskip(NEXT) | instid1(VALU_DEP_1)
	v_fmac_f32_e32 v26, 0x3fc90fda, v13
	v_add_f32_e32 v13, v30, v26
	s_and_not1_saveexec_b32 s5, s33
	s_branch .LBB139_73
.LBB139_72:                             ;   in Loop: Header=BB139_4 Depth=1
	s_and_not1_saveexec_b32 s5, s33
.LBB139_73:                             ;   in Loop: Header=BB139_4 Depth=1
	v_mul_f32_e64 v1, 0x3f22f983, |v16|
	s_delay_alu instid0(VALU_DEP_1) | instskip(NEXT) | instid1(VALU_DEP_1)
	v_rndne_f32_e32 v1, v1
	v_fma_f32 v13, 0xbfc90fda, v1, |v16|
	v_cvt_i32_f32_e32 v14, v1
	s_delay_alu instid0(VALU_DEP_2) | instskip(NEXT) | instid1(VALU_DEP_1)
	v_fmac_f32_e32 v13, 0xb3a22168, v1
	v_fmac_f32_e32 v13, 0xa7c234c4, v1
; %bb.74:                               ;   in Loop: Header=BB139_4 Depth=1
	s_or_b32 exec_lo, exec_lo, s5
                                        ; implicit-def: $vgpr26
                                        ; implicit-def: $vgpr1
	s_and_saveexec_b32 s5, s31
	s_delay_alu instid0(SALU_CYCLE_1)
	s_xor_b32 s31, exec_lo, s5
	s_cbranch_execz .LBB139_76
; %bb.75:                               ;   in Loop: Header=BB139_4 Depth=1
	v_and_or_b32 v34, v25, s23, 0x800000
	v_lshrrev_b32_e32 v31, 23, v25
	s_delay_alu instid0(VALU_DEP_2) | instskip(NEXT) | instid1(VALU_DEP_2)
	v_mad_u64_u32 v[26:27], null, 0xfe5163ab, v34, 0
	v_add_nc_u32_e32 v32, 0xffffff88, v31
	s_delay_alu instid0(VALU_DEP_1) | instskip(NEXT) | instid1(VALU_DEP_3)
	v_cmp_lt_u32_e64 s5, 63, v32
	v_mov_b32_e32 v1, v27
	s_delay_alu instid0(VALU_DEP_2) | instskip(NEXT) | instid1(VALU_DEP_2)
	v_cndmask_b32_e64 v33, 0, 0xffffffc0, s5
	v_mad_u64_u32 v[27:28], null, 0x3c439041, v34, v[1:2]
	s_delay_alu instid0(VALU_DEP_2) | instskip(NEXT) | instid1(VALU_DEP_2)
	v_add_nc_u32_e32 v33, v33, v32
	v_mov_b32_e32 v1, v28
	s_delay_alu instid0(VALU_DEP_2) | instskip(NEXT) | instid1(VALU_DEP_2)
	v_cmp_lt_u32_e64 s6, 31, v33
	v_mad_u64_u32 v[28:29], null, 0xdb629599, v34, v[1:2]
	s_delay_alu instid0(VALU_DEP_2) | instskip(NEXT) | instid1(VALU_DEP_1)
	v_cndmask_b32_e64 v35, 0, 0xffffffe0, s6
	v_add_nc_u32_e32 v35, v35, v33
	s_delay_alu instid0(VALU_DEP_3) | instskip(NEXT) | instid1(VALU_DEP_4)
	v_mov_b32_e32 v1, v29
	v_cndmask_b32_e64 v26, v28, v26, s5
	s_delay_alu instid0(VALU_DEP_3) | instskip(NEXT) | instid1(VALU_DEP_3)
	v_cmp_lt_u32_e64 s7, 31, v35
	v_mad_u64_u32 v[29:30], null, 0xf534ddc0, v34, v[1:2]
	s_delay_alu instid0(VALU_DEP_1) | instskip(NEXT) | instid1(VALU_DEP_2)
	v_mov_b32_e32 v1, v30
	v_cndmask_b32_e64 v27, v29, v27, s5
	s_delay_alu instid0(VALU_DEP_2) | instskip(NEXT) | instid1(VALU_DEP_2)
	v_mad_u64_u32 v[30:31], null, 0xfc2757d1, v34, v[1:2]
	v_cndmask_b32_e64 v26, v27, v26, s6
	s_delay_alu instid0(VALU_DEP_2) | instskip(NEXT) | instid1(VALU_DEP_1)
	v_mov_b32_e32 v1, v31
	v_mad_u64_u32 v[31:32], null, 0x4e441529, v34, v[1:2]
	s_delay_alu instid0(VALU_DEP_1) | instskip(NEXT) | instid1(VALU_DEP_1)
	v_mov_b32_e32 v1, v32
	v_mad_u64_u32 v[32:33], null, 0xa2f9836e, v34, v[1:2]
	v_cndmask_b32_e64 v1, 0, 0xffffffe0, s7
	s_delay_alu instid0(VALU_DEP_4) | instskip(NEXT) | instid1(VALU_DEP_2)
	v_cndmask_b32_e64 v34, v31, v29, s5
	v_add_nc_u32_e32 v1, v1, v35
	s_delay_alu instid0(VALU_DEP_4) | instskip(SKIP_2) | instid1(VALU_DEP_4)
	v_cndmask_b32_e64 v32, v32, v30, s5
	v_cndmask_b32_e64 v31, v33, v31, s5
	;; [unrolled: 1-line block ×3, first 2 shown]
	v_sub_nc_u32_e32 v33, 32, v1
	s_delay_alu instid0(VALU_DEP_4) | instskip(NEXT) | instid1(VALU_DEP_4)
	v_cndmask_b32_e64 v29, v32, v34, s6
	v_cndmask_b32_e64 v31, v31, v32, s6
	s_delay_alu instid0(VALU_DEP_4) | instskip(SKIP_2) | instid1(VALU_DEP_4)
	v_cndmask_b32_e64 v32, v34, v30, s6
	v_cndmask_b32_e64 v30, v30, v27, s6
	v_cmp_eq_u32_e64 s8, 0, v1
	v_cndmask_b32_e64 v31, v31, v29, s7
	s_delay_alu instid0(VALU_DEP_4) | instskip(NEXT) | instid1(VALU_DEP_4)
	v_cndmask_b32_e64 v29, v29, v32, s7
	v_cndmask_b32_e64 v32, v32, v30, s7
	;; [unrolled: 1-line block ×3, first 2 shown]
	s_delay_alu instid0(VALU_DEP_3) | instskip(NEXT) | instid1(VALU_DEP_3)
	v_alignbit_b32 v34, v31, v29, v33
	v_alignbit_b32 v35, v29, v32, v33
	s_delay_alu instid0(VALU_DEP_3) | instskip(NEXT) | instid1(VALU_DEP_3)
	v_alignbit_b32 v33, v32, v26, v33
	v_cndmask_b32_e64 v1, v34, v31, s8
	s_delay_alu instid0(VALU_DEP_3) | instskip(NEXT) | instid1(VALU_DEP_3)
	v_cndmask_b32_e64 v28, v35, v29, s8
	v_cndmask_b32_e64 v32, v33, v32, s8
	s_delay_alu instid0(VALU_DEP_3) | instskip(NEXT) | instid1(VALU_DEP_3)
	v_bfe_u32 v29, v1, 29, 1
	v_alignbit_b32 v27, v1, v28, 30
	s_delay_alu instid0(VALU_DEP_3) | instskip(SKIP_1) | instid1(VALU_DEP_4)
	v_alignbit_b32 v28, v28, v32, 30
	v_alignbit_b32 v26, v32, v26, 30
	v_sub_nc_u32_e32 v31, 0, v29
	s_delay_alu instid0(VALU_DEP_1) | instskip(SKIP_3) | instid1(VALU_DEP_4)
	v_xor_b32_e32 v30, v27, v31
	v_cmp_ne_u32_e64 s5, v27, v31
	v_xor_b32_e32 v28, v28, v31
	v_xor_b32_e32 v26, v26, v31
	v_clz_i32_u32_e32 v34, v30
	s_delay_alu instid0(VALU_DEP_1) | instskip(NEXT) | instid1(VALU_DEP_1)
	v_add_nc_u32_e32 v33, 1, v34
	v_cndmask_b32_e64 v27, 33, v33, s5
	s_delay_alu instid0(VALU_DEP_1) | instskip(NEXT) | instid1(VALU_DEP_1)
	v_sub_nc_u32_e32 v32, 32, v27
	v_alignbit_b32 v30, v30, v28, v32
	v_alignbit_b32 v26, v28, v26, v32
	v_lshrrev_b32_e32 v28, 29, v1
	s_delay_alu instid0(VALU_DEP_2) | instskip(NEXT) | instid1(VALU_DEP_2)
	v_alignbit_b32 v31, v30, v26, 9
	v_lshlrev_b32_e32 v28, 31, v28
	v_alignbit_b32 v30, v27, v30, 9
	s_delay_alu instid0(VALU_DEP_3) | instskip(NEXT) | instid1(VALU_DEP_2)
	v_clz_i32_u32_e32 v32, v31
	v_or_b32_e32 v30, v30, v28
	v_or_b32_e32 v28, 0x33800000, v28
	s_delay_alu instid0(VALU_DEP_3) | instskip(NEXT) | instid1(VALU_DEP_3)
	v_min_u32_e32 v32, 32, v32
	v_xor_b32_e32 v30, 1.0, v30
	s_delay_alu instid0(VALU_DEP_2) | instskip(SKIP_1) | instid1(VALU_DEP_3)
	v_sub_nc_u32_e32 v33, 31, v32
	v_add_lshl_u32 v27, v32, v27, 23
	v_mul_f32_e32 v32, 0x3fc90fda, v30
	s_delay_alu instid0(VALU_DEP_3) | instskip(NEXT) | instid1(VALU_DEP_3)
	v_alignbit_b32 v26, v31, v26, v33
	v_sub_nc_u32_e32 v27, v28, v27
	s_delay_alu instid0(VALU_DEP_3) | instskip(NEXT) | instid1(VALU_DEP_3)
	v_fma_f32 v28, 0x3fc90fda, v30, -v32
	v_lshrrev_b32_e32 v26, 9, v26
	s_delay_alu instid0(VALU_DEP_2) | instskip(NEXT) | instid1(VALU_DEP_2)
	v_fmac_f32_e32 v28, 0x33a22168, v30
	v_or_b32_e32 v26, v27, v26
	s_delay_alu instid0(VALU_DEP_1) | instskip(SKIP_1) | instid1(VALU_DEP_1)
	v_fmac_f32_e32 v28, 0x3fc90fda, v26
	v_lshrrev_b32_e32 v26, 30, v1
	v_dual_add_f32 v1, v32, v28 :: v_dual_add_nc_u32 v26, v29, v26
	s_and_not1_saveexec_b32 s5, s31
	s_cbranch_execnz .LBB139_77
	s_branch .LBB139_78
.LBB139_76:                             ;   in Loop: Header=BB139_4 Depth=1
	s_and_not1_saveexec_b32 s5, s31
.LBB139_77:                             ;   in Loop: Header=BB139_4 Depth=1
	v_mul_f32_e64 v1, 0x3f22f983, |v16|
	s_delay_alu instid0(VALU_DEP_1) | instskip(NEXT) | instid1(VALU_DEP_1)
	v_rndne_f32_e32 v26, v1
	v_fma_f32 v1, 0xbfc90fda, v26, |v16|
	s_delay_alu instid0(VALU_DEP_1) | instskip(NEXT) | instid1(VALU_DEP_1)
	v_fmac_f32_e32 v1, 0xb3a22168, v26
	v_fmac_f32_e32 v1, 0xa7c234c4, v26
	v_cvt_i32_f32_e32 v26, v26
.LBB139_78:                             ;   in Loop: Header=BB139_4 Depth=1
	s_or_b32 exec_lo, exec_lo, s5
	v_add_f32_e32 v15, 0xc322e3bc, v15
	s_delay_alu instid0(VALU_DEP_2) | instskip(NEXT) | instid1(VALU_DEP_2)
	v_mul_f32_e32 v31, v1, v1
	v_dual_mul_f32 v30, v13, v13 :: v_dual_mul_f32 v27, 0x3fb8aa3b, v15
	s_delay_alu instid0(VALU_DEP_1) | instskip(NEXT) | instid1(VALU_DEP_2)
	v_fmaak_f32 v33, s24, v30, 0x3c0881c4
	v_fma_f32 v28, 0x3fb8aa3b, v15, -v27
	v_rndne_f32_e32 v29, v27
	s_delay_alu instid0(VALU_DEP_1) | instskip(NEXT) | instid1(VALU_DEP_1)
	v_dual_fmac_f32 v28, 0x32a5705f, v15 :: v_dual_sub_f32 v27, v27, v29
	v_add_f32_e32 v27, v27, v28
	v_cvt_i32_f32_e32 v28, v29
	s_delay_alu instid0(VALU_DEP_2)
	v_exp_f32_e32 v27, v27
	s_waitcnt_depctr 0xfff
	v_ldexp_f32 v27, v27, v28
	v_and_b32_e32 v28, 1, v26
	v_lshlrev_b32_e32 v26, 30, v26
	v_dual_fmaak_f32 v34, s24, v31, 0x3c0881c4 :: v_dual_lshlrev_b32 v29, 30, v14
	v_and_b32_e32 v14, 1, v14
	v_cmp_ngt_f32_e64 s5, 0xc2ce8ed0, v15
	v_fmaak_f32 v32, s25, v30, 0xbab64f3b
	v_and_or_b32 v25, 0x80000000, v26, v25
	v_fmaak_f32 v34, v31, v34, 0xbe2aaa9d
	s_delay_alu instid0(VALU_DEP_4) | instskip(SKIP_1) | instid1(VALU_DEP_3)
	v_cndmask_b32_e64 v27, 0, v27, s5
	v_cmp_nlt_f32_e64 s5, 0x42b17218, v15
	v_mul_f32_e32 v34, v31, v34
	s_delay_alu instid0(VALU_DEP_2) | instskip(SKIP_2) | instid1(VALU_DEP_4)
	v_cndmask_b32_e64 v15, 0x7f800000, v27, s5
	v_fmaak_f32 v27, s25, v31, 0xbab64f3b
	v_fmaak_f32 v26, v30, v32, 0x3d2aabf7
	v_dual_fmaak_f32 v32, v30, v33, 0xbe2aaa9d :: v_dual_fmac_f32 v1, v1, v34
	v_and_b32_e32 v29, 0x80000000, v29
	v_lshrrev_b32_e32 v33, 23, v15
	s_delay_alu instid0(VALU_DEP_3) | instskip(SKIP_2) | instid1(VALU_DEP_4)
	v_dual_fmaak_f32 v27, v31, v27, 0x3d2aabf7 :: v_dual_mul_f32 v32, v30, v32
	v_fmaak_f32 v26, v30, v26, 0xbf000004
	v_cmp_eq_u32_e64 s5, 0, v14
	v_subrev_nc_u32_e32 v33, 19, v33
	s_delay_alu instid0(VALU_DEP_4)
	v_fmaak_f32 v27, v31, v27, 0xbf000004
	v_fmac_f32_e32 v13, v13, v32
	v_fma_f32 v26, v30, v26, 1.0
	v_and_or_b32 v15, 0x7fffff, v15, s26
	v_lshrrev_b16 v30, 15, v33
	v_fma_f32 v27, v31, v27, 1.0
	s_delay_alu instid0(VALU_DEP_4) | instskip(SKIP_1) | instid1(VALU_DEP_4)
	v_cndmask_b32_e64 v13, -v13, v26, s5
	v_cmp_eq_u32_e64 s5, 0, v28
	v_add_nc_u16 v14, v33, v30
	s_delay_alu instid0(VALU_DEP_3) | instskip(NEXT) | instid1(VALU_DEP_3)
	v_xor_b32_e32 v13, v29, v13
	v_cndmask_b32_e64 v1, v27, v1, s5
	s_delay_alu instid0(VALU_DEP_3) | instskip(SKIP_1) | instid1(VALU_DEP_3)
	v_ashrrev_i16 v14, 1, v14
	v_cmp_class_f32_e64 s5, v16, 0x1f8
	v_xor3_b32 v1, v25, v1, v16
	s_delay_alu instid0(VALU_DEP_3) | instskip(NEXT) | instid1(VALU_DEP_3)
	v_bfe_i32 v14, v14, 0, 16
	v_cndmask_b32_e64 v13, 0x7fc00000, v13, s5
	s_delay_alu instid0(VALU_DEP_3) | instskip(NEXT) | instid1(VALU_DEP_3)
	v_cndmask_b32_e64 v1, 0x7fc00000, v1, s5
	v_lshl_add_u32 v16, v14, 23, 1.0
	s_delay_alu instid0(VALU_DEP_3) | instskip(SKIP_1) | instid1(VALU_DEP_4)
	v_mul_f32_e32 v13, v13, v15
	v_sub_nc_u32_e32 v14, v33, v14
	v_mul_f32_e32 v1, v1, v15
	s_delay_alu instid0(VALU_DEP_3) | instskip(NEXT) | instid1(VALU_DEP_3)
	v_mul_f32_e32 v13, v13, v16
	v_lshl_add_u32 v14, v14, 23, 1.0
	s_delay_alu instid0(VALU_DEP_3) | instskip(NEXT) | instid1(VALU_DEP_2)
	v_mul_f32_e32 v1, v1, v16
	v_mul_f32_e32 v13, v13, v14
	s_delay_alu instid0(VALU_DEP_2)
	v_mul_f32_e32 v14, v1, v14
.LBB139_79:                             ;   in Loop: Header=BB139_4 Depth=1
	s_or_b32 exec_lo, exec_lo, s30
                                        ; implicit-def: $vgpr15
                                        ; implicit-def: $vgpr1
.LBB139_80:                             ;   in Loop: Header=BB139_4 Depth=1
	s_and_not1_saveexec_b32 s6, s29
	s_cbranch_execz .LBB139_86
; %bb.81:                               ;   in Loop: Header=BB139_4 Depth=1
	v_cmp_ne_u32_e64 s5, 0x7f800000, v1
	v_sub_f32_e32 v14, v16, v16
	s_delay_alu instid0(VALU_DEP_2) | instskip(NEXT) | instid1(SALU_CYCLE_1)
	s_and_saveexec_b32 s7, s5
	s_xor_b32 s5, exec_lo, s7
; %bb.82:                               ;   in Loop: Header=BB139_4 Depth=1
                                        ; implicit-def: $vgpr15
; %bb.83:                               ;   in Loop: Header=BB139_4 Depth=1
	s_delay_alu instid0(SALU_CYCLE_1) | instskip(NEXT) | instid1(VALU_DEP_1)
	s_or_saveexec_b32 s7, s5
	v_mov_b32_e32 v13, v14
	s_xor_b32 exec_lo, exec_lo, s7
; %bb.84:                               ;   in Loop: Header=BB139_4 Depth=1
	v_cmp_lt_i32_e64 s5, -1, v15
	s_delay_alu instid0(VALU_DEP_1)
	v_cndmask_b32_e64 v13, 0, v15, s5
	v_cndmask_b32_e64 v14, 0, v14, s5
; %bb.85:                               ;   in Loop: Header=BB139_4 Depth=1
	s_or_b32 exec_lo, exec_lo, s7
.LBB139_86:                             ;   in Loop: Header=BB139_4 Depth=1
	s_delay_alu instid0(SALU_CYCLE_1)
	s_or_b32 exec_lo, exec_lo, s6
                                        ; implicit-def: $vgpr16
                                        ; implicit-def: $vgpr25
.LBB139_87:                             ;   in Loop: Header=BB139_4 Depth=1
	s_and_not1_saveexec_b32 s28, s28
	s_cbranch_execz .LBB139_97
; %bb.88:                               ;   in Loop: Header=BB139_4 Depth=1
	v_lshrrev_b32_e32 v1, 23, v25
	v_cmp_ngt_f32_e64 s29, 0x48000000, |v16|
	v_and_or_b32 v15, v25, s23, 0x800000
                                        ; implicit-def: $vgpr14
                                        ; implicit-def: $vgpr13
	s_delay_alu instid0(VALU_DEP_3) | instskip(NEXT) | instid1(VALU_DEP_3)
	v_add_nc_u32_e32 v26, 0xffffff88, v1
	s_and_saveexec_b32 s5, s29
	s_delay_alu instid0(SALU_CYCLE_1)
	s_xor_b32 s30, exec_lo, s5
	s_cbranch_execz .LBB139_90
; %bb.89:                               ;   in Loop: Header=BB139_4 Depth=1
	v_mad_u64_u32 v[13:14], null, 0xfe5163ab, v15, 0
	v_cmp_lt_u32_e64 s5, 63, v26
	s_delay_alu instid0(VALU_DEP_2) | instskip(NEXT) | instid1(VALU_DEP_2)
	v_mov_b32_e32 v1, v14
	v_cndmask_b32_e64 v14, 0, 0xffffffc0, s5
	s_delay_alu instid0(VALU_DEP_1) | instskip(NEXT) | instid1(VALU_DEP_1)
	v_add_nc_u32_e32 v14, v14, v26
	v_cmp_lt_u32_e64 s6, 31, v14
	s_delay_alu instid0(VALU_DEP_1) | instskip(NEXT) | instid1(VALU_DEP_1)
	v_cndmask_b32_e64 v33, 0, 0xffffffe0, s6
	v_add_nc_u32_e32 v14, v33, v14
	v_mad_u64_u32 v[27:28], null, 0x3c439041, v15, v[1:2]
	s_delay_alu instid0(VALU_DEP_2) | instskip(NEXT) | instid1(VALU_DEP_2)
	v_cmp_lt_u32_e64 s7, 31, v14
	v_mov_b32_e32 v1, v28
	s_delay_alu instid0(VALU_DEP_1) | instskip(NEXT) | instid1(VALU_DEP_1)
	v_mad_u64_u32 v[28:29], null, 0xdb629599, v15, v[1:2]
	v_mov_b32_e32 v1, v29
	s_delay_alu instid0(VALU_DEP_2) | instskip(NEXT) | instid1(VALU_DEP_2)
	v_cndmask_b32_e64 v13, v28, v13, s5
	v_mad_u64_u32 v[29:30], null, 0xf534ddc0, v15, v[1:2]
	s_delay_alu instid0(VALU_DEP_1) | instskip(NEXT) | instid1(VALU_DEP_1)
	v_mov_b32_e32 v1, v30
	v_mad_u64_u32 v[30:31], null, 0xfc2757d1, v15, v[1:2]
	s_delay_alu instid0(VALU_DEP_1) | instskip(NEXT) | instid1(VALU_DEP_1)
	v_mov_b32_e32 v1, v31
	v_mad_u64_u32 v[31:32], null, 0x4e441529, v15, v[1:2]
	s_delay_alu instid0(VALU_DEP_1) | instskip(NEXT) | instid1(VALU_DEP_2)
	v_mov_b32_e32 v1, v32
	v_cndmask_b32_e64 v34, v31, v29, s5
	s_delay_alu instid0(VALU_DEP_2) | instskip(SKIP_1) | instid1(VALU_DEP_1)
	v_mad_u64_u32 v[32:33], null, 0xa2f9836e, v15, v[1:2]
	v_cndmask_b32_e64 v1, 0, 0xffffffe0, s7
	v_add_nc_u32_e32 v1, v1, v14
	s_delay_alu instid0(VALU_DEP_3) | instskip(NEXT) | instid1(VALU_DEP_4)
	v_cndmask_b32_e64 v32, v32, v30, s5
	v_cndmask_b32_e64 v31, v33, v31, s5
	;; [unrolled: 1-line block ×4, first 2 shown]
	v_cmp_eq_u32_e64 s8, 0, v1
	v_cndmask_b32_e64 v27, v32, v34, s6
	v_cndmask_b32_e64 v29, v31, v32, s6
	;; [unrolled: 1-line block ×3, first 2 shown]
	v_sub_nc_u32_e32 v32, 32, v1
	v_cndmask_b32_e64 v30, v30, v14, s6
	v_cndmask_b32_e64 v13, v14, v13, s6
	;; [unrolled: 1-line block ×4, first 2 shown]
	s_delay_alu instid0(VALU_DEP_4) | instskip(NEXT) | instid1(VALU_DEP_4)
	v_cndmask_b32_e64 v31, v31, v30, s7
	v_cndmask_b32_e64 v13, v30, v13, s7
	s_delay_alu instid0(VALU_DEP_3) | instskip(NEXT) | instid1(VALU_DEP_3)
	v_alignbit_b32 v33, v29, v27, v32
	v_alignbit_b32 v34, v27, v31, v32
	s_delay_alu instid0(VALU_DEP_3) | instskip(NEXT) | instid1(VALU_DEP_3)
	v_alignbit_b32 v32, v31, v13, v32
	v_cndmask_b32_e64 v1, v33, v29, s8
	s_delay_alu instid0(VALU_DEP_3) | instskip(NEXT) | instid1(VALU_DEP_3)
	v_cndmask_b32_e64 v27, v34, v27, s8
	v_cndmask_b32_e64 v31, v32, v31, s8
	s_delay_alu instid0(VALU_DEP_3) | instskip(NEXT) | instid1(VALU_DEP_3)
	v_bfe_u32 v28, v1, 29, 1
	v_alignbit_b32 v14, v1, v27, 30
	s_delay_alu instid0(VALU_DEP_3) | instskip(SKIP_1) | instid1(VALU_DEP_4)
	v_alignbit_b32 v27, v27, v31, 30
	v_alignbit_b32 v13, v31, v13, 30
	v_sub_nc_u32_e32 v29, 0, v28
	s_delay_alu instid0(VALU_DEP_1) | instskip(SKIP_3) | instid1(VALU_DEP_4)
	v_xor_b32_e32 v30, v14, v29
	v_cmp_ne_u32_e64 s5, v14, v29
	v_xor_b32_e32 v27, v27, v29
	v_xor_b32_e32 v13, v13, v29
	v_clz_i32_u32_e32 v33, v30
	s_delay_alu instid0(VALU_DEP_1) | instskip(NEXT) | instid1(VALU_DEP_1)
	v_add_nc_u32_e32 v32, 1, v33
	v_cndmask_b32_e64 v14, 33, v32, s5
	s_delay_alu instid0(VALU_DEP_1) | instskip(NEXT) | instid1(VALU_DEP_1)
	v_sub_nc_u32_e32 v31, 32, v14
	v_alignbit_b32 v29, v30, v27, v31
	v_alignbit_b32 v13, v27, v13, v31
	v_lshrrev_b32_e32 v27, 29, v1
	v_lshrrev_b32_e32 v1, 30, v1
	s_delay_alu instid0(VALU_DEP_3) | instskip(NEXT) | instid1(VALU_DEP_3)
	v_alignbit_b32 v30, v29, v13, 9
	v_lshlrev_b32_e32 v27, 31, v27
	v_alignbit_b32 v29, v14, v29, 9
	s_delay_alu instid0(VALU_DEP_3) | instskip(NEXT) | instid1(VALU_DEP_2)
	v_clz_i32_u32_e32 v31, v30
	v_or_b32_e32 v29, v29, v27
	v_or_b32_e32 v27, 0x33800000, v27
	s_delay_alu instid0(VALU_DEP_3) | instskip(NEXT) | instid1(VALU_DEP_3)
	v_min_u32_e32 v31, 32, v31
	v_xor_b32_e32 v29, 1.0, v29
	s_delay_alu instid0(VALU_DEP_2) | instskip(SKIP_1) | instid1(VALU_DEP_3)
	v_sub_nc_u32_e32 v32, 31, v31
	v_add_lshl_u32 v14, v31, v14, 23
	v_mul_f32_e32 v31, 0x3fc90fda, v29
	s_delay_alu instid0(VALU_DEP_3) | instskip(NEXT) | instid1(VALU_DEP_3)
	v_alignbit_b32 v13, v30, v13, v32
	v_sub_nc_u32_e32 v14, v27, v14
	s_delay_alu instid0(VALU_DEP_3) | instskip(NEXT) | instid1(VALU_DEP_3)
	v_fma_f32 v27, 0x3fc90fda, v29, -v31
	v_lshrrev_b32_e32 v13, 9, v13
	s_delay_alu instid0(VALU_DEP_2) | instskip(NEXT) | instid1(VALU_DEP_2)
	v_fmac_f32_e32 v27, 0x33a22168, v29
	v_or_b32_e32 v13, v14, v13
	v_add_nc_u32_e32 v14, v28, v1
	s_delay_alu instid0(VALU_DEP_2) | instskip(NEXT) | instid1(VALU_DEP_1)
	v_fmac_f32_e32 v27, 0x3fc90fda, v13
	v_add_f32_e32 v13, v31, v27
.LBB139_90:                             ;   in Loop: Header=BB139_4 Depth=1
	s_or_saveexec_b32 s5, s30
	v_mul_f32_e64 v1, 0x3f22f983, |v16|
	s_delay_alu instid0(VALU_DEP_1)
	v_rndne_f32_e32 v28, v1
	s_xor_b32 exec_lo, exec_lo, s5
; %bb.91:                               ;   in Loop: Header=BB139_4 Depth=1
	s_delay_alu instid0(VALU_DEP_1) | instskip(SKIP_1) | instid1(VALU_DEP_2)
	v_fma_f32 v13, 0xbfc90fda, v28, |v16|
	v_cvt_i32_f32_e32 v14, v28
	v_fmac_f32_e32 v13, 0xb3a22168, v28
	s_delay_alu instid0(VALU_DEP_1)
	v_fmac_f32_e32 v13, 0xa7c234c4, v28
; %bb.92:                               ;   in Loop: Header=BB139_4 Depth=1
	s_or_b32 exec_lo, exec_lo, s5
                                        ; implicit-def: $vgpr27
                                        ; implicit-def: $vgpr1
	s_and_saveexec_b32 s5, s29
	s_delay_alu instid0(SALU_CYCLE_1)
	s_xor_b32 s29, exec_lo, s5
	s_cbranch_execz .LBB139_94
; %bb.93:                               ;   in Loop: Header=BB139_4 Depth=1
	v_mad_u64_u32 v[27:28], null, 0xfe5163ab, v15, 0
	v_cmp_lt_u32_e64 s5, 63, v26
	s_delay_alu instid0(VALU_DEP_1) | instskip(NEXT) | instid1(VALU_DEP_1)
	v_cndmask_b32_e64 v33, 0, 0xffffffc0, s5
	v_dual_mov_b32 v1, v28 :: v_dual_add_nc_u32 v26, v33, v26
	s_delay_alu instid0(VALU_DEP_1) | instskip(NEXT) | instid1(VALU_DEP_2)
	v_mad_u64_u32 v[28:29], null, 0x3c439041, v15, v[1:2]
	v_cmp_lt_u32_e64 s6, 31, v26
	s_delay_alu instid0(VALU_DEP_1) | instskip(NEXT) | instid1(VALU_DEP_1)
	v_cndmask_b32_e64 v34, 0, 0xffffffe0, s6
	v_dual_mov_b32 v1, v29 :: v_dual_add_nc_u32 v26, v34, v26
	s_delay_alu instid0(VALU_DEP_1) | instskip(NEXT) | instid1(VALU_DEP_2)
	v_mad_u64_u32 v[29:30], null, 0xdb629599, v15, v[1:2]
	v_cmp_lt_u32_e64 s7, 31, v26
	s_delay_alu instid0(VALU_DEP_2) | instskip(NEXT) | instid1(VALU_DEP_3)
	v_mov_b32_e32 v1, v30
	v_cndmask_b32_e64 v27, v29, v27, s5
	s_delay_alu instid0(VALU_DEP_2) | instskip(NEXT) | instid1(VALU_DEP_1)
	v_mad_u64_u32 v[30:31], null, 0xf534ddc0, v15, v[1:2]
	v_mov_b32_e32 v1, v31
	s_delay_alu instid0(VALU_DEP_1) | instskip(NEXT) | instid1(VALU_DEP_1)
	v_mad_u64_u32 v[31:32], null, 0xfc2757d1, v15, v[1:2]
	v_mov_b32_e32 v1, v32
	s_delay_alu instid0(VALU_DEP_1) | instskip(NEXT) | instid1(VALU_DEP_1)
	v_mad_u64_u32 v[32:33], null, 0x4e441529, v15, v[1:2]
	v_mov_b32_e32 v1, v33
	s_delay_alu instid0(VALU_DEP_1) | instskip(SKIP_1) | instid1(VALU_DEP_4)
	v_mad_u64_u32 v[33:34], null, 0xa2f9836e, v15, v[1:2]
	v_cndmask_b32_e64 v1, 0, 0xffffffe0, s7
	v_cndmask_b32_e64 v15, v32, v30, s5
	s_delay_alu instid0(VALU_DEP_2) | instskip(NEXT) | instid1(VALU_DEP_4)
	v_add_nc_u32_e32 v1, v1, v26
	v_cndmask_b32_e64 v33, v33, v31, s5
	v_cndmask_b32_e64 v32, v34, v32, s5
	;; [unrolled: 1-line block ×4, first 2 shown]
	v_cmp_eq_u32_e64 s8, 0, v1
	v_cndmask_b32_e64 v28, v33, v15, s6
	v_cndmask_b32_e64 v30, v32, v33, s6
	;; [unrolled: 1-line block ×3, first 2 shown]
	v_sub_nc_u32_e32 v32, 32, v1
	v_cndmask_b32_e64 v31, v31, v26, s6
	v_cndmask_b32_e64 v26, v26, v27, s6
	;; [unrolled: 1-line block ×4, first 2 shown]
	s_delay_alu instid0(VALU_DEP_4) | instskip(NEXT) | instid1(VALU_DEP_4)
	v_cndmask_b32_e64 v15, v15, v31, s7
	v_cndmask_b32_e64 v26, v31, v26, s7
	s_delay_alu instid0(VALU_DEP_3) | instskip(NEXT) | instid1(VALU_DEP_3)
	v_alignbit_b32 v33, v30, v28, v32
	v_alignbit_b32 v34, v28, v15, v32
	s_delay_alu instid0(VALU_DEP_3) | instskip(NEXT) | instid1(VALU_DEP_3)
	v_alignbit_b32 v32, v15, v26, v32
	v_cndmask_b32_e64 v1, v33, v30, s8
	s_delay_alu instid0(VALU_DEP_3) | instskip(NEXT) | instid1(VALU_DEP_3)
	v_cndmask_b32_e64 v28, v34, v28, s8
	v_cndmask_b32_e64 v15, v32, v15, s8
	s_delay_alu instid0(VALU_DEP_3) | instskip(NEXT) | instid1(VALU_DEP_3)
	v_bfe_u32 v29, v1, 29, 1
	v_alignbit_b32 v27, v1, v28, 30
	s_delay_alu instid0(VALU_DEP_3) | instskip(SKIP_1) | instid1(VALU_DEP_4)
	v_alignbit_b32 v28, v28, v15, 30
	v_alignbit_b32 v15, v15, v26, 30
	v_sub_nc_u32_e32 v30, 0, v29
	s_delay_alu instid0(VALU_DEP_1) | instskip(SKIP_3) | instid1(VALU_DEP_4)
	v_xor_b32_e32 v31, v27, v30
	v_cmp_ne_u32_e64 s5, v27, v30
	v_xor_b32_e32 v26, v28, v30
	v_xor_b32_e32 v15, v15, v30
	v_clz_i32_u32_e32 v33, v31
	s_delay_alu instid0(VALU_DEP_1) | instskip(NEXT) | instid1(VALU_DEP_1)
	v_add_nc_u32_e32 v32, 1, v33
	v_cndmask_b32_e64 v27, 33, v32, s5
	s_delay_alu instid0(VALU_DEP_1) | instskip(NEXT) | instid1(VALU_DEP_1)
	v_sub_nc_u32_e32 v28, 32, v27
	v_alignbit_b32 v30, v31, v26, v28
	v_alignbit_b32 v15, v26, v15, v28
	v_lshrrev_b32_e32 v26, 29, v1
	s_delay_alu instid0(VALU_DEP_2) | instskip(NEXT) | instid1(VALU_DEP_2)
	v_alignbit_b32 v28, v30, v15, 9
	v_lshlrev_b32_e32 v26, 31, v26
	v_alignbit_b32 v30, v27, v30, 9
	s_delay_alu instid0(VALU_DEP_3) | instskip(NEXT) | instid1(VALU_DEP_2)
	v_clz_i32_u32_e32 v31, v28
	v_or_b32_e32 v30, v30, v26
	v_or_b32_e32 v26, 0x33800000, v26
	s_delay_alu instid0(VALU_DEP_3) | instskip(NEXT) | instid1(VALU_DEP_3)
	v_min_u32_e32 v31, 32, v31
	v_xor_b32_e32 v30, 1.0, v30
	s_delay_alu instid0(VALU_DEP_2) | instskip(SKIP_1) | instid1(VALU_DEP_3)
	v_sub_nc_u32_e32 v32, 31, v31
	v_add_lshl_u32 v27, v31, v27, 23
	v_mul_f32_e32 v31, 0x3fc90fda, v30
	s_delay_alu instid0(VALU_DEP_3) | instskip(NEXT) | instid1(VALU_DEP_3)
	v_alignbit_b32 v15, v28, v15, v32
	v_sub_nc_u32_e32 v26, v26, v27
	s_delay_alu instid0(VALU_DEP_3) | instskip(NEXT) | instid1(VALU_DEP_3)
	v_fma_f32 v27, 0x3fc90fda, v30, -v31
                                        ; implicit-def: $vgpr28
	v_lshrrev_b32_e32 v15, 9, v15
	s_delay_alu instid0(VALU_DEP_2) | instskip(NEXT) | instid1(VALU_DEP_2)
	v_fmac_f32_e32 v27, 0x33a22168, v30
	v_or_b32_e32 v15, v26, v15
	s_delay_alu instid0(VALU_DEP_1) | instskip(SKIP_1) | instid1(VALU_DEP_2)
	v_fmac_f32_e32 v27, 0x3fc90fda, v15
	v_lshrrev_b32_e32 v15, 30, v1
	v_add_f32_e32 v1, v31, v27
	s_delay_alu instid0(VALU_DEP_2)
	v_add_nc_u32_e32 v27, v29, v15
	s_and_not1_saveexec_b32 s5, s29
	s_cbranch_execnz .LBB139_95
	s_branch .LBB139_96
.LBB139_94:                             ;   in Loop: Header=BB139_4 Depth=1
	s_and_not1_saveexec_b32 s5, s29
.LBB139_95:                             ;   in Loop: Header=BB139_4 Depth=1
	v_fma_f32 v1, 0xbfc90fda, v28, |v16|
	v_cvt_i32_f32_e32 v27, v28
	s_delay_alu instid0(VALU_DEP_2) | instskip(NEXT) | instid1(VALU_DEP_1)
	v_fmac_f32_e32 v1, 0xb3a22168, v28
	v_fmac_f32_e32 v1, 0xa7c234c4, v28
.LBB139_96:                             ;   in Loop: Header=BB139_4 Depth=1
	s_or_b32 exec_lo, exec_lo, s5
	v_dual_mul_f32 v15, v13, v13 :: v_dual_and_b32 v28, 1, v14
	s_delay_alu instid0(VALU_DEP_2) | instskip(SKIP_1) | instid1(VALU_DEP_3)
	v_dual_mul_f32 v26, v1, v1 :: v_dual_and_b32 v33, 1, v27
	v_lshlrev_b32_e32 v27, 30, v27
	v_dual_fmaak_f32 v29, s24, v15, 0x3c0881c4 :: v_dual_lshlrev_b32 v14, 30, v14
	s_delay_alu instid0(VALU_DEP_3) | instskip(SKIP_2) | instid1(VALU_DEP_4)
	v_fmaak_f32 v31, s24, v26, 0x3c0881c4
	v_fmaak_f32 v32, s25, v26, 0xbab64f3b
	v_cmp_eq_u32_e64 s5, 0, v28
	v_fmaak_f32 v29, v15, v29, 0xbe2aaa9d
	v_fmaak_f32 v30, s25, v15, 0xbab64f3b
	;; [unrolled: 1-line block ×3, first 2 shown]
	v_and_b32_e32 v14, 0x80000000, v14
	v_and_or_b32 v25, 0x80000000, v27, v25
	v_mul_f32_e32 v29, v15, v29
	v_fmaak_f32 v30, v15, v30, 0x3d2aabf7
	v_fmaak_f32 v32, v26, v32, 0x3d2aabf7
	v_mul_f32_e32 v31, v26, v31
	s_delay_alu instid0(VALU_DEP_3) | instskip(NEXT) | instid1(VALU_DEP_2)
	v_dual_fmac_f32 v13, v13, v29 :: v_dual_fmaak_f32 v30, v15, v30, 0xbf000004
	v_dual_fmaak_f32 v32, v26, v32, 0xbf000004 :: v_dual_fmac_f32 v1, v1, v31
	s_delay_alu instid0(VALU_DEP_2) | instskip(NEXT) | instid1(VALU_DEP_2)
	v_fma_f32 v15, v15, v30, 1.0
	v_fma_f32 v26, v26, v32, 1.0
	s_delay_alu instid0(VALU_DEP_2) | instskip(SKIP_1) | instid1(VALU_DEP_2)
	v_cndmask_b32_e64 v13, -v13, v15, s5
	v_cmp_eq_u32_e64 s5, 0, v33
	v_xor_b32_e32 v13, v14, v13
	s_delay_alu instid0(VALU_DEP_2) | instskip(SKIP_1) | instid1(VALU_DEP_2)
	v_cndmask_b32_e64 v1, v26, v1, s5
	v_cmp_class_f32_e64 s5, v16, 0x1f8
	v_xor3_b32 v1, v25, v1, v16
	s_delay_alu instid0(VALU_DEP_2) | instskip(NEXT) | instid1(VALU_DEP_2)
	v_cndmask_b32_e64 v13, 0x7fc00000, v13, s5
	v_cndmask_b32_e64 v14, 0x7fc00000, v1, s5
.LBB139_97:                             ;   in Loop: Header=BB139_4 Depth=1
	s_or_b32 exec_lo, exec_lo, s28
                                        ; implicit-def: $vgpr15
.LBB139_98:                             ;   in Loop: Header=BB139_4 Depth=1
	s_and_not1_saveexec_b32 s6, s27
	s_cbranch_execz .LBB139_100
; %bb.99:                               ;   in Loop: Header=BB139_4 Depth=1
	v_mul_f32_e32 v1, 0x3fb8aa3b, v15
	v_cmp_ngt_f32_e64 s5, 0xc2ce8ed0, v15
	s_delay_alu instid0(VALU_DEP_2) | instskip(SKIP_1) | instid1(VALU_DEP_1)
	v_rndne_f32_e32 v13, v1
	v_fma_f32 v14, 0x3fb8aa3b, v15, -v1
	v_dual_sub_f32 v1, v1, v13 :: v_dual_fmac_f32 v14, 0x32a5705f, v15
	v_cvt_i32_f32_e32 v13, v13
	s_delay_alu instid0(VALU_DEP_2) | instskip(NEXT) | instid1(VALU_DEP_1)
	v_dual_add_f32 v1, v1, v14 :: v_dual_mov_b32 v14, v16
	v_exp_f32_e32 v1, v1
	s_waitcnt_depctr 0xfff
	v_ldexp_f32 v1, v1, v13
	s_delay_alu instid0(VALU_DEP_1) | instskip(SKIP_1) | instid1(VALU_DEP_1)
	v_cndmask_b32_e64 v1, 0, v1, s5
	v_cmp_nlt_f32_e64 s5, 0x42b17218, v15
	v_cndmask_b32_e64 v13, 0x7f800000, v1, s5
.LBB139_100:                            ;   in Loop: Header=BB139_4 Depth=1
	s_or_b32 exec_lo, exec_lo, s6
	v_and_b32_e32 v25, 0x7fffffff, v12
                                        ; implicit-def: $vgpr16
	s_mov_b32 s6, exec_lo
	s_delay_alu instid0(VALU_DEP_1)
	v_cmpx_ne_u32_e32 0, v25
	s_xor_b32 s27, exec_lo, s6
	s_cbranch_execz .LBB139_142
; %bb.101:                              ;   in Loop: Header=BB139_4 Depth=1
	v_and_b32_e32 v1, 0x7fffffff, v11
                                        ; implicit-def: $vgpr16
	s_mov_b32 s6, exec_lo
	s_delay_alu instid0(VALU_DEP_1)
	v_cmpx_ne_u32_e32 0, v1
	s_xor_b32 s28, exec_lo, s6
	s_cbranch_execz .LBB139_131
; %bb.102:                              ;   in Loop: Header=BB139_4 Depth=1
                                        ; implicit-def: $vgpr16
	s_mov_b32 s6, exec_lo
	v_cmpx_gt_u32_e32 0x7f800000, v25
	s_xor_b32 s29, exec_lo, s6
	s_cbranch_execz .LBB139_124
; %bb.103:                              ;   in Loop: Header=BB139_4 Depth=1
	v_add_nc_u32_e32 v1, 0xbd4e8de8, v11
                                        ; implicit-def: $vgpr16
	s_mov_b32 s6, exec_lo
	s_delay_alu instid0(VALU_DEP_1)
	v_cmpx_lt_u32_e32 0x8e8e5c, v1
	s_xor_b32 s30, exec_lo, s6
	s_cbranch_execz .LBB139_113
; %bb.104:                              ;   in Loop: Header=BB139_4 Depth=1
	v_cmp_ngt_f32_e64 s31, 0x48000000, |v12|
                                        ; implicit-def: $vgpr16
                                        ; implicit-def: $vgpr15
	s_delay_alu instid0(VALU_DEP_1) | instskip(NEXT) | instid1(SALU_CYCLE_1)
	s_and_saveexec_b32 s5, s31
	s_xor_b32 s33, exec_lo, s5
	s_cbranch_execz .LBB139_106
; %bb.105:                              ;   in Loop: Header=BB139_4 Depth=1
	v_and_or_b32 v33, v25, s23, 0x800000
	s_delay_alu instid0(VALU_DEP_1) | instskip(NEXT) | instid1(VALU_DEP_1)
	v_mad_u64_u32 v[15:16], null, 0xfe5163ab, v33, 0
	v_mov_b32_e32 v1, v16
	v_lshrrev_b32_e32 v16, 23, v25
	s_delay_alu instid0(VALU_DEP_1) | instskip(NEXT) | instid1(VALU_DEP_3)
	v_add_nc_u32_e32 v16, 0xffffff88, v16
	v_mad_u64_u32 v[26:27], null, 0x3c439041, v33, v[1:2]
	s_delay_alu instid0(VALU_DEP_2) | instskip(NEXT) | instid1(VALU_DEP_1)
	v_cmp_lt_u32_e64 s5, 63, v16
	v_cndmask_b32_e64 v31, 0, 0xffffffc0, s5
	s_delay_alu instid0(VALU_DEP_1) | instskip(NEXT) | instid1(VALU_DEP_1)
	v_add_nc_u32_e32 v16, v31, v16
	v_cmp_lt_u32_e64 s6, 31, v16
	s_delay_alu instid0(VALU_DEP_1) | instskip(NEXT) | instid1(VALU_DEP_1)
	v_cndmask_b32_e64 v32, 0, 0xffffffe0, s6
	v_dual_mov_b32 v1, v27 :: v_dual_add_nc_u32 v16, v32, v16
	s_delay_alu instid0(VALU_DEP_1) | instskip(NEXT) | instid1(VALU_DEP_2)
	v_mad_u64_u32 v[27:28], null, 0xdb629599, v33, v[1:2]
	v_cmp_lt_u32_e64 s7, 31, v16
	s_delay_alu instid0(VALU_DEP_2) | instskip(NEXT) | instid1(VALU_DEP_3)
	v_mov_b32_e32 v1, v28
	v_cndmask_b32_e64 v15, v27, v15, s5
	s_delay_alu instid0(VALU_DEP_2) | instskip(NEXT) | instid1(VALU_DEP_1)
	v_mad_u64_u32 v[28:29], null, 0xf534ddc0, v33, v[1:2]
	v_mov_b32_e32 v1, v29
	s_delay_alu instid0(VALU_DEP_1) | instskip(NEXT) | instid1(VALU_DEP_1)
	v_mad_u64_u32 v[29:30], null, 0xfc2757d1, v33, v[1:2]
	v_mov_b32_e32 v1, v30
	s_delay_alu instid0(VALU_DEP_1) | instskip(NEXT) | instid1(VALU_DEP_1)
	v_mad_u64_u32 v[30:31], null, 0x4e441529, v33, v[1:2]
	v_mov_b32_e32 v1, v31
	s_delay_alu instid0(VALU_DEP_1) | instskip(SKIP_1) | instid1(VALU_DEP_4)
	v_mad_u64_u32 v[31:32], null, 0xa2f9836e, v33, v[1:2]
	v_cndmask_b32_e64 v1, 0, 0xffffffe0, s7
	v_cndmask_b32_e64 v33, v30, v28, s5
	s_delay_alu instid0(VALU_DEP_2) | instskip(NEXT) | instid1(VALU_DEP_4)
	v_add_nc_u32_e32 v1, v1, v16
	v_cndmask_b32_e64 v31, v31, v29, s5
	v_cndmask_b32_e64 v30, v32, v30, s5
	;; [unrolled: 1-line block ×4, first 2 shown]
	v_cmp_eq_u32_e64 s8, 0, v1
	v_cndmask_b32_e64 v26, v31, v33, s6
	v_cndmask_b32_e64 v28, v30, v31, s6
	;; [unrolled: 1-line block ×3, first 2 shown]
	v_sub_nc_u32_e32 v31, 32, v1
	v_cndmask_b32_e64 v29, v29, v16, s6
	v_cndmask_b32_e64 v15, v16, v15, s6
	;; [unrolled: 1-line block ×4, first 2 shown]
	s_delay_alu instid0(VALU_DEP_4) | instskip(NEXT) | instid1(VALU_DEP_4)
	v_cndmask_b32_e64 v30, v30, v29, s7
	v_cndmask_b32_e64 v15, v29, v15, s7
	s_delay_alu instid0(VALU_DEP_3) | instskip(NEXT) | instid1(VALU_DEP_3)
	v_alignbit_b32 v32, v28, v26, v31
	v_alignbit_b32 v33, v26, v30, v31
	s_delay_alu instid0(VALU_DEP_3) | instskip(NEXT) | instid1(VALU_DEP_3)
	v_alignbit_b32 v31, v30, v15, v31
	v_cndmask_b32_e64 v1, v32, v28, s8
	s_delay_alu instid0(VALU_DEP_3) | instskip(NEXT) | instid1(VALU_DEP_3)
	v_cndmask_b32_e64 v26, v33, v26, s8
	v_cndmask_b32_e64 v30, v31, v30, s8
	s_delay_alu instid0(VALU_DEP_3) | instskip(NEXT) | instid1(VALU_DEP_3)
	v_bfe_u32 v27, v1, 29, 1
	v_alignbit_b32 v16, v1, v26, 30
	s_delay_alu instid0(VALU_DEP_3) | instskip(SKIP_1) | instid1(VALU_DEP_4)
	v_alignbit_b32 v26, v26, v30, 30
	v_alignbit_b32 v15, v30, v15, 30
	v_sub_nc_u32_e32 v28, 0, v27
	s_delay_alu instid0(VALU_DEP_1) | instskip(SKIP_3) | instid1(VALU_DEP_4)
	v_xor_b32_e32 v29, v16, v28
	v_cmp_ne_u32_e64 s5, v16, v28
	v_xor_b32_e32 v26, v26, v28
	v_xor_b32_e32 v15, v15, v28
	v_clz_i32_u32_e32 v32, v29
	s_delay_alu instid0(VALU_DEP_1) | instskip(NEXT) | instid1(VALU_DEP_1)
	v_add_nc_u32_e32 v31, 1, v32
	v_cndmask_b32_e64 v16, 33, v31, s5
	s_delay_alu instid0(VALU_DEP_1) | instskip(NEXT) | instid1(VALU_DEP_1)
	v_sub_nc_u32_e32 v30, 32, v16
	v_alignbit_b32 v28, v29, v26, v30
	v_alignbit_b32 v15, v26, v15, v30
	v_lshrrev_b32_e32 v26, 29, v1
	v_lshrrev_b32_e32 v1, 30, v1
	s_delay_alu instid0(VALU_DEP_3) | instskip(NEXT) | instid1(VALU_DEP_3)
	v_alignbit_b32 v29, v28, v15, 9
	v_lshlrev_b32_e32 v26, 31, v26
	v_alignbit_b32 v28, v16, v28, 9
	s_delay_alu instid0(VALU_DEP_3) | instskip(NEXT) | instid1(VALU_DEP_2)
	v_clz_i32_u32_e32 v30, v29
	v_or_b32_e32 v28, v28, v26
	v_or_b32_e32 v26, 0x33800000, v26
	s_delay_alu instid0(VALU_DEP_3) | instskip(NEXT) | instid1(VALU_DEP_3)
	v_min_u32_e32 v30, 32, v30
	v_xor_b32_e32 v28, 1.0, v28
	s_delay_alu instid0(VALU_DEP_2) | instskip(SKIP_1) | instid1(VALU_DEP_3)
	v_sub_nc_u32_e32 v31, 31, v30
	v_add_lshl_u32 v16, v30, v16, 23
	v_mul_f32_e32 v30, 0x3fc90fda, v28
	s_delay_alu instid0(VALU_DEP_3) | instskip(NEXT) | instid1(VALU_DEP_3)
	v_alignbit_b32 v15, v29, v15, v31
	v_sub_nc_u32_e32 v16, v26, v16
	s_delay_alu instid0(VALU_DEP_3) | instskip(NEXT) | instid1(VALU_DEP_3)
	v_fma_f32 v26, 0x3fc90fda, v28, -v30
	v_lshrrev_b32_e32 v15, 9, v15
	s_delay_alu instid0(VALU_DEP_2) | instskip(NEXT) | instid1(VALU_DEP_2)
	v_fmac_f32_e32 v26, 0x33a22168, v28
	v_or_b32_e32 v15, v16, v15
	v_add_nc_u32_e32 v16, v27, v1
	s_delay_alu instid0(VALU_DEP_2) | instskip(NEXT) | instid1(VALU_DEP_1)
	v_fmac_f32_e32 v26, 0x3fc90fda, v15
	v_add_f32_e32 v15, v30, v26
	s_and_not1_saveexec_b32 s5, s33
	s_branch .LBB139_107
.LBB139_106:                            ;   in Loop: Header=BB139_4 Depth=1
	s_and_not1_saveexec_b32 s5, s33
.LBB139_107:                            ;   in Loop: Header=BB139_4 Depth=1
	v_mul_f32_e64 v1, 0x3f22f983, |v12|
	s_delay_alu instid0(VALU_DEP_1) | instskip(NEXT) | instid1(VALU_DEP_1)
	v_rndne_f32_e32 v1, v1
	v_fma_f32 v15, 0xbfc90fda, v1, |v12|
	v_cvt_i32_f32_e32 v16, v1
	s_delay_alu instid0(VALU_DEP_2) | instskip(NEXT) | instid1(VALU_DEP_1)
	v_fmac_f32_e32 v15, 0xb3a22168, v1
	v_fmac_f32_e32 v15, 0xa7c234c4, v1
; %bb.108:                              ;   in Loop: Header=BB139_4 Depth=1
	s_or_b32 exec_lo, exec_lo, s5
                                        ; implicit-def: $vgpr26
                                        ; implicit-def: $vgpr1
	s_and_saveexec_b32 s5, s31
	s_delay_alu instid0(SALU_CYCLE_1)
	s_xor_b32 s31, exec_lo, s5
	s_cbranch_execz .LBB139_110
; %bb.109:                              ;   in Loop: Header=BB139_4 Depth=1
	v_and_or_b32 v34, v25, s23, 0x800000
	v_lshrrev_b32_e32 v31, 23, v25
	s_delay_alu instid0(VALU_DEP_2) | instskip(NEXT) | instid1(VALU_DEP_2)
	v_mad_u64_u32 v[26:27], null, 0xfe5163ab, v34, 0
	v_add_nc_u32_e32 v32, 0xffffff88, v31
	s_delay_alu instid0(VALU_DEP_1) | instskip(NEXT) | instid1(VALU_DEP_3)
	v_cmp_lt_u32_e64 s5, 63, v32
	v_mov_b32_e32 v1, v27
	s_delay_alu instid0(VALU_DEP_2) | instskip(NEXT) | instid1(VALU_DEP_2)
	v_cndmask_b32_e64 v33, 0, 0xffffffc0, s5
	v_mad_u64_u32 v[27:28], null, 0x3c439041, v34, v[1:2]
	s_delay_alu instid0(VALU_DEP_2) | instskip(NEXT) | instid1(VALU_DEP_2)
	v_add_nc_u32_e32 v33, v33, v32
	v_mov_b32_e32 v1, v28
	s_delay_alu instid0(VALU_DEP_2) | instskip(NEXT) | instid1(VALU_DEP_2)
	v_cmp_lt_u32_e64 s6, 31, v33
	v_mad_u64_u32 v[28:29], null, 0xdb629599, v34, v[1:2]
	s_delay_alu instid0(VALU_DEP_2) | instskip(NEXT) | instid1(VALU_DEP_1)
	v_cndmask_b32_e64 v35, 0, 0xffffffe0, s6
	v_add_nc_u32_e32 v35, v35, v33
	s_delay_alu instid0(VALU_DEP_3) | instskip(NEXT) | instid1(VALU_DEP_4)
	v_mov_b32_e32 v1, v29
	v_cndmask_b32_e64 v26, v28, v26, s5
	s_delay_alu instid0(VALU_DEP_3) | instskip(NEXT) | instid1(VALU_DEP_3)
	v_cmp_lt_u32_e64 s7, 31, v35
	v_mad_u64_u32 v[29:30], null, 0xf534ddc0, v34, v[1:2]
	s_delay_alu instid0(VALU_DEP_1) | instskip(NEXT) | instid1(VALU_DEP_2)
	v_mov_b32_e32 v1, v30
	v_cndmask_b32_e64 v27, v29, v27, s5
	s_delay_alu instid0(VALU_DEP_2) | instskip(NEXT) | instid1(VALU_DEP_2)
	v_mad_u64_u32 v[30:31], null, 0xfc2757d1, v34, v[1:2]
	v_cndmask_b32_e64 v26, v27, v26, s6
	s_delay_alu instid0(VALU_DEP_2) | instskip(NEXT) | instid1(VALU_DEP_1)
	v_mov_b32_e32 v1, v31
	v_mad_u64_u32 v[31:32], null, 0x4e441529, v34, v[1:2]
	s_delay_alu instid0(VALU_DEP_1) | instskip(NEXT) | instid1(VALU_DEP_1)
	v_mov_b32_e32 v1, v32
	v_mad_u64_u32 v[32:33], null, 0xa2f9836e, v34, v[1:2]
	v_cndmask_b32_e64 v1, 0, 0xffffffe0, s7
	s_delay_alu instid0(VALU_DEP_4) | instskip(NEXT) | instid1(VALU_DEP_2)
	v_cndmask_b32_e64 v34, v31, v29, s5
	v_add_nc_u32_e32 v1, v1, v35
	s_delay_alu instid0(VALU_DEP_4) | instskip(SKIP_2) | instid1(VALU_DEP_4)
	v_cndmask_b32_e64 v32, v32, v30, s5
	v_cndmask_b32_e64 v31, v33, v31, s5
	;; [unrolled: 1-line block ×3, first 2 shown]
	v_sub_nc_u32_e32 v33, 32, v1
	s_delay_alu instid0(VALU_DEP_4) | instskip(NEXT) | instid1(VALU_DEP_4)
	v_cndmask_b32_e64 v29, v32, v34, s6
	v_cndmask_b32_e64 v31, v31, v32, s6
	s_delay_alu instid0(VALU_DEP_4) | instskip(SKIP_2) | instid1(VALU_DEP_4)
	v_cndmask_b32_e64 v32, v34, v30, s6
	v_cndmask_b32_e64 v30, v30, v27, s6
	v_cmp_eq_u32_e64 s8, 0, v1
	v_cndmask_b32_e64 v31, v31, v29, s7
	s_delay_alu instid0(VALU_DEP_4) | instskip(NEXT) | instid1(VALU_DEP_4)
	v_cndmask_b32_e64 v29, v29, v32, s7
	v_cndmask_b32_e64 v32, v32, v30, s7
	;; [unrolled: 1-line block ×3, first 2 shown]
	s_delay_alu instid0(VALU_DEP_3) | instskip(NEXT) | instid1(VALU_DEP_3)
	v_alignbit_b32 v34, v31, v29, v33
	v_alignbit_b32 v35, v29, v32, v33
	s_delay_alu instid0(VALU_DEP_3) | instskip(NEXT) | instid1(VALU_DEP_3)
	v_alignbit_b32 v33, v32, v26, v33
	v_cndmask_b32_e64 v1, v34, v31, s8
	s_delay_alu instid0(VALU_DEP_3) | instskip(NEXT) | instid1(VALU_DEP_3)
	v_cndmask_b32_e64 v28, v35, v29, s8
	v_cndmask_b32_e64 v32, v33, v32, s8
	s_delay_alu instid0(VALU_DEP_3) | instskip(NEXT) | instid1(VALU_DEP_3)
	v_bfe_u32 v29, v1, 29, 1
	v_alignbit_b32 v27, v1, v28, 30
	s_delay_alu instid0(VALU_DEP_3) | instskip(SKIP_1) | instid1(VALU_DEP_4)
	v_alignbit_b32 v28, v28, v32, 30
	v_alignbit_b32 v26, v32, v26, 30
	v_sub_nc_u32_e32 v31, 0, v29
	s_delay_alu instid0(VALU_DEP_1) | instskip(SKIP_3) | instid1(VALU_DEP_4)
	v_xor_b32_e32 v30, v27, v31
	v_cmp_ne_u32_e64 s5, v27, v31
	v_xor_b32_e32 v28, v28, v31
	v_xor_b32_e32 v26, v26, v31
	v_clz_i32_u32_e32 v34, v30
	s_delay_alu instid0(VALU_DEP_1) | instskip(NEXT) | instid1(VALU_DEP_1)
	v_add_nc_u32_e32 v33, 1, v34
	v_cndmask_b32_e64 v27, 33, v33, s5
	s_delay_alu instid0(VALU_DEP_1) | instskip(NEXT) | instid1(VALU_DEP_1)
	v_sub_nc_u32_e32 v32, 32, v27
	v_alignbit_b32 v30, v30, v28, v32
	v_alignbit_b32 v26, v28, v26, v32
	v_lshrrev_b32_e32 v28, 29, v1
	s_delay_alu instid0(VALU_DEP_2) | instskip(NEXT) | instid1(VALU_DEP_2)
	v_alignbit_b32 v31, v30, v26, 9
	v_lshlrev_b32_e32 v28, 31, v28
	v_alignbit_b32 v30, v27, v30, 9
	s_delay_alu instid0(VALU_DEP_3) | instskip(NEXT) | instid1(VALU_DEP_2)
	v_clz_i32_u32_e32 v32, v31
	v_or_b32_e32 v30, v30, v28
	v_or_b32_e32 v28, 0x33800000, v28
	s_delay_alu instid0(VALU_DEP_3) | instskip(NEXT) | instid1(VALU_DEP_3)
	v_min_u32_e32 v32, 32, v32
	v_xor_b32_e32 v30, 1.0, v30
	s_delay_alu instid0(VALU_DEP_2) | instskip(SKIP_1) | instid1(VALU_DEP_3)
	v_sub_nc_u32_e32 v33, 31, v32
	v_add_lshl_u32 v27, v32, v27, 23
	v_mul_f32_e32 v32, 0x3fc90fda, v30
	s_delay_alu instid0(VALU_DEP_3) | instskip(NEXT) | instid1(VALU_DEP_3)
	v_alignbit_b32 v26, v31, v26, v33
	v_sub_nc_u32_e32 v27, v28, v27
	s_delay_alu instid0(VALU_DEP_3) | instskip(NEXT) | instid1(VALU_DEP_3)
	v_fma_f32 v28, 0x3fc90fda, v30, -v32
	v_lshrrev_b32_e32 v26, 9, v26
	s_delay_alu instid0(VALU_DEP_2) | instskip(NEXT) | instid1(VALU_DEP_2)
	v_fmac_f32_e32 v28, 0x33a22168, v30
	v_or_b32_e32 v26, v27, v26
	s_delay_alu instid0(VALU_DEP_1) | instskip(SKIP_1) | instid1(VALU_DEP_1)
	v_fmac_f32_e32 v28, 0x3fc90fda, v26
	v_lshrrev_b32_e32 v26, 30, v1
	v_dual_add_f32 v1, v32, v28 :: v_dual_add_nc_u32 v26, v29, v26
	s_and_not1_saveexec_b32 s5, s31
	s_cbranch_execnz .LBB139_111
	s_branch .LBB139_112
.LBB139_110:                            ;   in Loop: Header=BB139_4 Depth=1
	s_and_not1_saveexec_b32 s5, s31
.LBB139_111:                            ;   in Loop: Header=BB139_4 Depth=1
	v_mul_f32_e64 v1, 0x3f22f983, |v12|
	s_delay_alu instid0(VALU_DEP_1) | instskip(NEXT) | instid1(VALU_DEP_1)
	v_rndne_f32_e32 v26, v1
	v_fma_f32 v1, 0xbfc90fda, v26, |v12|
	s_delay_alu instid0(VALU_DEP_1) | instskip(NEXT) | instid1(VALU_DEP_1)
	v_fmac_f32_e32 v1, 0xb3a22168, v26
	v_fmac_f32_e32 v1, 0xa7c234c4, v26
	v_cvt_i32_f32_e32 v26, v26
.LBB139_112:                            ;   in Loop: Header=BB139_4 Depth=1
	s_or_b32 exec_lo, exec_lo, s5
	v_mul_f32_e32 v27, 0x3fb8aa3b, v11
	v_dual_mul_f32 v28, v15, v15 :: v_dual_and_b32 v29, 1, v16
	v_lshlrev_b32_e32 v16, 30, v16
	v_dual_mul_f32 v32, v1, v1 :: v_dual_and_b32 v33, 1, v26
	s_delay_alu instid0(VALU_DEP_4) | instskip(SKIP_2) | instid1(VALU_DEP_3)
	v_rndne_f32_e32 v30, v27
	v_fma_f32 v31, 0x3fb8aa3b, v11, -v27
	v_dual_fmaak_f32 v35, s25, v28, 0xbab64f3b :: v_dual_lshlrev_b32 v26, 30, v26
	v_dual_fmaak_f32 v34, s24, v28, 0x3c0881c4 :: v_dual_sub_f32 v27, v27, v30
	s_delay_alu instid0(VALU_DEP_3)
	v_fmac_f32_e32 v31, 0x32a5705f, v11
	v_fmaak_f32 v36, s24, v32, 0x3c0881c4
	v_fmaak_f32 v37, s25, v32, 0xbab64f3b
	v_cmp_eq_u32_e64 s5, 0, v29
	v_cvt_i32_f32_e32 v30, v30
	v_add_f32_e32 v27, v27, v31
	v_fmaak_f32 v31, v28, v34, 0xbe2aaa9d
	v_fmaak_f32 v34, v28, v35, 0x3d2aabf7
	;; [unrolled: 1-line block ×3, first 2 shown]
	v_and_b32_e32 v16, 0x80000000, v16
	v_exp_f32_e32 v27, v27
	v_mul_f32_e32 v31, v28, v31
	v_fmaak_f32 v36, v32, v37, 0x3d2aabf7
	v_mul_f32_e32 v35, v32, v35
	v_fmaak_f32 v34, v28, v34, 0xbf000004
	v_and_or_b32 v25, 0x80000000, v26, v25
	s_delay_alu instid0(VALU_DEP_4) | instskip(NEXT) | instid1(VALU_DEP_4)
	v_dual_fmac_f32 v15, v15, v31 :: v_dual_fmaak_f32 v36, v32, v36, 0xbf000004
	v_fmac_f32_e32 v1, v1, v35
	s_delay_alu instid0(VALU_DEP_4) | instskip(NEXT) | instid1(TRANS32_DEP_1)
	v_fma_f32 v28, v28, v34, 1.0
	v_ldexp_f32 v27, v27, v30
	v_cmp_nlt_f32_e64 s6, 0x42b17218, v11
	v_fma_f32 v31, v32, v36, 1.0
	s_delay_alu instid0(VALU_DEP_4) | instskip(SKIP_1) | instid1(VALU_DEP_2)
	v_cndmask_b32_e64 v15, -v15, v28, s5
	v_cmp_eq_u32_e64 s5, 0, v33
	v_xor_b32_e32 v15, v16, v15
	s_delay_alu instid0(VALU_DEP_2) | instskip(SKIP_1) | instid1(VALU_DEP_2)
	v_cndmask_b32_e64 v1, v31, v1, s5
	v_cmp_ngt_f32_e64 s5, 0xc2ce8ed0, v11
	v_xor3_b32 v1, v25, v1, v12
	s_delay_alu instid0(VALU_DEP_2) | instskip(SKIP_1) | instid1(VALU_DEP_2)
	v_cndmask_b32_e64 v26, 0, v27, s5
	v_cmp_class_f32_e64 s5, v12, 0x1f8
                                        ; implicit-def: $vgpr25
	v_cndmask_b32_e64 v11, 0x7f800000, v26, s6
	s_delay_alu instid0(VALU_DEP_2) | instskip(SKIP_1) | instid1(VALU_DEP_2)
	v_cndmask_b32_e64 v12, 0x7fc00000, v15, s5
	v_cndmask_b32_e64 v1, 0x7fc00000, v1, s5
	v_mul_f32_e32 v15, v11, v12
	s_delay_alu instid0(VALU_DEP_2)
	v_mul_f32_e32 v16, v11, v1
                                        ; implicit-def: $vgpr12
.LBB139_113:                            ;   in Loop: Header=BB139_4 Depth=1
	s_and_not1_saveexec_b32 s30, s30
	s_cbranch_execz .LBB139_123
; %bb.114:                              ;   in Loop: Header=BB139_4 Depth=1
	v_cmp_ngt_f32_e64 s31, 0x48000000, |v12|
                                        ; implicit-def: $vgpr16
                                        ; implicit-def: $vgpr15
	s_delay_alu instid0(VALU_DEP_1) | instskip(NEXT) | instid1(SALU_CYCLE_1)
	s_and_saveexec_b32 s5, s31
	s_xor_b32 s33, exec_lo, s5
	s_cbranch_execz .LBB139_116
; %bb.115:                              ;   in Loop: Header=BB139_4 Depth=1
	v_and_or_b32 v33, v25, s23, 0x800000
	s_delay_alu instid0(VALU_DEP_1) | instskip(NEXT) | instid1(VALU_DEP_1)
	v_mad_u64_u32 v[15:16], null, 0xfe5163ab, v33, 0
	v_mov_b32_e32 v1, v16
	v_lshrrev_b32_e32 v16, 23, v25
	s_delay_alu instid0(VALU_DEP_1) | instskip(NEXT) | instid1(VALU_DEP_3)
	v_add_nc_u32_e32 v16, 0xffffff88, v16
	v_mad_u64_u32 v[26:27], null, 0x3c439041, v33, v[1:2]
	s_delay_alu instid0(VALU_DEP_2) | instskip(NEXT) | instid1(VALU_DEP_1)
	v_cmp_lt_u32_e64 s5, 63, v16
	v_cndmask_b32_e64 v31, 0, 0xffffffc0, s5
	s_delay_alu instid0(VALU_DEP_1) | instskip(NEXT) | instid1(VALU_DEP_1)
	v_add_nc_u32_e32 v16, v31, v16
	v_cmp_lt_u32_e64 s6, 31, v16
	s_delay_alu instid0(VALU_DEP_1) | instskip(NEXT) | instid1(VALU_DEP_1)
	v_cndmask_b32_e64 v32, 0, 0xffffffe0, s6
	v_dual_mov_b32 v1, v27 :: v_dual_add_nc_u32 v16, v32, v16
	s_delay_alu instid0(VALU_DEP_1) | instskip(NEXT) | instid1(VALU_DEP_2)
	v_mad_u64_u32 v[27:28], null, 0xdb629599, v33, v[1:2]
	v_cmp_lt_u32_e64 s7, 31, v16
	s_delay_alu instid0(VALU_DEP_2) | instskip(NEXT) | instid1(VALU_DEP_3)
	v_mov_b32_e32 v1, v28
	v_cndmask_b32_e64 v15, v27, v15, s5
	s_delay_alu instid0(VALU_DEP_2) | instskip(NEXT) | instid1(VALU_DEP_1)
	v_mad_u64_u32 v[28:29], null, 0xf534ddc0, v33, v[1:2]
	v_mov_b32_e32 v1, v29
	s_delay_alu instid0(VALU_DEP_1) | instskip(NEXT) | instid1(VALU_DEP_1)
	v_mad_u64_u32 v[29:30], null, 0xfc2757d1, v33, v[1:2]
	v_mov_b32_e32 v1, v30
	s_delay_alu instid0(VALU_DEP_1) | instskip(NEXT) | instid1(VALU_DEP_1)
	v_mad_u64_u32 v[30:31], null, 0x4e441529, v33, v[1:2]
	v_mov_b32_e32 v1, v31
	s_delay_alu instid0(VALU_DEP_1) | instskip(SKIP_1) | instid1(VALU_DEP_4)
	v_mad_u64_u32 v[31:32], null, 0xa2f9836e, v33, v[1:2]
	v_cndmask_b32_e64 v1, 0, 0xffffffe0, s7
	v_cndmask_b32_e64 v33, v30, v28, s5
	s_delay_alu instid0(VALU_DEP_2) | instskip(NEXT) | instid1(VALU_DEP_4)
	v_add_nc_u32_e32 v1, v1, v16
	v_cndmask_b32_e64 v31, v31, v29, s5
	v_cndmask_b32_e64 v30, v32, v30, s5
	;; [unrolled: 1-line block ×4, first 2 shown]
	v_cmp_eq_u32_e64 s8, 0, v1
	v_cndmask_b32_e64 v26, v31, v33, s6
	v_cndmask_b32_e64 v28, v30, v31, s6
	;; [unrolled: 1-line block ×3, first 2 shown]
	v_sub_nc_u32_e32 v31, 32, v1
	v_cndmask_b32_e64 v29, v29, v16, s6
	v_cndmask_b32_e64 v15, v16, v15, s6
	;; [unrolled: 1-line block ×4, first 2 shown]
	s_delay_alu instid0(VALU_DEP_4) | instskip(NEXT) | instid1(VALU_DEP_4)
	v_cndmask_b32_e64 v30, v30, v29, s7
	v_cndmask_b32_e64 v15, v29, v15, s7
	s_delay_alu instid0(VALU_DEP_3) | instskip(NEXT) | instid1(VALU_DEP_3)
	v_alignbit_b32 v32, v28, v26, v31
	v_alignbit_b32 v33, v26, v30, v31
	s_delay_alu instid0(VALU_DEP_3) | instskip(NEXT) | instid1(VALU_DEP_3)
	v_alignbit_b32 v31, v30, v15, v31
	v_cndmask_b32_e64 v1, v32, v28, s8
	s_delay_alu instid0(VALU_DEP_3) | instskip(NEXT) | instid1(VALU_DEP_3)
	v_cndmask_b32_e64 v26, v33, v26, s8
	v_cndmask_b32_e64 v30, v31, v30, s8
	s_delay_alu instid0(VALU_DEP_3) | instskip(NEXT) | instid1(VALU_DEP_3)
	v_bfe_u32 v27, v1, 29, 1
	v_alignbit_b32 v16, v1, v26, 30
	s_delay_alu instid0(VALU_DEP_3) | instskip(SKIP_1) | instid1(VALU_DEP_4)
	v_alignbit_b32 v26, v26, v30, 30
	v_alignbit_b32 v15, v30, v15, 30
	v_sub_nc_u32_e32 v28, 0, v27
	s_delay_alu instid0(VALU_DEP_1) | instskip(SKIP_3) | instid1(VALU_DEP_4)
	v_xor_b32_e32 v29, v16, v28
	v_cmp_ne_u32_e64 s5, v16, v28
	v_xor_b32_e32 v26, v26, v28
	v_xor_b32_e32 v15, v15, v28
	v_clz_i32_u32_e32 v32, v29
	s_delay_alu instid0(VALU_DEP_1) | instskip(NEXT) | instid1(VALU_DEP_1)
	v_add_nc_u32_e32 v31, 1, v32
	v_cndmask_b32_e64 v16, 33, v31, s5
	s_delay_alu instid0(VALU_DEP_1) | instskip(NEXT) | instid1(VALU_DEP_1)
	v_sub_nc_u32_e32 v30, 32, v16
	v_alignbit_b32 v28, v29, v26, v30
	v_alignbit_b32 v15, v26, v15, v30
	v_lshrrev_b32_e32 v26, 29, v1
	v_lshrrev_b32_e32 v1, 30, v1
	s_delay_alu instid0(VALU_DEP_3) | instskip(NEXT) | instid1(VALU_DEP_3)
	v_alignbit_b32 v29, v28, v15, 9
	v_lshlrev_b32_e32 v26, 31, v26
	v_alignbit_b32 v28, v16, v28, 9
	s_delay_alu instid0(VALU_DEP_3) | instskip(NEXT) | instid1(VALU_DEP_2)
	v_clz_i32_u32_e32 v30, v29
	v_or_b32_e32 v28, v28, v26
	v_or_b32_e32 v26, 0x33800000, v26
	s_delay_alu instid0(VALU_DEP_3) | instskip(NEXT) | instid1(VALU_DEP_3)
	v_min_u32_e32 v30, 32, v30
	v_xor_b32_e32 v28, 1.0, v28
	s_delay_alu instid0(VALU_DEP_2) | instskip(SKIP_1) | instid1(VALU_DEP_3)
	v_sub_nc_u32_e32 v31, 31, v30
	v_add_lshl_u32 v16, v30, v16, 23
	v_mul_f32_e32 v30, 0x3fc90fda, v28
	s_delay_alu instid0(VALU_DEP_3) | instskip(NEXT) | instid1(VALU_DEP_3)
	v_alignbit_b32 v15, v29, v15, v31
	v_sub_nc_u32_e32 v16, v26, v16
	s_delay_alu instid0(VALU_DEP_3) | instskip(NEXT) | instid1(VALU_DEP_3)
	v_fma_f32 v26, 0x3fc90fda, v28, -v30
	v_lshrrev_b32_e32 v15, 9, v15
	s_delay_alu instid0(VALU_DEP_2) | instskip(NEXT) | instid1(VALU_DEP_2)
	v_fmac_f32_e32 v26, 0x33a22168, v28
	v_or_b32_e32 v15, v16, v15
	v_add_nc_u32_e32 v16, v27, v1
	s_delay_alu instid0(VALU_DEP_2) | instskip(NEXT) | instid1(VALU_DEP_1)
	v_fmac_f32_e32 v26, 0x3fc90fda, v15
	v_add_f32_e32 v15, v30, v26
	s_and_not1_saveexec_b32 s5, s33
	s_branch .LBB139_117
.LBB139_116:                            ;   in Loop: Header=BB139_4 Depth=1
	s_and_not1_saveexec_b32 s5, s33
.LBB139_117:                            ;   in Loop: Header=BB139_4 Depth=1
	v_mul_f32_e64 v1, 0x3f22f983, |v12|
	s_delay_alu instid0(VALU_DEP_1) | instskip(NEXT) | instid1(VALU_DEP_1)
	v_rndne_f32_e32 v1, v1
	v_fma_f32 v15, 0xbfc90fda, v1, |v12|
	v_cvt_i32_f32_e32 v16, v1
	s_delay_alu instid0(VALU_DEP_2) | instskip(NEXT) | instid1(VALU_DEP_1)
	v_fmac_f32_e32 v15, 0xb3a22168, v1
	v_fmac_f32_e32 v15, 0xa7c234c4, v1
; %bb.118:                              ;   in Loop: Header=BB139_4 Depth=1
	s_or_b32 exec_lo, exec_lo, s5
                                        ; implicit-def: $vgpr26
                                        ; implicit-def: $vgpr1
	s_and_saveexec_b32 s5, s31
	s_delay_alu instid0(SALU_CYCLE_1)
	s_xor_b32 s31, exec_lo, s5
	s_cbranch_execz .LBB139_120
; %bb.119:                              ;   in Loop: Header=BB139_4 Depth=1
	v_and_or_b32 v34, v25, s23, 0x800000
	v_lshrrev_b32_e32 v31, 23, v25
	s_delay_alu instid0(VALU_DEP_2) | instskip(NEXT) | instid1(VALU_DEP_2)
	v_mad_u64_u32 v[26:27], null, 0xfe5163ab, v34, 0
	v_add_nc_u32_e32 v32, 0xffffff88, v31
	s_delay_alu instid0(VALU_DEP_1) | instskip(NEXT) | instid1(VALU_DEP_3)
	v_cmp_lt_u32_e64 s5, 63, v32
	v_mov_b32_e32 v1, v27
	s_delay_alu instid0(VALU_DEP_2) | instskip(NEXT) | instid1(VALU_DEP_2)
	v_cndmask_b32_e64 v33, 0, 0xffffffc0, s5
	v_mad_u64_u32 v[27:28], null, 0x3c439041, v34, v[1:2]
	s_delay_alu instid0(VALU_DEP_2) | instskip(NEXT) | instid1(VALU_DEP_2)
	v_add_nc_u32_e32 v33, v33, v32
	v_mov_b32_e32 v1, v28
	s_delay_alu instid0(VALU_DEP_2) | instskip(NEXT) | instid1(VALU_DEP_2)
	v_cmp_lt_u32_e64 s6, 31, v33
	v_mad_u64_u32 v[28:29], null, 0xdb629599, v34, v[1:2]
	s_delay_alu instid0(VALU_DEP_2) | instskip(NEXT) | instid1(VALU_DEP_1)
	v_cndmask_b32_e64 v35, 0, 0xffffffe0, s6
	v_add_nc_u32_e32 v35, v35, v33
	s_delay_alu instid0(VALU_DEP_3) | instskip(NEXT) | instid1(VALU_DEP_4)
	v_mov_b32_e32 v1, v29
	v_cndmask_b32_e64 v26, v28, v26, s5
	s_delay_alu instid0(VALU_DEP_3) | instskip(NEXT) | instid1(VALU_DEP_3)
	v_cmp_lt_u32_e64 s7, 31, v35
	v_mad_u64_u32 v[29:30], null, 0xf534ddc0, v34, v[1:2]
	s_delay_alu instid0(VALU_DEP_1) | instskip(NEXT) | instid1(VALU_DEP_2)
	v_mov_b32_e32 v1, v30
	v_cndmask_b32_e64 v27, v29, v27, s5
	s_delay_alu instid0(VALU_DEP_2) | instskip(NEXT) | instid1(VALU_DEP_2)
	v_mad_u64_u32 v[30:31], null, 0xfc2757d1, v34, v[1:2]
	v_cndmask_b32_e64 v26, v27, v26, s6
	s_delay_alu instid0(VALU_DEP_2) | instskip(NEXT) | instid1(VALU_DEP_1)
	v_mov_b32_e32 v1, v31
	v_mad_u64_u32 v[31:32], null, 0x4e441529, v34, v[1:2]
	s_delay_alu instid0(VALU_DEP_1) | instskip(NEXT) | instid1(VALU_DEP_1)
	v_mov_b32_e32 v1, v32
	v_mad_u64_u32 v[32:33], null, 0xa2f9836e, v34, v[1:2]
	v_cndmask_b32_e64 v1, 0, 0xffffffe0, s7
	s_delay_alu instid0(VALU_DEP_4) | instskip(NEXT) | instid1(VALU_DEP_2)
	v_cndmask_b32_e64 v34, v31, v29, s5
	v_add_nc_u32_e32 v1, v1, v35
	s_delay_alu instid0(VALU_DEP_4) | instskip(SKIP_2) | instid1(VALU_DEP_4)
	v_cndmask_b32_e64 v32, v32, v30, s5
	v_cndmask_b32_e64 v31, v33, v31, s5
	;; [unrolled: 1-line block ×3, first 2 shown]
	v_sub_nc_u32_e32 v33, 32, v1
	s_delay_alu instid0(VALU_DEP_4) | instskip(NEXT) | instid1(VALU_DEP_4)
	v_cndmask_b32_e64 v29, v32, v34, s6
	v_cndmask_b32_e64 v31, v31, v32, s6
	s_delay_alu instid0(VALU_DEP_4) | instskip(SKIP_2) | instid1(VALU_DEP_4)
	v_cndmask_b32_e64 v32, v34, v30, s6
	v_cndmask_b32_e64 v30, v30, v27, s6
	v_cmp_eq_u32_e64 s8, 0, v1
	v_cndmask_b32_e64 v31, v31, v29, s7
	s_delay_alu instid0(VALU_DEP_4) | instskip(NEXT) | instid1(VALU_DEP_4)
	v_cndmask_b32_e64 v29, v29, v32, s7
	v_cndmask_b32_e64 v32, v32, v30, s7
	;; [unrolled: 1-line block ×3, first 2 shown]
	s_delay_alu instid0(VALU_DEP_3) | instskip(NEXT) | instid1(VALU_DEP_3)
	v_alignbit_b32 v34, v31, v29, v33
	v_alignbit_b32 v35, v29, v32, v33
	s_delay_alu instid0(VALU_DEP_3) | instskip(NEXT) | instid1(VALU_DEP_3)
	v_alignbit_b32 v33, v32, v26, v33
	v_cndmask_b32_e64 v1, v34, v31, s8
	s_delay_alu instid0(VALU_DEP_3) | instskip(NEXT) | instid1(VALU_DEP_3)
	v_cndmask_b32_e64 v28, v35, v29, s8
	v_cndmask_b32_e64 v32, v33, v32, s8
	s_delay_alu instid0(VALU_DEP_3) | instskip(NEXT) | instid1(VALU_DEP_3)
	v_bfe_u32 v29, v1, 29, 1
	v_alignbit_b32 v27, v1, v28, 30
	s_delay_alu instid0(VALU_DEP_3) | instskip(SKIP_1) | instid1(VALU_DEP_4)
	v_alignbit_b32 v28, v28, v32, 30
	v_alignbit_b32 v26, v32, v26, 30
	v_sub_nc_u32_e32 v31, 0, v29
	s_delay_alu instid0(VALU_DEP_1) | instskip(SKIP_3) | instid1(VALU_DEP_4)
	v_xor_b32_e32 v30, v27, v31
	v_cmp_ne_u32_e64 s5, v27, v31
	v_xor_b32_e32 v28, v28, v31
	v_xor_b32_e32 v26, v26, v31
	v_clz_i32_u32_e32 v34, v30
	s_delay_alu instid0(VALU_DEP_1) | instskip(NEXT) | instid1(VALU_DEP_1)
	v_add_nc_u32_e32 v33, 1, v34
	v_cndmask_b32_e64 v27, 33, v33, s5
	s_delay_alu instid0(VALU_DEP_1) | instskip(NEXT) | instid1(VALU_DEP_1)
	v_sub_nc_u32_e32 v32, 32, v27
	v_alignbit_b32 v30, v30, v28, v32
	v_alignbit_b32 v26, v28, v26, v32
	v_lshrrev_b32_e32 v28, 29, v1
	s_delay_alu instid0(VALU_DEP_2) | instskip(NEXT) | instid1(VALU_DEP_2)
	v_alignbit_b32 v31, v30, v26, 9
	v_lshlrev_b32_e32 v28, 31, v28
	v_alignbit_b32 v30, v27, v30, 9
	s_delay_alu instid0(VALU_DEP_3) | instskip(NEXT) | instid1(VALU_DEP_2)
	v_clz_i32_u32_e32 v32, v31
	v_or_b32_e32 v30, v30, v28
	v_or_b32_e32 v28, 0x33800000, v28
	s_delay_alu instid0(VALU_DEP_3) | instskip(NEXT) | instid1(VALU_DEP_3)
	v_min_u32_e32 v32, 32, v32
	v_xor_b32_e32 v30, 1.0, v30
	s_delay_alu instid0(VALU_DEP_2) | instskip(SKIP_1) | instid1(VALU_DEP_3)
	v_sub_nc_u32_e32 v33, 31, v32
	v_add_lshl_u32 v27, v32, v27, 23
	v_mul_f32_e32 v32, 0x3fc90fda, v30
	s_delay_alu instid0(VALU_DEP_3) | instskip(NEXT) | instid1(VALU_DEP_3)
	v_alignbit_b32 v26, v31, v26, v33
	v_sub_nc_u32_e32 v27, v28, v27
	s_delay_alu instid0(VALU_DEP_3) | instskip(NEXT) | instid1(VALU_DEP_3)
	v_fma_f32 v28, 0x3fc90fda, v30, -v32
	v_lshrrev_b32_e32 v26, 9, v26
	s_delay_alu instid0(VALU_DEP_2) | instskip(NEXT) | instid1(VALU_DEP_2)
	v_fmac_f32_e32 v28, 0x33a22168, v30
	v_or_b32_e32 v26, v27, v26
	s_delay_alu instid0(VALU_DEP_1) | instskip(SKIP_1) | instid1(VALU_DEP_1)
	v_fmac_f32_e32 v28, 0x3fc90fda, v26
	v_lshrrev_b32_e32 v26, 30, v1
	v_dual_add_f32 v1, v32, v28 :: v_dual_add_nc_u32 v26, v29, v26
	s_and_not1_saveexec_b32 s5, s31
	s_cbranch_execnz .LBB139_121
	s_branch .LBB139_122
.LBB139_120:                            ;   in Loop: Header=BB139_4 Depth=1
	s_and_not1_saveexec_b32 s5, s31
.LBB139_121:                            ;   in Loop: Header=BB139_4 Depth=1
	v_mul_f32_e64 v1, 0x3f22f983, |v12|
	s_delay_alu instid0(VALU_DEP_1) | instskip(NEXT) | instid1(VALU_DEP_1)
	v_rndne_f32_e32 v26, v1
	v_fma_f32 v1, 0xbfc90fda, v26, |v12|
	s_delay_alu instid0(VALU_DEP_1) | instskip(NEXT) | instid1(VALU_DEP_1)
	v_fmac_f32_e32 v1, 0xb3a22168, v26
	v_fmac_f32_e32 v1, 0xa7c234c4, v26
	v_cvt_i32_f32_e32 v26, v26
.LBB139_122:                            ;   in Loop: Header=BB139_4 Depth=1
	s_or_b32 exec_lo, exec_lo, s5
	v_add_f32_e32 v11, 0xc322e3bc, v11
	s_delay_alu instid0(VALU_DEP_2) | instskip(NEXT) | instid1(VALU_DEP_2)
	v_dual_mul_f32 v30, v15, v15 :: v_dual_mul_f32 v31, v1, v1
	v_mul_f32_e32 v27, 0x3fb8aa3b, v11
	s_delay_alu instid0(VALU_DEP_2) | instskip(NEXT) | instid1(VALU_DEP_3)
	v_fmaak_f32 v32, s25, v30, 0xbab64f3b
	v_dual_fmaak_f32 v33, s24, v30, 0x3c0881c4 :: v_dual_fmaak_f32 v34, s24, v31, 0x3c0881c4
	s_delay_alu instid0(VALU_DEP_3) | instskip(SKIP_1) | instid1(VALU_DEP_3)
	v_fma_f32 v28, 0x3fb8aa3b, v11, -v27
	v_rndne_f32_e32 v29, v27
	v_fmaak_f32 v34, v31, v34, 0xbe2aaa9d
	s_delay_alu instid0(VALU_DEP_2) | instskip(NEXT) | instid1(VALU_DEP_2)
	v_dual_fmac_f32 v28, 0x32a5705f, v11 :: v_dual_sub_f32 v27, v27, v29
	v_mul_f32_e32 v34, v31, v34
	s_delay_alu instid0(VALU_DEP_2)
	v_add_f32_e32 v27, v27, v28
	v_cvt_i32_f32_e32 v28, v29
	v_lshlrev_b32_e32 v29, 30, v16
	v_and_b32_e32 v16, 1, v16
	v_cmp_ngt_f32_e64 s5, 0xc2ce8ed0, v11
	v_exp_f32_e32 v27, v27
	v_fmac_f32_e32 v1, v1, v34
	s_waitcnt_depctr 0xfff
	v_ldexp_f32 v27, v27, v28
	v_and_b32_e32 v28, 1, v26
	v_lshlrev_b32_e32 v26, 30, v26
	s_delay_alu instid0(VALU_DEP_3) | instskip(SKIP_1) | instid1(VALU_DEP_3)
	v_cndmask_b32_e64 v27, 0, v27, s5
	v_cmp_nlt_f32_e64 s5, 0x42b17218, v11
	v_and_or_b32 v25, 0x80000000, v26, v25
	s_delay_alu instid0(VALU_DEP_2)
	v_cndmask_b32_e64 v11, 0x7f800000, v27, s5
	v_fmaak_f32 v27, s25, v31, 0xbab64f3b
	v_fmaak_f32 v26, v30, v32, 0x3d2aabf7
	;; [unrolled: 1-line block ×3, first 2 shown]
	v_and_b32_e32 v29, 0x80000000, v29
	v_lshrrev_b32_e32 v33, 23, v11
	v_fmaak_f32 v27, v31, v27, 0x3d2aabf7
	v_fmaak_f32 v26, v30, v26, 0xbf000004
	v_mul_f32_e32 v32, v30, v32
	v_cmp_eq_u32_e64 s5, 0, v16
	v_subrev_nc_u32_e32 v33, 19, v33
	v_fmaak_f32 v27, v31, v27, 0xbf000004
	v_fma_f32 v26, v30, v26, 1.0
	v_and_or_b32 v11, 0x7fffff, v11, s26
	v_fmac_f32_e32 v15, v15, v32
	v_lshrrev_b16 v30, 15, v33
	v_fma_f32 v27, v31, v27, 1.0
	s_delay_alu instid0(VALU_DEP_3) | instskip(SKIP_1) | instid1(VALU_DEP_4)
	v_cndmask_b32_e64 v15, -v15, v26, s5
	v_cmp_eq_u32_e64 s5, 0, v28
	v_add_nc_u16 v16, v33, v30
	s_delay_alu instid0(VALU_DEP_3) | instskip(NEXT) | instid1(VALU_DEP_3)
	v_xor_b32_e32 v15, v29, v15
	v_cndmask_b32_e64 v1, v27, v1, s5
	s_delay_alu instid0(VALU_DEP_3) | instskip(SKIP_1) | instid1(VALU_DEP_3)
	v_ashrrev_i16 v16, 1, v16
	v_cmp_class_f32_e64 s5, v12, 0x1f8
	v_xor3_b32 v1, v25, v1, v12
	s_delay_alu instid0(VALU_DEP_2) | instskip(NEXT) | instid1(VALU_DEP_4)
	v_cndmask_b32_e64 v12, 0x7fc00000, v15, s5
	v_bfe_i32 v15, v16, 0, 16
	s_delay_alu instid0(VALU_DEP_3) | instskip(NEXT) | instid1(VALU_DEP_3)
	v_cndmask_b32_e64 v1, 0x7fc00000, v1, s5
	v_mul_f32_e32 v12, v12, v11
	s_delay_alu instid0(VALU_DEP_3) | instskip(SKIP_1) | instid1(VALU_DEP_4)
	v_lshl_add_u32 v16, v15, 23, 1.0
	v_sub_nc_u32_e32 v15, v33, v15
	v_mul_f32_e32 v1, v1, v11
	s_delay_alu instid0(VALU_DEP_3) | instskip(NEXT) | instid1(VALU_DEP_3)
	v_mul_f32_e32 v11, v12, v16
	v_lshl_add_u32 v12, v15, 23, 1.0
	s_delay_alu instid0(VALU_DEP_3) | instskip(NEXT) | instid1(VALU_DEP_2)
	v_mul_f32_e32 v1, v1, v16
	v_mul_f32_e32 v15, v11, v12
	s_delay_alu instid0(VALU_DEP_2)
	v_mul_f32_e32 v16, v1, v12
.LBB139_123:                            ;   in Loop: Header=BB139_4 Depth=1
	s_or_b32 exec_lo, exec_lo, s30
                                        ; implicit-def: $vgpr11
                                        ; implicit-def: $vgpr1
.LBB139_124:                            ;   in Loop: Header=BB139_4 Depth=1
	s_and_not1_saveexec_b32 s6, s29
	s_cbranch_execz .LBB139_130
; %bb.125:                              ;   in Loop: Header=BB139_4 Depth=1
	v_cmp_ne_u32_e64 s5, 0x7f800000, v1
	v_sub_f32_e32 v16, v12, v12
	s_delay_alu instid0(VALU_DEP_2) | instskip(NEXT) | instid1(SALU_CYCLE_1)
	s_and_saveexec_b32 s7, s5
	s_xor_b32 s5, exec_lo, s7
; %bb.126:                              ;   in Loop: Header=BB139_4 Depth=1
                                        ; implicit-def: $vgpr11
; %bb.127:                              ;   in Loop: Header=BB139_4 Depth=1
	s_delay_alu instid0(SALU_CYCLE_1) | instskip(NEXT) | instid1(VALU_DEP_1)
	s_or_saveexec_b32 s7, s5
	v_mov_b32_e32 v15, v16
	s_xor_b32 exec_lo, exec_lo, s7
; %bb.128:                              ;   in Loop: Header=BB139_4 Depth=1
	v_cmp_lt_i32_e64 s5, -1, v11
	s_delay_alu instid0(VALU_DEP_1)
	v_cndmask_b32_e64 v15, 0, v11, s5
	v_cndmask_b32_e64 v16, 0, v16, s5
; %bb.129:                              ;   in Loop: Header=BB139_4 Depth=1
	s_or_b32 exec_lo, exec_lo, s7
.LBB139_130:                            ;   in Loop: Header=BB139_4 Depth=1
	s_delay_alu instid0(SALU_CYCLE_1)
	s_or_b32 exec_lo, exec_lo, s6
                                        ; implicit-def: $vgpr12
                                        ; implicit-def: $vgpr25
.LBB139_131:                            ;   in Loop: Header=BB139_4 Depth=1
	s_and_not1_saveexec_b32 s28, s28
	s_cbranch_execz .LBB139_141
; %bb.132:                              ;   in Loop: Header=BB139_4 Depth=1
	v_lshrrev_b32_e32 v1, 23, v25
	v_cmp_ngt_f32_e64 s29, 0x48000000, |v12|
	v_and_or_b32 v16, v25, s23, 0x800000
                                        ; implicit-def: $vgpr15
                                        ; implicit-def: $vgpr11
	s_delay_alu instid0(VALU_DEP_3) | instskip(NEXT) | instid1(VALU_DEP_3)
	v_add_nc_u32_e32 v26, 0xffffff88, v1
	s_and_saveexec_b32 s5, s29
	s_delay_alu instid0(SALU_CYCLE_1)
	s_xor_b32 s30, exec_lo, s5
	s_cbranch_execz .LBB139_134
; %bb.133:                              ;   in Loop: Header=BB139_4 Depth=1
	v_mad_u64_u32 v[27:28], null, 0xfe5163ab, v16, 0
	v_cmp_lt_u32_e64 s5, 63, v26
	s_delay_alu instid0(VALU_DEP_1) | instskip(NEXT) | instid1(VALU_DEP_3)
	v_cndmask_b32_e64 v11, 0, 0xffffffc0, s5
	v_mov_b32_e32 v1, v28
	s_delay_alu instid0(VALU_DEP_2) | instskip(NEXT) | instid1(VALU_DEP_2)
	v_add_nc_u32_e32 v11, v11, v26
	v_mad_u64_u32 v[28:29], null, 0x3c439041, v16, v[1:2]
	s_delay_alu instid0(VALU_DEP_2) | instskip(NEXT) | instid1(VALU_DEP_2)
	v_cmp_lt_u32_e64 s6, 31, v11
	v_mov_b32_e32 v1, v29
	s_delay_alu instid0(VALU_DEP_2) | instskip(NEXT) | instid1(VALU_DEP_2)
	v_cndmask_b32_e64 v15, 0, 0xffffffe0, s6
	v_mad_u64_u32 v[29:30], null, 0xdb629599, v16, v[1:2]
	s_delay_alu instid0(VALU_DEP_2) | instskip(NEXT) | instid1(VALU_DEP_1)
	v_add_nc_u32_e32 v11, v15, v11
	v_cmp_lt_u32_e64 s7, 31, v11
	s_delay_alu instid0(VALU_DEP_3) | instskip(NEXT) | instid1(VALU_DEP_4)
	v_mov_b32_e32 v1, v30
	v_cndmask_b32_e64 v27, v29, v27, s5
	s_delay_alu instid0(VALU_DEP_2) | instskip(NEXT) | instid1(VALU_DEP_1)
	v_mad_u64_u32 v[30:31], null, 0xf534ddc0, v16, v[1:2]
	v_mov_b32_e32 v1, v31
	s_delay_alu instid0(VALU_DEP_1) | instskip(NEXT) | instid1(VALU_DEP_1)
	v_mad_u64_u32 v[31:32], null, 0xfc2757d1, v16, v[1:2]
	v_mov_b32_e32 v1, v32
	s_delay_alu instid0(VALU_DEP_1) | instskip(NEXT) | instid1(VALU_DEP_1)
	v_mad_u64_u32 v[32:33], null, 0x4e441529, v16, v[1:2]
	v_mov_b32_e32 v1, v33
	s_delay_alu instid0(VALU_DEP_2) | instskip(NEXT) | instid1(VALU_DEP_2)
	v_cndmask_b32_e64 v15, v32, v30, s5
	v_mad_u64_u32 v[33:34], null, 0xa2f9836e, v16, v[1:2]
	v_cndmask_b32_e64 v1, 0, 0xffffffe0, s7
	s_delay_alu instid0(VALU_DEP_1) | instskip(NEXT) | instid1(VALU_DEP_3)
	v_add_nc_u32_e32 v1, v1, v11
	v_cndmask_b32_e64 v33, v33, v31, s5
	s_delay_alu instid0(VALU_DEP_4)
	v_cndmask_b32_e64 v32, v34, v32, s5
	v_cndmask_b32_e64 v31, v31, v29, s5
	;; [unrolled: 1-line block ×3, first 2 shown]
	v_cmp_eq_u32_e64 s8, 0, v1
	v_cndmask_b32_e64 v28, v33, v15, s6
	v_cndmask_b32_e64 v30, v32, v33, s6
	;; [unrolled: 1-line block ×3, first 2 shown]
	v_sub_nc_u32_e32 v32, 32, v1
	v_cndmask_b32_e64 v31, v31, v11, s6
	v_cndmask_b32_e64 v11, v11, v27, s6
	;; [unrolled: 1-line block ×4, first 2 shown]
	s_delay_alu instid0(VALU_DEP_4) | instskip(NEXT) | instid1(VALU_DEP_4)
	v_cndmask_b32_e64 v15, v15, v31, s7
	v_cndmask_b32_e64 v11, v31, v11, s7
	s_delay_alu instid0(VALU_DEP_3) | instskip(NEXT) | instid1(VALU_DEP_3)
	v_alignbit_b32 v33, v30, v28, v32
	v_alignbit_b32 v34, v28, v15, v32
	s_delay_alu instid0(VALU_DEP_3) | instskip(NEXT) | instid1(VALU_DEP_3)
	v_alignbit_b32 v32, v15, v11, v32
	v_cndmask_b32_e64 v1, v33, v30, s8
	s_delay_alu instid0(VALU_DEP_3) | instskip(NEXT) | instid1(VALU_DEP_3)
	v_cndmask_b32_e64 v28, v34, v28, s8
	v_cndmask_b32_e64 v15, v32, v15, s8
	s_delay_alu instid0(VALU_DEP_3) | instskip(NEXT) | instid1(VALU_DEP_3)
	v_bfe_u32 v29, v1, 29, 1
	v_alignbit_b32 v27, v1, v28, 30
	s_delay_alu instid0(VALU_DEP_3) | instskip(SKIP_1) | instid1(VALU_DEP_4)
	v_alignbit_b32 v28, v28, v15, 30
	v_alignbit_b32 v11, v15, v11, 30
	v_sub_nc_u32_e32 v30, 0, v29
	s_delay_alu instid0(VALU_DEP_1) | instskip(SKIP_3) | instid1(VALU_DEP_4)
	v_xor_b32_e32 v31, v27, v30
	v_cmp_ne_u32_e64 s5, v27, v30
	v_xor_b32_e32 v15, v28, v30
	v_xor_b32_e32 v11, v11, v30
	v_clz_i32_u32_e32 v33, v31
	s_delay_alu instid0(VALU_DEP_1) | instskip(NEXT) | instid1(VALU_DEP_1)
	v_add_nc_u32_e32 v32, 1, v33
	v_cndmask_b32_e64 v27, 33, v32, s5
	s_delay_alu instid0(VALU_DEP_1) | instskip(NEXT) | instid1(VALU_DEP_1)
	v_sub_nc_u32_e32 v28, 32, v27
	v_alignbit_b32 v30, v31, v15, v28
	v_alignbit_b32 v11, v15, v11, v28
	v_lshrrev_b32_e32 v15, 29, v1
	v_lshrrev_b32_e32 v1, 30, v1
	s_delay_alu instid0(VALU_DEP_3) | instskip(NEXT) | instid1(VALU_DEP_3)
	v_alignbit_b32 v28, v30, v11, 9
	v_lshlrev_b32_e32 v15, 31, v15
	v_alignbit_b32 v30, v27, v30, 9
	s_delay_alu instid0(VALU_DEP_3) | instskip(NEXT) | instid1(VALU_DEP_2)
	v_clz_i32_u32_e32 v31, v28
	v_or_b32_e32 v30, v30, v15
	v_or_b32_e32 v15, 0x33800000, v15
	s_delay_alu instid0(VALU_DEP_3) | instskip(NEXT) | instid1(VALU_DEP_3)
	v_min_u32_e32 v31, 32, v31
	v_xor_b32_e32 v30, 1.0, v30
	s_delay_alu instid0(VALU_DEP_2) | instskip(SKIP_1) | instid1(VALU_DEP_3)
	v_sub_nc_u32_e32 v32, 31, v31
	v_add_lshl_u32 v27, v31, v27, 23
	v_mul_f32_e32 v31, 0x3fc90fda, v30
	s_delay_alu instid0(VALU_DEP_3) | instskip(NEXT) | instid1(VALU_DEP_3)
	v_alignbit_b32 v11, v28, v11, v32
	v_sub_nc_u32_e32 v15, v15, v27
	s_delay_alu instid0(VALU_DEP_3) | instskip(NEXT) | instid1(VALU_DEP_3)
	v_fma_f32 v27, 0x3fc90fda, v30, -v31
	v_lshrrev_b32_e32 v11, 9, v11
	s_delay_alu instid0(VALU_DEP_2) | instskip(NEXT) | instid1(VALU_DEP_2)
	v_fmac_f32_e32 v27, 0x33a22168, v30
	v_or_b32_e32 v11, v15, v11
	v_add_nc_u32_e32 v15, v29, v1
	s_delay_alu instid0(VALU_DEP_2) | instskip(NEXT) | instid1(VALU_DEP_1)
	v_fmac_f32_e32 v27, 0x3fc90fda, v11
	v_add_f32_e32 v11, v31, v27
.LBB139_134:                            ;   in Loop: Header=BB139_4 Depth=1
	s_or_saveexec_b32 s5, s30
	v_mul_f32_e64 v1, 0x3f22f983, |v12|
	s_delay_alu instid0(VALU_DEP_1)
	v_rndne_f32_e32 v28, v1
	s_xor_b32 exec_lo, exec_lo, s5
; %bb.135:                              ;   in Loop: Header=BB139_4 Depth=1
	s_delay_alu instid0(VALU_DEP_1) | instskip(SKIP_1) | instid1(VALU_DEP_2)
	v_fma_f32 v11, 0xbfc90fda, v28, |v12|
	v_cvt_i32_f32_e32 v15, v28
	v_fmac_f32_e32 v11, 0xb3a22168, v28
	s_delay_alu instid0(VALU_DEP_1)
	v_fmac_f32_e32 v11, 0xa7c234c4, v28
; %bb.136:                              ;   in Loop: Header=BB139_4 Depth=1
	s_or_b32 exec_lo, exec_lo, s5
                                        ; implicit-def: $vgpr27
                                        ; implicit-def: $vgpr1
	s_and_saveexec_b32 s5, s29
	s_delay_alu instid0(SALU_CYCLE_1)
	s_xor_b32 s29, exec_lo, s5
	s_cbranch_execz .LBB139_138
; %bb.137:                              ;   in Loop: Header=BB139_4 Depth=1
	v_mad_u64_u32 v[27:28], null, 0xfe5163ab, v16, 0
	v_cmp_lt_u32_e64 s5, 63, v26
	s_delay_alu instid0(VALU_DEP_1) | instskip(NEXT) | instid1(VALU_DEP_1)
	v_cndmask_b32_e64 v33, 0, 0xffffffc0, s5
	v_dual_mov_b32 v1, v28 :: v_dual_add_nc_u32 v26, v33, v26
	s_delay_alu instid0(VALU_DEP_1) | instskip(NEXT) | instid1(VALU_DEP_2)
	v_mad_u64_u32 v[28:29], null, 0x3c439041, v16, v[1:2]
	v_cmp_lt_u32_e64 s6, 31, v26
	s_delay_alu instid0(VALU_DEP_1) | instskip(NEXT) | instid1(VALU_DEP_1)
	v_cndmask_b32_e64 v34, 0, 0xffffffe0, s6
	v_dual_mov_b32 v1, v29 :: v_dual_add_nc_u32 v26, v34, v26
	s_delay_alu instid0(VALU_DEP_1) | instskip(NEXT) | instid1(VALU_DEP_2)
	v_mad_u64_u32 v[29:30], null, 0xdb629599, v16, v[1:2]
	v_cmp_lt_u32_e64 s7, 31, v26
	s_delay_alu instid0(VALU_DEP_2) | instskip(NEXT) | instid1(VALU_DEP_3)
	v_mov_b32_e32 v1, v30
	v_cndmask_b32_e64 v27, v29, v27, s5
	s_delay_alu instid0(VALU_DEP_2) | instskip(NEXT) | instid1(VALU_DEP_1)
	v_mad_u64_u32 v[30:31], null, 0xf534ddc0, v16, v[1:2]
	v_mov_b32_e32 v1, v31
	s_delay_alu instid0(VALU_DEP_1) | instskip(NEXT) | instid1(VALU_DEP_1)
	v_mad_u64_u32 v[31:32], null, 0xfc2757d1, v16, v[1:2]
	v_mov_b32_e32 v1, v32
	s_delay_alu instid0(VALU_DEP_1) | instskip(NEXT) | instid1(VALU_DEP_1)
	v_mad_u64_u32 v[32:33], null, 0x4e441529, v16, v[1:2]
	v_mov_b32_e32 v1, v33
	s_delay_alu instid0(VALU_DEP_1) | instskip(SKIP_1) | instid1(VALU_DEP_4)
	v_mad_u64_u32 v[33:34], null, 0xa2f9836e, v16, v[1:2]
	v_cndmask_b32_e64 v1, 0, 0xffffffe0, s7
	v_cndmask_b32_e64 v16, v32, v30, s5
	s_delay_alu instid0(VALU_DEP_2) | instskip(NEXT) | instid1(VALU_DEP_4)
	v_add_nc_u32_e32 v1, v1, v26
	v_cndmask_b32_e64 v33, v33, v31, s5
	v_cndmask_b32_e64 v32, v34, v32, s5
	;; [unrolled: 1-line block ×4, first 2 shown]
	v_cmp_eq_u32_e64 s8, 0, v1
	v_cndmask_b32_e64 v28, v33, v16, s6
	v_cndmask_b32_e64 v30, v32, v33, s6
	;; [unrolled: 1-line block ×3, first 2 shown]
	v_sub_nc_u32_e32 v32, 32, v1
	v_cndmask_b32_e64 v31, v31, v26, s6
	v_cndmask_b32_e64 v26, v26, v27, s6
	v_cndmask_b32_e64 v30, v30, v28, s7
	v_cndmask_b32_e64 v28, v28, v16, s7
	s_delay_alu instid0(VALU_DEP_4) | instskip(NEXT) | instid1(VALU_DEP_4)
	v_cndmask_b32_e64 v16, v16, v31, s7
	v_cndmask_b32_e64 v26, v31, v26, s7
	s_delay_alu instid0(VALU_DEP_3) | instskip(NEXT) | instid1(VALU_DEP_3)
	v_alignbit_b32 v33, v30, v28, v32
	v_alignbit_b32 v34, v28, v16, v32
	s_delay_alu instid0(VALU_DEP_3) | instskip(NEXT) | instid1(VALU_DEP_3)
	v_alignbit_b32 v32, v16, v26, v32
	v_cndmask_b32_e64 v1, v33, v30, s8
	s_delay_alu instid0(VALU_DEP_3) | instskip(NEXT) | instid1(VALU_DEP_3)
	v_cndmask_b32_e64 v28, v34, v28, s8
	v_cndmask_b32_e64 v16, v32, v16, s8
	s_delay_alu instid0(VALU_DEP_3) | instskip(NEXT) | instid1(VALU_DEP_3)
	v_bfe_u32 v29, v1, 29, 1
	v_alignbit_b32 v27, v1, v28, 30
	s_delay_alu instid0(VALU_DEP_3) | instskip(SKIP_1) | instid1(VALU_DEP_4)
	v_alignbit_b32 v28, v28, v16, 30
	v_alignbit_b32 v16, v16, v26, 30
	v_sub_nc_u32_e32 v30, 0, v29
	s_delay_alu instid0(VALU_DEP_1) | instskip(SKIP_3) | instid1(VALU_DEP_4)
	v_xor_b32_e32 v31, v27, v30
	v_cmp_ne_u32_e64 s5, v27, v30
	v_xor_b32_e32 v26, v28, v30
	v_xor_b32_e32 v16, v16, v30
	v_clz_i32_u32_e32 v33, v31
	s_delay_alu instid0(VALU_DEP_1) | instskip(NEXT) | instid1(VALU_DEP_1)
	v_add_nc_u32_e32 v32, 1, v33
	v_cndmask_b32_e64 v27, 33, v32, s5
	s_delay_alu instid0(VALU_DEP_1) | instskip(NEXT) | instid1(VALU_DEP_1)
	v_sub_nc_u32_e32 v28, 32, v27
	v_alignbit_b32 v30, v31, v26, v28
	v_alignbit_b32 v16, v26, v16, v28
	v_lshrrev_b32_e32 v26, 29, v1
	s_delay_alu instid0(VALU_DEP_2) | instskip(NEXT) | instid1(VALU_DEP_2)
	v_alignbit_b32 v28, v30, v16, 9
	v_lshlrev_b32_e32 v26, 31, v26
	v_alignbit_b32 v30, v27, v30, 9
	s_delay_alu instid0(VALU_DEP_3) | instskip(NEXT) | instid1(VALU_DEP_2)
	v_clz_i32_u32_e32 v31, v28
	v_or_b32_e32 v30, v30, v26
	v_or_b32_e32 v26, 0x33800000, v26
	s_delay_alu instid0(VALU_DEP_3) | instskip(NEXT) | instid1(VALU_DEP_3)
	v_min_u32_e32 v31, 32, v31
	v_xor_b32_e32 v30, 1.0, v30
	s_delay_alu instid0(VALU_DEP_2) | instskip(SKIP_1) | instid1(VALU_DEP_3)
	v_sub_nc_u32_e32 v32, 31, v31
	v_add_lshl_u32 v27, v31, v27, 23
	v_mul_f32_e32 v31, 0x3fc90fda, v30
	s_delay_alu instid0(VALU_DEP_3) | instskip(NEXT) | instid1(VALU_DEP_3)
	v_alignbit_b32 v16, v28, v16, v32
	v_sub_nc_u32_e32 v26, v26, v27
	s_delay_alu instid0(VALU_DEP_3) | instskip(NEXT) | instid1(VALU_DEP_3)
	v_fma_f32 v27, 0x3fc90fda, v30, -v31
                                        ; implicit-def: $vgpr28
	v_lshrrev_b32_e32 v16, 9, v16
	s_delay_alu instid0(VALU_DEP_2) | instskip(NEXT) | instid1(VALU_DEP_2)
	v_fmac_f32_e32 v27, 0x33a22168, v30
	v_or_b32_e32 v16, v26, v16
	s_delay_alu instid0(VALU_DEP_1) | instskip(SKIP_1) | instid1(VALU_DEP_2)
	v_fmac_f32_e32 v27, 0x3fc90fda, v16
	v_lshrrev_b32_e32 v16, 30, v1
	v_add_f32_e32 v1, v31, v27
	s_delay_alu instid0(VALU_DEP_2)
	v_add_nc_u32_e32 v27, v29, v16
	s_and_not1_saveexec_b32 s5, s29
	s_cbranch_execnz .LBB139_139
	s_branch .LBB139_140
.LBB139_138:                            ;   in Loop: Header=BB139_4 Depth=1
	s_and_not1_saveexec_b32 s5, s29
.LBB139_139:                            ;   in Loop: Header=BB139_4 Depth=1
	v_fma_f32 v1, 0xbfc90fda, v28, |v12|
	v_cvt_i32_f32_e32 v27, v28
	s_delay_alu instid0(VALU_DEP_2) | instskip(NEXT) | instid1(VALU_DEP_1)
	v_fmac_f32_e32 v1, 0xb3a22168, v28
	v_fmac_f32_e32 v1, 0xa7c234c4, v28
.LBB139_140:                            ;   in Loop: Header=BB139_4 Depth=1
	s_or_b32 exec_lo, exec_lo, s5
	s_delay_alu instid0(VALU_DEP_1)
	v_mul_f32_e32 v26, v1, v1
	v_and_b32_e32 v28, 1, v15
	v_lshlrev_b32_e32 v15, 30, v15
	v_mul_f32_e32 v16, v11, v11
	v_and_b32_e32 v33, 1, v27
	v_fmaak_f32 v31, s24, v26, 0x3c0881c4
	v_dual_fmaak_f32 v32, s25, v26, 0xbab64f3b :: v_dual_lshlrev_b32 v27, 30, v27
	s_delay_alu instid0(VALU_DEP_4) | instskip(SKIP_1) | instid1(VALU_DEP_4)
	v_fmaak_f32 v29, s24, v16, 0x3c0881c4
	v_fmaak_f32 v30, s25, v16, 0xbab64f3b
	;; [unrolled: 1-line block ×3, first 2 shown]
	v_cmp_eq_u32_e64 s5, 0, v28
	v_and_b32_e32 v15, 0x80000000, v15
	v_fmaak_f32 v29, v16, v29, 0xbe2aaa9d
	s_delay_alu instid0(VALU_DEP_4) | instskip(SKIP_2) | instid1(VALU_DEP_4)
	v_dual_fmaak_f32 v30, v16, v30, 0x3d2aabf7 :: v_dual_mul_f32 v31, v26, v31
	v_fmaak_f32 v32, v26, v32, 0x3d2aabf7
	v_and_or_b32 v25, 0x80000000, v27, v25
	v_mul_f32_e32 v29, v16, v29
	s_delay_alu instid0(VALU_DEP_4) | instskip(NEXT) | instid1(VALU_DEP_2)
	v_dual_fmaak_f32 v30, v16, v30, 0xbf000004 :: v_dual_fmac_f32 v1, v1, v31
	v_dual_fmaak_f32 v32, v26, v32, 0xbf000004 :: v_dual_fmac_f32 v11, v11, v29
	s_delay_alu instid0(VALU_DEP_2) | instskip(NEXT) | instid1(VALU_DEP_2)
	v_fma_f32 v16, v16, v30, 1.0
	v_fma_f32 v26, v26, v32, 1.0
	s_delay_alu instid0(VALU_DEP_2) | instskip(SKIP_1) | instid1(VALU_DEP_2)
	v_cndmask_b32_e64 v11, -v11, v16, s5
	v_cmp_eq_u32_e64 s5, 0, v33
	v_xor_b32_e32 v11, v15, v11
	s_delay_alu instid0(VALU_DEP_2) | instskip(SKIP_1) | instid1(VALU_DEP_2)
	v_cndmask_b32_e64 v1, v26, v1, s5
	v_cmp_class_f32_e64 s5, v12, 0x1f8
	v_xor3_b32 v1, v25, v1, v12
	s_delay_alu instid0(VALU_DEP_2) | instskip(NEXT) | instid1(VALU_DEP_2)
	v_cndmask_b32_e64 v15, 0x7fc00000, v11, s5
	v_cndmask_b32_e64 v16, 0x7fc00000, v1, s5
.LBB139_141:                            ;   in Loop: Header=BB139_4 Depth=1
	s_or_b32 exec_lo, exec_lo, s28
                                        ; implicit-def: $vgpr11
.LBB139_142:                            ;   in Loop: Header=BB139_4 Depth=1
	s_and_not1_saveexec_b32 s6, s27
	s_cbranch_execz .LBB139_144
; %bb.143:                              ;   in Loop: Header=BB139_4 Depth=1
	v_mul_f32_e32 v1, 0x3fb8aa3b, v11
	v_cmp_ngt_f32_e64 s5, 0xc2ce8ed0, v11
	s_delay_alu instid0(VALU_DEP_2) | instskip(SKIP_1) | instid1(VALU_DEP_2)
	v_rndne_f32_e32 v15, v1
	v_fma_f32 v16, 0x3fb8aa3b, v11, -v1
	v_sub_f32_e32 v1, v1, v15
	s_delay_alu instid0(VALU_DEP_2) | instskip(SKIP_1) | instid1(VALU_DEP_2)
	v_fmac_f32_e32 v16, 0x32a5705f, v11
	v_cvt_i32_f32_e32 v15, v15
	v_dual_add_f32 v1, v1, v16 :: v_dual_mov_b32 v16, v12
	s_delay_alu instid0(VALU_DEP_1) | instskip(SKIP_2) | instid1(VALU_DEP_1)
	v_exp_f32_e32 v1, v1
	s_waitcnt_depctr 0xfff
	v_ldexp_f32 v1, v1, v15
	v_cndmask_b32_e64 v1, 0, v1, s5
	v_cmp_nlt_f32_e64 s5, 0x42b17218, v11
	s_delay_alu instid0(VALU_DEP_1)
	v_cndmask_b32_e64 v15, 0x7f800000, v1, s5
.LBB139_144:                            ;   in Loop: Header=BB139_4 Depth=1
	s_or_b32 exec_lo, exec_lo, s6
	v_and_b32_e32 v25, 0x7fffffff, v8
                                        ; implicit-def: $vgpr12
	s_mov_b32 s6, exec_lo
	s_delay_alu instid0(VALU_DEP_1)
	v_cmpx_ne_u32_e32 0, v25
	s_xor_b32 s27, exec_lo, s6
	s_cbranch_execz .LBB139_150
; %bb.145:                              ;   in Loop: Header=BB139_4 Depth=1
	v_and_b32_e32 v1, 0x7fffffff, v7
                                        ; implicit-def: $vgpr12
	s_mov_b32 s6, exec_lo
	s_delay_alu instid0(VALU_DEP_1)
	v_cmpx_ne_u32_e32 0, v1
	s_xor_b32 s28, exec_lo, s6
	s_cbranch_execz .LBB139_180
; %bb.146:                              ;   in Loop: Header=BB139_4 Depth=1
                                        ; implicit-def: $vgpr12
	s_mov_b32 s6, exec_lo
	v_cmpx_gt_u32_e32 0x7f800000, v25
	s_xor_b32 s29, exec_lo, s6
	s_cbranch_execz .LBB139_173
; %bb.147:                              ;   in Loop: Header=BB139_4 Depth=1
	v_add_nc_u32_e32 v1, 0xbd4e8de8, v7
                                        ; implicit-def: $vgpr12
	s_mov_b32 s6, exec_lo
	s_delay_alu instid0(VALU_DEP_1)
	v_cmpx_lt_u32_e32 0x8e8e5c, v1
	s_xor_b32 s30, exec_lo, s6
	s_cbranch_execz .LBB139_162
; %bb.148:                              ;   in Loop: Header=BB139_4 Depth=1
	v_cmp_ngt_f32_e64 s31, 0x48000000, |v8|
                                        ; implicit-def: $vgpr12
                                        ; implicit-def: $vgpr11
	s_delay_alu instid0(VALU_DEP_1) | instskip(NEXT) | instid1(SALU_CYCLE_1)
	s_and_saveexec_b32 s5, s31
	s_xor_b32 s33, exec_lo, s5
	s_cbranch_execz .LBB139_155
; %bb.149:                              ;   in Loop: Header=BB139_4 Depth=1
	v_and_or_b32 v33, v25, s23, 0x800000
	s_delay_alu instid0(VALU_DEP_1) | instskip(NEXT) | instid1(VALU_DEP_1)
	v_mad_u64_u32 v[11:12], null, 0xfe5163ab, v33, 0
	v_mov_b32_e32 v1, v12
	v_lshrrev_b32_e32 v12, 23, v25
	s_delay_alu instid0(VALU_DEP_1) | instskip(NEXT) | instid1(VALU_DEP_3)
	v_add_nc_u32_e32 v12, 0xffffff88, v12
	v_mad_u64_u32 v[26:27], null, 0x3c439041, v33, v[1:2]
	s_delay_alu instid0(VALU_DEP_2) | instskip(NEXT) | instid1(VALU_DEP_1)
	v_cmp_lt_u32_e64 s5, 63, v12
	v_cndmask_b32_e64 v31, 0, 0xffffffc0, s5
	s_delay_alu instid0(VALU_DEP_1) | instskip(NEXT) | instid1(VALU_DEP_1)
	v_add_nc_u32_e32 v12, v31, v12
	v_cmp_lt_u32_e64 s6, 31, v12
	s_delay_alu instid0(VALU_DEP_1) | instskip(NEXT) | instid1(VALU_DEP_1)
	v_cndmask_b32_e64 v32, 0, 0xffffffe0, s6
	v_dual_mov_b32 v1, v27 :: v_dual_add_nc_u32 v12, v32, v12
	s_delay_alu instid0(VALU_DEP_1) | instskip(NEXT) | instid1(VALU_DEP_2)
	v_mad_u64_u32 v[27:28], null, 0xdb629599, v33, v[1:2]
	v_cmp_lt_u32_e64 s7, 31, v12
	s_delay_alu instid0(VALU_DEP_2) | instskip(NEXT) | instid1(VALU_DEP_3)
	v_mov_b32_e32 v1, v28
	v_cndmask_b32_e64 v11, v27, v11, s5
	s_delay_alu instid0(VALU_DEP_2) | instskip(NEXT) | instid1(VALU_DEP_1)
	v_mad_u64_u32 v[28:29], null, 0xf534ddc0, v33, v[1:2]
	v_mov_b32_e32 v1, v29
	s_delay_alu instid0(VALU_DEP_1) | instskip(NEXT) | instid1(VALU_DEP_1)
	v_mad_u64_u32 v[29:30], null, 0xfc2757d1, v33, v[1:2]
	v_mov_b32_e32 v1, v30
	s_delay_alu instid0(VALU_DEP_1) | instskip(NEXT) | instid1(VALU_DEP_1)
	v_mad_u64_u32 v[30:31], null, 0x4e441529, v33, v[1:2]
	v_mov_b32_e32 v1, v31
	s_delay_alu instid0(VALU_DEP_1) | instskip(SKIP_1) | instid1(VALU_DEP_4)
	v_mad_u64_u32 v[31:32], null, 0xa2f9836e, v33, v[1:2]
	v_cndmask_b32_e64 v1, 0, 0xffffffe0, s7
	v_cndmask_b32_e64 v33, v30, v28, s5
	s_delay_alu instid0(VALU_DEP_2) | instskip(NEXT) | instid1(VALU_DEP_4)
	v_add_nc_u32_e32 v1, v1, v12
	v_cndmask_b32_e64 v31, v31, v29, s5
	v_cndmask_b32_e64 v30, v32, v30, s5
	;; [unrolled: 1-line block ×4, first 2 shown]
	v_cmp_eq_u32_e64 s8, 0, v1
	v_cndmask_b32_e64 v26, v31, v33, s6
	v_cndmask_b32_e64 v28, v30, v31, s6
	;; [unrolled: 1-line block ×3, first 2 shown]
	v_sub_nc_u32_e32 v31, 32, v1
	v_cndmask_b32_e64 v29, v29, v12, s6
	v_cndmask_b32_e64 v11, v12, v11, s6
	;; [unrolled: 1-line block ×4, first 2 shown]
	s_delay_alu instid0(VALU_DEP_4) | instskip(NEXT) | instid1(VALU_DEP_4)
	v_cndmask_b32_e64 v30, v30, v29, s7
	v_cndmask_b32_e64 v11, v29, v11, s7
	s_delay_alu instid0(VALU_DEP_3) | instskip(NEXT) | instid1(VALU_DEP_3)
	v_alignbit_b32 v32, v28, v26, v31
	v_alignbit_b32 v33, v26, v30, v31
	s_delay_alu instid0(VALU_DEP_3) | instskip(NEXT) | instid1(VALU_DEP_3)
	v_alignbit_b32 v31, v30, v11, v31
	v_cndmask_b32_e64 v1, v32, v28, s8
	s_delay_alu instid0(VALU_DEP_3) | instskip(NEXT) | instid1(VALU_DEP_3)
	v_cndmask_b32_e64 v26, v33, v26, s8
	v_cndmask_b32_e64 v30, v31, v30, s8
	s_delay_alu instid0(VALU_DEP_3) | instskip(NEXT) | instid1(VALU_DEP_3)
	v_bfe_u32 v27, v1, 29, 1
	v_alignbit_b32 v12, v1, v26, 30
	s_delay_alu instid0(VALU_DEP_3) | instskip(SKIP_1) | instid1(VALU_DEP_4)
	v_alignbit_b32 v26, v26, v30, 30
	v_alignbit_b32 v11, v30, v11, 30
	v_sub_nc_u32_e32 v28, 0, v27
	s_delay_alu instid0(VALU_DEP_1) | instskip(SKIP_3) | instid1(VALU_DEP_4)
	v_xor_b32_e32 v29, v12, v28
	v_cmp_ne_u32_e64 s5, v12, v28
	v_xor_b32_e32 v26, v26, v28
	v_xor_b32_e32 v11, v11, v28
	v_clz_i32_u32_e32 v32, v29
	s_delay_alu instid0(VALU_DEP_1) | instskip(NEXT) | instid1(VALU_DEP_1)
	v_add_nc_u32_e32 v31, 1, v32
	v_cndmask_b32_e64 v12, 33, v31, s5
	s_delay_alu instid0(VALU_DEP_1) | instskip(NEXT) | instid1(VALU_DEP_1)
	v_sub_nc_u32_e32 v30, 32, v12
	v_alignbit_b32 v28, v29, v26, v30
	v_alignbit_b32 v11, v26, v11, v30
	v_lshrrev_b32_e32 v26, 29, v1
	v_lshrrev_b32_e32 v1, 30, v1
	s_delay_alu instid0(VALU_DEP_3) | instskip(NEXT) | instid1(VALU_DEP_3)
	v_alignbit_b32 v29, v28, v11, 9
	v_lshlrev_b32_e32 v26, 31, v26
	v_alignbit_b32 v28, v12, v28, 9
	s_delay_alu instid0(VALU_DEP_3) | instskip(NEXT) | instid1(VALU_DEP_2)
	v_clz_i32_u32_e32 v30, v29
	v_or_b32_e32 v28, v28, v26
	v_or_b32_e32 v26, 0x33800000, v26
	s_delay_alu instid0(VALU_DEP_3) | instskip(NEXT) | instid1(VALU_DEP_3)
	v_min_u32_e32 v30, 32, v30
	v_xor_b32_e32 v28, 1.0, v28
	s_delay_alu instid0(VALU_DEP_2) | instskip(SKIP_1) | instid1(VALU_DEP_3)
	v_sub_nc_u32_e32 v31, 31, v30
	v_add_lshl_u32 v12, v30, v12, 23
	v_mul_f32_e32 v30, 0x3fc90fda, v28
	s_delay_alu instid0(VALU_DEP_3) | instskip(NEXT) | instid1(VALU_DEP_3)
	v_alignbit_b32 v11, v29, v11, v31
	v_sub_nc_u32_e32 v12, v26, v12
	s_delay_alu instid0(VALU_DEP_3) | instskip(NEXT) | instid1(VALU_DEP_3)
	v_fma_f32 v26, 0x3fc90fda, v28, -v30
	v_lshrrev_b32_e32 v11, 9, v11
	s_delay_alu instid0(VALU_DEP_2) | instskip(NEXT) | instid1(VALU_DEP_2)
	v_fmac_f32_e32 v26, 0x33a22168, v28
	v_or_b32_e32 v11, v12, v11
	v_add_nc_u32_e32 v12, v27, v1
	s_delay_alu instid0(VALU_DEP_2) | instskip(NEXT) | instid1(VALU_DEP_1)
	v_fmac_f32_e32 v26, 0x3fc90fda, v11
	v_add_f32_e32 v11, v30, v26
	s_and_not1_saveexec_b32 s5, s33
	s_branch .LBB139_156
.LBB139_150:                            ;   in Loop: Header=BB139_4 Depth=1
	s_and_not1_saveexec_b32 s6, s27
	s_cbranch_execz .LBB139_191
.LBB139_151:                            ;   in Loop: Header=BB139_4 Depth=1
	v_mul_f32_e32 v1, 0x3fb8aa3b, v7
	v_cmp_ngt_f32_e64 s5, 0xc2ce8ed0, v7
	s_delay_alu instid0(VALU_DEP_2) | instskip(SKIP_1) | instid1(VALU_DEP_2)
	v_rndne_f32_e32 v11, v1
	v_fma_f32 v12, 0x3fb8aa3b, v7, -v1
	v_sub_f32_e32 v1, v1, v11
	s_delay_alu instid0(VALU_DEP_2) | instskip(SKIP_1) | instid1(VALU_DEP_2)
	v_fmac_f32_e32 v12, 0x32a5705f, v7
	v_cvt_i32_f32_e32 v11, v11
	v_dual_add_f32 v1, v1, v12 :: v_dual_mov_b32 v12, v8
	s_delay_alu instid0(VALU_DEP_1) | instskip(SKIP_2) | instid1(VALU_DEP_1)
	v_exp_f32_e32 v1, v1
	s_waitcnt_depctr 0xfff
	v_ldexp_f32 v1, v1, v11
	v_cndmask_b32_e64 v1, 0, v1, s5
	v_cmp_nlt_f32_e64 s5, 0x42b17218, v7
	s_delay_alu instid0(VALU_DEP_1) | instskip(SKIP_2) | instid1(SALU_CYCLE_1)
	v_cndmask_b32_e64 v11, 0x7f800000, v1, s5
	s_or_b32 exec_lo, exec_lo, s6
	s_and_saveexec_b32 s5, vcc_lo
	s_xor_b32 s5, exec_lo, s5
	s_cbranch_execnz .LBB139_192
.LBB139_152:                            ;   in Loop: Header=BB139_4 Depth=1
	s_or_b32 exec_lo, exec_lo, s5
	s_and_saveexec_b32 s5, s2
	s_cbranch_execz .LBB139_193
.LBB139_153:                            ;   in Loop: Header=BB139_4 Depth=1
	v_add_co_u32 v7, s2, s9, v21
	s_delay_alu instid0(VALU_DEP_1)
	v_add_co_ci_u32_e64 v8, null, s20, 0, s2
	global_store_b64 v[7:8], v[13:14], off
	s_or_b32 exec_lo, exec_lo, s5
	s_and_saveexec_b32 s2, s3
	s_cbranch_execnz .LBB139_194
.LBB139_154:                            ;   in Loop: Header=BB139_4 Depth=1
	s_or_b32 exec_lo, exec_lo, s2
	s_and_saveexec_b32 s2, s4
	s_cbranch_execz .LBB139_3
	s_branch .LBB139_195
.LBB139_155:                            ;   in Loop: Header=BB139_4 Depth=1
	s_and_not1_saveexec_b32 s5, s33
.LBB139_156:                            ;   in Loop: Header=BB139_4 Depth=1
	v_mul_f32_e64 v1, 0x3f22f983, |v8|
	s_delay_alu instid0(VALU_DEP_1) | instskip(NEXT) | instid1(VALU_DEP_1)
	v_rndne_f32_e32 v1, v1
	v_fma_f32 v11, 0xbfc90fda, v1, |v8|
	v_cvt_i32_f32_e32 v12, v1
	s_delay_alu instid0(VALU_DEP_2) | instskip(NEXT) | instid1(VALU_DEP_1)
	v_fmac_f32_e32 v11, 0xb3a22168, v1
	v_fmac_f32_e32 v11, 0xa7c234c4, v1
; %bb.157:                              ;   in Loop: Header=BB139_4 Depth=1
	s_or_b32 exec_lo, exec_lo, s5
                                        ; implicit-def: $vgpr26
                                        ; implicit-def: $vgpr1
	s_and_saveexec_b32 s5, s31
	s_delay_alu instid0(SALU_CYCLE_1)
	s_xor_b32 s31, exec_lo, s5
	s_cbranch_execz .LBB139_159
; %bb.158:                              ;   in Loop: Header=BB139_4 Depth=1
	v_and_or_b32 v34, v25, s23, 0x800000
	v_lshrrev_b32_e32 v31, 23, v25
	s_delay_alu instid0(VALU_DEP_2) | instskip(NEXT) | instid1(VALU_DEP_2)
	v_mad_u64_u32 v[26:27], null, 0xfe5163ab, v34, 0
	v_add_nc_u32_e32 v32, 0xffffff88, v31
	s_delay_alu instid0(VALU_DEP_1) | instskip(NEXT) | instid1(VALU_DEP_3)
	v_cmp_lt_u32_e64 s5, 63, v32
	v_mov_b32_e32 v1, v27
	s_delay_alu instid0(VALU_DEP_2) | instskip(NEXT) | instid1(VALU_DEP_2)
	v_cndmask_b32_e64 v33, 0, 0xffffffc0, s5
	v_mad_u64_u32 v[27:28], null, 0x3c439041, v34, v[1:2]
	s_delay_alu instid0(VALU_DEP_2) | instskip(NEXT) | instid1(VALU_DEP_2)
	v_add_nc_u32_e32 v33, v33, v32
	v_mov_b32_e32 v1, v28
	s_delay_alu instid0(VALU_DEP_2) | instskip(NEXT) | instid1(VALU_DEP_2)
	v_cmp_lt_u32_e64 s6, 31, v33
	v_mad_u64_u32 v[28:29], null, 0xdb629599, v34, v[1:2]
	s_delay_alu instid0(VALU_DEP_2) | instskip(NEXT) | instid1(VALU_DEP_1)
	v_cndmask_b32_e64 v35, 0, 0xffffffe0, s6
	v_add_nc_u32_e32 v35, v35, v33
	s_delay_alu instid0(VALU_DEP_3) | instskip(NEXT) | instid1(VALU_DEP_4)
	v_mov_b32_e32 v1, v29
	v_cndmask_b32_e64 v26, v28, v26, s5
	s_delay_alu instid0(VALU_DEP_3) | instskip(NEXT) | instid1(VALU_DEP_3)
	v_cmp_lt_u32_e64 s7, 31, v35
	v_mad_u64_u32 v[29:30], null, 0xf534ddc0, v34, v[1:2]
	s_delay_alu instid0(VALU_DEP_1) | instskip(NEXT) | instid1(VALU_DEP_2)
	v_mov_b32_e32 v1, v30
	v_cndmask_b32_e64 v27, v29, v27, s5
	s_delay_alu instid0(VALU_DEP_2) | instskip(NEXT) | instid1(VALU_DEP_2)
	v_mad_u64_u32 v[30:31], null, 0xfc2757d1, v34, v[1:2]
	v_cndmask_b32_e64 v26, v27, v26, s6
	s_delay_alu instid0(VALU_DEP_2) | instskip(NEXT) | instid1(VALU_DEP_1)
	v_mov_b32_e32 v1, v31
	v_mad_u64_u32 v[31:32], null, 0x4e441529, v34, v[1:2]
	s_delay_alu instid0(VALU_DEP_1) | instskip(NEXT) | instid1(VALU_DEP_1)
	v_mov_b32_e32 v1, v32
	v_mad_u64_u32 v[32:33], null, 0xa2f9836e, v34, v[1:2]
	v_cndmask_b32_e64 v1, 0, 0xffffffe0, s7
	s_delay_alu instid0(VALU_DEP_4) | instskip(NEXT) | instid1(VALU_DEP_2)
	v_cndmask_b32_e64 v34, v31, v29, s5
	v_add_nc_u32_e32 v1, v1, v35
	s_delay_alu instid0(VALU_DEP_4) | instskip(SKIP_2) | instid1(VALU_DEP_4)
	v_cndmask_b32_e64 v32, v32, v30, s5
	v_cndmask_b32_e64 v31, v33, v31, s5
	;; [unrolled: 1-line block ×3, first 2 shown]
	v_sub_nc_u32_e32 v33, 32, v1
	s_delay_alu instid0(VALU_DEP_4) | instskip(NEXT) | instid1(VALU_DEP_4)
	v_cndmask_b32_e64 v29, v32, v34, s6
	v_cndmask_b32_e64 v31, v31, v32, s6
	s_delay_alu instid0(VALU_DEP_4) | instskip(SKIP_2) | instid1(VALU_DEP_4)
	v_cndmask_b32_e64 v32, v34, v30, s6
	v_cndmask_b32_e64 v30, v30, v27, s6
	v_cmp_eq_u32_e64 s8, 0, v1
	v_cndmask_b32_e64 v31, v31, v29, s7
	s_delay_alu instid0(VALU_DEP_4) | instskip(NEXT) | instid1(VALU_DEP_4)
	v_cndmask_b32_e64 v29, v29, v32, s7
	v_cndmask_b32_e64 v32, v32, v30, s7
	v_cndmask_b32_e64 v26, v30, v26, s7
	s_delay_alu instid0(VALU_DEP_3) | instskip(NEXT) | instid1(VALU_DEP_3)
	v_alignbit_b32 v34, v31, v29, v33
	v_alignbit_b32 v35, v29, v32, v33
	s_delay_alu instid0(VALU_DEP_3) | instskip(NEXT) | instid1(VALU_DEP_3)
	v_alignbit_b32 v33, v32, v26, v33
	v_cndmask_b32_e64 v1, v34, v31, s8
	s_delay_alu instid0(VALU_DEP_3) | instskip(NEXT) | instid1(VALU_DEP_3)
	v_cndmask_b32_e64 v28, v35, v29, s8
	v_cndmask_b32_e64 v32, v33, v32, s8
	s_delay_alu instid0(VALU_DEP_3) | instskip(NEXT) | instid1(VALU_DEP_3)
	v_bfe_u32 v29, v1, 29, 1
	v_alignbit_b32 v27, v1, v28, 30
	s_delay_alu instid0(VALU_DEP_3) | instskip(SKIP_1) | instid1(VALU_DEP_4)
	v_alignbit_b32 v28, v28, v32, 30
	v_alignbit_b32 v26, v32, v26, 30
	v_sub_nc_u32_e32 v31, 0, v29
	s_delay_alu instid0(VALU_DEP_1) | instskip(SKIP_3) | instid1(VALU_DEP_4)
	v_xor_b32_e32 v30, v27, v31
	v_cmp_ne_u32_e64 s5, v27, v31
	v_xor_b32_e32 v28, v28, v31
	v_xor_b32_e32 v26, v26, v31
	v_clz_i32_u32_e32 v34, v30
	s_delay_alu instid0(VALU_DEP_1) | instskip(NEXT) | instid1(VALU_DEP_1)
	v_add_nc_u32_e32 v33, 1, v34
	v_cndmask_b32_e64 v27, 33, v33, s5
	s_delay_alu instid0(VALU_DEP_1) | instskip(NEXT) | instid1(VALU_DEP_1)
	v_sub_nc_u32_e32 v32, 32, v27
	v_alignbit_b32 v30, v30, v28, v32
	v_alignbit_b32 v26, v28, v26, v32
	v_lshrrev_b32_e32 v28, 29, v1
	s_delay_alu instid0(VALU_DEP_2) | instskip(NEXT) | instid1(VALU_DEP_2)
	v_alignbit_b32 v31, v30, v26, 9
	v_lshlrev_b32_e32 v28, 31, v28
	v_alignbit_b32 v30, v27, v30, 9
	s_delay_alu instid0(VALU_DEP_3) | instskip(NEXT) | instid1(VALU_DEP_2)
	v_clz_i32_u32_e32 v32, v31
	v_or_b32_e32 v30, v30, v28
	v_or_b32_e32 v28, 0x33800000, v28
	s_delay_alu instid0(VALU_DEP_3) | instskip(NEXT) | instid1(VALU_DEP_3)
	v_min_u32_e32 v32, 32, v32
	v_xor_b32_e32 v30, 1.0, v30
	s_delay_alu instid0(VALU_DEP_2) | instskip(SKIP_1) | instid1(VALU_DEP_3)
	v_sub_nc_u32_e32 v33, 31, v32
	v_add_lshl_u32 v27, v32, v27, 23
	v_mul_f32_e32 v32, 0x3fc90fda, v30
	s_delay_alu instid0(VALU_DEP_3) | instskip(NEXT) | instid1(VALU_DEP_3)
	v_alignbit_b32 v26, v31, v26, v33
	v_sub_nc_u32_e32 v27, v28, v27
	s_delay_alu instid0(VALU_DEP_3) | instskip(NEXT) | instid1(VALU_DEP_3)
	v_fma_f32 v28, 0x3fc90fda, v30, -v32
	v_lshrrev_b32_e32 v26, 9, v26
	s_delay_alu instid0(VALU_DEP_2) | instskip(NEXT) | instid1(VALU_DEP_2)
	v_fmac_f32_e32 v28, 0x33a22168, v30
	v_or_b32_e32 v26, v27, v26
	s_delay_alu instid0(VALU_DEP_1) | instskip(SKIP_1) | instid1(VALU_DEP_1)
	v_fmac_f32_e32 v28, 0x3fc90fda, v26
	v_lshrrev_b32_e32 v26, 30, v1
	v_dual_add_f32 v1, v32, v28 :: v_dual_add_nc_u32 v26, v29, v26
	s_and_not1_saveexec_b32 s5, s31
	s_cbranch_execnz .LBB139_160
	s_branch .LBB139_161
.LBB139_159:                            ;   in Loop: Header=BB139_4 Depth=1
	s_and_not1_saveexec_b32 s5, s31
.LBB139_160:                            ;   in Loop: Header=BB139_4 Depth=1
	v_mul_f32_e64 v1, 0x3f22f983, |v8|
	s_delay_alu instid0(VALU_DEP_1) | instskip(NEXT) | instid1(VALU_DEP_1)
	v_rndne_f32_e32 v26, v1
	v_fma_f32 v1, 0xbfc90fda, v26, |v8|
	s_delay_alu instid0(VALU_DEP_1) | instskip(NEXT) | instid1(VALU_DEP_1)
	v_fmac_f32_e32 v1, 0xb3a22168, v26
	v_fmac_f32_e32 v1, 0xa7c234c4, v26
	v_cvt_i32_f32_e32 v26, v26
.LBB139_161:                            ;   in Loop: Header=BB139_4 Depth=1
	s_or_b32 exec_lo, exec_lo, s5
	v_mul_f32_e32 v27, 0x3fb8aa3b, v7
	v_dual_mul_f32 v28, v11, v11 :: v_dual_and_b32 v29, 1, v12
	v_lshlrev_b32_e32 v12, 30, v12
	v_dual_mul_f32 v32, v1, v1 :: v_dual_and_b32 v33, 1, v26
	s_delay_alu instid0(VALU_DEP_4) | instskip(SKIP_2) | instid1(VALU_DEP_3)
	v_rndne_f32_e32 v30, v27
	v_fma_f32 v31, 0x3fb8aa3b, v7, -v27
	v_dual_fmaak_f32 v35, s25, v28, 0xbab64f3b :: v_dual_lshlrev_b32 v26, 30, v26
	v_dual_fmaak_f32 v34, s24, v28, 0x3c0881c4 :: v_dual_sub_f32 v27, v27, v30
	s_delay_alu instid0(VALU_DEP_3)
	v_fmac_f32_e32 v31, 0x32a5705f, v7
	v_fmaak_f32 v36, s24, v32, 0x3c0881c4
	v_fmaak_f32 v37, s25, v32, 0xbab64f3b
	v_cmp_eq_u32_e64 s5, 0, v29
	v_cvt_i32_f32_e32 v30, v30
	v_add_f32_e32 v27, v27, v31
	v_fmaak_f32 v31, v28, v34, 0xbe2aaa9d
	v_fmaak_f32 v34, v28, v35, 0x3d2aabf7
	;; [unrolled: 1-line block ×3, first 2 shown]
	v_and_b32_e32 v12, 0x80000000, v12
	v_exp_f32_e32 v27, v27
	v_mul_f32_e32 v31, v28, v31
	v_fmaak_f32 v36, v32, v37, 0x3d2aabf7
	v_mul_f32_e32 v35, v32, v35
	v_fmaak_f32 v34, v28, v34, 0xbf000004
	v_and_or_b32 v25, 0x80000000, v26, v25
	s_delay_alu instid0(VALU_DEP_4) | instskip(NEXT) | instid1(VALU_DEP_4)
	v_dual_fmac_f32 v11, v11, v31 :: v_dual_fmaak_f32 v36, v32, v36, 0xbf000004
	v_fmac_f32_e32 v1, v1, v35
	s_delay_alu instid0(VALU_DEP_4) | instskip(NEXT) | instid1(TRANS32_DEP_1)
	v_fma_f32 v28, v28, v34, 1.0
	v_ldexp_f32 v27, v27, v30
	v_cmp_nlt_f32_e64 s6, 0x42b17218, v7
	v_fma_f32 v31, v32, v36, 1.0
	s_delay_alu instid0(VALU_DEP_4) | instskip(SKIP_1) | instid1(VALU_DEP_2)
	v_cndmask_b32_e64 v11, -v11, v28, s5
	v_cmp_eq_u32_e64 s5, 0, v33
	v_xor_b32_e32 v11, v12, v11
	s_delay_alu instid0(VALU_DEP_2) | instskip(SKIP_1) | instid1(VALU_DEP_2)
	v_cndmask_b32_e64 v1, v31, v1, s5
	v_cmp_ngt_f32_e64 s5, 0xc2ce8ed0, v7
	v_xor3_b32 v1, v25, v1, v8
	s_delay_alu instid0(VALU_DEP_2) | instskip(SKIP_1) | instid1(VALU_DEP_2)
	v_cndmask_b32_e64 v26, 0, v27, s5
	v_cmp_class_f32_e64 s5, v8, 0x1f8
                                        ; implicit-def: $vgpr25
	v_cndmask_b32_e64 v7, 0x7f800000, v26, s6
	s_delay_alu instid0(VALU_DEP_2) | instskip(SKIP_1) | instid1(VALU_DEP_2)
	v_cndmask_b32_e64 v8, 0x7fc00000, v11, s5
	v_cndmask_b32_e64 v1, 0x7fc00000, v1, s5
	v_mul_f32_e32 v11, v7, v8
	s_delay_alu instid0(VALU_DEP_2)
	v_mul_f32_e32 v12, v7, v1
                                        ; implicit-def: $vgpr8
.LBB139_162:                            ;   in Loop: Header=BB139_4 Depth=1
	s_and_not1_saveexec_b32 s30, s30
	s_cbranch_execz .LBB139_172
; %bb.163:                              ;   in Loop: Header=BB139_4 Depth=1
	v_cmp_ngt_f32_e64 s31, 0x48000000, |v8|
                                        ; implicit-def: $vgpr12
                                        ; implicit-def: $vgpr11
	s_delay_alu instid0(VALU_DEP_1) | instskip(NEXT) | instid1(SALU_CYCLE_1)
	s_and_saveexec_b32 s5, s31
	s_xor_b32 s33, exec_lo, s5
	s_cbranch_execz .LBB139_165
; %bb.164:                              ;   in Loop: Header=BB139_4 Depth=1
	v_and_or_b32 v33, v25, s23, 0x800000
	s_delay_alu instid0(VALU_DEP_1) | instskip(NEXT) | instid1(VALU_DEP_1)
	v_mad_u64_u32 v[11:12], null, 0xfe5163ab, v33, 0
	v_mov_b32_e32 v1, v12
	v_lshrrev_b32_e32 v12, 23, v25
	s_delay_alu instid0(VALU_DEP_1) | instskip(NEXT) | instid1(VALU_DEP_3)
	v_add_nc_u32_e32 v12, 0xffffff88, v12
	v_mad_u64_u32 v[26:27], null, 0x3c439041, v33, v[1:2]
	s_delay_alu instid0(VALU_DEP_2) | instskip(NEXT) | instid1(VALU_DEP_1)
	v_cmp_lt_u32_e64 s5, 63, v12
	v_cndmask_b32_e64 v31, 0, 0xffffffc0, s5
	s_delay_alu instid0(VALU_DEP_1) | instskip(NEXT) | instid1(VALU_DEP_1)
	v_add_nc_u32_e32 v12, v31, v12
	v_cmp_lt_u32_e64 s6, 31, v12
	s_delay_alu instid0(VALU_DEP_1) | instskip(NEXT) | instid1(VALU_DEP_1)
	v_cndmask_b32_e64 v32, 0, 0xffffffe0, s6
	v_dual_mov_b32 v1, v27 :: v_dual_add_nc_u32 v12, v32, v12
	s_delay_alu instid0(VALU_DEP_1) | instskip(NEXT) | instid1(VALU_DEP_2)
	v_mad_u64_u32 v[27:28], null, 0xdb629599, v33, v[1:2]
	v_cmp_lt_u32_e64 s7, 31, v12
	s_delay_alu instid0(VALU_DEP_2) | instskip(NEXT) | instid1(VALU_DEP_3)
	v_mov_b32_e32 v1, v28
	v_cndmask_b32_e64 v11, v27, v11, s5
	s_delay_alu instid0(VALU_DEP_2) | instskip(NEXT) | instid1(VALU_DEP_1)
	v_mad_u64_u32 v[28:29], null, 0xf534ddc0, v33, v[1:2]
	v_mov_b32_e32 v1, v29
	s_delay_alu instid0(VALU_DEP_1) | instskip(NEXT) | instid1(VALU_DEP_1)
	v_mad_u64_u32 v[29:30], null, 0xfc2757d1, v33, v[1:2]
	v_mov_b32_e32 v1, v30
	s_delay_alu instid0(VALU_DEP_1) | instskip(NEXT) | instid1(VALU_DEP_1)
	v_mad_u64_u32 v[30:31], null, 0x4e441529, v33, v[1:2]
	v_mov_b32_e32 v1, v31
	s_delay_alu instid0(VALU_DEP_1) | instskip(SKIP_1) | instid1(VALU_DEP_4)
	v_mad_u64_u32 v[31:32], null, 0xa2f9836e, v33, v[1:2]
	v_cndmask_b32_e64 v1, 0, 0xffffffe0, s7
	v_cndmask_b32_e64 v33, v30, v28, s5
	s_delay_alu instid0(VALU_DEP_2) | instskip(NEXT) | instid1(VALU_DEP_4)
	v_add_nc_u32_e32 v1, v1, v12
	v_cndmask_b32_e64 v31, v31, v29, s5
	v_cndmask_b32_e64 v30, v32, v30, s5
	v_cndmask_b32_e64 v29, v29, v27, s5
	v_cndmask_b32_e64 v12, v28, v26, s5
	v_cmp_eq_u32_e64 s8, 0, v1
	v_cndmask_b32_e64 v26, v31, v33, s6
	v_cndmask_b32_e64 v28, v30, v31, s6
	;; [unrolled: 1-line block ×3, first 2 shown]
	v_sub_nc_u32_e32 v31, 32, v1
	v_cndmask_b32_e64 v29, v29, v12, s6
	v_cndmask_b32_e64 v11, v12, v11, s6
	;; [unrolled: 1-line block ×4, first 2 shown]
	s_delay_alu instid0(VALU_DEP_4) | instskip(NEXT) | instid1(VALU_DEP_4)
	v_cndmask_b32_e64 v30, v30, v29, s7
	v_cndmask_b32_e64 v11, v29, v11, s7
	s_delay_alu instid0(VALU_DEP_3) | instskip(NEXT) | instid1(VALU_DEP_3)
	v_alignbit_b32 v32, v28, v26, v31
	v_alignbit_b32 v33, v26, v30, v31
	s_delay_alu instid0(VALU_DEP_3) | instskip(NEXT) | instid1(VALU_DEP_3)
	v_alignbit_b32 v31, v30, v11, v31
	v_cndmask_b32_e64 v1, v32, v28, s8
	s_delay_alu instid0(VALU_DEP_3) | instskip(NEXT) | instid1(VALU_DEP_3)
	v_cndmask_b32_e64 v26, v33, v26, s8
	v_cndmask_b32_e64 v30, v31, v30, s8
	s_delay_alu instid0(VALU_DEP_3) | instskip(NEXT) | instid1(VALU_DEP_3)
	v_bfe_u32 v27, v1, 29, 1
	v_alignbit_b32 v12, v1, v26, 30
	s_delay_alu instid0(VALU_DEP_3) | instskip(SKIP_1) | instid1(VALU_DEP_4)
	v_alignbit_b32 v26, v26, v30, 30
	v_alignbit_b32 v11, v30, v11, 30
	v_sub_nc_u32_e32 v28, 0, v27
	s_delay_alu instid0(VALU_DEP_1) | instskip(SKIP_3) | instid1(VALU_DEP_4)
	v_xor_b32_e32 v29, v12, v28
	v_cmp_ne_u32_e64 s5, v12, v28
	v_xor_b32_e32 v26, v26, v28
	v_xor_b32_e32 v11, v11, v28
	v_clz_i32_u32_e32 v32, v29
	s_delay_alu instid0(VALU_DEP_1) | instskip(NEXT) | instid1(VALU_DEP_1)
	v_add_nc_u32_e32 v31, 1, v32
	v_cndmask_b32_e64 v12, 33, v31, s5
	s_delay_alu instid0(VALU_DEP_1) | instskip(NEXT) | instid1(VALU_DEP_1)
	v_sub_nc_u32_e32 v30, 32, v12
	v_alignbit_b32 v28, v29, v26, v30
	v_alignbit_b32 v11, v26, v11, v30
	v_lshrrev_b32_e32 v26, 29, v1
	v_lshrrev_b32_e32 v1, 30, v1
	s_delay_alu instid0(VALU_DEP_3) | instskip(NEXT) | instid1(VALU_DEP_3)
	v_alignbit_b32 v29, v28, v11, 9
	v_lshlrev_b32_e32 v26, 31, v26
	v_alignbit_b32 v28, v12, v28, 9
	s_delay_alu instid0(VALU_DEP_3) | instskip(NEXT) | instid1(VALU_DEP_2)
	v_clz_i32_u32_e32 v30, v29
	v_or_b32_e32 v28, v28, v26
	v_or_b32_e32 v26, 0x33800000, v26
	s_delay_alu instid0(VALU_DEP_3) | instskip(NEXT) | instid1(VALU_DEP_3)
	v_min_u32_e32 v30, 32, v30
	v_xor_b32_e32 v28, 1.0, v28
	s_delay_alu instid0(VALU_DEP_2) | instskip(SKIP_1) | instid1(VALU_DEP_3)
	v_sub_nc_u32_e32 v31, 31, v30
	v_add_lshl_u32 v12, v30, v12, 23
	v_mul_f32_e32 v30, 0x3fc90fda, v28
	s_delay_alu instid0(VALU_DEP_3) | instskip(NEXT) | instid1(VALU_DEP_3)
	v_alignbit_b32 v11, v29, v11, v31
	v_sub_nc_u32_e32 v12, v26, v12
	s_delay_alu instid0(VALU_DEP_3) | instskip(NEXT) | instid1(VALU_DEP_3)
	v_fma_f32 v26, 0x3fc90fda, v28, -v30
	v_lshrrev_b32_e32 v11, 9, v11
	s_delay_alu instid0(VALU_DEP_2) | instskip(NEXT) | instid1(VALU_DEP_2)
	v_fmac_f32_e32 v26, 0x33a22168, v28
	v_or_b32_e32 v11, v12, v11
	v_add_nc_u32_e32 v12, v27, v1
	s_delay_alu instid0(VALU_DEP_2) | instskip(NEXT) | instid1(VALU_DEP_1)
	v_fmac_f32_e32 v26, 0x3fc90fda, v11
	v_add_f32_e32 v11, v30, v26
	s_and_not1_saveexec_b32 s5, s33
	s_branch .LBB139_166
.LBB139_165:                            ;   in Loop: Header=BB139_4 Depth=1
	s_and_not1_saveexec_b32 s5, s33
.LBB139_166:                            ;   in Loop: Header=BB139_4 Depth=1
	v_mul_f32_e64 v1, 0x3f22f983, |v8|
	s_delay_alu instid0(VALU_DEP_1) | instskip(NEXT) | instid1(VALU_DEP_1)
	v_rndne_f32_e32 v1, v1
	v_fma_f32 v11, 0xbfc90fda, v1, |v8|
	v_cvt_i32_f32_e32 v12, v1
	s_delay_alu instid0(VALU_DEP_2) | instskip(NEXT) | instid1(VALU_DEP_1)
	v_fmac_f32_e32 v11, 0xb3a22168, v1
	v_fmac_f32_e32 v11, 0xa7c234c4, v1
; %bb.167:                              ;   in Loop: Header=BB139_4 Depth=1
	s_or_b32 exec_lo, exec_lo, s5
                                        ; implicit-def: $vgpr26
                                        ; implicit-def: $vgpr1
	s_and_saveexec_b32 s5, s31
	s_delay_alu instid0(SALU_CYCLE_1)
	s_xor_b32 s31, exec_lo, s5
	s_cbranch_execz .LBB139_169
; %bb.168:                              ;   in Loop: Header=BB139_4 Depth=1
	v_and_or_b32 v34, v25, s23, 0x800000
	v_lshrrev_b32_e32 v31, 23, v25
	s_delay_alu instid0(VALU_DEP_2) | instskip(NEXT) | instid1(VALU_DEP_2)
	v_mad_u64_u32 v[26:27], null, 0xfe5163ab, v34, 0
	v_add_nc_u32_e32 v32, 0xffffff88, v31
	s_delay_alu instid0(VALU_DEP_1) | instskip(NEXT) | instid1(VALU_DEP_3)
	v_cmp_lt_u32_e64 s5, 63, v32
	v_mov_b32_e32 v1, v27
	s_delay_alu instid0(VALU_DEP_2) | instskip(NEXT) | instid1(VALU_DEP_2)
	v_cndmask_b32_e64 v33, 0, 0xffffffc0, s5
	v_mad_u64_u32 v[27:28], null, 0x3c439041, v34, v[1:2]
	s_delay_alu instid0(VALU_DEP_2) | instskip(NEXT) | instid1(VALU_DEP_2)
	v_add_nc_u32_e32 v33, v33, v32
	v_mov_b32_e32 v1, v28
	s_delay_alu instid0(VALU_DEP_2) | instskip(NEXT) | instid1(VALU_DEP_2)
	v_cmp_lt_u32_e64 s6, 31, v33
	v_mad_u64_u32 v[28:29], null, 0xdb629599, v34, v[1:2]
	s_delay_alu instid0(VALU_DEP_2) | instskip(NEXT) | instid1(VALU_DEP_1)
	v_cndmask_b32_e64 v35, 0, 0xffffffe0, s6
	v_add_nc_u32_e32 v35, v35, v33
	s_delay_alu instid0(VALU_DEP_3) | instskip(NEXT) | instid1(VALU_DEP_4)
	v_mov_b32_e32 v1, v29
	v_cndmask_b32_e64 v26, v28, v26, s5
	s_delay_alu instid0(VALU_DEP_3) | instskip(NEXT) | instid1(VALU_DEP_3)
	v_cmp_lt_u32_e64 s7, 31, v35
	v_mad_u64_u32 v[29:30], null, 0xf534ddc0, v34, v[1:2]
	s_delay_alu instid0(VALU_DEP_1) | instskip(NEXT) | instid1(VALU_DEP_2)
	v_mov_b32_e32 v1, v30
	v_cndmask_b32_e64 v27, v29, v27, s5
	s_delay_alu instid0(VALU_DEP_2) | instskip(NEXT) | instid1(VALU_DEP_2)
	v_mad_u64_u32 v[30:31], null, 0xfc2757d1, v34, v[1:2]
	v_cndmask_b32_e64 v26, v27, v26, s6
	s_delay_alu instid0(VALU_DEP_2) | instskip(NEXT) | instid1(VALU_DEP_1)
	v_mov_b32_e32 v1, v31
	v_mad_u64_u32 v[31:32], null, 0x4e441529, v34, v[1:2]
	s_delay_alu instid0(VALU_DEP_1) | instskip(NEXT) | instid1(VALU_DEP_1)
	v_mov_b32_e32 v1, v32
	v_mad_u64_u32 v[32:33], null, 0xa2f9836e, v34, v[1:2]
	v_cndmask_b32_e64 v1, 0, 0xffffffe0, s7
	s_delay_alu instid0(VALU_DEP_4) | instskip(NEXT) | instid1(VALU_DEP_2)
	v_cndmask_b32_e64 v34, v31, v29, s5
	v_add_nc_u32_e32 v1, v1, v35
	s_delay_alu instid0(VALU_DEP_4) | instskip(SKIP_2) | instid1(VALU_DEP_4)
	v_cndmask_b32_e64 v32, v32, v30, s5
	v_cndmask_b32_e64 v31, v33, v31, s5
	;; [unrolled: 1-line block ×3, first 2 shown]
	v_sub_nc_u32_e32 v33, 32, v1
	s_delay_alu instid0(VALU_DEP_4) | instskip(NEXT) | instid1(VALU_DEP_4)
	v_cndmask_b32_e64 v29, v32, v34, s6
	v_cndmask_b32_e64 v31, v31, v32, s6
	s_delay_alu instid0(VALU_DEP_4) | instskip(SKIP_2) | instid1(VALU_DEP_4)
	v_cndmask_b32_e64 v32, v34, v30, s6
	v_cndmask_b32_e64 v30, v30, v27, s6
	v_cmp_eq_u32_e64 s8, 0, v1
	v_cndmask_b32_e64 v31, v31, v29, s7
	s_delay_alu instid0(VALU_DEP_4) | instskip(NEXT) | instid1(VALU_DEP_4)
	v_cndmask_b32_e64 v29, v29, v32, s7
	v_cndmask_b32_e64 v32, v32, v30, s7
	;; [unrolled: 1-line block ×3, first 2 shown]
	s_delay_alu instid0(VALU_DEP_3) | instskip(NEXT) | instid1(VALU_DEP_3)
	v_alignbit_b32 v34, v31, v29, v33
	v_alignbit_b32 v35, v29, v32, v33
	s_delay_alu instid0(VALU_DEP_3) | instskip(NEXT) | instid1(VALU_DEP_3)
	v_alignbit_b32 v33, v32, v26, v33
	v_cndmask_b32_e64 v1, v34, v31, s8
	s_delay_alu instid0(VALU_DEP_3) | instskip(NEXT) | instid1(VALU_DEP_3)
	v_cndmask_b32_e64 v28, v35, v29, s8
	v_cndmask_b32_e64 v32, v33, v32, s8
	s_delay_alu instid0(VALU_DEP_3) | instskip(NEXT) | instid1(VALU_DEP_3)
	v_bfe_u32 v29, v1, 29, 1
	v_alignbit_b32 v27, v1, v28, 30
	s_delay_alu instid0(VALU_DEP_3) | instskip(SKIP_1) | instid1(VALU_DEP_4)
	v_alignbit_b32 v28, v28, v32, 30
	v_alignbit_b32 v26, v32, v26, 30
	v_sub_nc_u32_e32 v31, 0, v29
	s_delay_alu instid0(VALU_DEP_1) | instskip(SKIP_3) | instid1(VALU_DEP_4)
	v_xor_b32_e32 v30, v27, v31
	v_cmp_ne_u32_e64 s5, v27, v31
	v_xor_b32_e32 v28, v28, v31
	v_xor_b32_e32 v26, v26, v31
	v_clz_i32_u32_e32 v34, v30
	s_delay_alu instid0(VALU_DEP_1) | instskip(NEXT) | instid1(VALU_DEP_1)
	v_add_nc_u32_e32 v33, 1, v34
	v_cndmask_b32_e64 v27, 33, v33, s5
	s_delay_alu instid0(VALU_DEP_1) | instskip(NEXT) | instid1(VALU_DEP_1)
	v_sub_nc_u32_e32 v32, 32, v27
	v_alignbit_b32 v30, v30, v28, v32
	v_alignbit_b32 v26, v28, v26, v32
	v_lshrrev_b32_e32 v28, 29, v1
	s_delay_alu instid0(VALU_DEP_2) | instskip(NEXT) | instid1(VALU_DEP_2)
	v_alignbit_b32 v31, v30, v26, 9
	v_lshlrev_b32_e32 v28, 31, v28
	v_alignbit_b32 v30, v27, v30, 9
	s_delay_alu instid0(VALU_DEP_3) | instskip(NEXT) | instid1(VALU_DEP_2)
	v_clz_i32_u32_e32 v32, v31
	v_or_b32_e32 v30, v30, v28
	v_or_b32_e32 v28, 0x33800000, v28
	s_delay_alu instid0(VALU_DEP_3) | instskip(NEXT) | instid1(VALU_DEP_3)
	v_min_u32_e32 v32, 32, v32
	v_xor_b32_e32 v30, 1.0, v30
	s_delay_alu instid0(VALU_DEP_2) | instskip(SKIP_1) | instid1(VALU_DEP_3)
	v_sub_nc_u32_e32 v33, 31, v32
	v_add_lshl_u32 v27, v32, v27, 23
	v_mul_f32_e32 v32, 0x3fc90fda, v30
	s_delay_alu instid0(VALU_DEP_3) | instskip(NEXT) | instid1(VALU_DEP_3)
	v_alignbit_b32 v26, v31, v26, v33
	v_sub_nc_u32_e32 v27, v28, v27
	s_delay_alu instid0(VALU_DEP_3) | instskip(NEXT) | instid1(VALU_DEP_3)
	v_fma_f32 v28, 0x3fc90fda, v30, -v32
	v_lshrrev_b32_e32 v26, 9, v26
	s_delay_alu instid0(VALU_DEP_2) | instskip(NEXT) | instid1(VALU_DEP_2)
	v_fmac_f32_e32 v28, 0x33a22168, v30
	v_or_b32_e32 v26, v27, v26
	s_delay_alu instid0(VALU_DEP_1) | instskip(SKIP_1) | instid1(VALU_DEP_1)
	v_fmac_f32_e32 v28, 0x3fc90fda, v26
	v_lshrrev_b32_e32 v26, 30, v1
	v_dual_add_f32 v1, v32, v28 :: v_dual_add_nc_u32 v26, v29, v26
	s_and_not1_saveexec_b32 s5, s31
	s_cbranch_execnz .LBB139_170
	s_branch .LBB139_171
.LBB139_169:                            ;   in Loop: Header=BB139_4 Depth=1
	s_and_not1_saveexec_b32 s5, s31
.LBB139_170:                            ;   in Loop: Header=BB139_4 Depth=1
	v_mul_f32_e64 v1, 0x3f22f983, |v8|
	s_delay_alu instid0(VALU_DEP_1) | instskip(NEXT) | instid1(VALU_DEP_1)
	v_rndne_f32_e32 v26, v1
	v_fma_f32 v1, 0xbfc90fda, v26, |v8|
	s_delay_alu instid0(VALU_DEP_1) | instskip(NEXT) | instid1(VALU_DEP_1)
	v_fmac_f32_e32 v1, 0xb3a22168, v26
	v_fmac_f32_e32 v1, 0xa7c234c4, v26
	v_cvt_i32_f32_e32 v26, v26
.LBB139_171:                            ;   in Loop: Header=BB139_4 Depth=1
	s_or_b32 exec_lo, exec_lo, s5
	v_add_f32_e32 v7, 0xc322e3bc, v7
	s_delay_alu instid0(VALU_DEP_2) | instskip(NEXT) | instid1(VALU_DEP_2)
	v_dual_mul_f32 v30, v11, v11 :: v_dual_mul_f32 v31, v1, v1
	v_mul_f32_e32 v27, 0x3fb8aa3b, v7
	s_delay_alu instid0(VALU_DEP_2) | instskip(NEXT) | instid1(VALU_DEP_3)
	v_fmaak_f32 v32, s25, v30, 0xbab64f3b
	v_dual_fmaak_f32 v33, s24, v30, 0x3c0881c4 :: v_dual_fmaak_f32 v34, s24, v31, 0x3c0881c4
	s_delay_alu instid0(VALU_DEP_3) | instskip(SKIP_1) | instid1(VALU_DEP_3)
	v_fma_f32 v28, 0x3fb8aa3b, v7, -v27
	v_rndne_f32_e32 v29, v27
	v_fmaak_f32 v34, v31, v34, 0xbe2aaa9d
	s_delay_alu instid0(VALU_DEP_2) | instskip(NEXT) | instid1(VALU_DEP_2)
	v_dual_fmac_f32 v28, 0x32a5705f, v7 :: v_dual_sub_f32 v27, v27, v29
	v_mul_f32_e32 v34, v31, v34
	s_delay_alu instid0(VALU_DEP_2)
	v_add_f32_e32 v27, v27, v28
	v_cvt_i32_f32_e32 v28, v29
	v_lshlrev_b32_e32 v29, 30, v12
	v_and_b32_e32 v12, 1, v12
	v_cmp_ngt_f32_e64 s5, 0xc2ce8ed0, v7
	v_exp_f32_e32 v27, v27
	v_fmac_f32_e32 v1, v1, v34
	s_waitcnt_depctr 0xfff
	v_ldexp_f32 v27, v27, v28
	v_and_b32_e32 v28, 1, v26
	v_lshlrev_b32_e32 v26, 30, v26
	s_delay_alu instid0(VALU_DEP_3) | instskip(SKIP_1) | instid1(VALU_DEP_3)
	v_cndmask_b32_e64 v27, 0, v27, s5
	v_cmp_nlt_f32_e64 s5, 0x42b17218, v7
	v_and_or_b32 v25, 0x80000000, v26, v25
	s_delay_alu instid0(VALU_DEP_2)
	v_cndmask_b32_e64 v7, 0x7f800000, v27, s5
	v_fmaak_f32 v27, s25, v31, 0xbab64f3b
	v_fmaak_f32 v26, v30, v32, 0x3d2aabf7
	;; [unrolled: 1-line block ×3, first 2 shown]
	v_and_b32_e32 v29, 0x80000000, v29
	v_lshrrev_b32_e32 v33, 23, v7
	v_fmaak_f32 v27, v31, v27, 0x3d2aabf7
	v_fmaak_f32 v26, v30, v26, 0xbf000004
	v_mul_f32_e32 v32, v30, v32
	v_cmp_eq_u32_e64 s5, 0, v12
	v_subrev_nc_u32_e32 v33, 19, v33
	v_fmaak_f32 v27, v31, v27, 0xbf000004
	v_fma_f32 v26, v30, v26, 1.0
	v_and_or_b32 v7, 0x7fffff, v7, s26
	v_fmac_f32_e32 v11, v11, v32
	v_lshrrev_b16 v30, 15, v33
	v_fma_f32 v27, v31, v27, 1.0
	s_delay_alu instid0(VALU_DEP_3) | instskip(SKIP_1) | instid1(VALU_DEP_4)
	v_cndmask_b32_e64 v11, -v11, v26, s5
	v_cmp_eq_u32_e64 s5, 0, v28
	v_add_nc_u16 v12, v33, v30
	s_delay_alu instid0(VALU_DEP_3) | instskip(NEXT) | instid1(VALU_DEP_3)
	v_xor_b32_e32 v11, v29, v11
	v_cndmask_b32_e64 v1, v27, v1, s5
	s_delay_alu instid0(VALU_DEP_3) | instskip(SKIP_1) | instid1(VALU_DEP_3)
	v_ashrrev_i16 v12, 1, v12
	v_cmp_class_f32_e64 s5, v8, 0x1f8
	v_xor3_b32 v1, v25, v1, v8
	s_delay_alu instid0(VALU_DEP_2) | instskip(NEXT) | instid1(VALU_DEP_4)
	v_cndmask_b32_e64 v8, 0x7fc00000, v11, s5
	v_bfe_i32 v11, v12, 0, 16
	s_delay_alu instid0(VALU_DEP_3) | instskip(NEXT) | instid1(VALU_DEP_3)
	v_cndmask_b32_e64 v1, 0x7fc00000, v1, s5
	v_mul_f32_e32 v8, v8, v7
	s_delay_alu instid0(VALU_DEP_3) | instskip(SKIP_1) | instid1(VALU_DEP_4)
	v_lshl_add_u32 v12, v11, 23, 1.0
	v_sub_nc_u32_e32 v11, v33, v11
	v_mul_f32_e32 v1, v1, v7
	s_delay_alu instid0(VALU_DEP_3) | instskip(NEXT) | instid1(VALU_DEP_3)
	v_mul_f32_e32 v7, v8, v12
	v_lshl_add_u32 v8, v11, 23, 1.0
	s_delay_alu instid0(VALU_DEP_3) | instskip(NEXT) | instid1(VALU_DEP_2)
	v_mul_f32_e32 v1, v1, v12
	v_mul_f32_e32 v11, v7, v8
	s_delay_alu instid0(VALU_DEP_2)
	v_mul_f32_e32 v12, v1, v8
.LBB139_172:                            ;   in Loop: Header=BB139_4 Depth=1
	s_or_b32 exec_lo, exec_lo, s30
                                        ; implicit-def: $vgpr7
                                        ; implicit-def: $vgpr1
.LBB139_173:                            ;   in Loop: Header=BB139_4 Depth=1
	s_and_not1_saveexec_b32 s6, s29
	s_cbranch_execz .LBB139_179
; %bb.174:                              ;   in Loop: Header=BB139_4 Depth=1
	v_cmp_ne_u32_e64 s5, 0x7f800000, v1
	v_sub_f32_e32 v12, v8, v8
	s_delay_alu instid0(VALU_DEP_2) | instskip(NEXT) | instid1(SALU_CYCLE_1)
	s_and_saveexec_b32 s7, s5
	s_xor_b32 s5, exec_lo, s7
; %bb.175:                              ;   in Loop: Header=BB139_4 Depth=1
                                        ; implicit-def: $vgpr7
; %bb.176:                              ;   in Loop: Header=BB139_4 Depth=1
	s_delay_alu instid0(SALU_CYCLE_1) | instskip(NEXT) | instid1(VALU_DEP_1)
	s_or_saveexec_b32 s7, s5
	v_mov_b32_e32 v11, v12
	s_xor_b32 exec_lo, exec_lo, s7
; %bb.177:                              ;   in Loop: Header=BB139_4 Depth=1
	v_cmp_lt_i32_e64 s5, -1, v7
	s_delay_alu instid0(VALU_DEP_1)
	v_cndmask_b32_e64 v11, 0, v7, s5
	v_cndmask_b32_e64 v12, 0, v12, s5
; %bb.178:                              ;   in Loop: Header=BB139_4 Depth=1
	s_or_b32 exec_lo, exec_lo, s7
.LBB139_179:                            ;   in Loop: Header=BB139_4 Depth=1
	s_delay_alu instid0(SALU_CYCLE_1)
	s_or_b32 exec_lo, exec_lo, s6
                                        ; implicit-def: $vgpr8
                                        ; implicit-def: $vgpr25
.LBB139_180:                            ;   in Loop: Header=BB139_4 Depth=1
	s_and_not1_saveexec_b32 s28, s28
	s_cbranch_execz .LBB139_190
; %bb.181:                              ;   in Loop: Header=BB139_4 Depth=1
	v_lshrrev_b32_e32 v1, 23, v25
	v_cmp_ngt_f32_e64 s29, 0x48000000, |v8|
	v_and_or_b32 v12, v25, s23, 0x800000
                                        ; implicit-def: $vgpr11
                                        ; implicit-def: $vgpr7
	s_delay_alu instid0(VALU_DEP_3) | instskip(NEXT) | instid1(VALU_DEP_3)
	v_add_nc_u32_e32 v26, 0xffffff88, v1
	s_and_saveexec_b32 s5, s29
	s_delay_alu instid0(SALU_CYCLE_1)
	s_xor_b32 s30, exec_lo, s5
	s_cbranch_execz .LBB139_183
; %bb.182:                              ;   in Loop: Header=BB139_4 Depth=1
	v_mad_u64_u32 v[27:28], null, 0xfe5163ab, v12, 0
	v_cmp_lt_u32_e64 s5, 63, v26
	s_delay_alu instid0(VALU_DEP_1) | instskip(NEXT) | instid1(VALU_DEP_3)
	v_cndmask_b32_e64 v7, 0, 0xffffffc0, s5
	v_mov_b32_e32 v1, v28
	s_delay_alu instid0(VALU_DEP_2) | instskip(NEXT) | instid1(VALU_DEP_2)
	v_add_nc_u32_e32 v7, v7, v26
	v_mad_u64_u32 v[28:29], null, 0x3c439041, v12, v[1:2]
	s_delay_alu instid0(VALU_DEP_2) | instskip(NEXT) | instid1(VALU_DEP_2)
	v_cmp_lt_u32_e64 s6, 31, v7
	v_mov_b32_e32 v1, v29
	s_delay_alu instid0(VALU_DEP_2) | instskip(NEXT) | instid1(VALU_DEP_2)
	v_cndmask_b32_e64 v11, 0, 0xffffffe0, s6
	v_mad_u64_u32 v[29:30], null, 0xdb629599, v12, v[1:2]
	s_delay_alu instid0(VALU_DEP_2) | instskip(NEXT) | instid1(VALU_DEP_1)
	v_add_nc_u32_e32 v7, v11, v7
	v_cmp_lt_u32_e64 s7, 31, v7
	s_delay_alu instid0(VALU_DEP_3) | instskip(NEXT) | instid1(VALU_DEP_4)
	v_mov_b32_e32 v1, v30
	v_cndmask_b32_e64 v27, v29, v27, s5
	s_delay_alu instid0(VALU_DEP_2) | instskip(NEXT) | instid1(VALU_DEP_1)
	v_mad_u64_u32 v[30:31], null, 0xf534ddc0, v12, v[1:2]
	v_mov_b32_e32 v1, v31
	s_delay_alu instid0(VALU_DEP_1) | instskip(NEXT) | instid1(VALU_DEP_1)
	v_mad_u64_u32 v[31:32], null, 0xfc2757d1, v12, v[1:2]
	v_mov_b32_e32 v1, v32
	s_delay_alu instid0(VALU_DEP_1) | instskip(NEXT) | instid1(VALU_DEP_1)
	v_mad_u64_u32 v[32:33], null, 0x4e441529, v12, v[1:2]
	v_mov_b32_e32 v1, v33
	s_delay_alu instid0(VALU_DEP_2) | instskip(NEXT) | instid1(VALU_DEP_2)
	v_cndmask_b32_e64 v11, v32, v30, s5
	v_mad_u64_u32 v[33:34], null, 0xa2f9836e, v12, v[1:2]
	v_cndmask_b32_e64 v1, 0, 0xffffffe0, s7
	s_delay_alu instid0(VALU_DEP_1) | instskip(NEXT) | instid1(VALU_DEP_3)
	v_add_nc_u32_e32 v1, v1, v7
	v_cndmask_b32_e64 v33, v33, v31, s5
	s_delay_alu instid0(VALU_DEP_4)
	v_cndmask_b32_e64 v32, v34, v32, s5
	v_cndmask_b32_e64 v31, v31, v29, s5
	;; [unrolled: 1-line block ×3, first 2 shown]
	v_cmp_eq_u32_e64 s8, 0, v1
	v_cndmask_b32_e64 v28, v33, v11, s6
	v_cndmask_b32_e64 v30, v32, v33, s6
	;; [unrolled: 1-line block ×3, first 2 shown]
	v_sub_nc_u32_e32 v32, 32, v1
	v_cndmask_b32_e64 v31, v31, v7, s6
	v_cndmask_b32_e64 v7, v7, v27, s6
	;; [unrolled: 1-line block ×4, first 2 shown]
	s_delay_alu instid0(VALU_DEP_4) | instskip(NEXT) | instid1(VALU_DEP_4)
	v_cndmask_b32_e64 v11, v11, v31, s7
	v_cndmask_b32_e64 v7, v31, v7, s7
	s_delay_alu instid0(VALU_DEP_3) | instskip(NEXT) | instid1(VALU_DEP_3)
	v_alignbit_b32 v33, v30, v28, v32
	v_alignbit_b32 v34, v28, v11, v32
	s_delay_alu instid0(VALU_DEP_3) | instskip(NEXT) | instid1(VALU_DEP_3)
	v_alignbit_b32 v32, v11, v7, v32
	v_cndmask_b32_e64 v1, v33, v30, s8
	s_delay_alu instid0(VALU_DEP_3) | instskip(NEXT) | instid1(VALU_DEP_3)
	v_cndmask_b32_e64 v28, v34, v28, s8
	v_cndmask_b32_e64 v11, v32, v11, s8
	s_delay_alu instid0(VALU_DEP_3) | instskip(NEXT) | instid1(VALU_DEP_3)
	v_bfe_u32 v29, v1, 29, 1
	v_alignbit_b32 v27, v1, v28, 30
	s_delay_alu instid0(VALU_DEP_3) | instskip(SKIP_1) | instid1(VALU_DEP_4)
	v_alignbit_b32 v28, v28, v11, 30
	v_alignbit_b32 v7, v11, v7, 30
	v_sub_nc_u32_e32 v30, 0, v29
	s_delay_alu instid0(VALU_DEP_1) | instskip(SKIP_3) | instid1(VALU_DEP_4)
	v_xor_b32_e32 v31, v27, v30
	v_cmp_ne_u32_e64 s5, v27, v30
	v_xor_b32_e32 v11, v28, v30
	v_xor_b32_e32 v7, v7, v30
	v_clz_i32_u32_e32 v33, v31
	s_delay_alu instid0(VALU_DEP_1) | instskip(NEXT) | instid1(VALU_DEP_1)
	v_add_nc_u32_e32 v32, 1, v33
	v_cndmask_b32_e64 v27, 33, v32, s5
	s_delay_alu instid0(VALU_DEP_1) | instskip(NEXT) | instid1(VALU_DEP_1)
	v_sub_nc_u32_e32 v28, 32, v27
	v_alignbit_b32 v30, v31, v11, v28
	v_alignbit_b32 v7, v11, v7, v28
	v_lshrrev_b32_e32 v11, 29, v1
	v_lshrrev_b32_e32 v1, 30, v1
	s_delay_alu instid0(VALU_DEP_3) | instskip(NEXT) | instid1(VALU_DEP_3)
	v_alignbit_b32 v28, v30, v7, 9
	v_lshlrev_b32_e32 v11, 31, v11
	v_alignbit_b32 v30, v27, v30, 9
	s_delay_alu instid0(VALU_DEP_3) | instskip(NEXT) | instid1(VALU_DEP_2)
	v_clz_i32_u32_e32 v31, v28
	v_or_b32_e32 v30, v30, v11
	v_or_b32_e32 v11, 0x33800000, v11
	s_delay_alu instid0(VALU_DEP_3) | instskip(NEXT) | instid1(VALU_DEP_3)
	v_min_u32_e32 v31, 32, v31
	v_xor_b32_e32 v30, 1.0, v30
	s_delay_alu instid0(VALU_DEP_2) | instskip(SKIP_1) | instid1(VALU_DEP_3)
	v_sub_nc_u32_e32 v32, 31, v31
	v_add_lshl_u32 v27, v31, v27, 23
	v_mul_f32_e32 v31, 0x3fc90fda, v30
	s_delay_alu instid0(VALU_DEP_3) | instskip(NEXT) | instid1(VALU_DEP_3)
	v_alignbit_b32 v7, v28, v7, v32
	v_sub_nc_u32_e32 v11, v11, v27
	s_delay_alu instid0(VALU_DEP_3) | instskip(NEXT) | instid1(VALU_DEP_3)
	v_fma_f32 v27, 0x3fc90fda, v30, -v31
	v_lshrrev_b32_e32 v7, 9, v7
	s_delay_alu instid0(VALU_DEP_2) | instskip(NEXT) | instid1(VALU_DEP_2)
	v_fmac_f32_e32 v27, 0x33a22168, v30
	v_or_b32_e32 v7, v11, v7
	v_add_nc_u32_e32 v11, v29, v1
	s_delay_alu instid0(VALU_DEP_2) | instskip(NEXT) | instid1(VALU_DEP_1)
	v_fmac_f32_e32 v27, 0x3fc90fda, v7
	v_add_f32_e32 v7, v31, v27
.LBB139_183:                            ;   in Loop: Header=BB139_4 Depth=1
	s_or_saveexec_b32 s5, s30
	v_mul_f32_e64 v1, 0x3f22f983, |v8|
	s_delay_alu instid0(VALU_DEP_1)
	v_rndne_f32_e32 v28, v1
	s_xor_b32 exec_lo, exec_lo, s5
; %bb.184:                              ;   in Loop: Header=BB139_4 Depth=1
	s_delay_alu instid0(VALU_DEP_1) | instskip(SKIP_1) | instid1(VALU_DEP_2)
	v_fma_f32 v7, 0xbfc90fda, v28, |v8|
	v_cvt_i32_f32_e32 v11, v28
	v_fmac_f32_e32 v7, 0xb3a22168, v28
	s_delay_alu instid0(VALU_DEP_1)
	v_fmac_f32_e32 v7, 0xa7c234c4, v28
; %bb.185:                              ;   in Loop: Header=BB139_4 Depth=1
	s_or_b32 exec_lo, exec_lo, s5
                                        ; implicit-def: $vgpr27
                                        ; implicit-def: $vgpr1
	s_and_saveexec_b32 s5, s29
	s_delay_alu instid0(SALU_CYCLE_1)
	s_xor_b32 s29, exec_lo, s5
	s_cbranch_execz .LBB139_187
; %bb.186:                              ;   in Loop: Header=BB139_4 Depth=1
	v_mad_u64_u32 v[27:28], null, 0xfe5163ab, v12, 0
	v_cmp_lt_u32_e64 s5, 63, v26
	s_delay_alu instid0(VALU_DEP_1) | instskip(NEXT) | instid1(VALU_DEP_1)
	v_cndmask_b32_e64 v33, 0, 0xffffffc0, s5
	v_dual_mov_b32 v1, v28 :: v_dual_add_nc_u32 v26, v33, v26
	s_delay_alu instid0(VALU_DEP_1) | instskip(NEXT) | instid1(VALU_DEP_2)
	v_mad_u64_u32 v[28:29], null, 0x3c439041, v12, v[1:2]
	v_cmp_lt_u32_e64 s6, 31, v26
	s_delay_alu instid0(VALU_DEP_1) | instskip(NEXT) | instid1(VALU_DEP_1)
	v_cndmask_b32_e64 v34, 0, 0xffffffe0, s6
	v_dual_mov_b32 v1, v29 :: v_dual_add_nc_u32 v26, v34, v26
	s_delay_alu instid0(VALU_DEP_1) | instskip(NEXT) | instid1(VALU_DEP_2)
	v_mad_u64_u32 v[29:30], null, 0xdb629599, v12, v[1:2]
	v_cmp_lt_u32_e64 s7, 31, v26
	s_delay_alu instid0(VALU_DEP_2) | instskip(NEXT) | instid1(VALU_DEP_3)
	v_mov_b32_e32 v1, v30
	v_cndmask_b32_e64 v27, v29, v27, s5
	s_delay_alu instid0(VALU_DEP_2) | instskip(NEXT) | instid1(VALU_DEP_1)
	v_mad_u64_u32 v[30:31], null, 0xf534ddc0, v12, v[1:2]
	v_mov_b32_e32 v1, v31
	s_delay_alu instid0(VALU_DEP_1) | instskip(NEXT) | instid1(VALU_DEP_1)
	v_mad_u64_u32 v[31:32], null, 0xfc2757d1, v12, v[1:2]
	v_mov_b32_e32 v1, v32
	s_delay_alu instid0(VALU_DEP_1) | instskip(NEXT) | instid1(VALU_DEP_1)
	v_mad_u64_u32 v[32:33], null, 0x4e441529, v12, v[1:2]
	v_mov_b32_e32 v1, v33
	s_delay_alu instid0(VALU_DEP_1) | instskip(SKIP_1) | instid1(VALU_DEP_4)
	v_mad_u64_u32 v[33:34], null, 0xa2f9836e, v12, v[1:2]
	v_cndmask_b32_e64 v1, 0, 0xffffffe0, s7
	v_cndmask_b32_e64 v12, v32, v30, s5
	s_delay_alu instid0(VALU_DEP_2) | instskip(NEXT) | instid1(VALU_DEP_4)
	v_add_nc_u32_e32 v1, v1, v26
	v_cndmask_b32_e64 v33, v33, v31, s5
	v_cndmask_b32_e64 v32, v34, v32, s5
	;; [unrolled: 1-line block ×4, first 2 shown]
	v_cmp_eq_u32_e64 s8, 0, v1
	v_cndmask_b32_e64 v28, v33, v12, s6
	v_cndmask_b32_e64 v30, v32, v33, s6
	;; [unrolled: 1-line block ×3, first 2 shown]
	v_sub_nc_u32_e32 v32, 32, v1
	v_cndmask_b32_e64 v31, v31, v26, s6
	v_cndmask_b32_e64 v26, v26, v27, s6
	;; [unrolled: 1-line block ×4, first 2 shown]
	s_delay_alu instid0(VALU_DEP_4) | instskip(NEXT) | instid1(VALU_DEP_4)
	v_cndmask_b32_e64 v12, v12, v31, s7
	v_cndmask_b32_e64 v26, v31, v26, s7
	s_delay_alu instid0(VALU_DEP_3) | instskip(NEXT) | instid1(VALU_DEP_3)
	v_alignbit_b32 v33, v30, v28, v32
	v_alignbit_b32 v34, v28, v12, v32
	s_delay_alu instid0(VALU_DEP_3) | instskip(NEXT) | instid1(VALU_DEP_3)
	v_alignbit_b32 v32, v12, v26, v32
	v_cndmask_b32_e64 v1, v33, v30, s8
	s_delay_alu instid0(VALU_DEP_3) | instskip(NEXT) | instid1(VALU_DEP_3)
	v_cndmask_b32_e64 v28, v34, v28, s8
	v_cndmask_b32_e64 v12, v32, v12, s8
	s_delay_alu instid0(VALU_DEP_3) | instskip(NEXT) | instid1(VALU_DEP_3)
	v_bfe_u32 v29, v1, 29, 1
	v_alignbit_b32 v27, v1, v28, 30
	s_delay_alu instid0(VALU_DEP_3) | instskip(SKIP_1) | instid1(VALU_DEP_4)
	v_alignbit_b32 v28, v28, v12, 30
	v_alignbit_b32 v12, v12, v26, 30
	v_sub_nc_u32_e32 v30, 0, v29
	s_delay_alu instid0(VALU_DEP_1) | instskip(SKIP_3) | instid1(VALU_DEP_4)
	v_xor_b32_e32 v31, v27, v30
	v_cmp_ne_u32_e64 s5, v27, v30
	v_xor_b32_e32 v26, v28, v30
	v_xor_b32_e32 v12, v12, v30
	v_clz_i32_u32_e32 v33, v31
	s_delay_alu instid0(VALU_DEP_1) | instskip(NEXT) | instid1(VALU_DEP_1)
	v_add_nc_u32_e32 v32, 1, v33
	v_cndmask_b32_e64 v27, 33, v32, s5
	s_delay_alu instid0(VALU_DEP_1) | instskip(NEXT) | instid1(VALU_DEP_1)
	v_sub_nc_u32_e32 v28, 32, v27
	v_alignbit_b32 v30, v31, v26, v28
	v_alignbit_b32 v12, v26, v12, v28
	v_lshrrev_b32_e32 v26, 29, v1
	s_delay_alu instid0(VALU_DEP_2) | instskip(NEXT) | instid1(VALU_DEP_2)
	v_alignbit_b32 v28, v30, v12, 9
	v_lshlrev_b32_e32 v26, 31, v26
	v_alignbit_b32 v30, v27, v30, 9
	s_delay_alu instid0(VALU_DEP_3) | instskip(NEXT) | instid1(VALU_DEP_2)
	v_clz_i32_u32_e32 v31, v28
	v_or_b32_e32 v30, v30, v26
	v_or_b32_e32 v26, 0x33800000, v26
	s_delay_alu instid0(VALU_DEP_3) | instskip(NEXT) | instid1(VALU_DEP_3)
	v_min_u32_e32 v31, 32, v31
	v_xor_b32_e32 v30, 1.0, v30
	s_delay_alu instid0(VALU_DEP_2) | instskip(SKIP_1) | instid1(VALU_DEP_3)
	v_sub_nc_u32_e32 v32, 31, v31
	v_add_lshl_u32 v27, v31, v27, 23
	v_mul_f32_e32 v31, 0x3fc90fda, v30
	s_delay_alu instid0(VALU_DEP_3) | instskip(NEXT) | instid1(VALU_DEP_3)
	v_alignbit_b32 v12, v28, v12, v32
	v_sub_nc_u32_e32 v26, v26, v27
	s_delay_alu instid0(VALU_DEP_3) | instskip(NEXT) | instid1(VALU_DEP_3)
	v_fma_f32 v27, 0x3fc90fda, v30, -v31
                                        ; implicit-def: $vgpr28
	v_lshrrev_b32_e32 v12, 9, v12
	s_delay_alu instid0(VALU_DEP_2) | instskip(NEXT) | instid1(VALU_DEP_2)
	v_fmac_f32_e32 v27, 0x33a22168, v30
	v_or_b32_e32 v12, v26, v12
	s_delay_alu instid0(VALU_DEP_1) | instskip(SKIP_1) | instid1(VALU_DEP_2)
	v_fmac_f32_e32 v27, 0x3fc90fda, v12
	v_lshrrev_b32_e32 v12, 30, v1
	v_add_f32_e32 v1, v31, v27
	s_delay_alu instid0(VALU_DEP_2)
	v_add_nc_u32_e32 v27, v29, v12
	s_and_not1_saveexec_b32 s5, s29
	s_cbranch_execnz .LBB139_188
	s_branch .LBB139_189
.LBB139_187:                            ;   in Loop: Header=BB139_4 Depth=1
	s_and_not1_saveexec_b32 s5, s29
.LBB139_188:                            ;   in Loop: Header=BB139_4 Depth=1
	v_fma_f32 v1, 0xbfc90fda, v28, |v8|
	v_cvt_i32_f32_e32 v27, v28
	s_delay_alu instid0(VALU_DEP_2) | instskip(NEXT) | instid1(VALU_DEP_1)
	v_fmac_f32_e32 v1, 0xb3a22168, v28
	v_fmac_f32_e32 v1, 0xa7c234c4, v28
.LBB139_189:                            ;   in Loop: Header=BB139_4 Depth=1
	s_or_b32 exec_lo, exec_lo, s5
	s_delay_alu instid0(VALU_DEP_1)
	v_mul_f32_e32 v26, v1, v1
	v_and_b32_e32 v28, 1, v11
	v_lshlrev_b32_e32 v11, 30, v11
	v_mul_f32_e32 v12, v7, v7
	v_and_b32_e32 v33, 1, v27
	v_fmaak_f32 v31, s24, v26, 0x3c0881c4
	v_dual_fmaak_f32 v32, s25, v26, 0xbab64f3b :: v_dual_lshlrev_b32 v27, 30, v27
	s_delay_alu instid0(VALU_DEP_4) | instskip(SKIP_1) | instid1(VALU_DEP_4)
	v_fmaak_f32 v29, s24, v12, 0x3c0881c4
	v_fmaak_f32 v30, s25, v12, 0xbab64f3b
	;; [unrolled: 1-line block ×3, first 2 shown]
	v_cmp_eq_u32_e64 s5, 0, v28
	v_and_b32_e32 v11, 0x80000000, v11
	v_fmaak_f32 v29, v12, v29, 0xbe2aaa9d
	s_delay_alu instid0(VALU_DEP_4) | instskip(SKIP_2) | instid1(VALU_DEP_4)
	v_dual_fmaak_f32 v30, v12, v30, 0x3d2aabf7 :: v_dual_mul_f32 v31, v26, v31
	v_fmaak_f32 v32, v26, v32, 0x3d2aabf7
	v_and_or_b32 v25, 0x80000000, v27, v25
	v_mul_f32_e32 v29, v12, v29
	s_delay_alu instid0(VALU_DEP_4) | instskip(NEXT) | instid1(VALU_DEP_2)
	v_dual_fmaak_f32 v30, v12, v30, 0xbf000004 :: v_dual_fmac_f32 v1, v1, v31
	v_dual_fmaak_f32 v32, v26, v32, 0xbf000004 :: v_dual_fmac_f32 v7, v7, v29
	s_delay_alu instid0(VALU_DEP_2) | instskip(NEXT) | instid1(VALU_DEP_2)
	v_fma_f32 v12, v12, v30, 1.0
	v_fma_f32 v26, v26, v32, 1.0
	s_delay_alu instid0(VALU_DEP_2) | instskip(SKIP_1) | instid1(VALU_DEP_2)
	v_cndmask_b32_e64 v7, -v7, v12, s5
	v_cmp_eq_u32_e64 s5, 0, v33
	v_xor_b32_e32 v7, v11, v7
	s_delay_alu instid0(VALU_DEP_2) | instskip(SKIP_1) | instid1(VALU_DEP_2)
	v_cndmask_b32_e64 v1, v26, v1, s5
	v_cmp_class_f32_e64 s5, v8, 0x1f8
	v_xor3_b32 v1, v25, v1, v8
	s_delay_alu instid0(VALU_DEP_2) | instskip(NEXT) | instid1(VALU_DEP_2)
	v_cndmask_b32_e64 v11, 0x7fc00000, v7, s5
	v_cndmask_b32_e64 v12, 0x7fc00000, v1, s5
.LBB139_190:                            ;   in Loop: Header=BB139_4 Depth=1
	s_or_b32 exec_lo, exec_lo, s28
                                        ; implicit-def: $vgpr7
	s_and_not1_saveexec_b32 s6, s27
	s_cbranch_execnz .LBB139_151
.LBB139_191:                            ;   in Loop: Header=BB139_4 Depth=1
	s_or_b32 exec_lo, exec_lo, s6
	s_and_saveexec_b32 s5, vcc_lo
	s_delay_alu instid0(SALU_CYCLE_1)
	s_xor_b32 s5, exec_lo, s5
	s_cbranch_execz .LBB139_152
.LBB139_192:                            ;   in Loop: Header=BB139_4 Depth=1
	v_add_co_u32 v7, s6, s9, v3
	s_delay_alu instid0(VALU_DEP_1)
	v_add_co_ci_u32_e64 v8, null, s20, 0, s6
	global_store_b64 v[7:8], v[9:10], off
	s_or_b32 exec_lo, exec_lo, s5
	s_and_saveexec_b32 s5, s2
	s_cbranch_execnz .LBB139_153
.LBB139_193:                            ;   in Loop: Header=BB139_4 Depth=1
	s_or_b32 exec_lo, exec_lo, s5
	s_and_saveexec_b32 s2, s3
	s_cbranch_execz .LBB139_154
.LBB139_194:                            ;   in Loop: Header=BB139_4 Depth=1
	v_add_co_u32 v7, vcc_lo, s9, v22
	v_add_co_ci_u32_e32 v8, vcc_lo, s20, v20, vcc_lo
	global_store_b64 v[7:8], v[15:16], off offset:-4
	s_or_b32 exec_lo, exec_lo, s2
	s_and_saveexec_b32 s2, s4
	s_cbranch_execz .LBB139_3
.LBB139_195:                            ;   in Loop: Header=BB139_4 Depth=1
	v_add_co_u32 v7, vcc_lo, s9, v5
	v_add_co_ci_u32_e32 v8, vcc_lo, s20, v6, vcc_lo
	global_store_b64 v[7:8], v[11:12], off offset:-4
	s_branch .LBB139_3
.LBB139_196:
	s_cbranch_execz .LBB139_198
	s_branch .LBB139_373
.LBB139_197:
.LBB139_198:
	v_dual_mov_b32 v13, 0 :: v_dual_lshlrev_b32 v12, 2, v0
	s_mov_b32 s3, 0
	s_mov_b32 s2, exec_lo
	s_delay_alu instid0(VALU_DEP_1)
	v_cmpx_gt_i64_e64 s[10:11], v[12:13]
	s_cbranch_execz .LBB139_373
; %bb.199:
	s_load_b32 s0, s[0:1], 0xd3c
	s_mov_b32 s6, 0x7fffff
	s_mov_b32 s7, 0xb94c1982
	;; [unrolled: 1-line block ×4, first 2 shown]
	s_waitcnt lgkmcnt(0)
	s_and_b32 s0, s0, 0xffff
	s_delay_alu instid0(SALU_CYCLE_1) | instskip(SKIP_3) | instid1(VALU_DEP_2)
	v_add_lshl_u32 v12, v0, s0, 2
	v_lshlrev_b32_e32 v1, 5, v0
	s_lshl_b32 s4, s0, 2
	s_add_u32 s1, s12, s14
	v_dual_mov_b32 v17, v13 :: v_dual_mov_b32 v16, v12
	s_addc_u32 s2, s13, s15
	s_lshl_b32 s5, s0, 5
	v_add_co_u32 v14, s0, s1, v1
	s_delay_alu instid0(VALU_DEP_1)
	v_add_co_ci_u32_e64 v15, null, s2, 0, s0
	s_branch .LBB139_201
.LBB139_200:                            ;   in Loop: Header=BB139_201 Depth=1
	s_or_b32 exec_lo, exec_lo, s0
	v_cmp_le_i64_e32 vcc_lo, s[10:11], v[16:17]
	v_cmp_lt_u64_e64 s0, 0xffff, v[16:17]
	s_clause 0x1
	global_store_b128 v[14:15], v[4:7], off
	global_store_b128 v[14:15], v[8:11], off offset:16
	s_or_b32 s0, vcc_lo, s0
	v_add_co_u32 v16, vcc_lo, v16, s4
	v_add_co_ci_u32_e32 v17, vcc_lo, 0, v17, vcc_lo
	v_add_co_u32 v14, vcc_lo, v14, s5
	v_add_co_ci_u32_e32 v15, vcc_lo, 0, v15, vcc_lo
	s_and_b32 s0, exec_lo, s0
	s_delay_alu instid0(SALU_CYCLE_1) | instskip(NEXT) | instid1(SALU_CYCLE_1)
	s_or_b32 s3, s0, s3
	s_and_not1_b32 exec_lo, exec_lo, s3
	s_cbranch_execz .LBB139_373
.LBB139_201:                            ; =>This Inner Loop Header: Depth=1
	s_clause 0x1
	global_load_b128 v[8:11], v[14:15], off
	global_load_b128 v[0:3], v[14:15], off offset:16
                                        ; implicit-def: $vgpr5
	s_mov_b32 s0, exec_lo
	s_waitcnt vmcnt(1)
	v_and_b32_e32 v6, 0x7fffffff, v9
	s_delay_alu instid0(VALU_DEP_1)
	v_cmpx_ne_u32_e32 0, v6
	s_xor_b32 s12, exec_lo, s0
	s_cbranch_execz .LBB139_241
; %bb.202:                              ;   in Loop: Header=BB139_201 Depth=1
	v_and_b32_e32 v7, 0x7fffffff, v8
                                        ; implicit-def: $vgpr5
	s_mov_b32 s0, exec_lo
	s_delay_alu instid0(VALU_DEP_1)
	v_cmpx_ne_u32_e32 0, v7
	s_xor_b32 s13, exec_lo, s0
	s_cbranch_execz .LBB139_230
; %bb.203:                              ;   in Loop: Header=BB139_201 Depth=1
                                        ; implicit-def: $vgpr5
	s_mov_b32 s0, exec_lo
	v_cmpx_gt_u32_e32 0x7f800000, v6
	s_xor_b32 s14, exec_lo, s0
	s_cbranch_execz .LBB139_225
; %bb.204:                              ;   in Loop: Header=BB139_201 Depth=1
	v_add_nc_u32_e32 v4, 0xbd4e8de8, v8
                                        ; implicit-def: $vgpr5
	s_mov_b32 s0, exec_lo
	s_delay_alu instid0(VALU_DEP_1)
	v_cmpx_lt_u32_e32 0x8e8e5c, v4
	s_xor_b32 s15, exec_lo, s0
	s_cbranch_execz .LBB139_214
; %bb.205:                              ;   in Loop: Header=BB139_201 Depth=1
	v_cmp_ngt_f32_e64 s16, 0x48000000, |v9|
                                        ; implicit-def: $vgpr5
                                        ; implicit-def: $vgpr4
	s_delay_alu instid0(VALU_DEP_1) | instskip(NEXT) | instid1(SALU_CYCLE_1)
	s_and_saveexec_b32 s0, s16
	s_xor_b32 s17, exec_lo, s0
	s_cbranch_execz .LBB139_207
; %bb.206:                              ;   in Loop: Header=BB139_201 Depth=1
	v_and_or_b32 v7, v6, s6, 0x800000
	s_delay_alu instid0(VALU_DEP_1) | instskip(NEXT) | instid1(VALU_DEP_1)
	v_mad_u64_u32 v[4:5], null, 0xfe5163ab, v7, 0
	v_mov_b32_e32 v12, v5
	v_lshrrev_b32_e32 v5, 23, v6
	s_delay_alu instid0(VALU_DEP_1) | instskip(NEXT) | instid1(VALU_DEP_3)
	v_add_nc_u32_e32 v5, 0xffffff88, v5
	v_mad_u64_u32 v[18:19], null, 0x3c439041, v7, v[12:13]
	s_delay_alu instid0(VALU_DEP_2) | instskip(SKIP_1) | instid1(VALU_DEP_1)
	v_cmp_lt_u32_e32 vcc_lo, 63, v5
	v_cndmask_b32_e64 v23, 0, 0xffffffc0, vcc_lo
	v_add_nc_u32_e32 v5, v23, v5
	s_delay_alu instid0(VALU_DEP_1) | instskip(NEXT) | instid1(VALU_DEP_1)
	v_cmp_lt_u32_e64 s0, 31, v5
	v_cndmask_b32_e64 v24, 0, 0xffffffe0, s0
	s_delay_alu instid0(VALU_DEP_1) | instskip(NEXT) | instid1(VALU_DEP_1)
	v_dual_mov_b32 v12, v19 :: v_dual_add_nc_u32 v5, v24, v5
	v_mad_u64_u32 v[19:20], null, 0xdb629599, v7, v[12:13]
	s_delay_alu instid0(VALU_DEP_2) | instskip(NEXT) | instid1(VALU_DEP_2)
	v_cmp_lt_u32_e64 s1, 31, v5
	v_mov_b32_e32 v12, v20
	s_delay_alu instid0(VALU_DEP_3) | instskip(NEXT) | instid1(VALU_DEP_2)
	v_cndmask_b32_e32 v4, v19, v4, vcc_lo
	v_mad_u64_u32 v[20:21], null, 0xf534ddc0, v7, v[12:13]
	s_delay_alu instid0(VALU_DEP_1) | instskip(NEXT) | instid1(VALU_DEP_1)
	v_mov_b32_e32 v12, v21
	v_mad_u64_u32 v[21:22], null, 0xfc2757d1, v7, v[12:13]
	s_delay_alu instid0(VALU_DEP_1) | instskip(NEXT) | instid1(VALU_DEP_1)
	v_mov_b32_e32 v12, v22
	;; [unrolled: 3-line block ×3, first 2 shown]
	v_mad_u64_u32 v[23:24], null, 0xa2f9836e, v7, v[12:13]
	v_cndmask_b32_e64 v7, 0, 0xffffffe0, s1
	s_delay_alu instid0(VALU_DEP_1) | instskip(SKIP_1) | instid1(VALU_DEP_4)
	v_dual_cndmask_b32 v12, v22, v20 :: v_dual_add_nc_u32 v5, v7, v5
	v_cndmask_b32_e32 v7, v20, v18, vcc_lo
	v_dual_cndmask_b32 v23, v23, v21 :: v_dual_cndmask_b32 v22, v24, v22
	v_cndmask_b32_e32 v21, v21, v19, vcc_lo
	s_delay_alu instid0(VALU_DEP_4) | instskip(NEXT) | instid1(VALU_DEP_4)
	v_cmp_eq_u32_e64 s2, 0, v5
	v_cndmask_b32_e64 v4, v7, v4, s0
	s_delay_alu instid0(VALU_DEP_4) | instskip(SKIP_4) | instid1(VALU_DEP_4)
	v_cndmask_b32_e64 v18, v23, v12, s0
	v_cndmask_b32_e64 v20, v22, v23, s0
	;; [unrolled: 1-line block ×3, first 2 shown]
	v_sub_nc_u32_e32 v22, 32, v5
	v_cndmask_b32_e64 v21, v21, v7, s0
	v_cndmask_b32_e64 v20, v20, v18, s1
	s_delay_alu instid0(VALU_DEP_4) | instskip(NEXT) | instid1(VALU_DEP_3)
	v_cndmask_b32_e64 v18, v18, v12, s1
	v_cndmask_b32_e64 v12, v12, v21, s1
	;; [unrolled: 1-line block ×3, first 2 shown]
	s_delay_alu instid0(VALU_DEP_3) | instskip(NEXT) | instid1(VALU_DEP_3)
	v_alignbit_b32 v23, v20, v18, v22
	v_alignbit_b32 v24, v18, v12, v22
	s_delay_alu instid0(VALU_DEP_3) | instskip(NEXT) | instid1(VALU_DEP_3)
	v_alignbit_b32 v22, v12, v4, v22
	v_cndmask_b32_e64 v5, v23, v20, s2
	s_delay_alu instid0(VALU_DEP_3) | instskip(NEXT) | instid1(VALU_DEP_3)
	v_cndmask_b32_e64 v18, v24, v18, s2
	v_cndmask_b32_e64 v12, v22, v12, s2
	s_delay_alu instid0(VALU_DEP_3) | instskip(NEXT) | instid1(VALU_DEP_3)
	v_bfe_u32 v19, v5, 29, 1
	v_alignbit_b32 v7, v5, v18, 30
	s_delay_alu instid0(VALU_DEP_3) | instskip(SKIP_1) | instid1(VALU_DEP_4)
	v_alignbit_b32 v18, v18, v12, 30
	v_alignbit_b32 v4, v12, v4, 30
	v_sub_nc_u32_e32 v20, 0, v19
	s_delay_alu instid0(VALU_DEP_1) | instskip(SKIP_3) | instid1(VALU_DEP_4)
	v_xor_b32_e32 v21, v7, v20
	v_cmp_ne_u32_e32 vcc_lo, v7, v20
	v_xor_b32_e32 v12, v18, v20
	v_xor_b32_e32 v4, v4, v20
	v_clz_i32_u32_e32 v23, v21
	s_delay_alu instid0(VALU_DEP_1) | instskip(NEXT) | instid1(VALU_DEP_1)
	v_add_nc_u32_e32 v22, 1, v23
	v_cndmask_b32_e32 v7, 33, v22, vcc_lo
	s_delay_alu instid0(VALU_DEP_1) | instskip(NEXT) | instid1(VALU_DEP_1)
	v_sub_nc_u32_e32 v18, 32, v7
	v_alignbit_b32 v20, v21, v12, v18
	v_alignbit_b32 v4, v12, v4, v18
	v_lshrrev_b32_e32 v12, 29, v5
	v_lshrrev_b32_e32 v5, 30, v5
	s_delay_alu instid0(VALU_DEP_3) | instskip(NEXT) | instid1(VALU_DEP_3)
	v_alignbit_b32 v18, v20, v4, 9
	v_lshlrev_b32_e32 v12, 31, v12
	v_alignbit_b32 v20, v7, v20, 9
	s_delay_alu instid0(VALU_DEP_4) | instskip(NEXT) | instid1(VALU_DEP_4)
	v_add_nc_u32_e32 v5, v19, v5
	v_clz_i32_u32_e32 v21, v18
	s_delay_alu instid0(VALU_DEP_3) | instskip(SKIP_1) | instid1(VALU_DEP_3)
	v_or_b32_e32 v20, v20, v12
	v_or_b32_e32 v12, 0x33800000, v12
	v_min_u32_e32 v21, 32, v21
	s_delay_alu instid0(VALU_DEP_3) | instskip(NEXT) | instid1(VALU_DEP_2)
	v_xor_b32_e32 v20, 1.0, v20
	v_sub_nc_u32_e32 v22, 31, v21
	v_add_lshl_u32 v7, v21, v7, 23
	s_delay_alu instid0(VALU_DEP_3) | instskip(NEXT) | instid1(VALU_DEP_3)
	v_mul_f32_e32 v21, 0x3fc90fda, v20
	v_alignbit_b32 v4, v18, v4, v22
	s_delay_alu instid0(VALU_DEP_3) | instskip(NEXT) | instid1(VALU_DEP_3)
	v_sub_nc_u32_e32 v7, v12, v7
	v_fma_f32 v12, 0x3fc90fda, v20, -v21
	s_delay_alu instid0(VALU_DEP_3) | instskip(NEXT) | instid1(VALU_DEP_2)
	v_lshrrev_b32_e32 v4, 9, v4
	v_fmac_f32_e32 v12, 0x33a22168, v20
	s_delay_alu instid0(VALU_DEP_2) | instskip(NEXT) | instid1(VALU_DEP_1)
	v_or_b32_e32 v4, v7, v4
	v_fmac_f32_e32 v12, 0x3fc90fda, v4
	s_delay_alu instid0(VALU_DEP_1)
	v_add_f32_e32 v4, v21, v12
	s_and_not1_saveexec_b32 s0, s17
	s_branch .LBB139_208
.LBB139_207:                            ;   in Loop: Header=BB139_201 Depth=1
	s_and_not1_saveexec_b32 s0, s17
.LBB139_208:                            ;   in Loop: Header=BB139_201 Depth=1
	v_mul_f32_e64 v4, 0x3f22f983, |v9|
	s_delay_alu instid0(VALU_DEP_1) | instskip(NEXT) | instid1(VALU_DEP_1)
	v_rndne_f32_e32 v5, v4
	v_fma_f32 v4, 0xbfc90fda, v5, |v9|
	s_delay_alu instid0(VALU_DEP_1) | instskip(NEXT) | instid1(VALU_DEP_1)
	v_fmac_f32_e32 v4, 0xb3a22168, v5
	v_fmac_f32_e32 v4, 0xa7c234c4, v5
	v_cvt_i32_f32_e32 v5, v5
; %bb.209:                              ;   in Loop: Header=BB139_201 Depth=1
	s_or_b32 exec_lo, exec_lo, s0
                                        ; implicit-def: $vgpr12
                                        ; implicit-def: $vgpr7
	s_and_saveexec_b32 s0, s16
	s_delay_alu instid0(SALU_CYCLE_1)
	s_xor_b32 s16, exec_lo, s0
	s_cbranch_execz .LBB139_211
; %bb.210:                              ;   in Loop: Header=BB139_201 Depth=1
	v_lshrrev_b32_e32 v23, 23, v6
	v_and_or_b32 v7, v6, s6, 0x800000
	s_delay_alu instid0(VALU_DEP_2) | instskip(NEXT) | instid1(VALU_DEP_2)
	v_add_nc_u32_e32 v24, 0xffffff88, v23
	v_mad_u64_u32 v[18:19], null, 0xfe5163ab, v7, 0
	s_delay_alu instid0(VALU_DEP_2) | instskip(SKIP_1) | instid1(VALU_DEP_1)
	v_cmp_lt_u32_e32 vcc_lo, 63, v24
	v_cndmask_b32_e64 v25, 0, 0xffffffc0, vcc_lo
	v_dual_mov_b32 v12, v19 :: v_dual_add_nc_u32 v25, v25, v24
	s_delay_alu instid0(VALU_DEP_1) | instskip(NEXT) | instid1(VALU_DEP_2)
	v_mad_u64_u32 v[19:20], null, 0x3c439041, v7, v[12:13]
	v_cmp_lt_u32_e64 s0, 31, v25
	s_delay_alu instid0(VALU_DEP_2) | instskip(NEXT) | instid1(VALU_DEP_2)
	v_mov_b32_e32 v12, v20
	v_cndmask_b32_e64 v26, 0, 0xffffffe0, s0
	s_delay_alu instid0(VALU_DEP_2) | instskip(NEXT) | instid1(VALU_DEP_2)
	v_mad_u64_u32 v[20:21], null, 0xdb629599, v7, v[12:13]
	v_add_nc_u32_e32 v26, v26, v25
	s_delay_alu instid0(VALU_DEP_1) | instskip(NEXT) | instid1(VALU_DEP_3)
	v_cmp_lt_u32_e64 s1, 31, v26
	v_mov_b32_e32 v12, v21
	s_delay_alu instid0(VALU_DEP_4) | instskip(NEXT) | instid1(VALU_DEP_2)
	v_cndmask_b32_e32 v18, v20, v18, vcc_lo
	v_mad_u64_u32 v[21:22], null, 0xf534ddc0, v7, v[12:13]
	s_delay_alu instid0(VALU_DEP_1) | instskip(NEXT) | instid1(VALU_DEP_1)
	v_dual_mov_b32 v12, v22 :: v_dual_cndmask_b32 v19, v21, v19
	v_mad_u64_u32 v[22:23], null, 0xfc2757d1, v7, v[12:13]
	s_delay_alu instid0(VALU_DEP_2) | instskip(NEXT) | instid1(VALU_DEP_2)
	v_cndmask_b32_e64 v18, v19, v18, s0
	v_mov_b32_e32 v12, v23
	s_delay_alu instid0(VALU_DEP_1) | instskip(NEXT) | instid1(VALU_DEP_1)
	v_mad_u64_u32 v[23:24], null, 0x4e441529, v7, v[12:13]
	v_mov_b32_e32 v12, v24
	s_delay_alu instid0(VALU_DEP_1) | instskip(SKIP_1) | instid1(VALU_DEP_4)
	v_mad_u64_u32 v[24:25], null, 0xa2f9836e, v7, v[12:13]
	v_cndmask_b32_e64 v7, 0, 0xffffffe0, s1
	v_cndmask_b32_e32 v12, v23, v21, vcc_lo
	s_delay_alu instid0(VALU_DEP_2) | instskip(NEXT) | instid1(VALU_DEP_4)
	v_add_nc_u32_e32 v7, v7, v26
	v_dual_cndmask_b32 v24, v24, v22 :: v_dual_cndmask_b32 v23, v25, v23
	v_cndmask_b32_e32 v22, v22, v20, vcc_lo
	s_delay_alu instid0(VALU_DEP_3) | instskip(NEXT) | instid1(VALU_DEP_3)
	v_cmp_eq_u32_e64 s2, 0, v7
	v_cndmask_b32_e64 v21, v24, v12, s0
	s_delay_alu instid0(VALU_DEP_4) | instskip(NEXT) | instid1(VALU_DEP_4)
	v_cndmask_b32_e64 v23, v23, v24, s0
	v_cndmask_b32_e64 v12, v12, v22, s0
	v_sub_nc_u32_e32 v24, 32, v7
	v_cndmask_b32_e64 v22, v22, v19, s0
	s_delay_alu instid0(VALU_DEP_4) | instskip(NEXT) | instid1(VALU_DEP_4)
	v_cndmask_b32_e64 v23, v23, v21, s1
	v_cndmask_b32_e64 v21, v21, v12, s1
	s_delay_alu instid0(VALU_DEP_3) | instskip(SKIP_1) | instid1(VALU_DEP_3)
	v_cndmask_b32_e64 v12, v12, v22, s1
	v_cndmask_b32_e64 v18, v22, v18, s1
	v_alignbit_b32 v25, v23, v21, v24
	s_delay_alu instid0(VALU_DEP_3) | instskip(NEXT) | instid1(VALU_DEP_3)
	v_alignbit_b32 v26, v21, v12, v24
	v_alignbit_b32 v24, v12, v18, v24
	s_delay_alu instid0(VALU_DEP_3) | instskip(NEXT) | instid1(VALU_DEP_3)
	v_cndmask_b32_e64 v7, v25, v23, s2
	v_cndmask_b32_e64 v20, v26, v21, s2
	s_delay_alu instid0(VALU_DEP_3) | instskip(NEXT) | instid1(VALU_DEP_3)
	v_cndmask_b32_e64 v12, v24, v12, s2
	v_bfe_u32 v21, v7, 29, 1
	s_delay_alu instid0(VALU_DEP_3) | instskip(NEXT) | instid1(VALU_DEP_3)
	v_alignbit_b32 v19, v7, v20, 30
	v_alignbit_b32 v20, v20, v12, 30
	;; [unrolled: 1-line block ×3, first 2 shown]
	s_delay_alu instid0(VALU_DEP_4) | instskip(NEXT) | instid1(VALU_DEP_1)
	v_sub_nc_u32_e32 v23, 0, v21
	v_xor_b32_e32 v22, v19, v23
	v_cmp_ne_u32_e32 vcc_lo, v19, v23
	v_xor_b32_e32 v18, v20, v23
	v_xor_b32_e32 v12, v12, v23
	s_delay_alu instid0(VALU_DEP_4) | instskip(NEXT) | instid1(VALU_DEP_1)
	v_clz_i32_u32_e32 v25, v22
	v_add_nc_u32_e32 v24, 1, v25
	s_delay_alu instid0(VALU_DEP_1) | instskip(NEXT) | instid1(VALU_DEP_1)
	v_cndmask_b32_e32 v19, 33, v24, vcc_lo
	v_sub_nc_u32_e32 v20, 32, v19
	s_delay_alu instid0(VALU_DEP_1) | instskip(SKIP_2) | instid1(VALU_DEP_2)
	v_alignbit_b32 v22, v22, v18, v20
	v_alignbit_b32 v12, v18, v12, v20
	v_lshrrev_b32_e32 v18, 29, v7
	v_alignbit_b32 v20, v22, v12, 9
	s_delay_alu instid0(VALU_DEP_2) | instskip(SKIP_1) | instid1(VALU_DEP_3)
	v_lshlrev_b32_e32 v18, 31, v18
	v_alignbit_b32 v22, v19, v22, 9
	v_clz_i32_u32_e32 v23, v20
	s_delay_alu instid0(VALU_DEP_2) | instskip(SKIP_1) | instid1(VALU_DEP_3)
	v_or_b32_e32 v22, v22, v18
	v_or_b32_e32 v18, 0x33800000, v18
	v_min_u32_e32 v23, 32, v23
	s_delay_alu instid0(VALU_DEP_3) | instskip(NEXT) | instid1(VALU_DEP_2)
	v_xor_b32_e32 v22, 1.0, v22
	v_sub_nc_u32_e32 v24, 31, v23
	v_add_lshl_u32 v19, v23, v19, 23
	s_delay_alu instid0(VALU_DEP_3) | instskip(NEXT) | instid1(VALU_DEP_3)
	v_mul_f32_e32 v23, 0x3fc90fda, v22
	v_alignbit_b32 v12, v20, v12, v24
	s_delay_alu instid0(VALU_DEP_3) | instskip(NEXT) | instid1(VALU_DEP_3)
	v_sub_nc_u32_e32 v18, v18, v19
	v_fma_f32 v19, 0x3fc90fda, v22, -v23
	s_delay_alu instid0(VALU_DEP_3) | instskip(NEXT) | instid1(VALU_DEP_2)
	v_lshrrev_b32_e32 v12, 9, v12
	v_fmac_f32_e32 v19, 0x33a22168, v22
	s_delay_alu instid0(VALU_DEP_2) | instskip(NEXT) | instid1(VALU_DEP_1)
	v_or_b32_e32 v12, v18, v12
	v_fmac_f32_e32 v19, 0x3fc90fda, v12
	v_lshrrev_b32_e32 v12, 30, v7
	s_delay_alu instid0(VALU_DEP_1)
	v_dual_add_f32 v7, v23, v19 :: v_dual_add_nc_u32 v12, v21, v12
	s_and_not1_saveexec_b32 s0, s16
	s_cbranch_execnz .LBB139_212
	s_branch .LBB139_213
.LBB139_211:                            ;   in Loop: Header=BB139_201 Depth=1
	s_and_not1_saveexec_b32 s0, s16
.LBB139_212:                            ;   in Loop: Header=BB139_201 Depth=1
	v_mul_f32_e64 v7, 0x3f22f983, |v9|
	s_delay_alu instid0(VALU_DEP_1) | instskip(NEXT) | instid1(VALU_DEP_1)
	v_rndne_f32_e32 v12, v7
	v_fma_f32 v7, 0xbfc90fda, v12, |v9|
	s_delay_alu instid0(VALU_DEP_1) | instskip(NEXT) | instid1(VALU_DEP_1)
	v_fmac_f32_e32 v7, 0xb3a22168, v12
	v_fmac_f32_e32 v7, 0xa7c234c4, v12
	v_cvt_i32_f32_e32 v12, v12
.LBB139_213:                            ;   in Loop: Header=BB139_201 Depth=1
	s_or_b32 exec_lo, exec_lo, s0
	v_mul_f32_e32 v18, 0x3fb8aa3b, v8
	v_dual_mul_f32 v19, v4, v4 :: v_dual_and_b32 v20, 1, v5
	v_lshlrev_b32_e32 v5, 30, v5
	v_dual_mul_f32 v23, v7, v7 :: v_dual_and_b32 v24, 1, v12
	s_delay_alu instid0(VALU_DEP_4) | instskip(SKIP_3) | instid1(VALU_DEP_4)
	v_rndne_f32_e32 v21, v18
	v_fma_f32 v22, 0x3fb8aa3b, v8, -v18
	v_dual_fmaak_f32 v25, s7, v19, 0x3c0881c4 :: v_dual_lshlrev_b32 v12, 30, v12
	v_fmaak_f32 v26, s8, v19, 0xbab64f3b
	v_dual_sub_f32 v18, v18, v21 :: v_dual_fmaak_f32 v27, s7, v23, 0x3c0881c4
	s_delay_alu instid0(VALU_DEP_4)
	v_fmac_f32_e32 v22, 0x32a5705f, v8
	v_fmaak_f32 v28, s8, v23, 0xbab64f3b
	v_cvt_i32_f32_e32 v21, v21
	v_cmp_eq_u32_e32 vcc_lo, 0, v20
	v_and_or_b32 v6, 0x80000000, v12, v6
	v_add_f32_e32 v18, v18, v22
	v_fmaak_f32 v22, v19, v25, 0xbe2aaa9d
	v_fmaak_f32 v25, v19, v26, 0x3d2aabf7
	;; [unrolled: 1-line block ×4, first 2 shown]
	v_exp_f32_e32 v18, v18
	v_dual_mul_f32 v22, v19, v22 :: v_dual_and_b32 v5, 0x80000000, v5
	v_fmaak_f32 v25, v19, v25, 0xbf000004
	v_cmp_nlt_f32_e64 s0, 0x42b17218, v8
	s_delay_alu instid0(VALU_DEP_3) | instskip(NEXT) | instid1(VALU_DEP_3)
	v_fmac_f32_e32 v4, v4, v22
	v_fma_f32 v19, v19, v25, 1.0
	s_waitcnt_depctr 0xfff
	v_ldexp_f32 v18, v18, v21
	v_fmaak_f32 v27, v23, v27, 0xbf000004
	v_cndmask_b32_e64 v4, -v4, v19, vcc_lo
	v_cmp_eq_u32_e32 vcc_lo, 0, v24
	s_delay_alu instid0(VALU_DEP_3) | instskip(SKIP_1) | instid1(VALU_DEP_4)
	v_fma_f32 v22, v23, v27, 1.0
	v_mul_f32_e32 v26, v23, v26
	v_xor_b32_e32 v4, v5, v4
	s_delay_alu instid0(VALU_DEP_2) | instskip(NEXT) | instid1(VALU_DEP_1)
	v_fmac_f32_e32 v7, v7, v26
	v_cndmask_b32_e32 v7, v22, v7, vcc_lo
	v_cmp_ngt_f32_e32 vcc_lo, 0xc2ce8ed0, v8
	s_delay_alu instid0(VALU_DEP_2) | instskip(SKIP_2) | instid1(VALU_DEP_2)
	v_xor3_b32 v5, v6, v7, v9
	v_cndmask_b32_e32 v12, 0, v18, vcc_lo
	v_cmp_class_f32_e64 vcc_lo, v9, 0x1f8
	v_cndmask_b32_e64 v6, 0x7f800000, v12, s0
	v_cndmask_b32_e32 v4, 0x7fc00000, v4, vcc_lo
	s_delay_alu instid0(VALU_DEP_1) | instskip(NEXT) | instid1(VALU_DEP_1)
	v_dual_cndmask_b32 v5, 0x7fc00000, v5 :: v_dual_mul_f32 v4, v6, v4
	v_mul_f32_e32 v5, v6, v5
                                        ; implicit-def: $vgpr6
.LBB139_214:                            ;   in Loop: Header=BB139_201 Depth=1
	s_and_not1_saveexec_b32 s15, s15
	s_cbranch_execz .LBB139_217
; %bb.215:                              ;   in Loop: Header=BB139_201 Depth=1
	v_cmp_ngt_f32_e64 s16, 0x48000000, |v9|
                                        ; implicit-def: $vgpr5
                                        ; implicit-def: $vgpr4
	s_delay_alu instid0(VALU_DEP_1) | instskip(NEXT) | instid1(SALU_CYCLE_1)
	s_and_saveexec_b32 s0, s16
	s_xor_b32 s17, exec_lo, s0
	s_cbranch_execz .LBB139_218
; %bb.216:                              ;   in Loop: Header=BB139_201 Depth=1
	v_and_or_b32 v7, v6, s6, 0x800000
	s_delay_alu instid0(VALU_DEP_1) | instskip(NEXT) | instid1(VALU_DEP_1)
	v_mad_u64_u32 v[4:5], null, 0xfe5163ab, v7, 0
	v_mov_b32_e32 v12, v5
	v_lshrrev_b32_e32 v5, 23, v6
	s_delay_alu instid0(VALU_DEP_1) | instskip(NEXT) | instid1(VALU_DEP_3)
	v_add_nc_u32_e32 v5, 0xffffff88, v5
	v_mad_u64_u32 v[18:19], null, 0x3c439041, v7, v[12:13]
	s_delay_alu instid0(VALU_DEP_2) | instskip(SKIP_1) | instid1(VALU_DEP_1)
	v_cmp_lt_u32_e32 vcc_lo, 63, v5
	v_cndmask_b32_e64 v23, 0, 0xffffffc0, vcc_lo
	v_add_nc_u32_e32 v5, v23, v5
	s_delay_alu instid0(VALU_DEP_1) | instskip(NEXT) | instid1(VALU_DEP_1)
	v_cmp_lt_u32_e64 s0, 31, v5
	v_cndmask_b32_e64 v24, 0, 0xffffffe0, s0
	s_delay_alu instid0(VALU_DEP_1) | instskip(NEXT) | instid1(VALU_DEP_1)
	v_dual_mov_b32 v12, v19 :: v_dual_add_nc_u32 v5, v24, v5
	v_mad_u64_u32 v[19:20], null, 0xdb629599, v7, v[12:13]
	s_delay_alu instid0(VALU_DEP_2) | instskip(NEXT) | instid1(VALU_DEP_2)
	v_cmp_lt_u32_e64 s1, 31, v5
	v_mov_b32_e32 v12, v20
	s_delay_alu instid0(VALU_DEP_3) | instskip(NEXT) | instid1(VALU_DEP_2)
	v_cndmask_b32_e32 v4, v19, v4, vcc_lo
	v_mad_u64_u32 v[20:21], null, 0xf534ddc0, v7, v[12:13]
	s_delay_alu instid0(VALU_DEP_1) | instskip(NEXT) | instid1(VALU_DEP_1)
	v_mov_b32_e32 v12, v21
	v_mad_u64_u32 v[21:22], null, 0xfc2757d1, v7, v[12:13]
	s_delay_alu instid0(VALU_DEP_1) | instskip(NEXT) | instid1(VALU_DEP_1)
	v_mov_b32_e32 v12, v22
	v_mad_u64_u32 v[22:23], null, 0x4e441529, v7, v[12:13]
	s_delay_alu instid0(VALU_DEP_1) | instskip(NEXT) | instid1(VALU_DEP_1)
	v_mov_b32_e32 v12, v23
	v_mad_u64_u32 v[23:24], null, 0xa2f9836e, v7, v[12:13]
	v_cndmask_b32_e64 v7, 0, 0xffffffe0, s1
	s_delay_alu instid0(VALU_DEP_1) | instskip(SKIP_1) | instid1(VALU_DEP_4)
	v_dual_cndmask_b32 v12, v22, v20 :: v_dual_add_nc_u32 v5, v7, v5
	v_cndmask_b32_e32 v7, v20, v18, vcc_lo
	v_dual_cndmask_b32 v23, v23, v21 :: v_dual_cndmask_b32 v22, v24, v22
	v_cndmask_b32_e32 v21, v21, v19, vcc_lo
	s_delay_alu instid0(VALU_DEP_4) | instskip(NEXT) | instid1(VALU_DEP_4)
	v_cmp_eq_u32_e64 s2, 0, v5
	v_cndmask_b32_e64 v4, v7, v4, s0
	s_delay_alu instid0(VALU_DEP_4) | instskip(SKIP_4) | instid1(VALU_DEP_4)
	v_cndmask_b32_e64 v18, v23, v12, s0
	v_cndmask_b32_e64 v20, v22, v23, s0
	;; [unrolled: 1-line block ×3, first 2 shown]
	v_sub_nc_u32_e32 v22, 32, v5
	v_cndmask_b32_e64 v21, v21, v7, s0
	v_cndmask_b32_e64 v20, v20, v18, s1
	s_delay_alu instid0(VALU_DEP_4) | instskip(NEXT) | instid1(VALU_DEP_3)
	v_cndmask_b32_e64 v18, v18, v12, s1
	v_cndmask_b32_e64 v12, v12, v21, s1
	;; [unrolled: 1-line block ×3, first 2 shown]
	s_delay_alu instid0(VALU_DEP_3) | instskip(NEXT) | instid1(VALU_DEP_3)
	v_alignbit_b32 v23, v20, v18, v22
	v_alignbit_b32 v24, v18, v12, v22
	s_delay_alu instid0(VALU_DEP_3) | instskip(NEXT) | instid1(VALU_DEP_3)
	v_alignbit_b32 v22, v12, v4, v22
	v_cndmask_b32_e64 v5, v23, v20, s2
	s_delay_alu instid0(VALU_DEP_3) | instskip(NEXT) | instid1(VALU_DEP_3)
	v_cndmask_b32_e64 v18, v24, v18, s2
	v_cndmask_b32_e64 v12, v22, v12, s2
	s_delay_alu instid0(VALU_DEP_3) | instskip(NEXT) | instid1(VALU_DEP_3)
	v_bfe_u32 v19, v5, 29, 1
	v_alignbit_b32 v7, v5, v18, 30
	s_delay_alu instid0(VALU_DEP_3) | instskip(SKIP_1) | instid1(VALU_DEP_4)
	v_alignbit_b32 v18, v18, v12, 30
	v_alignbit_b32 v4, v12, v4, 30
	v_sub_nc_u32_e32 v20, 0, v19
	s_delay_alu instid0(VALU_DEP_1) | instskip(SKIP_3) | instid1(VALU_DEP_4)
	v_xor_b32_e32 v21, v7, v20
	v_cmp_ne_u32_e32 vcc_lo, v7, v20
	v_xor_b32_e32 v12, v18, v20
	v_xor_b32_e32 v4, v4, v20
	v_clz_i32_u32_e32 v23, v21
	s_delay_alu instid0(VALU_DEP_1) | instskip(NEXT) | instid1(VALU_DEP_1)
	v_add_nc_u32_e32 v22, 1, v23
	v_cndmask_b32_e32 v7, 33, v22, vcc_lo
	s_delay_alu instid0(VALU_DEP_1) | instskip(NEXT) | instid1(VALU_DEP_1)
	v_sub_nc_u32_e32 v18, 32, v7
	v_alignbit_b32 v20, v21, v12, v18
	v_alignbit_b32 v4, v12, v4, v18
	v_lshrrev_b32_e32 v12, 29, v5
	v_lshrrev_b32_e32 v5, 30, v5
	s_delay_alu instid0(VALU_DEP_3) | instskip(NEXT) | instid1(VALU_DEP_3)
	v_alignbit_b32 v18, v20, v4, 9
	v_lshlrev_b32_e32 v12, 31, v12
	v_alignbit_b32 v20, v7, v20, 9
	s_delay_alu instid0(VALU_DEP_4) | instskip(NEXT) | instid1(VALU_DEP_4)
	v_add_nc_u32_e32 v5, v19, v5
	v_clz_i32_u32_e32 v21, v18
	s_delay_alu instid0(VALU_DEP_3) | instskip(SKIP_1) | instid1(VALU_DEP_3)
	v_or_b32_e32 v20, v20, v12
	v_or_b32_e32 v12, 0x33800000, v12
	v_min_u32_e32 v21, 32, v21
	s_delay_alu instid0(VALU_DEP_3) | instskip(NEXT) | instid1(VALU_DEP_2)
	v_xor_b32_e32 v20, 1.0, v20
	v_sub_nc_u32_e32 v22, 31, v21
	v_add_lshl_u32 v7, v21, v7, 23
	s_delay_alu instid0(VALU_DEP_3) | instskip(NEXT) | instid1(VALU_DEP_3)
	v_mul_f32_e32 v21, 0x3fc90fda, v20
	v_alignbit_b32 v4, v18, v4, v22
	s_delay_alu instid0(VALU_DEP_3) | instskip(NEXT) | instid1(VALU_DEP_3)
	v_sub_nc_u32_e32 v7, v12, v7
	v_fma_f32 v12, 0x3fc90fda, v20, -v21
	s_delay_alu instid0(VALU_DEP_3) | instskip(NEXT) | instid1(VALU_DEP_2)
	v_lshrrev_b32_e32 v4, 9, v4
	v_fmac_f32_e32 v12, 0x33a22168, v20
	s_delay_alu instid0(VALU_DEP_2) | instskip(NEXT) | instid1(VALU_DEP_1)
	v_or_b32_e32 v4, v7, v4
	v_fmac_f32_e32 v12, 0x3fc90fda, v4
	s_delay_alu instid0(VALU_DEP_1)
	v_add_f32_e32 v4, v21, v12
	s_and_not1_saveexec_b32 s0, s17
	s_branch .LBB139_219
.LBB139_217:                            ;   in Loop: Header=BB139_201 Depth=1
	s_or_b32 exec_lo, exec_lo, s15
                                        ; implicit-def: $vgpr7
	s_and_not1_saveexec_b32 s0, s14
	s_cbranch_execnz .LBB139_226
	s_branch .LBB139_229
.LBB139_218:                            ;   in Loop: Header=BB139_201 Depth=1
	s_and_not1_saveexec_b32 s0, s17
.LBB139_219:                            ;   in Loop: Header=BB139_201 Depth=1
	v_mul_f32_e64 v4, 0x3f22f983, |v9|
	s_delay_alu instid0(VALU_DEP_1) | instskip(NEXT) | instid1(VALU_DEP_1)
	v_rndne_f32_e32 v5, v4
	v_fma_f32 v4, 0xbfc90fda, v5, |v9|
	s_delay_alu instid0(VALU_DEP_1) | instskip(NEXT) | instid1(VALU_DEP_1)
	v_fmac_f32_e32 v4, 0xb3a22168, v5
	v_fmac_f32_e32 v4, 0xa7c234c4, v5
	v_cvt_i32_f32_e32 v5, v5
; %bb.220:                              ;   in Loop: Header=BB139_201 Depth=1
	s_or_b32 exec_lo, exec_lo, s0
                                        ; implicit-def: $vgpr12
                                        ; implicit-def: $vgpr7
	s_and_saveexec_b32 s0, s16
	s_delay_alu instid0(SALU_CYCLE_1)
	s_xor_b32 s16, exec_lo, s0
	s_cbranch_execz .LBB139_222
; %bb.221:                              ;   in Loop: Header=BB139_201 Depth=1
	v_lshrrev_b32_e32 v23, 23, v6
	v_and_or_b32 v7, v6, s6, 0x800000
	s_delay_alu instid0(VALU_DEP_2) | instskip(NEXT) | instid1(VALU_DEP_2)
	v_add_nc_u32_e32 v24, 0xffffff88, v23
	v_mad_u64_u32 v[18:19], null, 0xfe5163ab, v7, 0
	s_delay_alu instid0(VALU_DEP_2) | instskip(SKIP_1) | instid1(VALU_DEP_1)
	v_cmp_lt_u32_e32 vcc_lo, 63, v24
	v_cndmask_b32_e64 v25, 0, 0xffffffc0, vcc_lo
	v_dual_mov_b32 v12, v19 :: v_dual_add_nc_u32 v25, v25, v24
	s_delay_alu instid0(VALU_DEP_1) | instskip(NEXT) | instid1(VALU_DEP_2)
	v_mad_u64_u32 v[19:20], null, 0x3c439041, v7, v[12:13]
	v_cmp_lt_u32_e64 s0, 31, v25
	s_delay_alu instid0(VALU_DEP_2) | instskip(NEXT) | instid1(VALU_DEP_2)
	v_mov_b32_e32 v12, v20
	v_cndmask_b32_e64 v26, 0, 0xffffffe0, s0
	s_delay_alu instid0(VALU_DEP_2) | instskip(NEXT) | instid1(VALU_DEP_2)
	v_mad_u64_u32 v[20:21], null, 0xdb629599, v7, v[12:13]
	v_add_nc_u32_e32 v26, v26, v25
	s_delay_alu instid0(VALU_DEP_1) | instskip(NEXT) | instid1(VALU_DEP_3)
	v_cmp_lt_u32_e64 s1, 31, v26
	v_mov_b32_e32 v12, v21
	s_delay_alu instid0(VALU_DEP_4) | instskip(NEXT) | instid1(VALU_DEP_2)
	v_cndmask_b32_e32 v18, v20, v18, vcc_lo
	v_mad_u64_u32 v[21:22], null, 0xf534ddc0, v7, v[12:13]
	s_delay_alu instid0(VALU_DEP_1) | instskip(NEXT) | instid1(VALU_DEP_1)
	v_dual_mov_b32 v12, v22 :: v_dual_cndmask_b32 v19, v21, v19
	v_mad_u64_u32 v[22:23], null, 0xfc2757d1, v7, v[12:13]
	s_delay_alu instid0(VALU_DEP_2) | instskip(NEXT) | instid1(VALU_DEP_2)
	v_cndmask_b32_e64 v18, v19, v18, s0
	v_mov_b32_e32 v12, v23
	s_delay_alu instid0(VALU_DEP_1) | instskip(NEXT) | instid1(VALU_DEP_1)
	v_mad_u64_u32 v[23:24], null, 0x4e441529, v7, v[12:13]
	v_mov_b32_e32 v12, v24
	s_delay_alu instid0(VALU_DEP_1) | instskip(SKIP_1) | instid1(VALU_DEP_4)
	v_mad_u64_u32 v[24:25], null, 0xa2f9836e, v7, v[12:13]
	v_cndmask_b32_e64 v7, 0, 0xffffffe0, s1
	v_cndmask_b32_e32 v12, v23, v21, vcc_lo
	s_delay_alu instid0(VALU_DEP_2) | instskip(NEXT) | instid1(VALU_DEP_4)
	v_add_nc_u32_e32 v7, v7, v26
	v_dual_cndmask_b32 v24, v24, v22 :: v_dual_cndmask_b32 v23, v25, v23
	v_cndmask_b32_e32 v22, v22, v20, vcc_lo
	s_delay_alu instid0(VALU_DEP_3) | instskip(NEXT) | instid1(VALU_DEP_3)
	v_cmp_eq_u32_e64 s2, 0, v7
	v_cndmask_b32_e64 v21, v24, v12, s0
	s_delay_alu instid0(VALU_DEP_4) | instskip(NEXT) | instid1(VALU_DEP_4)
	v_cndmask_b32_e64 v23, v23, v24, s0
	v_cndmask_b32_e64 v12, v12, v22, s0
	v_sub_nc_u32_e32 v24, 32, v7
	v_cndmask_b32_e64 v22, v22, v19, s0
	s_delay_alu instid0(VALU_DEP_4) | instskip(NEXT) | instid1(VALU_DEP_4)
	v_cndmask_b32_e64 v23, v23, v21, s1
	v_cndmask_b32_e64 v21, v21, v12, s1
	s_delay_alu instid0(VALU_DEP_3) | instskip(SKIP_1) | instid1(VALU_DEP_3)
	v_cndmask_b32_e64 v12, v12, v22, s1
	v_cndmask_b32_e64 v18, v22, v18, s1
	v_alignbit_b32 v25, v23, v21, v24
	s_delay_alu instid0(VALU_DEP_3) | instskip(NEXT) | instid1(VALU_DEP_3)
	v_alignbit_b32 v26, v21, v12, v24
	v_alignbit_b32 v24, v12, v18, v24
	s_delay_alu instid0(VALU_DEP_3) | instskip(NEXT) | instid1(VALU_DEP_3)
	v_cndmask_b32_e64 v7, v25, v23, s2
	v_cndmask_b32_e64 v20, v26, v21, s2
	s_delay_alu instid0(VALU_DEP_3) | instskip(NEXT) | instid1(VALU_DEP_3)
	v_cndmask_b32_e64 v12, v24, v12, s2
	v_bfe_u32 v21, v7, 29, 1
	s_delay_alu instid0(VALU_DEP_3) | instskip(NEXT) | instid1(VALU_DEP_3)
	v_alignbit_b32 v19, v7, v20, 30
	v_alignbit_b32 v20, v20, v12, 30
	;; [unrolled: 1-line block ×3, first 2 shown]
	s_delay_alu instid0(VALU_DEP_4) | instskip(NEXT) | instid1(VALU_DEP_1)
	v_sub_nc_u32_e32 v23, 0, v21
	v_xor_b32_e32 v22, v19, v23
	v_cmp_ne_u32_e32 vcc_lo, v19, v23
	v_xor_b32_e32 v18, v20, v23
	v_xor_b32_e32 v12, v12, v23
	s_delay_alu instid0(VALU_DEP_4) | instskip(NEXT) | instid1(VALU_DEP_1)
	v_clz_i32_u32_e32 v25, v22
	v_add_nc_u32_e32 v24, 1, v25
	s_delay_alu instid0(VALU_DEP_1) | instskip(NEXT) | instid1(VALU_DEP_1)
	v_cndmask_b32_e32 v19, 33, v24, vcc_lo
	v_sub_nc_u32_e32 v20, 32, v19
	s_delay_alu instid0(VALU_DEP_1) | instskip(SKIP_2) | instid1(VALU_DEP_2)
	v_alignbit_b32 v22, v22, v18, v20
	v_alignbit_b32 v12, v18, v12, v20
	v_lshrrev_b32_e32 v18, 29, v7
	v_alignbit_b32 v20, v22, v12, 9
	s_delay_alu instid0(VALU_DEP_2) | instskip(SKIP_1) | instid1(VALU_DEP_3)
	v_lshlrev_b32_e32 v18, 31, v18
	v_alignbit_b32 v22, v19, v22, 9
	v_clz_i32_u32_e32 v23, v20
	s_delay_alu instid0(VALU_DEP_2) | instskip(SKIP_1) | instid1(VALU_DEP_3)
	v_or_b32_e32 v22, v22, v18
	v_or_b32_e32 v18, 0x33800000, v18
	v_min_u32_e32 v23, 32, v23
	s_delay_alu instid0(VALU_DEP_3) | instskip(NEXT) | instid1(VALU_DEP_2)
	v_xor_b32_e32 v22, 1.0, v22
	v_sub_nc_u32_e32 v24, 31, v23
	v_add_lshl_u32 v19, v23, v19, 23
	s_delay_alu instid0(VALU_DEP_3) | instskip(NEXT) | instid1(VALU_DEP_3)
	v_mul_f32_e32 v23, 0x3fc90fda, v22
	v_alignbit_b32 v12, v20, v12, v24
	s_delay_alu instid0(VALU_DEP_3) | instskip(NEXT) | instid1(VALU_DEP_3)
	v_sub_nc_u32_e32 v18, v18, v19
	v_fma_f32 v19, 0x3fc90fda, v22, -v23
	s_delay_alu instid0(VALU_DEP_3) | instskip(NEXT) | instid1(VALU_DEP_2)
	v_lshrrev_b32_e32 v12, 9, v12
	v_fmac_f32_e32 v19, 0x33a22168, v22
	s_delay_alu instid0(VALU_DEP_2) | instskip(NEXT) | instid1(VALU_DEP_1)
	v_or_b32_e32 v12, v18, v12
	v_fmac_f32_e32 v19, 0x3fc90fda, v12
	v_lshrrev_b32_e32 v12, 30, v7
	s_delay_alu instid0(VALU_DEP_1)
	v_dual_add_f32 v7, v23, v19 :: v_dual_add_nc_u32 v12, v21, v12
	s_and_not1_saveexec_b32 s0, s16
	s_cbranch_execnz .LBB139_223
	s_branch .LBB139_224
.LBB139_222:                            ;   in Loop: Header=BB139_201 Depth=1
	s_and_not1_saveexec_b32 s0, s16
.LBB139_223:                            ;   in Loop: Header=BB139_201 Depth=1
	v_mul_f32_e64 v7, 0x3f22f983, |v9|
	s_delay_alu instid0(VALU_DEP_1) | instskip(NEXT) | instid1(VALU_DEP_1)
	v_rndne_f32_e32 v12, v7
	v_fma_f32 v7, 0xbfc90fda, v12, |v9|
	s_delay_alu instid0(VALU_DEP_1) | instskip(NEXT) | instid1(VALU_DEP_1)
	v_fmac_f32_e32 v7, 0xb3a22168, v12
	v_fmac_f32_e32 v7, 0xa7c234c4, v12
	v_cvt_i32_f32_e32 v12, v12
.LBB139_224:                            ;   in Loop: Header=BB139_201 Depth=1
	s_or_b32 exec_lo, exec_lo, s0
	s_delay_alu instid0(VALU_DEP_1) | instskip(NEXT) | instid1(VALU_DEP_1)
	v_dual_add_f32 v18, 0xc322e3bc, v8 :: v_dual_mul_f32 v23, v7, v7
	v_dual_mul_f32 v22, v4, v4 :: v_dual_mul_f32 v19, 0x3fb8aa3b, v18
	s_delay_alu instid0(VALU_DEP_1) | instskip(SKIP_1) | instid1(VALU_DEP_3)
	v_fmaak_f32 v25, s7, v22, 0x3c0881c4
	v_fmaak_f32 v24, s8, v22, 0xbab64f3b
	v_fma_f32 v20, 0x3fb8aa3b, v18, -v19
	v_rndne_f32_e32 v21, v19
	s_delay_alu instid0(VALU_DEP_1) | instskip(SKIP_1) | instid1(VALU_DEP_2)
	v_dual_sub_f32 v19, v19, v21 :: v_dual_fmac_f32 v20, 0x32a5705f, v18
	v_cmp_ngt_f32_e32 vcc_lo, 0xc2ce8ed0, v18
	v_add_f32_e32 v19, v19, v20
	v_cvt_i32_f32_e32 v20, v21
	v_lshlrev_b32_e32 v21, 30, v5
	s_delay_alu instid0(VALU_DEP_3) | instskip(SKIP_4) | instid1(VALU_DEP_3)
	v_exp_f32_e32 v19, v19
	s_waitcnt_depctr 0xfff
	v_ldexp_f32 v19, v19, v20
	v_and_b32_e32 v20, 1, v12
	v_dual_fmaak_f32 v26, s7, v23, 0x3c0881c4 :: v_dual_and_b32 v5, 1, v5
	v_dual_cndmask_b32 v19, 0, v19 :: v_dual_lshlrev_b32 v12, 30, v12
	v_cmp_nlt_f32_e32 vcc_lo, 0x42b17218, v18
	s_delay_alu instid0(VALU_DEP_3) | instskip(NEXT) | instid1(VALU_DEP_3)
	v_fmaak_f32 v26, v23, v26, 0xbe2aaa9d
	v_and_or_b32 v6, 0x80000000, v12, v6
	v_fmaak_f32 v12, v22, v24, 0x3d2aabf7
	s_delay_alu instid0(VALU_DEP_3) | instskip(SKIP_1) | instid1(VALU_DEP_3)
	v_mul_f32_e32 v26, v23, v26
	v_cndmask_b32_e32 v18, 0x7f800000, v19, vcc_lo
	v_fmaak_f32 v12, v22, v12, 0xbf000004
	v_cmp_eq_u32_e32 vcc_lo, 0, v5
	s_delay_alu instid0(VALU_DEP_4) | instskip(NEXT) | instid1(VALU_DEP_4)
	v_dual_fmac_f32 v7, v7, v26 :: v_dual_fmaak_f32 v24, v22, v25, 0xbe2aaa9d
	v_lshrrev_b32_e32 v25, 23, v18
	v_and_b32_e32 v21, 0x80000000, v21
	v_fma_f32 v12, v22, v12, 1.0
	s_delay_alu instid0(VALU_DEP_4) | instskip(NEXT) | instid1(VALU_DEP_4)
	v_mul_f32_e32 v24, v22, v24
	v_subrev_nc_u32_e32 v25, 19, v25
	s_delay_alu instid0(VALU_DEP_2) | instskip(NEXT) | instid1(VALU_DEP_2)
	v_fmac_f32_e32 v4, v4, v24
	v_lshrrev_b16 v22, 15, v25
	s_delay_alu instid0(VALU_DEP_2) | instskip(NEXT) | instid1(VALU_DEP_2)
	v_cndmask_b32_e64 v4, -v4, v12, vcc_lo
	v_add_nc_u16 v5, v25, v22
	v_cmp_eq_u32_e32 vcc_lo, 0, v20
	s_delay_alu instid0(VALU_DEP_3) | instskip(NEXT) | instid1(VALU_DEP_3)
	v_xor_b32_e32 v4, v21, v4
	v_ashrrev_i16 v5, 1, v5
	s_delay_alu instid0(VALU_DEP_1) | instskip(NEXT) | instid1(VALU_DEP_1)
	v_bfe_i32 v5, v5, 0, 16
	v_lshl_add_u32 v12, v5, 23, 1.0
	v_fmaak_f32 v19, s8, v23, 0xbab64f3b
	v_sub_nc_u32_e32 v5, v25, v5
	s_delay_alu instid0(VALU_DEP_2) | instskip(NEXT) | instid1(VALU_DEP_2)
	v_fmaak_f32 v19, v23, v19, 0x3d2aabf7
	v_lshl_add_u32 v5, v5, 23, 1.0
	s_delay_alu instid0(VALU_DEP_2) | instskip(NEXT) | instid1(VALU_DEP_1)
	v_fmaak_f32 v19, v23, v19, 0xbf000004
	v_fma_f32 v19, v23, v19, 1.0
	s_delay_alu instid0(VALU_DEP_1) | instskip(SKIP_1) | instid1(VALU_DEP_2)
	v_cndmask_b32_e32 v7, v19, v7, vcc_lo
	v_cmp_class_f32_e64 vcc_lo, v9, 0x1f8
	v_xor3_b32 v6, v6, v7, v9
	v_cndmask_b32_e32 v4, 0x7fc00000, v4, vcc_lo
	v_and_or_b32 v7, 0x7fffff, v18, s9
	s_delay_alu instid0(VALU_DEP_3) | instskip(NEXT) | instid1(VALU_DEP_2)
	v_cndmask_b32_e32 v6, 0x7fc00000, v6, vcc_lo
	v_mul_f32_e32 v4, v4, v7
	s_delay_alu instid0(VALU_DEP_2) | instskip(NEXT) | instid1(VALU_DEP_2)
	v_mul_f32_e32 v6, v6, v7
	v_mul_f32_e32 v4, v4, v12
	s_delay_alu instid0(VALU_DEP_2) | instskip(NEXT) | instid1(VALU_DEP_2)
	v_mul_f32_e32 v6, v6, v12
	v_mul_f32_e32 v4, v4, v5
	s_delay_alu instid0(VALU_DEP_2)
	v_mul_f32_e32 v5, v6, v5
	s_or_b32 exec_lo, exec_lo, s15
                                        ; implicit-def: $vgpr7
.LBB139_225:                            ;   in Loop: Header=BB139_201 Depth=1
	s_and_not1_saveexec_b32 s0, s14
	s_cbranch_execz .LBB139_229
.LBB139_226:                            ;   in Loop: Header=BB139_201 Depth=1
	v_sub_f32_e32 v5, v9, v9
	s_mov_b32 s1, exec_lo
	v_cmpx_ne_u32_e32 0x7f800000, v7
	s_xor_b32 s1, exec_lo, s1
	s_delay_alu instid0(SALU_CYCLE_1)
	s_or_saveexec_b32 s1, s1
	v_mov_b32_e32 v4, v5
	s_xor_b32 exec_lo, exec_lo, s1
; %bb.227:                              ;   in Loop: Header=BB139_201 Depth=1
	v_cmp_lt_i32_e32 vcc_lo, -1, v8
	v_dual_cndmask_b32 v4, 0, v8 :: v_dual_cndmask_b32 v5, 0, v5
; %bb.228:                              ;   in Loop: Header=BB139_201 Depth=1
	s_or_b32 exec_lo, exec_lo, s1
.LBB139_229:                            ;   in Loop: Header=BB139_201 Depth=1
	s_delay_alu instid0(SALU_CYCLE_1)
	s_or_b32 exec_lo, exec_lo, s0
                                        ; implicit-def: $vgpr6
.LBB139_230:                            ;   in Loop: Header=BB139_201 Depth=1
	s_and_not1_saveexec_b32 s13, s13
	s_cbranch_execz .LBB139_240
; %bb.231:                              ;   in Loop: Header=BB139_201 Depth=1
	v_cmp_ngt_f32_e64 s14, 0x48000000, |v9|
                                        ; implicit-def: $vgpr5
                                        ; implicit-def: $vgpr4
	s_delay_alu instid0(VALU_DEP_1) | instskip(NEXT) | instid1(SALU_CYCLE_1)
	s_and_saveexec_b32 s0, s14
	s_xor_b32 s15, exec_lo, s0
	s_cbranch_execz .LBB139_233
; %bb.232:                              ;   in Loop: Header=BB139_201 Depth=1
	v_and_or_b32 v7, v6, s6, 0x800000
	s_delay_alu instid0(VALU_DEP_1) | instskip(NEXT) | instid1(VALU_DEP_1)
	v_mad_u64_u32 v[4:5], null, 0xfe5163ab, v7, 0
	v_mov_b32_e32 v12, v5
	v_lshrrev_b32_e32 v5, 23, v6
	s_delay_alu instid0(VALU_DEP_1) | instskip(NEXT) | instid1(VALU_DEP_3)
	v_add_nc_u32_e32 v5, 0xffffff88, v5
	v_mad_u64_u32 v[18:19], null, 0x3c439041, v7, v[12:13]
	s_delay_alu instid0(VALU_DEP_2) | instskip(SKIP_1) | instid1(VALU_DEP_1)
	v_cmp_lt_u32_e32 vcc_lo, 63, v5
	v_cndmask_b32_e64 v23, 0, 0xffffffc0, vcc_lo
	v_add_nc_u32_e32 v5, v23, v5
	s_delay_alu instid0(VALU_DEP_1) | instskip(NEXT) | instid1(VALU_DEP_1)
	v_cmp_lt_u32_e64 s0, 31, v5
	v_cndmask_b32_e64 v24, 0, 0xffffffe0, s0
	s_delay_alu instid0(VALU_DEP_1) | instskip(NEXT) | instid1(VALU_DEP_1)
	v_dual_mov_b32 v12, v19 :: v_dual_add_nc_u32 v5, v24, v5
	v_mad_u64_u32 v[19:20], null, 0xdb629599, v7, v[12:13]
	s_delay_alu instid0(VALU_DEP_2) | instskip(NEXT) | instid1(VALU_DEP_2)
	v_cmp_lt_u32_e64 s1, 31, v5
	v_mov_b32_e32 v12, v20
	s_delay_alu instid0(VALU_DEP_3) | instskip(NEXT) | instid1(VALU_DEP_2)
	v_cndmask_b32_e32 v4, v19, v4, vcc_lo
	v_mad_u64_u32 v[20:21], null, 0xf534ddc0, v7, v[12:13]
	s_delay_alu instid0(VALU_DEP_1) | instskip(NEXT) | instid1(VALU_DEP_1)
	v_mov_b32_e32 v12, v21
	v_mad_u64_u32 v[21:22], null, 0xfc2757d1, v7, v[12:13]
	s_delay_alu instid0(VALU_DEP_1) | instskip(NEXT) | instid1(VALU_DEP_1)
	v_mov_b32_e32 v12, v22
	;; [unrolled: 3-line block ×3, first 2 shown]
	v_mad_u64_u32 v[23:24], null, 0xa2f9836e, v7, v[12:13]
	v_cndmask_b32_e64 v7, 0, 0xffffffe0, s1
	s_delay_alu instid0(VALU_DEP_1) | instskip(SKIP_1) | instid1(VALU_DEP_4)
	v_dual_cndmask_b32 v12, v22, v20 :: v_dual_add_nc_u32 v5, v7, v5
	v_cndmask_b32_e32 v7, v20, v18, vcc_lo
	v_dual_cndmask_b32 v23, v23, v21 :: v_dual_cndmask_b32 v22, v24, v22
	v_cndmask_b32_e32 v21, v21, v19, vcc_lo
	s_delay_alu instid0(VALU_DEP_4) | instskip(NEXT) | instid1(VALU_DEP_4)
	v_cmp_eq_u32_e64 s2, 0, v5
	v_cndmask_b32_e64 v4, v7, v4, s0
	s_delay_alu instid0(VALU_DEP_4) | instskip(SKIP_4) | instid1(VALU_DEP_4)
	v_cndmask_b32_e64 v18, v23, v12, s0
	v_cndmask_b32_e64 v20, v22, v23, s0
	;; [unrolled: 1-line block ×3, first 2 shown]
	v_sub_nc_u32_e32 v22, 32, v5
	v_cndmask_b32_e64 v21, v21, v7, s0
	v_cndmask_b32_e64 v20, v20, v18, s1
	s_delay_alu instid0(VALU_DEP_4) | instskip(NEXT) | instid1(VALU_DEP_3)
	v_cndmask_b32_e64 v18, v18, v12, s1
	v_cndmask_b32_e64 v12, v12, v21, s1
	;; [unrolled: 1-line block ×3, first 2 shown]
	s_delay_alu instid0(VALU_DEP_3) | instskip(NEXT) | instid1(VALU_DEP_3)
	v_alignbit_b32 v23, v20, v18, v22
	v_alignbit_b32 v24, v18, v12, v22
	s_delay_alu instid0(VALU_DEP_3) | instskip(NEXT) | instid1(VALU_DEP_3)
	v_alignbit_b32 v22, v12, v4, v22
	v_cndmask_b32_e64 v5, v23, v20, s2
	s_delay_alu instid0(VALU_DEP_3) | instskip(NEXT) | instid1(VALU_DEP_3)
	v_cndmask_b32_e64 v18, v24, v18, s2
	v_cndmask_b32_e64 v12, v22, v12, s2
	s_delay_alu instid0(VALU_DEP_3) | instskip(NEXT) | instid1(VALU_DEP_3)
	v_bfe_u32 v19, v5, 29, 1
	v_alignbit_b32 v7, v5, v18, 30
	s_delay_alu instid0(VALU_DEP_3) | instskip(SKIP_1) | instid1(VALU_DEP_4)
	v_alignbit_b32 v18, v18, v12, 30
	v_alignbit_b32 v4, v12, v4, 30
	v_sub_nc_u32_e32 v20, 0, v19
	s_delay_alu instid0(VALU_DEP_1) | instskip(SKIP_3) | instid1(VALU_DEP_4)
	v_xor_b32_e32 v21, v7, v20
	v_cmp_ne_u32_e32 vcc_lo, v7, v20
	v_xor_b32_e32 v12, v18, v20
	v_xor_b32_e32 v4, v4, v20
	v_clz_i32_u32_e32 v23, v21
	s_delay_alu instid0(VALU_DEP_1) | instskip(NEXT) | instid1(VALU_DEP_1)
	v_add_nc_u32_e32 v22, 1, v23
	v_cndmask_b32_e32 v7, 33, v22, vcc_lo
	s_delay_alu instid0(VALU_DEP_1) | instskip(NEXT) | instid1(VALU_DEP_1)
	v_sub_nc_u32_e32 v18, 32, v7
	v_alignbit_b32 v20, v21, v12, v18
	v_alignbit_b32 v4, v12, v4, v18
	v_lshrrev_b32_e32 v12, 29, v5
	v_lshrrev_b32_e32 v5, 30, v5
	s_delay_alu instid0(VALU_DEP_3) | instskip(NEXT) | instid1(VALU_DEP_3)
	v_alignbit_b32 v18, v20, v4, 9
	v_lshlrev_b32_e32 v12, 31, v12
	v_alignbit_b32 v20, v7, v20, 9
	s_delay_alu instid0(VALU_DEP_4) | instskip(NEXT) | instid1(VALU_DEP_4)
	v_add_nc_u32_e32 v5, v19, v5
	v_clz_i32_u32_e32 v21, v18
	s_delay_alu instid0(VALU_DEP_3) | instskip(SKIP_1) | instid1(VALU_DEP_3)
	v_or_b32_e32 v20, v20, v12
	v_or_b32_e32 v12, 0x33800000, v12
	v_min_u32_e32 v21, 32, v21
	s_delay_alu instid0(VALU_DEP_3) | instskip(NEXT) | instid1(VALU_DEP_2)
	v_xor_b32_e32 v20, 1.0, v20
	v_sub_nc_u32_e32 v22, 31, v21
	v_add_lshl_u32 v7, v21, v7, 23
	s_delay_alu instid0(VALU_DEP_3) | instskip(NEXT) | instid1(VALU_DEP_3)
	v_mul_f32_e32 v21, 0x3fc90fda, v20
	v_alignbit_b32 v4, v18, v4, v22
	s_delay_alu instid0(VALU_DEP_3) | instskip(NEXT) | instid1(VALU_DEP_3)
	v_sub_nc_u32_e32 v7, v12, v7
	v_fma_f32 v12, 0x3fc90fda, v20, -v21
	s_delay_alu instid0(VALU_DEP_3) | instskip(NEXT) | instid1(VALU_DEP_2)
	v_lshrrev_b32_e32 v4, 9, v4
	v_fmac_f32_e32 v12, 0x33a22168, v20
	s_delay_alu instid0(VALU_DEP_2) | instskip(NEXT) | instid1(VALU_DEP_1)
	v_or_b32_e32 v4, v7, v4
	v_fmac_f32_e32 v12, 0x3fc90fda, v4
	s_delay_alu instid0(VALU_DEP_1)
	v_add_f32_e32 v4, v21, v12
	s_and_not1_saveexec_b32 s0, s15
	s_branch .LBB139_234
.LBB139_233:                            ;   in Loop: Header=BB139_201 Depth=1
	s_and_not1_saveexec_b32 s0, s15
.LBB139_234:                            ;   in Loop: Header=BB139_201 Depth=1
	v_mul_f32_e64 v4, 0x3f22f983, |v9|
	s_delay_alu instid0(VALU_DEP_1) | instskip(NEXT) | instid1(VALU_DEP_1)
	v_rndne_f32_e32 v5, v4
	v_fma_f32 v4, 0xbfc90fda, v5, |v9|
	s_delay_alu instid0(VALU_DEP_1) | instskip(NEXT) | instid1(VALU_DEP_1)
	v_fmac_f32_e32 v4, 0xb3a22168, v5
	v_fmac_f32_e32 v4, 0xa7c234c4, v5
	v_cvt_i32_f32_e32 v5, v5
; %bb.235:                              ;   in Loop: Header=BB139_201 Depth=1
	s_or_b32 exec_lo, exec_lo, s0
                                        ; implicit-def: $vgpr12
                                        ; implicit-def: $vgpr7
	s_and_saveexec_b32 s0, s14
	s_delay_alu instid0(SALU_CYCLE_1)
	s_xor_b32 s14, exec_lo, s0
	s_cbranch_execz .LBB139_237
; %bb.236:                              ;   in Loop: Header=BB139_201 Depth=1
	v_lshrrev_b32_e32 v23, 23, v6
	v_and_or_b32 v7, v6, s6, 0x800000
	s_delay_alu instid0(VALU_DEP_2) | instskip(NEXT) | instid1(VALU_DEP_2)
	v_add_nc_u32_e32 v24, 0xffffff88, v23
	v_mad_u64_u32 v[18:19], null, 0xfe5163ab, v7, 0
	s_delay_alu instid0(VALU_DEP_2) | instskip(SKIP_1) | instid1(VALU_DEP_1)
	v_cmp_lt_u32_e32 vcc_lo, 63, v24
	v_cndmask_b32_e64 v25, 0, 0xffffffc0, vcc_lo
	v_dual_mov_b32 v12, v19 :: v_dual_add_nc_u32 v25, v25, v24
	s_delay_alu instid0(VALU_DEP_1) | instskip(NEXT) | instid1(VALU_DEP_2)
	v_mad_u64_u32 v[19:20], null, 0x3c439041, v7, v[12:13]
	v_cmp_lt_u32_e64 s0, 31, v25
	s_delay_alu instid0(VALU_DEP_2) | instskip(NEXT) | instid1(VALU_DEP_2)
	v_mov_b32_e32 v12, v20
	v_cndmask_b32_e64 v26, 0, 0xffffffe0, s0
	s_delay_alu instid0(VALU_DEP_2) | instskip(NEXT) | instid1(VALU_DEP_2)
	v_mad_u64_u32 v[20:21], null, 0xdb629599, v7, v[12:13]
	v_add_nc_u32_e32 v26, v26, v25
	s_delay_alu instid0(VALU_DEP_1) | instskip(NEXT) | instid1(VALU_DEP_3)
	v_cmp_lt_u32_e64 s1, 31, v26
	v_mov_b32_e32 v12, v21
	s_delay_alu instid0(VALU_DEP_4) | instskip(NEXT) | instid1(VALU_DEP_2)
	v_cndmask_b32_e32 v18, v20, v18, vcc_lo
	v_mad_u64_u32 v[21:22], null, 0xf534ddc0, v7, v[12:13]
	s_delay_alu instid0(VALU_DEP_1) | instskip(NEXT) | instid1(VALU_DEP_1)
	v_dual_mov_b32 v12, v22 :: v_dual_cndmask_b32 v19, v21, v19
	v_mad_u64_u32 v[22:23], null, 0xfc2757d1, v7, v[12:13]
	s_delay_alu instid0(VALU_DEP_2) | instskip(NEXT) | instid1(VALU_DEP_2)
	v_cndmask_b32_e64 v18, v19, v18, s0
	v_mov_b32_e32 v12, v23
	s_delay_alu instid0(VALU_DEP_1) | instskip(NEXT) | instid1(VALU_DEP_1)
	v_mad_u64_u32 v[23:24], null, 0x4e441529, v7, v[12:13]
	v_mov_b32_e32 v12, v24
	s_delay_alu instid0(VALU_DEP_1) | instskip(SKIP_1) | instid1(VALU_DEP_4)
	v_mad_u64_u32 v[24:25], null, 0xa2f9836e, v7, v[12:13]
	v_cndmask_b32_e64 v7, 0, 0xffffffe0, s1
	v_cndmask_b32_e32 v12, v23, v21, vcc_lo
	s_delay_alu instid0(VALU_DEP_2) | instskip(NEXT) | instid1(VALU_DEP_4)
	v_add_nc_u32_e32 v7, v7, v26
	v_dual_cndmask_b32 v24, v24, v22 :: v_dual_cndmask_b32 v23, v25, v23
	v_cndmask_b32_e32 v22, v22, v20, vcc_lo
	s_delay_alu instid0(VALU_DEP_3) | instskip(NEXT) | instid1(VALU_DEP_3)
	v_cmp_eq_u32_e64 s2, 0, v7
	v_cndmask_b32_e64 v21, v24, v12, s0
	s_delay_alu instid0(VALU_DEP_4) | instskip(NEXT) | instid1(VALU_DEP_4)
	v_cndmask_b32_e64 v23, v23, v24, s0
	v_cndmask_b32_e64 v12, v12, v22, s0
	v_sub_nc_u32_e32 v24, 32, v7
	v_cndmask_b32_e64 v22, v22, v19, s0
	s_delay_alu instid0(VALU_DEP_4) | instskip(NEXT) | instid1(VALU_DEP_4)
	v_cndmask_b32_e64 v23, v23, v21, s1
	v_cndmask_b32_e64 v21, v21, v12, s1
	s_delay_alu instid0(VALU_DEP_3) | instskip(SKIP_1) | instid1(VALU_DEP_3)
	v_cndmask_b32_e64 v12, v12, v22, s1
	v_cndmask_b32_e64 v18, v22, v18, s1
	v_alignbit_b32 v25, v23, v21, v24
	s_delay_alu instid0(VALU_DEP_3) | instskip(NEXT) | instid1(VALU_DEP_3)
	v_alignbit_b32 v26, v21, v12, v24
	v_alignbit_b32 v24, v12, v18, v24
	s_delay_alu instid0(VALU_DEP_3) | instskip(NEXT) | instid1(VALU_DEP_3)
	v_cndmask_b32_e64 v7, v25, v23, s2
	v_cndmask_b32_e64 v20, v26, v21, s2
	s_delay_alu instid0(VALU_DEP_3) | instskip(NEXT) | instid1(VALU_DEP_3)
	v_cndmask_b32_e64 v12, v24, v12, s2
	v_bfe_u32 v21, v7, 29, 1
	s_delay_alu instid0(VALU_DEP_3) | instskip(NEXT) | instid1(VALU_DEP_3)
	v_alignbit_b32 v19, v7, v20, 30
	v_alignbit_b32 v20, v20, v12, 30
	;; [unrolled: 1-line block ×3, first 2 shown]
	s_delay_alu instid0(VALU_DEP_4) | instskip(NEXT) | instid1(VALU_DEP_1)
	v_sub_nc_u32_e32 v23, 0, v21
	v_xor_b32_e32 v22, v19, v23
	v_cmp_ne_u32_e32 vcc_lo, v19, v23
	v_xor_b32_e32 v18, v20, v23
	v_xor_b32_e32 v12, v12, v23
	s_delay_alu instid0(VALU_DEP_4) | instskip(NEXT) | instid1(VALU_DEP_1)
	v_clz_i32_u32_e32 v25, v22
	v_add_nc_u32_e32 v24, 1, v25
	s_delay_alu instid0(VALU_DEP_1) | instskip(NEXT) | instid1(VALU_DEP_1)
	v_cndmask_b32_e32 v19, 33, v24, vcc_lo
	v_sub_nc_u32_e32 v20, 32, v19
	s_delay_alu instid0(VALU_DEP_1) | instskip(SKIP_2) | instid1(VALU_DEP_2)
	v_alignbit_b32 v22, v22, v18, v20
	v_alignbit_b32 v12, v18, v12, v20
	v_lshrrev_b32_e32 v18, 29, v7
	v_alignbit_b32 v20, v22, v12, 9
	s_delay_alu instid0(VALU_DEP_2) | instskip(SKIP_1) | instid1(VALU_DEP_3)
	v_lshlrev_b32_e32 v18, 31, v18
	v_alignbit_b32 v22, v19, v22, 9
	v_clz_i32_u32_e32 v23, v20
	s_delay_alu instid0(VALU_DEP_2) | instskip(SKIP_1) | instid1(VALU_DEP_3)
	v_or_b32_e32 v22, v22, v18
	v_or_b32_e32 v18, 0x33800000, v18
	v_min_u32_e32 v23, 32, v23
	s_delay_alu instid0(VALU_DEP_3) | instskip(NEXT) | instid1(VALU_DEP_2)
	v_xor_b32_e32 v22, 1.0, v22
	v_sub_nc_u32_e32 v24, 31, v23
	v_add_lshl_u32 v19, v23, v19, 23
	s_delay_alu instid0(VALU_DEP_3) | instskip(NEXT) | instid1(VALU_DEP_3)
	v_mul_f32_e32 v23, 0x3fc90fda, v22
	v_alignbit_b32 v12, v20, v12, v24
	s_delay_alu instid0(VALU_DEP_3) | instskip(NEXT) | instid1(VALU_DEP_3)
	v_sub_nc_u32_e32 v18, v18, v19
	v_fma_f32 v19, 0x3fc90fda, v22, -v23
	s_delay_alu instid0(VALU_DEP_3) | instskip(NEXT) | instid1(VALU_DEP_2)
	v_lshrrev_b32_e32 v12, 9, v12
	v_fmac_f32_e32 v19, 0x33a22168, v22
	s_delay_alu instid0(VALU_DEP_2) | instskip(NEXT) | instid1(VALU_DEP_1)
	v_or_b32_e32 v12, v18, v12
	v_fmac_f32_e32 v19, 0x3fc90fda, v12
	v_lshrrev_b32_e32 v12, 30, v7
	s_delay_alu instid0(VALU_DEP_1)
	v_dual_add_f32 v7, v23, v19 :: v_dual_add_nc_u32 v12, v21, v12
	s_and_not1_saveexec_b32 s0, s14
	s_cbranch_execnz .LBB139_238
	s_branch .LBB139_239
.LBB139_237:                            ;   in Loop: Header=BB139_201 Depth=1
	s_and_not1_saveexec_b32 s0, s14
.LBB139_238:                            ;   in Loop: Header=BB139_201 Depth=1
	v_mul_f32_e64 v7, 0x3f22f983, |v9|
	s_delay_alu instid0(VALU_DEP_1) | instskip(NEXT) | instid1(VALU_DEP_1)
	v_rndne_f32_e32 v12, v7
	v_fma_f32 v7, 0xbfc90fda, v12, |v9|
	s_delay_alu instid0(VALU_DEP_1) | instskip(NEXT) | instid1(VALU_DEP_1)
	v_fmac_f32_e32 v7, 0xb3a22168, v12
	v_fmac_f32_e32 v7, 0xa7c234c4, v12
	v_cvt_i32_f32_e32 v12, v12
.LBB139_239:                            ;   in Loop: Header=BB139_201 Depth=1
	s_or_b32 exec_lo, exec_lo, s0
	s_delay_alu instid0(VALU_DEP_1) | instskip(SKIP_2) | instid1(VALU_DEP_3)
	v_dual_mul_f32 v18, v4, v4 :: v_dual_mul_f32 v19, v7, v7
	v_and_b32_e32 v20, 1, v5
	v_lshlrev_b32_e32 v5, 30, v5
	v_dual_fmaak_f32 v22, s8, v18, 0xbab64f3b :: v_dual_and_b32 v25, 1, v12
	v_fmaak_f32 v21, s7, v18, 0x3c0881c4
	v_fmaak_f32 v24, s8, v19, 0xbab64f3b
	v_dual_fmaak_f32 v23, s7, v19, 0x3c0881c4 :: v_dual_lshlrev_b32 v12, 30, v12
	v_cmp_eq_u32_e32 vcc_lo, 0, v20
	s_delay_alu instid0(VALU_DEP_4) | instskip(NEXT) | instid1(VALU_DEP_4)
	v_fmaak_f32 v21, v18, v21, 0xbe2aaa9d
	v_fmaak_f32 v24, v19, v24, 0x3d2aabf7
	v_and_b32_e32 v5, 0x80000000, v5
	v_and_or_b32 v6, 0x80000000, v12, v6
	s_delay_alu instid0(VALU_DEP_4) | instskip(SKIP_2) | instid1(VALU_DEP_3)
	v_mul_f32_e32 v21, v18, v21
	v_fmaak_f32 v23, v19, v23, 0xbe2aaa9d
	v_fmaak_f32 v24, v19, v24, 0xbf000004
	v_fmac_f32_e32 v4, v4, v21
	s_delay_alu instid0(VALU_DEP_3) | instskip(NEXT) | instid1(VALU_DEP_3)
	v_dual_fmaak_f32 v22, v18, v22, 0x3d2aabf7 :: v_dual_mul_f32 v23, v19, v23
	v_fma_f32 v19, v19, v24, 1.0
	s_delay_alu instid0(VALU_DEP_2) | instskip(NEXT) | instid1(VALU_DEP_1)
	v_dual_fmaak_f32 v22, v18, v22, 0xbf000004 :: v_dual_fmac_f32 v7, v7, v23
	v_fma_f32 v18, v18, v22, 1.0
	s_delay_alu instid0(VALU_DEP_1) | instskip(SKIP_1) | instid1(VALU_DEP_2)
	v_cndmask_b32_e64 v4, -v4, v18, vcc_lo
	v_cmp_eq_u32_e32 vcc_lo, 0, v25
	v_xor_b32_e32 v4, v5, v4
	v_cndmask_b32_e32 v7, v19, v7, vcc_lo
	v_cmp_class_f32_e64 vcc_lo, v9, 0x1f8
	s_delay_alu instid0(VALU_DEP_2) | instskip(NEXT) | instid1(VALU_DEP_4)
	v_xor3_b32 v5, v6, v7, v9
	v_cndmask_b32_e32 v4, 0x7fc00000, v4, vcc_lo
	s_delay_alu instid0(VALU_DEP_2)
	v_cndmask_b32_e32 v5, 0x7fc00000, v5, vcc_lo
.LBB139_240:                            ;   in Loop: Header=BB139_201 Depth=1
	s_or_b32 exec_lo, exec_lo, s13
.LBB139_241:                            ;   in Loop: Header=BB139_201 Depth=1
	s_and_not1_saveexec_b32 s0, s12
	s_cbranch_execz .LBB139_243
; %bb.242:                              ;   in Loop: Header=BB139_201 Depth=1
	v_mul_f32_e32 v4, 0x3fb8aa3b, v8
	v_cmp_ngt_f32_e32 vcc_lo, 0xc2ce8ed0, v8
	s_delay_alu instid0(VALU_DEP_2) | instskip(SKIP_1) | instid1(VALU_DEP_2)
	v_rndne_f32_e32 v5, v4
	v_fma_f32 v6, 0x3fb8aa3b, v8, -v4
	v_sub_f32_e32 v4, v4, v5
	s_delay_alu instid0(VALU_DEP_2) | instskip(SKIP_1) | instid1(VALU_DEP_2)
	v_fmac_f32_e32 v6, 0x32a5705f, v8
	v_cvt_i32_f32_e32 v5, v5
	v_add_f32_e32 v4, v4, v6
	s_delay_alu instid0(VALU_DEP_1) | instskip(SKIP_2) | instid1(VALU_DEP_1)
	v_exp_f32_e32 v4, v4
	s_waitcnt_depctr 0xfff
	v_ldexp_f32 v4, v4, v5
	v_dual_mov_b32 v5, v9 :: v_dual_cndmask_b32 v4, 0, v4
	v_cmp_nlt_f32_e32 vcc_lo, 0x42b17218, v8
	s_delay_alu instid0(VALU_DEP_2)
	v_cndmask_b32_e32 v4, 0x7f800000, v4, vcc_lo
.LBB139_243:                            ;   in Loop: Header=BB139_201 Depth=1
	s_or_b32 exec_lo, exec_lo, s0
	v_and_b32_e32 v8, 0x7fffffff, v11
	s_mov_b32 s0, exec_lo
	s_delay_alu instid0(VALU_DEP_1)
	v_cmpx_ne_u32_e32 0, v8
	s_xor_b32 s12, exec_lo, s0
	s_cbranch_execz .LBB139_285
; %bb.244:                              ;   in Loop: Header=BB139_201 Depth=1
	v_and_b32_e32 v9, 0x7fffffff, v10
	s_mov_b32 s0, exec_lo
	s_delay_alu instid0(VALU_DEP_1)
	v_cmpx_ne_u32_e32 0, v9
	s_xor_b32 s13, exec_lo, s0
	s_cbranch_execz .LBB139_274
; %bb.245:                              ;   in Loop: Header=BB139_201 Depth=1
	s_mov_b32 s0, exec_lo
	v_cmpx_gt_u32_e32 0x7f800000, v8
	s_xor_b32 s14, exec_lo, s0
	s_cbranch_execz .LBB139_267
; %bb.246:                              ;   in Loop: Header=BB139_201 Depth=1
	v_add_nc_u32_e32 v6, 0xbd4e8de8, v10
	s_mov_b32 s0, exec_lo
	s_delay_alu instid0(VALU_DEP_1)
	v_cmpx_lt_u32_e32 0x8e8e5c, v6
	s_xor_b32 s15, exec_lo, s0
	s_cbranch_execz .LBB139_256
; %bb.247:                              ;   in Loop: Header=BB139_201 Depth=1
	v_cmp_ngt_f32_e64 s16, 0x48000000, |v11|
                                        ; implicit-def: $vgpr7
                                        ; implicit-def: $vgpr6
	s_delay_alu instid0(VALU_DEP_1) | instskip(NEXT) | instid1(SALU_CYCLE_1)
	s_and_saveexec_b32 s0, s16
	s_xor_b32 s17, exec_lo, s0
	s_cbranch_execz .LBB139_249
; %bb.248:                              ;   in Loop: Header=BB139_201 Depth=1
	v_and_or_b32 v9, v8, s6, 0x800000
	s_delay_alu instid0(VALU_DEP_1) | instskip(NEXT) | instid1(VALU_DEP_1)
	v_mad_u64_u32 v[6:7], null, 0xfe5163ab, v9, 0
	v_mov_b32_e32 v12, v7
	v_lshrrev_b32_e32 v7, 23, v8
	s_delay_alu instid0(VALU_DEP_1) | instskip(NEXT) | instid1(VALU_DEP_3)
	v_add_nc_u32_e32 v7, 0xffffff88, v7
	v_mad_u64_u32 v[18:19], null, 0x3c439041, v9, v[12:13]
	s_delay_alu instid0(VALU_DEP_2) | instskip(SKIP_1) | instid1(VALU_DEP_1)
	v_cmp_lt_u32_e32 vcc_lo, 63, v7
	v_cndmask_b32_e64 v23, 0, 0xffffffc0, vcc_lo
	v_add_nc_u32_e32 v7, v23, v7
	s_delay_alu instid0(VALU_DEP_1) | instskip(NEXT) | instid1(VALU_DEP_1)
	v_cmp_lt_u32_e64 s0, 31, v7
	v_cndmask_b32_e64 v24, 0, 0xffffffe0, s0
	s_delay_alu instid0(VALU_DEP_1) | instskip(NEXT) | instid1(VALU_DEP_1)
	v_dual_mov_b32 v12, v19 :: v_dual_add_nc_u32 v7, v24, v7
	v_mad_u64_u32 v[19:20], null, 0xdb629599, v9, v[12:13]
	s_delay_alu instid0(VALU_DEP_2) | instskip(NEXT) | instid1(VALU_DEP_2)
	v_cmp_lt_u32_e64 s1, 31, v7
	v_mov_b32_e32 v12, v20
	s_delay_alu instid0(VALU_DEP_3) | instskip(NEXT) | instid1(VALU_DEP_2)
	v_cndmask_b32_e32 v6, v19, v6, vcc_lo
	v_mad_u64_u32 v[20:21], null, 0xf534ddc0, v9, v[12:13]
	s_delay_alu instid0(VALU_DEP_1) | instskip(NEXT) | instid1(VALU_DEP_1)
	v_mov_b32_e32 v12, v21
	v_mad_u64_u32 v[21:22], null, 0xfc2757d1, v9, v[12:13]
	s_delay_alu instid0(VALU_DEP_1) | instskip(NEXT) | instid1(VALU_DEP_1)
	v_mov_b32_e32 v12, v22
	;; [unrolled: 3-line block ×3, first 2 shown]
	v_mad_u64_u32 v[23:24], null, 0xa2f9836e, v9, v[12:13]
	v_cndmask_b32_e64 v9, 0, 0xffffffe0, s1
	s_delay_alu instid0(VALU_DEP_1) | instskip(NEXT) | instid1(VALU_DEP_3)
	v_dual_cndmask_b32 v12, v22, v20 :: v_dual_add_nc_u32 v7, v9, v7
	v_dual_cndmask_b32 v23, v23, v21 :: v_dual_cndmask_b32 v22, v24, v22
	v_cndmask_b32_e32 v21, v21, v19, vcc_lo
	v_cndmask_b32_e32 v9, v20, v18, vcc_lo
	s_delay_alu instid0(VALU_DEP_4) | instskip(NEXT) | instid1(VALU_DEP_4)
	v_cmp_eq_u32_e64 s2, 0, v7
	v_cndmask_b32_e64 v18, v23, v12, s0
	v_cndmask_b32_e64 v20, v22, v23, s0
	;; [unrolled: 1-line block ×3, first 2 shown]
	v_sub_nc_u32_e32 v22, 32, v7
	v_cndmask_b32_e64 v21, v21, v9, s0
	v_cndmask_b32_e64 v6, v9, v6, s0
	;; [unrolled: 1-line block ×4, first 2 shown]
	s_delay_alu instid0(VALU_DEP_4) | instskip(NEXT) | instid1(VALU_DEP_4)
	v_cndmask_b32_e64 v12, v12, v21, s1
	v_cndmask_b32_e64 v6, v21, v6, s1
	s_delay_alu instid0(VALU_DEP_3) | instskip(NEXT) | instid1(VALU_DEP_3)
	v_alignbit_b32 v23, v20, v18, v22
	v_alignbit_b32 v24, v18, v12, v22
	s_delay_alu instid0(VALU_DEP_3) | instskip(NEXT) | instid1(VALU_DEP_3)
	v_alignbit_b32 v22, v12, v6, v22
	v_cndmask_b32_e64 v7, v23, v20, s2
	s_delay_alu instid0(VALU_DEP_3) | instskip(NEXT) | instid1(VALU_DEP_3)
	v_cndmask_b32_e64 v18, v24, v18, s2
	v_cndmask_b32_e64 v12, v22, v12, s2
	s_delay_alu instid0(VALU_DEP_3) | instskip(NEXT) | instid1(VALU_DEP_3)
	v_bfe_u32 v19, v7, 29, 1
	v_alignbit_b32 v9, v7, v18, 30
	s_delay_alu instid0(VALU_DEP_3) | instskip(SKIP_1) | instid1(VALU_DEP_4)
	v_alignbit_b32 v18, v18, v12, 30
	v_alignbit_b32 v6, v12, v6, 30
	v_sub_nc_u32_e32 v20, 0, v19
	s_delay_alu instid0(VALU_DEP_1) | instskip(SKIP_3) | instid1(VALU_DEP_4)
	v_xor_b32_e32 v21, v9, v20
	v_cmp_ne_u32_e32 vcc_lo, v9, v20
	v_xor_b32_e32 v12, v18, v20
	v_xor_b32_e32 v6, v6, v20
	v_clz_i32_u32_e32 v23, v21
	s_delay_alu instid0(VALU_DEP_1) | instskip(NEXT) | instid1(VALU_DEP_1)
	v_add_nc_u32_e32 v22, 1, v23
	v_cndmask_b32_e32 v9, 33, v22, vcc_lo
	s_delay_alu instid0(VALU_DEP_1) | instskip(NEXT) | instid1(VALU_DEP_1)
	v_sub_nc_u32_e32 v18, 32, v9
	v_alignbit_b32 v20, v21, v12, v18
	v_alignbit_b32 v6, v12, v6, v18
	v_lshrrev_b32_e32 v12, 29, v7
	v_lshrrev_b32_e32 v7, 30, v7
	s_delay_alu instid0(VALU_DEP_3) | instskip(NEXT) | instid1(VALU_DEP_3)
	v_alignbit_b32 v18, v20, v6, 9
	v_lshlrev_b32_e32 v12, 31, v12
	v_alignbit_b32 v20, v9, v20, 9
	s_delay_alu instid0(VALU_DEP_4) | instskip(NEXT) | instid1(VALU_DEP_4)
	v_add_nc_u32_e32 v7, v19, v7
	v_clz_i32_u32_e32 v21, v18
	s_delay_alu instid0(VALU_DEP_3) | instskip(SKIP_1) | instid1(VALU_DEP_3)
	v_or_b32_e32 v20, v20, v12
	v_or_b32_e32 v12, 0x33800000, v12
	v_min_u32_e32 v21, 32, v21
	s_delay_alu instid0(VALU_DEP_3) | instskip(NEXT) | instid1(VALU_DEP_2)
	v_xor_b32_e32 v20, 1.0, v20
	v_sub_nc_u32_e32 v22, 31, v21
	v_add_lshl_u32 v9, v21, v9, 23
	s_delay_alu instid0(VALU_DEP_3) | instskip(NEXT) | instid1(VALU_DEP_3)
	v_mul_f32_e32 v21, 0x3fc90fda, v20
	v_alignbit_b32 v6, v18, v6, v22
	s_delay_alu instid0(VALU_DEP_3) | instskip(NEXT) | instid1(VALU_DEP_3)
	v_sub_nc_u32_e32 v9, v12, v9
	v_fma_f32 v12, 0x3fc90fda, v20, -v21
	s_delay_alu instid0(VALU_DEP_3) | instskip(NEXT) | instid1(VALU_DEP_2)
	v_lshrrev_b32_e32 v6, 9, v6
	v_fmac_f32_e32 v12, 0x33a22168, v20
	s_delay_alu instid0(VALU_DEP_2) | instskip(NEXT) | instid1(VALU_DEP_1)
	v_or_b32_e32 v6, v9, v6
	v_fmac_f32_e32 v12, 0x3fc90fda, v6
	s_delay_alu instid0(VALU_DEP_1)
	v_add_f32_e32 v6, v21, v12
	s_and_not1_saveexec_b32 s0, s17
	s_branch .LBB139_250
.LBB139_249:                            ;   in Loop: Header=BB139_201 Depth=1
	s_and_not1_saveexec_b32 s0, s17
.LBB139_250:                            ;   in Loop: Header=BB139_201 Depth=1
	v_mul_f32_e64 v6, 0x3f22f983, |v11|
	s_delay_alu instid0(VALU_DEP_1) | instskip(NEXT) | instid1(VALU_DEP_1)
	v_rndne_f32_e32 v7, v6
	v_fma_f32 v6, 0xbfc90fda, v7, |v11|
	s_delay_alu instid0(VALU_DEP_1) | instskip(NEXT) | instid1(VALU_DEP_1)
	v_fmac_f32_e32 v6, 0xb3a22168, v7
	v_fmac_f32_e32 v6, 0xa7c234c4, v7
	v_cvt_i32_f32_e32 v7, v7
; %bb.251:                              ;   in Loop: Header=BB139_201 Depth=1
	s_or_b32 exec_lo, exec_lo, s0
                                        ; implicit-def: $vgpr12
                                        ; implicit-def: $vgpr9
	s_and_saveexec_b32 s0, s16
	s_delay_alu instid0(SALU_CYCLE_1)
	s_xor_b32 s16, exec_lo, s0
	s_cbranch_execz .LBB139_253
; %bb.252:                              ;   in Loop: Header=BB139_201 Depth=1
	v_lshrrev_b32_e32 v23, 23, v8
	v_and_or_b32 v9, v8, s6, 0x800000
	s_delay_alu instid0(VALU_DEP_2) | instskip(NEXT) | instid1(VALU_DEP_2)
	v_add_nc_u32_e32 v24, 0xffffff88, v23
	v_mad_u64_u32 v[18:19], null, 0xfe5163ab, v9, 0
	s_delay_alu instid0(VALU_DEP_2) | instskip(SKIP_1) | instid1(VALU_DEP_1)
	v_cmp_lt_u32_e32 vcc_lo, 63, v24
	v_cndmask_b32_e64 v25, 0, 0xffffffc0, vcc_lo
	v_dual_mov_b32 v12, v19 :: v_dual_add_nc_u32 v25, v25, v24
	s_delay_alu instid0(VALU_DEP_1) | instskip(NEXT) | instid1(VALU_DEP_2)
	v_mad_u64_u32 v[19:20], null, 0x3c439041, v9, v[12:13]
	v_cmp_lt_u32_e64 s0, 31, v25
	s_delay_alu instid0(VALU_DEP_2) | instskip(NEXT) | instid1(VALU_DEP_2)
	v_mov_b32_e32 v12, v20
	v_cndmask_b32_e64 v26, 0, 0xffffffe0, s0
	s_delay_alu instid0(VALU_DEP_2) | instskip(NEXT) | instid1(VALU_DEP_2)
	v_mad_u64_u32 v[20:21], null, 0xdb629599, v9, v[12:13]
	v_add_nc_u32_e32 v26, v26, v25
	s_delay_alu instid0(VALU_DEP_1) | instskip(NEXT) | instid1(VALU_DEP_3)
	v_cmp_lt_u32_e64 s1, 31, v26
	v_mov_b32_e32 v12, v21
	s_delay_alu instid0(VALU_DEP_4) | instskip(NEXT) | instid1(VALU_DEP_2)
	v_cndmask_b32_e32 v18, v20, v18, vcc_lo
	v_mad_u64_u32 v[21:22], null, 0xf534ddc0, v9, v[12:13]
	s_delay_alu instid0(VALU_DEP_1) | instskip(NEXT) | instid1(VALU_DEP_1)
	v_dual_mov_b32 v12, v22 :: v_dual_cndmask_b32 v19, v21, v19
	v_mad_u64_u32 v[22:23], null, 0xfc2757d1, v9, v[12:13]
	s_delay_alu instid0(VALU_DEP_2) | instskip(NEXT) | instid1(VALU_DEP_2)
	v_cndmask_b32_e64 v18, v19, v18, s0
	v_mov_b32_e32 v12, v23
	s_delay_alu instid0(VALU_DEP_1) | instskip(NEXT) | instid1(VALU_DEP_1)
	v_mad_u64_u32 v[23:24], null, 0x4e441529, v9, v[12:13]
	v_mov_b32_e32 v12, v24
	s_delay_alu instid0(VALU_DEP_1) | instskip(SKIP_1) | instid1(VALU_DEP_1)
	v_mad_u64_u32 v[24:25], null, 0xa2f9836e, v9, v[12:13]
	v_cndmask_b32_e64 v9, 0, 0xffffffe0, s1
	v_dual_cndmask_b32 v12, v23, v21 :: v_dual_add_nc_u32 v9, v9, v26
	s_delay_alu instid0(VALU_DEP_3) | instskip(SKIP_1) | instid1(VALU_DEP_3)
	v_dual_cndmask_b32 v24, v24, v22 :: v_dual_cndmask_b32 v23, v25, v23
	v_cndmask_b32_e32 v22, v22, v20, vcc_lo
	v_cmp_eq_u32_e64 s2, 0, v9
	s_delay_alu instid0(VALU_DEP_3) | instskip(NEXT) | instid1(VALU_DEP_4)
	v_cndmask_b32_e64 v21, v24, v12, s0
	v_cndmask_b32_e64 v23, v23, v24, s0
	s_delay_alu instid0(VALU_DEP_4) | instskip(SKIP_2) | instid1(VALU_DEP_4)
	v_cndmask_b32_e64 v12, v12, v22, s0
	v_sub_nc_u32_e32 v24, 32, v9
	v_cndmask_b32_e64 v22, v22, v19, s0
	v_cndmask_b32_e64 v23, v23, v21, s1
	s_delay_alu instid0(VALU_DEP_4) | instskip(NEXT) | instid1(VALU_DEP_3)
	v_cndmask_b32_e64 v21, v21, v12, s1
	v_cndmask_b32_e64 v12, v12, v22, s1
	;; [unrolled: 1-line block ×3, first 2 shown]
	s_delay_alu instid0(VALU_DEP_3) | instskip(NEXT) | instid1(VALU_DEP_3)
	v_alignbit_b32 v25, v23, v21, v24
	v_alignbit_b32 v26, v21, v12, v24
	s_delay_alu instid0(VALU_DEP_3) | instskip(NEXT) | instid1(VALU_DEP_3)
	v_alignbit_b32 v24, v12, v18, v24
	v_cndmask_b32_e64 v9, v25, v23, s2
	s_delay_alu instid0(VALU_DEP_3) | instskip(NEXT) | instid1(VALU_DEP_3)
	v_cndmask_b32_e64 v20, v26, v21, s2
	v_cndmask_b32_e64 v12, v24, v12, s2
	s_delay_alu instid0(VALU_DEP_3) | instskip(NEXT) | instid1(VALU_DEP_3)
	v_bfe_u32 v21, v9, 29, 1
	v_alignbit_b32 v19, v9, v20, 30
	s_delay_alu instid0(VALU_DEP_3) | instskip(SKIP_1) | instid1(VALU_DEP_4)
	v_alignbit_b32 v20, v20, v12, 30
	v_alignbit_b32 v12, v12, v18, 30
	v_sub_nc_u32_e32 v23, 0, v21
	s_delay_alu instid0(VALU_DEP_1) | instskip(SKIP_3) | instid1(VALU_DEP_4)
	v_xor_b32_e32 v22, v19, v23
	v_cmp_ne_u32_e32 vcc_lo, v19, v23
	v_xor_b32_e32 v18, v20, v23
	v_xor_b32_e32 v12, v12, v23
	v_clz_i32_u32_e32 v25, v22
	s_delay_alu instid0(VALU_DEP_1) | instskip(NEXT) | instid1(VALU_DEP_1)
	v_add_nc_u32_e32 v24, 1, v25
	v_cndmask_b32_e32 v19, 33, v24, vcc_lo
	s_delay_alu instid0(VALU_DEP_1) | instskip(NEXT) | instid1(VALU_DEP_1)
	v_sub_nc_u32_e32 v20, 32, v19
	v_alignbit_b32 v22, v22, v18, v20
	v_alignbit_b32 v12, v18, v12, v20
	v_lshrrev_b32_e32 v18, 29, v9
	s_delay_alu instid0(VALU_DEP_2) | instskip(NEXT) | instid1(VALU_DEP_2)
	v_alignbit_b32 v20, v22, v12, 9
	v_lshlrev_b32_e32 v18, 31, v18
	v_alignbit_b32 v22, v19, v22, 9
	s_delay_alu instid0(VALU_DEP_3) | instskip(NEXT) | instid1(VALU_DEP_2)
	v_clz_i32_u32_e32 v23, v20
	v_or_b32_e32 v22, v22, v18
	v_or_b32_e32 v18, 0x33800000, v18
	s_delay_alu instid0(VALU_DEP_3) | instskip(NEXT) | instid1(VALU_DEP_3)
	v_min_u32_e32 v23, 32, v23
	v_xor_b32_e32 v22, 1.0, v22
	s_delay_alu instid0(VALU_DEP_2) | instskip(SKIP_1) | instid1(VALU_DEP_3)
	v_sub_nc_u32_e32 v24, 31, v23
	v_add_lshl_u32 v19, v23, v19, 23
	v_mul_f32_e32 v23, 0x3fc90fda, v22
	s_delay_alu instid0(VALU_DEP_3) | instskip(NEXT) | instid1(VALU_DEP_3)
	v_alignbit_b32 v12, v20, v12, v24
	v_sub_nc_u32_e32 v18, v18, v19
	s_delay_alu instid0(VALU_DEP_3) | instskip(NEXT) | instid1(VALU_DEP_3)
	v_fma_f32 v19, 0x3fc90fda, v22, -v23
	v_lshrrev_b32_e32 v12, 9, v12
	s_delay_alu instid0(VALU_DEP_2) | instskip(NEXT) | instid1(VALU_DEP_2)
	v_fmac_f32_e32 v19, 0x33a22168, v22
	v_or_b32_e32 v12, v18, v12
	s_delay_alu instid0(VALU_DEP_1) | instskip(SKIP_1) | instid1(VALU_DEP_1)
	v_fmac_f32_e32 v19, 0x3fc90fda, v12
	v_lshrrev_b32_e32 v12, 30, v9
	v_dual_add_f32 v9, v23, v19 :: v_dual_add_nc_u32 v12, v21, v12
	s_and_not1_saveexec_b32 s0, s16
	s_cbranch_execnz .LBB139_254
	s_branch .LBB139_255
.LBB139_253:                            ;   in Loop: Header=BB139_201 Depth=1
	s_and_not1_saveexec_b32 s0, s16
.LBB139_254:                            ;   in Loop: Header=BB139_201 Depth=1
	v_mul_f32_e64 v9, 0x3f22f983, |v11|
	s_delay_alu instid0(VALU_DEP_1) | instskip(NEXT) | instid1(VALU_DEP_1)
	v_rndne_f32_e32 v12, v9
	v_fma_f32 v9, 0xbfc90fda, v12, |v11|
	s_delay_alu instid0(VALU_DEP_1) | instskip(NEXT) | instid1(VALU_DEP_1)
	v_fmac_f32_e32 v9, 0xb3a22168, v12
	v_fmac_f32_e32 v9, 0xa7c234c4, v12
	v_cvt_i32_f32_e32 v12, v12
.LBB139_255:                            ;   in Loop: Header=BB139_201 Depth=1
	s_or_b32 exec_lo, exec_lo, s0
	v_mul_f32_e32 v18, 0x3fb8aa3b, v10
	v_dual_mul_f32 v19, v6, v6 :: v_dual_and_b32 v20, 1, v7
	v_lshlrev_b32_e32 v7, 30, v7
	v_dual_mul_f32 v23, v9, v9 :: v_dual_and_b32 v24, 1, v12
	s_delay_alu instid0(VALU_DEP_4) | instskip(SKIP_3) | instid1(VALU_DEP_4)
	v_rndne_f32_e32 v21, v18
	v_fma_f32 v22, 0x3fb8aa3b, v10, -v18
	v_dual_fmaak_f32 v25, s7, v19, 0x3c0881c4 :: v_dual_lshlrev_b32 v12, 30, v12
	v_fmaak_f32 v26, s8, v19, 0xbab64f3b
	v_dual_sub_f32 v18, v18, v21 :: v_dual_fmaak_f32 v27, s7, v23, 0x3c0881c4
	s_delay_alu instid0(VALU_DEP_4)
	v_fmac_f32_e32 v22, 0x32a5705f, v10
	v_cmp_eq_u32_e32 vcc_lo, 0, v20
	v_cvt_i32_f32_e32 v21, v21
	v_and_or_b32 v8, 0x80000000, v12, v8
	v_cmp_nlt_f32_e64 s0, 0x42b17218, v10
	v_add_f32_e32 v18, v18, v22
	v_fmaak_f32 v22, v19, v25, 0xbe2aaa9d
	v_fmaak_f32 v25, v19, v26, 0x3d2aabf7
	s_delay_alu instid0(VALU_DEP_2) | instskip(NEXT) | instid1(VALU_DEP_1)
	v_dual_mul_f32 v22, v19, v22 :: v_dual_and_b32 v7, 0x80000000, v7
	v_dual_fmaak_f32 v25, v19, v25, 0xbf000004 :: v_dual_fmac_f32 v6, v6, v22
	s_delay_alu instid0(VALU_DEP_1) | instskip(NEXT) | instid1(VALU_DEP_1)
	v_fma_f32 v19, v19, v25, 1.0
	v_cndmask_b32_e64 v6, -v6, v19, vcc_lo
	v_cmp_eq_u32_e32 vcc_lo, 0, v24
	v_fmaak_f32 v26, v23, v27, 0xbe2aaa9d
	s_delay_alu instid0(VALU_DEP_3) | instskip(NEXT) | instid1(VALU_DEP_2)
	v_xor_b32_e32 v6, v7, v6
	v_mul_f32_e32 v26, v23, v26
	s_delay_alu instid0(VALU_DEP_1) | instskip(NEXT) | instid1(VALU_DEP_1)
	v_dual_fmaak_f32 v28, s8, v23, 0xbab64f3b :: v_dual_fmac_f32 v9, v9, v26
	v_fmaak_f32 v27, v23, v28, 0x3d2aabf7
	v_exp_f32_e32 v18, v18
	s_waitcnt_depctr 0xfff
	v_ldexp_f32 v18, v18, v21
	v_fmaak_f32 v27, v23, v27, 0xbf000004
	s_delay_alu instid0(VALU_DEP_1) | instskip(NEXT) | instid1(VALU_DEP_1)
	v_fma_f32 v22, v23, v27, 1.0
	v_cndmask_b32_e32 v9, v22, v9, vcc_lo
	v_cmp_ngt_f32_e32 vcc_lo, 0xc2ce8ed0, v10
	s_delay_alu instid0(VALU_DEP_2) | instskip(SKIP_2) | instid1(VALU_DEP_2)
	v_xor3_b32 v7, v8, v9, v11
	v_cndmask_b32_e32 v12, 0, v18, vcc_lo
	v_cmp_class_f32_e64 vcc_lo, v11, 0x1f8
	v_cndmask_b32_e64 v8, 0x7f800000, v12, s0
	v_cndmask_b32_e32 v6, 0x7fc00000, v6, vcc_lo
	s_delay_alu instid0(VALU_DEP_1) | instskip(NEXT) | instid1(VALU_DEP_1)
	v_dual_cndmask_b32 v7, 0x7fc00000, v7 :: v_dual_mul_f32 v6, v8, v6
	v_mul_f32_e32 v7, v8, v7
                                        ; implicit-def: $vgpr8_vgpr9_vgpr10_vgpr11
                                        ; implicit-def: $vgpr8
.LBB139_256:                            ;   in Loop: Header=BB139_201 Depth=1
	s_and_not1_saveexec_b32 s15, s15
	s_cbranch_execz .LBB139_266
; %bb.257:                              ;   in Loop: Header=BB139_201 Depth=1
	v_cmp_ngt_f32_e64 s16, 0x48000000, |v11|
                                        ; implicit-def: $vgpr7
                                        ; implicit-def: $vgpr6
	s_delay_alu instid0(VALU_DEP_1) | instskip(NEXT) | instid1(SALU_CYCLE_1)
	s_and_saveexec_b32 s0, s16
	s_xor_b32 s17, exec_lo, s0
	s_cbranch_execz .LBB139_259
; %bb.258:                              ;   in Loop: Header=BB139_201 Depth=1
	v_and_or_b32 v9, v8, s6, 0x800000
	s_delay_alu instid0(VALU_DEP_1) | instskip(NEXT) | instid1(VALU_DEP_1)
	v_mad_u64_u32 v[6:7], null, 0xfe5163ab, v9, 0
	v_mov_b32_e32 v12, v7
	v_lshrrev_b32_e32 v7, 23, v8
	s_delay_alu instid0(VALU_DEP_1) | instskip(NEXT) | instid1(VALU_DEP_3)
	v_add_nc_u32_e32 v7, 0xffffff88, v7
	v_mad_u64_u32 v[18:19], null, 0x3c439041, v9, v[12:13]
	s_delay_alu instid0(VALU_DEP_2) | instskip(SKIP_1) | instid1(VALU_DEP_1)
	v_cmp_lt_u32_e32 vcc_lo, 63, v7
	v_cndmask_b32_e64 v23, 0, 0xffffffc0, vcc_lo
	v_add_nc_u32_e32 v7, v23, v7
	s_delay_alu instid0(VALU_DEP_1) | instskip(NEXT) | instid1(VALU_DEP_1)
	v_cmp_lt_u32_e64 s0, 31, v7
	v_cndmask_b32_e64 v24, 0, 0xffffffe0, s0
	s_delay_alu instid0(VALU_DEP_1) | instskip(NEXT) | instid1(VALU_DEP_1)
	v_dual_mov_b32 v12, v19 :: v_dual_add_nc_u32 v7, v24, v7
	v_mad_u64_u32 v[19:20], null, 0xdb629599, v9, v[12:13]
	s_delay_alu instid0(VALU_DEP_2) | instskip(NEXT) | instid1(VALU_DEP_2)
	v_cmp_lt_u32_e64 s1, 31, v7
	v_mov_b32_e32 v12, v20
	s_delay_alu instid0(VALU_DEP_3) | instskip(NEXT) | instid1(VALU_DEP_2)
	v_cndmask_b32_e32 v6, v19, v6, vcc_lo
	v_mad_u64_u32 v[20:21], null, 0xf534ddc0, v9, v[12:13]
	s_delay_alu instid0(VALU_DEP_1) | instskip(NEXT) | instid1(VALU_DEP_1)
	v_mov_b32_e32 v12, v21
	v_mad_u64_u32 v[21:22], null, 0xfc2757d1, v9, v[12:13]
	s_delay_alu instid0(VALU_DEP_1) | instskip(NEXT) | instid1(VALU_DEP_1)
	v_mov_b32_e32 v12, v22
	;; [unrolled: 3-line block ×3, first 2 shown]
	v_mad_u64_u32 v[23:24], null, 0xa2f9836e, v9, v[12:13]
	v_cndmask_b32_e64 v9, 0, 0xffffffe0, s1
	s_delay_alu instid0(VALU_DEP_1) | instskip(NEXT) | instid1(VALU_DEP_3)
	v_dual_cndmask_b32 v12, v22, v20 :: v_dual_add_nc_u32 v7, v9, v7
	v_dual_cndmask_b32 v23, v23, v21 :: v_dual_cndmask_b32 v22, v24, v22
	v_cndmask_b32_e32 v21, v21, v19, vcc_lo
	v_cndmask_b32_e32 v9, v20, v18, vcc_lo
	s_delay_alu instid0(VALU_DEP_4) | instskip(NEXT) | instid1(VALU_DEP_4)
	v_cmp_eq_u32_e64 s2, 0, v7
	v_cndmask_b32_e64 v18, v23, v12, s0
	v_cndmask_b32_e64 v20, v22, v23, s0
	;; [unrolled: 1-line block ×3, first 2 shown]
	v_sub_nc_u32_e32 v22, 32, v7
	v_cndmask_b32_e64 v21, v21, v9, s0
	v_cndmask_b32_e64 v6, v9, v6, s0
	v_cndmask_b32_e64 v20, v20, v18, s1
	v_cndmask_b32_e64 v18, v18, v12, s1
	s_delay_alu instid0(VALU_DEP_4) | instskip(NEXT) | instid1(VALU_DEP_4)
	v_cndmask_b32_e64 v12, v12, v21, s1
	v_cndmask_b32_e64 v6, v21, v6, s1
	s_delay_alu instid0(VALU_DEP_3) | instskip(NEXT) | instid1(VALU_DEP_3)
	v_alignbit_b32 v23, v20, v18, v22
	v_alignbit_b32 v24, v18, v12, v22
	s_delay_alu instid0(VALU_DEP_3) | instskip(NEXT) | instid1(VALU_DEP_3)
	v_alignbit_b32 v22, v12, v6, v22
	v_cndmask_b32_e64 v7, v23, v20, s2
	s_delay_alu instid0(VALU_DEP_3) | instskip(NEXT) | instid1(VALU_DEP_3)
	v_cndmask_b32_e64 v18, v24, v18, s2
	v_cndmask_b32_e64 v12, v22, v12, s2
	s_delay_alu instid0(VALU_DEP_3) | instskip(NEXT) | instid1(VALU_DEP_3)
	v_bfe_u32 v19, v7, 29, 1
	v_alignbit_b32 v9, v7, v18, 30
	s_delay_alu instid0(VALU_DEP_3) | instskip(SKIP_1) | instid1(VALU_DEP_4)
	v_alignbit_b32 v18, v18, v12, 30
	v_alignbit_b32 v6, v12, v6, 30
	v_sub_nc_u32_e32 v20, 0, v19
	s_delay_alu instid0(VALU_DEP_1) | instskip(SKIP_3) | instid1(VALU_DEP_4)
	v_xor_b32_e32 v21, v9, v20
	v_cmp_ne_u32_e32 vcc_lo, v9, v20
	v_xor_b32_e32 v12, v18, v20
	v_xor_b32_e32 v6, v6, v20
	v_clz_i32_u32_e32 v23, v21
	s_delay_alu instid0(VALU_DEP_1) | instskip(NEXT) | instid1(VALU_DEP_1)
	v_add_nc_u32_e32 v22, 1, v23
	v_cndmask_b32_e32 v9, 33, v22, vcc_lo
	s_delay_alu instid0(VALU_DEP_1) | instskip(NEXT) | instid1(VALU_DEP_1)
	v_sub_nc_u32_e32 v18, 32, v9
	v_alignbit_b32 v20, v21, v12, v18
	v_alignbit_b32 v6, v12, v6, v18
	v_lshrrev_b32_e32 v12, 29, v7
	v_lshrrev_b32_e32 v7, 30, v7
	s_delay_alu instid0(VALU_DEP_3) | instskip(NEXT) | instid1(VALU_DEP_3)
	v_alignbit_b32 v18, v20, v6, 9
	v_lshlrev_b32_e32 v12, 31, v12
	v_alignbit_b32 v20, v9, v20, 9
	s_delay_alu instid0(VALU_DEP_4) | instskip(NEXT) | instid1(VALU_DEP_4)
	v_add_nc_u32_e32 v7, v19, v7
	v_clz_i32_u32_e32 v21, v18
	s_delay_alu instid0(VALU_DEP_3) | instskip(SKIP_1) | instid1(VALU_DEP_3)
	v_or_b32_e32 v20, v20, v12
	v_or_b32_e32 v12, 0x33800000, v12
	v_min_u32_e32 v21, 32, v21
	s_delay_alu instid0(VALU_DEP_3) | instskip(NEXT) | instid1(VALU_DEP_2)
	v_xor_b32_e32 v20, 1.0, v20
	v_sub_nc_u32_e32 v22, 31, v21
	v_add_lshl_u32 v9, v21, v9, 23
	s_delay_alu instid0(VALU_DEP_3) | instskip(NEXT) | instid1(VALU_DEP_3)
	v_mul_f32_e32 v21, 0x3fc90fda, v20
	v_alignbit_b32 v6, v18, v6, v22
	s_delay_alu instid0(VALU_DEP_3) | instskip(NEXT) | instid1(VALU_DEP_3)
	v_sub_nc_u32_e32 v9, v12, v9
	v_fma_f32 v12, 0x3fc90fda, v20, -v21
	s_delay_alu instid0(VALU_DEP_3) | instskip(NEXT) | instid1(VALU_DEP_2)
	v_lshrrev_b32_e32 v6, 9, v6
	v_fmac_f32_e32 v12, 0x33a22168, v20
	s_delay_alu instid0(VALU_DEP_2) | instskip(NEXT) | instid1(VALU_DEP_1)
	v_or_b32_e32 v6, v9, v6
	v_fmac_f32_e32 v12, 0x3fc90fda, v6
	s_delay_alu instid0(VALU_DEP_1)
	v_add_f32_e32 v6, v21, v12
	s_and_not1_saveexec_b32 s0, s17
	s_branch .LBB139_260
.LBB139_259:                            ;   in Loop: Header=BB139_201 Depth=1
	s_and_not1_saveexec_b32 s0, s17
.LBB139_260:                            ;   in Loop: Header=BB139_201 Depth=1
	v_mul_f32_e64 v6, 0x3f22f983, |v11|
	s_delay_alu instid0(VALU_DEP_1) | instskip(NEXT) | instid1(VALU_DEP_1)
	v_rndne_f32_e32 v7, v6
	v_fma_f32 v6, 0xbfc90fda, v7, |v11|
	s_delay_alu instid0(VALU_DEP_1) | instskip(NEXT) | instid1(VALU_DEP_1)
	v_fmac_f32_e32 v6, 0xb3a22168, v7
	v_fmac_f32_e32 v6, 0xa7c234c4, v7
	v_cvt_i32_f32_e32 v7, v7
; %bb.261:                              ;   in Loop: Header=BB139_201 Depth=1
	s_or_b32 exec_lo, exec_lo, s0
                                        ; implicit-def: $vgpr12
                                        ; implicit-def: $vgpr9
	s_and_saveexec_b32 s0, s16
	s_delay_alu instid0(SALU_CYCLE_1)
	s_xor_b32 s16, exec_lo, s0
	s_cbranch_execz .LBB139_263
; %bb.262:                              ;   in Loop: Header=BB139_201 Depth=1
	v_lshrrev_b32_e32 v23, 23, v8
	v_and_or_b32 v9, v8, s6, 0x800000
	s_delay_alu instid0(VALU_DEP_2) | instskip(NEXT) | instid1(VALU_DEP_2)
	v_add_nc_u32_e32 v24, 0xffffff88, v23
	v_mad_u64_u32 v[18:19], null, 0xfe5163ab, v9, 0
	s_delay_alu instid0(VALU_DEP_2) | instskip(SKIP_1) | instid1(VALU_DEP_1)
	v_cmp_lt_u32_e32 vcc_lo, 63, v24
	v_cndmask_b32_e64 v25, 0, 0xffffffc0, vcc_lo
	v_dual_mov_b32 v12, v19 :: v_dual_add_nc_u32 v25, v25, v24
	s_delay_alu instid0(VALU_DEP_1) | instskip(NEXT) | instid1(VALU_DEP_2)
	v_mad_u64_u32 v[19:20], null, 0x3c439041, v9, v[12:13]
	v_cmp_lt_u32_e64 s0, 31, v25
	s_delay_alu instid0(VALU_DEP_2) | instskip(NEXT) | instid1(VALU_DEP_2)
	v_mov_b32_e32 v12, v20
	v_cndmask_b32_e64 v26, 0, 0xffffffe0, s0
	s_delay_alu instid0(VALU_DEP_2) | instskip(NEXT) | instid1(VALU_DEP_2)
	v_mad_u64_u32 v[20:21], null, 0xdb629599, v9, v[12:13]
	v_add_nc_u32_e32 v26, v26, v25
	s_delay_alu instid0(VALU_DEP_1) | instskip(NEXT) | instid1(VALU_DEP_3)
	v_cmp_lt_u32_e64 s1, 31, v26
	v_mov_b32_e32 v12, v21
	s_delay_alu instid0(VALU_DEP_4) | instskip(NEXT) | instid1(VALU_DEP_2)
	v_cndmask_b32_e32 v18, v20, v18, vcc_lo
	v_mad_u64_u32 v[21:22], null, 0xf534ddc0, v9, v[12:13]
	s_delay_alu instid0(VALU_DEP_1) | instskip(NEXT) | instid1(VALU_DEP_1)
	v_dual_mov_b32 v12, v22 :: v_dual_cndmask_b32 v19, v21, v19
	v_mad_u64_u32 v[22:23], null, 0xfc2757d1, v9, v[12:13]
	s_delay_alu instid0(VALU_DEP_2) | instskip(NEXT) | instid1(VALU_DEP_2)
	v_cndmask_b32_e64 v18, v19, v18, s0
	v_mov_b32_e32 v12, v23
	s_delay_alu instid0(VALU_DEP_1) | instskip(NEXT) | instid1(VALU_DEP_1)
	v_mad_u64_u32 v[23:24], null, 0x4e441529, v9, v[12:13]
	v_mov_b32_e32 v12, v24
	s_delay_alu instid0(VALU_DEP_1) | instskip(SKIP_1) | instid1(VALU_DEP_1)
	v_mad_u64_u32 v[24:25], null, 0xa2f9836e, v9, v[12:13]
	v_cndmask_b32_e64 v9, 0, 0xffffffe0, s1
	v_dual_cndmask_b32 v12, v23, v21 :: v_dual_add_nc_u32 v9, v9, v26
	s_delay_alu instid0(VALU_DEP_3) | instskip(SKIP_1) | instid1(VALU_DEP_3)
	v_dual_cndmask_b32 v24, v24, v22 :: v_dual_cndmask_b32 v23, v25, v23
	v_cndmask_b32_e32 v22, v22, v20, vcc_lo
	v_cmp_eq_u32_e64 s2, 0, v9
	s_delay_alu instid0(VALU_DEP_3) | instskip(NEXT) | instid1(VALU_DEP_4)
	v_cndmask_b32_e64 v21, v24, v12, s0
	v_cndmask_b32_e64 v23, v23, v24, s0
	s_delay_alu instid0(VALU_DEP_4) | instskip(SKIP_2) | instid1(VALU_DEP_4)
	v_cndmask_b32_e64 v12, v12, v22, s0
	v_sub_nc_u32_e32 v24, 32, v9
	v_cndmask_b32_e64 v22, v22, v19, s0
	v_cndmask_b32_e64 v23, v23, v21, s1
	s_delay_alu instid0(VALU_DEP_4) | instskip(NEXT) | instid1(VALU_DEP_3)
	v_cndmask_b32_e64 v21, v21, v12, s1
	v_cndmask_b32_e64 v12, v12, v22, s1
	;; [unrolled: 1-line block ×3, first 2 shown]
	s_delay_alu instid0(VALU_DEP_3) | instskip(NEXT) | instid1(VALU_DEP_3)
	v_alignbit_b32 v25, v23, v21, v24
	v_alignbit_b32 v26, v21, v12, v24
	s_delay_alu instid0(VALU_DEP_3) | instskip(NEXT) | instid1(VALU_DEP_3)
	v_alignbit_b32 v24, v12, v18, v24
	v_cndmask_b32_e64 v9, v25, v23, s2
	s_delay_alu instid0(VALU_DEP_3) | instskip(NEXT) | instid1(VALU_DEP_3)
	v_cndmask_b32_e64 v20, v26, v21, s2
	v_cndmask_b32_e64 v12, v24, v12, s2
	s_delay_alu instid0(VALU_DEP_3) | instskip(NEXT) | instid1(VALU_DEP_3)
	v_bfe_u32 v21, v9, 29, 1
	v_alignbit_b32 v19, v9, v20, 30
	s_delay_alu instid0(VALU_DEP_3) | instskip(SKIP_1) | instid1(VALU_DEP_4)
	v_alignbit_b32 v20, v20, v12, 30
	v_alignbit_b32 v12, v12, v18, 30
	v_sub_nc_u32_e32 v23, 0, v21
	s_delay_alu instid0(VALU_DEP_1) | instskip(SKIP_3) | instid1(VALU_DEP_4)
	v_xor_b32_e32 v22, v19, v23
	v_cmp_ne_u32_e32 vcc_lo, v19, v23
	v_xor_b32_e32 v18, v20, v23
	v_xor_b32_e32 v12, v12, v23
	v_clz_i32_u32_e32 v25, v22
	s_delay_alu instid0(VALU_DEP_1) | instskip(NEXT) | instid1(VALU_DEP_1)
	v_add_nc_u32_e32 v24, 1, v25
	v_cndmask_b32_e32 v19, 33, v24, vcc_lo
	s_delay_alu instid0(VALU_DEP_1) | instskip(NEXT) | instid1(VALU_DEP_1)
	v_sub_nc_u32_e32 v20, 32, v19
	v_alignbit_b32 v22, v22, v18, v20
	v_alignbit_b32 v12, v18, v12, v20
	v_lshrrev_b32_e32 v18, 29, v9
	s_delay_alu instid0(VALU_DEP_2) | instskip(NEXT) | instid1(VALU_DEP_2)
	v_alignbit_b32 v20, v22, v12, 9
	v_lshlrev_b32_e32 v18, 31, v18
	v_alignbit_b32 v22, v19, v22, 9
	s_delay_alu instid0(VALU_DEP_3) | instskip(NEXT) | instid1(VALU_DEP_2)
	v_clz_i32_u32_e32 v23, v20
	v_or_b32_e32 v22, v22, v18
	v_or_b32_e32 v18, 0x33800000, v18
	s_delay_alu instid0(VALU_DEP_3) | instskip(NEXT) | instid1(VALU_DEP_3)
	v_min_u32_e32 v23, 32, v23
	v_xor_b32_e32 v22, 1.0, v22
	s_delay_alu instid0(VALU_DEP_2) | instskip(SKIP_1) | instid1(VALU_DEP_3)
	v_sub_nc_u32_e32 v24, 31, v23
	v_add_lshl_u32 v19, v23, v19, 23
	v_mul_f32_e32 v23, 0x3fc90fda, v22
	s_delay_alu instid0(VALU_DEP_3) | instskip(NEXT) | instid1(VALU_DEP_3)
	v_alignbit_b32 v12, v20, v12, v24
	v_sub_nc_u32_e32 v18, v18, v19
	s_delay_alu instid0(VALU_DEP_3) | instskip(NEXT) | instid1(VALU_DEP_3)
	v_fma_f32 v19, 0x3fc90fda, v22, -v23
	v_lshrrev_b32_e32 v12, 9, v12
	s_delay_alu instid0(VALU_DEP_2) | instskip(NEXT) | instid1(VALU_DEP_2)
	v_fmac_f32_e32 v19, 0x33a22168, v22
	v_or_b32_e32 v12, v18, v12
	s_delay_alu instid0(VALU_DEP_1) | instskip(SKIP_1) | instid1(VALU_DEP_1)
	v_fmac_f32_e32 v19, 0x3fc90fda, v12
	v_lshrrev_b32_e32 v12, 30, v9
	v_dual_add_f32 v9, v23, v19 :: v_dual_add_nc_u32 v12, v21, v12
	s_and_not1_saveexec_b32 s0, s16
	s_cbranch_execnz .LBB139_264
	s_branch .LBB139_265
.LBB139_263:                            ;   in Loop: Header=BB139_201 Depth=1
	s_and_not1_saveexec_b32 s0, s16
.LBB139_264:                            ;   in Loop: Header=BB139_201 Depth=1
	v_mul_f32_e64 v9, 0x3f22f983, |v11|
	s_delay_alu instid0(VALU_DEP_1) | instskip(NEXT) | instid1(VALU_DEP_1)
	v_rndne_f32_e32 v12, v9
	v_fma_f32 v9, 0xbfc90fda, v12, |v11|
	s_delay_alu instid0(VALU_DEP_1) | instskip(NEXT) | instid1(VALU_DEP_1)
	v_fmac_f32_e32 v9, 0xb3a22168, v12
	v_fmac_f32_e32 v9, 0xa7c234c4, v12
	v_cvt_i32_f32_e32 v12, v12
.LBB139_265:                            ;   in Loop: Header=BB139_201 Depth=1
	s_or_b32 exec_lo, exec_lo, s0
	v_add_f32_e32 v10, 0xc322e3bc, v10
	s_delay_alu instid0(VALU_DEP_2) | instskip(NEXT) | instid1(VALU_DEP_2)
	v_dual_mul_f32 v21, v6, v6 :: v_dual_mul_f32 v22, v9, v9
	v_mul_f32_e32 v18, 0x3fb8aa3b, v10
	s_delay_alu instid0(VALU_DEP_2) | instskip(SKIP_1) | instid1(VALU_DEP_4)
	v_fmaak_f32 v24, s7, v21, 0x3c0881c4
	v_fmaak_f32 v23, s8, v21, 0xbab64f3b
	;; [unrolled: 1-line block ×3, first 2 shown]
	s_delay_alu instid0(VALU_DEP_4) | instskip(SKIP_1) | instid1(VALU_DEP_3)
	v_fma_f32 v19, 0x3fb8aa3b, v10, -v18
	v_rndne_f32_e32 v20, v18
	v_fmaak_f32 v25, v22, v25, 0xbe2aaa9d
	s_delay_alu instid0(VALU_DEP_2) | instskip(NEXT) | instid1(VALU_DEP_2)
	v_dual_fmac_f32 v19, 0x32a5705f, v10 :: v_dual_sub_f32 v18, v18, v20
	v_mul_f32_e32 v25, v22, v25
	s_delay_alu instid0(VALU_DEP_2)
	v_add_f32_e32 v18, v18, v19
	v_cvt_i32_f32_e32 v19, v20
	v_lshlrev_b32_e32 v20, 30, v7
	v_and_b32_e32 v7, 1, v7
	v_cmp_ngt_f32_e32 vcc_lo, 0xc2ce8ed0, v10
	v_exp_f32_e32 v18, v18
	v_fmac_f32_e32 v9, v9, v25
	s_waitcnt_depctr 0xfff
	v_ldexp_f32 v18, v18, v19
	v_and_b32_e32 v19, 1, v12
	v_lshlrev_b32_e32 v12, 30, v12
	s_delay_alu instid0(VALU_DEP_3) | instskip(SKIP_1) | instid1(VALU_DEP_3)
	v_cndmask_b32_e32 v18, 0, v18, vcc_lo
	v_cmp_nlt_f32_e32 vcc_lo, 0x42b17218, v10
	v_and_or_b32 v8, 0x80000000, v12, v8
	v_fmaak_f32 v12, v21, v23, 0x3d2aabf7
	v_fmaak_f32 v23, v21, v24, 0xbe2aaa9d
	v_and_b32_e32 v20, 0x80000000, v20
	v_cndmask_b32_e32 v10, 0x7f800000, v18, vcc_lo
	v_fmaak_f32 v18, s8, v22, 0xbab64f3b
	v_fmaak_f32 v12, v21, v12, 0xbf000004
	v_mul_f32_e32 v23, v21, v23
	v_cmp_eq_u32_e32 vcc_lo, 0, v7
	v_lshrrev_b32_e32 v24, 23, v10
	v_fmaak_f32 v18, v22, v18, 0x3d2aabf7
	v_fma_f32 v12, v21, v12, 1.0
	v_fmac_f32_e32 v6, v6, v23
	s_delay_alu instid0(VALU_DEP_4) | instskip(NEXT) | instid1(VALU_DEP_4)
	v_subrev_nc_u32_e32 v24, 19, v24
	v_fmaak_f32 v18, v22, v18, 0xbf000004
	s_delay_alu instid0(VALU_DEP_3) | instskip(SKIP_1) | instid1(VALU_DEP_4)
	v_cndmask_b32_e64 v6, -v6, v12, vcc_lo
	v_cmp_eq_u32_e32 vcc_lo, 0, v19
	v_lshrrev_b16 v21, 15, v24
	s_delay_alu instid0(VALU_DEP_4) | instskip(NEXT) | instid1(VALU_DEP_4)
	v_fma_f32 v18, v22, v18, 1.0
	v_xor_b32_e32 v6, v20, v6
	s_delay_alu instid0(VALU_DEP_3) | instskip(NEXT) | instid1(VALU_DEP_3)
	v_add_nc_u16 v7, v24, v21
	v_cndmask_b32_e32 v9, v18, v9, vcc_lo
	v_cmp_class_f32_e64 vcc_lo, v11, 0x1f8
	s_delay_alu instid0(VALU_DEP_3) | instskip(NEXT) | instid1(VALU_DEP_3)
	v_ashrrev_i16 v7, 1, v7
	v_xor3_b32 v8, v8, v9, v11
	v_cndmask_b32_e32 v6, 0x7fc00000, v6, vcc_lo
	v_and_or_b32 v9, 0x7fffff, v10, s9
	s_delay_alu instid0(VALU_DEP_4) | instskip(NEXT) | instid1(VALU_DEP_4)
	v_bfe_i32 v7, v7, 0, 16
	v_cndmask_b32_e32 v8, 0x7fc00000, v8, vcc_lo
	s_delay_alu instid0(VALU_DEP_3) | instskip(NEXT) | instid1(VALU_DEP_3)
	v_mul_f32_e32 v6, v6, v9
	v_lshl_add_u32 v10, v7, 23, 1.0
	v_sub_nc_u32_e32 v7, v24, v7
	s_delay_alu instid0(VALU_DEP_4) | instskip(NEXT) | instid1(VALU_DEP_3)
	v_mul_f32_e32 v8, v8, v9
	v_mul_f32_e32 v6, v6, v10
	s_delay_alu instid0(VALU_DEP_3) | instskip(NEXT) | instid1(VALU_DEP_3)
	v_lshl_add_u32 v7, v7, 23, 1.0
	v_mul_f32_e32 v8, v8, v10
	s_delay_alu instid0(VALU_DEP_2) | instskip(NEXT) | instid1(VALU_DEP_2)
	v_mul_f32_e32 v6, v6, v7
	v_mul_f32_e32 v7, v8, v7
.LBB139_266:                            ;   in Loop: Header=BB139_201 Depth=1
	s_or_b32 exec_lo, exec_lo, s15
                                        ; implicit-def: $vgpr8_vgpr9_vgpr10_vgpr11
                                        ; implicit-def: $vgpr9
.LBB139_267:                            ;   in Loop: Header=BB139_201 Depth=1
	s_and_not1_saveexec_b32 s0, s14
	s_cbranch_execz .LBB139_273
; %bb.268:                              ;   in Loop: Header=BB139_201 Depth=1
	v_sub_f32_e32 v7, v11, v11
	s_mov_b32 s1, exec_lo
	v_cmpx_ne_u32_e32 0x7f800000, v9
	s_xor_b32 s1, exec_lo, s1
; %bb.269:                              ;   in Loop: Header=BB139_201 Depth=1
                                        ; implicit-def: $vgpr8_vgpr9_vgpr10_vgpr11
; %bb.270:                              ;   in Loop: Header=BB139_201 Depth=1
	s_delay_alu instid0(SALU_CYCLE_1)
	s_or_saveexec_b32 s1, s1
	v_mov_b32_e32 v6, v7
	s_xor_b32 exec_lo, exec_lo, s1
; %bb.271:                              ;   in Loop: Header=BB139_201 Depth=1
	v_cmp_lt_i32_e32 vcc_lo, -1, v10
	v_dual_cndmask_b32 v6, 0, v10 :: v_dual_cndmask_b32 v7, 0, v7
; %bb.272:                              ;   in Loop: Header=BB139_201 Depth=1
	s_or_b32 exec_lo, exec_lo, s1
.LBB139_273:                            ;   in Loop: Header=BB139_201 Depth=1
	s_delay_alu instid0(SALU_CYCLE_1)
	s_or_b32 exec_lo, exec_lo, s0
                                        ; implicit-def: $vgpr8_vgpr9_vgpr10_vgpr11
                                        ; implicit-def: $vgpr8
.LBB139_274:                            ;   in Loop: Header=BB139_201 Depth=1
	s_and_not1_saveexec_b32 s13, s13
	s_cbranch_execz .LBB139_284
; %bb.275:                              ;   in Loop: Header=BB139_201 Depth=1
	v_cmp_ngt_f32_e64 s14, 0x48000000, |v11|
                                        ; implicit-def: $vgpr7
                                        ; implicit-def: $vgpr6
	s_delay_alu instid0(VALU_DEP_1) | instskip(NEXT) | instid1(SALU_CYCLE_1)
	s_and_saveexec_b32 s0, s14
	s_xor_b32 s15, exec_lo, s0
	s_cbranch_execz .LBB139_277
; %bb.276:                              ;   in Loop: Header=BB139_201 Depth=1
	v_and_or_b32 v24, v8, s6, 0x800000
	s_delay_alu instid0(VALU_DEP_1) | instskip(NEXT) | instid1(VALU_DEP_1)
	v_mad_u64_u32 v[6:7], null, 0xfe5163ab, v24, 0
	v_mov_b32_e32 v12, v7
	v_lshrrev_b32_e32 v7, 23, v8
	s_delay_alu instid0(VALU_DEP_1) | instskip(NEXT) | instid1(VALU_DEP_3)
	v_add_nc_u32_e32 v7, 0xffffff88, v7
	v_mad_u64_u32 v[9:10], null, 0x3c439041, v24, v[12:13]
	s_delay_alu instid0(VALU_DEP_2) | instskip(NEXT) | instid1(VALU_DEP_2)
	v_cmp_lt_u32_e32 vcc_lo, 63, v7
	v_mov_b32_e32 v12, v10
	v_cndmask_b32_e64 v10, 0, 0xffffffc0, vcc_lo
	s_delay_alu instid0(VALU_DEP_2) | instskip(NEXT) | instid1(VALU_DEP_2)
	v_mad_u64_u32 v[18:19], null, 0xdb629599, v24, v[12:13]
	v_add_nc_u32_e32 v7, v10, v7
	s_delay_alu instid0(VALU_DEP_1) | instskip(NEXT) | instid1(VALU_DEP_3)
	v_cmp_lt_u32_e64 s0, 31, v7
	v_mov_b32_e32 v12, v19
	s_delay_alu instid0(VALU_DEP_4) | instskip(NEXT) | instid1(VALU_DEP_3)
	v_cndmask_b32_e32 v6, v18, v6, vcc_lo
	v_cndmask_b32_e64 v10, 0, 0xffffffe0, s0
	s_delay_alu instid0(VALU_DEP_3) | instskip(NEXT) | instid1(VALU_DEP_1)
	v_mad_u64_u32 v[19:20], null, 0xf534ddc0, v24, v[12:13]
	v_dual_mov_b32 v12, v20 :: v_dual_add_nc_u32 v7, v10, v7
	s_delay_alu instid0(VALU_DEP_1) | instskip(NEXT) | instid1(VALU_DEP_3)
	v_cmp_lt_u32_e64 s1, 31, v7
	v_cndmask_b32_e32 v9, v19, v9, vcc_lo
	s_delay_alu instid0(VALU_DEP_3) | instskip(NEXT) | instid1(VALU_DEP_3)
	v_mad_u64_u32 v[20:21], null, 0xfc2757d1, v24, v[12:13]
	v_cndmask_b32_e64 v10, 0, 0xffffffe0, s1
	s_delay_alu instid0(VALU_DEP_3) | instskip(NEXT) | instid1(VALU_DEP_2)
	v_cndmask_b32_e64 v6, v9, v6, s0
	v_dual_mov_b32 v12, v21 :: v_dual_add_nc_u32 v7, v10, v7
	s_delay_alu instid0(VALU_DEP_1) | instskip(NEXT) | instid1(VALU_DEP_2)
	v_cmp_eq_u32_e64 s2, 0, v7
	v_mad_u64_u32 v[21:22], null, 0x4e441529, v24, v[12:13]
	s_delay_alu instid0(VALU_DEP_1) | instskip(NEXT) | instid1(VALU_DEP_1)
	v_mov_b32_e32 v12, v22
	v_mad_u64_u32 v[22:23], null, 0xa2f9836e, v24, v[12:13]
	s_delay_alu instid0(VALU_DEP_3) | instskip(NEXT) | instid1(VALU_DEP_2)
	v_cndmask_b32_e32 v12, v21, v19, vcc_lo
	v_dual_cndmask_b32 v22, v22, v20 :: v_dual_cndmask_b32 v21, v23, v21
	v_cndmask_b32_e32 v20, v20, v18, vcc_lo
	s_delay_alu instid0(VALU_DEP_2) | instskip(NEXT) | instid1(VALU_DEP_3)
	v_cndmask_b32_e64 v10, v22, v12, s0
	v_cndmask_b32_e64 v19, v21, v22, s0
	s_delay_alu instid0(VALU_DEP_3) | instskip(SKIP_2) | instid1(VALU_DEP_4)
	v_cndmask_b32_e64 v12, v12, v20, s0
	v_sub_nc_u32_e32 v21, 32, v7
	v_cndmask_b32_e64 v20, v20, v9, s0
	v_cndmask_b32_e64 v19, v19, v10, s1
	s_delay_alu instid0(VALU_DEP_4) | instskip(NEXT) | instid1(VALU_DEP_3)
	v_cndmask_b32_e64 v10, v10, v12, s1
	v_cndmask_b32_e64 v12, v12, v20, s1
	v_cndmask_b32_e64 v6, v20, v6, s1
	s_delay_alu instid0(VALU_DEP_3) | instskip(NEXT) | instid1(VALU_DEP_3)
	v_alignbit_b32 v22, v19, v10, v21
	v_alignbit_b32 v23, v10, v12, v21
	s_delay_alu instid0(VALU_DEP_3) | instskip(NEXT) | instid1(VALU_DEP_3)
	v_alignbit_b32 v21, v12, v6, v21
	v_cndmask_b32_e64 v7, v22, v19, s2
	s_delay_alu instid0(VALU_DEP_3) | instskip(NEXT) | instid1(VALU_DEP_3)
	v_cndmask_b32_e64 v10, v23, v10, s2
	v_cndmask_b32_e64 v12, v21, v12, s2
	s_delay_alu instid0(VALU_DEP_3) | instskip(NEXT) | instid1(VALU_DEP_3)
	v_bfe_u32 v18, v7, 29, 1
	v_alignbit_b32 v9, v7, v10, 30
	s_delay_alu instid0(VALU_DEP_3) | instskip(SKIP_1) | instid1(VALU_DEP_4)
	v_alignbit_b32 v10, v10, v12, 30
	v_alignbit_b32 v6, v12, v6, 30
	v_sub_nc_u32_e32 v19, 0, v18
	s_delay_alu instid0(VALU_DEP_1) | instskip(SKIP_3) | instid1(VALU_DEP_4)
	v_xor_b32_e32 v20, v9, v19
	v_cmp_ne_u32_e32 vcc_lo, v9, v19
	v_xor_b32_e32 v10, v10, v19
	v_xor_b32_e32 v6, v6, v19
	v_clz_i32_u32_e32 v22, v20
	s_delay_alu instid0(VALU_DEP_1) | instskip(NEXT) | instid1(VALU_DEP_1)
	v_add_nc_u32_e32 v21, 1, v22
	v_cndmask_b32_e32 v9, 33, v21, vcc_lo
	s_delay_alu instid0(VALU_DEP_1) | instskip(NEXT) | instid1(VALU_DEP_1)
	v_sub_nc_u32_e32 v12, 32, v9
	v_alignbit_b32 v19, v20, v10, v12
	v_alignbit_b32 v6, v10, v6, v12
	v_lshrrev_b32_e32 v10, 29, v7
	v_lshrrev_b32_e32 v7, 30, v7
	s_delay_alu instid0(VALU_DEP_3) | instskip(NEXT) | instid1(VALU_DEP_3)
	v_alignbit_b32 v12, v19, v6, 9
	v_lshlrev_b32_e32 v10, 31, v10
	s_delay_alu instid0(VALU_DEP_3) | instskip(SKIP_1) | instid1(VALU_DEP_4)
	v_add_nc_u32_e32 v7, v18, v7
	v_alignbit_b32 v19, v9, v19, 9
	v_clz_i32_u32_e32 v20, v12
	s_delay_alu instid0(VALU_DEP_2) | instskip(SKIP_1) | instid1(VALU_DEP_3)
	v_or_b32_e32 v19, v19, v10
	v_or_b32_e32 v10, 0x33800000, v10
	v_min_u32_e32 v20, 32, v20
	s_delay_alu instid0(VALU_DEP_3) | instskip(NEXT) | instid1(VALU_DEP_2)
	v_xor_b32_e32 v19, 1.0, v19
	v_sub_nc_u32_e32 v21, 31, v20
	v_add_lshl_u32 v9, v20, v9, 23
	s_delay_alu instid0(VALU_DEP_3) | instskip(NEXT) | instid1(VALU_DEP_3)
	v_mul_f32_e32 v20, 0x3fc90fda, v19
	v_alignbit_b32 v6, v12, v6, v21
	s_delay_alu instid0(VALU_DEP_3) | instskip(NEXT) | instid1(VALU_DEP_3)
	v_sub_nc_u32_e32 v9, v10, v9
	v_fma_f32 v10, 0x3fc90fda, v19, -v20
	s_delay_alu instid0(VALU_DEP_3) | instskip(NEXT) | instid1(VALU_DEP_2)
	v_lshrrev_b32_e32 v6, 9, v6
	v_fmac_f32_e32 v10, 0x33a22168, v19
	s_delay_alu instid0(VALU_DEP_2) | instskip(NEXT) | instid1(VALU_DEP_1)
	v_or_b32_e32 v6, v9, v6
	v_fmac_f32_e32 v10, 0x3fc90fda, v6
	s_delay_alu instid0(VALU_DEP_1)
	v_add_f32_e32 v6, v20, v10
	s_and_not1_saveexec_b32 s0, s15
	s_branch .LBB139_278
.LBB139_277:                            ;   in Loop: Header=BB139_201 Depth=1
	s_and_not1_saveexec_b32 s0, s15
.LBB139_278:                            ;   in Loop: Header=BB139_201 Depth=1
	v_mul_f32_e64 v6, 0x3f22f983, |v11|
	s_delay_alu instid0(VALU_DEP_1) | instskip(NEXT) | instid1(VALU_DEP_1)
	v_rndne_f32_e32 v7, v6
	v_fma_f32 v6, 0xbfc90fda, v7, |v11|
	s_delay_alu instid0(VALU_DEP_1) | instskip(NEXT) | instid1(VALU_DEP_1)
	v_fmac_f32_e32 v6, 0xb3a22168, v7
	v_fmac_f32_e32 v6, 0xa7c234c4, v7
	v_cvt_i32_f32_e32 v7, v7
; %bb.279:                              ;   in Loop: Header=BB139_201 Depth=1
	s_or_b32 exec_lo, exec_lo, s0
                                        ; implicit-def: $vgpr10
                                        ; implicit-def: $vgpr9
	s_and_saveexec_b32 s0, s14
	s_delay_alu instid0(SALU_CYCLE_1)
	s_xor_b32 s14, exec_lo, s0
	s_cbranch_execz .LBB139_281
; %bb.280:                              ;   in Loop: Header=BB139_201 Depth=1
	v_and_or_b32 v25, v8, s6, 0x800000
	s_delay_alu instid0(VALU_DEP_1) | instskip(NEXT) | instid1(VALU_DEP_1)
	v_mad_u64_u32 v[9:10], null, 0xfe5163ab, v25, 0
	v_mov_b32_e32 v12, v10
	v_lshrrev_b32_e32 v10, 23, v8
	s_delay_alu instid0(VALU_DEP_2) | instskip(NEXT) | instid1(VALU_DEP_2)
	v_mad_u64_u32 v[18:19], null, 0x3c439041, v25, v[12:13]
	v_add_nc_u32_e32 v10, 0xffffff88, v10
	s_delay_alu instid0(VALU_DEP_1) | instskip(NEXT) | instid1(VALU_DEP_3)
	v_cmp_lt_u32_e32 vcc_lo, 63, v10
	v_mov_b32_e32 v12, v19
	v_cndmask_b32_e64 v23, 0, 0xffffffc0, vcc_lo
	s_delay_alu instid0(VALU_DEP_2) | instskip(NEXT) | instid1(VALU_DEP_2)
	v_mad_u64_u32 v[19:20], null, 0xdb629599, v25, v[12:13]
	v_add_nc_u32_e32 v10, v23, v10
	s_delay_alu instid0(VALU_DEP_2) | instskip(NEXT) | instid1(VALU_DEP_2)
	v_mov_b32_e32 v12, v20
	v_cmp_lt_u32_e64 s0, 31, v10
	s_delay_alu instid0(VALU_DEP_4) | instskip(NEXT) | instid1(VALU_DEP_3)
	v_cndmask_b32_e32 v9, v19, v9, vcc_lo
	v_mad_u64_u32 v[20:21], null, 0xf534ddc0, v25, v[12:13]
	s_delay_alu instid0(VALU_DEP_3) | instskip(NEXT) | instid1(VALU_DEP_1)
	v_cndmask_b32_e64 v24, 0, 0xffffffe0, s0
	v_add_nc_u32_e32 v10, v24, v10
	s_delay_alu instid0(VALU_DEP_3) | instskip(NEXT) | instid1(VALU_DEP_2)
	v_mov_b32_e32 v12, v21
	v_cmp_lt_u32_e64 s1, 31, v10
	s_delay_alu instid0(VALU_DEP_2) | instskip(NEXT) | instid1(VALU_DEP_1)
	v_mad_u64_u32 v[21:22], null, 0xfc2757d1, v25, v[12:13]
	v_mov_b32_e32 v12, v22
	s_delay_alu instid0(VALU_DEP_1) | instskip(NEXT) | instid1(VALU_DEP_1)
	v_mad_u64_u32 v[22:23], null, 0x4e441529, v25, v[12:13]
	v_mov_b32_e32 v12, v23
	s_delay_alu instid0(VALU_DEP_1) | instskip(SKIP_1) | instid1(VALU_DEP_1)
	v_mad_u64_u32 v[23:24], null, 0xa2f9836e, v25, v[12:13]
	v_cndmask_b32_e64 v12, 0, 0xffffffe0, s1
	v_dual_cndmask_b32 v25, v22, v20 :: v_dual_add_nc_u32 v10, v12, v10
	s_delay_alu instid0(VALU_DEP_3) | instskip(SKIP_1) | instid1(VALU_DEP_3)
	v_dual_cndmask_b32 v23, v23, v21 :: v_dual_cndmask_b32 v22, v24, v22
	v_dual_cndmask_b32 v21, v21, v19 :: v_dual_cndmask_b32 v12, v20, v18
	v_cmp_eq_u32_e64 s2, 0, v10
	s_delay_alu instid0(VALU_DEP_3) | instskip(NEXT) | instid1(VALU_DEP_4)
	v_cndmask_b32_e64 v18, v23, v25, s0
	v_cndmask_b32_e64 v20, v22, v23, s0
	s_delay_alu instid0(VALU_DEP_4)
	v_cndmask_b32_e64 v22, v25, v21, s0
	v_sub_nc_u32_e32 v23, 32, v10
	v_cndmask_b32_e64 v21, v21, v12, s0
	v_cndmask_b32_e64 v9, v12, v9, s0
	v_cndmask_b32_e64 v20, v20, v18, s1
	v_cndmask_b32_e64 v18, v18, v22, s1
	s_delay_alu instid0(VALU_DEP_4) | instskip(NEXT) | instid1(VALU_DEP_4)
	v_cndmask_b32_e64 v22, v22, v21, s1
	v_cndmask_b32_e64 v9, v21, v9, s1
	s_delay_alu instid0(VALU_DEP_3) | instskip(NEXT) | instid1(VALU_DEP_3)
	v_alignbit_b32 v24, v20, v18, v23
	v_alignbit_b32 v25, v18, v22, v23
	s_delay_alu instid0(VALU_DEP_3) | instskip(NEXT) | instid1(VALU_DEP_3)
	v_alignbit_b32 v23, v22, v9, v23
	v_cndmask_b32_e64 v10, v24, v20, s2
	s_delay_alu instid0(VALU_DEP_3) | instskip(NEXT) | instid1(VALU_DEP_3)
	v_cndmask_b32_e64 v18, v25, v18, s2
	v_cndmask_b32_e64 v22, v23, v22, s2
	s_delay_alu instid0(VALU_DEP_3) | instskip(NEXT) | instid1(VALU_DEP_3)
	v_bfe_u32 v19, v10, 29, 1
	v_alignbit_b32 v12, v10, v18, 30
	s_delay_alu instid0(VALU_DEP_3) | instskip(SKIP_1) | instid1(VALU_DEP_4)
	v_alignbit_b32 v18, v18, v22, 30
	v_alignbit_b32 v9, v22, v9, 30
	v_sub_nc_u32_e32 v20, 0, v19
	s_delay_alu instid0(VALU_DEP_1) | instskip(SKIP_3) | instid1(VALU_DEP_4)
	v_xor_b32_e32 v21, v12, v20
	v_cmp_ne_u32_e32 vcc_lo, v12, v20
	v_xor_b32_e32 v18, v18, v20
	v_xor_b32_e32 v9, v9, v20
	v_clz_i32_u32_e32 v24, v21
	s_delay_alu instid0(VALU_DEP_1) | instskip(NEXT) | instid1(VALU_DEP_1)
	v_add_nc_u32_e32 v23, 1, v24
	v_cndmask_b32_e32 v12, 33, v23, vcc_lo
	s_delay_alu instid0(VALU_DEP_1) | instskip(NEXT) | instid1(VALU_DEP_1)
	v_sub_nc_u32_e32 v22, 32, v12
	v_alignbit_b32 v20, v21, v18, v22
	v_alignbit_b32 v9, v18, v9, v22
	v_lshrrev_b32_e32 v18, 29, v10
	v_lshrrev_b32_e32 v10, 30, v10
	s_delay_alu instid0(VALU_DEP_3) | instskip(NEXT) | instid1(VALU_DEP_3)
	v_alignbit_b32 v21, v20, v9, 9
	v_lshlrev_b32_e32 v18, 31, v18
	v_alignbit_b32 v20, v12, v20, 9
	s_delay_alu instid0(VALU_DEP_4) | instskip(NEXT) | instid1(VALU_DEP_4)
	v_add_nc_u32_e32 v10, v19, v10
	v_clz_i32_u32_e32 v22, v21
	s_delay_alu instid0(VALU_DEP_3) | instskip(SKIP_1) | instid1(VALU_DEP_3)
	v_or_b32_e32 v20, v20, v18
	v_or_b32_e32 v18, 0x33800000, v18
	v_min_u32_e32 v22, 32, v22
	s_delay_alu instid0(VALU_DEP_3) | instskip(NEXT) | instid1(VALU_DEP_2)
	v_xor_b32_e32 v20, 1.0, v20
	v_sub_nc_u32_e32 v23, 31, v22
	v_add_lshl_u32 v12, v22, v12, 23
	s_delay_alu instid0(VALU_DEP_3) | instskip(NEXT) | instid1(VALU_DEP_3)
	v_mul_f32_e32 v22, 0x3fc90fda, v20
	v_alignbit_b32 v9, v21, v9, v23
	s_delay_alu instid0(VALU_DEP_3) | instskip(NEXT) | instid1(VALU_DEP_3)
	v_sub_nc_u32_e32 v12, v18, v12
	v_fma_f32 v18, 0x3fc90fda, v20, -v22
	s_delay_alu instid0(VALU_DEP_3) | instskip(NEXT) | instid1(VALU_DEP_2)
	v_lshrrev_b32_e32 v9, 9, v9
	v_fmac_f32_e32 v18, 0x33a22168, v20
	s_delay_alu instid0(VALU_DEP_2) | instskip(NEXT) | instid1(VALU_DEP_1)
	v_or_b32_e32 v9, v12, v9
	v_fmac_f32_e32 v18, 0x3fc90fda, v9
	s_delay_alu instid0(VALU_DEP_1)
	v_add_f32_e32 v9, v22, v18
	s_and_not1_saveexec_b32 s0, s14
	s_cbranch_execnz .LBB139_282
	s_branch .LBB139_283
.LBB139_281:                            ;   in Loop: Header=BB139_201 Depth=1
	s_and_not1_saveexec_b32 s0, s14
.LBB139_282:                            ;   in Loop: Header=BB139_201 Depth=1
	v_mul_f32_e64 v9, 0x3f22f983, |v11|
	s_delay_alu instid0(VALU_DEP_1) | instskip(NEXT) | instid1(VALU_DEP_1)
	v_rndne_f32_e32 v10, v9
	v_fma_f32 v9, 0xbfc90fda, v10, |v11|
	s_delay_alu instid0(VALU_DEP_1) | instskip(NEXT) | instid1(VALU_DEP_1)
	v_fmac_f32_e32 v9, 0xb3a22168, v10
	v_fmac_f32_e32 v9, 0xa7c234c4, v10
	v_cvt_i32_f32_e32 v10, v10
.LBB139_283:                            ;   in Loop: Header=BB139_201 Depth=1
	s_or_b32 exec_lo, exec_lo, s0
	v_dual_mul_f32 v12, v6, v6 :: v_dual_and_b32 v19, 1, v7
	s_delay_alu instid0(VALU_DEP_2) | instskip(NEXT) | instid1(VALU_DEP_2)
	v_dual_mul_f32 v18, v9, v9 :: v_dual_lshlrev_b32 v7, 30, v7
	v_dual_fmaak_f32 v21, s8, v12, 0xbab64f3b :: v_dual_and_b32 v24, 1, v10
	s_delay_alu instid0(VALU_DEP_3) | instskip(NEXT) | instid1(VALU_DEP_3)
	v_cmp_eq_u32_e32 vcc_lo, 0, v19
	v_fmaak_f32 v22, s7, v18, 0x3c0881c4
	s_delay_alu instid0(VALU_DEP_3) | instskip(NEXT) | instid1(VALU_DEP_2)
	v_dual_fmaak_f32 v21, v12, v21, 0x3d2aabf7 :: v_dual_lshlrev_b32 v10, 30, v10
	v_fmaak_f32 v22, v18, v22, 0xbe2aaa9d
	s_delay_alu instid0(VALU_DEP_2) | instskip(NEXT) | instid1(VALU_DEP_2)
	v_and_or_b32 v8, 0x80000000, v10, v8
	v_dual_fmaak_f32 v21, v12, v21, 0xbf000004 :: v_dual_mul_f32 v22, v18, v22
	s_delay_alu instid0(VALU_DEP_1) | instskip(NEXT) | instid1(VALU_DEP_1)
	v_dual_fmaak_f32 v20, s7, v12, 0x3c0881c4 :: v_dual_fmac_f32 v9, v9, v22
	v_fmaak_f32 v20, v12, v20, 0xbe2aaa9d
	s_delay_alu instid0(VALU_DEP_1) | instskip(NEXT) | instid1(VALU_DEP_1)
	v_dual_fmaak_f32 v23, s8, v18, 0xbab64f3b :: v_dual_mul_f32 v20, v12, v20
	v_fmaak_f32 v23, v18, v23, 0x3d2aabf7
	v_and_b32_e32 v7, 0x80000000, v7
	v_fma_f32 v12, v12, v21, 1.0
	s_delay_alu instid0(VALU_DEP_4) | instskip(NEXT) | instid1(VALU_DEP_4)
	v_fmac_f32_e32 v6, v6, v20
	v_fmaak_f32 v23, v18, v23, 0xbf000004
	s_delay_alu instid0(VALU_DEP_2) | instskip(NEXT) | instid1(VALU_DEP_2)
	v_cndmask_b32_e64 v6, -v6, v12, vcc_lo
	v_fma_f32 v18, v18, v23, 1.0
	v_cmp_eq_u32_e32 vcc_lo, 0, v24
	s_delay_alu instid0(VALU_DEP_3) | instskip(NEXT) | instid1(VALU_DEP_3)
	v_xor_b32_e32 v6, v7, v6
	v_cndmask_b32_e32 v9, v18, v9, vcc_lo
	v_cmp_class_f32_e64 vcc_lo, v11, 0x1f8
	s_delay_alu instid0(VALU_DEP_2) | instskip(NEXT) | instid1(VALU_DEP_4)
	v_xor3_b32 v7, v8, v9, v11
	v_cndmask_b32_e32 v6, 0x7fc00000, v6, vcc_lo
	s_delay_alu instid0(VALU_DEP_2)
	v_cndmask_b32_e32 v7, 0x7fc00000, v7, vcc_lo
.LBB139_284:                            ;   in Loop: Header=BB139_201 Depth=1
	s_or_b32 exec_lo, exec_lo, s13
                                        ; implicit-def: $vgpr8_vgpr9_vgpr10_vgpr11
.LBB139_285:                            ;   in Loop: Header=BB139_201 Depth=1
	s_and_not1_saveexec_b32 s0, s12
	s_cbranch_execz .LBB139_287
; %bb.286:                              ;   in Loop: Header=BB139_201 Depth=1
	v_mul_f32_e32 v6, 0x3fb8aa3b, v10
	v_cmp_ngt_f32_e32 vcc_lo, 0xc2ce8ed0, v10
	s_delay_alu instid0(VALU_DEP_2) | instskip(SKIP_1) | instid1(VALU_DEP_2)
	v_rndne_f32_e32 v7, v6
	v_fma_f32 v8, 0x3fb8aa3b, v10, -v6
	v_sub_f32_e32 v6, v6, v7
	s_delay_alu instid0(VALU_DEP_2) | instskip(SKIP_1) | instid1(VALU_DEP_2)
	v_fmac_f32_e32 v8, 0x32a5705f, v10
	v_cvt_i32_f32_e32 v7, v7
	v_add_f32_e32 v6, v6, v8
	s_delay_alu instid0(VALU_DEP_1) | instskip(SKIP_2) | instid1(VALU_DEP_1)
	v_exp_f32_e32 v6, v6
	s_waitcnt_depctr 0xfff
	v_ldexp_f32 v6, v6, v7
	v_dual_mov_b32 v7, v11 :: v_dual_cndmask_b32 v6, 0, v6
	v_cmp_nlt_f32_e32 vcc_lo, 0x42b17218, v10
	s_delay_alu instid0(VALU_DEP_2)
	v_cndmask_b32_e32 v6, 0x7f800000, v6, vcc_lo
.LBB139_287:                            ;   in Loop: Header=BB139_201 Depth=1
	s_or_b32 exec_lo, exec_lo, s0
	s_waitcnt vmcnt(0)
	v_and_b32_e32 v10, 0x7fffffff, v1
                                        ; implicit-def: $vgpr9
	s_mov_b32 s0, exec_lo
	s_delay_alu instid0(VALU_DEP_1)
	v_cmpx_ne_u32_e32 0, v10
	s_xor_b32 s12, exec_lo, s0
	s_cbranch_execz .LBB139_327
; %bb.288:                              ;   in Loop: Header=BB139_201 Depth=1
	v_and_b32_e32 v11, 0x7fffffff, v0
                                        ; implicit-def: $vgpr9
	s_mov_b32 s0, exec_lo
	s_delay_alu instid0(VALU_DEP_1)
	v_cmpx_ne_u32_e32 0, v11
	s_xor_b32 s13, exec_lo, s0
	s_cbranch_execz .LBB139_316
; %bb.289:                              ;   in Loop: Header=BB139_201 Depth=1
                                        ; implicit-def: $vgpr9
	s_mov_b32 s0, exec_lo
	v_cmpx_gt_u32_e32 0x7f800000, v10
	s_xor_b32 s14, exec_lo, s0
	s_cbranch_execz .LBB139_311
; %bb.290:                              ;   in Loop: Header=BB139_201 Depth=1
	v_add_nc_u32_e32 v8, 0xbd4e8de8, v0
                                        ; implicit-def: $vgpr9
	s_mov_b32 s0, exec_lo
	s_delay_alu instid0(VALU_DEP_1)
	v_cmpx_lt_u32_e32 0x8e8e5c, v8
	s_xor_b32 s15, exec_lo, s0
	s_cbranch_execz .LBB139_300
; %bb.291:                              ;   in Loop: Header=BB139_201 Depth=1
	v_cmp_ngt_f32_e64 s16, 0x48000000, |v1|
                                        ; implicit-def: $vgpr9
                                        ; implicit-def: $vgpr8
	s_delay_alu instid0(VALU_DEP_1) | instskip(NEXT) | instid1(SALU_CYCLE_1)
	s_and_saveexec_b32 s0, s16
	s_xor_b32 s17, exec_lo, s0
	s_cbranch_execz .LBB139_293
; %bb.292:                              ;   in Loop: Header=BB139_201 Depth=1
	v_and_or_b32 v11, v10, s6, 0x800000
	s_delay_alu instid0(VALU_DEP_1) | instskip(NEXT) | instid1(VALU_DEP_1)
	v_mad_u64_u32 v[8:9], null, 0xfe5163ab, v11, 0
	v_mov_b32_e32 v12, v9
	v_lshrrev_b32_e32 v9, 23, v10
	s_delay_alu instid0(VALU_DEP_1) | instskip(NEXT) | instid1(VALU_DEP_3)
	v_add_nc_u32_e32 v9, 0xffffff88, v9
	v_mad_u64_u32 v[18:19], null, 0x3c439041, v11, v[12:13]
	s_delay_alu instid0(VALU_DEP_2) | instskip(SKIP_1) | instid1(VALU_DEP_1)
	v_cmp_lt_u32_e32 vcc_lo, 63, v9
	v_cndmask_b32_e64 v23, 0, 0xffffffc0, vcc_lo
	v_add_nc_u32_e32 v9, v23, v9
	s_delay_alu instid0(VALU_DEP_1) | instskip(NEXT) | instid1(VALU_DEP_1)
	v_cmp_lt_u32_e64 s0, 31, v9
	v_cndmask_b32_e64 v24, 0, 0xffffffe0, s0
	s_delay_alu instid0(VALU_DEP_1) | instskip(NEXT) | instid1(VALU_DEP_1)
	v_dual_mov_b32 v12, v19 :: v_dual_add_nc_u32 v9, v24, v9
	v_mad_u64_u32 v[19:20], null, 0xdb629599, v11, v[12:13]
	s_delay_alu instid0(VALU_DEP_2) | instskip(NEXT) | instid1(VALU_DEP_2)
	v_cmp_lt_u32_e64 s1, 31, v9
	v_mov_b32_e32 v12, v20
	s_delay_alu instid0(VALU_DEP_3) | instskip(NEXT) | instid1(VALU_DEP_2)
	v_cndmask_b32_e32 v8, v19, v8, vcc_lo
	v_mad_u64_u32 v[20:21], null, 0xf534ddc0, v11, v[12:13]
	s_delay_alu instid0(VALU_DEP_1) | instskip(NEXT) | instid1(VALU_DEP_1)
	v_mov_b32_e32 v12, v21
	v_mad_u64_u32 v[21:22], null, 0xfc2757d1, v11, v[12:13]
	s_delay_alu instid0(VALU_DEP_1) | instskip(NEXT) | instid1(VALU_DEP_1)
	v_mov_b32_e32 v12, v22
	;; [unrolled: 3-line block ×3, first 2 shown]
	v_mad_u64_u32 v[23:24], null, 0xa2f9836e, v11, v[12:13]
	v_cndmask_b32_e64 v11, 0, 0xffffffe0, s1
	s_delay_alu instid0(VALU_DEP_1) | instskip(SKIP_1) | instid1(VALU_DEP_4)
	v_dual_cndmask_b32 v12, v22, v20 :: v_dual_add_nc_u32 v9, v11, v9
	v_cndmask_b32_e32 v11, v20, v18, vcc_lo
	v_dual_cndmask_b32 v23, v23, v21 :: v_dual_cndmask_b32 v22, v24, v22
	v_cndmask_b32_e32 v21, v21, v19, vcc_lo
	s_delay_alu instid0(VALU_DEP_4) | instskip(NEXT) | instid1(VALU_DEP_4)
	v_cmp_eq_u32_e64 s2, 0, v9
	v_cndmask_b32_e64 v8, v11, v8, s0
	s_delay_alu instid0(VALU_DEP_4) | instskip(SKIP_4) | instid1(VALU_DEP_4)
	v_cndmask_b32_e64 v18, v23, v12, s0
	v_cndmask_b32_e64 v20, v22, v23, s0
	v_cndmask_b32_e64 v12, v12, v21, s0
	v_sub_nc_u32_e32 v22, 32, v9
	v_cndmask_b32_e64 v21, v21, v11, s0
	v_cndmask_b32_e64 v20, v20, v18, s1
	s_delay_alu instid0(VALU_DEP_4) | instskip(NEXT) | instid1(VALU_DEP_3)
	v_cndmask_b32_e64 v18, v18, v12, s1
	v_cndmask_b32_e64 v12, v12, v21, s1
	;; [unrolled: 1-line block ×3, first 2 shown]
	s_delay_alu instid0(VALU_DEP_3) | instskip(NEXT) | instid1(VALU_DEP_3)
	v_alignbit_b32 v23, v20, v18, v22
	v_alignbit_b32 v24, v18, v12, v22
	s_delay_alu instid0(VALU_DEP_3) | instskip(NEXT) | instid1(VALU_DEP_3)
	v_alignbit_b32 v22, v12, v8, v22
	v_cndmask_b32_e64 v9, v23, v20, s2
	s_delay_alu instid0(VALU_DEP_3) | instskip(NEXT) | instid1(VALU_DEP_3)
	v_cndmask_b32_e64 v18, v24, v18, s2
	v_cndmask_b32_e64 v12, v22, v12, s2
	s_delay_alu instid0(VALU_DEP_3) | instskip(NEXT) | instid1(VALU_DEP_3)
	v_bfe_u32 v19, v9, 29, 1
	v_alignbit_b32 v11, v9, v18, 30
	s_delay_alu instid0(VALU_DEP_3) | instskip(SKIP_1) | instid1(VALU_DEP_4)
	v_alignbit_b32 v18, v18, v12, 30
	v_alignbit_b32 v8, v12, v8, 30
	v_sub_nc_u32_e32 v20, 0, v19
	s_delay_alu instid0(VALU_DEP_1) | instskip(SKIP_3) | instid1(VALU_DEP_4)
	v_xor_b32_e32 v21, v11, v20
	v_cmp_ne_u32_e32 vcc_lo, v11, v20
	v_xor_b32_e32 v12, v18, v20
	v_xor_b32_e32 v8, v8, v20
	v_clz_i32_u32_e32 v23, v21
	s_delay_alu instid0(VALU_DEP_1) | instskip(NEXT) | instid1(VALU_DEP_1)
	v_add_nc_u32_e32 v22, 1, v23
	v_cndmask_b32_e32 v11, 33, v22, vcc_lo
	s_delay_alu instid0(VALU_DEP_1) | instskip(NEXT) | instid1(VALU_DEP_1)
	v_sub_nc_u32_e32 v18, 32, v11
	v_alignbit_b32 v20, v21, v12, v18
	v_alignbit_b32 v8, v12, v8, v18
	v_lshrrev_b32_e32 v12, 29, v9
	v_lshrrev_b32_e32 v9, 30, v9
	s_delay_alu instid0(VALU_DEP_3) | instskip(NEXT) | instid1(VALU_DEP_3)
	v_alignbit_b32 v18, v20, v8, 9
	v_lshlrev_b32_e32 v12, 31, v12
	v_alignbit_b32 v20, v11, v20, 9
	s_delay_alu instid0(VALU_DEP_4) | instskip(NEXT) | instid1(VALU_DEP_4)
	v_add_nc_u32_e32 v9, v19, v9
	v_clz_i32_u32_e32 v21, v18
	s_delay_alu instid0(VALU_DEP_3) | instskip(SKIP_1) | instid1(VALU_DEP_3)
	v_or_b32_e32 v20, v20, v12
	v_or_b32_e32 v12, 0x33800000, v12
	v_min_u32_e32 v21, 32, v21
	s_delay_alu instid0(VALU_DEP_3) | instskip(NEXT) | instid1(VALU_DEP_2)
	v_xor_b32_e32 v20, 1.0, v20
	v_sub_nc_u32_e32 v22, 31, v21
	v_add_lshl_u32 v11, v21, v11, 23
	s_delay_alu instid0(VALU_DEP_3) | instskip(NEXT) | instid1(VALU_DEP_3)
	v_mul_f32_e32 v21, 0x3fc90fda, v20
	v_alignbit_b32 v8, v18, v8, v22
	s_delay_alu instid0(VALU_DEP_3) | instskip(NEXT) | instid1(VALU_DEP_3)
	v_sub_nc_u32_e32 v11, v12, v11
	v_fma_f32 v12, 0x3fc90fda, v20, -v21
	s_delay_alu instid0(VALU_DEP_3) | instskip(NEXT) | instid1(VALU_DEP_2)
	v_lshrrev_b32_e32 v8, 9, v8
	v_fmac_f32_e32 v12, 0x33a22168, v20
	s_delay_alu instid0(VALU_DEP_2) | instskip(NEXT) | instid1(VALU_DEP_1)
	v_or_b32_e32 v8, v11, v8
	v_fmac_f32_e32 v12, 0x3fc90fda, v8
	s_delay_alu instid0(VALU_DEP_1)
	v_add_f32_e32 v8, v21, v12
	s_and_not1_saveexec_b32 s0, s17
	s_branch .LBB139_294
.LBB139_293:                            ;   in Loop: Header=BB139_201 Depth=1
	s_and_not1_saveexec_b32 s0, s17
.LBB139_294:                            ;   in Loop: Header=BB139_201 Depth=1
	v_mul_f32_e64 v8, 0x3f22f983, |v1|
	s_delay_alu instid0(VALU_DEP_1) | instskip(NEXT) | instid1(VALU_DEP_1)
	v_rndne_f32_e32 v9, v8
	v_fma_f32 v8, 0xbfc90fda, v9, |v1|
	s_delay_alu instid0(VALU_DEP_1) | instskip(NEXT) | instid1(VALU_DEP_1)
	v_fmac_f32_e32 v8, 0xb3a22168, v9
	v_fmac_f32_e32 v8, 0xa7c234c4, v9
	v_cvt_i32_f32_e32 v9, v9
; %bb.295:                              ;   in Loop: Header=BB139_201 Depth=1
	s_or_b32 exec_lo, exec_lo, s0
                                        ; implicit-def: $vgpr12
                                        ; implicit-def: $vgpr11
	s_and_saveexec_b32 s0, s16
	s_delay_alu instid0(SALU_CYCLE_1)
	s_xor_b32 s16, exec_lo, s0
	s_cbranch_execz .LBB139_297
; %bb.296:                              ;   in Loop: Header=BB139_201 Depth=1
	v_and_or_b32 v25, v10, s6, 0x800000
	v_lshrrev_b32_e32 v22, 23, v10
	s_delay_alu instid0(VALU_DEP_2) | instskip(NEXT) | instid1(VALU_DEP_2)
	v_mad_u64_u32 v[11:12], null, 0xfe5163ab, v25, 0
	v_add_nc_u32_e32 v23, 0xffffff88, v22
	s_delay_alu instid0(VALU_DEP_1) | instskip(NEXT) | instid1(VALU_DEP_3)
	v_cmp_lt_u32_e32 vcc_lo, 63, v23
	v_mad_u64_u32 v[18:19], null, 0x3c439041, v25, v[12:13]
	v_cndmask_b32_e64 v24, 0, 0xffffffc0, vcc_lo
	s_delay_alu instid0(VALU_DEP_2) | instskip(NEXT) | instid1(VALU_DEP_2)
	v_mov_b32_e32 v12, v19
	v_add_nc_u32_e32 v24, v24, v23
	s_delay_alu instid0(VALU_DEP_2) | instskip(NEXT) | instid1(VALU_DEP_2)
	v_mad_u64_u32 v[19:20], null, 0xdb629599, v25, v[12:13]
	v_cmp_lt_u32_e64 s0, 31, v24
	s_delay_alu instid0(VALU_DEP_1) | instskip(NEXT) | instid1(VALU_DEP_3)
	v_cndmask_b32_e64 v26, 0, 0xffffffe0, s0
	v_dual_mov_b32 v12, v20 :: v_dual_cndmask_b32 v11, v19, v11
	s_delay_alu instid0(VALU_DEP_2) | instskip(NEXT) | instid1(VALU_DEP_2)
	v_add_nc_u32_e32 v26, v26, v24
	v_mad_u64_u32 v[20:21], null, 0xf534ddc0, v25, v[12:13]
	s_delay_alu instid0(VALU_DEP_2) | instskip(NEXT) | instid1(VALU_DEP_2)
	v_cmp_lt_u32_e64 s1, 31, v26
	v_mov_b32_e32 v12, v21
	s_delay_alu instid0(VALU_DEP_3) | instskip(NEXT) | instid1(VALU_DEP_2)
	v_cndmask_b32_e32 v18, v20, v18, vcc_lo
	v_mad_u64_u32 v[21:22], null, 0xfc2757d1, v25, v[12:13]
	s_delay_alu instid0(VALU_DEP_2) | instskip(NEXT) | instid1(VALU_DEP_2)
	v_cndmask_b32_e64 v11, v18, v11, s0
	v_mov_b32_e32 v12, v22
	s_delay_alu instid0(VALU_DEP_1) | instskip(NEXT) | instid1(VALU_DEP_1)
	v_mad_u64_u32 v[22:23], null, 0x4e441529, v25, v[12:13]
	v_mov_b32_e32 v12, v23
	s_delay_alu instid0(VALU_DEP_1) | instskip(SKIP_1) | instid1(VALU_DEP_1)
	v_mad_u64_u32 v[23:24], null, 0xa2f9836e, v25, v[12:13]
	v_cndmask_b32_e64 v12, 0, 0xffffffe0, s1
	v_dual_cndmask_b32 v25, v22, v20 :: v_dual_add_nc_u32 v12, v12, v26
	s_delay_alu instid0(VALU_DEP_3) | instskip(SKIP_1) | instid1(VALU_DEP_3)
	v_dual_cndmask_b32 v23, v23, v21 :: v_dual_cndmask_b32 v22, v24, v22
	v_cndmask_b32_e32 v21, v21, v19, vcc_lo
	v_sub_nc_u32_e32 v24, 32, v12
	s_delay_alu instid0(VALU_DEP_3) | instskip(NEXT) | instid1(VALU_DEP_4)
	v_cndmask_b32_e64 v20, v23, v25, s0
	v_cndmask_b32_e64 v22, v22, v23, s0
	s_delay_alu instid0(VALU_DEP_4) | instskip(SKIP_2) | instid1(VALU_DEP_4)
	v_cndmask_b32_e64 v23, v25, v21, s0
	v_cndmask_b32_e64 v21, v21, v18, s0
	v_cmp_eq_u32_e64 s2, 0, v12
	v_cndmask_b32_e64 v22, v22, v20, s1
	s_delay_alu instid0(VALU_DEP_4) | instskip(NEXT) | instid1(VALU_DEP_4)
	v_cndmask_b32_e64 v20, v20, v23, s1
	v_cndmask_b32_e64 v23, v23, v21, s1
	;; [unrolled: 1-line block ×3, first 2 shown]
	s_delay_alu instid0(VALU_DEP_3) | instskip(NEXT) | instid1(VALU_DEP_3)
	v_alignbit_b32 v25, v22, v20, v24
	v_alignbit_b32 v26, v20, v23, v24
	s_delay_alu instid0(VALU_DEP_3) | instskip(NEXT) | instid1(VALU_DEP_3)
	v_alignbit_b32 v24, v23, v11, v24
	v_cndmask_b32_e64 v12, v25, v22, s2
	s_delay_alu instid0(VALU_DEP_3) | instskip(NEXT) | instid1(VALU_DEP_3)
	v_cndmask_b32_e64 v19, v26, v20, s2
	v_cndmask_b32_e64 v23, v24, v23, s2
	s_delay_alu instid0(VALU_DEP_3) | instskip(NEXT) | instid1(VALU_DEP_3)
	v_bfe_u32 v20, v12, 29, 1
	v_alignbit_b32 v18, v12, v19, 30
	s_delay_alu instid0(VALU_DEP_3) | instskip(SKIP_1) | instid1(VALU_DEP_4)
	v_alignbit_b32 v19, v19, v23, 30
	v_alignbit_b32 v11, v23, v11, 30
	v_sub_nc_u32_e32 v22, 0, v20
	s_delay_alu instid0(VALU_DEP_1) | instskip(SKIP_3) | instid1(VALU_DEP_4)
	v_xor_b32_e32 v21, v18, v22
	v_cmp_ne_u32_e32 vcc_lo, v18, v22
	v_xor_b32_e32 v19, v19, v22
	v_xor_b32_e32 v11, v11, v22
	v_clz_i32_u32_e32 v25, v21
	s_delay_alu instid0(VALU_DEP_1) | instskip(NEXT) | instid1(VALU_DEP_1)
	v_add_nc_u32_e32 v24, 1, v25
	v_cndmask_b32_e32 v18, 33, v24, vcc_lo
	s_delay_alu instid0(VALU_DEP_1) | instskip(NEXT) | instid1(VALU_DEP_1)
	v_sub_nc_u32_e32 v23, 32, v18
	v_alignbit_b32 v21, v21, v19, v23
	v_alignbit_b32 v11, v19, v11, v23
	v_lshrrev_b32_e32 v19, 29, v12
	v_lshrrev_b32_e32 v12, 30, v12
	s_delay_alu instid0(VALU_DEP_3) | instskip(NEXT) | instid1(VALU_DEP_3)
	v_alignbit_b32 v22, v21, v11, 9
	v_lshlrev_b32_e32 v19, 31, v19
	v_alignbit_b32 v21, v18, v21, 9
	s_delay_alu instid0(VALU_DEP_4) | instskip(NEXT) | instid1(VALU_DEP_4)
	v_add_nc_u32_e32 v12, v20, v12
	v_clz_i32_u32_e32 v23, v22
	s_delay_alu instid0(VALU_DEP_3) | instskip(SKIP_1) | instid1(VALU_DEP_3)
	v_or_b32_e32 v21, v21, v19
	v_or_b32_e32 v19, 0x33800000, v19
	v_min_u32_e32 v23, 32, v23
	s_delay_alu instid0(VALU_DEP_3) | instskip(NEXT) | instid1(VALU_DEP_2)
	v_xor_b32_e32 v21, 1.0, v21
	v_sub_nc_u32_e32 v24, 31, v23
	v_add_lshl_u32 v18, v23, v18, 23
	s_delay_alu instid0(VALU_DEP_3) | instskip(NEXT) | instid1(VALU_DEP_3)
	v_mul_f32_e32 v23, 0x3fc90fda, v21
	v_alignbit_b32 v11, v22, v11, v24
	s_delay_alu instid0(VALU_DEP_3) | instskip(NEXT) | instid1(VALU_DEP_3)
	v_sub_nc_u32_e32 v18, v19, v18
	v_fma_f32 v19, 0x3fc90fda, v21, -v23
	s_delay_alu instid0(VALU_DEP_3) | instskip(NEXT) | instid1(VALU_DEP_2)
	v_lshrrev_b32_e32 v11, 9, v11
	v_fmac_f32_e32 v19, 0x33a22168, v21
	s_delay_alu instid0(VALU_DEP_2) | instskip(NEXT) | instid1(VALU_DEP_1)
	v_or_b32_e32 v11, v18, v11
	v_fmac_f32_e32 v19, 0x3fc90fda, v11
	s_delay_alu instid0(VALU_DEP_1)
	v_add_f32_e32 v11, v23, v19
	s_and_not1_saveexec_b32 s0, s16
	s_cbranch_execnz .LBB139_298
	s_branch .LBB139_299
.LBB139_297:                            ;   in Loop: Header=BB139_201 Depth=1
	s_and_not1_saveexec_b32 s0, s16
.LBB139_298:                            ;   in Loop: Header=BB139_201 Depth=1
	v_mul_f32_e64 v11, 0x3f22f983, |v1|
	s_delay_alu instid0(VALU_DEP_1) | instskip(NEXT) | instid1(VALU_DEP_1)
	v_rndne_f32_e32 v12, v11
	v_fma_f32 v11, 0xbfc90fda, v12, |v1|
	s_delay_alu instid0(VALU_DEP_1) | instskip(NEXT) | instid1(VALU_DEP_1)
	v_fmac_f32_e32 v11, 0xb3a22168, v12
	v_fmac_f32_e32 v11, 0xa7c234c4, v12
	v_cvt_i32_f32_e32 v12, v12
.LBB139_299:                            ;   in Loop: Header=BB139_201 Depth=1
	s_or_b32 exec_lo, exec_lo, s0
	v_mul_f32_e32 v18, 0x3fb8aa3b, v0
	v_dual_mul_f32 v19, v8, v8 :: v_dual_and_b32 v20, 1, v9
	v_lshlrev_b32_e32 v9, 30, v9
	v_dual_mul_f32 v23, v11, v11 :: v_dual_and_b32 v24, 1, v12
	s_delay_alu instid0(VALU_DEP_4) | instskip(SKIP_3) | instid1(VALU_DEP_4)
	v_rndne_f32_e32 v21, v18
	v_fma_f32 v22, 0x3fb8aa3b, v0, -v18
	v_dual_fmaak_f32 v25, s7, v19, 0x3c0881c4 :: v_dual_lshlrev_b32 v12, 30, v12
	v_fmaak_f32 v26, s8, v19, 0xbab64f3b
	v_dual_sub_f32 v18, v18, v21 :: v_dual_fmaak_f32 v27, s7, v23, 0x3c0881c4
	s_delay_alu instid0(VALU_DEP_4)
	v_fmac_f32_e32 v22, 0x32a5705f, v0
	v_fmaak_f32 v28, s8, v23, 0xbab64f3b
	v_cvt_i32_f32_e32 v21, v21
	v_cmp_eq_u32_e32 vcc_lo, 0, v20
	v_and_or_b32 v10, 0x80000000, v12, v10
	v_add_f32_e32 v18, v18, v22
	v_fmaak_f32 v22, v19, v25, 0xbe2aaa9d
	v_fmaak_f32 v25, v19, v26, 0x3d2aabf7
	v_fmaak_f32 v26, v23, v27, 0xbe2aaa9d
	v_fmaak_f32 v27, v23, v28, 0x3d2aabf7
	v_exp_f32_e32 v18, v18
	v_dual_mul_f32 v22, v19, v22 :: v_dual_and_b32 v9, 0x80000000, v9
	v_fmaak_f32 v25, v19, v25, 0xbf000004
	v_cmp_nlt_f32_e64 s0, 0x42b17218, v0
	s_delay_alu instid0(VALU_DEP_3) | instskip(NEXT) | instid1(VALU_DEP_3)
	v_fmac_f32_e32 v8, v8, v22
	v_fma_f32 v19, v19, v25, 1.0
	s_waitcnt_depctr 0xfff
	v_ldexp_f32 v18, v18, v21
	v_fmaak_f32 v27, v23, v27, 0xbf000004
	v_cndmask_b32_e64 v8, -v8, v19, vcc_lo
	v_cmp_eq_u32_e32 vcc_lo, 0, v24
	s_delay_alu instid0(VALU_DEP_3) | instskip(SKIP_1) | instid1(VALU_DEP_4)
	v_fma_f32 v22, v23, v27, 1.0
	v_mul_f32_e32 v26, v23, v26
	v_xor_b32_e32 v8, v9, v8
	s_delay_alu instid0(VALU_DEP_2) | instskip(NEXT) | instid1(VALU_DEP_1)
	v_fmac_f32_e32 v11, v11, v26
	v_cndmask_b32_e32 v11, v22, v11, vcc_lo
	v_cmp_ngt_f32_e32 vcc_lo, 0xc2ce8ed0, v0
	s_delay_alu instid0(VALU_DEP_2) | instskip(SKIP_2) | instid1(VALU_DEP_2)
	v_xor3_b32 v9, v10, v11, v1
	v_cndmask_b32_e32 v12, 0, v18, vcc_lo
	v_cmp_class_f32_e64 vcc_lo, v1, 0x1f8
	v_cndmask_b32_e64 v10, 0x7f800000, v12, s0
	v_cndmask_b32_e32 v8, 0x7fc00000, v8, vcc_lo
	s_delay_alu instid0(VALU_DEP_1) | instskip(NEXT) | instid1(VALU_DEP_1)
	v_dual_cndmask_b32 v9, 0x7fc00000, v9 :: v_dual_mul_f32 v8, v10, v8
	v_mul_f32_e32 v9, v10, v9
                                        ; implicit-def: $vgpr10
.LBB139_300:                            ;   in Loop: Header=BB139_201 Depth=1
	s_and_not1_saveexec_b32 s15, s15
	s_cbranch_execz .LBB139_310
; %bb.301:                              ;   in Loop: Header=BB139_201 Depth=1
	v_cmp_ngt_f32_e64 s16, 0x48000000, |v1|
                                        ; implicit-def: $vgpr9
                                        ; implicit-def: $vgpr8
	s_delay_alu instid0(VALU_DEP_1) | instskip(NEXT) | instid1(SALU_CYCLE_1)
	s_and_saveexec_b32 s0, s16
	s_xor_b32 s17, exec_lo, s0
	s_cbranch_execz .LBB139_303
; %bb.302:                              ;   in Loop: Header=BB139_201 Depth=1
	v_and_or_b32 v11, v10, s6, 0x800000
	s_delay_alu instid0(VALU_DEP_1) | instskip(NEXT) | instid1(VALU_DEP_1)
	v_mad_u64_u32 v[8:9], null, 0xfe5163ab, v11, 0
	v_mov_b32_e32 v12, v9
	v_lshrrev_b32_e32 v9, 23, v10
	s_delay_alu instid0(VALU_DEP_1) | instskip(NEXT) | instid1(VALU_DEP_3)
	v_add_nc_u32_e32 v9, 0xffffff88, v9
	v_mad_u64_u32 v[18:19], null, 0x3c439041, v11, v[12:13]
	s_delay_alu instid0(VALU_DEP_2) | instskip(SKIP_1) | instid1(VALU_DEP_1)
	v_cmp_lt_u32_e32 vcc_lo, 63, v9
	v_cndmask_b32_e64 v23, 0, 0xffffffc0, vcc_lo
	v_add_nc_u32_e32 v9, v23, v9
	s_delay_alu instid0(VALU_DEP_1) | instskip(NEXT) | instid1(VALU_DEP_1)
	v_cmp_lt_u32_e64 s0, 31, v9
	v_cndmask_b32_e64 v24, 0, 0xffffffe0, s0
	s_delay_alu instid0(VALU_DEP_1) | instskip(NEXT) | instid1(VALU_DEP_1)
	v_dual_mov_b32 v12, v19 :: v_dual_add_nc_u32 v9, v24, v9
	v_mad_u64_u32 v[19:20], null, 0xdb629599, v11, v[12:13]
	s_delay_alu instid0(VALU_DEP_2) | instskip(NEXT) | instid1(VALU_DEP_2)
	v_cmp_lt_u32_e64 s1, 31, v9
	v_mov_b32_e32 v12, v20
	s_delay_alu instid0(VALU_DEP_3) | instskip(NEXT) | instid1(VALU_DEP_2)
	v_cndmask_b32_e32 v8, v19, v8, vcc_lo
	v_mad_u64_u32 v[20:21], null, 0xf534ddc0, v11, v[12:13]
	s_delay_alu instid0(VALU_DEP_1) | instskip(NEXT) | instid1(VALU_DEP_1)
	v_mov_b32_e32 v12, v21
	v_mad_u64_u32 v[21:22], null, 0xfc2757d1, v11, v[12:13]
	s_delay_alu instid0(VALU_DEP_1) | instskip(NEXT) | instid1(VALU_DEP_1)
	v_mov_b32_e32 v12, v22
	;; [unrolled: 3-line block ×3, first 2 shown]
	v_mad_u64_u32 v[23:24], null, 0xa2f9836e, v11, v[12:13]
	v_cndmask_b32_e64 v11, 0, 0xffffffe0, s1
	s_delay_alu instid0(VALU_DEP_1) | instskip(SKIP_1) | instid1(VALU_DEP_4)
	v_dual_cndmask_b32 v12, v22, v20 :: v_dual_add_nc_u32 v9, v11, v9
	v_cndmask_b32_e32 v11, v20, v18, vcc_lo
	v_dual_cndmask_b32 v23, v23, v21 :: v_dual_cndmask_b32 v22, v24, v22
	v_cndmask_b32_e32 v21, v21, v19, vcc_lo
	s_delay_alu instid0(VALU_DEP_4) | instskip(NEXT) | instid1(VALU_DEP_4)
	v_cmp_eq_u32_e64 s2, 0, v9
	v_cndmask_b32_e64 v8, v11, v8, s0
	s_delay_alu instid0(VALU_DEP_4) | instskip(SKIP_4) | instid1(VALU_DEP_4)
	v_cndmask_b32_e64 v18, v23, v12, s0
	v_cndmask_b32_e64 v20, v22, v23, s0
	;; [unrolled: 1-line block ×3, first 2 shown]
	v_sub_nc_u32_e32 v22, 32, v9
	v_cndmask_b32_e64 v21, v21, v11, s0
	v_cndmask_b32_e64 v20, v20, v18, s1
	s_delay_alu instid0(VALU_DEP_4) | instskip(NEXT) | instid1(VALU_DEP_3)
	v_cndmask_b32_e64 v18, v18, v12, s1
	v_cndmask_b32_e64 v12, v12, v21, s1
	;; [unrolled: 1-line block ×3, first 2 shown]
	s_delay_alu instid0(VALU_DEP_3) | instskip(NEXT) | instid1(VALU_DEP_3)
	v_alignbit_b32 v23, v20, v18, v22
	v_alignbit_b32 v24, v18, v12, v22
	s_delay_alu instid0(VALU_DEP_3) | instskip(NEXT) | instid1(VALU_DEP_3)
	v_alignbit_b32 v22, v12, v8, v22
	v_cndmask_b32_e64 v9, v23, v20, s2
	s_delay_alu instid0(VALU_DEP_3) | instskip(NEXT) | instid1(VALU_DEP_3)
	v_cndmask_b32_e64 v18, v24, v18, s2
	v_cndmask_b32_e64 v12, v22, v12, s2
	s_delay_alu instid0(VALU_DEP_3) | instskip(NEXT) | instid1(VALU_DEP_3)
	v_bfe_u32 v19, v9, 29, 1
	v_alignbit_b32 v11, v9, v18, 30
	s_delay_alu instid0(VALU_DEP_3) | instskip(SKIP_1) | instid1(VALU_DEP_4)
	v_alignbit_b32 v18, v18, v12, 30
	v_alignbit_b32 v8, v12, v8, 30
	v_sub_nc_u32_e32 v20, 0, v19
	s_delay_alu instid0(VALU_DEP_1) | instskip(SKIP_3) | instid1(VALU_DEP_4)
	v_xor_b32_e32 v21, v11, v20
	v_cmp_ne_u32_e32 vcc_lo, v11, v20
	v_xor_b32_e32 v12, v18, v20
	v_xor_b32_e32 v8, v8, v20
	v_clz_i32_u32_e32 v23, v21
	s_delay_alu instid0(VALU_DEP_1) | instskip(NEXT) | instid1(VALU_DEP_1)
	v_add_nc_u32_e32 v22, 1, v23
	v_cndmask_b32_e32 v11, 33, v22, vcc_lo
	s_delay_alu instid0(VALU_DEP_1) | instskip(NEXT) | instid1(VALU_DEP_1)
	v_sub_nc_u32_e32 v18, 32, v11
	v_alignbit_b32 v20, v21, v12, v18
	v_alignbit_b32 v8, v12, v8, v18
	v_lshrrev_b32_e32 v12, 29, v9
	v_lshrrev_b32_e32 v9, 30, v9
	s_delay_alu instid0(VALU_DEP_3) | instskip(NEXT) | instid1(VALU_DEP_3)
	v_alignbit_b32 v18, v20, v8, 9
	v_lshlrev_b32_e32 v12, 31, v12
	v_alignbit_b32 v20, v11, v20, 9
	s_delay_alu instid0(VALU_DEP_4) | instskip(NEXT) | instid1(VALU_DEP_4)
	v_add_nc_u32_e32 v9, v19, v9
	v_clz_i32_u32_e32 v21, v18
	s_delay_alu instid0(VALU_DEP_3) | instskip(SKIP_1) | instid1(VALU_DEP_3)
	v_or_b32_e32 v20, v20, v12
	v_or_b32_e32 v12, 0x33800000, v12
	v_min_u32_e32 v21, 32, v21
	s_delay_alu instid0(VALU_DEP_3) | instskip(NEXT) | instid1(VALU_DEP_2)
	v_xor_b32_e32 v20, 1.0, v20
	v_sub_nc_u32_e32 v22, 31, v21
	v_add_lshl_u32 v11, v21, v11, 23
	s_delay_alu instid0(VALU_DEP_3) | instskip(NEXT) | instid1(VALU_DEP_3)
	v_mul_f32_e32 v21, 0x3fc90fda, v20
	v_alignbit_b32 v8, v18, v8, v22
	s_delay_alu instid0(VALU_DEP_3) | instskip(NEXT) | instid1(VALU_DEP_3)
	v_sub_nc_u32_e32 v11, v12, v11
	v_fma_f32 v12, 0x3fc90fda, v20, -v21
	s_delay_alu instid0(VALU_DEP_3) | instskip(NEXT) | instid1(VALU_DEP_2)
	v_lshrrev_b32_e32 v8, 9, v8
	v_fmac_f32_e32 v12, 0x33a22168, v20
	s_delay_alu instid0(VALU_DEP_2) | instskip(NEXT) | instid1(VALU_DEP_1)
	v_or_b32_e32 v8, v11, v8
	v_fmac_f32_e32 v12, 0x3fc90fda, v8
	s_delay_alu instid0(VALU_DEP_1)
	v_add_f32_e32 v8, v21, v12
	s_and_not1_saveexec_b32 s0, s17
	s_branch .LBB139_304
.LBB139_303:                            ;   in Loop: Header=BB139_201 Depth=1
	s_and_not1_saveexec_b32 s0, s17
.LBB139_304:                            ;   in Loop: Header=BB139_201 Depth=1
	v_mul_f32_e64 v8, 0x3f22f983, |v1|
	s_delay_alu instid0(VALU_DEP_1) | instskip(NEXT) | instid1(VALU_DEP_1)
	v_rndne_f32_e32 v9, v8
	v_fma_f32 v8, 0xbfc90fda, v9, |v1|
	s_delay_alu instid0(VALU_DEP_1) | instskip(NEXT) | instid1(VALU_DEP_1)
	v_fmac_f32_e32 v8, 0xb3a22168, v9
	v_fmac_f32_e32 v8, 0xa7c234c4, v9
	v_cvt_i32_f32_e32 v9, v9
; %bb.305:                              ;   in Loop: Header=BB139_201 Depth=1
	s_or_b32 exec_lo, exec_lo, s0
                                        ; implicit-def: $vgpr12
                                        ; implicit-def: $vgpr11
	s_and_saveexec_b32 s0, s16
	s_delay_alu instid0(SALU_CYCLE_1)
	s_xor_b32 s16, exec_lo, s0
	s_cbranch_execz .LBB139_307
; %bb.306:                              ;   in Loop: Header=BB139_201 Depth=1
	v_and_or_b32 v25, v10, s6, 0x800000
	v_lshrrev_b32_e32 v22, 23, v10
	s_delay_alu instid0(VALU_DEP_2) | instskip(NEXT) | instid1(VALU_DEP_2)
	v_mad_u64_u32 v[11:12], null, 0xfe5163ab, v25, 0
	v_add_nc_u32_e32 v23, 0xffffff88, v22
	s_delay_alu instid0(VALU_DEP_1) | instskip(NEXT) | instid1(VALU_DEP_3)
	v_cmp_lt_u32_e32 vcc_lo, 63, v23
	v_mad_u64_u32 v[18:19], null, 0x3c439041, v25, v[12:13]
	v_cndmask_b32_e64 v24, 0, 0xffffffc0, vcc_lo
	s_delay_alu instid0(VALU_DEP_2) | instskip(NEXT) | instid1(VALU_DEP_2)
	v_mov_b32_e32 v12, v19
	v_add_nc_u32_e32 v24, v24, v23
	s_delay_alu instid0(VALU_DEP_2) | instskip(NEXT) | instid1(VALU_DEP_2)
	v_mad_u64_u32 v[19:20], null, 0xdb629599, v25, v[12:13]
	v_cmp_lt_u32_e64 s0, 31, v24
	s_delay_alu instid0(VALU_DEP_1) | instskip(NEXT) | instid1(VALU_DEP_3)
	v_cndmask_b32_e64 v26, 0, 0xffffffe0, s0
	v_dual_mov_b32 v12, v20 :: v_dual_cndmask_b32 v11, v19, v11
	s_delay_alu instid0(VALU_DEP_2) | instskip(NEXT) | instid1(VALU_DEP_2)
	v_add_nc_u32_e32 v26, v26, v24
	v_mad_u64_u32 v[20:21], null, 0xf534ddc0, v25, v[12:13]
	s_delay_alu instid0(VALU_DEP_2) | instskip(NEXT) | instid1(VALU_DEP_2)
	v_cmp_lt_u32_e64 s1, 31, v26
	v_mov_b32_e32 v12, v21
	s_delay_alu instid0(VALU_DEP_3) | instskip(NEXT) | instid1(VALU_DEP_2)
	v_cndmask_b32_e32 v18, v20, v18, vcc_lo
	v_mad_u64_u32 v[21:22], null, 0xfc2757d1, v25, v[12:13]
	s_delay_alu instid0(VALU_DEP_2) | instskip(NEXT) | instid1(VALU_DEP_2)
	v_cndmask_b32_e64 v11, v18, v11, s0
	v_mov_b32_e32 v12, v22
	s_delay_alu instid0(VALU_DEP_1) | instskip(NEXT) | instid1(VALU_DEP_1)
	v_mad_u64_u32 v[22:23], null, 0x4e441529, v25, v[12:13]
	v_mov_b32_e32 v12, v23
	s_delay_alu instid0(VALU_DEP_1) | instskip(SKIP_1) | instid1(VALU_DEP_1)
	v_mad_u64_u32 v[23:24], null, 0xa2f9836e, v25, v[12:13]
	v_cndmask_b32_e64 v12, 0, 0xffffffe0, s1
	v_dual_cndmask_b32 v25, v22, v20 :: v_dual_add_nc_u32 v12, v12, v26
	s_delay_alu instid0(VALU_DEP_3) | instskip(SKIP_1) | instid1(VALU_DEP_3)
	v_dual_cndmask_b32 v23, v23, v21 :: v_dual_cndmask_b32 v22, v24, v22
	v_cndmask_b32_e32 v21, v21, v19, vcc_lo
	v_sub_nc_u32_e32 v24, 32, v12
	s_delay_alu instid0(VALU_DEP_3) | instskip(NEXT) | instid1(VALU_DEP_4)
	v_cndmask_b32_e64 v20, v23, v25, s0
	v_cndmask_b32_e64 v22, v22, v23, s0
	s_delay_alu instid0(VALU_DEP_4) | instskip(SKIP_2) | instid1(VALU_DEP_4)
	v_cndmask_b32_e64 v23, v25, v21, s0
	v_cndmask_b32_e64 v21, v21, v18, s0
	v_cmp_eq_u32_e64 s2, 0, v12
	v_cndmask_b32_e64 v22, v22, v20, s1
	s_delay_alu instid0(VALU_DEP_4) | instskip(NEXT) | instid1(VALU_DEP_4)
	v_cndmask_b32_e64 v20, v20, v23, s1
	v_cndmask_b32_e64 v23, v23, v21, s1
	;; [unrolled: 1-line block ×3, first 2 shown]
	s_delay_alu instid0(VALU_DEP_3) | instskip(NEXT) | instid1(VALU_DEP_3)
	v_alignbit_b32 v25, v22, v20, v24
	v_alignbit_b32 v26, v20, v23, v24
	s_delay_alu instid0(VALU_DEP_3) | instskip(NEXT) | instid1(VALU_DEP_3)
	v_alignbit_b32 v24, v23, v11, v24
	v_cndmask_b32_e64 v12, v25, v22, s2
	s_delay_alu instid0(VALU_DEP_3) | instskip(NEXT) | instid1(VALU_DEP_3)
	v_cndmask_b32_e64 v19, v26, v20, s2
	v_cndmask_b32_e64 v23, v24, v23, s2
	s_delay_alu instid0(VALU_DEP_3) | instskip(NEXT) | instid1(VALU_DEP_3)
	v_bfe_u32 v20, v12, 29, 1
	v_alignbit_b32 v18, v12, v19, 30
	s_delay_alu instid0(VALU_DEP_3) | instskip(SKIP_1) | instid1(VALU_DEP_4)
	v_alignbit_b32 v19, v19, v23, 30
	v_alignbit_b32 v11, v23, v11, 30
	v_sub_nc_u32_e32 v22, 0, v20
	s_delay_alu instid0(VALU_DEP_1) | instskip(SKIP_3) | instid1(VALU_DEP_4)
	v_xor_b32_e32 v21, v18, v22
	v_cmp_ne_u32_e32 vcc_lo, v18, v22
	v_xor_b32_e32 v19, v19, v22
	v_xor_b32_e32 v11, v11, v22
	v_clz_i32_u32_e32 v25, v21
	s_delay_alu instid0(VALU_DEP_1) | instskip(NEXT) | instid1(VALU_DEP_1)
	v_add_nc_u32_e32 v24, 1, v25
	v_cndmask_b32_e32 v18, 33, v24, vcc_lo
	s_delay_alu instid0(VALU_DEP_1) | instskip(NEXT) | instid1(VALU_DEP_1)
	v_sub_nc_u32_e32 v23, 32, v18
	v_alignbit_b32 v21, v21, v19, v23
	v_alignbit_b32 v11, v19, v11, v23
	v_lshrrev_b32_e32 v19, 29, v12
	v_lshrrev_b32_e32 v12, 30, v12
	s_delay_alu instid0(VALU_DEP_3) | instskip(NEXT) | instid1(VALU_DEP_3)
	v_alignbit_b32 v22, v21, v11, 9
	v_lshlrev_b32_e32 v19, 31, v19
	v_alignbit_b32 v21, v18, v21, 9
	s_delay_alu instid0(VALU_DEP_4) | instskip(NEXT) | instid1(VALU_DEP_4)
	v_add_nc_u32_e32 v12, v20, v12
	v_clz_i32_u32_e32 v23, v22
	s_delay_alu instid0(VALU_DEP_3) | instskip(SKIP_1) | instid1(VALU_DEP_3)
	v_or_b32_e32 v21, v21, v19
	v_or_b32_e32 v19, 0x33800000, v19
	v_min_u32_e32 v23, 32, v23
	s_delay_alu instid0(VALU_DEP_3) | instskip(NEXT) | instid1(VALU_DEP_2)
	v_xor_b32_e32 v21, 1.0, v21
	v_sub_nc_u32_e32 v24, 31, v23
	v_add_lshl_u32 v18, v23, v18, 23
	s_delay_alu instid0(VALU_DEP_3) | instskip(NEXT) | instid1(VALU_DEP_3)
	v_mul_f32_e32 v23, 0x3fc90fda, v21
	v_alignbit_b32 v11, v22, v11, v24
	s_delay_alu instid0(VALU_DEP_3) | instskip(NEXT) | instid1(VALU_DEP_3)
	v_sub_nc_u32_e32 v18, v19, v18
	v_fma_f32 v19, 0x3fc90fda, v21, -v23
	s_delay_alu instid0(VALU_DEP_3) | instskip(NEXT) | instid1(VALU_DEP_2)
	v_lshrrev_b32_e32 v11, 9, v11
	v_fmac_f32_e32 v19, 0x33a22168, v21
	s_delay_alu instid0(VALU_DEP_2) | instskip(NEXT) | instid1(VALU_DEP_1)
	v_or_b32_e32 v11, v18, v11
	v_fmac_f32_e32 v19, 0x3fc90fda, v11
	s_delay_alu instid0(VALU_DEP_1)
	v_add_f32_e32 v11, v23, v19
	s_and_not1_saveexec_b32 s0, s16
	s_cbranch_execnz .LBB139_308
	s_branch .LBB139_309
.LBB139_307:                            ;   in Loop: Header=BB139_201 Depth=1
	s_and_not1_saveexec_b32 s0, s16
.LBB139_308:                            ;   in Loop: Header=BB139_201 Depth=1
	v_mul_f32_e64 v11, 0x3f22f983, |v1|
	s_delay_alu instid0(VALU_DEP_1) | instskip(NEXT) | instid1(VALU_DEP_1)
	v_rndne_f32_e32 v12, v11
	v_fma_f32 v11, 0xbfc90fda, v12, |v1|
	s_delay_alu instid0(VALU_DEP_1) | instskip(NEXT) | instid1(VALU_DEP_1)
	v_fmac_f32_e32 v11, 0xb3a22168, v12
	v_fmac_f32_e32 v11, 0xa7c234c4, v12
	v_cvt_i32_f32_e32 v12, v12
.LBB139_309:                            ;   in Loop: Header=BB139_201 Depth=1
	s_or_b32 exec_lo, exec_lo, s0
	s_delay_alu instid0(VALU_DEP_1) | instskip(NEXT) | instid1(VALU_DEP_1)
	v_dual_add_f32 v18, 0xc322e3bc, v0 :: v_dual_mul_f32 v23, v11, v11
	v_dual_mul_f32 v22, v8, v8 :: v_dual_mul_f32 v19, 0x3fb8aa3b, v18
	s_delay_alu instid0(VALU_DEP_1) | instskip(SKIP_1) | instid1(VALU_DEP_3)
	v_fmaak_f32 v25, s7, v22, 0x3c0881c4
	v_fmaak_f32 v24, s8, v22, 0xbab64f3b
	v_fma_f32 v20, 0x3fb8aa3b, v18, -v19
	v_rndne_f32_e32 v21, v19
	s_delay_alu instid0(VALU_DEP_1) | instskip(SKIP_1) | instid1(VALU_DEP_2)
	v_dual_sub_f32 v19, v19, v21 :: v_dual_fmac_f32 v20, 0x32a5705f, v18
	v_cmp_ngt_f32_e32 vcc_lo, 0xc2ce8ed0, v18
	v_add_f32_e32 v19, v19, v20
	v_cvt_i32_f32_e32 v20, v21
	v_lshlrev_b32_e32 v21, 30, v9
	s_delay_alu instid0(VALU_DEP_3) | instskip(SKIP_4) | instid1(VALU_DEP_3)
	v_exp_f32_e32 v19, v19
	s_waitcnt_depctr 0xfff
	v_ldexp_f32 v19, v19, v20
	v_and_b32_e32 v20, 1, v12
	v_dual_fmaak_f32 v26, s7, v23, 0x3c0881c4 :: v_dual_and_b32 v9, 1, v9
	v_dual_cndmask_b32 v19, 0, v19 :: v_dual_lshlrev_b32 v12, 30, v12
	v_cmp_nlt_f32_e32 vcc_lo, 0x42b17218, v18
	s_delay_alu instid0(VALU_DEP_3) | instskip(NEXT) | instid1(VALU_DEP_3)
	v_fmaak_f32 v26, v23, v26, 0xbe2aaa9d
	v_and_or_b32 v10, 0x80000000, v12, v10
	v_fmaak_f32 v12, v22, v24, 0x3d2aabf7
	s_delay_alu instid0(VALU_DEP_3) | instskip(SKIP_1) | instid1(VALU_DEP_3)
	v_mul_f32_e32 v26, v23, v26
	v_cndmask_b32_e32 v18, 0x7f800000, v19, vcc_lo
	v_fmaak_f32 v12, v22, v12, 0xbf000004
	v_cmp_eq_u32_e32 vcc_lo, 0, v9
	s_delay_alu instid0(VALU_DEP_4) | instskip(NEXT) | instid1(VALU_DEP_4)
	v_dual_fmac_f32 v11, v11, v26 :: v_dual_fmaak_f32 v24, v22, v25, 0xbe2aaa9d
	v_lshrrev_b32_e32 v25, 23, v18
	v_and_b32_e32 v21, 0x80000000, v21
	v_fma_f32 v12, v22, v12, 1.0
	s_delay_alu instid0(VALU_DEP_4) | instskip(NEXT) | instid1(VALU_DEP_4)
	v_mul_f32_e32 v24, v22, v24
	v_subrev_nc_u32_e32 v25, 19, v25
	s_delay_alu instid0(VALU_DEP_2) | instskip(NEXT) | instid1(VALU_DEP_2)
	v_fmac_f32_e32 v8, v8, v24
	v_lshrrev_b16 v22, 15, v25
	s_delay_alu instid0(VALU_DEP_2) | instskip(NEXT) | instid1(VALU_DEP_2)
	v_cndmask_b32_e64 v8, -v8, v12, vcc_lo
	v_add_nc_u16 v9, v25, v22
	v_cmp_eq_u32_e32 vcc_lo, 0, v20
	s_delay_alu instid0(VALU_DEP_3) | instskip(NEXT) | instid1(VALU_DEP_3)
	v_xor_b32_e32 v8, v21, v8
	v_ashrrev_i16 v9, 1, v9
	s_delay_alu instid0(VALU_DEP_1) | instskip(NEXT) | instid1(VALU_DEP_1)
	v_bfe_i32 v9, v9, 0, 16
	v_lshl_add_u32 v12, v9, 23, 1.0
	v_fmaak_f32 v19, s8, v23, 0xbab64f3b
	v_sub_nc_u32_e32 v9, v25, v9
	s_delay_alu instid0(VALU_DEP_2) | instskip(NEXT) | instid1(VALU_DEP_2)
	v_fmaak_f32 v19, v23, v19, 0x3d2aabf7
	v_lshl_add_u32 v9, v9, 23, 1.0
	s_delay_alu instid0(VALU_DEP_2) | instskip(NEXT) | instid1(VALU_DEP_1)
	v_fmaak_f32 v19, v23, v19, 0xbf000004
	v_fma_f32 v19, v23, v19, 1.0
	s_delay_alu instid0(VALU_DEP_1) | instskip(SKIP_1) | instid1(VALU_DEP_2)
	v_cndmask_b32_e32 v11, v19, v11, vcc_lo
	v_cmp_class_f32_e64 vcc_lo, v1, 0x1f8
	v_xor3_b32 v10, v10, v11, v1
	v_cndmask_b32_e32 v8, 0x7fc00000, v8, vcc_lo
	v_and_or_b32 v11, 0x7fffff, v18, s9
	s_delay_alu instid0(VALU_DEP_3) | instskip(NEXT) | instid1(VALU_DEP_2)
	v_cndmask_b32_e32 v10, 0x7fc00000, v10, vcc_lo
	v_mul_f32_e32 v8, v8, v11
	s_delay_alu instid0(VALU_DEP_2) | instskip(NEXT) | instid1(VALU_DEP_2)
	v_mul_f32_e32 v10, v10, v11
	v_mul_f32_e32 v8, v8, v12
	s_delay_alu instid0(VALU_DEP_2) | instskip(NEXT) | instid1(VALU_DEP_2)
	v_mul_f32_e32 v10, v10, v12
	v_mul_f32_e32 v8, v8, v9
	s_delay_alu instid0(VALU_DEP_2)
	v_mul_f32_e32 v9, v10, v9
.LBB139_310:                            ;   in Loop: Header=BB139_201 Depth=1
	s_or_b32 exec_lo, exec_lo, s15
                                        ; implicit-def: $vgpr11
.LBB139_311:                            ;   in Loop: Header=BB139_201 Depth=1
	s_and_not1_saveexec_b32 s0, s14
	s_cbranch_execz .LBB139_315
; %bb.312:                              ;   in Loop: Header=BB139_201 Depth=1
	v_sub_f32_e32 v9, v1, v1
	s_mov_b32 s1, exec_lo
	v_cmpx_ne_u32_e32 0x7f800000, v11
	s_xor_b32 s1, exec_lo, s1
	s_delay_alu instid0(SALU_CYCLE_1)
	s_or_saveexec_b32 s1, s1
	v_mov_b32_e32 v8, v9
	s_xor_b32 exec_lo, exec_lo, s1
; %bb.313:                              ;   in Loop: Header=BB139_201 Depth=1
	v_cmp_lt_i32_e32 vcc_lo, -1, v0
	v_dual_cndmask_b32 v8, 0, v0 :: v_dual_cndmask_b32 v9, 0, v9
; %bb.314:                              ;   in Loop: Header=BB139_201 Depth=1
	s_or_b32 exec_lo, exec_lo, s1
.LBB139_315:                            ;   in Loop: Header=BB139_201 Depth=1
	s_delay_alu instid0(SALU_CYCLE_1)
	s_or_b32 exec_lo, exec_lo, s0
                                        ; implicit-def: $vgpr10
.LBB139_316:                            ;   in Loop: Header=BB139_201 Depth=1
	s_and_not1_saveexec_b32 s13, s13
	s_cbranch_execz .LBB139_326
; %bb.317:                              ;   in Loop: Header=BB139_201 Depth=1
	v_cmp_ngt_f32_e64 s14, 0x48000000, |v1|
                                        ; implicit-def: $vgpr9
                                        ; implicit-def: $vgpr8
	s_delay_alu instid0(VALU_DEP_1) | instskip(NEXT) | instid1(SALU_CYCLE_1)
	s_and_saveexec_b32 s0, s14
	s_xor_b32 s15, exec_lo, s0
	s_cbranch_execz .LBB139_319
; %bb.318:                              ;   in Loop: Header=BB139_201 Depth=1
	v_and_or_b32 v11, v10, s6, 0x800000
	s_delay_alu instid0(VALU_DEP_1) | instskip(NEXT) | instid1(VALU_DEP_1)
	v_mad_u64_u32 v[8:9], null, 0xfe5163ab, v11, 0
	v_mov_b32_e32 v12, v9
	v_lshrrev_b32_e32 v9, 23, v10
	s_delay_alu instid0(VALU_DEP_1) | instskip(NEXT) | instid1(VALU_DEP_3)
	v_add_nc_u32_e32 v9, 0xffffff88, v9
	v_mad_u64_u32 v[18:19], null, 0x3c439041, v11, v[12:13]
	s_delay_alu instid0(VALU_DEP_2) | instskip(SKIP_1) | instid1(VALU_DEP_1)
	v_cmp_lt_u32_e32 vcc_lo, 63, v9
	v_cndmask_b32_e64 v23, 0, 0xffffffc0, vcc_lo
	v_add_nc_u32_e32 v9, v23, v9
	s_delay_alu instid0(VALU_DEP_1) | instskip(NEXT) | instid1(VALU_DEP_1)
	v_cmp_lt_u32_e64 s0, 31, v9
	v_cndmask_b32_e64 v24, 0, 0xffffffe0, s0
	s_delay_alu instid0(VALU_DEP_1) | instskip(NEXT) | instid1(VALU_DEP_1)
	v_dual_mov_b32 v12, v19 :: v_dual_add_nc_u32 v9, v24, v9
	v_mad_u64_u32 v[19:20], null, 0xdb629599, v11, v[12:13]
	s_delay_alu instid0(VALU_DEP_2) | instskip(NEXT) | instid1(VALU_DEP_2)
	v_cmp_lt_u32_e64 s1, 31, v9
	v_mov_b32_e32 v12, v20
	s_delay_alu instid0(VALU_DEP_3) | instskip(NEXT) | instid1(VALU_DEP_2)
	v_cndmask_b32_e32 v8, v19, v8, vcc_lo
	v_mad_u64_u32 v[20:21], null, 0xf534ddc0, v11, v[12:13]
	s_delay_alu instid0(VALU_DEP_1) | instskip(NEXT) | instid1(VALU_DEP_1)
	v_mov_b32_e32 v12, v21
	v_mad_u64_u32 v[21:22], null, 0xfc2757d1, v11, v[12:13]
	s_delay_alu instid0(VALU_DEP_1) | instskip(NEXT) | instid1(VALU_DEP_1)
	v_mov_b32_e32 v12, v22
	;; [unrolled: 3-line block ×3, first 2 shown]
	v_mad_u64_u32 v[23:24], null, 0xa2f9836e, v11, v[12:13]
	v_cndmask_b32_e64 v11, 0, 0xffffffe0, s1
	s_delay_alu instid0(VALU_DEP_1) | instskip(SKIP_1) | instid1(VALU_DEP_4)
	v_dual_cndmask_b32 v12, v22, v20 :: v_dual_add_nc_u32 v9, v11, v9
	v_cndmask_b32_e32 v11, v20, v18, vcc_lo
	v_dual_cndmask_b32 v23, v23, v21 :: v_dual_cndmask_b32 v22, v24, v22
	v_cndmask_b32_e32 v21, v21, v19, vcc_lo
	s_delay_alu instid0(VALU_DEP_4) | instskip(NEXT) | instid1(VALU_DEP_4)
	v_cmp_eq_u32_e64 s2, 0, v9
	v_cndmask_b32_e64 v8, v11, v8, s0
	s_delay_alu instid0(VALU_DEP_4) | instskip(SKIP_4) | instid1(VALU_DEP_4)
	v_cndmask_b32_e64 v18, v23, v12, s0
	v_cndmask_b32_e64 v20, v22, v23, s0
	;; [unrolled: 1-line block ×3, first 2 shown]
	v_sub_nc_u32_e32 v22, 32, v9
	v_cndmask_b32_e64 v21, v21, v11, s0
	v_cndmask_b32_e64 v20, v20, v18, s1
	s_delay_alu instid0(VALU_DEP_4) | instskip(NEXT) | instid1(VALU_DEP_3)
	v_cndmask_b32_e64 v18, v18, v12, s1
	v_cndmask_b32_e64 v12, v12, v21, s1
	;; [unrolled: 1-line block ×3, first 2 shown]
	s_delay_alu instid0(VALU_DEP_3) | instskip(NEXT) | instid1(VALU_DEP_3)
	v_alignbit_b32 v23, v20, v18, v22
	v_alignbit_b32 v24, v18, v12, v22
	s_delay_alu instid0(VALU_DEP_3) | instskip(NEXT) | instid1(VALU_DEP_3)
	v_alignbit_b32 v22, v12, v8, v22
	v_cndmask_b32_e64 v9, v23, v20, s2
	s_delay_alu instid0(VALU_DEP_3) | instskip(NEXT) | instid1(VALU_DEP_3)
	v_cndmask_b32_e64 v18, v24, v18, s2
	v_cndmask_b32_e64 v12, v22, v12, s2
	s_delay_alu instid0(VALU_DEP_3) | instskip(NEXT) | instid1(VALU_DEP_3)
	v_bfe_u32 v19, v9, 29, 1
	v_alignbit_b32 v11, v9, v18, 30
	s_delay_alu instid0(VALU_DEP_3) | instskip(SKIP_1) | instid1(VALU_DEP_4)
	v_alignbit_b32 v18, v18, v12, 30
	v_alignbit_b32 v8, v12, v8, 30
	v_sub_nc_u32_e32 v20, 0, v19
	s_delay_alu instid0(VALU_DEP_1) | instskip(SKIP_3) | instid1(VALU_DEP_4)
	v_xor_b32_e32 v21, v11, v20
	v_cmp_ne_u32_e32 vcc_lo, v11, v20
	v_xor_b32_e32 v12, v18, v20
	v_xor_b32_e32 v8, v8, v20
	v_clz_i32_u32_e32 v23, v21
	s_delay_alu instid0(VALU_DEP_1) | instskip(NEXT) | instid1(VALU_DEP_1)
	v_add_nc_u32_e32 v22, 1, v23
	v_cndmask_b32_e32 v11, 33, v22, vcc_lo
	s_delay_alu instid0(VALU_DEP_1) | instskip(NEXT) | instid1(VALU_DEP_1)
	v_sub_nc_u32_e32 v18, 32, v11
	v_alignbit_b32 v20, v21, v12, v18
	v_alignbit_b32 v8, v12, v8, v18
	v_lshrrev_b32_e32 v12, 29, v9
	v_lshrrev_b32_e32 v9, 30, v9
	s_delay_alu instid0(VALU_DEP_3) | instskip(NEXT) | instid1(VALU_DEP_3)
	v_alignbit_b32 v18, v20, v8, 9
	v_lshlrev_b32_e32 v12, 31, v12
	v_alignbit_b32 v20, v11, v20, 9
	s_delay_alu instid0(VALU_DEP_4) | instskip(NEXT) | instid1(VALU_DEP_4)
	v_add_nc_u32_e32 v9, v19, v9
	v_clz_i32_u32_e32 v21, v18
	s_delay_alu instid0(VALU_DEP_3) | instskip(SKIP_1) | instid1(VALU_DEP_3)
	v_or_b32_e32 v20, v20, v12
	v_or_b32_e32 v12, 0x33800000, v12
	v_min_u32_e32 v21, 32, v21
	s_delay_alu instid0(VALU_DEP_3) | instskip(NEXT) | instid1(VALU_DEP_2)
	v_xor_b32_e32 v20, 1.0, v20
	v_sub_nc_u32_e32 v22, 31, v21
	v_add_lshl_u32 v11, v21, v11, 23
	s_delay_alu instid0(VALU_DEP_3) | instskip(NEXT) | instid1(VALU_DEP_3)
	v_mul_f32_e32 v21, 0x3fc90fda, v20
	v_alignbit_b32 v8, v18, v8, v22
	s_delay_alu instid0(VALU_DEP_3) | instskip(NEXT) | instid1(VALU_DEP_3)
	v_sub_nc_u32_e32 v11, v12, v11
	v_fma_f32 v12, 0x3fc90fda, v20, -v21
	s_delay_alu instid0(VALU_DEP_3) | instskip(NEXT) | instid1(VALU_DEP_2)
	v_lshrrev_b32_e32 v8, 9, v8
	v_fmac_f32_e32 v12, 0x33a22168, v20
	s_delay_alu instid0(VALU_DEP_2) | instskip(NEXT) | instid1(VALU_DEP_1)
	v_or_b32_e32 v8, v11, v8
	v_fmac_f32_e32 v12, 0x3fc90fda, v8
	s_delay_alu instid0(VALU_DEP_1)
	v_add_f32_e32 v8, v21, v12
	s_and_not1_saveexec_b32 s0, s15
	s_branch .LBB139_320
.LBB139_319:                            ;   in Loop: Header=BB139_201 Depth=1
	s_and_not1_saveexec_b32 s0, s15
.LBB139_320:                            ;   in Loop: Header=BB139_201 Depth=1
	v_mul_f32_e64 v8, 0x3f22f983, |v1|
	s_delay_alu instid0(VALU_DEP_1) | instskip(NEXT) | instid1(VALU_DEP_1)
	v_rndne_f32_e32 v9, v8
	v_fma_f32 v8, 0xbfc90fda, v9, |v1|
	s_delay_alu instid0(VALU_DEP_1) | instskip(NEXT) | instid1(VALU_DEP_1)
	v_fmac_f32_e32 v8, 0xb3a22168, v9
	v_fmac_f32_e32 v8, 0xa7c234c4, v9
	v_cvt_i32_f32_e32 v9, v9
; %bb.321:                              ;   in Loop: Header=BB139_201 Depth=1
	s_or_b32 exec_lo, exec_lo, s0
                                        ; implicit-def: $vgpr12
                                        ; implicit-def: $vgpr11
	s_and_saveexec_b32 s0, s14
	s_delay_alu instid0(SALU_CYCLE_1)
	s_xor_b32 s14, exec_lo, s0
	s_cbranch_execz .LBB139_323
; %bb.322:                              ;   in Loop: Header=BB139_201 Depth=1
	v_and_or_b32 v25, v10, s6, 0x800000
	v_lshrrev_b32_e32 v22, 23, v10
	s_delay_alu instid0(VALU_DEP_2) | instskip(NEXT) | instid1(VALU_DEP_2)
	v_mad_u64_u32 v[11:12], null, 0xfe5163ab, v25, 0
	v_add_nc_u32_e32 v23, 0xffffff88, v22
	s_delay_alu instid0(VALU_DEP_1) | instskip(NEXT) | instid1(VALU_DEP_3)
	v_cmp_lt_u32_e32 vcc_lo, 63, v23
	v_mad_u64_u32 v[18:19], null, 0x3c439041, v25, v[12:13]
	v_cndmask_b32_e64 v24, 0, 0xffffffc0, vcc_lo
	s_delay_alu instid0(VALU_DEP_2) | instskip(NEXT) | instid1(VALU_DEP_2)
	v_mov_b32_e32 v12, v19
	v_add_nc_u32_e32 v24, v24, v23
	s_delay_alu instid0(VALU_DEP_2) | instskip(NEXT) | instid1(VALU_DEP_2)
	v_mad_u64_u32 v[19:20], null, 0xdb629599, v25, v[12:13]
	v_cmp_lt_u32_e64 s0, 31, v24
	s_delay_alu instid0(VALU_DEP_1) | instskip(NEXT) | instid1(VALU_DEP_3)
	v_cndmask_b32_e64 v26, 0, 0xffffffe0, s0
	v_dual_mov_b32 v12, v20 :: v_dual_cndmask_b32 v11, v19, v11
	s_delay_alu instid0(VALU_DEP_2) | instskip(NEXT) | instid1(VALU_DEP_2)
	v_add_nc_u32_e32 v26, v26, v24
	v_mad_u64_u32 v[20:21], null, 0xf534ddc0, v25, v[12:13]
	s_delay_alu instid0(VALU_DEP_2) | instskip(NEXT) | instid1(VALU_DEP_2)
	v_cmp_lt_u32_e64 s1, 31, v26
	v_mov_b32_e32 v12, v21
	s_delay_alu instid0(VALU_DEP_3) | instskip(NEXT) | instid1(VALU_DEP_2)
	v_cndmask_b32_e32 v18, v20, v18, vcc_lo
	v_mad_u64_u32 v[21:22], null, 0xfc2757d1, v25, v[12:13]
	s_delay_alu instid0(VALU_DEP_2) | instskip(NEXT) | instid1(VALU_DEP_2)
	v_cndmask_b32_e64 v11, v18, v11, s0
	v_mov_b32_e32 v12, v22
	s_delay_alu instid0(VALU_DEP_1) | instskip(NEXT) | instid1(VALU_DEP_1)
	v_mad_u64_u32 v[22:23], null, 0x4e441529, v25, v[12:13]
	v_mov_b32_e32 v12, v23
	s_delay_alu instid0(VALU_DEP_1) | instskip(SKIP_1) | instid1(VALU_DEP_1)
	v_mad_u64_u32 v[23:24], null, 0xa2f9836e, v25, v[12:13]
	v_cndmask_b32_e64 v12, 0, 0xffffffe0, s1
	v_dual_cndmask_b32 v25, v22, v20 :: v_dual_add_nc_u32 v12, v12, v26
	s_delay_alu instid0(VALU_DEP_3) | instskip(SKIP_1) | instid1(VALU_DEP_3)
	v_dual_cndmask_b32 v23, v23, v21 :: v_dual_cndmask_b32 v22, v24, v22
	v_cndmask_b32_e32 v21, v21, v19, vcc_lo
	v_sub_nc_u32_e32 v24, 32, v12
	s_delay_alu instid0(VALU_DEP_3) | instskip(NEXT) | instid1(VALU_DEP_4)
	v_cndmask_b32_e64 v20, v23, v25, s0
	v_cndmask_b32_e64 v22, v22, v23, s0
	s_delay_alu instid0(VALU_DEP_4) | instskip(SKIP_2) | instid1(VALU_DEP_4)
	v_cndmask_b32_e64 v23, v25, v21, s0
	v_cndmask_b32_e64 v21, v21, v18, s0
	v_cmp_eq_u32_e64 s2, 0, v12
	v_cndmask_b32_e64 v22, v22, v20, s1
	s_delay_alu instid0(VALU_DEP_4) | instskip(NEXT) | instid1(VALU_DEP_4)
	v_cndmask_b32_e64 v20, v20, v23, s1
	v_cndmask_b32_e64 v23, v23, v21, s1
	;; [unrolled: 1-line block ×3, first 2 shown]
	s_delay_alu instid0(VALU_DEP_3) | instskip(NEXT) | instid1(VALU_DEP_3)
	v_alignbit_b32 v25, v22, v20, v24
	v_alignbit_b32 v26, v20, v23, v24
	s_delay_alu instid0(VALU_DEP_3) | instskip(NEXT) | instid1(VALU_DEP_3)
	v_alignbit_b32 v24, v23, v11, v24
	v_cndmask_b32_e64 v12, v25, v22, s2
	s_delay_alu instid0(VALU_DEP_3) | instskip(NEXT) | instid1(VALU_DEP_3)
	v_cndmask_b32_e64 v19, v26, v20, s2
	v_cndmask_b32_e64 v23, v24, v23, s2
	s_delay_alu instid0(VALU_DEP_3) | instskip(NEXT) | instid1(VALU_DEP_3)
	v_bfe_u32 v20, v12, 29, 1
	v_alignbit_b32 v18, v12, v19, 30
	s_delay_alu instid0(VALU_DEP_3) | instskip(SKIP_1) | instid1(VALU_DEP_4)
	v_alignbit_b32 v19, v19, v23, 30
	v_alignbit_b32 v11, v23, v11, 30
	v_sub_nc_u32_e32 v22, 0, v20
	s_delay_alu instid0(VALU_DEP_1) | instskip(SKIP_3) | instid1(VALU_DEP_4)
	v_xor_b32_e32 v21, v18, v22
	v_cmp_ne_u32_e32 vcc_lo, v18, v22
	v_xor_b32_e32 v19, v19, v22
	v_xor_b32_e32 v11, v11, v22
	v_clz_i32_u32_e32 v25, v21
	s_delay_alu instid0(VALU_DEP_1) | instskip(NEXT) | instid1(VALU_DEP_1)
	v_add_nc_u32_e32 v24, 1, v25
	v_cndmask_b32_e32 v18, 33, v24, vcc_lo
	s_delay_alu instid0(VALU_DEP_1) | instskip(NEXT) | instid1(VALU_DEP_1)
	v_sub_nc_u32_e32 v23, 32, v18
	v_alignbit_b32 v21, v21, v19, v23
	v_alignbit_b32 v11, v19, v11, v23
	v_lshrrev_b32_e32 v19, 29, v12
	v_lshrrev_b32_e32 v12, 30, v12
	s_delay_alu instid0(VALU_DEP_3) | instskip(NEXT) | instid1(VALU_DEP_3)
	v_alignbit_b32 v22, v21, v11, 9
	v_lshlrev_b32_e32 v19, 31, v19
	v_alignbit_b32 v21, v18, v21, 9
	s_delay_alu instid0(VALU_DEP_4) | instskip(NEXT) | instid1(VALU_DEP_4)
	v_add_nc_u32_e32 v12, v20, v12
	v_clz_i32_u32_e32 v23, v22
	s_delay_alu instid0(VALU_DEP_3) | instskip(SKIP_1) | instid1(VALU_DEP_3)
	v_or_b32_e32 v21, v21, v19
	v_or_b32_e32 v19, 0x33800000, v19
	v_min_u32_e32 v23, 32, v23
	s_delay_alu instid0(VALU_DEP_3) | instskip(NEXT) | instid1(VALU_DEP_2)
	v_xor_b32_e32 v21, 1.0, v21
	v_sub_nc_u32_e32 v24, 31, v23
	v_add_lshl_u32 v18, v23, v18, 23
	s_delay_alu instid0(VALU_DEP_3) | instskip(NEXT) | instid1(VALU_DEP_3)
	v_mul_f32_e32 v23, 0x3fc90fda, v21
	v_alignbit_b32 v11, v22, v11, v24
	s_delay_alu instid0(VALU_DEP_3) | instskip(NEXT) | instid1(VALU_DEP_3)
	v_sub_nc_u32_e32 v18, v19, v18
	v_fma_f32 v19, 0x3fc90fda, v21, -v23
	s_delay_alu instid0(VALU_DEP_3) | instskip(NEXT) | instid1(VALU_DEP_2)
	v_lshrrev_b32_e32 v11, 9, v11
	v_fmac_f32_e32 v19, 0x33a22168, v21
	s_delay_alu instid0(VALU_DEP_2) | instskip(NEXT) | instid1(VALU_DEP_1)
	v_or_b32_e32 v11, v18, v11
	v_fmac_f32_e32 v19, 0x3fc90fda, v11
	s_delay_alu instid0(VALU_DEP_1)
	v_add_f32_e32 v11, v23, v19
	s_and_not1_saveexec_b32 s0, s14
	s_cbranch_execnz .LBB139_324
	s_branch .LBB139_325
.LBB139_323:                            ;   in Loop: Header=BB139_201 Depth=1
	s_and_not1_saveexec_b32 s0, s14
.LBB139_324:                            ;   in Loop: Header=BB139_201 Depth=1
	v_mul_f32_e64 v11, 0x3f22f983, |v1|
	s_delay_alu instid0(VALU_DEP_1) | instskip(NEXT) | instid1(VALU_DEP_1)
	v_rndne_f32_e32 v12, v11
	v_fma_f32 v11, 0xbfc90fda, v12, |v1|
	s_delay_alu instid0(VALU_DEP_1) | instskip(NEXT) | instid1(VALU_DEP_1)
	v_fmac_f32_e32 v11, 0xb3a22168, v12
	v_fmac_f32_e32 v11, 0xa7c234c4, v12
	v_cvt_i32_f32_e32 v12, v12
.LBB139_325:                            ;   in Loop: Header=BB139_201 Depth=1
	s_or_b32 exec_lo, exec_lo, s0
	s_delay_alu instid0(VALU_DEP_1) | instskip(SKIP_2) | instid1(VALU_DEP_3)
	v_dual_mul_f32 v18, v8, v8 :: v_dual_mul_f32 v19, v11, v11
	v_and_b32_e32 v20, 1, v9
	v_lshlrev_b32_e32 v9, 30, v9
	v_dual_fmaak_f32 v22, s8, v18, 0xbab64f3b :: v_dual_and_b32 v25, 1, v12
	v_fmaak_f32 v21, s7, v18, 0x3c0881c4
	v_fmaak_f32 v24, s8, v19, 0xbab64f3b
	v_dual_fmaak_f32 v23, s7, v19, 0x3c0881c4 :: v_dual_lshlrev_b32 v12, 30, v12
	v_cmp_eq_u32_e32 vcc_lo, 0, v20
	s_delay_alu instid0(VALU_DEP_4) | instskip(NEXT) | instid1(VALU_DEP_4)
	v_fmaak_f32 v21, v18, v21, 0xbe2aaa9d
	v_fmaak_f32 v24, v19, v24, 0x3d2aabf7
	v_and_b32_e32 v9, 0x80000000, v9
	v_and_or_b32 v10, 0x80000000, v12, v10
	s_delay_alu instid0(VALU_DEP_4) | instskip(SKIP_2) | instid1(VALU_DEP_3)
	v_mul_f32_e32 v21, v18, v21
	v_fmaak_f32 v23, v19, v23, 0xbe2aaa9d
	v_fmaak_f32 v24, v19, v24, 0xbf000004
	v_fmac_f32_e32 v8, v8, v21
	s_delay_alu instid0(VALU_DEP_3) | instskip(NEXT) | instid1(VALU_DEP_3)
	v_dual_fmaak_f32 v22, v18, v22, 0x3d2aabf7 :: v_dual_mul_f32 v23, v19, v23
	v_fma_f32 v19, v19, v24, 1.0
	s_delay_alu instid0(VALU_DEP_2) | instskip(NEXT) | instid1(VALU_DEP_1)
	v_dual_fmaak_f32 v22, v18, v22, 0xbf000004 :: v_dual_fmac_f32 v11, v11, v23
	v_fma_f32 v18, v18, v22, 1.0
	s_delay_alu instid0(VALU_DEP_1) | instskip(SKIP_1) | instid1(VALU_DEP_2)
	v_cndmask_b32_e64 v8, -v8, v18, vcc_lo
	v_cmp_eq_u32_e32 vcc_lo, 0, v25
	v_xor_b32_e32 v8, v9, v8
	v_cndmask_b32_e32 v11, v19, v11, vcc_lo
	v_cmp_class_f32_e64 vcc_lo, v1, 0x1f8
	s_delay_alu instid0(VALU_DEP_2) | instskip(NEXT) | instid1(VALU_DEP_4)
	v_xor3_b32 v9, v10, v11, v1
	v_cndmask_b32_e32 v8, 0x7fc00000, v8, vcc_lo
	s_delay_alu instid0(VALU_DEP_2)
	v_cndmask_b32_e32 v9, 0x7fc00000, v9, vcc_lo
.LBB139_326:                            ;   in Loop: Header=BB139_201 Depth=1
	s_or_b32 exec_lo, exec_lo, s13
.LBB139_327:                            ;   in Loop: Header=BB139_201 Depth=1
	s_and_not1_saveexec_b32 s0, s12
	s_cbranch_execz .LBB139_329
; %bb.328:                              ;   in Loop: Header=BB139_201 Depth=1
	v_mul_f32_e32 v8, 0x3fb8aa3b, v0
	v_cmp_ngt_f32_e32 vcc_lo, 0xc2ce8ed0, v0
	s_delay_alu instid0(VALU_DEP_2) | instskip(SKIP_1) | instid1(VALU_DEP_2)
	v_rndne_f32_e32 v9, v8
	v_fma_f32 v10, 0x3fb8aa3b, v0, -v8
	v_sub_f32_e32 v8, v8, v9
	s_delay_alu instid0(VALU_DEP_2) | instskip(SKIP_1) | instid1(VALU_DEP_2)
	v_fmac_f32_e32 v10, 0x32a5705f, v0
	v_cvt_i32_f32_e32 v9, v9
	v_add_f32_e32 v8, v8, v10
	s_delay_alu instid0(VALU_DEP_1) | instskip(SKIP_2) | instid1(VALU_DEP_1)
	v_exp_f32_e32 v8, v8
	s_waitcnt_depctr 0xfff
	v_ldexp_f32 v8, v8, v9
	v_dual_mov_b32 v9, v1 :: v_dual_cndmask_b32 v8, 0, v8
	v_cmp_nlt_f32_e32 vcc_lo, 0x42b17218, v0
	s_delay_alu instid0(VALU_DEP_2)
	v_cndmask_b32_e32 v8, 0x7f800000, v8, vcc_lo
.LBB139_329:                            ;   in Loop: Header=BB139_201 Depth=1
	s_or_b32 exec_lo, exec_lo, s0
	v_and_b32_e32 v0, 0x7fffffff, v3
	s_mov_b32 s0, exec_lo
	s_delay_alu instid0(VALU_DEP_1)
	v_cmpx_ne_u32_e32 0, v0
	s_xor_b32 s12, exec_lo, s0
	s_cbranch_execz .LBB139_371
; %bb.330:                              ;   in Loop: Header=BB139_201 Depth=1
	v_and_b32_e32 v1, 0x7fffffff, v2
	s_mov_b32 s0, exec_lo
	s_delay_alu instid0(VALU_DEP_1)
	v_cmpx_ne_u32_e32 0, v1
	s_xor_b32 s13, exec_lo, s0
	s_cbranch_execz .LBB139_360
; %bb.331:                              ;   in Loop: Header=BB139_201 Depth=1
	s_mov_b32 s0, exec_lo
	v_cmpx_gt_u32_e32 0x7f800000, v0
	s_xor_b32 s14, exec_lo, s0
	s_cbranch_execz .LBB139_353
; %bb.332:                              ;   in Loop: Header=BB139_201 Depth=1
	v_add_nc_u32_e32 v1, 0xbd4e8de8, v2
	s_mov_b32 s0, exec_lo
	s_delay_alu instid0(VALU_DEP_1)
	v_cmpx_lt_u32_e32 0x8e8e5c, v1
	s_xor_b32 s15, exec_lo, s0
	s_cbranch_execz .LBB139_342
; %bb.333:                              ;   in Loop: Header=BB139_201 Depth=1
	v_cmp_ngt_f32_e64 s16, 0x48000000, |v3|
                                        ; implicit-def: $vgpr10
                                        ; implicit-def: $vgpr1
	s_delay_alu instid0(VALU_DEP_1) | instskip(NEXT) | instid1(SALU_CYCLE_1)
	s_and_saveexec_b32 s0, s16
	s_xor_b32 s17, exec_lo, s0
	s_cbranch_execz .LBB139_335
; %bb.334:                              ;   in Loop: Header=BB139_201 Depth=1
	v_and_or_b32 v1, v0, s6, 0x800000
	s_delay_alu instid0(VALU_DEP_1) | instskip(NEXT) | instid1(VALU_DEP_1)
	v_mad_u64_u32 v[10:11], null, 0xfe5163ab, v1, 0
	v_mov_b32_e32 v12, v11
	v_lshrrev_b32_e32 v11, 23, v0
	s_delay_alu instid0(VALU_DEP_1) | instskip(NEXT) | instid1(VALU_DEP_3)
	v_add_nc_u32_e32 v11, 0xffffff88, v11
	v_mad_u64_u32 v[18:19], null, 0x3c439041, v1, v[12:13]
	s_delay_alu instid0(VALU_DEP_2) | instskip(SKIP_1) | instid1(VALU_DEP_1)
	v_cmp_lt_u32_e32 vcc_lo, 63, v11
	v_cndmask_b32_e64 v23, 0, 0xffffffc0, vcc_lo
	v_add_nc_u32_e32 v11, v23, v11
	s_delay_alu instid0(VALU_DEP_1) | instskip(NEXT) | instid1(VALU_DEP_1)
	v_cmp_lt_u32_e64 s0, 31, v11
	v_cndmask_b32_e64 v24, 0, 0xffffffe0, s0
	s_delay_alu instid0(VALU_DEP_1) | instskip(NEXT) | instid1(VALU_DEP_1)
	v_dual_mov_b32 v12, v19 :: v_dual_add_nc_u32 v11, v24, v11
	v_mad_u64_u32 v[19:20], null, 0xdb629599, v1, v[12:13]
	s_delay_alu instid0(VALU_DEP_2) | instskip(NEXT) | instid1(VALU_DEP_2)
	v_cmp_lt_u32_e64 s1, 31, v11
	v_mov_b32_e32 v12, v20
	s_delay_alu instid0(VALU_DEP_3) | instskip(NEXT) | instid1(VALU_DEP_2)
	v_cndmask_b32_e32 v10, v19, v10, vcc_lo
	v_mad_u64_u32 v[20:21], null, 0xf534ddc0, v1, v[12:13]
	s_delay_alu instid0(VALU_DEP_1) | instskip(NEXT) | instid1(VALU_DEP_1)
	v_mov_b32_e32 v12, v21
	v_mad_u64_u32 v[21:22], null, 0xfc2757d1, v1, v[12:13]
	s_delay_alu instid0(VALU_DEP_1) | instskip(NEXT) | instid1(VALU_DEP_1)
	v_mov_b32_e32 v12, v22
	;; [unrolled: 3-line block ×3, first 2 shown]
	v_mad_u64_u32 v[23:24], null, 0xa2f9836e, v1, v[12:13]
	v_cndmask_b32_e64 v1, 0, 0xffffffe0, s1
	s_delay_alu instid0(VALU_DEP_1) | instskip(NEXT) | instid1(VALU_DEP_3)
	v_dual_cndmask_b32 v12, v22, v20 :: v_dual_add_nc_u32 v1, v1, v11
	v_dual_cndmask_b32 v23, v23, v21 :: v_dual_cndmask_b32 v22, v24, v22
	v_cndmask_b32_e32 v21, v21, v19, vcc_lo
	v_cndmask_b32_e32 v11, v20, v18, vcc_lo
	s_delay_alu instid0(VALU_DEP_4) | instskip(NEXT) | instid1(VALU_DEP_4)
	v_cmp_eq_u32_e64 s2, 0, v1
	v_cndmask_b32_e64 v18, v23, v12, s0
	v_cndmask_b32_e64 v20, v22, v23, s0
	v_cndmask_b32_e64 v12, v12, v21, s0
	v_sub_nc_u32_e32 v22, 32, v1
	v_cndmask_b32_e64 v21, v21, v11, s0
	v_cndmask_b32_e64 v10, v11, v10, s0
	;; [unrolled: 1-line block ×4, first 2 shown]
	s_delay_alu instid0(VALU_DEP_4) | instskip(NEXT) | instid1(VALU_DEP_4)
	v_cndmask_b32_e64 v12, v12, v21, s1
	v_cndmask_b32_e64 v10, v21, v10, s1
	s_delay_alu instid0(VALU_DEP_3) | instskip(NEXT) | instid1(VALU_DEP_3)
	v_alignbit_b32 v23, v20, v18, v22
	v_alignbit_b32 v24, v18, v12, v22
	s_delay_alu instid0(VALU_DEP_3) | instskip(NEXT) | instid1(VALU_DEP_3)
	v_alignbit_b32 v22, v12, v10, v22
	v_cndmask_b32_e64 v1, v23, v20, s2
	s_delay_alu instid0(VALU_DEP_3) | instskip(NEXT) | instid1(VALU_DEP_3)
	v_cndmask_b32_e64 v18, v24, v18, s2
	v_cndmask_b32_e64 v12, v22, v12, s2
	s_delay_alu instid0(VALU_DEP_3) | instskip(NEXT) | instid1(VALU_DEP_3)
	v_bfe_u32 v19, v1, 29, 1
	v_alignbit_b32 v11, v1, v18, 30
	s_delay_alu instid0(VALU_DEP_3) | instskip(SKIP_1) | instid1(VALU_DEP_4)
	v_alignbit_b32 v18, v18, v12, 30
	v_alignbit_b32 v10, v12, v10, 30
	v_sub_nc_u32_e32 v20, 0, v19
	s_delay_alu instid0(VALU_DEP_1) | instskip(SKIP_3) | instid1(VALU_DEP_4)
	v_xor_b32_e32 v21, v11, v20
	v_cmp_ne_u32_e32 vcc_lo, v11, v20
	v_xor_b32_e32 v12, v18, v20
	v_xor_b32_e32 v10, v10, v20
	v_clz_i32_u32_e32 v23, v21
	s_delay_alu instid0(VALU_DEP_1) | instskip(NEXT) | instid1(VALU_DEP_1)
	v_add_nc_u32_e32 v22, 1, v23
	v_cndmask_b32_e32 v11, 33, v22, vcc_lo
	s_delay_alu instid0(VALU_DEP_1) | instskip(NEXT) | instid1(VALU_DEP_1)
	v_sub_nc_u32_e32 v18, 32, v11
	v_alignbit_b32 v20, v21, v12, v18
	v_alignbit_b32 v10, v12, v10, v18
	v_lshrrev_b32_e32 v12, 29, v1
	s_delay_alu instid0(VALU_DEP_2) | instskip(NEXT) | instid1(VALU_DEP_2)
	v_alignbit_b32 v18, v20, v10, 9
	v_lshlrev_b32_e32 v12, 31, v12
	v_alignbit_b32 v20, v11, v20, 9
	s_delay_alu instid0(VALU_DEP_3) | instskip(NEXT) | instid1(VALU_DEP_2)
	v_clz_i32_u32_e32 v21, v18
	v_or_b32_e32 v20, v20, v12
	v_or_b32_e32 v12, 0x33800000, v12
	s_delay_alu instid0(VALU_DEP_3) | instskip(NEXT) | instid1(VALU_DEP_3)
	v_min_u32_e32 v21, 32, v21
	v_xor_b32_e32 v20, 1.0, v20
	s_delay_alu instid0(VALU_DEP_2) | instskip(SKIP_1) | instid1(VALU_DEP_3)
	v_sub_nc_u32_e32 v22, 31, v21
	v_add_lshl_u32 v11, v21, v11, 23
	v_mul_f32_e32 v21, 0x3fc90fda, v20
	s_delay_alu instid0(VALU_DEP_3) | instskip(NEXT) | instid1(VALU_DEP_3)
	v_alignbit_b32 v10, v18, v10, v22
	v_sub_nc_u32_e32 v11, v12, v11
	s_delay_alu instid0(VALU_DEP_3) | instskip(NEXT) | instid1(VALU_DEP_3)
	v_fma_f32 v12, 0x3fc90fda, v20, -v21
	v_lshrrev_b32_e32 v10, 9, v10
	s_delay_alu instid0(VALU_DEP_2) | instskip(NEXT) | instid1(VALU_DEP_2)
	v_fmac_f32_e32 v12, 0x33a22168, v20
	v_or_b32_e32 v10, v11, v10
	s_delay_alu instid0(VALU_DEP_1) | instskip(SKIP_1) | instid1(VALU_DEP_1)
	v_fmac_f32_e32 v12, 0x3fc90fda, v10
	v_lshrrev_b32_e32 v10, 30, v1
	v_dual_add_f32 v1, v21, v12 :: v_dual_add_nc_u32 v10, v19, v10
	s_and_not1_saveexec_b32 s0, s17
	s_branch .LBB139_336
.LBB139_335:                            ;   in Loop: Header=BB139_201 Depth=1
	s_and_not1_saveexec_b32 s0, s17
.LBB139_336:                            ;   in Loop: Header=BB139_201 Depth=1
	v_mul_f32_e64 v1, 0x3f22f983, |v3|
	s_delay_alu instid0(VALU_DEP_1) | instskip(NEXT) | instid1(VALU_DEP_1)
	v_rndne_f32_e32 v10, v1
	v_fma_f32 v1, 0xbfc90fda, v10, |v3|
	s_delay_alu instid0(VALU_DEP_1) | instskip(NEXT) | instid1(VALU_DEP_1)
	v_fmac_f32_e32 v1, 0xb3a22168, v10
	v_fmac_f32_e32 v1, 0xa7c234c4, v10
	v_cvt_i32_f32_e32 v10, v10
; %bb.337:                              ;   in Loop: Header=BB139_201 Depth=1
	s_or_b32 exec_lo, exec_lo, s0
                                        ; implicit-def: $vgpr12
                                        ; implicit-def: $vgpr11
	s_and_saveexec_b32 s0, s16
	s_delay_alu instid0(SALU_CYCLE_1)
	s_xor_b32 s16, exec_lo, s0
	s_cbranch_execz .LBB139_339
; %bb.338:                              ;   in Loop: Header=BB139_201 Depth=1
	v_and_or_b32 v25, v0, s6, 0x800000
	v_lshrrev_b32_e32 v22, 23, v0
	s_delay_alu instid0(VALU_DEP_2) | instskip(NEXT) | instid1(VALU_DEP_2)
	v_mad_u64_u32 v[11:12], null, 0xfe5163ab, v25, 0
	v_add_nc_u32_e32 v23, 0xffffff88, v22
	s_delay_alu instid0(VALU_DEP_1) | instskip(NEXT) | instid1(VALU_DEP_3)
	v_cmp_lt_u32_e32 vcc_lo, 63, v23
	v_mad_u64_u32 v[18:19], null, 0x3c439041, v25, v[12:13]
	v_cndmask_b32_e64 v24, 0, 0xffffffc0, vcc_lo
	s_delay_alu instid0(VALU_DEP_2) | instskip(NEXT) | instid1(VALU_DEP_2)
	v_mov_b32_e32 v12, v19
	v_add_nc_u32_e32 v24, v24, v23
	s_delay_alu instid0(VALU_DEP_2) | instskip(NEXT) | instid1(VALU_DEP_2)
	v_mad_u64_u32 v[19:20], null, 0xdb629599, v25, v[12:13]
	v_cmp_lt_u32_e64 s0, 31, v24
	s_delay_alu instid0(VALU_DEP_1) | instskip(NEXT) | instid1(VALU_DEP_3)
	v_cndmask_b32_e64 v26, 0, 0xffffffe0, s0
	v_dual_mov_b32 v12, v20 :: v_dual_cndmask_b32 v11, v19, v11
	s_delay_alu instid0(VALU_DEP_2) | instskip(NEXT) | instid1(VALU_DEP_2)
	v_add_nc_u32_e32 v26, v26, v24
	v_mad_u64_u32 v[20:21], null, 0xf534ddc0, v25, v[12:13]
	s_delay_alu instid0(VALU_DEP_2) | instskip(NEXT) | instid1(VALU_DEP_2)
	v_cmp_lt_u32_e64 s1, 31, v26
	v_mov_b32_e32 v12, v21
	s_delay_alu instid0(VALU_DEP_3) | instskip(NEXT) | instid1(VALU_DEP_2)
	v_cndmask_b32_e32 v18, v20, v18, vcc_lo
	v_mad_u64_u32 v[21:22], null, 0xfc2757d1, v25, v[12:13]
	s_delay_alu instid0(VALU_DEP_2) | instskip(NEXT) | instid1(VALU_DEP_2)
	v_cndmask_b32_e64 v11, v18, v11, s0
	v_mov_b32_e32 v12, v22
	s_delay_alu instid0(VALU_DEP_1) | instskip(NEXT) | instid1(VALU_DEP_1)
	v_mad_u64_u32 v[22:23], null, 0x4e441529, v25, v[12:13]
	v_mov_b32_e32 v12, v23
	s_delay_alu instid0(VALU_DEP_1) | instskip(SKIP_1) | instid1(VALU_DEP_1)
	v_mad_u64_u32 v[23:24], null, 0xa2f9836e, v25, v[12:13]
	v_cndmask_b32_e64 v12, 0, 0xffffffe0, s1
	v_dual_cndmask_b32 v25, v22, v20 :: v_dual_add_nc_u32 v12, v12, v26
	s_delay_alu instid0(VALU_DEP_3) | instskip(SKIP_1) | instid1(VALU_DEP_3)
	v_dual_cndmask_b32 v23, v23, v21 :: v_dual_cndmask_b32 v22, v24, v22
	v_cndmask_b32_e32 v21, v21, v19, vcc_lo
	v_sub_nc_u32_e32 v24, 32, v12
	s_delay_alu instid0(VALU_DEP_3) | instskip(NEXT) | instid1(VALU_DEP_4)
	v_cndmask_b32_e64 v20, v23, v25, s0
	v_cndmask_b32_e64 v22, v22, v23, s0
	s_delay_alu instid0(VALU_DEP_4) | instskip(SKIP_2) | instid1(VALU_DEP_4)
	v_cndmask_b32_e64 v23, v25, v21, s0
	v_cndmask_b32_e64 v21, v21, v18, s0
	v_cmp_eq_u32_e64 s2, 0, v12
	v_cndmask_b32_e64 v22, v22, v20, s1
	s_delay_alu instid0(VALU_DEP_4) | instskip(NEXT) | instid1(VALU_DEP_4)
	v_cndmask_b32_e64 v20, v20, v23, s1
	v_cndmask_b32_e64 v23, v23, v21, s1
	;; [unrolled: 1-line block ×3, first 2 shown]
	s_delay_alu instid0(VALU_DEP_3) | instskip(NEXT) | instid1(VALU_DEP_3)
	v_alignbit_b32 v25, v22, v20, v24
	v_alignbit_b32 v26, v20, v23, v24
	s_delay_alu instid0(VALU_DEP_3) | instskip(NEXT) | instid1(VALU_DEP_3)
	v_alignbit_b32 v24, v23, v11, v24
	v_cndmask_b32_e64 v12, v25, v22, s2
	s_delay_alu instid0(VALU_DEP_3) | instskip(NEXT) | instid1(VALU_DEP_3)
	v_cndmask_b32_e64 v19, v26, v20, s2
	v_cndmask_b32_e64 v23, v24, v23, s2
	s_delay_alu instid0(VALU_DEP_3) | instskip(NEXT) | instid1(VALU_DEP_3)
	v_bfe_u32 v20, v12, 29, 1
	v_alignbit_b32 v18, v12, v19, 30
	s_delay_alu instid0(VALU_DEP_3) | instskip(SKIP_1) | instid1(VALU_DEP_4)
	v_alignbit_b32 v19, v19, v23, 30
	v_alignbit_b32 v11, v23, v11, 30
	v_sub_nc_u32_e32 v22, 0, v20
	s_delay_alu instid0(VALU_DEP_1) | instskip(SKIP_3) | instid1(VALU_DEP_4)
	v_xor_b32_e32 v21, v18, v22
	v_cmp_ne_u32_e32 vcc_lo, v18, v22
	v_xor_b32_e32 v19, v19, v22
	v_xor_b32_e32 v11, v11, v22
	v_clz_i32_u32_e32 v25, v21
	s_delay_alu instid0(VALU_DEP_1) | instskip(NEXT) | instid1(VALU_DEP_1)
	v_add_nc_u32_e32 v24, 1, v25
	v_cndmask_b32_e32 v18, 33, v24, vcc_lo
	s_delay_alu instid0(VALU_DEP_1) | instskip(NEXT) | instid1(VALU_DEP_1)
	v_sub_nc_u32_e32 v23, 32, v18
	v_alignbit_b32 v21, v21, v19, v23
	v_alignbit_b32 v11, v19, v11, v23
	v_lshrrev_b32_e32 v19, 29, v12
	v_lshrrev_b32_e32 v12, 30, v12
	s_delay_alu instid0(VALU_DEP_3) | instskip(NEXT) | instid1(VALU_DEP_3)
	v_alignbit_b32 v22, v21, v11, 9
	v_lshlrev_b32_e32 v19, 31, v19
	v_alignbit_b32 v21, v18, v21, 9
	s_delay_alu instid0(VALU_DEP_4) | instskip(NEXT) | instid1(VALU_DEP_4)
	v_add_nc_u32_e32 v12, v20, v12
	v_clz_i32_u32_e32 v23, v22
	s_delay_alu instid0(VALU_DEP_3) | instskip(SKIP_1) | instid1(VALU_DEP_3)
	v_or_b32_e32 v21, v21, v19
	v_or_b32_e32 v19, 0x33800000, v19
	v_min_u32_e32 v23, 32, v23
	s_delay_alu instid0(VALU_DEP_3) | instskip(NEXT) | instid1(VALU_DEP_2)
	v_xor_b32_e32 v21, 1.0, v21
	v_sub_nc_u32_e32 v24, 31, v23
	v_add_lshl_u32 v18, v23, v18, 23
	s_delay_alu instid0(VALU_DEP_3) | instskip(NEXT) | instid1(VALU_DEP_3)
	v_mul_f32_e32 v23, 0x3fc90fda, v21
	v_alignbit_b32 v11, v22, v11, v24
	s_delay_alu instid0(VALU_DEP_3) | instskip(NEXT) | instid1(VALU_DEP_3)
	v_sub_nc_u32_e32 v18, v19, v18
	v_fma_f32 v19, 0x3fc90fda, v21, -v23
	s_delay_alu instid0(VALU_DEP_3) | instskip(NEXT) | instid1(VALU_DEP_2)
	v_lshrrev_b32_e32 v11, 9, v11
	v_fmac_f32_e32 v19, 0x33a22168, v21
	s_delay_alu instid0(VALU_DEP_2) | instskip(NEXT) | instid1(VALU_DEP_1)
	v_or_b32_e32 v11, v18, v11
	v_fmac_f32_e32 v19, 0x3fc90fda, v11
	s_delay_alu instid0(VALU_DEP_1)
	v_add_f32_e32 v11, v23, v19
	s_and_not1_saveexec_b32 s0, s16
	s_cbranch_execnz .LBB139_340
	s_branch .LBB139_341
.LBB139_339:                            ;   in Loop: Header=BB139_201 Depth=1
	s_and_not1_saveexec_b32 s0, s16
.LBB139_340:                            ;   in Loop: Header=BB139_201 Depth=1
	v_mul_f32_e64 v11, 0x3f22f983, |v3|
	s_delay_alu instid0(VALU_DEP_1) | instskip(NEXT) | instid1(VALU_DEP_1)
	v_rndne_f32_e32 v12, v11
	v_fma_f32 v11, 0xbfc90fda, v12, |v3|
	s_delay_alu instid0(VALU_DEP_1) | instskip(NEXT) | instid1(VALU_DEP_1)
	v_fmac_f32_e32 v11, 0xb3a22168, v12
	v_fmac_f32_e32 v11, 0xa7c234c4, v12
	v_cvt_i32_f32_e32 v12, v12
.LBB139_341:                            ;   in Loop: Header=BB139_201 Depth=1
	s_or_b32 exec_lo, exec_lo, s0
	v_dual_mul_f32 v18, 0x3fb8aa3b, v2 :: v_dual_mul_f32 v19, v1, v1
	s_delay_alu instid0(VALU_DEP_2) | instskip(SKIP_1) | instid1(VALU_DEP_3)
	v_dual_mul_f32 v23, v11, v11 :: v_dual_and_b32 v20, 1, v10
	v_lshlrev_b32_e32 v10, 30, v10
	v_rndne_f32_e32 v21, v18
	s_delay_alu instid0(VALU_DEP_4) | instskip(SKIP_4) | instid1(VALU_DEP_4)
	v_fmaak_f32 v25, s7, v19, 0x3c0881c4
	v_fma_f32 v22, 0x3fb8aa3b, v2, -v18
	v_fmaak_f32 v28, s8, v23, 0xbab64f3b
	v_dual_fmaak_f32 v27, s7, v23, 0x3c0881c4 :: v_dual_and_b32 v24, 1, v12
	v_sub_f32_e32 v18, v18, v21
	v_fmac_f32_e32 v22, 0x32a5705f, v2
	v_cmp_eq_u32_e32 vcc_lo, 0, v20
	v_cvt_i32_f32_e32 v21, v21
	v_and_b32_e32 v10, 0x80000000, v10
	v_cmp_nlt_f32_e64 s0, 0x42b17218, v2
	v_add_f32_e32 v18, v18, v22
	v_fmaak_f32 v22, v19, v25, 0xbe2aaa9d
	s_delay_alu instid0(VALU_DEP_1) | instskip(NEXT) | instid1(VALU_DEP_1)
	v_mul_f32_e32 v22, v19, v22
	v_dual_fmaak_f32 v26, s8, v19, 0xbab64f3b :: v_dual_fmac_f32 v1, v1, v22
	s_delay_alu instid0(VALU_DEP_1) | instskip(SKIP_1) | instid1(VALU_DEP_2)
	v_dual_fmaak_f32 v25, v19, v26, 0x3d2aabf7 :: v_dual_lshlrev_b32 v12, 30, v12
	v_fmaak_f32 v26, v23, v27, 0xbe2aaa9d
	v_and_or_b32 v0, 0x80000000, v12, v0
	s_delay_alu instid0(VALU_DEP_3) | instskip(SKIP_1) | instid1(VALU_DEP_1)
	v_fmaak_f32 v25, v19, v25, 0xbf000004
	v_exp_f32_e32 v18, v18
	v_fma_f32 v19, v19, v25, 1.0
	s_delay_alu instid0(VALU_DEP_1)
	v_cndmask_b32_e64 v1, -v1, v19, vcc_lo
	v_cmp_eq_u32_e32 vcc_lo, 0, v24
	v_mul_f32_e32 v26, v23, v26
	s_waitcnt_depctr 0xfff
	v_ldexp_f32 v18, v18, v21
	v_xor_b32_e32 v1, v10, v1
	v_fmac_f32_e32 v11, v11, v26
	v_fmaak_f32 v27, v23, v28, 0x3d2aabf7
	s_delay_alu instid0(VALU_DEP_1) | instskip(NEXT) | instid1(VALU_DEP_1)
	v_fmaak_f32 v27, v23, v27, 0xbf000004
	v_fma_f32 v22, v23, v27, 1.0
	s_delay_alu instid0(VALU_DEP_1) | instskip(SKIP_1) | instid1(VALU_DEP_2)
	v_cndmask_b32_e32 v11, v22, v11, vcc_lo
	v_cmp_ngt_f32_e32 vcc_lo, 0xc2ce8ed0, v2
	v_xor3_b32 v0, v0, v11, v3
	v_cndmask_b32_e32 v12, 0, v18, vcc_lo
	v_cmp_class_f32_e64 vcc_lo, v3, 0x1f8
	s_delay_alu instid0(VALU_DEP_2) | instskip(SKIP_2) | instid1(VALU_DEP_2)
	v_cndmask_b32_e64 v2, 0x7f800000, v12, s0
	v_cndmask_b32_e32 v1, 0x7fc00000, v1, vcc_lo
	v_cndmask_b32_e32 v0, 0x7fc00000, v0, vcc_lo
	v_mul_f32_e32 v10, v2, v1
	s_delay_alu instid0(VALU_DEP_2)
	v_mul_f32_e32 v11, v2, v0
                                        ; implicit-def: $vgpr0_vgpr1_vgpr2_vgpr3
                                        ; implicit-def: $vgpr0
.LBB139_342:                            ;   in Loop: Header=BB139_201 Depth=1
	s_and_not1_saveexec_b32 s15, s15
	s_cbranch_execz .LBB139_352
; %bb.343:                              ;   in Loop: Header=BB139_201 Depth=1
	v_cmp_ngt_f32_e64 s16, 0x48000000, |v3|
                                        ; implicit-def: $vgpr10
                                        ; implicit-def: $vgpr1
	s_delay_alu instid0(VALU_DEP_1) | instskip(NEXT) | instid1(SALU_CYCLE_1)
	s_and_saveexec_b32 s0, s16
	s_xor_b32 s17, exec_lo, s0
	s_cbranch_execz .LBB139_345
; %bb.344:                              ;   in Loop: Header=BB139_201 Depth=1
	v_and_or_b32 v1, v0, s6, 0x800000
	s_delay_alu instid0(VALU_DEP_1) | instskip(NEXT) | instid1(VALU_DEP_1)
	v_mad_u64_u32 v[10:11], null, 0xfe5163ab, v1, 0
	v_mov_b32_e32 v12, v11
	v_lshrrev_b32_e32 v11, 23, v0
	s_delay_alu instid0(VALU_DEP_1) | instskip(NEXT) | instid1(VALU_DEP_3)
	v_add_nc_u32_e32 v11, 0xffffff88, v11
	v_mad_u64_u32 v[18:19], null, 0x3c439041, v1, v[12:13]
	s_delay_alu instid0(VALU_DEP_2) | instskip(SKIP_1) | instid1(VALU_DEP_1)
	v_cmp_lt_u32_e32 vcc_lo, 63, v11
	v_cndmask_b32_e64 v23, 0, 0xffffffc0, vcc_lo
	v_add_nc_u32_e32 v11, v23, v11
	s_delay_alu instid0(VALU_DEP_1) | instskip(NEXT) | instid1(VALU_DEP_1)
	v_cmp_lt_u32_e64 s0, 31, v11
	v_cndmask_b32_e64 v24, 0, 0xffffffe0, s0
	s_delay_alu instid0(VALU_DEP_1) | instskip(NEXT) | instid1(VALU_DEP_1)
	v_dual_mov_b32 v12, v19 :: v_dual_add_nc_u32 v11, v24, v11
	v_mad_u64_u32 v[19:20], null, 0xdb629599, v1, v[12:13]
	s_delay_alu instid0(VALU_DEP_2) | instskip(NEXT) | instid1(VALU_DEP_2)
	v_cmp_lt_u32_e64 s1, 31, v11
	v_mov_b32_e32 v12, v20
	s_delay_alu instid0(VALU_DEP_3) | instskip(NEXT) | instid1(VALU_DEP_2)
	v_cndmask_b32_e32 v10, v19, v10, vcc_lo
	v_mad_u64_u32 v[20:21], null, 0xf534ddc0, v1, v[12:13]
	s_delay_alu instid0(VALU_DEP_1) | instskip(NEXT) | instid1(VALU_DEP_1)
	v_mov_b32_e32 v12, v21
	v_mad_u64_u32 v[21:22], null, 0xfc2757d1, v1, v[12:13]
	s_delay_alu instid0(VALU_DEP_1) | instskip(NEXT) | instid1(VALU_DEP_1)
	v_mov_b32_e32 v12, v22
	;; [unrolled: 3-line block ×3, first 2 shown]
	v_mad_u64_u32 v[23:24], null, 0xa2f9836e, v1, v[12:13]
	v_cndmask_b32_e64 v1, 0, 0xffffffe0, s1
	s_delay_alu instid0(VALU_DEP_1) | instskip(NEXT) | instid1(VALU_DEP_3)
	v_dual_cndmask_b32 v12, v22, v20 :: v_dual_add_nc_u32 v1, v1, v11
	v_dual_cndmask_b32 v23, v23, v21 :: v_dual_cndmask_b32 v22, v24, v22
	v_cndmask_b32_e32 v21, v21, v19, vcc_lo
	v_cndmask_b32_e32 v11, v20, v18, vcc_lo
	s_delay_alu instid0(VALU_DEP_4) | instskip(NEXT) | instid1(VALU_DEP_4)
	v_cmp_eq_u32_e64 s2, 0, v1
	v_cndmask_b32_e64 v18, v23, v12, s0
	v_cndmask_b32_e64 v20, v22, v23, s0
	;; [unrolled: 1-line block ×3, first 2 shown]
	v_sub_nc_u32_e32 v22, 32, v1
	v_cndmask_b32_e64 v21, v21, v11, s0
	v_cndmask_b32_e64 v10, v11, v10, s0
	;; [unrolled: 1-line block ×4, first 2 shown]
	s_delay_alu instid0(VALU_DEP_4) | instskip(NEXT) | instid1(VALU_DEP_4)
	v_cndmask_b32_e64 v12, v12, v21, s1
	v_cndmask_b32_e64 v10, v21, v10, s1
	s_delay_alu instid0(VALU_DEP_3) | instskip(NEXT) | instid1(VALU_DEP_3)
	v_alignbit_b32 v23, v20, v18, v22
	v_alignbit_b32 v24, v18, v12, v22
	s_delay_alu instid0(VALU_DEP_3) | instskip(NEXT) | instid1(VALU_DEP_3)
	v_alignbit_b32 v22, v12, v10, v22
	v_cndmask_b32_e64 v1, v23, v20, s2
	s_delay_alu instid0(VALU_DEP_3) | instskip(NEXT) | instid1(VALU_DEP_3)
	v_cndmask_b32_e64 v18, v24, v18, s2
	v_cndmask_b32_e64 v12, v22, v12, s2
	s_delay_alu instid0(VALU_DEP_3) | instskip(NEXT) | instid1(VALU_DEP_3)
	v_bfe_u32 v19, v1, 29, 1
	v_alignbit_b32 v11, v1, v18, 30
	s_delay_alu instid0(VALU_DEP_3) | instskip(SKIP_1) | instid1(VALU_DEP_4)
	v_alignbit_b32 v18, v18, v12, 30
	v_alignbit_b32 v10, v12, v10, 30
	v_sub_nc_u32_e32 v20, 0, v19
	s_delay_alu instid0(VALU_DEP_1) | instskip(SKIP_3) | instid1(VALU_DEP_4)
	v_xor_b32_e32 v21, v11, v20
	v_cmp_ne_u32_e32 vcc_lo, v11, v20
	v_xor_b32_e32 v12, v18, v20
	v_xor_b32_e32 v10, v10, v20
	v_clz_i32_u32_e32 v23, v21
	s_delay_alu instid0(VALU_DEP_1) | instskip(NEXT) | instid1(VALU_DEP_1)
	v_add_nc_u32_e32 v22, 1, v23
	v_cndmask_b32_e32 v11, 33, v22, vcc_lo
	s_delay_alu instid0(VALU_DEP_1) | instskip(NEXT) | instid1(VALU_DEP_1)
	v_sub_nc_u32_e32 v18, 32, v11
	v_alignbit_b32 v20, v21, v12, v18
	v_alignbit_b32 v10, v12, v10, v18
	v_lshrrev_b32_e32 v12, 29, v1
	s_delay_alu instid0(VALU_DEP_2) | instskip(NEXT) | instid1(VALU_DEP_2)
	v_alignbit_b32 v18, v20, v10, 9
	v_lshlrev_b32_e32 v12, 31, v12
	v_alignbit_b32 v20, v11, v20, 9
	s_delay_alu instid0(VALU_DEP_3) | instskip(NEXT) | instid1(VALU_DEP_2)
	v_clz_i32_u32_e32 v21, v18
	v_or_b32_e32 v20, v20, v12
	v_or_b32_e32 v12, 0x33800000, v12
	s_delay_alu instid0(VALU_DEP_3) | instskip(NEXT) | instid1(VALU_DEP_3)
	v_min_u32_e32 v21, 32, v21
	v_xor_b32_e32 v20, 1.0, v20
	s_delay_alu instid0(VALU_DEP_2) | instskip(SKIP_1) | instid1(VALU_DEP_3)
	v_sub_nc_u32_e32 v22, 31, v21
	v_add_lshl_u32 v11, v21, v11, 23
	v_mul_f32_e32 v21, 0x3fc90fda, v20
	s_delay_alu instid0(VALU_DEP_3) | instskip(NEXT) | instid1(VALU_DEP_3)
	v_alignbit_b32 v10, v18, v10, v22
	v_sub_nc_u32_e32 v11, v12, v11
	s_delay_alu instid0(VALU_DEP_3) | instskip(NEXT) | instid1(VALU_DEP_3)
	v_fma_f32 v12, 0x3fc90fda, v20, -v21
	v_lshrrev_b32_e32 v10, 9, v10
	s_delay_alu instid0(VALU_DEP_2) | instskip(NEXT) | instid1(VALU_DEP_2)
	v_fmac_f32_e32 v12, 0x33a22168, v20
	v_or_b32_e32 v10, v11, v10
	s_delay_alu instid0(VALU_DEP_1) | instskip(SKIP_1) | instid1(VALU_DEP_1)
	v_fmac_f32_e32 v12, 0x3fc90fda, v10
	v_lshrrev_b32_e32 v10, 30, v1
	v_dual_add_f32 v1, v21, v12 :: v_dual_add_nc_u32 v10, v19, v10
	s_and_not1_saveexec_b32 s0, s17
	s_branch .LBB139_346
.LBB139_345:                            ;   in Loop: Header=BB139_201 Depth=1
	s_and_not1_saveexec_b32 s0, s17
.LBB139_346:                            ;   in Loop: Header=BB139_201 Depth=1
	v_mul_f32_e64 v1, 0x3f22f983, |v3|
	s_delay_alu instid0(VALU_DEP_1) | instskip(NEXT) | instid1(VALU_DEP_1)
	v_rndne_f32_e32 v10, v1
	v_fma_f32 v1, 0xbfc90fda, v10, |v3|
	s_delay_alu instid0(VALU_DEP_1) | instskip(NEXT) | instid1(VALU_DEP_1)
	v_fmac_f32_e32 v1, 0xb3a22168, v10
	v_fmac_f32_e32 v1, 0xa7c234c4, v10
	v_cvt_i32_f32_e32 v10, v10
; %bb.347:                              ;   in Loop: Header=BB139_201 Depth=1
	s_or_b32 exec_lo, exec_lo, s0
                                        ; implicit-def: $vgpr12
                                        ; implicit-def: $vgpr11
	s_and_saveexec_b32 s0, s16
	s_delay_alu instid0(SALU_CYCLE_1)
	s_xor_b32 s16, exec_lo, s0
	s_cbranch_execz .LBB139_349
; %bb.348:                              ;   in Loop: Header=BB139_201 Depth=1
	v_and_or_b32 v25, v0, s6, 0x800000
	v_lshrrev_b32_e32 v22, 23, v0
	s_delay_alu instid0(VALU_DEP_2) | instskip(NEXT) | instid1(VALU_DEP_2)
	v_mad_u64_u32 v[11:12], null, 0xfe5163ab, v25, 0
	v_add_nc_u32_e32 v23, 0xffffff88, v22
	s_delay_alu instid0(VALU_DEP_1) | instskip(NEXT) | instid1(VALU_DEP_3)
	v_cmp_lt_u32_e32 vcc_lo, 63, v23
	v_mad_u64_u32 v[18:19], null, 0x3c439041, v25, v[12:13]
	v_cndmask_b32_e64 v24, 0, 0xffffffc0, vcc_lo
	s_delay_alu instid0(VALU_DEP_2) | instskip(NEXT) | instid1(VALU_DEP_2)
	v_mov_b32_e32 v12, v19
	v_add_nc_u32_e32 v24, v24, v23
	s_delay_alu instid0(VALU_DEP_2) | instskip(NEXT) | instid1(VALU_DEP_2)
	v_mad_u64_u32 v[19:20], null, 0xdb629599, v25, v[12:13]
	v_cmp_lt_u32_e64 s0, 31, v24
	s_delay_alu instid0(VALU_DEP_1) | instskip(NEXT) | instid1(VALU_DEP_3)
	v_cndmask_b32_e64 v26, 0, 0xffffffe0, s0
	v_dual_mov_b32 v12, v20 :: v_dual_cndmask_b32 v11, v19, v11
	s_delay_alu instid0(VALU_DEP_2) | instskip(NEXT) | instid1(VALU_DEP_2)
	v_add_nc_u32_e32 v26, v26, v24
	v_mad_u64_u32 v[20:21], null, 0xf534ddc0, v25, v[12:13]
	s_delay_alu instid0(VALU_DEP_2) | instskip(NEXT) | instid1(VALU_DEP_2)
	v_cmp_lt_u32_e64 s1, 31, v26
	v_mov_b32_e32 v12, v21
	s_delay_alu instid0(VALU_DEP_3) | instskip(NEXT) | instid1(VALU_DEP_2)
	v_cndmask_b32_e32 v18, v20, v18, vcc_lo
	v_mad_u64_u32 v[21:22], null, 0xfc2757d1, v25, v[12:13]
	s_delay_alu instid0(VALU_DEP_2) | instskip(NEXT) | instid1(VALU_DEP_2)
	v_cndmask_b32_e64 v11, v18, v11, s0
	v_mov_b32_e32 v12, v22
	s_delay_alu instid0(VALU_DEP_1) | instskip(NEXT) | instid1(VALU_DEP_1)
	v_mad_u64_u32 v[22:23], null, 0x4e441529, v25, v[12:13]
	v_mov_b32_e32 v12, v23
	s_delay_alu instid0(VALU_DEP_1) | instskip(SKIP_1) | instid1(VALU_DEP_1)
	v_mad_u64_u32 v[23:24], null, 0xa2f9836e, v25, v[12:13]
	v_cndmask_b32_e64 v12, 0, 0xffffffe0, s1
	v_dual_cndmask_b32 v25, v22, v20 :: v_dual_add_nc_u32 v12, v12, v26
	s_delay_alu instid0(VALU_DEP_3) | instskip(SKIP_1) | instid1(VALU_DEP_3)
	v_dual_cndmask_b32 v23, v23, v21 :: v_dual_cndmask_b32 v22, v24, v22
	v_cndmask_b32_e32 v21, v21, v19, vcc_lo
	v_sub_nc_u32_e32 v24, 32, v12
	s_delay_alu instid0(VALU_DEP_3) | instskip(NEXT) | instid1(VALU_DEP_4)
	v_cndmask_b32_e64 v20, v23, v25, s0
	v_cndmask_b32_e64 v22, v22, v23, s0
	s_delay_alu instid0(VALU_DEP_4) | instskip(SKIP_2) | instid1(VALU_DEP_4)
	v_cndmask_b32_e64 v23, v25, v21, s0
	v_cndmask_b32_e64 v21, v21, v18, s0
	v_cmp_eq_u32_e64 s2, 0, v12
	v_cndmask_b32_e64 v22, v22, v20, s1
	s_delay_alu instid0(VALU_DEP_4) | instskip(NEXT) | instid1(VALU_DEP_4)
	v_cndmask_b32_e64 v20, v20, v23, s1
	v_cndmask_b32_e64 v23, v23, v21, s1
	;; [unrolled: 1-line block ×3, first 2 shown]
	s_delay_alu instid0(VALU_DEP_3) | instskip(NEXT) | instid1(VALU_DEP_3)
	v_alignbit_b32 v25, v22, v20, v24
	v_alignbit_b32 v26, v20, v23, v24
	s_delay_alu instid0(VALU_DEP_3) | instskip(NEXT) | instid1(VALU_DEP_3)
	v_alignbit_b32 v24, v23, v11, v24
	v_cndmask_b32_e64 v12, v25, v22, s2
	s_delay_alu instid0(VALU_DEP_3) | instskip(NEXT) | instid1(VALU_DEP_3)
	v_cndmask_b32_e64 v19, v26, v20, s2
	v_cndmask_b32_e64 v23, v24, v23, s2
	s_delay_alu instid0(VALU_DEP_3) | instskip(NEXT) | instid1(VALU_DEP_3)
	v_bfe_u32 v20, v12, 29, 1
	v_alignbit_b32 v18, v12, v19, 30
	s_delay_alu instid0(VALU_DEP_3) | instskip(SKIP_1) | instid1(VALU_DEP_4)
	v_alignbit_b32 v19, v19, v23, 30
	v_alignbit_b32 v11, v23, v11, 30
	v_sub_nc_u32_e32 v22, 0, v20
	s_delay_alu instid0(VALU_DEP_1) | instskip(SKIP_3) | instid1(VALU_DEP_4)
	v_xor_b32_e32 v21, v18, v22
	v_cmp_ne_u32_e32 vcc_lo, v18, v22
	v_xor_b32_e32 v19, v19, v22
	v_xor_b32_e32 v11, v11, v22
	v_clz_i32_u32_e32 v25, v21
	s_delay_alu instid0(VALU_DEP_1) | instskip(NEXT) | instid1(VALU_DEP_1)
	v_add_nc_u32_e32 v24, 1, v25
	v_cndmask_b32_e32 v18, 33, v24, vcc_lo
	s_delay_alu instid0(VALU_DEP_1) | instskip(NEXT) | instid1(VALU_DEP_1)
	v_sub_nc_u32_e32 v23, 32, v18
	v_alignbit_b32 v21, v21, v19, v23
	v_alignbit_b32 v11, v19, v11, v23
	v_lshrrev_b32_e32 v19, 29, v12
	v_lshrrev_b32_e32 v12, 30, v12
	s_delay_alu instid0(VALU_DEP_3) | instskip(NEXT) | instid1(VALU_DEP_3)
	v_alignbit_b32 v22, v21, v11, 9
	v_lshlrev_b32_e32 v19, 31, v19
	v_alignbit_b32 v21, v18, v21, 9
	s_delay_alu instid0(VALU_DEP_4) | instskip(NEXT) | instid1(VALU_DEP_4)
	v_add_nc_u32_e32 v12, v20, v12
	v_clz_i32_u32_e32 v23, v22
	s_delay_alu instid0(VALU_DEP_3) | instskip(SKIP_1) | instid1(VALU_DEP_3)
	v_or_b32_e32 v21, v21, v19
	v_or_b32_e32 v19, 0x33800000, v19
	v_min_u32_e32 v23, 32, v23
	s_delay_alu instid0(VALU_DEP_3) | instskip(NEXT) | instid1(VALU_DEP_2)
	v_xor_b32_e32 v21, 1.0, v21
	v_sub_nc_u32_e32 v24, 31, v23
	v_add_lshl_u32 v18, v23, v18, 23
	s_delay_alu instid0(VALU_DEP_3) | instskip(NEXT) | instid1(VALU_DEP_3)
	v_mul_f32_e32 v23, 0x3fc90fda, v21
	v_alignbit_b32 v11, v22, v11, v24
	s_delay_alu instid0(VALU_DEP_3) | instskip(NEXT) | instid1(VALU_DEP_3)
	v_sub_nc_u32_e32 v18, v19, v18
	v_fma_f32 v19, 0x3fc90fda, v21, -v23
	s_delay_alu instid0(VALU_DEP_3) | instskip(NEXT) | instid1(VALU_DEP_2)
	v_lshrrev_b32_e32 v11, 9, v11
	v_fmac_f32_e32 v19, 0x33a22168, v21
	s_delay_alu instid0(VALU_DEP_2) | instskip(NEXT) | instid1(VALU_DEP_1)
	v_or_b32_e32 v11, v18, v11
	v_fmac_f32_e32 v19, 0x3fc90fda, v11
	s_delay_alu instid0(VALU_DEP_1)
	v_add_f32_e32 v11, v23, v19
	s_and_not1_saveexec_b32 s0, s16
	s_cbranch_execnz .LBB139_350
	s_branch .LBB139_351
.LBB139_349:                            ;   in Loop: Header=BB139_201 Depth=1
	s_and_not1_saveexec_b32 s0, s16
.LBB139_350:                            ;   in Loop: Header=BB139_201 Depth=1
	v_mul_f32_e64 v11, 0x3f22f983, |v3|
	s_delay_alu instid0(VALU_DEP_1) | instskip(NEXT) | instid1(VALU_DEP_1)
	v_rndne_f32_e32 v12, v11
	v_fma_f32 v11, 0xbfc90fda, v12, |v3|
	s_delay_alu instid0(VALU_DEP_1) | instskip(NEXT) | instid1(VALU_DEP_1)
	v_fmac_f32_e32 v11, 0xb3a22168, v12
	v_fmac_f32_e32 v11, 0xa7c234c4, v12
	v_cvt_i32_f32_e32 v12, v12
.LBB139_351:                            ;   in Loop: Header=BB139_201 Depth=1
	s_or_b32 exec_lo, exec_lo, s0
	v_dual_add_f32 v2, 0xc322e3bc, v2 :: v_dual_mul_f32 v21, v1, v1
	s_delay_alu instid0(VALU_DEP_2) | instskip(NEXT) | instid1(VALU_DEP_2)
	v_mul_f32_e32 v22, v11, v11
	v_mul_f32_e32 v18, 0x3fb8aa3b, v2
	v_cmp_ngt_f32_e32 vcc_lo, 0xc2ce8ed0, v2
	s_delay_alu instid0(VALU_DEP_4) | instskip(SKIP_4) | instid1(VALU_DEP_3)
	v_fmaak_f32 v24, s7, v21, 0x3c0881c4
	v_fmaak_f32 v23, s8, v21, 0xbab64f3b
	;; [unrolled: 1-line block ×3, first 2 shown]
	v_fma_f32 v19, 0x3fb8aa3b, v2, -v18
	v_rndne_f32_e32 v20, v18
	v_fmaak_f32 v25, v22, v25, 0xbe2aaa9d
	s_delay_alu instid0(VALU_DEP_2) | instskip(NEXT) | instid1(VALU_DEP_2)
	v_dual_fmac_f32 v19, 0x32a5705f, v2 :: v_dual_sub_f32 v18, v18, v20
	v_mul_f32_e32 v25, v22, v25
	s_delay_alu instid0(VALU_DEP_2) | instskip(SKIP_2) | instid1(VALU_DEP_4)
	v_add_f32_e32 v18, v18, v19
	v_cvt_i32_f32_e32 v19, v20
	v_lshlrev_b32_e32 v20, 30, v10
	v_dual_fmac_f32 v11, v11, v25 :: v_dual_and_b32 v10, 1, v10
	s_delay_alu instid0(VALU_DEP_4) | instskip(SKIP_4) | instid1(VALU_DEP_3)
	v_exp_f32_e32 v18, v18
	s_waitcnt_depctr 0xfff
	v_ldexp_f32 v18, v18, v19
	v_and_b32_e32 v19, 1, v12
	v_lshlrev_b32_e32 v12, 30, v12
	v_cndmask_b32_e32 v18, 0, v18, vcc_lo
	v_cmp_nlt_f32_e32 vcc_lo, 0x42b17218, v2
	s_delay_alu instid0(VALU_DEP_3)
	v_and_or_b32 v0, 0x80000000, v12, v0
	v_fmaak_f32 v12, v21, v23, 0x3d2aabf7
	v_fmaak_f32 v23, v21, v24, 0xbe2aaa9d
	v_and_b32_e32 v20, 0x80000000, v20
	v_cndmask_b32_e32 v2, 0x7f800000, v18, vcc_lo
	v_fmaak_f32 v18, s8, v22, 0xbab64f3b
	v_cmp_eq_u32_e32 vcc_lo, 0, v10
	v_mul_f32_e32 v23, v21, v23
	s_delay_alu instid0(VALU_DEP_4) | instskip(NEXT) | instid1(VALU_DEP_4)
	v_lshrrev_b32_e32 v24, 23, v2
	v_fmaak_f32 v18, v22, v18, 0x3d2aabf7
	v_and_or_b32 v2, 0x7fffff, v2, s9
	s_delay_alu instid0(VALU_DEP_4) | instskip(NEXT) | instid1(VALU_DEP_4)
	v_fmac_f32_e32 v1, v1, v23
	v_subrev_nc_u32_e32 v24, 19, v24
	s_delay_alu instid0(VALU_DEP_4) | instskip(NEXT) | instid1(VALU_DEP_1)
	v_fmaak_f32 v18, v22, v18, 0xbf000004
	v_fma_f32 v18, v22, v18, 1.0
	v_fmaak_f32 v12, v21, v12, 0xbf000004
	s_delay_alu instid0(VALU_DEP_1) | instskip(SKIP_1) | instid1(VALU_DEP_2)
	v_fma_f32 v12, v21, v12, 1.0
	v_lshrrev_b16 v21, 15, v24
	v_cndmask_b32_e64 v1, -v1, v12, vcc_lo
	v_cmp_eq_u32_e32 vcc_lo, 0, v19
	s_delay_alu instid0(VALU_DEP_3) | instskip(NEXT) | instid1(VALU_DEP_3)
	v_add_nc_u16 v10, v24, v21
	v_xor_b32_e32 v1, v20, v1
	v_cndmask_b32_e32 v11, v18, v11, vcc_lo
	s_delay_alu instid0(VALU_DEP_3) | instskip(SKIP_1) | instid1(VALU_DEP_3)
	v_ashrrev_i16 v10, 1, v10
	v_cmp_class_f32_e64 vcc_lo, v3, 0x1f8
	v_xor3_b32 v0, v0, v11, v3
	s_delay_alu instid0(VALU_DEP_3) | instskip(SKIP_1) | instid1(VALU_DEP_3)
	v_bfe_i32 v3, v10, 0, 16
	v_cndmask_b32_e32 v1, 0x7fc00000, v1, vcc_lo
	v_cndmask_b32_e32 v0, 0x7fc00000, v0, vcc_lo
	s_delay_alu instid0(VALU_DEP_3) | instskip(NEXT) | instid1(VALU_DEP_3)
	v_lshl_add_u32 v10, v3, 23, 1.0
	v_mul_f32_e32 v1, v1, v2
	v_sub_nc_u32_e32 v3, v24, v3
	s_delay_alu instid0(VALU_DEP_4) | instskip(NEXT) | instid1(VALU_DEP_3)
	v_mul_f32_e32 v0, v0, v2
	v_mul_f32_e32 v1, v1, v10
	s_delay_alu instid0(VALU_DEP_3) | instskip(NEXT) | instid1(VALU_DEP_3)
	v_lshl_add_u32 v2, v3, 23, 1.0
	v_mul_f32_e32 v0, v0, v10
	s_delay_alu instid0(VALU_DEP_2) | instskip(NEXT) | instid1(VALU_DEP_2)
	v_mul_f32_e32 v10, v1, v2
	v_mul_f32_e32 v11, v0, v2
.LBB139_352:                            ;   in Loop: Header=BB139_201 Depth=1
	s_or_b32 exec_lo, exec_lo, s15
                                        ; implicit-def: $vgpr0_vgpr1_vgpr2_vgpr3
                                        ; implicit-def: $vgpr1
.LBB139_353:                            ;   in Loop: Header=BB139_201 Depth=1
	s_and_not1_saveexec_b32 s0, s14
	s_cbranch_execz .LBB139_359
; %bb.354:                              ;   in Loop: Header=BB139_201 Depth=1
	v_sub_f32_e32 v11, v3, v3
	s_mov_b32 s1, exec_lo
	v_cmpx_ne_u32_e32 0x7f800000, v1
	s_xor_b32 s1, exec_lo, s1
; %bb.355:                              ;   in Loop: Header=BB139_201 Depth=1
                                        ; implicit-def: $vgpr0_vgpr1_vgpr2_vgpr3
; %bb.356:                              ;   in Loop: Header=BB139_201 Depth=1
	s_delay_alu instid0(SALU_CYCLE_1)
	s_or_saveexec_b32 s1, s1
	v_mov_b32_e32 v10, v11
	s_xor_b32 exec_lo, exec_lo, s1
; %bb.357:                              ;   in Loop: Header=BB139_201 Depth=1
	v_cmp_lt_i32_e32 vcc_lo, -1, v2
	v_dual_cndmask_b32 v10, 0, v2 :: v_dual_cndmask_b32 v11, 0, v11
; %bb.358:                              ;   in Loop: Header=BB139_201 Depth=1
	s_or_b32 exec_lo, exec_lo, s1
.LBB139_359:                            ;   in Loop: Header=BB139_201 Depth=1
	s_delay_alu instid0(SALU_CYCLE_1)
	s_or_b32 exec_lo, exec_lo, s0
                                        ; implicit-def: $vgpr0_vgpr1_vgpr2_vgpr3
                                        ; implicit-def: $vgpr0
.LBB139_360:                            ;   in Loop: Header=BB139_201 Depth=1
	s_and_not1_saveexec_b32 s13, s13
	s_cbranch_execz .LBB139_370
; %bb.361:                              ;   in Loop: Header=BB139_201 Depth=1
	v_cmp_ngt_f32_e64 s14, 0x48000000, |v3|
                                        ; implicit-def: $vgpr2
                                        ; implicit-def: $vgpr1
	s_delay_alu instid0(VALU_DEP_1) | instskip(NEXT) | instid1(SALU_CYCLE_1)
	s_and_saveexec_b32 s0, s14
	s_xor_b32 s15, exec_lo, s0
	s_cbranch_execz .LBB139_363
; %bb.362:                              ;   in Loop: Header=BB139_201 Depth=1
	v_and_or_b32 v24, v0, s6, 0x800000
	s_delay_alu instid0(VALU_DEP_1) | instskip(NEXT) | instid1(VALU_DEP_1)
	v_mad_u64_u32 v[1:2], null, 0xfe5163ab, v24, 0
	v_mov_b32_e32 v12, v2
	v_lshrrev_b32_e32 v2, 23, v0
	s_delay_alu instid0(VALU_DEP_2) | instskip(NEXT) | instid1(VALU_DEP_2)
	v_mad_u64_u32 v[10:11], null, 0x3c439041, v24, v[12:13]
	v_add_nc_u32_e32 v2, 0xffffff88, v2
	s_delay_alu instid0(VALU_DEP_1) | instskip(NEXT) | instid1(VALU_DEP_3)
	v_cmp_lt_u32_e32 vcc_lo, 63, v2
	v_mov_b32_e32 v12, v11
	v_cndmask_b32_e64 v11, 0, 0xffffffc0, vcc_lo
	s_delay_alu instid0(VALU_DEP_2) | instskip(NEXT) | instid1(VALU_DEP_2)
	v_mad_u64_u32 v[18:19], null, 0xdb629599, v24, v[12:13]
	v_add_nc_u32_e32 v2, v11, v2
	s_delay_alu instid0(VALU_DEP_2) | instskip(NEXT) | instid1(VALU_DEP_2)
	v_mov_b32_e32 v12, v19
	v_cmp_lt_u32_e64 s0, 31, v2
	s_delay_alu instid0(VALU_DEP_4) | instskip(NEXT) | instid1(VALU_DEP_3)
	v_cndmask_b32_e32 v1, v18, v1, vcc_lo
	v_mad_u64_u32 v[19:20], null, 0xf534ddc0, v24, v[12:13]
	s_delay_alu instid0(VALU_DEP_3) | instskip(NEXT) | instid1(VALU_DEP_1)
	v_cndmask_b32_e64 v11, 0, 0xffffffe0, s0
	v_add_nc_u32_e32 v2, v11, v2
	s_delay_alu instid0(VALU_DEP_3) | instskip(NEXT) | instid1(VALU_DEP_4)
	v_mov_b32_e32 v12, v20
	v_cndmask_b32_e32 v10, v19, v10, vcc_lo
	s_delay_alu instid0(VALU_DEP_3) | instskip(NEXT) | instid1(VALU_DEP_3)
	v_cmp_lt_u32_e64 s1, 31, v2
	v_mad_u64_u32 v[20:21], null, 0xfc2757d1, v24, v[12:13]
	s_delay_alu instid0(VALU_DEP_3) | instskip(NEXT) | instid1(VALU_DEP_3)
	v_cndmask_b32_e64 v1, v10, v1, s0
	v_cndmask_b32_e64 v11, 0, 0xffffffe0, s1
	s_delay_alu instid0(VALU_DEP_3) | instskip(NEXT) | instid1(VALU_DEP_2)
	v_mov_b32_e32 v12, v21
	v_add_nc_u32_e32 v2, v11, v2
	s_delay_alu instid0(VALU_DEP_2) | instskip(NEXT) | instid1(VALU_DEP_2)
	v_mad_u64_u32 v[21:22], null, 0x4e441529, v24, v[12:13]
	v_cmp_eq_u32_e64 s2, 0, v2
	s_delay_alu instid0(VALU_DEP_2) | instskip(NEXT) | instid1(VALU_DEP_1)
	v_mov_b32_e32 v12, v22
	v_mad_u64_u32 v[22:23], null, 0xa2f9836e, v24, v[12:13]
	s_delay_alu instid0(VALU_DEP_4) | instskip(NEXT) | instid1(VALU_DEP_2)
	v_cndmask_b32_e32 v12, v21, v19, vcc_lo
	v_dual_cndmask_b32 v22, v22, v20 :: v_dual_cndmask_b32 v21, v23, v21
	v_cndmask_b32_e32 v20, v20, v18, vcc_lo
	s_delay_alu instid0(VALU_DEP_2) | instskip(NEXT) | instid1(VALU_DEP_3)
	v_cndmask_b32_e64 v11, v22, v12, s0
	v_cndmask_b32_e64 v19, v21, v22, s0
	s_delay_alu instid0(VALU_DEP_3) | instskip(SKIP_2) | instid1(VALU_DEP_4)
	v_cndmask_b32_e64 v12, v12, v20, s0
	v_sub_nc_u32_e32 v21, 32, v2
	v_cndmask_b32_e64 v20, v20, v10, s0
	v_cndmask_b32_e64 v19, v19, v11, s1
	s_delay_alu instid0(VALU_DEP_4) | instskip(NEXT) | instid1(VALU_DEP_3)
	v_cndmask_b32_e64 v11, v11, v12, s1
	v_cndmask_b32_e64 v12, v12, v20, s1
	;; [unrolled: 1-line block ×3, first 2 shown]
	s_delay_alu instid0(VALU_DEP_3) | instskip(NEXT) | instid1(VALU_DEP_3)
	v_alignbit_b32 v22, v19, v11, v21
	v_alignbit_b32 v23, v11, v12, v21
	s_delay_alu instid0(VALU_DEP_3) | instskip(NEXT) | instid1(VALU_DEP_3)
	v_alignbit_b32 v21, v12, v1, v21
	v_cndmask_b32_e64 v2, v22, v19, s2
	s_delay_alu instid0(VALU_DEP_3) | instskip(NEXT) | instid1(VALU_DEP_3)
	v_cndmask_b32_e64 v11, v23, v11, s2
	v_cndmask_b32_e64 v12, v21, v12, s2
	s_delay_alu instid0(VALU_DEP_3) | instskip(NEXT) | instid1(VALU_DEP_3)
	v_bfe_u32 v18, v2, 29, 1
	v_alignbit_b32 v10, v2, v11, 30
	s_delay_alu instid0(VALU_DEP_3) | instskip(SKIP_1) | instid1(VALU_DEP_4)
	v_alignbit_b32 v11, v11, v12, 30
	v_alignbit_b32 v1, v12, v1, 30
	v_sub_nc_u32_e32 v19, 0, v18
	s_delay_alu instid0(VALU_DEP_1) | instskip(SKIP_3) | instid1(VALU_DEP_4)
	v_xor_b32_e32 v20, v10, v19
	v_cmp_ne_u32_e32 vcc_lo, v10, v19
	v_xor_b32_e32 v11, v11, v19
	v_xor_b32_e32 v1, v1, v19
	v_clz_i32_u32_e32 v22, v20
	s_delay_alu instid0(VALU_DEP_1) | instskip(NEXT) | instid1(VALU_DEP_1)
	v_add_nc_u32_e32 v21, 1, v22
	v_cndmask_b32_e32 v10, 33, v21, vcc_lo
	s_delay_alu instid0(VALU_DEP_1) | instskip(NEXT) | instid1(VALU_DEP_1)
	v_sub_nc_u32_e32 v12, 32, v10
	v_alignbit_b32 v19, v20, v11, v12
	v_alignbit_b32 v1, v11, v1, v12
	v_lshrrev_b32_e32 v11, 29, v2
	v_lshrrev_b32_e32 v2, 30, v2
	s_delay_alu instid0(VALU_DEP_3) | instskip(NEXT) | instid1(VALU_DEP_3)
	v_alignbit_b32 v12, v19, v1, 9
	v_lshlrev_b32_e32 v11, 31, v11
	v_alignbit_b32 v19, v10, v19, 9
	s_delay_alu instid0(VALU_DEP_4) | instskip(NEXT) | instid1(VALU_DEP_4)
	v_add_nc_u32_e32 v2, v18, v2
	v_clz_i32_u32_e32 v20, v12
	s_delay_alu instid0(VALU_DEP_3) | instskip(SKIP_1) | instid1(VALU_DEP_3)
	v_or_b32_e32 v19, v19, v11
	v_or_b32_e32 v11, 0x33800000, v11
	v_min_u32_e32 v20, 32, v20
	s_delay_alu instid0(VALU_DEP_3) | instskip(NEXT) | instid1(VALU_DEP_2)
	v_xor_b32_e32 v19, 1.0, v19
	v_sub_nc_u32_e32 v21, 31, v20
	v_add_lshl_u32 v10, v20, v10, 23
	s_delay_alu instid0(VALU_DEP_3) | instskip(NEXT) | instid1(VALU_DEP_3)
	v_mul_f32_e32 v20, 0x3fc90fda, v19
	v_alignbit_b32 v1, v12, v1, v21
	s_delay_alu instid0(VALU_DEP_3) | instskip(NEXT) | instid1(VALU_DEP_3)
	v_sub_nc_u32_e32 v10, v11, v10
	v_fma_f32 v11, 0x3fc90fda, v19, -v20
	s_delay_alu instid0(VALU_DEP_3) | instskip(NEXT) | instid1(VALU_DEP_2)
	v_lshrrev_b32_e32 v1, 9, v1
	v_fmac_f32_e32 v11, 0x33a22168, v19
	s_delay_alu instid0(VALU_DEP_2) | instskip(NEXT) | instid1(VALU_DEP_1)
	v_or_b32_e32 v1, v10, v1
	v_fmac_f32_e32 v11, 0x3fc90fda, v1
	s_delay_alu instid0(VALU_DEP_1)
	v_add_f32_e32 v1, v20, v11
	s_and_not1_saveexec_b32 s0, s15
	s_branch .LBB139_364
.LBB139_363:                            ;   in Loop: Header=BB139_201 Depth=1
	s_and_not1_saveexec_b32 s0, s15
.LBB139_364:                            ;   in Loop: Header=BB139_201 Depth=1
	v_mul_f32_e64 v1, 0x3f22f983, |v3|
	s_delay_alu instid0(VALU_DEP_1) | instskip(NEXT) | instid1(VALU_DEP_1)
	v_rndne_f32_e32 v2, v1
	v_fma_f32 v1, 0xbfc90fda, v2, |v3|
	s_delay_alu instid0(VALU_DEP_1) | instskip(NEXT) | instid1(VALU_DEP_1)
	v_fmac_f32_e32 v1, 0xb3a22168, v2
	v_fmac_f32_e32 v1, 0xa7c234c4, v2
	v_cvt_i32_f32_e32 v2, v2
; %bb.365:                              ;   in Loop: Header=BB139_201 Depth=1
	s_or_b32 exec_lo, exec_lo, s0
                                        ; implicit-def: $vgpr11
                                        ; implicit-def: $vgpr10
	s_and_saveexec_b32 s0, s14
	s_delay_alu instid0(SALU_CYCLE_1)
	s_xor_b32 s14, exec_lo, s0
	s_cbranch_execz .LBB139_367
; %bb.366:                              ;   in Loop: Header=BB139_201 Depth=1
	v_and_or_b32 v25, v0, s6, 0x800000
	s_delay_alu instid0(VALU_DEP_1) | instskip(NEXT) | instid1(VALU_DEP_1)
	v_mad_u64_u32 v[10:11], null, 0xfe5163ab, v25, 0
	v_mov_b32_e32 v12, v11
	v_lshrrev_b32_e32 v11, 23, v0
	s_delay_alu instid0(VALU_DEP_1) | instskip(NEXT) | instid1(VALU_DEP_3)
	v_add_nc_u32_e32 v11, 0xffffff88, v11
	v_mad_u64_u32 v[18:19], null, 0x3c439041, v25, v[12:13]
	s_delay_alu instid0(VALU_DEP_2) | instskip(SKIP_1) | instid1(VALU_DEP_1)
	v_cmp_lt_u32_e32 vcc_lo, 63, v11
	v_cndmask_b32_e64 v23, 0, 0xffffffc0, vcc_lo
	v_add_nc_u32_e32 v11, v23, v11
	s_delay_alu instid0(VALU_DEP_1) | instskip(NEXT) | instid1(VALU_DEP_1)
	v_cmp_lt_u32_e64 s0, 31, v11
	v_cndmask_b32_e64 v24, 0, 0xffffffe0, s0
	s_delay_alu instid0(VALU_DEP_1) | instskip(NEXT) | instid1(VALU_DEP_1)
	v_dual_mov_b32 v12, v19 :: v_dual_add_nc_u32 v11, v24, v11
	v_mad_u64_u32 v[19:20], null, 0xdb629599, v25, v[12:13]
	s_delay_alu instid0(VALU_DEP_2) | instskip(NEXT) | instid1(VALU_DEP_2)
	v_cmp_lt_u32_e64 s1, 31, v11
	v_mov_b32_e32 v12, v20
	s_delay_alu instid0(VALU_DEP_3) | instskip(NEXT) | instid1(VALU_DEP_2)
	v_cndmask_b32_e32 v10, v19, v10, vcc_lo
	v_mad_u64_u32 v[20:21], null, 0xf534ddc0, v25, v[12:13]
	s_delay_alu instid0(VALU_DEP_1) | instskip(NEXT) | instid1(VALU_DEP_1)
	v_mov_b32_e32 v12, v21
	v_mad_u64_u32 v[21:22], null, 0xfc2757d1, v25, v[12:13]
	s_delay_alu instid0(VALU_DEP_1) | instskip(NEXT) | instid1(VALU_DEP_1)
	v_mov_b32_e32 v12, v22
	;; [unrolled: 3-line block ×3, first 2 shown]
	v_mad_u64_u32 v[23:24], null, 0xa2f9836e, v25, v[12:13]
	v_cndmask_b32_e64 v12, 0, 0xffffffe0, s1
	s_delay_alu instid0(VALU_DEP_4) | instskip(NEXT) | instid1(VALU_DEP_2)
	v_cndmask_b32_e32 v25, v22, v20, vcc_lo
	v_add_nc_u32_e32 v11, v12, v11
	s_delay_alu instid0(VALU_DEP_4) | instskip(SKIP_1) | instid1(VALU_DEP_3)
	v_dual_cndmask_b32 v23, v23, v21 :: v_dual_cndmask_b32 v22, v24, v22
	v_dual_cndmask_b32 v21, v21, v19 :: v_dual_cndmask_b32 v12, v20, v18
	v_cmp_eq_u32_e64 s2, 0, v11
	s_delay_alu instid0(VALU_DEP_3) | instskip(NEXT) | instid1(VALU_DEP_4)
	v_cndmask_b32_e64 v18, v23, v25, s0
	v_cndmask_b32_e64 v20, v22, v23, s0
	s_delay_alu instid0(VALU_DEP_4)
	v_cndmask_b32_e64 v22, v25, v21, s0
	v_sub_nc_u32_e32 v23, 32, v11
	v_cndmask_b32_e64 v21, v21, v12, s0
	v_cndmask_b32_e64 v10, v12, v10, s0
	;; [unrolled: 1-line block ×4, first 2 shown]
	s_delay_alu instid0(VALU_DEP_4) | instskip(NEXT) | instid1(VALU_DEP_4)
	v_cndmask_b32_e64 v22, v22, v21, s1
	v_cndmask_b32_e64 v10, v21, v10, s1
	s_delay_alu instid0(VALU_DEP_3) | instskip(NEXT) | instid1(VALU_DEP_3)
	v_alignbit_b32 v24, v20, v18, v23
	v_alignbit_b32 v25, v18, v22, v23
	s_delay_alu instid0(VALU_DEP_3) | instskip(NEXT) | instid1(VALU_DEP_3)
	v_alignbit_b32 v23, v22, v10, v23
	v_cndmask_b32_e64 v11, v24, v20, s2
	s_delay_alu instid0(VALU_DEP_3) | instskip(NEXT) | instid1(VALU_DEP_3)
	v_cndmask_b32_e64 v18, v25, v18, s2
	v_cndmask_b32_e64 v22, v23, v22, s2
	s_delay_alu instid0(VALU_DEP_3) | instskip(NEXT) | instid1(VALU_DEP_3)
	v_bfe_u32 v19, v11, 29, 1
	v_alignbit_b32 v12, v11, v18, 30
	s_delay_alu instid0(VALU_DEP_3) | instskip(SKIP_1) | instid1(VALU_DEP_4)
	v_alignbit_b32 v18, v18, v22, 30
	v_alignbit_b32 v10, v22, v10, 30
	v_sub_nc_u32_e32 v20, 0, v19
	s_delay_alu instid0(VALU_DEP_1) | instskip(SKIP_3) | instid1(VALU_DEP_4)
	v_xor_b32_e32 v21, v12, v20
	v_cmp_ne_u32_e32 vcc_lo, v12, v20
	v_xor_b32_e32 v18, v18, v20
	v_xor_b32_e32 v10, v10, v20
	v_clz_i32_u32_e32 v24, v21
	s_delay_alu instid0(VALU_DEP_1) | instskip(NEXT) | instid1(VALU_DEP_1)
	v_add_nc_u32_e32 v23, 1, v24
	v_cndmask_b32_e32 v12, 33, v23, vcc_lo
	s_delay_alu instid0(VALU_DEP_1) | instskip(NEXT) | instid1(VALU_DEP_1)
	v_sub_nc_u32_e32 v22, 32, v12
	v_alignbit_b32 v20, v21, v18, v22
	v_alignbit_b32 v10, v18, v10, v22
	v_lshrrev_b32_e32 v18, 29, v11
	v_lshrrev_b32_e32 v11, 30, v11
	s_delay_alu instid0(VALU_DEP_3) | instskip(NEXT) | instid1(VALU_DEP_3)
	v_alignbit_b32 v21, v20, v10, 9
	v_lshlrev_b32_e32 v18, 31, v18
	s_delay_alu instid0(VALU_DEP_3) | instskip(SKIP_1) | instid1(VALU_DEP_4)
	v_add_nc_u32_e32 v11, v19, v11
	v_alignbit_b32 v20, v12, v20, 9
	v_clz_i32_u32_e32 v22, v21
	s_delay_alu instid0(VALU_DEP_2) | instskip(SKIP_1) | instid1(VALU_DEP_3)
	v_or_b32_e32 v20, v20, v18
	v_or_b32_e32 v18, 0x33800000, v18
	v_min_u32_e32 v22, 32, v22
	s_delay_alu instid0(VALU_DEP_3) | instskip(NEXT) | instid1(VALU_DEP_2)
	v_xor_b32_e32 v20, 1.0, v20
	v_sub_nc_u32_e32 v23, 31, v22
	v_add_lshl_u32 v12, v22, v12, 23
	s_delay_alu instid0(VALU_DEP_3) | instskip(NEXT) | instid1(VALU_DEP_3)
	v_mul_f32_e32 v22, 0x3fc90fda, v20
	v_alignbit_b32 v10, v21, v10, v23
	s_delay_alu instid0(VALU_DEP_3) | instskip(NEXT) | instid1(VALU_DEP_3)
	v_sub_nc_u32_e32 v12, v18, v12
	v_fma_f32 v18, 0x3fc90fda, v20, -v22
	s_delay_alu instid0(VALU_DEP_3) | instskip(NEXT) | instid1(VALU_DEP_2)
	v_lshrrev_b32_e32 v10, 9, v10
	v_fmac_f32_e32 v18, 0x33a22168, v20
	s_delay_alu instid0(VALU_DEP_2) | instskip(NEXT) | instid1(VALU_DEP_1)
	v_or_b32_e32 v10, v12, v10
	v_fmac_f32_e32 v18, 0x3fc90fda, v10
	s_delay_alu instid0(VALU_DEP_1)
	v_add_f32_e32 v10, v22, v18
	s_and_not1_saveexec_b32 s0, s14
	s_cbranch_execnz .LBB139_368
	s_branch .LBB139_369
.LBB139_367:                            ;   in Loop: Header=BB139_201 Depth=1
	s_and_not1_saveexec_b32 s0, s14
.LBB139_368:                            ;   in Loop: Header=BB139_201 Depth=1
	v_mul_f32_e64 v10, 0x3f22f983, |v3|
	s_delay_alu instid0(VALU_DEP_1) | instskip(NEXT) | instid1(VALU_DEP_1)
	v_rndne_f32_e32 v11, v10
	v_fma_f32 v10, 0xbfc90fda, v11, |v3|
	s_delay_alu instid0(VALU_DEP_1) | instskip(NEXT) | instid1(VALU_DEP_1)
	v_fmac_f32_e32 v10, 0xb3a22168, v11
	v_fmac_f32_e32 v10, 0xa7c234c4, v11
	v_cvt_i32_f32_e32 v11, v11
.LBB139_369:                            ;   in Loop: Header=BB139_201 Depth=1
	s_or_b32 exec_lo, exec_lo, s0
	v_dual_mul_f32 v12, v1, v1 :: v_dual_and_b32 v19, 1, v2
	s_delay_alu instid0(VALU_DEP_2) | instskip(NEXT) | instid1(VALU_DEP_3)
	v_mul_f32_e32 v18, v10, v10
	v_and_b32_e32 v24, 1, v11
	v_lshlrev_b32_e32 v11, 30, v11
	s_delay_alu instid0(VALU_DEP_4)
	v_fmaak_f32 v21, s8, v12, 0xbab64f3b
	v_fmaak_f32 v20, s7, v12, 0x3c0881c4
	;; [unrolled: 1-line block ×3, first 2 shown]
	v_lshlrev_b32_e32 v2, 30, v2
	v_cmp_eq_u32_e32 vcc_lo, 0, v19
	v_fmaak_f32 v21, v12, v21, 0x3d2aabf7
	v_fmaak_f32 v20, v12, v20, 0xbe2aaa9d
	;; [unrolled: 1-line block ×3, first 2 shown]
	v_and_b32_e32 v2, 0x80000000, v2
	v_and_or_b32 v0, 0x80000000, v11, v0
	s_delay_alu instid0(VALU_DEP_4) | instskip(SKIP_2) | instid1(VALU_DEP_2)
	v_mul_f32_e32 v20, v12, v20
	v_fmaak_f32 v22, s7, v18, 0x3c0881c4
	v_fmaak_f32 v23, v18, v23, 0xbf000004
	v_dual_fmac_f32 v1, v1, v20 :: v_dual_fmaak_f32 v22, v18, v22, 0xbe2aaa9d
	s_delay_alu instid0(VALU_DEP_1) | instskip(NEXT) | instid1(VALU_DEP_1)
	v_dual_fmaak_f32 v21, v12, v21, 0xbf000004 :: v_dual_mul_f32 v22, v18, v22
	v_fma_f32 v12, v12, v21, 1.0
	s_delay_alu instid0(VALU_DEP_4) | instskip(NEXT) | instid1(VALU_DEP_3)
	v_fma_f32 v18, v18, v23, 1.0
	v_fmac_f32_e32 v10, v10, v22
	s_delay_alu instid0(VALU_DEP_3) | instskip(SKIP_1) | instid1(VALU_DEP_2)
	v_cndmask_b32_e64 v1, -v1, v12, vcc_lo
	v_cmp_eq_u32_e32 vcc_lo, 0, v24
	v_xor_b32_e32 v1, v2, v1
	s_delay_alu instid0(VALU_DEP_4) | instskip(SKIP_1) | instid1(VALU_DEP_2)
	v_cndmask_b32_e32 v10, v18, v10, vcc_lo
	v_cmp_class_f32_e64 vcc_lo, v3, 0x1f8
	v_xor3_b32 v0, v0, v10, v3
	s_delay_alu instid0(VALU_DEP_4) | instskip(NEXT) | instid1(VALU_DEP_2)
	v_cndmask_b32_e32 v10, 0x7fc00000, v1, vcc_lo
	v_cndmask_b32_e32 v11, 0x7fc00000, v0, vcc_lo
.LBB139_370:                            ;   in Loop: Header=BB139_201 Depth=1
	s_or_b32 exec_lo, exec_lo, s13
                                        ; implicit-def: $vgpr0_vgpr1_vgpr2_vgpr3
.LBB139_371:                            ;   in Loop: Header=BB139_201 Depth=1
	s_and_not1_saveexec_b32 s0, s12
	s_cbranch_execz .LBB139_200
; %bb.372:                              ;   in Loop: Header=BB139_201 Depth=1
	v_dual_mul_f32 v0, 0x3fb8aa3b, v2 :: v_dual_mov_b32 v11, v3
	v_cmp_ngt_f32_e32 vcc_lo, 0xc2ce8ed0, v2
	s_delay_alu instid0(VALU_DEP_2) | instskip(SKIP_1) | instid1(VALU_DEP_2)
	v_rndne_f32_e32 v1, v0
	v_fma_f32 v10, 0x3fb8aa3b, v2, -v0
	v_sub_f32_e32 v0, v0, v1
	s_delay_alu instid0(VALU_DEP_2) | instskip(SKIP_1) | instid1(VALU_DEP_2)
	v_fmac_f32_e32 v10, 0x32a5705f, v2
	v_cvt_i32_f32_e32 v1, v1
	v_add_f32_e32 v0, v0, v10
	s_delay_alu instid0(VALU_DEP_1) | instskip(SKIP_2) | instid1(VALU_DEP_1)
	v_exp_f32_e32 v0, v0
	s_waitcnt_depctr 0xfff
	v_ldexp_f32 v0, v0, v1
	v_cndmask_b32_e32 v0, 0, v0, vcc_lo
	v_cmp_nlt_f32_e32 vcc_lo, 0x42b17218, v2
	s_delay_alu instid0(VALU_DEP_2)
	v_cndmask_b32_e32 v10, 0x7f800000, v0, vcc_lo
	s_branch .LBB139_200
.LBB139_373:
	s_nop 0
	s_sendmsg sendmsg(MSG_DEALLOC_VGPRS)
	s_endpgm
	.section	.rodata,"a",@progbits
	.p2align	6, 0x0
	.amdhsa_kernel _ZN2at6native12_GLOBAL__N_125multi_tensor_apply_kernelINS1_18TensorListMetadataILi1EEENS1_14UnaryOpFunctorIN3c107complexIfEELi1ELi1ELi0EEEJNS0_3ExpIS8_EEEEEvT_T0_DpT1_
		.amdhsa_group_segment_fixed_size 0
		.amdhsa_private_segment_fixed_size 0
		.amdhsa_kernarg_size 3632
		.amdhsa_user_sgpr_count 15
		.amdhsa_user_sgpr_dispatch_ptr 0
		.amdhsa_user_sgpr_queue_ptr 0
		.amdhsa_user_sgpr_kernarg_segment_ptr 1
		.amdhsa_user_sgpr_dispatch_id 0
		.amdhsa_user_sgpr_private_segment_size 0
		.amdhsa_wavefront_size32 1
		.amdhsa_uses_dynamic_stack 0
		.amdhsa_enable_private_segment 0
		.amdhsa_system_sgpr_workgroup_id_x 1
		.amdhsa_system_sgpr_workgroup_id_y 0
		.amdhsa_system_sgpr_workgroup_id_z 0
		.amdhsa_system_sgpr_workgroup_info 0
		.amdhsa_system_vgpr_workitem_id 0
		.amdhsa_next_free_vgpr 38
		.amdhsa_next_free_sgpr 34
		.amdhsa_reserve_vcc 1
		.amdhsa_float_round_mode_32 0
		.amdhsa_float_round_mode_16_64 0
		.amdhsa_float_denorm_mode_32 3
		.amdhsa_float_denorm_mode_16_64 3
		.amdhsa_dx10_clamp 1
		.amdhsa_ieee_mode 1
		.amdhsa_fp16_overflow 0
		.amdhsa_workgroup_processor_mode 1
		.amdhsa_memory_ordered 1
		.amdhsa_forward_progress 0
		.amdhsa_shared_vgpr_count 0
		.amdhsa_exception_fp_ieee_invalid_op 0
		.amdhsa_exception_fp_denorm_src 0
		.amdhsa_exception_fp_ieee_div_zero 0
		.amdhsa_exception_fp_ieee_overflow 0
		.amdhsa_exception_fp_ieee_underflow 0
		.amdhsa_exception_fp_ieee_inexact 0
		.amdhsa_exception_int_div_zero 0
	.end_amdhsa_kernel
	.section	.text._ZN2at6native12_GLOBAL__N_125multi_tensor_apply_kernelINS1_18TensorListMetadataILi1EEENS1_14UnaryOpFunctorIN3c107complexIfEELi1ELi1ELi0EEEJNS0_3ExpIS8_EEEEEvT_T0_DpT1_,"axG",@progbits,_ZN2at6native12_GLOBAL__N_125multi_tensor_apply_kernelINS1_18TensorListMetadataILi1EEENS1_14UnaryOpFunctorIN3c107complexIfEELi1ELi1ELi0EEEJNS0_3ExpIS8_EEEEEvT_T0_DpT1_,comdat
.Lfunc_end139:
	.size	_ZN2at6native12_GLOBAL__N_125multi_tensor_apply_kernelINS1_18TensorListMetadataILi1EEENS1_14UnaryOpFunctorIN3c107complexIfEELi1ELi1ELi0EEEJNS0_3ExpIS8_EEEEEvT_T0_DpT1_, .Lfunc_end139-_ZN2at6native12_GLOBAL__N_125multi_tensor_apply_kernelINS1_18TensorListMetadataILi1EEENS1_14UnaryOpFunctorIN3c107complexIfEELi1ELi1ELi0EEEJNS0_3ExpIS8_EEEEEvT_T0_DpT1_
                                        ; -- End function
	.section	.AMDGPU.csdata,"",@progbits
; Kernel info:
; codeLenInByte = 51408
; NumSgprs: 36
; NumVgprs: 38
; ScratchSize: 0
; MemoryBound: 1
; FloatMode: 240
; IeeeMode: 1
; LDSByteSize: 0 bytes/workgroup (compile time only)
; SGPRBlocks: 4
; VGPRBlocks: 4
; NumSGPRsForWavesPerEU: 36
; NumVGPRsForWavesPerEU: 38
; Occupancy: 16
; WaveLimiterHint : 0
; COMPUTE_PGM_RSRC2:SCRATCH_EN: 0
; COMPUTE_PGM_RSRC2:USER_SGPR: 15
; COMPUTE_PGM_RSRC2:TRAP_HANDLER: 0
; COMPUTE_PGM_RSRC2:TGID_X_EN: 1
; COMPUTE_PGM_RSRC2:TGID_Y_EN: 0
; COMPUTE_PGM_RSRC2:TGID_Z_EN: 0
; COMPUTE_PGM_RSRC2:TIDIG_COMP_CNT: 0
	.section	.text._ZN2at6native12_GLOBAL__N_125multi_tensor_apply_kernelINS1_18TensorListMetadataILi1EEENS1_14UnaryOpFunctorIN3c104HalfELi1ELi1ELi0EEEJNS0_3ExpIfEEEEEvT_T0_DpT1_,"axG",@progbits,_ZN2at6native12_GLOBAL__N_125multi_tensor_apply_kernelINS1_18TensorListMetadataILi1EEENS1_14UnaryOpFunctorIN3c104HalfELi1ELi1ELi0EEEJNS0_3ExpIfEEEEEvT_T0_DpT1_,comdat
	.globl	_ZN2at6native12_GLOBAL__N_125multi_tensor_apply_kernelINS1_18TensorListMetadataILi1EEENS1_14UnaryOpFunctorIN3c104HalfELi1ELi1ELi0EEEJNS0_3ExpIfEEEEEvT_T0_DpT1_ ; -- Begin function _ZN2at6native12_GLOBAL__N_125multi_tensor_apply_kernelINS1_18TensorListMetadataILi1EEENS1_14UnaryOpFunctorIN3c104HalfELi1ELi1ELi0EEEJNS0_3ExpIfEEEEEvT_T0_DpT1_
	.p2align	8
	.type	_ZN2at6native12_GLOBAL__N_125multi_tensor_apply_kernelINS1_18TensorListMetadataILi1EEENS1_14UnaryOpFunctorIN3c104HalfELi1ELi1ELi0EEEJNS0_3ExpIfEEEEEvT_T0_DpT1_,@function
_ZN2at6native12_GLOBAL__N_125multi_tensor_apply_kernelINS1_18TensorListMetadataILi1EEENS1_14UnaryOpFunctorIN3c104HalfELi1ELi1ELi0EEEJNS0_3ExpIfEEEEEvT_T0_DpT1_: ; @_ZN2at6native12_GLOBAL__N_125multi_tensor_apply_kernelINS1_18TensorListMetadataILi1EEENS1_14UnaryOpFunctorIN3c104HalfELi1ELi1ELi0EEEJNS0_3ExpIfEEEEEvT_T0_DpT1_
; %bb.0:
	v_mov_b32_e32 v1, s15
	s_add_u32 s2, s0, s15
	s_mul_hi_u32 s3, s15, 3
	s_mul_i32 s15, s15, 3
	s_addc_u32 s4, s1, 0
	global_load_u8 v1, v1, s[0:1] offset:1760
	s_add_u32 s2, s2, s15
	s_addc_u32 s3, s4, s3
	s_mov_b32 s13, 0
	s_load_b32 s2, s[2:3], 0x820
	s_waitcnt vmcnt(0)
	v_readfirstlane_b32 s5, v1
	s_delay_alu instid0(VALU_DEP_1)
	s_lshl_b32 s3, s5, 3
	s_clause 0x1
	s_load_b64 s[8:9], s[0:1], s3 offset:0x0
	s_load_b64 s[4:5], s[0:1], s3 offset:0x370
	s_waitcnt lgkmcnt(0)
	s_ashr_i32 s3, s2, 31
	s_delay_alu instid0(SALU_CYCLE_1)
	s_lshl_b64 s[10:11], s[2:3], 17
	s_lshl_b64 s[2:3], s[2:3], 16
	s_and_b32 s12, s8, 7
	s_sub_u32 s6, s4, s2
	s_subb_u32 s7, s5, s3
	s_and_b32 s2, s4, 3
	s_mov_b32 s3, s13
	s_delay_alu instid0(SALU_CYCLE_1) | instskip(NEXT) | instid1(SALU_CYCLE_1)
	s_or_b64 s[2:3], s[12:13], s[2:3]
	s_cmp_eq_u64 s[2:3], 0
	s_cbranch_scc1 .LBB140_21
; %bb.1:
	v_cmp_lt_i64_e64 s2, s[6:7], 1
	s_delay_alu instid0(VALU_DEP_1)
	s_and_b32 vcc_lo, exec_lo, s2
	s_cbranch_vccnz .LBB140_20
; %bb.2:
	s_load_b32 s2, s[0:1], 0xd3c
	v_cmp_gt_u64_e64 s3, 0x10000, s[6:7]
	v_lshlrev_b32_e32 v1, 1, v0
	s_mov_b32 s19, 0x3fb8aa3b
	s_mov_b32 s20, 0x32a5705f
	s_waitcnt lgkmcnt(0)
	s_and_b32 s2, s2, 0xffff
	s_and_b32 s3, s3, exec_lo
	v_add_co_u32 v5, s5, v0, s2
	s_cselect_b32 s13, s7, 0
	s_cselect_b32 s12, s6, 0x10000
	s_lshl_b32 s3, s2, 1
	s_mul_i32 s4, s2, 3
	s_lshl_b32 s16, s2, 2
	v_add_co_ci_u32_e64 v6, null, 0, 0, s5
	s_add_u32 s5, s8, s10
	s_mul_i32 s17, s2, 6
	s_addc_u32 s14, s9, s11
	s_lshl_b32 s18, s2, 3
	v_add_co_u32 v7, s2, s4, v0
	v_lshlrev_b32_e32 v3, 1, v5
	v_add_co_ci_u32_e64 v8, null, 0, 0, s2
	v_add_co_u32 v9, s2, s3, v0
	s_delay_alu instid0(VALU_DEP_1) | instskip(SKIP_1) | instid1(VALU_DEP_1)
	v_add_co_ci_u32_e64 v10, null, 0, 0, s2
	v_add_co_u32 v1, s2, s5, v1
	v_add_co_ci_u32_e64 v2, null, s14, 0, s2
	v_add_co_u32 v3, s2, s5, v3
	s_delay_alu instid0(VALU_DEP_1)
	v_add_co_ci_u32_e64 v4, null, s14, 0, s2
	s_mov_b64 s[14:15], 0
	s_branch .LBB140_4
.LBB140_3:                              ;   in Loop: Header=BB140_4 Depth=1
	s_or_b32 exec_lo, exec_lo, s2
	s_add_u32 s14, s14, s16
	s_addc_u32 s15, s15, 0
	v_add_co_u32 v1, vcc_lo, v1, s18
	v_cmp_lt_i64_e64 s2, s[14:15], s[6:7]
	v_cmp_gt_u64_e64 s3, 0x10000, s[14:15]
	v_add_co_ci_u32_e32 v2, vcc_lo, 0, v2, vcc_lo
	v_add_co_u32 v3, vcc_lo, v3, s18
	v_add_co_ci_u32_e32 v4, vcc_lo, 0, v4, vcc_lo
	s_delay_alu instid0(VALU_DEP_4) | instskip(NEXT) | instid1(SALU_CYCLE_1)
	s_and_b32 s2, s2, s3
	s_and_b32 vcc_lo, exec_lo, s2
	s_cbranch_vccz .LBB140_20
.LBB140_4:                              ; =>This Inner Loop Header: Depth=1
	s_waitcnt vmcnt(0)
	v_add_co_u32 v11, s2, v0, s14
	s_delay_alu instid0(VALU_DEP_1) | instskip(SKIP_1) | instid1(VALU_DEP_2)
	v_add_co_ci_u32_e64 v12, null, 0, s15, s2
	v_mov_b32_e32 v14, 0
	v_cmp_gt_u64_e64 s4, s[12:13], v[11:12]
	s_delay_alu instid0(VALU_DEP_1)
	s_and_saveexec_b32 s2, s4
	s_cbranch_execz .LBB140_6
; %bb.5:                                ;   in Loop: Header=BB140_4 Depth=1
	global_load_u16 v14, v[1:2], off
.LBB140_6:                              ;   in Loop: Header=BB140_4 Depth=1
	s_or_b32 exec_lo, exec_lo, s2
	v_add_co_u32 v11, vcc_lo, v5, s14
	v_add_co_ci_u32_e32 v12, vcc_lo, s15, v6, vcc_lo
	v_mov_b32_e32 v13, 0
	s_delay_alu instid0(VALU_DEP_2) | instskip(NEXT) | instid1(VALU_DEP_1)
	v_cmp_gt_u64_e64 s3, s[12:13], v[11:12]
	s_and_saveexec_b32 s2, s3
	s_cbranch_execz .LBB140_8
; %bb.7:                                ;   in Loop: Header=BB140_4 Depth=1
	global_load_u16 v13, v[3:4], off
.LBB140_8:                              ;   in Loop: Header=BB140_4 Depth=1
	s_or_b32 exec_lo, exec_lo, s2
	v_add_co_u32 v11, vcc_lo, v9, s14
	v_add_co_ci_u32_e32 v12, vcc_lo, s15, v10, vcc_lo
	s_delay_alu instid0(VALU_DEP_1) | instskip(SKIP_1) | instid1(VALU_DEP_2)
	v_cmp_gt_u64_e64 s2, s[12:13], v[11:12]
	v_dual_mov_b32 v11, 0 :: v_dual_mov_b32 v12, 0
	s_and_saveexec_b32 s5, s2
	s_cbranch_execz .LBB140_10
; %bb.9:                                ;   in Loop: Header=BB140_4 Depth=1
	v_add_co_u32 v15, vcc_lo, v1, s16
	v_add_co_ci_u32_e32 v16, vcc_lo, 0, v2, vcc_lo
	global_load_u16 v12, v[15:16], off
.LBB140_10:                             ;   in Loop: Header=BB140_4 Depth=1
	s_or_b32 exec_lo, exec_lo, s5
	v_add_co_u32 v15, vcc_lo, v7, s14
	v_add_co_ci_u32_e32 v16, vcc_lo, s15, v8, vcc_lo
	s_delay_alu instid0(VALU_DEP_1)
	v_cmp_gt_u64_e32 vcc_lo, s[12:13], v[15:16]
	s_and_saveexec_b32 s21, vcc_lo
	s_cbranch_execnz .LBB140_15
; %bb.11:                               ;   in Loop: Header=BB140_4 Depth=1
	s_or_b32 exec_lo, exec_lo, s21
	s_and_saveexec_b32 s5, s4
	s_cbranch_execnz .LBB140_16
.LBB140_12:                             ;   in Loop: Header=BB140_4 Depth=1
	s_or_b32 exec_lo, exec_lo, s5
	s_and_saveexec_b32 s4, s3
	s_cbranch_execnz .LBB140_17
.LBB140_13:                             ;   in Loop: Header=BB140_4 Depth=1
	s_or_b32 exec_lo, exec_lo, s4
	s_and_saveexec_b32 s3, s2
	s_cbranch_execnz .LBB140_18
.LBB140_14:                             ;   in Loop: Header=BB140_4 Depth=1
	s_or_b32 exec_lo, exec_lo, s3
	s_and_saveexec_b32 s2, vcc_lo
	s_cbranch_execz .LBB140_3
	s_branch .LBB140_19
.LBB140_15:                             ;   in Loop: Header=BB140_4 Depth=1
	v_add_co_u32 v15, s5, v1, s17
	s_delay_alu instid0(VALU_DEP_1)
	v_add_co_ci_u32_e64 v16, s5, 0, v2, s5
	global_load_u16 v11, v[15:16], off
	s_or_b32 exec_lo, exec_lo, s21
	s_and_saveexec_b32 s5, s4
	s_cbranch_execz .LBB140_12
.LBB140_16:                             ;   in Loop: Header=BB140_4 Depth=1
	s_waitcnt vmcnt(0)
	v_cvt_f32_f16_e32 v15, v14
	s_delay_alu instid0(VALU_DEP_1) | instskip(SKIP_1) | instid1(VALU_DEP_2)
	v_mul_f32_e32 v16, 0x3fb8aa3b, v15
	v_cmp_ngt_f32_e64 s4, 0xc2ce8ed0, v15
	v_rndne_f32_e32 v17, v16
	v_fma_mix_f32 v18, v14, s19, -v16 op_sel_hi:[1,0,0]
	s_delay_alu instid0(VALU_DEP_2) | instskip(NEXT) | instid1(VALU_DEP_2)
	v_sub_f32_e32 v16, v16, v17
	v_fma_mix_f32 v14, v14, s20, v18 op_sel_hi:[1,0,0]
	s_delay_alu instid0(VALU_DEP_1) | instskip(SKIP_1) | instid1(VALU_DEP_2)
	v_add_f32_e32 v14, v16, v14
	v_cvt_i32_f32_e32 v16, v17
	v_exp_f32_e32 v14, v14
	s_waitcnt_depctr 0xfff
	v_ldexp_f32 v14, v14, v16
	s_delay_alu instid0(VALU_DEP_1) | instskip(SKIP_1) | instid1(VALU_DEP_1)
	v_cndmask_b32_e64 v14, 0, v14, s4
	v_cmp_nlt_f32_e64 s4, 0x42b17218, v15
	v_cndmask_b32_e64 v14, 0x7f800000, v14, s4
	s_delay_alu instid0(VALU_DEP_1)
	v_cvt_f16_f32_e32 v14, v14
	global_store_b16 v[1:2], v14, off
	s_or_b32 exec_lo, exec_lo, s5
	s_and_saveexec_b32 s4, s3
	s_cbranch_execz .LBB140_13
.LBB140_17:                             ;   in Loop: Header=BB140_4 Depth=1
	s_waitcnt vmcnt(0)
	v_cvt_f32_f16_e32 v14, v13
	s_delay_alu instid0(VALU_DEP_1) | instskip(SKIP_1) | instid1(VALU_DEP_2)
	v_mul_f32_e32 v15, 0x3fb8aa3b, v14
	v_cmp_ngt_f32_e64 s3, 0xc2ce8ed0, v14
	v_rndne_f32_e32 v16, v15
	v_fma_mix_f32 v17, v13, s19, -v15 op_sel_hi:[1,0,0]
	s_delay_alu instid0(VALU_DEP_2) | instskip(NEXT) | instid1(VALU_DEP_2)
	v_sub_f32_e32 v15, v15, v16
	v_fma_mix_f32 v13, v13, s20, v17 op_sel_hi:[1,0,0]
	s_delay_alu instid0(VALU_DEP_1) | instskip(SKIP_1) | instid1(VALU_DEP_2)
	v_add_f32_e32 v13, v15, v13
	v_cvt_i32_f32_e32 v15, v16
	v_exp_f32_e32 v13, v13
	s_waitcnt_depctr 0xfff
	v_ldexp_f32 v13, v13, v15
	s_delay_alu instid0(VALU_DEP_1) | instskip(SKIP_1) | instid1(VALU_DEP_1)
	v_cndmask_b32_e64 v13, 0, v13, s3
	v_cmp_nlt_f32_e64 s3, 0x42b17218, v14
	v_cndmask_b32_e64 v13, 0x7f800000, v13, s3
	s_delay_alu instid0(VALU_DEP_1)
	v_cvt_f16_f32_e32 v13, v13
	global_store_b16 v[3:4], v13, off
	s_or_b32 exec_lo, exec_lo, s4
	s_and_saveexec_b32 s3, s2
	s_cbranch_execz .LBB140_14
.LBB140_18:                             ;   in Loop: Header=BB140_4 Depth=1
	s_waitcnt vmcnt(0)
	v_cvt_f32_f16_e32 v13, v12
	s_delay_alu instid0(VALU_DEP_1) | instskip(SKIP_1) | instid1(VALU_DEP_2)
	v_mul_f32_e32 v14, 0x3fb8aa3b, v13
	v_cmp_ngt_f32_e64 s2, 0xc2ce8ed0, v13
	v_rndne_f32_e32 v15, v14
	v_fma_mix_f32 v16, v12, s19, -v14 op_sel_hi:[1,0,0]
	s_delay_alu instid0(VALU_DEP_2) | instskip(NEXT) | instid1(VALU_DEP_2)
	v_sub_f32_e32 v14, v14, v15
	v_fma_mix_f32 v12, v12, s20, v16 op_sel_hi:[1,0,0]
	s_delay_alu instid0(VALU_DEP_1) | instskip(SKIP_1) | instid1(VALU_DEP_2)
	v_add_f32_e32 v12, v14, v12
	v_cvt_i32_f32_e32 v14, v15
	v_exp_f32_e32 v12, v12
	s_waitcnt_depctr 0xfff
	v_ldexp_f32 v12, v12, v14
	s_delay_alu instid0(VALU_DEP_1) | instskip(SKIP_1) | instid1(VALU_DEP_1)
	v_cndmask_b32_e64 v12, 0, v12, s2
	v_cmp_nlt_f32_e64 s2, 0x42b17218, v13
	v_cndmask_b32_e64 v12, 0x7f800000, v12, s2
	s_delay_alu instid0(VALU_DEP_1) | instskip(SKIP_1) | instid1(VALU_DEP_1)
	v_cvt_f16_f32_e32 v14, v12
	v_add_co_u32 v12, s2, v1, s16
	v_add_co_ci_u32_e64 v13, s2, 0, v2, s2
	global_store_b16 v[12:13], v14, off
	s_or_b32 exec_lo, exec_lo, s3
	s_and_saveexec_b32 s2, vcc_lo
	s_cbranch_execz .LBB140_3
.LBB140_19:                             ;   in Loop: Header=BB140_4 Depth=1
	s_waitcnt vmcnt(0)
	v_cvt_f32_f16_e32 v12, v11
	s_delay_alu instid0(VALU_DEP_1) | instskip(SKIP_1) | instid1(VALU_DEP_2)
	v_mul_f32_e32 v13, 0x3fb8aa3b, v12
	v_cmp_ngt_f32_e32 vcc_lo, 0xc2ce8ed0, v12
	v_rndne_f32_e32 v14, v13
	v_fma_mix_f32 v15, v11, s19, -v13 op_sel_hi:[1,0,0]
	s_delay_alu instid0(VALU_DEP_2) | instskip(NEXT) | instid1(VALU_DEP_2)
	v_sub_f32_e32 v13, v13, v14
	v_fma_mix_f32 v11, v11, s20, v15 op_sel_hi:[1,0,0]
	s_delay_alu instid0(VALU_DEP_1) | instskip(SKIP_1) | instid1(VALU_DEP_2)
	v_add_f32_e32 v11, v13, v11
	v_cvt_i32_f32_e32 v13, v14
	v_exp_f32_e32 v11, v11
	s_waitcnt_depctr 0xfff
	v_ldexp_f32 v11, v11, v13
	s_delay_alu instid0(VALU_DEP_1) | instskip(SKIP_1) | instid1(VALU_DEP_2)
	v_cndmask_b32_e32 v11, 0, v11, vcc_lo
	v_cmp_nlt_f32_e32 vcc_lo, 0x42b17218, v12
	v_cndmask_b32_e32 v11, 0x7f800000, v11, vcc_lo
	s_delay_alu instid0(VALU_DEP_1)
	v_cvt_f16_f32_e32 v13, v11
	v_add_co_u32 v11, vcc_lo, v1, s17
	v_add_co_ci_u32_e32 v12, vcc_lo, 0, v2, vcc_lo
	global_store_b16 v[11:12], v13, off
	s_branch .LBB140_3
.LBB140_20:
	s_cbranch_execz .LBB140_22
	s_branch .LBB140_25
.LBB140_21:
.LBB140_22:
	v_dual_mov_b32 v2, 0 :: v_dual_lshlrev_b32 v1, 2, v0
	s_mov_b32 s2, 0
	s_mov_b32 s3, exec_lo
	s_delay_alu instid0(VALU_DEP_1)
	v_cmpx_gt_i64_e64 s[6:7], v[1:2]
	s_cbranch_execz .LBB140_25
; %bb.23:
	s_load_b32 s0, s[0:1], 0xd3c
	v_lshlrev_b32_e32 v1, 3, v0
	s_mov_b32 s5, 0x3fb8aa3b
	s_waitcnt lgkmcnt(0)
	s_and_b32 s0, s0, 0xffff
	s_delay_alu instid0(SALU_CYCLE_1) | instskip(SKIP_3) | instid1(VALU_DEP_1)
	s_lshl_b32 s3, s0, 2
	s_add_u32 s1, s8, s10
	s_addc_u32 s4, s9, s11
	v_add_co_u32 v3, s1, s1, v1
	v_add_co_ci_u32_e64 v4, null, s4, 0, s1
	v_add_lshl_u32 v1, v0, s0, 2
	s_delay_alu instid0(VALU_DEP_3) | instskip(NEXT) | instid1(VALU_DEP_3)
	v_add_co_u32 v3, vcc_lo, v3, 4
	v_add_co_ci_u32_e32 v4, vcc_lo, 0, v4, vcc_lo
	s_lshl_b32 s4, s0, 3
	s_mov_b32 s8, 0x32a5705f
.LBB140_24:                             ; =>This Inner Loop Header: Depth=1
	global_load_b64 v[5:6], v[3:4], off offset:-4
	v_cmp_lt_u64_e64 s0, 0xffff, v[1:2]
	s_waitcnt vmcnt(0)
	v_cvt_f32_f16_e32 v0, v5
	v_lshrrev_b32_e32 v9, 16, v6
	v_lshrrev_b32_e32 v7, 16, v5
	v_cvt_f32_f16_e32 v8, v6
	s_delay_alu instid0(VALU_DEP_4) | instskip(NEXT) | instid1(VALU_DEP_4)
	v_cmp_ngt_f32_e32 vcc_lo, 0xc2ce8ed0, v0
	v_cvt_f32_f16_e32 v9, v9
	v_mul_f32_e32 v10, 0x3fb8aa3b, v0
	v_cvt_f32_f16_e32 v7, v7
	v_mul_f32_e32 v11, 0x3fb8aa3b, v8
	s_delay_alu instid0(VALU_DEP_4) | instskip(NEXT) | instid1(VALU_DEP_4)
	v_mul_f32_e32 v17, 0x3fb8aa3b, v9
	v_rndne_f32_e32 v12, v10
	s_delay_alu instid0(VALU_DEP_4)
	v_mul_f32_e32 v14, 0x3fb8aa3b, v7
	v_fma_mix_f32 v13, v5, s5, -v10 op_sel_hi:[1,0,0]
	v_rndne_f32_e32 v15, v11
	v_fma_mix_f32 v16, v6, s5, -v11 op_sel_hi:[1,0,0]
	v_sub_f32_e32 v10, v10, v12
	v_rndne_f32_e32 v18, v14
	v_fma_mix_f32 v13, v5, s8, v13 op_sel_hi:[1,0,0]
	v_sub_f32_e32 v11, v11, v15
	v_fma_mix_f32 v16, v6, s8, v16 op_sel_hi:[1,0,0]
	v_fma_mix_f32 v19, v5, s5, -v14 op_sel:[1,0,0] op_sel_hi:[1,0,0]
	v_rndne_f32_e32 v20, v17
	v_add_f32_e32 v10, v10, v13
	v_fma_mix_f32 v21, v6, s5, -v17 op_sel:[1,0,0] op_sel_hi:[1,0,0]
	v_add_f32_e32 v11, v11, v16
	s_delay_alu instid0(VALU_DEP_4) | instskip(NEXT) | instid1(VALU_DEP_4)
	v_dual_sub_f32 v13, v14, v18 :: v_dual_sub_f32 v14, v17, v20
	v_exp_f32_e32 v10, v10
	v_fma_mix_f32 v5, v5, s8, v19 op_sel:[1,0,0] op_sel_hi:[1,0,0]
	v_fma_mix_f32 v6, v6, s8, v21 op_sel:[1,0,0] op_sel_hi:[1,0,0]
	v_exp_f32_e32 v11, v11
	v_cvt_i32_f32_e32 v12, v12
	s_delay_alu instid0(VALU_DEP_2)
	v_dual_add_f32 v5, v13, v5 :: v_dual_add_f32 v6, v14, v6
	v_cvt_i32_f32_e32 v13, v15
	v_cvt_i32_f32_e32 v14, v20
	s_delay_alu instid0(TRANS32_DEP_2) | instid1(VALU_DEP_4)
	v_ldexp_f32 v10, v10, v12
	s_delay_alu instid0(VALU_DEP_4) | instskip(SKIP_1) | instid1(TRANS32_DEP_3)
	v_exp_f32_e32 v5, v5
	v_exp_f32_e32 v6, v6
	v_ldexp_f32 v11, v11, v13
	v_cvt_i32_f32_e32 v12, v18
	v_cndmask_b32_e32 v10, 0, v10, vcc_lo
	v_cmp_ngt_f32_e32 vcc_lo, 0xc2ce8ed0, v8
	s_delay_alu instid0(VALU_DEP_4) | instskip(SKIP_1) | instid1(TRANS32_DEP_1)
	v_cndmask_b32_e32 v11, 0, v11, vcc_lo
	v_cmp_nlt_f32_e32 vcc_lo, 0x42b17218, v0
	v_ldexp_f32 v6, v6, v14
	s_delay_alu instid0(TRANS32_DEP_2) | instskip(SKIP_2) | instid1(VALU_DEP_2)
	v_ldexp_f32 v5, v5, v12
	v_cndmask_b32_e32 v0, 0x7f800000, v10, vcc_lo
	v_cmp_ngt_f32_e32 vcc_lo, 0xc2ce8ed0, v9
	v_cvt_f16_f32_e32 v0, v0
	v_cndmask_b32_e32 v6, 0, v6, vcc_lo
	v_cmp_ngt_f32_e32 vcc_lo, 0xc2ce8ed0, v7
	v_cndmask_b32_e32 v5, 0, v5, vcc_lo
	v_cmp_nlt_f32_e32 vcc_lo, 0x42b17218, v8
	v_cndmask_b32_e32 v8, 0x7f800000, v11, vcc_lo
	v_cmp_nlt_f32_e32 vcc_lo, 0x42b17218, v9
	;; [unrolled: 2-line block ×3, first 2 shown]
	s_delay_alu instid0(VALU_DEP_4) | instskip(NEXT) | instid1(VALU_DEP_3)
	v_cvt_f16_f32_e32 v7, v8
	v_cvt_f16_f32_e32 v6, v6
	v_cndmask_b32_e32 v5, 0x7f800000, v5, vcc_lo
	v_cmp_le_i64_e32 vcc_lo, s[6:7], v[1:2]
	v_add_co_u32 v1, s1, v1, s3
	s_delay_alu instid0(VALU_DEP_4) | instskip(NEXT) | instid1(VALU_DEP_4)
	v_pack_b32_f16 v6, v7, v6
	v_cvt_f16_f32_e32 v5, v5
	v_add_co_ci_u32_e64 v2, s1, 0, v2, s1
	s_or_b32 s0, vcc_lo, s0
	s_delay_alu instid0(VALU_DEP_2) | instskip(SKIP_1) | instid1(SALU_CYCLE_1)
	v_pack_b32_f16 v5, v0, v5
	s_and_b32 s0, exec_lo, s0
	s_or_b32 s2, s0, s2
	global_store_b64 v[3:4], v[5:6], off offset:-4
	v_add_co_u32 v3, vcc_lo, v3, s4
	v_add_co_ci_u32_e32 v4, vcc_lo, 0, v4, vcc_lo
	s_and_not1_b32 exec_lo, exec_lo, s2
	s_cbranch_execnz .LBB140_24
.LBB140_25:
	s_nop 0
	s_sendmsg sendmsg(MSG_DEALLOC_VGPRS)
	s_endpgm
	.section	.rodata,"a",@progbits
	.p2align	6, 0x0
	.amdhsa_kernel _ZN2at6native12_GLOBAL__N_125multi_tensor_apply_kernelINS1_18TensorListMetadataILi1EEENS1_14UnaryOpFunctorIN3c104HalfELi1ELi1ELi0EEEJNS0_3ExpIfEEEEEvT_T0_DpT1_
		.amdhsa_group_segment_fixed_size 0
		.amdhsa_private_segment_fixed_size 0
		.amdhsa_kernarg_size 3632
		.amdhsa_user_sgpr_count 15
		.amdhsa_user_sgpr_dispatch_ptr 0
		.amdhsa_user_sgpr_queue_ptr 0
		.amdhsa_user_sgpr_kernarg_segment_ptr 1
		.amdhsa_user_sgpr_dispatch_id 0
		.amdhsa_user_sgpr_private_segment_size 0
		.amdhsa_wavefront_size32 1
		.amdhsa_uses_dynamic_stack 0
		.amdhsa_enable_private_segment 0
		.amdhsa_system_sgpr_workgroup_id_x 1
		.amdhsa_system_sgpr_workgroup_id_y 0
		.amdhsa_system_sgpr_workgroup_id_z 0
		.amdhsa_system_sgpr_workgroup_info 0
		.amdhsa_system_vgpr_workitem_id 0
		.amdhsa_next_free_vgpr 22
		.amdhsa_next_free_sgpr 22
		.amdhsa_reserve_vcc 1
		.amdhsa_float_round_mode_32 0
		.amdhsa_float_round_mode_16_64 0
		.amdhsa_float_denorm_mode_32 3
		.amdhsa_float_denorm_mode_16_64 3
		.amdhsa_dx10_clamp 1
		.amdhsa_ieee_mode 1
		.amdhsa_fp16_overflow 0
		.amdhsa_workgroup_processor_mode 1
		.amdhsa_memory_ordered 1
		.amdhsa_forward_progress 0
		.amdhsa_shared_vgpr_count 0
		.amdhsa_exception_fp_ieee_invalid_op 0
		.amdhsa_exception_fp_denorm_src 0
		.amdhsa_exception_fp_ieee_div_zero 0
		.amdhsa_exception_fp_ieee_overflow 0
		.amdhsa_exception_fp_ieee_underflow 0
		.amdhsa_exception_fp_ieee_inexact 0
		.amdhsa_exception_int_div_zero 0
	.end_amdhsa_kernel
	.section	.text._ZN2at6native12_GLOBAL__N_125multi_tensor_apply_kernelINS1_18TensorListMetadataILi1EEENS1_14UnaryOpFunctorIN3c104HalfELi1ELi1ELi0EEEJNS0_3ExpIfEEEEEvT_T0_DpT1_,"axG",@progbits,_ZN2at6native12_GLOBAL__N_125multi_tensor_apply_kernelINS1_18TensorListMetadataILi1EEENS1_14UnaryOpFunctorIN3c104HalfELi1ELi1ELi0EEEJNS0_3ExpIfEEEEEvT_T0_DpT1_,comdat
.Lfunc_end140:
	.size	_ZN2at6native12_GLOBAL__N_125multi_tensor_apply_kernelINS1_18TensorListMetadataILi1EEENS1_14UnaryOpFunctorIN3c104HalfELi1ELi1ELi0EEEJNS0_3ExpIfEEEEEvT_T0_DpT1_, .Lfunc_end140-_ZN2at6native12_GLOBAL__N_125multi_tensor_apply_kernelINS1_18TensorListMetadataILi1EEENS1_14UnaryOpFunctorIN3c104HalfELi1ELi1ELi0EEEJNS0_3ExpIfEEEEEvT_T0_DpT1_
                                        ; -- End function
	.section	.AMDGPU.csdata,"",@progbits
; Kernel info:
; codeLenInByte = 1992
; NumSgprs: 24
; NumVgprs: 22
; ScratchSize: 0
; MemoryBound: 0
; FloatMode: 240
; IeeeMode: 1
; LDSByteSize: 0 bytes/workgroup (compile time only)
; SGPRBlocks: 2
; VGPRBlocks: 2
; NumSGPRsForWavesPerEU: 24
; NumVGPRsForWavesPerEU: 22
; Occupancy: 16
; WaveLimiterHint : 0
; COMPUTE_PGM_RSRC2:SCRATCH_EN: 0
; COMPUTE_PGM_RSRC2:USER_SGPR: 15
; COMPUTE_PGM_RSRC2:TRAP_HANDLER: 0
; COMPUTE_PGM_RSRC2:TGID_X_EN: 1
; COMPUTE_PGM_RSRC2:TGID_Y_EN: 0
; COMPUTE_PGM_RSRC2:TGID_Z_EN: 0
; COMPUTE_PGM_RSRC2:TIDIG_COMP_CNT: 0
	.section	.text._ZN2at6native12_GLOBAL__N_125multi_tensor_apply_kernelINS1_18TensorListMetadataILi1EEENS1_14UnaryOpFunctorIN3c108BFloat16ELi1ELi1ELi0EEEJNS0_3ExpIfEEEEEvT_T0_DpT1_,"axG",@progbits,_ZN2at6native12_GLOBAL__N_125multi_tensor_apply_kernelINS1_18TensorListMetadataILi1EEENS1_14UnaryOpFunctorIN3c108BFloat16ELi1ELi1ELi0EEEJNS0_3ExpIfEEEEEvT_T0_DpT1_,comdat
	.globl	_ZN2at6native12_GLOBAL__N_125multi_tensor_apply_kernelINS1_18TensorListMetadataILi1EEENS1_14UnaryOpFunctorIN3c108BFloat16ELi1ELi1ELi0EEEJNS0_3ExpIfEEEEEvT_T0_DpT1_ ; -- Begin function _ZN2at6native12_GLOBAL__N_125multi_tensor_apply_kernelINS1_18TensorListMetadataILi1EEENS1_14UnaryOpFunctorIN3c108BFloat16ELi1ELi1ELi0EEEJNS0_3ExpIfEEEEEvT_T0_DpT1_
	.p2align	8
	.type	_ZN2at6native12_GLOBAL__N_125multi_tensor_apply_kernelINS1_18TensorListMetadataILi1EEENS1_14UnaryOpFunctorIN3c108BFloat16ELi1ELi1ELi0EEEJNS0_3ExpIfEEEEEvT_T0_DpT1_,@function
_ZN2at6native12_GLOBAL__N_125multi_tensor_apply_kernelINS1_18TensorListMetadataILi1EEENS1_14UnaryOpFunctorIN3c108BFloat16ELi1ELi1ELi0EEEJNS0_3ExpIfEEEEEvT_T0_DpT1_: ; @_ZN2at6native12_GLOBAL__N_125multi_tensor_apply_kernelINS1_18TensorListMetadataILi1EEENS1_14UnaryOpFunctorIN3c108BFloat16ELi1ELi1ELi0EEEJNS0_3ExpIfEEEEEvT_T0_DpT1_
; %bb.0:
	v_mov_b32_e32 v1, s15
	s_add_u32 s2, s0, s15
	s_mul_hi_u32 s3, s15, 3
	s_mul_i32 s15, s15, 3
	s_addc_u32 s4, s1, 0
	global_load_u8 v1, v1, s[0:1] offset:1760
	s_add_u32 s2, s2, s15
	s_addc_u32 s3, s4, s3
	s_mov_b32 s13, 0
	s_load_b32 s2, s[2:3], 0x820
	s_waitcnt vmcnt(0)
	v_readfirstlane_b32 s5, v1
	s_delay_alu instid0(VALU_DEP_1)
	s_lshl_b32 s3, s5, 3
	s_clause 0x1
	s_load_b64 s[8:9], s[0:1], s3 offset:0x0
	s_load_b64 s[4:5], s[0:1], s3 offset:0x370
	s_waitcnt lgkmcnt(0)
	s_ashr_i32 s3, s2, 31
	s_delay_alu instid0(SALU_CYCLE_1)
	s_lshl_b64 s[10:11], s[2:3], 17
	s_lshl_b64 s[2:3], s[2:3], 16
	s_and_b32 s12, s8, 7
	s_sub_u32 s6, s4, s2
	s_subb_u32 s7, s5, s3
	s_and_b32 s2, s4, 3
	s_mov_b32 s3, s13
	s_delay_alu instid0(SALU_CYCLE_1) | instskip(NEXT) | instid1(SALU_CYCLE_1)
	s_or_b64 s[2:3], s[12:13], s[2:3]
	s_cmp_eq_u64 s[2:3], 0
	s_cbranch_scc1 .LBB141_21
; %bb.1:
	v_cmp_lt_i64_e64 s2, s[6:7], 1
	s_delay_alu instid0(VALU_DEP_1)
	s_and_b32 vcc_lo, exec_lo, s2
	s_cbranch_vccnz .LBB141_20
; %bb.2:
	s_load_b32 s2, s[0:1], 0xd3c
	v_cmp_gt_u64_e64 s3, 0x10000, s[6:7]
	v_lshlrev_b32_e32 v1, 1, v0
	s_waitcnt lgkmcnt(0)
	s_and_b32 s2, s2, 0xffff
	s_delay_alu instid0(VALU_DEP_2)
	s_and_b32 s3, s3, exec_lo
	v_add_co_u32 v5, s5, v0, s2
	s_cselect_b32 s13, s7, 0
	s_cselect_b32 s12, s6, 0x10000
	s_lshl_b32 s3, s2, 1
	s_lshl_b32 s16, s2, 2
	v_lshlrev_b32_e32 v3, 1, v5
	v_add_co_ci_u32_e64 v6, null, 0, 0, s5
	s_add_u32 s5, s8, s10
	v_add_co_u32 v9, s3, s3, v0
	s_mul_i32 s4, s2, 3
	s_addc_u32 s14, s9, s11
	v_add_co_ci_u32_e64 v10, null, 0, 0, s3
	v_add_co_u32 v1, s3, s5, v1
	v_add_co_u32 v7, s4, s4, v0
	v_add_co_ci_u32_e64 v2, null, s14, 0, s3
	v_add_co_u32 v3, s3, s5, v3
	v_add_co_ci_u32_e64 v8, null, 0, 0, s4
	v_add_co_ci_u32_e64 v4, null, s14, 0, s3
	s_lshl_b32 s17, s2, 3
	s_mul_i32 s18, s2, 6
	s_mov_b64 s[14:15], 0
	s_branch .LBB141_4
.LBB141_3:                              ;   in Loop: Header=BB141_4 Depth=1
	s_or_b32 exec_lo, exec_lo, s2
	s_add_u32 s14, s14, s16
	s_addc_u32 s15, s15, 0
	v_add_co_u32 v1, vcc_lo, v1, s17
	v_cmp_lt_i64_e64 s2, s[14:15], s[6:7]
	v_cmp_gt_u64_e64 s3, 0x10000, s[14:15]
	v_add_co_ci_u32_e32 v2, vcc_lo, 0, v2, vcc_lo
	v_add_co_u32 v3, vcc_lo, v3, s17
	v_add_co_ci_u32_e32 v4, vcc_lo, 0, v4, vcc_lo
	s_delay_alu instid0(VALU_DEP_4) | instskip(NEXT) | instid1(SALU_CYCLE_1)
	s_and_b32 s2, s2, s3
	s_and_b32 vcc_lo, exec_lo, s2
	s_cbranch_vccz .LBB141_20
.LBB141_4:                              ; =>This Inner Loop Header: Depth=1
	s_waitcnt vmcnt(0)
	v_add_co_u32 v11, s2, v0, s14
	s_delay_alu instid0(VALU_DEP_1) | instskip(SKIP_1) | instid1(VALU_DEP_2)
	v_add_co_ci_u32_e64 v12, null, 0, s15, s2
	v_mov_b32_e32 v14, 0
	v_cmp_gt_u64_e64 s4, s[12:13], v[11:12]
	s_delay_alu instid0(VALU_DEP_1)
	s_and_saveexec_b32 s2, s4
	s_cbranch_execz .LBB141_6
; %bb.5:                                ;   in Loop: Header=BB141_4 Depth=1
	global_load_u16 v14, v[1:2], off
.LBB141_6:                              ;   in Loop: Header=BB141_4 Depth=1
	s_or_b32 exec_lo, exec_lo, s2
	v_add_co_u32 v11, vcc_lo, v5, s14
	v_add_co_ci_u32_e32 v12, vcc_lo, s15, v6, vcc_lo
	v_mov_b32_e32 v13, 0
	s_delay_alu instid0(VALU_DEP_2) | instskip(NEXT) | instid1(VALU_DEP_1)
	v_cmp_gt_u64_e64 s3, s[12:13], v[11:12]
	s_and_saveexec_b32 s2, s3
	s_cbranch_execz .LBB141_8
; %bb.7:                                ;   in Loop: Header=BB141_4 Depth=1
	global_load_u16 v13, v[3:4], off
.LBB141_8:                              ;   in Loop: Header=BB141_4 Depth=1
	s_or_b32 exec_lo, exec_lo, s2
	v_add_co_u32 v11, vcc_lo, v9, s14
	v_add_co_ci_u32_e32 v12, vcc_lo, s15, v10, vcc_lo
	s_delay_alu instid0(VALU_DEP_1) | instskip(SKIP_1) | instid1(VALU_DEP_2)
	v_cmp_gt_u64_e64 s2, s[12:13], v[11:12]
	v_dual_mov_b32 v11, 0 :: v_dual_mov_b32 v12, 0
	s_and_saveexec_b32 s5, s2
	s_cbranch_execz .LBB141_10
; %bb.9:                                ;   in Loop: Header=BB141_4 Depth=1
	v_add_co_u32 v15, vcc_lo, v1, s16
	v_add_co_ci_u32_e32 v16, vcc_lo, 0, v2, vcc_lo
	global_load_u16 v12, v[15:16], off
.LBB141_10:                             ;   in Loop: Header=BB141_4 Depth=1
	s_or_b32 exec_lo, exec_lo, s5
	v_add_co_u32 v15, vcc_lo, v7, s14
	v_add_co_ci_u32_e32 v16, vcc_lo, s15, v8, vcc_lo
	s_delay_alu instid0(VALU_DEP_1)
	v_cmp_gt_u64_e32 vcc_lo, s[12:13], v[15:16]
	s_and_saveexec_b32 s19, vcc_lo
	s_cbranch_execnz .LBB141_15
; %bb.11:                               ;   in Loop: Header=BB141_4 Depth=1
	s_or_b32 exec_lo, exec_lo, s19
	s_and_saveexec_b32 s5, s4
	s_cbranch_execnz .LBB141_16
.LBB141_12:                             ;   in Loop: Header=BB141_4 Depth=1
	s_or_b32 exec_lo, exec_lo, s5
	s_and_saveexec_b32 s4, s3
	s_cbranch_execnz .LBB141_17
.LBB141_13:                             ;   in Loop: Header=BB141_4 Depth=1
	s_or_b32 exec_lo, exec_lo, s4
	s_and_saveexec_b32 s3, s2
	s_cbranch_execnz .LBB141_18
.LBB141_14:                             ;   in Loop: Header=BB141_4 Depth=1
	s_or_b32 exec_lo, exec_lo, s3
	s_and_saveexec_b32 s2, vcc_lo
	s_cbranch_execz .LBB141_3
	s_branch .LBB141_19
.LBB141_15:                             ;   in Loop: Header=BB141_4 Depth=1
	v_add_co_u32 v15, s5, v1, s18
	s_delay_alu instid0(VALU_DEP_1)
	v_add_co_ci_u32_e64 v16, s5, 0, v2, s5
	global_load_u16 v11, v[15:16], off
	s_or_b32 exec_lo, exec_lo, s19
	s_and_saveexec_b32 s5, s4
	s_cbranch_execz .LBB141_12
.LBB141_16:                             ;   in Loop: Header=BB141_4 Depth=1
	s_waitcnt vmcnt(0)
	v_lshlrev_b32_e32 v14, 16, v14
	s_delay_alu instid0(VALU_DEP_1) | instskip(NEXT) | instid1(VALU_DEP_1)
	v_mul_f32_e32 v15, 0x3fb8aa3b, v14
	v_rndne_f32_e32 v16, v15
	v_fma_f32 v17, 0x3fb8aa3b, v14, -v15
	s_delay_alu instid0(VALU_DEP_2) | instskip(NEXT) | instid1(VALU_DEP_2)
	v_sub_f32_e32 v15, v15, v16
	v_fmac_f32_e32 v17, 0x32a5705f, v14
	v_cvt_i32_f32_e32 v16, v16
	v_cmp_ngt_f32_e64 s4, 0xc2ce8ed0, v14
	s_delay_alu instid0(VALU_DEP_3) | instskip(NEXT) | instid1(VALU_DEP_1)
	v_add_f32_e32 v15, v15, v17
	v_exp_f32_e32 v15, v15
	s_waitcnt_depctr 0xfff
	v_ldexp_f32 v15, v15, v16
	s_delay_alu instid0(VALU_DEP_1) | instskip(SKIP_1) | instid1(VALU_DEP_1)
	v_cndmask_b32_e64 v15, 0, v15, s4
	v_cmp_nlt_f32_e64 s4, 0x42b17218, v14
	v_cndmask_b32_e64 v14, 0x7f800000, v15, s4
	s_delay_alu instid0(VALU_DEP_1) | instskip(SKIP_1) | instid1(VALU_DEP_2)
	v_bfe_u32 v15, v14, 16, 1
	v_cmp_o_f32_e64 s4, v14, v14
	v_add3_u32 v15, v14, v15, 0x7fff
	s_delay_alu instid0(VALU_DEP_1) | instskip(NEXT) | instid1(VALU_DEP_1)
	v_lshrrev_b32_e32 v15, 16, v15
	v_cndmask_b32_e64 v14, 0x7fc0, v15, s4
	global_store_b16 v[1:2], v14, off
	s_or_b32 exec_lo, exec_lo, s5
	s_and_saveexec_b32 s4, s3
	s_cbranch_execz .LBB141_13
.LBB141_17:                             ;   in Loop: Header=BB141_4 Depth=1
	s_waitcnt vmcnt(0)
	v_lshlrev_b32_e32 v13, 16, v13
	s_delay_alu instid0(VALU_DEP_1) | instskip(NEXT) | instid1(VALU_DEP_1)
	v_mul_f32_e32 v14, 0x3fb8aa3b, v13
	v_rndne_f32_e32 v15, v14
	v_fma_f32 v16, 0x3fb8aa3b, v13, -v14
	s_delay_alu instid0(VALU_DEP_2) | instskip(NEXT) | instid1(VALU_DEP_2)
	v_sub_f32_e32 v14, v14, v15
	v_fmac_f32_e32 v16, 0x32a5705f, v13
	v_cvt_i32_f32_e32 v15, v15
	v_cmp_ngt_f32_e64 s3, 0xc2ce8ed0, v13
	s_delay_alu instid0(VALU_DEP_3) | instskip(NEXT) | instid1(VALU_DEP_1)
	v_add_f32_e32 v14, v14, v16
	v_exp_f32_e32 v14, v14
	s_waitcnt_depctr 0xfff
	v_ldexp_f32 v14, v14, v15
	s_delay_alu instid0(VALU_DEP_1) | instskip(SKIP_1) | instid1(VALU_DEP_1)
	v_cndmask_b32_e64 v14, 0, v14, s3
	v_cmp_nlt_f32_e64 s3, 0x42b17218, v13
	v_cndmask_b32_e64 v13, 0x7f800000, v14, s3
	s_delay_alu instid0(VALU_DEP_1) | instskip(SKIP_1) | instid1(VALU_DEP_2)
	v_bfe_u32 v14, v13, 16, 1
	v_cmp_o_f32_e64 s3, v13, v13
	v_add3_u32 v14, v13, v14, 0x7fff
	s_delay_alu instid0(VALU_DEP_1) | instskip(NEXT) | instid1(VALU_DEP_1)
	v_lshrrev_b32_e32 v14, 16, v14
	v_cndmask_b32_e64 v13, 0x7fc0, v14, s3
	global_store_b16 v[3:4], v13, off
	s_or_b32 exec_lo, exec_lo, s4
	s_and_saveexec_b32 s3, s2
	s_cbranch_execz .LBB141_14
.LBB141_18:                             ;   in Loop: Header=BB141_4 Depth=1
	s_waitcnt vmcnt(0)
	v_lshlrev_b32_e32 v12, 16, v12
	s_delay_alu instid0(VALU_DEP_1) | instskip(NEXT) | instid1(VALU_DEP_1)
	v_mul_f32_e32 v13, 0x3fb8aa3b, v12
	v_rndne_f32_e32 v14, v13
	v_fma_f32 v15, 0x3fb8aa3b, v12, -v13
	s_delay_alu instid0(VALU_DEP_2) | instskip(NEXT) | instid1(VALU_DEP_2)
	v_sub_f32_e32 v13, v13, v14
	v_fmac_f32_e32 v15, 0x32a5705f, v12
	v_cvt_i32_f32_e32 v14, v14
	v_cmp_ngt_f32_e64 s2, 0xc2ce8ed0, v12
	s_delay_alu instid0(VALU_DEP_3) | instskip(NEXT) | instid1(VALU_DEP_1)
	v_add_f32_e32 v13, v13, v15
	v_exp_f32_e32 v13, v13
	s_waitcnt_depctr 0xfff
	v_ldexp_f32 v13, v13, v14
	s_delay_alu instid0(VALU_DEP_1) | instskip(SKIP_1) | instid1(VALU_DEP_1)
	v_cndmask_b32_e64 v13, 0, v13, s2
	v_cmp_nlt_f32_e64 s2, 0x42b17218, v12
	v_cndmask_b32_e64 v12, 0x7f800000, v13, s2
	s_delay_alu instid0(VALU_DEP_1) | instskip(SKIP_1) | instid1(VALU_DEP_2)
	v_bfe_u32 v13, v12, 16, 1
	v_cmp_o_f32_e64 s2, v12, v12
	v_add3_u32 v13, v12, v13, 0x7fff
	s_delay_alu instid0(VALU_DEP_1) | instskip(NEXT) | instid1(VALU_DEP_1)
	v_lshrrev_b32_e32 v13, 16, v13
	v_cndmask_b32_e64 v14, 0x7fc0, v13, s2
	v_add_co_u32 v12, s2, v1, s16
	s_delay_alu instid0(VALU_DEP_1)
	v_add_co_ci_u32_e64 v13, s2, 0, v2, s2
	global_store_b16 v[12:13], v14, off
	s_or_b32 exec_lo, exec_lo, s3
	s_and_saveexec_b32 s2, vcc_lo
	s_cbranch_execz .LBB141_3
.LBB141_19:                             ;   in Loop: Header=BB141_4 Depth=1
	s_waitcnt vmcnt(0)
	v_lshlrev_b32_e32 v11, 16, v11
	s_delay_alu instid0(VALU_DEP_1) | instskip(NEXT) | instid1(VALU_DEP_1)
	v_mul_f32_e32 v12, 0x3fb8aa3b, v11
	v_rndne_f32_e32 v13, v12
	v_fma_f32 v14, 0x3fb8aa3b, v11, -v12
	s_delay_alu instid0(VALU_DEP_2) | instskip(NEXT) | instid1(VALU_DEP_2)
	v_sub_f32_e32 v12, v12, v13
	v_fmac_f32_e32 v14, 0x32a5705f, v11
	v_cvt_i32_f32_e32 v13, v13
	v_cmp_ngt_f32_e32 vcc_lo, 0xc2ce8ed0, v11
	s_delay_alu instid0(VALU_DEP_3) | instskip(NEXT) | instid1(VALU_DEP_1)
	v_add_f32_e32 v12, v12, v14
	v_exp_f32_e32 v12, v12
	s_waitcnt_depctr 0xfff
	v_ldexp_f32 v12, v12, v13
	s_delay_alu instid0(VALU_DEP_1) | instskip(SKIP_1) | instid1(VALU_DEP_2)
	v_cndmask_b32_e32 v12, 0, v12, vcc_lo
	v_cmp_nlt_f32_e32 vcc_lo, 0x42b17218, v11
	v_cndmask_b32_e32 v11, 0x7f800000, v12, vcc_lo
	s_delay_alu instid0(VALU_DEP_1) | instskip(SKIP_1) | instid1(VALU_DEP_2)
	v_bfe_u32 v12, v11, 16, 1
	v_cmp_o_f32_e32 vcc_lo, v11, v11
	v_add3_u32 v12, v11, v12, 0x7fff
	s_delay_alu instid0(VALU_DEP_1) | instskip(NEXT) | instid1(VALU_DEP_1)
	v_lshrrev_b32_e32 v12, 16, v12
	v_cndmask_b32_e32 v13, 0x7fc0, v12, vcc_lo
	v_add_co_u32 v11, vcc_lo, v1, s18
	v_add_co_ci_u32_e32 v12, vcc_lo, 0, v2, vcc_lo
	global_store_b16 v[11:12], v13, off
	s_branch .LBB141_3
.LBB141_20:
	s_cbranch_execz .LBB141_22
	s_branch .LBB141_25
.LBB141_21:
.LBB141_22:
	v_dual_mov_b32 v2, 0 :: v_dual_lshlrev_b32 v1, 2, v0
	s_mov_b32 s2, 0
	s_mov_b32 s3, exec_lo
	s_delay_alu instid0(VALU_DEP_1)
	v_cmpx_gt_i64_e64 s[6:7], v[1:2]
	s_cbranch_execz .LBB141_25
; %bb.23:
	s_load_b32 s0, s[0:1], 0xd3c
	v_lshlrev_b32_e32 v1, 3, v0
	s_waitcnt lgkmcnt(0)
	s_and_b32 s0, s0, 0xffff
	s_add_u32 s1, s8, s10
	s_addc_u32 s3, s9, s11
	v_add_co_u32 v3, s1, s1, v1
	s_delay_alu instid0(VALU_DEP_1)
	v_add_co_ci_u32_e64 v4, null, s3, 0, s1
	v_add_lshl_u32 v1, v0, s0, 2
	s_lshl_b32 s3, s0, 3
	s_lshl_b32 s4, s0, 2
.LBB141_24:                             ; =>This Inner Loop Header: Depth=1
	global_load_b64 v[5:6], v[3:4], off
	v_cmp_lt_u64_e64 s0, 0xffff, v[1:2]
	s_waitcnt vmcnt(0)
	v_and_b32_e32 v7, 0xffff0000, v5
	v_lshlrev_b32_e32 v0, 16, v5
	v_alignbit_b32 v5, v6, v5, 16
	s_delay_alu instid0(VALU_DEP_3) | instskip(NEXT) | instid1(VALU_DEP_3)
	v_mul_f32_e32 v9, 0x3fb8aa3b, v7
	v_cmp_ngt_f32_e32 vcc_lo, 0xc2ce8ed0, v0
	s_delay_alu instid0(VALU_DEP_3) | instskip(SKIP_1) | instid1(VALU_DEP_4)
	v_and_b32_e32 v5, 0xffff0000, v5
	v_mul_f32_e32 v8, 0x3fb8aa3b, v0
	v_rndne_f32_e32 v14, v9
	s_delay_alu instid0(VALU_DEP_3) | instskip(NEXT) | instid1(VALU_DEP_3)
	v_mul_f32_e32 v15, 0x3fb8aa3b, v5
	v_rndne_f32_e32 v12, v8
	v_fma_f32 v11, 0x3fb8aa3b, v0, -v8
	s_delay_alu instid0(VALU_DEP_3) | instskip(NEXT) | instid1(VALU_DEP_3)
	v_rndne_f32_e32 v19, v15
	v_sub_f32_e32 v8, v8, v12
	v_fma_f32 v13, 0x3fb8aa3b, v7, -v9
	v_sub_f32_e32 v9, v9, v14
	v_cvt_i32_f32_e32 v12, v12
	s_delay_alu instid0(VALU_DEP_3) | instskip(NEXT) | instid1(VALU_DEP_1)
	v_fmac_f32_e32 v13, 0x32a5705f, v7
	v_dual_add_f32 v9, v9, v13 :: v_dual_and_b32 v6, 0xffff0000, v6
	s_delay_alu instid0(VALU_DEP_1) | instskip(SKIP_2) | instid1(VALU_DEP_4)
	v_mul_f32_e32 v10, 0x3fb8aa3b, v6
	v_fmac_f32_e32 v11, 0x32a5705f, v0
	v_cvt_i32_f32_e32 v13, v14
	v_exp_f32_e32 v9, v9
	s_delay_alu instid0(VALU_DEP_2)
	v_add_f32_e32 v8, v8, v11
	v_sub_f32_e32 v11, v15, v19
	v_fma_f32 v16, 0x3fb8aa3b, v6, -v10
	v_rndne_f32_e32 v17, v10
	v_fma_f32 v18, 0x3fb8aa3b, v5, -v15
	v_exp_f32_e32 v8, v8
	s_delay_alu instid0(VALU_DEP_3) | instskip(NEXT) | instid1(VALU_DEP_3)
	v_fmac_f32_e32 v16, 0x32a5705f, v6
	v_sub_f32_e32 v10, v10, v17
	s_delay_alu instid0(VALU_DEP_3) | instskip(SKIP_2) | instid1(VALU_DEP_3)
	v_fmac_f32_e32 v18, 0x32a5705f, v5
	v_cvt_i32_f32_e32 v14, v17
	v_ldexp_f32 v9, v9, v13
	v_dual_add_f32 v10, v10, v16 :: v_dual_add_f32 v11, v11, v18
	s_delay_alu instid0(TRANS32_DEP_1) | instskip(SKIP_1) | instid1(VALU_DEP_3)
	v_ldexp_f32 v8, v8, v12
	v_cvt_i32_f32_e32 v12, v19
	v_exp_f32_e32 v10, v10
	s_delay_alu instid0(VALU_DEP_3) | instskip(NEXT) | instid1(VALU_DEP_2)
	v_exp_f32_e32 v11, v11
	v_cndmask_b32_e32 v8, 0, v8, vcc_lo
	v_cmp_ngt_f32_e32 vcc_lo, 0xc2ce8ed0, v7
	v_cndmask_b32_e32 v9, 0, v9, vcc_lo
	v_cmp_ngt_f32_e32 vcc_lo, 0xc2ce8ed0, v6
	s_waitcnt_depctr 0xfff
	v_ldexp_f32 v10, v10, v14
	v_ldexp_f32 v11, v11, v12
	s_delay_alu instid0(VALU_DEP_2)
	v_cndmask_b32_e32 v10, 0, v10, vcc_lo
	v_cmp_nlt_f32_e32 vcc_lo, 0x42b17218, v0
	v_cndmask_b32_e32 v0, 0x7f800000, v8, vcc_lo
	v_cmp_ngt_f32_e32 vcc_lo, 0xc2ce8ed0, v5
	v_cndmask_b32_e32 v8, 0, v11, vcc_lo
	v_cmp_nlt_f32_e32 vcc_lo, 0x42b17218, v7
	v_cndmask_b32_e32 v7, 0x7f800000, v9, vcc_lo
	v_cmp_nlt_f32_e32 vcc_lo, 0x42b17218, v6
	v_bfe_u32 v9, v0, 16, 1
	v_cndmask_b32_e32 v6, 0x7f800000, v10, vcc_lo
	v_cmp_nlt_f32_e32 vcc_lo, 0x42b17218, v5
	s_delay_alu instid0(VALU_DEP_3) | instskip(NEXT) | instid1(VALU_DEP_3)
	v_add3_u32 v9, v0, v9, 0x7fff
	v_bfe_u32 v10, v6, 16, 1
	v_cndmask_b32_e32 v5, 0x7f800000, v8, vcc_lo
	v_bfe_u32 v8, v7, 16, 1
	v_cmp_o_f32_e32 vcc_lo, v7, v7
	v_lshrrev_b32_e32 v9, 16, v9
	v_add3_u32 v10, v6, v10, 0x7fff
	v_bfe_u32 v11, v5, 16, 1
	v_add3_u32 v8, v7, v8, 0x7fff
	s_delay_alu instid0(VALU_DEP_3) | instskip(NEXT) | instid1(VALU_DEP_3)
	v_and_b32_e32 v10, 0xffff0000, v10
	v_add3_u32 v11, v5, v11, 0x7fff
	s_delay_alu instid0(VALU_DEP_3) | instskip(NEXT) | instid1(VALU_DEP_2)
	v_and_b32_e32 v8, 0xffff0000, v8
	v_lshrrev_b32_e32 v11, 16, v11
	s_delay_alu instid0(VALU_DEP_2) | instskip(SKIP_3) | instid1(VALU_DEP_2)
	v_cndmask_b32_e32 v7, 0x7fc00000, v8, vcc_lo
	v_cmp_o_f32_e32 vcc_lo, v0, v0
	v_cndmask_b32_e32 v0, 0x7fc0, v9, vcc_lo
	v_cmp_o_f32_e32 vcc_lo, v6, v6
	v_or_b32_e32 v0, v0, v7
	v_cndmask_b32_e32 v6, 0x7fc00000, v10, vcc_lo
	v_cmp_o_f32_e32 vcc_lo, v5, v5
	v_cndmask_b32_e32 v5, 0x7fc0, v11, vcc_lo
	v_cmp_le_i64_e32 vcc_lo, s[6:7], v[1:2]
	v_add_co_u32 v1, s1, v1, s4
	s_delay_alu instid0(VALU_DEP_1) | instskip(NEXT) | instid1(VALU_DEP_4)
	v_add_co_ci_u32_e64 v2, s1, 0, v2, s1
	v_or3_b32 v6, 0, v5, v6
	v_or3_b32 v5, v0, 0, 0
	s_or_b32 s0, vcc_lo, s0
	s_delay_alu instid0(SALU_CYCLE_1) | instskip(SKIP_4) | instid1(SALU_CYCLE_1)
	s_and_b32 s0, exec_lo, s0
	global_store_b64 v[3:4], v[5:6], off
	v_add_co_u32 v3, vcc_lo, v3, s3
	v_add_co_ci_u32_e32 v4, vcc_lo, 0, v4, vcc_lo
	s_or_b32 s2, s0, s2
	s_and_not1_b32 exec_lo, exec_lo, s2
	s_cbranch_execnz .LBB141_24
.LBB141_25:
	s_nop 0
	s_sendmsg sendmsg(MSG_DEALLOC_VGPRS)
	s_endpgm
	.section	.rodata,"a",@progbits
	.p2align	6, 0x0
	.amdhsa_kernel _ZN2at6native12_GLOBAL__N_125multi_tensor_apply_kernelINS1_18TensorListMetadataILi1EEENS1_14UnaryOpFunctorIN3c108BFloat16ELi1ELi1ELi0EEEJNS0_3ExpIfEEEEEvT_T0_DpT1_
		.amdhsa_group_segment_fixed_size 0
		.amdhsa_private_segment_fixed_size 0
		.amdhsa_kernarg_size 3632
		.amdhsa_user_sgpr_count 15
		.amdhsa_user_sgpr_dispatch_ptr 0
		.amdhsa_user_sgpr_queue_ptr 0
		.amdhsa_user_sgpr_kernarg_segment_ptr 1
		.amdhsa_user_sgpr_dispatch_id 0
		.amdhsa_user_sgpr_private_segment_size 0
		.amdhsa_wavefront_size32 1
		.amdhsa_uses_dynamic_stack 0
		.amdhsa_enable_private_segment 0
		.amdhsa_system_sgpr_workgroup_id_x 1
		.amdhsa_system_sgpr_workgroup_id_y 0
		.amdhsa_system_sgpr_workgroup_id_z 0
		.amdhsa_system_sgpr_workgroup_info 0
		.amdhsa_system_vgpr_workitem_id 0
		.amdhsa_next_free_vgpr 20
		.amdhsa_next_free_sgpr 20
		.amdhsa_reserve_vcc 1
		.amdhsa_float_round_mode_32 0
		.amdhsa_float_round_mode_16_64 0
		.amdhsa_float_denorm_mode_32 3
		.amdhsa_float_denorm_mode_16_64 3
		.amdhsa_dx10_clamp 1
		.amdhsa_ieee_mode 1
		.amdhsa_fp16_overflow 0
		.amdhsa_workgroup_processor_mode 1
		.amdhsa_memory_ordered 1
		.amdhsa_forward_progress 0
		.amdhsa_shared_vgpr_count 0
		.amdhsa_exception_fp_ieee_invalid_op 0
		.amdhsa_exception_fp_denorm_src 0
		.amdhsa_exception_fp_ieee_div_zero 0
		.amdhsa_exception_fp_ieee_overflow 0
		.amdhsa_exception_fp_ieee_underflow 0
		.amdhsa_exception_fp_ieee_inexact 0
		.amdhsa_exception_int_div_zero 0
	.end_amdhsa_kernel
	.section	.text._ZN2at6native12_GLOBAL__N_125multi_tensor_apply_kernelINS1_18TensorListMetadataILi1EEENS1_14UnaryOpFunctorIN3c108BFloat16ELi1ELi1ELi0EEEJNS0_3ExpIfEEEEEvT_T0_DpT1_,"axG",@progbits,_ZN2at6native12_GLOBAL__N_125multi_tensor_apply_kernelINS1_18TensorListMetadataILi1EEENS1_14UnaryOpFunctorIN3c108BFloat16ELi1ELi1ELi0EEEJNS0_3ExpIfEEEEEvT_T0_DpT1_,comdat
.Lfunc_end141:
	.size	_ZN2at6native12_GLOBAL__N_125multi_tensor_apply_kernelINS1_18TensorListMetadataILi1EEENS1_14UnaryOpFunctorIN3c108BFloat16ELi1ELi1ELi0EEEJNS0_3ExpIfEEEEEvT_T0_DpT1_, .Lfunc_end141-_ZN2at6native12_GLOBAL__N_125multi_tensor_apply_kernelINS1_18TensorListMetadataILi1EEENS1_14UnaryOpFunctorIN3c108BFloat16ELi1ELi1ELi0EEEJNS0_3ExpIfEEEEEvT_T0_DpT1_
                                        ; -- End function
	.section	.AMDGPU.csdata,"",@progbits
; Kernel info:
; codeLenInByte = 2324
; NumSgprs: 22
; NumVgprs: 20
; ScratchSize: 0
; MemoryBound: 0
; FloatMode: 240
; IeeeMode: 1
; LDSByteSize: 0 bytes/workgroup (compile time only)
; SGPRBlocks: 2
; VGPRBlocks: 2
; NumSGPRsForWavesPerEU: 22
; NumVGPRsForWavesPerEU: 20
; Occupancy: 16
; WaveLimiterHint : 0
; COMPUTE_PGM_RSRC2:SCRATCH_EN: 0
; COMPUTE_PGM_RSRC2:USER_SGPR: 15
; COMPUTE_PGM_RSRC2:TRAP_HANDLER: 0
; COMPUTE_PGM_RSRC2:TGID_X_EN: 1
; COMPUTE_PGM_RSRC2:TGID_Y_EN: 0
; COMPUTE_PGM_RSRC2:TGID_Z_EN: 0
; COMPUTE_PGM_RSRC2:TIDIG_COMP_CNT: 0
	.section	.text._ZN2at6native12_GLOBAL__N_125multi_tensor_apply_kernelINS1_18TensorListMetadataILi2EEENS1_14UnaryOpFunctorIdLi2ELi1ELi1EEEJNS0_5Expm1IdEEEEEvT_T0_DpT1_,"axG",@progbits,_ZN2at6native12_GLOBAL__N_125multi_tensor_apply_kernelINS1_18TensorListMetadataILi2EEENS1_14UnaryOpFunctorIdLi2ELi1ELi1EEEJNS0_5Expm1IdEEEEEvT_T0_DpT1_,comdat
	.globl	_ZN2at6native12_GLOBAL__N_125multi_tensor_apply_kernelINS1_18TensorListMetadataILi2EEENS1_14UnaryOpFunctorIdLi2ELi1ELi1EEEJNS0_5Expm1IdEEEEEvT_T0_DpT1_ ; -- Begin function _ZN2at6native12_GLOBAL__N_125multi_tensor_apply_kernelINS1_18TensorListMetadataILi2EEENS1_14UnaryOpFunctorIdLi2ELi1ELi1EEEJNS0_5Expm1IdEEEEEvT_T0_DpT1_
	.p2align	8
	.type	_ZN2at6native12_GLOBAL__N_125multi_tensor_apply_kernelINS1_18TensorListMetadataILi2EEENS1_14UnaryOpFunctorIdLi2ELi1ELi1EEEJNS0_5Expm1IdEEEEEvT_T0_DpT1_,@function
_ZN2at6native12_GLOBAL__N_125multi_tensor_apply_kernelINS1_18TensorListMetadataILi2EEENS1_14UnaryOpFunctorIdLi2ELi1ELi1EEEJNS0_5Expm1IdEEEEEvT_T0_DpT1_: ; @_ZN2at6native12_GLOBAL__N_125multi_tensor_apply_kernelINS1_18TensorListMetadataILi2EEENS1_14UnaryOpFunctorIdLi2ELi1ELi1EEEJNS0_5Expm1IdEEEEEvT_T0_DpT1_
; %bb.0:
	v_mov_b32_e32 v1, s15
	s_add_u32 s2, s0, s15
	s_mul_hi_u32 s3, s15, 3
	s_mul_i32 s15, s15, 3
	s_addc_u32 s4, s1, 0
	global_load_u8 v1, v1, s[0:1] offset:1536
	s_add_u32 s2, s2, s15
	s_addc_u32 s3, s4, s3
	s_mov_b32 s7, 0
	s_load_b32 s2, s[2:3], 0x740
	s_mov_b32 s9, s7
	s_mov_b32 s11, s7
	s_waitcnt vmcnt(0)
	v_readfirstlane_b32 s5, v1
	s_delay_alu instid0(VALU_DEP_1)
	s_lshl_b32 s3, s5, 3
	s_clause 0x2
	s_load_b64 s[22:23], s[0:1], s3 offset:0x0
	s_load_b64 s[20:21], s[0:1], s3 offset:0x200
	;; [unrolled: 1-line block ×3, first 2 shown]
	s_waitcnt lgkmcnt(0)
	s_ashr_i32 s3, s2, 31
	s_delay_alu instid0(SALU_CYCLE_1) | instskip(NEXT) | instid1(SALU_CYCLE_1)
	s_lshl_b64 s[16:17], s[2:3], 19
	s_add_u32 s33, s22, s16
	s_addc_u32 s54, s23, s17
	s_and_b32 s6, s33, 31
	s_add_u32 s55, s20, s16
	s_addc_u32 s56, s21, s17
	s_and_b32 s8, s4, 3
	s_and_b32 s10, s55, 31
	s_or_b64 s[6:7], s[6:7], s[8:9]
	s_lshl_b64 s[2:3], s[2:3], 16
	s_or_b64 s[6:7], s[10:11], s[6:7]
	s_sub_u32 s18, s4, s2
	s_subb_u32 s19, s5, s3
	s_cmp_eq_u64 s[6:7], 0
	s_mov_b32 s2, -1
	s_cbranch_scc0 .LBB142_5
; %bb.1:
	v_dual_mov_b32 v2, 0 :: v_dual_lshlrev_b32 v1, 2, v0
	s_mov_b32 s57, exec_lo
	s_delay_alu instid0(VALU_DEP_1)
	v_cmpx_gt_i64_e64 s[18:19], v[1:2]
	s_cbranch_execz .LBB142_4
; %bb.2:
	s_load_b32 s2, s[0:1], 0xc5c
	v_lshlrev_b32_e32 v3, 5, v0
	s_mov_b32 s24, 0x652b82fe
	s_mov_b32 s26, 0x3b39803f
	;; [unrolled: 1-line block ×18, first 2 shown]
	s_waitcnt lgkmcnt(0)
	s_and_b32 s2, s2, 0xffff
	s_mov_b32 s35, 0x3e927e50
	v_add_lshl_u32 v1, v0, s2, 2
	s_mov_b32 s37, 0x3ec71de0
	s_mov_b32 s39, 0x3efa01a0
	;; [unrolled: 1-line block ×3, first 2 shown]
	s_lshl_b32 s59, s2, 2
	s_lshl_b32 s60, s2, 5
	s_mov_b32 s43, 0x3f56c16c
	s_mov_b32 s45, 0x3f811111
	;; [unrolled: 1-line block ×7, first 2 shown]
.LBB142_3:                              ; =>This Inner Loop Header: Depth=1
	v_add_co_u32 v8, s2, s33, v3
	s_delay_alu instid0(VALU_DEP_1)
	v_add_co_ci_u32_e64 v9, null, s54, 0, s2
	v_cmp_le_i64_e64 s13, s[18:19], v[1:2]
	v_cmp_lt_u64_e64 s14, 0xffff, v[1:2]
	s_clause 0x1
	global_load_b128 v[4:7], v[8:9], off
	global_load_b128 v[8:11], v[8:9], off offset:16
	s_or_b32 s13, s13, s14
	s_waitcnt vmcnt(1)
	v_mul_f64 v[14:15], v[6:7], s[24:25]
	s_waitcnt vmcnt(0)
	v_mul_f64 v[16:17], v[8:9], s[24:25]
	v_mul_f64 v[18:19], v[10:11], s[24:25]
	v_mul_f64 v[12:13], v[4:5], s[24:25]
	v_cmp_nlt_f64_e64 s5, s[52:53], v[6:7]
	v_cmp_nlt_f64_e64 s6, s[52:53], v[8:9]
	;; [unrolled: 1-line block ×3, first 2 shown]
	v_cmp_ngt_f64_e64 s9, 0xc0428000, v[4:5]
	v_cmp_nlt_f64_e64 s7, s[52:53], v[10:11]
	v_cmp_ngt_f64_e64 s10, 0xc0428000, v[6:7]
	v_cmp_ngt_f64_e64 s11, 0xc0428000, v[8:9]
	;; [unrolled: 1-line block ×3, first 2 shown]
	v_rndne_f64_e32 v[14:15], v[14:15]
	v_rndne_f64_e32 v[16:17], v[16:17]
	;; [unrolled: 1-line block ×4, first 2 shown]
	s_delay_alu instid0(VALU_DEP_4) | instskip(NEXT) | instid1(VALU_DEP_4)
	v_fma_f64 v[22:23], v[14:15], s[50:51], v[6:7]
	v_fma_f64 v[24:25], v[16:17], s[50:51], v[8:9]
	s_delay_alu instid0(VALU_DEP_4) | instskip(NEXT) | instid1(VALU_DEP_4)
	v_fma_f64 v[26:27], v[18:19], s[50:51], v[10:11]
	v_fma_f64 v[20:21], v[12:13], s[50:51], v[4:5]
	v_cvt_i32_f64_e32 v37, v[14:15]
	v_cmp_eq_f64_e32 vcc_lo, 0x40900000, v[14:15]
	v_cvt_i32_f64_e32 v38, v[16:17]
	v_cmp_eq_f64_e64 s2, 0x40900000, v[16:17]
	v_cvt_i32_f64_e32 v39, v[18:19]
	v_cmp_eq_f64_e64 s3, 0x40900000, v[18:19]
	;; [unrolled: 2-line block ×3, first 2 shown]
	v_fma_f64 v[22:23], v[14:15], s[26:27], v[22:23]
	v_fma_f64 v[24:25], v[16:17], s[26:27], v[24:25]
	;; [unrolled: 1-line block ×4, first 2 shown]
	v_cndmask_b32_e64 v14, v37, 0x3ff, vcc_lo
	v_cndmask_b32_e64 v16, v38, 0x3ff, s2
	v_cndmask_b32_e64 v18, v39, 0x3ff, s3
	s_delay_alu instid0(VALU_DEP_3) | instskip(SKIP_1) | instid1(VALU_DEP_4)
	v_ldexp_f64 v[14:15], 1.0, v14
	v_cndmask_b32_e64 v12, v36, 0x3ff, s4
	v_ldexp_f64 v[16:17], 1.0, v16
	s_delay_alu instid0(VALU_DEP_4) | instskip(NEXT) | instid1(VALU_DEP_3)
	v_ldexp_f64 v[18:19], 1.0, v18
	v_ldexp_f64 v[12:13], 1.0, v12
	v_fma_f64 v[30:31], v[22:23], s[30:31], s[28:29]
	v_fma_f64 v[32:33], v[24:25], s[30:31], s[28:29]
	;; [unrolled: 1-line block ×4, first 2 shown]
	v_add_f64 v[38:39], v[14:15], -1.0
	v_add_f64 v[40:41], v[16:17], -1.0
	;; [unrolled: 1-line block ×4, first 2 shown]
	v_fma_f64 v[30:31], v[22:23], v[30:31], s[34:35]
	v_fma_f64 v[32:33], v[24:25], v[32:33], s[34:35]
	;; [unrolled: 1-line block ×4, first 2 shown]
	s_delay_alu instid0(VALU_DEP_4) | instskip(NEXT) | instid1(VALU_DEP_4)
	v_fma_f64 v[30:31], v[22:23], v[30:31], s[36:37]
	v_fma_f64 v[32:33], v[24:25], v[32:33], s[36:37]
	s_delay_alu instid0(VALU_DEP_4) | instskip(NEXT) | instid1(VALU_DEP_4)
	v_fma_f64 v[34:35], v[26:27], v[34:35], s[36:37]
	v_fma_f64 v[28:29], v[20:21], v[28:29], s[36:37]
	;; [unrolled: 3-line block ×14, first 2 shown]
	s_delay_alu instid0(VALU_DEP_4) | instskip(NEXT) | instid1(VALU_DEP_4)
	v_fma_f64 v[30:31], v[22:23], v[30:31], 0.5
	v_fma_f64 v[32:33], v[24:25], v[32:33], 0.5
	s_delay_alu instid0(VALU_DEP_4) | instskip(NEXT) | instid1(VALU_DEP_4)
	v_fma_f64 v[34:35], v[26:27], v[34:35], 0.5
	v_fma_f64 v[28:29], v[20:21], v[28:29], 0.5
	s_delay_alu instid0(VALU_DEP_4) | instskip(NEXT) | instid1(VALU_DEP_4)
	v_mul_f64 v[30:31], v[22:23], v[30:31]
	v_mul_f64 v[32:33], v[24:25], v[32:33]
	s_delay_alu instid0(VALU_DEP_4) | instskip(NEXT) | instid1(VALU_DEP_4)
	v_mul_f64 v[34:35], v[26:27], v[34:35]
	v_mul_f64 v[28:29], v[20:21], v[28:29]
	s_delay_alu instid0(VALU_DEP_4) | instskip(NEXT) | instid1(VALU_DEP_4)
	v_fma_f64 v[22:23], v[22:23], v[30:31], v[22:23]
	v_fma_f64 v[24:25], v[24:25], v[32:33], v[24:25]
	s_delay_alu instid0(VALU_DEP_4) | instskip(NEXT) | instid1(VALU_DEP_4)
	v_fma_f64 v[26:27], v[26:27], v[34:35], v[26:27]
	v_fma_f64 v[20:21], v[20:21], v[28:29], v[20:21]
	;; [unrolled: 3-line block ×4, first 2 shown]
	s_delay_alu instid0(VALU_DEP_4) | instskip(NEXT) | instid1(VALU_DEP_4)
	v_add_f64 v[22:23], v[14:15], v[14:15]
	v_add_f64 v[24:25], v[16:17], v[16:17]
	s_delay_alu instid0(VALU_DEP_4) | instskip(NEXT) | instid1(VALU_DEP_4)
	v_add_f64 v[26:27], v[18:19], v[18:19]
	v_add_f64 v[20:21], v[12:13], v[12:13]
	s_delay_alu instid0(VALU_DEP_4) | instskip(NEXT) | instid1(VALU_DEP_4)
	v_cndmask_b32_e32 v15, v15, v23, vcc_lo
	v_cndmask_b32_e64 v17, v17, v25, s2
	s_delay_alu instid0(VALU_DEP_4) | instskip(NEXT) | instid1(VALU_DEP_4)
	v_cndmask_b32_e64 v19, v19, v27, s3
	v_cndmask_b32_e64 v10, v12, v20, s4
	v_cndmask_b32_e32 v12, v14, v22, vcc_lo
	v_cndmask_b32_e64 v4, 0x7ff00000, v15, s5
	v_cndmask_b32_e64 v6, 0x7ff00000, v17, s6
	;; [unrolled: 1-line block ×3, first 2 shown]
	s_and_b32 vcc_lo, s9, s8
	v_cndmask_b32_e64 v8, 0x7ff00000, v19, s7
	v_cndmask_b32_e64 v14, v16, v24, s2
	;; [unrolled: 1-line block ×3, first 2 shown]
	v_cndmask_b32_e32 v4, 0, v10, vcc_lo
	s_and_b32 vcc_lo, s10, s5
	v_cndmask_b32_e64 v9, 0xbff00000, v6, s11
	v_cndmask_b32_e32 v6, 0, v12, vcc_lo
	s_and_b32 vcc_lo, s11, s6
	v_cndmask_b32_e64 v13, 0x7ff00000, v13, s8
	v_add_co_u32 v27, s15, s55, v3
	v_cndmask_b32_e64 v15, v18, v26, s3
	v_cndmask_b32_e64 v11, 0xbff00000, v8, s12
	v_cndmask_b32_e32 v8, 0, v14, vcc_lo
	s_and_b32 vcc_lo, s12, s7
	s_add_u32 s33, s33, s60
	v_add_co_ci_u32_e64 v28, null, s56, 0, s15
	v_add_co_u32 v1, s15, v1, s59
	s_addc_u32 s54, s54, 0
	s_add_u32 s55, s55, s60
	v_add_co_ci_u32_e64 v2, s15, 0, v2, s15
	v_cndmask_b32_e64 v5, 0xbff00000, v13, s9
	s_addc_u32 s56, s56, 0
	v_cndmask_b32_e32 v10, 0, v15, vcc_lo
	s_and_b32 s2, exec_lo, s13
	s_clause 0x1
	global_store_b128 v[27:28], v[4:7], off
	global_store_b128 v[27:28], v[8:11], off offset:16
	s_or_b32 s58, s2, s58
	s_delay_alu instid0(SALU_CYCLE_1)
	s_and_not1_b32 exec_lo, exec_lo, s58
	s_cbranch_execnz .LBB142_3
.LBB142_4:
	s_or_b32 exec_lo, exec_lo, s57
	s_mov_b32 s2, 0
.LBB142_5:
	s_delay_alu instid0(SALU_CYCLE_1)
	s_and_not1_b32 vcc_lo, exec_lo, s2
	s_cbranch_vccnz .LBB142_25
; %bb.6:
	v_cmp_lt_i64_e64 s2, s[18:19], 1
	s_delay_alu instid0(VALU_DEP_1)
	s_and_b32 vcc_lo, exec_lo, s2
	s_cbranch_vccnz .LBB142_25
; %bb.7:
	s_load_b32 s0, s[0:1], 0xc5c
	v_dual_mov_b32 v2, 0 :: v_dual_lshlrev_b32 v1, 3, v0
	v_cmp_gt_u64_e64 s1, 0x10000, s[18:19]
	s_mov_b32 s8, 0x652b82fe
	s_mov_b32 s10, 0xfefa39ef
	s_delay_alu instid0(VALU_DEP_2) | instskip(NEXT) | instid1(VALU_DEP_1)
	v_add_co_u32 v9, s2, s22, v1
	v_add_co_ci_u32_e64 v10, null, s23, 0, s2
	v_add_co_u32 v11, s2, s20, v1
	s_delay_alu instid0(VALU_DEP_1)
	v_add_co_ci_u32_e64 v12, null, s21, 0, s2
	s_mov_b32 s12, 0x3b39803f
	s_mov_b32 s14, 0x2a1b768b
	;; [unrolled: 1-line block ×6, first 2 shown]
	s_waitcnt lgkmcnt(0)
	s_and_b32 s0, s0, 0xffff
	s_and_b32 s1, s1, exec_lo
	v_mad_u64_u32 v[3:4], null, s0, 24, v[1:2]
	s_cselect_b32 s7, s19, 0
	s_cselect_b32 s6, s18, 0x10000
	s_lshl_b32 s3, s0, 4
	s_mul_i32 s2, s0, 3
	v_add_co_u32 v1, s3, s3, v1
	s_delay_alu instid0(VALU_DEP_2) | instskip(NEXT) | instid1(VALU_DEP_3)
	v_add_co_u32 v13, vcc_lo, s22, v3
	v_add_co_ci_u32_e32 v14, vcc_lo, s23, v4, vcc_lo
	v_add_co_u32 v17, s2, s2, v0
	v_add_co_u32 v15, vcc_lo, s20, v3
	v_add_co_ci_u32_e64 v2, null, 0, 0, s3
	v_add_co_ci_u32_e64 v18, null, 0, 0, s2
	v_add_co_u32 v21, s2, v0, s0
	v_add_co_ci_u32_e32 v16, vcc_lo, s21, v4, vcc_lo
	v_add_co_u32 v19, vcc_lo, s22, v1
	v_add_co_ci_u32_e32 v20, vcc_lo, s23, v2, vcc_lo
	v_add_co_u32 v22, vcc_lo, s20, v1
	v_lshlrev_b32_e32 v1, 3, v21
	s_lshl_b32 s1, s0, 1
	v_add_co_ci_u32_e32 v23, vcc_lo, s21, v2, vcc_lo
	v_add_co_u32 v25, s1, s1, v0
	s_delay_alu instid0(VALU_DEP_1) | instskip(SKIP_1) | instid1(VALU_DEP_1)
	v_add_co_ci_u32_e64 v26, null, 0, 0, s1
	v_add_co_u32 v27, s1, s22, v1
	v_add_co_ci_u32_e64 v28, null, s23, 0, s1
	v_add_co_u32 v29, s1, s20, v1
	v_add_co_ci_u32_e64 v24, null, 0, 0, s2
	v_add_co_ci_u32_e64 v30, null, s21, 0, s1
	s_mov_b32 s22, 0xa9d67f34
	s_mov_b32 s34, 0x16c18931
	;; [unrolled: 1-line block ×5, first 2 shown]
	s_lshl_b32 s33, s0, 2
	s_mov_b32 s9, 0x3ff71547
	s_mov_b32 s11, 0xbfe62e42
	;; [unrolled: 1-line block ×13, first 2 shown]
	s_lshl_b32 s42, s0, 5
	s_mov_b64 s[20:21], 0
	s_mov_b32 s5, 0x40862e42
	s_branch .LBB142_9
.LBB142_8:                              ;   in Loop: Header=BB142_9 Depth=1
	s_or_b32 exec_lo, exec_lo, s2
	v_add_co_u32 v9, vcc_lo, v9, s42
	v_add_co_ci_u32_e32 v10, vcc_lo, 0, v10, vcc_lo
	v_add_co_u32 v11, vcc_lo, v11, s42
	v_add_co_ci_u32_e32 v12, vcc_lo, 0, v12, vcc_lo
	;; [unrolled: 2-line block ×5, first 2 shown]
	s_add_u32 s20, s20, s33
	v_add_co_u32 v22, vcc_lo, v22, s42
	s_addc_u32 s21, s21, 0
	v_add_co_ci_u32_e32 v23, vcc_lo, 0, v23, vcc_lo
	v_cmp_ge_i64_e64 s0, s[20:21], s[18:19]
	v_cmp_lt_u64_e64 s1, 0xffff, s[20:21]
	v_add_co_u32 v27, vcc_lo, v27, s42
	v_add_co_ci_u32_e32 v28, vcc_lo, 0, v28, vcc_lo
	v_add_co_u32 v29, vcc_lo, v29, s42
	v_add_co_ci_u32_e32 v30, vcc_lo, 0, v30, vcc_lo
	s_or_b32 s0, s0, s1
	s_delay_alu instid0(SALU_CYCLE_1)
	s_and_b32 vcc_lo, exec_lo, s0
	s_cbranch_vccnz .LBB142_25
.LBB142_9:                              ; =>This Inner Loop Header: Depth=1
	s_waitcnt vmcnt(0)
	v_add_co_u32 v1, s0, v0, s20
	s_delay_alu instid0(VALU_DEP_1) | instskip(SKIP_2) | instid1(VALU_DEP_3)
	v_add_co_ci_u32_e64 v2, null, 0, s21, s0
	v_mov_b32_e32 v5, 0
	v_mov_b32_e32 v6, 0
	v_cmp_gt_u64_e64 s2, s[6:7], v[1:2]
	s_delay_alu instid0(VALU_DEP_2) | instskip(NEXT) | instid1(VALU_DEP_2)
	v_dual_mov_b32 v8, v6 :: v_dual_mov_b32 v7, v5
	s_and_saveexec_b32 s0, s2
	s_cbranch_execz .LBB142_11
; %bb.10:                               ;   in Loop: Header=BB142_9 Depth=1
	v_add_co_u32 v1, vcc_lo, v9, s16
	v_add_co_ci_u32_e32 v2, vcc_lo, s17, v10, vcc_lo
	global_load_b64 v[7:8], v[1:2], off
.LBB142_11:                             ;   in Loop: Header=BB142_9 Depth=1
	s_or_b32 exec_lo, exec_lo, s0
	v_add_co_u32 v1, vcc_lo, v21, s20
	v_add_co_ci_u32_e32 v2, vcc_lo, s21, v24, vcc_lo
	s_delay_alu instid0(VALU_DEP_1) | instskip(NEXT) | instid1(VALU_DEP_1)
	v_cmp_gt_u64_e64 s1, s[6:7], v[1:2]
	s_and_saveexec_b32 s0, s1
	s_cbranch_execz .LBB142_13
; %bb.12:                               ;   in Loop: Header=BB142_9 Depth=1
	v_add_co_u32 v1, vcc_lo, v27, s16
	v_add_co_ci_u32_e32 v2, vcc_lo, s17, v28, vcc_lo
	global_load_b64 v[5:6], v[1:2], off
.LBB142_13:                             ;   in Loop: Header=BB142_9 Depth=1
	s_or_b32 exec_lo, exec_lo, s0
	v_add_co_u32 v3, vcc_lo, v25, s20
	v_add_co_ci_u32_e32 v4, vcc_lo, s21, v26, vcc_lo
	v_mov_b32_e32 v1, 0
	v_mov_b32_e32 v2, 0
	s_delay_alu instid0(VALU_DEP_3) | instskip(NEXT) | instid1(VALU_DEP_2)
	v_cmp_gt_u64_e64 s0, s[6:7], v[3:4]
	v_dual_mov_b32 v4, v2 :: v_dual_mov_b32 v3, v1
	s_delay_alu instid0(VALU_DEP_2)
	s_and_saveexec_b32 s3, s0
	s_cbranch_execz .LBB142_15
; %bb.14:                               ;   in Loop: Header=BB142_9 Depth=1
	v_add_co_u32 v3, vcc_lo, v19, s16
	v_add_co_ci_u32_e32 v4, vcc_lo, s17, v20, vcc_lo
	global_load_b64 v[3:4], v[3:4], off
.LBB142_15:                             ;   in Loop: Header=BB142_9 Depth=1
	s_or_b32 exec_lo, exec_lo, s3
	v_add_co_u32 v31, vcc_lo, v17, s20
	v_add_co_ci_u32_e32 v32, vcc_lo, s21, v18, vcc_lo
	s_delay_alu instid0(VALU_DEP_1)
	v_cmp_gt_u64_e32 vcc_lo, s[6:7], v[31:32]
	s_and_saveexec_b32 s4, vcc_lo
	s_cbranch_execnz .LBB142_20
; %bb.16:                               ;   in Loop: Header=BB142_9 Depth=1
	s_or_b32 exec_lo, exec_lo, s4
	s_and_saveexec_b32 s43, s2
	s_cbranch_execnz .LBB142_21
.LBB142_17:                             ;   in Loop: Header=BB142_9 Depth=1
	s_or_b32 exec_lo, exec_lo, s43
	s_and_saveexec_b32 s43, s1
	s_cbranch_execnz .LBB142_22
.LBB142_18:                             ;   in Loop: Header=BB142_9 Depth=1
	s_or_b32 exec_lo, exec_lo, s43
	s_and_saveexec_b32 s3, s0
	s_cbranch_execnz .LBB142_23
.LBB142_19:                             ;   in Loop: Header=BB142_9 Depth=1
	s_or_b32 exec_lo, exec_lo, s3
	s_and_saveexec_b32 s2, vcc_lo
	s_cbranch_execz .LBB142_8
	s_branch .LBB142_24
.LBB142_20:                             ;   in Loop: Header=BB142_9 Depth=1
	v_add_co_u32 v1, s3, v13, s16
	s_delay_alu instid0(VALU_DEP_1)
	v_add_co_ci_u32_e64 v2, s3, s17, v14, s3
	global_load_b64 v[1:2], v[1:2], off
	s_or_b32 exec_lo, exec_lo, s4
	s_and_saveexec_b32 s43, s2
	s_cbranch_execz .LBB142_17
.LBB142_21:                             ;   in Loop: Header=BB142_9 Depth=1
	s_waitcnt vmcnt(0)
	v_mul_f64 v[31:32], v[7:8], s[8:9]
	s_mov_b32 s4, s10
	s_delay_alu instid0(SALU_CYCLE_1) | instskip(SKIP_1) | instid1(VALU_DEP_3)
	v_cmp_nlt_f64_e64 s3, s[4:5], v[7:8]
	v_cmp_ngt_f64_e64 s4, 0xc0428000, v[7:8]
	v_rndne_f64_e32 v[31:32], v[31:32]
	s_delay_alu instid0(VALU_DEP_1) | instskip(SKIP_2) | instid1(VALU_DEP_3)
	v_fma_f64 v[33:34], v[31:32], s[10:11], v[7:8]
	v_cvt_i32_f64_e32 v37, v[31:32]
	v_cmp_eq_f64_e64 s2, 0x40900000, v[31:32]
	v_fma_f64 v[33:34], v[31:32], s[12:13], v[33:34]
	s_delay_alu instid0(VALU_DEP_2) | instskip(NEXT) | instid1(VALU_DEP_1)
	v_cndmask_b32_e64 v31, v37, 0x3ff, s2
	v_ldexp_f64 v[31:32], 1.0, v31
	s_delay_alu instid0(VALU_DEP_3) | instskip(NEXT) | instid1(VALU_DEP_2)
	v_fma_f64 v[35:36], v[33:34], s[22:23], s[14:15]
	v_add_f64 v[37:38], v[31:32], -1.0
	s_delay_alu instid0(VALU_DEP_2) | instskip(NEXT) | instid1(VALU_DEP_1)
	v_fma_f64 v[35:36], v[33:34], v[35:36], s[24:25]
	v_fma_f64 v[35:36], v[33:34], v[35:36], s[26:27]
	s_delay_alu instid0(VALU_DEP_1) | instskip(NEXT) | instid1(VALU_DEP_1)
	v_fma_f64 v[35:36], v[33:34], v[35:36], s[28:29]
	v_fma_f64 v[35:36], v[33:34], v[35:36], s[30:31]
	s_delay_alu instid0(VALU_DEP_1) | instskip(NEXT) | instid1(VALU_DEP_1)
	;; [unrolled: 3-line block ×4, first 2 shown]
	v_fma_f64 v[35:36], v[33:34], v[35:36], 0.5
	v_mul_f64 v[35:36], v[33:34], v[35:36]
	s_delay_alu instid0(VALU_DEP_1) | instskip(NEXT) | instid1(VALU_DEP_1)
	v_fma_f64 v[33:34], v[33:34], v[35:36], v[33:34]
	v_fma_f64 v[31:32], v[31:32], v[33:34], v[37:38]
	s_delay_alu instid0(VALU_DEP_1) | instskip(NEXT) | instid1(VALU_DEP_1)
	v_add_f64 v[33:34], v[31:32], v[31:32]
	v_cndmask_b32_e64 v32, v32, v34, s2
	s_delay_alu instid0(VALU_DEP_2) | instskip(SKIP_1) | instid1(VALU_DEP_2)
	v_cndmask_b32_e64 v7, v31, v33, s2
	s_and_b32 s2, s4, s3
	v_cndmask_b32_e64 v32, 0x7ff00000, v32, s3
	s_delay_alu instid0(VALU_DEP_2) | instskip(SKIP_1) | instid1(VALU_DEP_3)
	v_cndmask_b32_e64 v7, 0, v7, s2
	v_add_co_u32 v31, s2, v11, s16
	v_cndmask_b32_e64 v8, 0xbff00000, v32, s4
	v_add_co_ci_u32_e64 v32, s2, s17, v12, s2
	global_store_b64 v[31:32], v[7:8], off
	s_or_b32 exec_lo, exec_lo, s43
	s_and_saveexec_b32 s43, s1
	s_cbranch_execz .LBB142_18
.LBB142_22:                             ;   in Loop: Header=BB142_9 Depth=1
	s_waitcnt vmcnt(0)
	v_mul_f64 v[7:8], v[5:6], s[8:9]
	s_mov_b32 s4, s10
	v_cmp_ngt_f64_e64 s3, 0xc0428000, v[5:6]
	v_cmp_nlt_f64_e64 s2, s[4:5], v[5:6]
	s_delay_alu instid0(VALU_DEP_3) | instskip(NEXT) | instid1(VALU_DEP_1)
	v_rndne_f64_e32 v[7:8], v[7:8]
	v_fma_f64 v[31:32], v[7:8], s[10:11], v[5:6]
	v_cvt_i32_f64_e32 v35, v[7:8]
	v_cmp_eq_f64_e64 s1, 0x40900000, v[7:8]
	s_delay_alu instid0(VALU_DEP_3) | instskip(NEXT) | instid1(VALU_DEP_2)
	v_fma_f64 v[31:32], v[7:8], s[12:13], v[31:32]
	v_cndmask_b32_e64 v7, v35, 0x3ff, s1
	s_delay_alu instid0(VALU_DEP_1) | instskip(NEXT) | instid1(VALU_DEP_3)
	v_ldexp_f64 v[7:8], 1.0, v7
	v_fma_f64 v[33:34], v[31:32], s[22:23], s[14:15]
	s_delay_alu instid0(VALU_DEP_2) | instskip(NEXT) | instid1(VALU_DEP_2)
	v_add_f64 v[35:36], v[7:8], -1.0
	v_fma_f64 v[33:34], v[31:32], v[33:34], s[24:25]
	s_delay_alu instid0(VALU_DEP_1) | instskip(NEXT) | instid1(VALU_DEP_1)
	v_fma_f64 v[33:34], v[31:32], v[33:34], s[26:27]
	v_fma_f64 v[33:34], v[31:32], v[33:34], s[28:29]
	s_delay_alu instid0(VALU_DEP_1) | instskip(NEXT) | instid1(VALU_DEP_1)
	v_fma_f64 v[33:34], v[31:32], v[33:34], s[30:31]
	;; [unrolled: 3-line block ×4, first 2 shown]
	v_fma_f64 v[33:34], v[31:32], v[33:34], 0.5
	s_delay_alu instid0(VALU_DEP_1) | instskip(NEXT) | instid1(VALU_DEP_1)
	v_mul_f64 v[33:34], v[31:32], v[33:34]
	v_fma_f64 v[31:32], v[31:32], v[33:34], v[31:32]
	s_delay_alu instid0(VALU_DEP_1) | instskip(NEXT) | instid1(VALU_DEP_1)
	v_fma_f64 v[7:8], v[7:8], v[31:32], v[35:36]
	v_add_f64 v[31:32], v[7:8], v[7:8]
	s_delay_alu instid0(VALU_DEP_1) | instskip(NEXT) | instid1(VALU_DEP_2)
	v_cndmask_b32_e64 v8, v8, v32, s1
	v_cndmask_b32_e64 v5, v7, v31, s1
	s_and_b32 s1, s3, s2
	s_delay_alu instid0(VALU_DEP_2) | instskip(NEXT) | instid1(VALU_DEP_2)
	v_cndmask_b32_e64 v8, 0x7ff00000, v8, s2
	v_cndmask_b32_e64 v5, 0, v5, s1
	v_add_co_u32 v7, s1, v29, s16
	s_delay_alu instid0(VALU_DEP_3)
	v_cndmask_b32_e64 v6, 0xbff00000, v8, s3
	v_add_co_ci_u32_e64 v8, s1, s17, v30, s1
	global_store_b64 v[7:8], v[5:6], off
	s_or_b32 exec_lo, exec_lo, s43
	s_and_saveexec_b32 s3, s0
	s_cbranch_execz .LBB142_19
.LBB142_23:                             ;   in Loop: Header=BB142_9 Depth=1
	s_waitcnt vmcnt(0)
	v_mul_f64 v[5:6], v[3:4], s[8:9]
	s_mov_b32 s4, s10
	v_cmp_ngt_f64_e64 s2, 0xc0428000, v[3:4]
	v_cmp_nlt_f64_e64 s1, s[4:5], v[3:4]
	s_delay_alu instid0(VALU_DEP_3) | instskip(NEXT) | instid1(VALU_DEP_1)
	v_rndne_f64_e32 v[5:6], v[5:6]
	v_fma_f64 v[7:8], v[5:6], s[10:11], v[3:4]
	v_cvt_i32_f64_e32 v33, v[5:6]
	v_cmp_eq_f64_e64 s0, 0x40900000, v[5:6]
	s_delay_alu instid0(VALU_DEP_3) | instskip(NEXT) | instid1(VALU_DEP_2)
	v_fma_f64 v[7:8], v[5:6], s[12:13], v[7:8]
	v_cndmask_b32_e64 v5, v33, 0x3ff, s0
	s_delay_alu instid0(VALU_DEP_1) | instskip(NEXT) | instid1(VALU_DEP_3)
	v_ldexp_f64 v[5:6], 1.0, v5
	v_fma_f64 v[31:32], v[7:8], s[22:23], s[14:15]
	s_delay_alu instid0(VALU_DEP_2) | instskip(NEXT) | instid1(VALU_DEP_2)
	v_add_f64 v[33:34], v[5:6], -1.0
	v_fma_f64 v[31:32], v[7:8], v[31:32], s[24:25]
	s_delay_alu instid0(VALU_DEP_1) | instskip(NEXT) | instid1(VALU_DEP_1)
	v_fma_f64 v[31:32], v[7:8], v[31:32], s[26:27]
	v_fma_f64 v[31:32], v[7:8], v[31:32], s[28:29]
	s_delay_alu instid0(VALU_DEP_1) | instskip(NEXT) | instid1(VALU_DEP_1)
	v_fma_f64 v[31:32], v[7:8], v[31:32], s[30:31]
	v_fma_f64 v[31:32], v[7:8], v[31:32], s[34:35]
	s_delay_alu instid0(VALU_DEP_1) | instskip(NEXT) | instid1(VALU_DEP_1)
	v_fma_f64 v[31:32], v[7:8], v[31:32], s[36:37]
	v_fma_f64 v[31:32], v[7:8], v[31:32], s[38:39]
	s_delay_alu instid0(VALU_DEP_1) | instskip(NEXT) | instid1(VALU_DEP_1)
	v_fma_f64 v[31:32], v[7:8], v[31:32], s[40:41]
	v_fma_f64 v[31:32], v[7:8], v[31:32], 0.5
	s_delay_alu instid0(VALU_DEP_1) | instskip(NEXT) | instid1(VALU_DEP_1)
	v_mul_f64 v[31:32], v[7:8], v[31:32]
	v_fma_f64 v[7:8], v[7:8], v[31:32], v[7:8]
	s_delay_alu instid0(VALU_DEP_1) | instskip(NEXT) | instid1(VALU_DEP_1)
	v_fma_f64 v[5:6], v[5:6], v[7:8], v[33:34]
	v_add_f64 v[7:8], v[5:6], v[5:6]
	s_delay_alu instid0(VALU_DEP_1) | instskip(NEXT) | instid1(VALU_DEP_2)
	v_cndmask_b32_e64 v6, v6, v8, s0
	v_cndmask_b32_e64 v3, v5, v7, s0
	s_and_b32 s0, s2, s1
	s_delay_alu instid0(VALU_DEP_2) | instskip(NEXT) | instid1(VALU_DEP_2)
	v_cndmask_b32_e64 v6, 0x7ff00000, v6, s1
	v_cndmask_b32_e64 v3, 0, v3, s0
	v_add_co_u32 v5, s0, v22, s16
	s_delay_alu instid0(VALU_DEP_3)
	v_cndmask_b32_e64 v4, 0xbff00000, v6, s2
	v_add_co_ci_u32_e64 v6, s0, s17, v23, s0
	global_store_b64 v[5:6], v[3:4], off
	s_or_b32 exec_lo, exec_lo, s3
	s_and_saveexec_b32 s2, vcc_lo
	s_cbranch_execz .LBB142_8
.LBB142_24:                             ;   in Loop: Header=BB142_9 Depth=1
	s_waitcnt vmcnt(0)
	v_mul_f64 v[3:4], v[1:2], s[8:9]
	s_mov_b32 s4, s10
	v_cmp_ngt_f64_e64 s1, 0xc0428000, v[1:2]
	v_cmp_nlt_f64_e64 s0, s[4:5], v[1:2]
	s_delay_alu instid0(VALU_DEP_3) | instskip(NEXT) | instid1(VALU_DEP_1)
	v_rndne_f64_e32 v[3:4], v[3:4]
	v_fma_f64 v[5:6], v[3:4], s[10:11], v[1:2]
	v_cvt_i32_f64_e32 v31, v[3:4]
	v_cmp_eq_f64_e32 vcc_lo, 0x40900000, v[3:4]
	s_delay_alu instid0(VALU_DEP_3) | instskip(NEXT) | instid1(VALU_DEP_3)
	v_fma_f64 v[5:6], v[3:4], s[12:13], v[5:6]
	v_cndmask_b32_e64 v3, v31, 0x3ff, vcc_lo
	s_delay_alu instid0(VALU_DEP_1) | instskip(NEXT) | instid1(VALU_DEP_3)
	v_ldexp_f64 v[3:4], 1.0, v3
	v_fma_f64 v[7:8], v[5:6], s[22:23], s[14:15]
	s_delay_alu instid0(VALU_DEP_2) | instskip(NEXT) | instid1(VALU_DEP_2)
	v_add_f64 v[31:32], v[3:4], -1.0
	v_fma_f64 v[7:8], v[5:6], v[7:8], s[24:25]
	s_delay_alu instid0(VALU_DEP_1) | instskip(NEXT) | instid1(VALU_DEP_1)
	v_fma_f64 v[7:8], v[5:6], v[7:8], s[26:27]
	v_fma_f64 v[7:8], v[5:6], v[7:8], s[28:29]
	s_delay_alu instid0(VALU_DEP_1) | instskip(NEXT) | instid1(VALU_DEP_1)
	v_fma_f64 v[7:8], v[5:6], v[7:8], s[30:31]
	v_fma_f64 v[7:8], v[5:6], v[7:8], s[34:35]
	s_delay_alu instid0(VALU_DEP_1) | instskip(NEXT) | instid1(VALU_DEP_1)
	v_fma_f64 v[7:8], v[5:6], v[7:8], s[36:37]
	v_fma_f64 v[7:8], v[5:6], v[7:8], s[38:39]
	s_delay_alu instid0(VALU_DEP_1) | instskip(NEXT) | instid1(VALU_DEP_1)
	v_fma_f64 v[7:8], v[5:6], v[7:8], s[40:41]
	v_fma_f64 v[7:8], v[5:6], v[7:8], 0.5
	s_delay_alu instid0(VALU_DEP_1) | instskip(NEXT) | instid1(VALU_DEP_1)
	v_mul_f64 v[7:8], v[5:6], v[7:8]
	v_fma_f64 v[5:6], v[5:6], v[7:8], v[5:6]
	s_delay_alu instid0(VALU_DEP_1) | instskip(NEXT) | instid1(VALU_DEP_1)
	v_fma_f64 v[3:4], v[3:4], v[5:6], v[31:32]
	v_add_f64 v[5:6], v[3:4], v[3:4]
	s_delay_alu instid0(VALU_DEP_1) | instskip(SKIP_1) | instid1(VALU_DEP_1)
	v_dual_cndmask_b32 v4, v4, v6 :: v_dual_cndmask_b32 v1, v3, v5
	s_and_b32 vcc_lo, s1, s0
	v_cndmask_b32_e64 v4, 0x7ff00000, v4, s0
	s_delay_alu instid0(VALU_DEP_2) | instskip(SKIP_1) | instid1(VALU_DEP_3)
	v_cndmask_b32_e32 v1, 0, v1, vcc_lo
	v_add_co_u32 v3, vcc_lo, v15, s16
	v_cndmask_b32_e64 v2, 0xbff00000, v4, s1
	v_add_co_ci_u32_e32 v4, vcc_lo, s17, v16, vcc_lo
	global_store_b64 v[3:4], v[1:2], off
	s_branch .LBB142_8
.LBB142_25:
	s_nop 0
	s_sendmsg sendmsg(MSG_DEALLOC_VGPRS)
	s_endpgm
	.section	.rodata,"a",@progbits
	.p2align	6, 0x0
	.amdhsa_kernel _ZN2at6native12_GLOBAL__N_125multi_tensor_apply_kernelINS1_18TensorListMetadataILi2EEENS1_14UnaryOpFunctorIdLi2ELi1ELi1EEEJNS0_5Expm1IdEEEEEvT_T0_DpT1_
		.amdhsa_group_segment_fixed_size 0
		.amdhsa_private_segment_fixed_size 0
		.amdhsa_kernarg_size 3408
		.amdhsa_user_sgpr_count 15
		.amdhsa_user_sgpr_dispatch_ptr 0
		.amdhsa_user_sgpr_queue_ptr 0
		.amdhsa_user_sgpr_kernarg_segment_ptr 1
		.amdhsa_user_sgpr_dispatch_id 0
		.amdhsa_user_sgpr_private_segment_size 0
		.amdhsa_wavefront_size32 1
		.amdhsa_uses_dynamic_stack 0
		.amdhsa_enable_private_segment 0
		.amdhsa_system_sgpr_workgroup_id_x 1
		.amdhsa_system_sgpr_workgroup_id_y 0
		.amdhsa_system_sgpr_workgroup_id_z 0
		.amdhsa_system_sgpr_workgroup_info 0
		.amdhsa_system_vgpr_workitem_id 0
		.amdhsa_next_free_vgpr 44
		.amdhsa_next_free_sgpr 61
		.amdhsa_reserve_vcc 1
		.amdhsa_float_round_mode_32 0
		.amdhsa_float_round_mode_16_64 0
		.amdhsa_float_denorm_mode_32 3
		.amdhsa_float_denorm_mode_16_64 3
		.amdhsa_dx10_clamp 1
		.amdhsa_ieee_mode 1
		.amdhsa_fp16_overflow 0
		.amdhsa_workgroup_processor_mode 1
		.amdhsa_memory_ordered 1
		.amdhsa_forward_progress 0
		.amdhsa_shared_vgpr_count 0
		.amdhsa_exception_fp_ieee_invalid_op 0
		.amdhsa_exception_fp_denorm_src 0
		.amdhsa_exception_fp_ieee_div_zero 0
		.amdhsa_exception_fp_ieee_overflow 0
		.amdhsa_exception_fp_ieee_underflow 0
		.amdhsa_exception_fp_ieee_inexact 0
		.amdhsa_exception_int_div_zero 0
	.end_amdhsa_kernel
	.section	.text._ZN2at6native12_GLOBAL__N_125multi_tensor_apply_kernelINS1_18TensorListMetadataILi2EEENS1_14UnaryOpFunctorIdLi2ELi1ELi1EEEJNS0_5Expm1IdEEEEEvT_T0_DpT1_,"axG",@progbits,_ZN2at6native12_GLOBAL__N_125multi_tensor_apply_kernelINS1_18TensorListMetadataILi2EEENS1_14UnaryOpFunctorIdLi2ELi1ELi1EEEJNS0_5Expm1IdEEEEEvT_T0_DpT1_,comdat
.Lfunc_end142:
	.size	_ZN2at6native12_GLOBAL__N_125multi_tensor_apply_kernelINS1_18TensorListMetadataILi2EEENS1_14UnaryOpFunctorIdLi2ELi1ELi1EEEJNS0_5Expm1IdEEEEEvT_T0_DpT1_, .Lfunc_end142-_ZN2at6native12_GLOBAL__N_125multi_tensor_apply_kernelINS1_18TensorListMetadataILi2EEENS1_14UnaryOpFunctorIdLi2ELi1ELi1EEEJNS0_5Expm1IdEEEEEvT_T0_DpT1_
                                        ; -- End function
	.section	.AMDGPU.csdata,"",@progbits
; Kernel info:
; codeLenInByte = 4156
; NumSgprs: 63
; NumVgprs: 44
; ScratchSize: 0
; MemoryBound: 0
; FloatMode: 240
; IeeeMode: 1
; LDSByteSize: 0 bytes/workgroup (compile time only)
; SGPRBlocks: 7
; VGPRBlocks: 5
; NumSGPRsForWavesPerEU: 63
; NumVGPRsForWavesPerEU: 44
; Occupancy: 16
; WaveLimiterHint : 0
; COMPUTE_PGM_RSRC2:SCRATCH_EN: 0
; COMPUTE_PGM_RSRC2:USER_SGPR: 15
; COMPUTE_PGM_RSRC2:TRAP_HANDLER: 0
; COMPUTE_PGM_RSRC2:TGID_X_EN: 1
; COMPUTE_PGM_RSRC2:TGID_Y_EN: 0
; COMPUTE_PGM_RSRC2:TGID_Z_EN: 0
; COMPUTE_PGM_RSRC2:TIDIG_COMP_CNT: 0
	.section	.text._ZN2at6native12_GLOBAL__N_125multi_tensor_apply_kernelINS1_18TensorListMetadataILi2EEENS1_14UnaryOpFunctorIfLi2ELi1ELi1EEEJNS0_5Expm1IfEEEEEvT_T0_DpT1_,"axG",@progbits,_ZN2at6native12_GLOBAL__N_125multi_tensor_apply_kernelINS1_18TensorListMetadataILi2EEENS1_14UnaryOpFunctorIfLi2ELi1ELi1EEEJNS0_5Expm1IfEEEEEvT_T0_DpT1_,comdat
	.globl	_ZN2at6native12_GLOBAL__N_125multi_tensor_apply_kernelINS1_18TensorListMetadataILi2EEENS1_14UnaryOpFunctorIfLi2ELi1ELi1EEEJNS0_5Expm1IfEEEEEvT_T0_DpT1_ ; -- Begin function _ZN2at6native12_GLOBAL__N_125multi_tensor_apply_kernelINS1_18TensorListMetadataILi2EEENS1_14UnaryOpFunctorIfLi2ELi1ELi1EEEJNS0_5Expm1IfEEEEEvT_T0_DpT1_
	.p2align	8
	.type	_ZN2at6native12_GLOBAL__N_125multi_tensor_apply_kernelINS1_18TensorListMetadataILi2EEENS1_14UnaryOpFunctorIfLi2ELi1ELi1EEEJNS0_5Expm1IfEEEEEvT_T0_DpT1_,@function
_ZN2at6native12_GLOBAL__N_125multi_tensor_apply_kernelINS1_18TensorListMetadataILi2EEENS1_14UnaryOpFunctorIfLi2ELi1ELi1EEEJNS0_5Expm1IfEEEEEvT_T0_DpT1_: ; @_ZN2at6native12_GLOBAL__N_125multi_tensor_apply_kernelINS1_18TensorListMetadataILi2EEENS1_14UnaryOpFunctorIfLi2ELi1ELi1EEEJNS0_5Expm1IfEEEEEvT_T0_DpT1_
; %bb.0:
	v_mov_b32_e32 v1, s15
	s_add_u32 s2, s0, s15
	s_mul_hi_u32 s3, s15, 3
	s_mul_i32 s15, s15, 3
	s_addc_u32 s4, s1, 0
	global_load_u8 v1, v1, s[0:1] offset:1536
	s_add_u32 s2, s2, s15
	s_addc_u32 s3, s4, s3
	s_mov_b32 s19, 0
	s_load_b32 s2, s[2:3], 0x740
	s_mov_b32 s21, s19
	s_mov_b32 s23, s19
	s_waitcnt vmcnt(0)
	v_readfirstlane_b32 s5, v1
	s_delay_alu instid0(VALU_DEP_1)
	s_lshl_b32 s3, s5, 3
	s_clause 0x2
	s_load_b64 s[10:11], s[0:1], s3 offset:0x0
	s_load_b64 s[12:13], s[0:1], s3 offset:0x200
	;; [unrolled: 1-line block ×3, first 2 shown]
	s_waitcnt lgkmcnt(0)
	s_ashr_i32 s3, s2, 31
	s_delay_alu instid0(SALU_CYCLE_1) | instskip(NEXT) | instid1(SALU_CYCLE_1)
	s_lshl_b64 s[6:7], s[2:3], 18
	s_add_u32 s5, s10, s6
	s_addc_u32 s14, s11, s7
	s_and_b32 s18, s5, 15
	s_add_u32 s15, s12, s6
	s_addc_u32 s16, s13, s7
	s_and_b32 s20, s8, 3
	s_and_b32 s22, s15, 15
	s_or_b64 s[18:19], s[18:19], s[20:21]
	s_lshl_b64 s[2:3], s[2:3], 16
	s_or_b64 s[18:19], s[22:23], s[18:19]
	s_sub_u32 s8, s8, s2
	s_subb_u32 s9, s9, s3
	s_cmp_eq_u64 s[18:19], 0
	s_mov_b32 s2, -1
	s_cbranch_scc0 .LBB143_5
; %bb.1:
	v_dual_mov_b32 v2, 0 :: v_dual_lshlrev_b32 v1, 2, v0
	s_mov_b32 s17, exec_lo
	s_delay_alu instid0(VALU_DEP_1)
	v_cmpx_gt_i64_e64 s[8:9], v[1:2]
	s_cbranch_execz .LBB143_4
; %bb.2:
	s_load_b32 s2, s[0:1], 0xc5c
	v_lshlrev_b32_e32 v3, 4, v0
	s_mov_b32 s18, 0
	s_mov_b32 s21, 0x395133b1
	s_waitcnt lgkmcnt(0)
	s_and_b32 s2, s2, 0xffff
	s_delay_alu instid0(SALU_CYCLE_1)
	v_add_lshl_u32 v1, v0, s2, 2
	s_lshl_b32 s19, s2, 2
	s_lshl_b32 s20, s2, 4
.LBB143_3:                              ; =>This Inner Loop Header: Depth=1
	v_add_co_u32 v4, s2, s5, v3
	s_delay_alu instid0(VALU_DEP_1)
	v_add_co_ci_u32_e64 v5, null, s14, 0, s2
	v_add_co_u32 v8, s3, s15, v3
	v_cmp_le_i64_e32 vcc_lo, s[8:9], v[1:2]
	global_load_b128 v[4:7], v[4:5], off
	v_cmp_lt_u64_e64 s2, 0xffff, v[1:2]
	v_add_co_ci_u32_e64 v9, null, s16, 0, s3
	v_add_co_u32 v1, s3, v1, s19
	s_delay_alu instid0(VALU_DEP_1) | instskip(NEXT) | instid1(VALU_DEP_4)
	v_add_co_ci_u32_e64 v2, s3, 0, v2, s3
	s_or_b32 s22, vcc_lo, s2
	s_add_u32 s5, s5, s20
	s_addc_u32 s14, s14, 0
	s_add_u32 s15, s15, s20
	s_addc_u32 s16, s16, 0
	s_waitcnt vmcnt(0)
	v_dual_mul_f32 v12, 0x3fb8aa3b, v6 :: v_dual_mul_f32 v13, 0x3fb8aa3b, v7
	v_dual_mul_f32 v10, 0x3fb8aa3b, v4 :: v_dual_mul_f32 v11, 0x3fb8aa3b, v5
	s_delay_alu instid0(VALU_DEP_2) | instskip(NEXT) | instid1(VALU_DEP_3)
	v_rndne_f32_e32 v12, v12
	v_rndne_f32_e32 v13, v13
	s_delay_alu instid0(VALU_DEP_3) | instskip(NEXT) | instid1(VALU_DEP_4)
	v_rndne_f32_e32 v10, v10
	v_rndne_f32_e32 v11, v11
	s_delay_alu instid0(VALU_DEP_4) | instskip(NEXT) | instid1(VALU_DEP_4)
	v_cvt_i32_f32_e32 v19, v12
	v_fmamk_f32 v20, v13, 0xbf317218, v7
	v_cvt_i32_f32_e32 v21, v13
	v_cmp_eq_f32_e64 s3, 0x43000000, v13
	v_cvt_i32_f32_e32 v17, v11
	v_cmp_eq_f32_e32 vcc_lo, 0x43000000, v11
	v_fmac_f32_e32 v20, 0x3102e308, v13
	v_cvt_i32_f32_e32 v15, v10
	v_cndmask_b32_e64 v13, v21, 0x7f, s3
	v_cmp_eq_f32_e64 s4, 0x43000000, v10
	v_cmp_eq_f32_e64 s2, 0x43000000, v12
	v_fmaak_f32 v21, s21, v20, 0x3ab69700
	s_delay_alu instid0(VALU_DEP_4) | instskip(SKIP_1) | instid1(VALU_DEP_3)
	v_ldexp_f32 v13, 1.0, v13
	v_fmamk_f32 v16, v11, 0xbf317218, v5
	v_fmaak_f32 v21, v20, v21, 0x3c0887f9
	s_delay_alu instid0(VALU_DEP_3) | instskip(NEXT) | instid1(VALU_DEP_2)
	v_add_f32_e32 v25, -1.0, v13
	v_fmaak_f32 v21, v20, v21, 0x3d2aaa81
	s_delay_alu instid0(VALU_DEP_1) | instskip(NEXT) | instid1(VALU_DEP_1)
	v_fmaak_f32 v21, v20, v21, 0x3e2aaaab
	v_fma_f32 v21, v20, v21, 0.5
	v_fmac_f32_e32 v16, 0x3102e308, v11
	v_cndmask_b32_e64 v11, v17, 0x7f, vcc_lo
	s_delay_alu instid0(VALU_DEP_3) | instskip(NEXT) | instid1(VALU_DEP_2)
	v_mul_f32_e32 v21, v20, v21
	v_ldexp_f32 v11, 1.0, v11
	s_delay_alu instid0(VALU_DEP_1) | instskip(NEXT) | instid1(VALU_DEP_1)
	v_dual_fmamk_f32 v14, v10, 0xbf317218, v4 :: v_dual_add_f32 v23, -1.0, v11
	v_fmac_f32_e32 v14, 0x3102e308, v10
	v_cndmask_b32_e64 v10, v15, 0x7f, s4
	s_delay_alu instid0(VALU_DEP_2) | instskip(NEXT) | instid1(VALU_DEP_2)
	v_fmaak_f32 v15, s21, v14, 0x3ab69700
	v_ldexp_f32 v10, 1.0, v10
	s_delay_alu instid0(VALU_DEP_1) | instskip(NEXT) | instid1(VALU_DEP_1)
	v_dual_fmaak_f32 v17, s21, v16, 0x3ab69700 :: v_dual_add_f32 v22, -1.0, v10
	v_fmaak_f32 v17, v16, v17, 0x3c0887f9
	s_delay_alu instid0(VALU_DEP_1) | instskip(NEXT) | instid1(VALU_DEP_1)
	v_fmaak_f32 v17, v16, v17, 0x3d2aaa81
	v_fmaak_f32 v17, v16, v17, 0x3e2aaaab
	s_delay_alu instid0(VALU_DEP_1) | instskip(NEXT) | instid1(VALU_DEP_1)
	v_fma_f32 v17, v16, v17, 0.5
	v_mul_f32_e32 v17, v16, v17
	s_delay_alu instid0(VALU_DEP_1) | instskip(NEXT) | instid1(VALU_DEP_1)
	v_fmac_f32_e32 v16, v16, v17
	v_fmac_f32_e32 v23, v11, v16
	v_dual_fmaak_f32 v15, v14, v15, 0x3c0887f9 :: v_dual_fmac_f32 v20, v20, v21
	s_delay_alu instid0(VALU_DEP_2) | instskip(NEXT) | instid1(VALU_DEP_2)
	v_add_f32_e32 v11, v23, v23
	v_fmaak_f32 v15, v14, v15, 0x3d2aaa81
	s_delay_alu instid0(VALU_DEP_3) | instskip(NEXT) | instid1(VALU_DEP_3)
	v_fmac_f32_e32 v25, v13, v20
	v_cndmask_b32_e32 v11, v23, v11, vcc_lo
	s_delay_alu instid0(VALU_DEP_3) | instskip(NEXT) | instid1(VALU_DEP_3)
	v_fmaak_f32 v15, v14, v15, 0x3e2aaaab
	v_add_f32_e32 v13, v25, v25
	v_cmp_nlt_f32_e32 vcc_lo, 0x42b17217, v5
	s_delay_alu instid0(VALU_DEP_3) | instskip(SKIP_1) | instid1(VALU_DEP_4)
	v_fma_f32 v15, v14, v15, 0.5
	v_fmamk_f32 v18, v12, 0xbf317218, v6
	v_cndmask_b32_e64 v13, v25, v13, s3
	v_cmp_nlt_f32_e64 s3, 0x42b17217, v7
	v_cndmask_b32_e32 v11, 0x7f800000, v11, vcc_lo
	s_delay_alu instid0(VALU_DEP_4)
	v_dual_mul_f32 v15, v14, v15 :: v_dual_fmac_f32 v18, 0x3102e308, v12
	v_cndmask_b32_e64 v12, v19, 0x7f, s2
	v_cmp_ngt_f32_e32 vcc_lo, 0xc1880000, v5
	v_cndmask_b32_e64 v13, 0x7f800000, v13, s3
	v_cmp_ngt_f32_e64 s3, 0xc1880000, v7
	v_fmaak_f32 v19, s21, v18, 0x3ab69700
	v_ldexp_f32 v12, 1.0, v12
	v_cndmask_b32_e32 v5, -1.0, v11, vcc_lo
	s_delay_alu instid0(VALU_DEP_4) | instskip(NEXT) | instid1(VALU_DEP_3)
	v_cndmask_b32_e64 v7, -1.0, v13, s3
	v_dual_add_f32 v24, -1.0, v12 :: v_dual_fmaak_f32 v19, v18, v19, 0x3c0887f9
	s_delay_alu instid0(VALU_DEP_1) | instskip(NEXT) | instid1(VALU_DEP_1)
	v_fmaak_f32 v19, v18, v19, 0x3d2aaa81
	v_fmaak_f32 v19, v18, v19, 0x3e2aaaab
	s_delay_alu instid0(VALU_DEP_1) | instskip(NEXT) | instid1(VALU_DEP_1)
	v_fma_f32 v19, v18, v19, 0.5
	v_mul_f32_e32 v19, v18, v19
	v_fmac_f32_e32 v14, v14, v15
	s_delay_alu instid0(VALU_DEP_2) | instskip(NEXT) | instid1(VALU_DEP_2)
	v_fmac_f32_e32 v18, v18, v19
	v_fmac_f32_e32 v22, v10, v14
	s_delay_alu instid0(VALU_DEP_2) | instskip(NEXT) | instid1(VALU_DEP_2)
	v_fmac_f32_e32 v24, v12, v18
	v_add_f32_e32 v10, v22, v22
	s_delay_alu instid0(VALU_DEP_2) | instskip(NEXT) | instid1(VALU_DEP_2)
	v_add_f32_e32 v12, v24, v24
	v_cndmask_b32_e64 v10, v22, v10, s4
	v_cmp_nlt_f32_e64 s4, 0x42b17217, v4
	s_delay_alu instid0(VALU_DEP_3) | instskip(SKIP_1) | instid1(VALU_DEP_3)
	v_cndmask_b32_e64 v12, v24, v12, s2
	v_cmp_nlt_f32_e64 s2, 0x42b17217, v6
	v_cndmask_b32_e64 v10, 0x7f800000, v10, s4
	v_cmp_ngt_f32_e64 s4, 0xc1880000, v4
	s_delay_alu instid0(VALU_DEP_3) | instskip(SKIP_1) | instid1(VALU_DEP_3)
	v_cndmask_b32_e64 v12, 0x7f800000, v12, s2
	v_cmp_ngt_f32_e64 s2, 0xc1880000, v6
	v_cndmask_b32_e64 v4, -1.0, v10, s4
	s_delay_alu instid0(VALU_DEP_2) | instskip(SKIP_1) | instid1(SALU_CYCLE_1)
	v_cndmask_b32_e64 v6, -1.0, v12, s2
	s_and_b32 s2, exec_lo, s22
	s_or_b32 s18, s2, s18
	global_store_b128 v[8:9], v[4:7], off
	s_and_not1_b32 exec_lo, exec_lo, s18
	s_cbranch_execnz .LBB143_3
.LBB143_4:
	s_or_b32 exec_lo, exec_lo, s17
	s_mov_b32 s2, 0
.LBB143_5:
	s_delay_alu instid0(SALU_CYCLE_1)
	s_and_not1_b32 vcc_lo, exec_lo, s2
	s_cbranch_vccnz .LBB143_25
; %bb.6:
	v_cmp_lt_i64_e64 s2, s[8:9], 1
	s_delay_alu instid0(VALU_DEP_1)
	s_and_b32 vcc_lo, exec_lo, s2
	s_cbranch_vccnz .LBB143_25
; %bb.7:
	s_load_b32 s0, s[0:1], 0xc5c
	v_dual_mov_b32 v10, 0 :: v_dual_lshlrev_b32 v9, 2, v0
	v_cmp_gt_u64_e64 s1, 0x10000, s[8:9]
	s_delay_alu instid0(VALU_DEP_2) | instskip(NEXT) | instid1(VALU_DEP_1)
	v_add_co_u32 v1, s2, s10, v9
	v_add_co_ci_u32_e64 v2, null, s11, 0, s2
	v_add_co_u32 v3, s2, s12, v9
	s_delay_alu instid0(VALU_DEP_1)
	v_add_co_ci_u32_e64 v4, null, s13, 0, s2
	s_waitcnt lgkmcnt(0)
	s_and_b32 s0, s0, 0xffff
	s_and_b32 s1, s1, exec_lo
	v_mad_u64_u32 v[7:8], null, s0, 12, v[9:10]
	s_cselect_b32 s5, s9, 0
	s_cselect_b32 s4, s8, 0x10000
	s_mul_i32 s2, s0, 3
	s_lshl_b32 s3, s0, 3
	s_lshl_b32 s1, s0, 1
	v_add_co_u32 v14, s3, s3, v9
	v_add_co_u32 v9, s2, s2, v0
	s_delay_alu instid0(VALU_DEP_1) | instskip(SKIP_3) | instid1(VALU_DEP_3)
	v_add_co_ci_u32_e64 v10, null, 0, 0, s2
	v_add_co_u32 v13, s2, v0, s0
	v_add_co_u32 v5, vcc_lo, s10, v7
	v_add_co_ci_u32_e32 v6, vcc_lo, s11, v8, vcc_lo
	v_lshlrev_b32_e32 v21, 2, v13
	v_add_co_u32 v7, vcc_lo, s12, v7
	v_add_co_ci_u32_e64 v15, null, 0, 0, s3
	v_add_co_ci_u32_e32 v8, vcc_lo, s13, v8, vcc_lo
	v_add_co_u32 v17, s1, s1, v0
	v_add_co_u32 v11, vcc_lo, s10, v14
	v_add_co_ci_u32_e64 v18, null, 0, 0, s1
	v_add_co_u32 v19, s1, s10, v21
	v_add_co_ci_u32_e32 v12, vcc_lo, s11, v15, vcc_lo
	v_add_co_u32 v14, vcc_lo, s12, v14
	v_add_co_ci_u32_e64 v20, null, s11, 0, s1
	v_add_co_u32 v21, s1, s12, v21
	v_add_co_ci_u32_e32 v15, vcc_lo, s13, v15, vcc_lo
	v_add_co_ci_u32_e64 v16, null, 0, 0, s2
	v_add_co_ci_u32_e64 v22, null, s13, 0, s1
	s_lshl_b32 s14, s0, 2
	s_lshl_b32 s12, s0, 4
	s_mov_b64 s[10:11], 0
	s_mov_b32 s13, 0x395133b1
	s_branch .LBB143_9
.LBB143_8:                              ;   in Loop: Header=BB143_9 Depth=1
	s_or_b32 exec_lo, exec_lo, s0
	v_add_co_u32 v1, vcc_lo, v1, s12
	v_add_co_ci_u32_e32 v2, vcc_lo, 0, v2, vcc_lo
	v_add_co_u32 v3, vcc_lo, v3, s12
	v_add_co_ci_u32_e32 v4, vcc_lo, 0, v4, vcc_lo
	;; [unrolled: 2-line block ×5, first 2 shown]
	s_add_u32 s10, s10, s14
	v_add_co_u32 v14, vcc_lo, v14, s12
	s_addc_u32 s11, s11, 0
	v_add_co_ci_u32_e32 v15, vcc_lo, 0, v15, vcc_lo
	v_cmp_ge_i64_e64 s0, s[10:11], s[8:9]
	v_cmp_lt_u64_e64 s1, 0xffff, s[10:11]
	v_add_co_u32 v19, vcc_lo, v19, s12
	v_add_co_ci_u32_e32 v20, vcc_lo, 0, v20, vcc_lo
	v_add_co_u32 v21, vcc_lo, v21, s12
	v_add_co_ci_u32_e32 v22, vcc_lo, 0, v22, vcc_lo
	s_or_b32 s0, s0, s1
	s_delay_alu instid0(SALU_CYCLE_1)
	s_and_b32 vcc_lo, exec_lo, s0
	s_cbranch_vccnz .LBB143_25
.LBB143_9:                              ; =>This Inner Loop Header: Depth=1
	s_waitcnt vmcnt(0)
	v_add_co_u32 v23, s0, v0, s10
	s_delay_alu instid0(VALU_DEP_1) | instskip(SKIP_1) | instid1(VALU_DEP_2)
	v_add_co_ci_u32_e64 v24, null, 0, s11, s0
	v_mov_b32_e32 v26, 0
	v_cmp_gt_u64_e64 s2, s[4:5], v[23:24]
	s_delay_alu instid0(VALU_DEP_1)
	s_and_saveexec_b32 s0, s2
	s_cbranch_execz .LBB143_11
; %bb.10:                               ;   in Loop: Header=BB143_9 Depth=1
	v_add_co_u32 v23, vcc_lo, v1, s6
	v_add_co_ci_u32_e32 v24, vcc_lo, s7, v2, vcc_lo
	global_load_b32 v26, v[23:24], off
.LBB143_11:                             ;   in Loop: Header=BB143_9 Depth=1
	s_or_b32 exec_lo, exec_lo, s0
	v_add_co_u32 v23, vcc_lo, v13, s10
	v_add_co_ci_u32_e32 v24, vcc_lo, s11, v16, vcc_lo
	v_mov_b32_e32 v25, 0
	s_delay_alu instid0(VALU_DEP_2) | instskip(NEXT) | instid1(VALU_DEP_1)
	v_cmp_gt_u64_e64 s1, s[4:5], v[23:24]
	s_and_saveexec_b32 s0, s1
	s_cbranch_execz .LBB143_13
; %bb.12:                               ;   in Loop: Header=BB143_9 Depth=1
	v_add_co_u32 v23, vcc_lo, v19, s6
	v_add_co_ci_u32_e32 v24, vcc_lo, s7, v20, vcc_lo
	global_load_b32 v25, v[23:24], off
.LBB143_13:                             ;   in Loop: Header=BB143_9 Depth=1
	s_or_b32 exec_lo, exec_lo, s0
	v_add_co_u32 v23, vcc_lo, v17, s10
	v_add_co_ci_u32_e32 v24, vcc_lo, s11, v18, vcc_lo
	s_delay_alu instid0(VALU_DEP_1) | instskip(SKIP_1) | instid1(VALU_DEP_2)
	v_cmp_gt_u64_e64 s0, s[4:5], v[23:24]
	v_dual_mov_b32 v23, 0 :: v_dual_mov_b32 v24, 0
	s_and_saveexec_b32 s3, s0
	s_cbranch_execz .LBB143_15
; %bb.14:                               ;   in Loop: Header=BB143_9 Depth=1
	v_add_co_u32 v27, vcc_lo, v11, s6
	v_add_co_ci_u32_e32 v28, vcc_lo, s7, v12, vcc_lo
	global_load_b32 v24, v[27:28], off
.LBB143_15:                             ;   in Loop: Header=BB143_9 Depth=1
	s_or_b32 exec_lo, exec_lo, s3
	v_add_co_u32 v27, vcc_lo, v9, s10
	v_add_co_ci_u32_e32 v28, vcc_lo, s11, v10, vcc_lo
	s_delay_alu instid0(VALU_DEP_1)
	v_cmp_gt_u64_e32 vcc_lo, s[4:5], v[27:28]
	s_and_saveexec_b32 s15, vcc_lo
	s_cbranch_execnz .LBB143_20
; %bb.16:                               ;   in Loop: Header=BB143_9 Depth=1
	s_or_b32 exec_lo, exec_lo, s15
	s_and_saveexec_b32 s3, s2
	s_cbranch_execnz .LBB143_21
.LBB143_17:                             ;   in Loop: Header=BB143_9 Depth=1
	s_or_b32 exec_lo, exec_lo, s3
	s_and_saveexec_b32 s2, s1
	s_cbranch_execnz .LBB143_22
.LBB143_18:                             ;   in Loop: Header=BB143_9 Depth=1
	s_or_b32 exec_lo, exec_lo, s2
	s_and_saveexec_b32 s1, s0
	s_cbranch_execnz .LBB143_23
.LBB143_19:                             ;   in Loop: Header=BB143_9 Depth=1
	s_or_b32 exec_lo, exec_lo, s1
	s_and_saveexec_b32 s0, vcc_lo
	s_cbranch_execz .LBB143_8
	s_branch .LBB143_24
.LBB143_20:                             ;   in Loop: Header=BB143_9 Depth=1
	v_add_co_u32 v27, s3, v5, s6
	s_delay_alu instid0(VALU_DEP_1)
	v_add_co_ci_u32_e64 v28, s3, s7, v6, s3
	global_load_b32 v23, v[27:28], off
	s_or_b32 exec_lo, exec_lo, s15
	s_and_saveexec_b32 s3, s2
	s_cbranch_execz .LBB143_17
.LBB143_21:                             ;   in Loop: Header=BB143_9 Depth=1
	s_waitcnt vmcnt(0)
	v_mul_f32_e32 v27, 0x3fb8aa3b, v26
	s_delay_alu instid0(VALU_DEP_1) | instskip(NEXT) | instid1(VALU_DEP_1)
	v_rndne_f32_e32 v27, v27
	v_fmamk_f32 v28, v27, 0xbf317218, v26
	v_cvt_i32_f32_e32 v30, v27
	v_cmp_eq_f32_e64 s2, 0x43000000, v27
	s_delay_alu instid0(VALU_DEP_3) | instskip(NEXT) | instid1(VALU_DEP_2)
	v_fmac_f32_e32 v28, 0x3102e308, v27
	v_cndmask_b32_e64 v27, v30, 0x7f, s2
	s_delay_alu instid0(VALU_DEP_1) | instskip(NEXT) | instid1(VALU_DEP_1)
	v_ldexp_f32 v27, 1.0, v27
	v_dual_fmaak_f32 v29, s13, v28, 0x3ab69700 :: v_dual_add_f32 v30, -1.0, v27
	s_delay_alu instid0(VALU_DEP_1) | instskip(NEXT) | instid1(VALU_DEP_1)
	v_fmaak_f32 v29, v28, v29, 0x3c0887f9
	v_fmaak_f32 v29, v28, v29, 0x3d2aaa81
	s_delay_alu instid0(VALU_DEP_1) | instskip(NEXT) | instid1(VALU_DEP_1)
	v_fmaak_f32 v29, v28, v29, 0x3e2aaaab
	v_fma_f32 v29, v28, v29, 0.5
	s_delay_alu instid0(VALU_DEP_1) | instskip(NEXT) | instid1(VALU_DEP_1)
	v_mul_f32_e32 v29, v28, v29
	v_fmac_f32_e32 v28, v28, v29
	s_delay_alu instid0(VALU_DEP_1) | instskip(NEXT) | instid1(VALU_DEP_1)
	v_fmac_f32_e32 v30, v27, v28
	v_add_f32_e32 v27, v30, v30
	s_delay_alu instid0(VALU_DEP_1) | instskip(SKIP_1) | instid1(VALU_DEP_1)
	v_cndmask_b32_e64 v27, v30, v27, s2
	v_cmp_nlt_f32_e64 s2, 0x42b17217, v26
	v_cndmask_b32_e64 v27, 0x7f800000, v27, s2
	v_cmp_ngt_f32_e64 s2, 0xc1880000, v26
	s_delay_alu instid0(VALU_DEP_1) | instskip(SKIP_1) | instid1(VALU_DEP_1)
	v_cndmask_b32_e64 v28, -1.0, v27, s2
	v_add_co_u32 v26, s2, v3, s6
	v_add_co_ci_u32_e64 v27, s2, s7, v4, s2
	global_store_b32 v[26:27], v28, off
	s_or_b32 exec_lo, exec_lo, s3
	s_and_saveexec_b32 s2, s1
	s_cbranch_execz .LBB143_18
.LBB143_22:                             ;   in Loop: Header=BB143_9 Depth=1
	s_waitcnt vmcnt(0)
	v_mul_f32_e32 v26, 0x3fb8aa3b, v25
	s_delay_alu instid0(VALU_DEP_1) | instskip(NEXT) | instid1(VALU_DEP_1)
	v_rndne_f32_e32 v26, v26
	v_fmamk_f32 v27, v26, 0xbf317218, v25
	v_cvt_i32_f32_e32 v29, v26
	v_cmp_eq_f32_e64 s1, 0x43000000, v26
	s_delay_alu instid0(VALU_DEP_3) | instskip(NEXT) | instid1(VALU_DEP_2)
	v_fmac_f32_e32 v27, 0x3102e308, v26
	v_cndmask_b32_e64 v26, v29, 0x7f, s1
	s_delay_alu instid0(VALU_DEP_1) | instskip(NEXT) | instid1(VALU_DEP_1)
	v_ldexp_f32 v26, 1.0, v26
	v_dual_fmaak_f32 v28, s13, v27, 0x3ab69700 :: v_dual_add_f32 v29, -1.0, v26
	s_delay_alu instid0(VALU_DEP_1) | instskip(NEXT) | instid1(VALU_DEP_1)
	v_fmaak_f32 v28, v27, v28, 0x3c0887f9
	v_fmaak_f32 v28, v27, v28, 0x3d2aaa81
	s_delay_alu instid0(VALU_DEP_1) | instskip(NEXT) | instid1(VALU_DEP_1)
	v_fmaak_f32 v28, v27, v28, 0x3e2aaaab
	v_fma_f32 v28, v27, v28, 0.5
	s_delay_alu instid0(VALU_DEP_1) | instskip(NEXT) | instid1(VALU_DEP_1)
	v_mul_f32_e32 v28, v27, v28
	v_fmac_f32_e32 v27, v27, v28
	s_delay_alu instid0(VALU_DEP_1) | instskip(NEXT) | instid1(VALU_DEP_1)
	v_fmac_f32_e32 v29, v26, v27
	v_add_f32_e32 v26, v29, v29
	s_delay_alu instid0(VALU_DEP_1) | instskip(SKIP_1) | instid1(VALU_DEP_1)
	v_cndmask_b32_e64 v26, v29, v26, s1
	v_cmp_nlt_f32_e64 s1, 0x42b17217, v25
	v_cndmask_b32_e64 v26, 0x7f800000, v26, s1
	v_cmp_ngt_f32_e64 s1, 0xc1880000, v25
	s_delay_alu instid0(VALU_DEP_1) | instskip(SKIP_1) | instid1(VALU_DEP_1)
	v_cndmask_b32_e64 v27, -1.0, v26, s1
	v_add_co_u32 v25, s1, v21, s6
	v_add_co_ci_u32_e64 v26, s1, s7, v22, s1
	global_store_b32 v[25:26], v27, off
	s_or_b32 exec_lo, exec_lo, s2
	s_and_saveexec_b32 s1, s0
	s_cbranch_execz .LBB143_19
.LBB143_23:                             ;   in Loop: Header=BB143_9 Depth=1
	s_waitcnt vmcnt(0)
	v_mul_f32_e32 v25, 0x3fb8aa3b, v24
	s_delay_alu instid0(VALU_DEP_1) | instskip(NEXT) | instid1(VALU_DEP_1)
	v_rndne_f32_e32 v25, v25
	v_fmamk_f32 v26, v25, 0xbf317218, v24
	v_cvt_i32_f32_e32 v28, v25
	v_cmp_eq_f32_e64 s0, 0x43000000, v25
	s_delay_alu instid0(VALU_DEP_3) | instskip(NEXT) | instid1(VALU_DEP_2)
	v_fmac_f32_e32 v26, 0x3102e308, v25
	v_cndmask_b32_e64 v25, v28, 0x7f, s0
	s_delay_alu instid0(VALU_DEP_1) | instskip(NEXT) | instid1(VALU_DEP_1)
	v_ldexp_f32 v25, 1.0, v25
	v_dual_fmaak_f32 v27, s13, v26, 0x3ab69700 :: v_dual_add_f32 v28, -1.0, v25
	s_delay_alu instid0(VALU_DEP_1) | instskip(NEXT) | instid1(VALU_DEP_1)
	v_fmaak_f32 v27, v26, v27, 0x3c0887f9
	v_fmaak_f32 v27, v26, v27, 0x3d2aaa81
	s_delay_alu instid0(VALU_DEP_1) | instskip(NEXT) | instid1(VALU_DEP_1)
	v_fmaak_f32 v27, v26, v27, 0x3e2aaaab
	v_fma_f32 v27, v26, v27, 0.5
	s_delay_alu instid0(VALU_DEP_1) | instskip(NEXT) | instid1(VALU_DEP_1)
	v_mul_f32_e32 v27, v26, v27
	v_fmac_f32_e32 v26, v26, v27
	s_delay_alu instid0(VALU_DEP_1) | instskip(NEXT) | instid1(VALU_DEP_1)
	v_fmac_f32_e32 v28, v25, v26
	v_add_f32_e32 v25, v28, v28
	s_delay_alu instid0(VALU_DEP_1) | instskip(SKIP_1) | instid1(VALU_DEP_1)
	v_cndmask_b32_e64 v25, v28, v25, s0
	v_cmp_nlt_f32_e64 s0, 0x42b17217, v24
	v_cndmask_b32_e64 v25, 0x7f800000, v25, s0
	v_cmp_ngt_f32_e64 s0, 0xc1880000, v24
	s_delay_alu instid0(VALU_DEP_1) | instskip(SKIP_1) | instid1(VALU_DEP_1)
	v_cndmask_b32_e64 v26, -1.0, v25, s0
	v_add_co_u32 v24, s0, v14, s6
	v_add_co_ci_u32_e64 v25, s0, s7, v15, s0
	global_store_b32 v[24:25], v26, off
	s_or_b32 exec_lo, exec_lo, s1
	s_and_saveexec_b32 s0, vcc_lo
	s_cbranch_execz .LBB143_8
.LBB143_24:                             ;   in Loop: Header=BB143_9 Depth=1
	s_waitcnt vmcnt(0)
	v_mul_f32_e32 v24, 0x3fb8aa3b, v23
	s_delay_alu instid0(VALU_DEP_1) | instskip(NEXT) | instid1(VALU_DEP_1)
	v_rndne_f32_e32 v24, v24
	v_fmamk_f32 v25, v24, 0xbf317218, v23
	v_cvt_i32_f32_e32 v27, v24
	v_cmp_eq_f32_e32 vcc_lo, 0x43000000, v24
	s_delay_alu instid0(VALU_DEP_3) | instskip(NEXT) | instid1(VALU_DEP_3)
	v_fmac_f32_e32 v25, 0x3102e308, v24
	v_cndmask_b32_e64 v24, v27, 0x7f, vcc_lo
	s_delay_alu instid0(VALU_DEP_1) | instskip(NEXT) | instid1(VALU_DEP_1)
	v_ldexp_f32 v24, 1.0, v24
	v_dual_fmaak_f32 v26, s13, v25, 0x3ab69700 :: v_dual_add_f32 v27, -1.0, v24
	s_delay_alu instid0(VALU_DEP_1) | instskip(NEXT) | instid1(VALU_DEP_1)
	v_fmaak_f32 v26, v25, v26, 0x3c0887f9
	v_fmaak_f32 v26, v25, v26, 0x3d2aaa81
	s_delay_alu instid0(VALU_DEP_1) | instskip(NEXT) | instid1(VALU_DEP_1)
	v_fmaak_f32 v26, v25, v26, 0x3e2aaaab
	v_fma_f32 v26, v25, v26, 0.5
	s_delay_alu instid0(VALU_DEP_1) | instskip(NEXT) | instid1(VALU_DEP_1)
	v_mul_f32_e32 v26, v25, v26
	v_fmac_f32_e32 v25, v25, v26
	s_delay_alu instid0(VALU_DEP_1) | instskip(NEXT) | instid1(VALU_DEP_1)
	v_fmac_f32_e32 v27, v24, v25
	v_add_f32_e32 v24, v27, v27
	s_delay_alu instid0(VALU_DEP_1) | instskip(SKIP_1) | instid1(VALU_DEP_2)
	v_cndmask_b32_e32 v24, v27, v24, vcc_lo
	v_cmp_nlt_f32_e32 vcc_lo, 0x42b17217, v23
	v_cndmask_b32_e32 v24, 0x7f800000, v24, vcc_lo
	v_cmp_ngt_f32_e32 vcc_lo, 0xc1880000, v23
	s_delay_alu instid0(VALU_DEP_2)
	v_cndmask_b32_e32 v25, -1.0, v24, vcc_lo
	v_add_co_u32 v23, vcc_lo, v7, s6
	v_add_co_ci_u32_e32 v24, vcc_lo, s7, v8, vcc_lo
	global_store_b32 v[23:24], v25, off
	s_branch .LBB143_8
.LBB143_25:
	s_nop 0
	s_sendmsg sendmsg(MSG_DEALLOC_VGPRS)
	s_endpgm
	.section	.rodata,"a",@progbits
	.p2align	6, 0x0
	.amdhsa_kernel _ZN2at6native12_GLOBAL__N_125multi_tensor_apply_kernelINS1_18TensorListMetadataILi2EEENS1_14UnaryOpFunctorIfLi2ELi1ELi1EEEJNS0_5Expm1IfEEEEEvT_T0_DpT1_
		.amdhsa_group_segment_fixed_size 0
		.amdhsa_private_segment_fixed_size 0
		.amdhsa_kernarg_size 3408
		.amdhsa_user_sgpr_count 15
		.amdhsa_user_sgpr_dispatch_ptr 0
		.amdhsa_user_sgpr_queue_ptr 0
		.amdhsa_user_sgpr_kernarg_segment_ptr 1
		.amdhsa_user_sgpr_dispatch_id 0
		.amdhsa_user_sgpr_private_segment_size 0
		.amdhsa_wavefront_size32 1
		.amdhsa_uses_dynamic_stack 0
		.amdhsa_enable_private_segment 0
		.amdhsa_system_sgpr_workgroup_id_x 1
		.amdhsa_system_sgpr_workgroup_id_y 0
		.amdhsa_system_sgpr_workgroup_id_z 0
		.amdhsa_system_sgpr_workgroup_info 0
		.amdhsa_system_vgpr_workitem_id 0
		.amdhsa_next_free_vgpr 31
		.amdhsa_next_free_sgpr 24
		.amdhsa_reserve_vcc 1
		.amdhsa_float_round_mode_32 0
		.amdhsa_float_round_mode_16_64 0
		.amdhsa_float_denorm_mode_32 3
		.amdhsa_float_denorm_mode_16_64 3
		.amdhsa_dx10_clamp 1
		.amdhsa_ieee_mode 1
		.amdhsa_fp16_overflow 0
		.amdhsa_workgroup_processor_mode 1
		.amdhsa_memory_ordered 1
		.amdhsa_forward_progress 0
		.amdhsa_shared_vgpr_count 0
		.amdhsa_exception_fp_ieee_invalid_op 0
		.amdhsa_exception_fp_denorm_src 0
		.amdhsa_exception_fp_ieee_div_zero 0
		.amdhsa_exception_fp_ieee_overflow 0
		.amdhsa_exception_fp_ieee_underflow 0
		.amdhsa_exception_fp_ieee_inexact 0
		.amdhsa_exception_int_div_zero 0
	.end_amdhsa_kernel
	.section	.text._ZN2at6native12_GLOBAL__N_125multi_tensor_apply_kernelINS1_18TensorListMetadataILi2EEENS1_14UnaryOpFunctorIfLi2ELi1ELi1EEEJNS0_5Expm1IfEEEEEvT_T0_DpT1_,"axG",@progbits,_ZN2at6native12_GLOBAL__N_125multi_tensor_apply_kernelINS1_18TensorListMetadataILi2EEENS1_14UnaryOpFunctorIfLi2ELi1ELi1EEEJNS0_5Expm1IfEEEEEvT_T0_DpT1_,comdat
.Lfunc_end143:
	.size	_ZN2at6native12_GLOBAL__N_125multi_tensor_apply_kernelINS1_18TensorListMetadataILi2EEENS1_14UnaryOpFunctorIfLi2ELi1ELi1EEEJNS0_5Expm1IfEEEEEvT_T0_DpT1_, .Lfunc_end143-_ZN2at6native12_GLOBAL__N_125multi_tensor_apply_kernelINS1_18TensorListMetadataILi2EEENS1_14UnaryOpFunctorIfLi2ELi1ELi1EEEJNS0_5Expm1IfEEEEEvT_T0_DpT1_
                                        ; -- End function
	.section	.AMDGPU.csdata,"",@progbits
; Kernel info:
; codeLenInByte = 2944
; NumSgprs: 26
; NumVgprs: 31
; ScratchSize: 0
; MemoryBound: 0
; FloatMode: 240
; IeeeMode: 1
; LDSByteSize: 0 bytes/workgroup (compile time only)
; SGPRBlocks: 3
; VGPRBlocks: 3
; NumSGPRsForWavesPerEU: 26
; NumVGPRsForWavesPerEU: 31
; Occupancy: 16
; WaveLimiterHint : 0
; COMPUTE_PGM_RSRC2:SCRATCH_EN: 0
; COMPUTE_PGM_RSRC2:USER_SGPR: 15
; COMPUTE_PGM_RSRC2:TRAP_HANDLER: 0
; COMPUTE_PGM_RSRC2:TGID_X_EN: 1
; COMPUTE_PGM_RSRC2:TGID_Y_EN: 0
; COMPUTE_PGM_RSRC2:TGID_Z_EN: 0
; COMPUTE_PGM_RSRC2:TIDIG_COMP_CNT: 0
	.section	.text._ZN2at6native12_GLOBAL__N_125multi_tensor_apply_kernelINS1_18TensorListMetadataILi2EEENS1_14UnaryOpFunctorIN3c107complexIdEELi2ELi1ELi1EEEJNS0_5Expm1IS8_EEEEEvT_T0_DpT1_,"axG",@progbits,_ZN2at6native12_GLOBAL__N_125multi_tensor_apply_kernelINS1_18TensorListMetadataILi2EEENS1_14UnaryOpFunctorIN3c107complexIdEELi2ELi1ELi1EEEJNS0_5Expm1IS8_EEEEEvT_T0_DpT1_,comdat
	.globl	_ZN2at6native12_GLOBAL__N_125multi_tensor_apply_kernelINS1_18TensorListMetadataILi2EEENS1_14UnaryOpFunctorIN3c107complexIdEELi2ELi1ELi1EEEJNS0_5Expm1IS8_EEEEEvT_T0_DpT1_ ; -- Begin function _ZN2at6native12_GLOBAL__N_125multi_tensor_apply_kernelINS1_18TensorListMetadataILi2EEENS1_14UnaryOpFunctorIN3c107complexIdEELi2ELi1ELi1EEEJNS0_5Expm1IS8_EEEEEvT_T0_DpT1_
	.p2align	8
	.type	_ZN2at6native12_GLOBAL__N_125multi_tensor_apply_kernelINS1_18TensorListMetadataILi2EEENS1_14UnaryOpFunctorIN3c107complexIdEELi2ELi1ELi1EEEJNS0_5Expm1IS8_EEEEEvT_T0_DpT1_,@function
_ZN2at6native12_GLOBAL__N_125multi_tensor_apply_kernelINS1_18TensorListMetadataILi2EEENS1_14UnaryOpFunctorIN3c107complexIdEELi2ELi1ELi1EEEJNS0_5Expm1IS8_EEEEEvT_T0_DpT1_: ; @_ZN2at6native12_GLOBAL__N_125multi_tensor_apply_kernelINS1_18TensorListMetadataILi2EEENS1_14UnaryOpFunctorIN3c107complexIdEELi2ELi1ELi1EEEJNS0_5Expm1IS8_EEEEEvT_T0_DpT1_
; %bb.0:
	v_mov_b32_e32 v1, s15
	s_mov_b64 s[16:17], s[0:1]
                                        ; implicit-def: $vgpr185 : SGPR spill to VGPR lane
	s_mov_b32 s5, 0
	s_delay_alu instid0(SALU_CYCLE_1)
	s_mov_b32 s7, s5
	global_load_u8 v1, v1, s[0:1] offset:1536
	s_add_u32 s0, s16, s15
	s_mul_hi_u32 s1, s15, 3
	s_mul_i32 s15, s15, 3
	s_addc_u32 s2, s17, 0
	s_add_u32 s0, s0, s15
	s_addc_u32 s1, s2, s1
	s_load_b32 s0, s[0:1], 0x740
	s_waitcnt vmcnt(0)
	v_readfirstlane_b32 s3, v1
	s_delay_alu instid0(VALU_DEP_1)
	s_lshl_b32 s1, s3, 3
	s_clause 0x2
	s_load_b64 s[8:9], s[16:17], s1 offset:0x0
	s_load_b64 s[10:11], s[16:17], s1 offset:0x200
	;; [unrolled: 1-line block ×3, first 2 shown]
	s_waitcnt lgkmcnt(0)
	s_ashr_i32 s1, s0, 31
	s_delay_alu instid0(SALU_CYCLE_1) | instskip(NEXT) | instid1(SALU_CYCLE_1)
	s_lshl_b64 s[12:13], s[0:1], 20
	s_add_u32 s33, s8, s12
	v_writelane_b32 v185, s8, 0
	s_addc_u32 s104, s9, s13
	s_add_u32 vcc_hi, s10, s12
	v_writelane_b32 v185, s9, 1
	s_mov_b32 s9, s5
	v_writelane_b32 v185, s10, 2
	s_addc_u32 s14, s11, s13
	s_and_b32 s6, s33, 63
	s_and_b32 s8, s2, 3
	s_and_b32 s4, vcc_hi, 63
	v_writelane_b32 v185, s11, 3
	s_or_b64 s[6:7], s[6:7], s[8:9]
	s_lshl_b64 s[0:1], s[0:1], 16
	s_or_b64 s[4:5], s[4:5], s[6:7]
	s_sub_u32 s0, s2, s0
	s_subb_u32 s1, s3, s1
	v_writelane_b32 v185, s0, 4
	s_cmp_eq_u64 s[4:5], 0
	v_writelane_b32 v185, s1, 5
	s_mov_b32 s0, -1
	s_cbranch_scc0 .LBB144_53
; %bb.1:
	v_writelane_b32 v185, s16, 6
	v_mov_b32_e32 v17, 0
	v_lshlrev_b32_e32 v1, 2, v0
	v_writelane_b32 v185, s17, 7
	s_delay_alu instid0(VALU_DEP_3) | instskip(NEXT) | instid1(VALU_DEP_2)
	v_mov_b32_e32 v2, v17
	v_readlane_b32 s0, v185, 4
	v_readlane_b32 s1, v185, 5
	s_delay_alu instid0(VALU_DEP_1) | instskip(SKIP_1) | instid1(SALU_CYCLE_1)
	v_cmp_gt_i64_e32 vcc_lo, s[0:1], v[1:2]
	s_mov_b32 s0, exec_lo
	v_writelane_b32 v185, s0, 8
	s_and_b32 s0, s0, vcc_lo
	s_delay_alu instid0(SALU_CYCLE_1)
	s_mov_b32 exec_lo, s0
	s_cbranch_execz .LBB144_52
; %bb.2:
	s_delay_alu instid0(VALU_DEP_1)
	v_readlane_b32 s0, v185, 6
	v_readlane_b32 s1, v185, 7
	v_dual_mov_b32 v20, v17 :: v_dual_lshlrev_b32 v151, 6, v0
	s_mov_b32 s22, 0x54442d18
	s_mov_b32 s28, 0x6dc9c883
	s_load_b32 s0, s[0:1], 0xc5c
	s_mov_b32 s30, 0x33145c00
	s_mov_b32 s34, 0x252049c0
	;; [unrolled: 1-line block ×19, first 2 shown]
	s_waitcnt lgkmcnt(0)
	s_and_b32 s1, s0, 0xffff
	s_mov_b32 s70, 0x197bcfd8
	v_add_lshl_u32 v19, v0, s1, 2
	s_mov_b32 s84, 0x9037ab78
	s_mov_b32 s86, 0x46cc5e42
	;; [unrolled: 1-line block ×18, first 2 shown]
	s_lshl_b32 s0, s1, 2
	s_lshl_b32 s1, s1, 6
	s_mov_b32 s41, 0xbc7abc9e
	s_mov_b32 s43, 0x3e928af3
	;; [unrolled: 1-line block ×34, first 2 shown]
	s_branch .LBB144_4
.LBB144_3:                              ;   in Loop: Header=BB144_4 Depth=1
	s_or_b32 exec_lo, exec_lo, s2
	v_mul_f64 v[73:74], v[51:52], v[51:52]
	s_mov_b32 s101, s71
	s_mov_b32 s103, s57
	;; [unrolled: 1-line block ×3, first 2 shown]
	v_mul_f64 v[89:90], v[69:70], 0.5
	v_mul_f64 v[105:106], v[57:58], 0.5
	v_mul_f64 v[107:108], v[37:38], v[37:38]
	v_mul_f64 v[113:114], v[63:64], 0.5
	v_mul_f64 v[121:122], v[41:42], 0.5
	v_mul_f64 v[127:128], v[35:36], 0.5
	v_mul_f64 v[129:130], v[27:28], v[27:28]
	v_mul_f64 v[133:134], v[45:46], 0.5
	;; [unrolled: 4-line block ×3, first 2 shown]
	s_mov_b32 s73, s51
	s_mov_b32 s75, s53
	;; [unrolled: 1-line block ×7, first 2 shown]
	v_cmp_nlt_f64_e64 s7, 0x40900000, v[13:14]
	v_cmp_ngt_f64_e64 s8, 0xc090cc00, v[13:14]
	v_cmp_nlt_f64_e64 s9, s[82:83], v[13:14]
	v_cmp_ngt_f64_e64 s10, 0xc0428000, v[13:14]
	v_cmp_class_f64_e64 s6, v[15:16], 0x1f8
	v_mul_f64 v[75:76], v[73:74], 0.5
	v_mul_f64 v[79:80], v[73:74], v[73:74]
	v_mul_f64 v[83:84], v[51:52], -v[73:74]
	v_mul_f64 v[111:112], v[107:108], v[107:108]
	v_mul_f64 v[131:132], v[129:130], v[129:130]
	v_mul_f64 v[164:165], v[149:150], v[149:150]
	v_add_f64 v[67:68], -v[75:76], 1.0
	s_delay_alu instid0(VALU_DEP_1) | instskip(NEXT) | instid1(VALU_DEP_1)
	v_add_f64 v[77:78], -v[67:68], 1.0
	v_add_f64 v[75:76], v[77:78], -v[75:76]
	v_fma_f64 v[77:78], v[73:74], s[86:87], s[84:85]
	s_delay_alu instid0(VALU_DEP_2) | instskip(NEXT) | instid1(VALU_DEP_2)
	v_fma_f64 v[75:76], v[51:52], -v[71:72], v[75:76]
	v_fma_f64 v[77:78], v[73:74], v[77:78], s[88:89]
	s_delay_alu instid0(VALU_DEP_1) | instskip(NEXT) | instid1(VALU_DEP_1)
	v_fma_f64 v[77:78], v[73:74], v[77:78], s[100:101]
	v_fma_f64 v[77:78], v[73:74], v[77:78], s[90:91]
	s_delay_alu instid0(VALU_DEP_1) | instskip(NEXT) | instid1(VALU_DEP_1)
	v_fma_f64 v[77:78], v[73:74], v[77:78], s[102:103]
	v_fma_f64 v[79:80], v[79:80], v[77:78], v[75:76]
	;; [unrolled: 1-line block ×3, first 2 shown]
	v_mul_f64 v[77:78], v[71:72], 0.5
	s_delay_alu instid0(VALU_DEP_3) | instskip(NEXT) | instid1(VALU_DEP_3)
	v_add_f64 v[67:68], v[67:68], v[79:80]
	v_fma_f64 v[75:76], v[73:74], v[75:76], s[96:97]
	s_delay_alu instid0(VALU_DEP_1) | instskip(NEXT) | instid1(VALU_DEP_1)
	v_fma_f64 v[75:76], v[73:74], v[75:76], s[98:99]
	v_fma_f64 v[75:76], v[73:74], v[75:76], s[54:55]
	s_delay_alu instid0(VALU_DEP_1) | instskip(NEXT) | instid1(VALU_DEP_1)
	v_fma_f64 v[75:76], v[83:84], v[75:76], v[77:78]
	v_fma_f64 v[85:86], v[73:74], v[75:76], -v[71:72]
	v_mul_f64 v[75:76], v[43:44], v[43:44]
	s_delay_alu instid0(VALU_DEP_2) | instskip(NEXT) | instid1(VALU_DEP_2)
	v_fma_f64 v[83:84], v[83:84], s[18:19], v[85:86]
	v_mul_f64 v[73:74], v[75:76], 0.5
	s_delay_alu instid0(VALU_DEP_2) | instskip(NEXT) | instid1(VALU_DEP_2)
	v_add_f64 v[51:52], v[51:52], -v[83:84]
	v_add_f64 v[71:72], -v[73:74], 1.0
	s_delay_alu instid0(VALU_DEP_1) | instskip(NEXT) | instid1(VALU_DEP_1)
	v_add_f64 v[77:78], -v[71:72], 1.0
	v_add_f64 v[77:78], v[77:78], -v[73:74]
	v_fma_f64 v[73:74], v[75:76], s[94:95], s[92:93]
	s_delay_alu instid0(VALU_DEP_2) | instskip(NEXT) | instid1(VALU_DEP_2)
	v_fma_f64 v[77:78], v[43:44], -v[69:70], v[77:78]
	v_fma_f64 v[73:74], v[75:76], v[73:74], s[96:97]
	s_delay_alu instid0(VALU_DEP_1) | instskip(NEXT) | instid1(VALU_DEP_1)
	v_fma_f64 v[73:74], v[75:76], v[73:74], s[98:99]
	v_fma_f64 v[87:88], v[75:76], v[73:74], s[54:55]
	v_mul_f64 v[73:74], v[43:44], -v[75:76]
	s_delay_alu instid0(VALU_DEP_1) | instskip(NEXT) | instid1(VALU_DEP_1)
	v_fma_f64 v[87:88], v[73:74], v[87:88], v[89:90]
	v_fma_f64 v[69:70], v[75:76], v[87:88], -v[69:70]
	v_fma_f64 v[87:88], v[75:76], s[86:87], s[84:85]
	s_delay_alu instid0(VALU_DEP_1) | instskip(NEXT) | instid1(VALU_DEP_1)
	v_fma_f64 v[87:88], v[75:76], v[87:88], s[88:89]
	v_fma_f64 v[87:88], v[75:76], v[87:88], s[100:101]
	s_delay_alu instid0(VALU_DEP_1) | instskip(NEXT) | instid1(VALU_DEP_1)
	v_fma_f64 v[87:88], v[75:76], v[87:88], s[90:91]
	v_fma_f64 v[87:88], v[75:76], v[87:88], s[102:103]
	v_mul_f64 v[75:76], v[75:76], v[75:76]
	s_delay_alu instid0(VALU_DEP_1) | instskip(SKIP_1) | instid1(VALU_DEP_1)
	v_fma_f64 v[77:78], v[75:76], v[87:88], v[77:78]
	v_mul_f64 v[87:88], v[53:54], v[53:54]
	v_mul_f64 v[89:90], v[87:88], 0.5
	v_mul_f64 v[93:94], v[87:88], v[87:88]
	v_mul_f64 v[103:104], v[53:54], -v[87:88]
	s_delay_alu instid0(VALU_DEP_3) | instskip(NEXT) | instid1(VALU_DEP_1)
	v_add_f64 v[75:76], -v[89:90], 1.0
	v_add_f64 v[91:92], -v[75:76], 1.0
	s_delay_alu instid0(VALU_DEP_1) | instskip(SKIP_1) | instid1(VALU_DEP_2)
	v_add_f64 v[89:90], v[91:92], -v[89:90]
	v_fma_f64 v[91:92], v[87:88], s[86:87], s[84:85]
	v_fma_f64 v[89:90], v[53:54], -v[81:82], v[89:90]
	s_delay_alu instid0(VALU_DEP_2) | instskip(NEXT) | instid1(VALU_DEP_1)
	v_fma_f64 v[91:92], v[87:88], v[91:92], s[88:89]
	v_fma_f64 v[91:92], v[87:88], v[91:92], s[100:101]
	s_delay_alu instid0(VALU_DEP_1) | instskip(NEXT) | instid1(VALU_DEP_1)
	v_fma_f64 v[91:92], v[87:88], v[91:92], s[90:91]
	v_fma_f64 v[91:92], v[87:88], v[91:92], s[102:103]
	s_delay_alu instid0(VALU_DEP_1) | instskip(SKIP_2) | instid1(VALU_DEP_2)
	v_fma_f64 v[99:100], v[93:94], v[91:92], v[89:90]
	v_fma_f64 v[89:90], v[87:88], s[94:95], s[92:93]
	v_mul_f64 v[91:92], v[81:82], 0.5
	v_fma_f64 v[89:90], v[87:88], v[89:90], s[96:97]
	s_delay_alu instid0(VALU_DEP_1) | instskip(NEXT) | instid1(VALU_DEP_1)
	v_fma_f64 v[89:90], v[87:88], v[89:90], s[98:99]
	v_fma_f64 v[89:90], v[87:88], v[89:90], s[54:55]
	s_delay_alu instid0(VALU_DEP_1) | instskip(NEXT) | instid1(VALU_DEP_1)
	v_fma_f64 v[89:90], v[103:104], v[89:90], v[91:92]
	v_fma_f64 v[109:110], v[87:88], v[89:90], -v[81:82]
	v_mul_f64 v[89:90], v[33:34], v[33:34]
	s_delay_alu instid0(VALU_DEP_1) | instskip(SKIP_2) | instid1(VALU_DEP_3)
	v_mul_f64 v[87:88], v[89:90], 0.5
	v_mul_f64 v[93:94], v[89:90], v[89:90]
	v_mul_f64 v[95:96], v[33:34], -v[89:90]
	v_add_f64 v[81:82], -v[87:88], 1.0
	s_delay_alu instid0(VALU_DEP_1) | instskip(NEXT) | instid1(VALU_DEP_1)
	v_add_f64 v[91:92], -v[81:82], 1.0
	v_add_f64 v[87:88], v[91:92], -v[87:88]
	v_fma_f64 v[91:92], v[89:90], s[86:87], s[84:85]
	s_delay_alu instid0(VALU_DEP_2) | instskip(NEXT) | instid1(VALU_DEP_2)
	v_fma_f64 v[87:88], v[33:34], -v[61:62], v[87:88]
	v_fma_f64 v[91:92], v[89:90], v[91:92], s[88:89]
	s_delay_alu instid0(VALU_DEP_1) | instskip(NEXT) | instid1(VALU_DEP_1)
	v_fma_f64 v[91:92], v[89:90], v[91:92], s[100:101]
	v_fma_f64 v[91:92], v[89:90], v[91:92], s[90:91]
	s_delay_alu instid0(VALU_DEP_1) | instskip(NEXT) | instid1(VALU_DEP_1)
	v_fma_f64 v[91:92], v[89:90], v[91:92], s[102:103]
	v_fma_f64 v[87:88], v[93:94], v[91:92], v[87:88]
	v_fma_f64 v[91:92], v[89:90], s[94:95], s[92:93]
	v_mul_f64 v[93:94], v[61:62], 0.5
	s_delay_alu instid0(VALU_DEP_2) | instskip(NEXT) | instid1(VALU_DEP_1)
	v_fma_f64 v[91:92], v[89:90], v[91:92], s[96:97]
	v_fma_f64 v[91:92], v[89:90], v[91:92], s[98:99]
	s_delay_alu instid0(VALU_DEP_1) | instskip(NEXT) | instid1(VALU_DEP_1)
	v_fma_f64 v[91:92], v[89:90], v[91:92], s[54:55]
	v_fma_f64 v[91:92], v[95:96], v[91:92], v[93:94]
	s_delay_alu instid0(VALU_DEP_1) | instskip(SKIP_1) | instid1(VALU_DEP_1)
	v_fma_f64 v[97:98], v[89:90], v[91:92], -v[61:62]
	v_mul_f64 v[91:92], v[31:32], v[31:32]
	v_mul_f64 v[89:90], v[91:92], 0.5
	s_delay_alu instid0(VALU_DEP_1) | instskip(NEXT) | instid1(VALU_DEP_1)
	v_add_f64 v[61:62], -v[89:90], 1.0
	v_add_f64 v[93:94], -v[61:62], 1.0
	s_delay_alu instid0(VALU_DEP_1) | instskip(SKIP_1) | instid1(VALU_DEP_2)
	v_add_f64 v[93:94], v[93:94], -v[89:90]
	v_fma_f64 v[89:90], v[91:92], s[94:95], s[92:93]
	v_fma_f64 v[93:94], v[31:32], -v[57:58], v[93:94]
	s_delay_alu instid0(VALU_DEP_2) | instskip(NEXT) | instid1(VALU_DEP_1)
	v_fma_f64 v[89:90], v[91:92], v[89:90], s[96:97]
	v_fma_f64 v[89:90], v[91:92], v[89:90], s[98:99]
	s_delay_alu instid0(VALU_DEP_1) | instskip(SKIP_1) | instid1(VALU_DEP_1)
	v_fma_f64 v[101:102], v[91:92], v[89:90], s[54:55]
	v_mul_f64 v[89:90], v[31:32], -v[91:92]
	v_fma_f64 v[101:102], v[89:90], v[101:102], v[105:106]
	s_delay_alu instid0(VALU_DEP_1) | instskip(SKIP_1) | instid1(VALU_DEP_1)
	v_fma_f64 v[57:58], v[91:92], v[101:102], -v[57:58]
	v_fma_f64 v[101:102], v[91:92], s[86:87], s[84:85]
	v_fma_f64 v[101:102], v[91:92], v[101:102], s[88:89]
	s_delay_alu instid0(VALU_DEP_1) | instskip(NEXT) | instid1(VALU_DEP_1)
	v_fma_f64 v[101:102], v[91:92], v[101:102], s[100:101]
	v_fma_f64 v[101:102], v[91:92], v[101:102], s[90:91]
	s_delay_alu instid0(VALU_DEP_1) | instskip(SKIP_1) | instid1(VALU_DEP_1)
	v_fma_f64 v[101:102], v[91:92], v[101:102], s[102:103]
	v_mul_f64 v[91:92], v[91:92], v[91:92]
	v_fma_f64 v[91:92], v[91:92], v[101:102], v[93:94]
	v_mul_f64 v[101:102], v[107:108], 0.5
	s_delay_alu instid0(VALU_DEP_1) | instskip(NEXT) | instid1(VALU_DEP_1)
	v_add_f64 v[93:94], -v[101:102], 1.0
	v_add_f64 v[105:106], -v[93:94], 1.0
	s_delay_alu instid0(VALU_DEP_1) | instskip(SKIP_1) | instid1(VALU_DEP_2)
	v_add_f64 v[101:102], v[105:106], -v[101:102]
	v_fma_f64 v[105:106], v[107:108], s[86:87], s[84:85]
	v_fma_f64 v[101:102], v[37:38], -v[63:64], v[101:102]
	s_delay_alu instid0(VALU_DEP_2) | instskip(NEXT) | instid1(VALU_DEP_1)
	v_fma_f64 v[105:106], v[107:108], v[105:106], s[88:89]
	v_fma_f64 v[105:106], v[107:108], v[105:106], s[100:101]
	s_delay_alu instid0(VALU_DEP_1) | instskip(NEXT) | instid1(VALU_DEP_1)
	v_fma_f64 v[105:106], v[107:108], v[105:106], s[90:91]
	v_fma_f64 v[105:106], v[107:108], v[105:106], s[102:103]
	s_delay_alu instid0(VALU_DEP_1) | instskip(SKIP_1) | instid1(VALU_DEP_1)
	v_fma_f64 v[101:102], v[111:112], v[105:106], v[101:102]
	v_fma_f64 v[105:106], v[107:108], s[94:95], s[92:93]
	;; [unrolled: 1-line block ×3, first 2 shown]
	s_delay_alu instid0(VALU_DEP_1) | instskip(NEXT) | instid1(VALU_DEP_1)
	v_fma_f64 v[105:106], v[107:108], v[105:106], s[98:99]
	v_fma_f64 v[111:112], v[107:108], v[105:106], s[54:55]
	v_mul_f64 v[105:106], v[37:38], -v[107:108]
	s_delay_alu instid0(VALU_DEP_1) | instskip(SKIP_1) | instid1(VALU_DEP_2)
	v_fma_f64 v[111:112], v[105:106], v[111:112], v[113:114]
	v_mul_f64 v[113:114], v[25:26], v[25:26]
	v_fma_f64 v[107:108], v[107:108], v[111:112], -v[63:64]
	s_delay_alu instid0(VALU_DEP_2) | instskip(SKIP_1) | instid1(VALU_DEP_2)
	v_mul_f64 v[111:112], v[113:114], 0.5
	v_mul_f64 v[119:120], v[113:114], v[113:114]
	v_add_f64 v[63:64], -v[111:112], 1.0
	s_delay_alu instid0(VALU_DEP_1) | instskip(NEXT) | instid1(VALU_DEP_1)
	v_add_f64 v[117:118], -v[63:64], 1.0
	v_add_f64 v[111:112], v[117:118], -v[111:112]
	v_fma_f64 v[117:118], v[113:114], s[86:87], s[84:85]
	s_delay_alu instid0(VALU_DEP_2) | instskip(NEXT) | instid1(VALU_DEP_2)
	v_fma_f64 v[111:112], v[25:26], -v[41:42], v[111:112]
	v_fma_f64 v[117:118], v[113:114], v[117:118], s[88:89]
	s_delay_alu instid0(VALU_DEP_1) | instskip(NEXT) | instid1(VALU_DEP_1)
	v_fma_f64 v[117:118], v[113:114], v[117:118], s[100:101]
	v_fma_f64 v[117:118], v[113:114], v[117:118], s[90:91]
	s_delay_alu instid0(VALU_DEP_1) | instskip(NEXT) | instid1(VALU_DEP_1)
	v_fma_f64 v[117:118], v[113:114], v[117:118], s[102:103]
	v_fma_f64 v[111:112], v[119:120], v[117:118], v[111:112]
	;; [unrolled: 1-line block ×3, first 2 shown]
	v_mul_f64 v[119:120], v[25:26], -v[113:114]
	s_delay_alu instid0(VALU_DEP_2) | instskip(NEXT) | instid1(VALU_DEP_1)
	v_fma_f64 v[117:118], v[113:114], v[117:118], s[96:97]
	v_fma_f64 v[117:118], v[113:114], v[117:118], s[98:99]
	s_delay_alu instid0(VALU_DEP_1) | instskip(NEXT) | instid1(VALU_DEP_1)
	v_fma_f64 v[117:118], v[113:114], v[117:118], s[54:55]
	v_fma_f64 v[117:118], v[119:120], v[117:118], v[121:122]
	s_delay_alu instid0(VALU_DEP_1) | instskip(SKIP_1) | instid1(VALU_DEP_1)
	v_fma_f64 v[121:122], v[113:114], v[117:118], -v[41:42]
	v_mul_f64 v[117:118], v[23:24], v[23:24]
	v_mul_f64 v[113:114], v[117:118], 0.5
	s_delay_alu instid0(VALU_DEP_1) | instskip(NEXT) | instid1(VALU_DEP_1)
	v_add_f64 v[41:42], -v[113:114], 1.0
	v_add_f64 v[123:124], -v[41:42], 1.0
	s_delay_alu instid0(VALU_DEP_1) | instskip(SKIP_1) | instid1(VALU_DEP_2)
	v_add_f64 v[123:124], v[123:124], -v[113:114]
	v_fma_f64 v[113:114], v[117:118], s[94:95], s[92:93]
	v_fma_f64 v[123:124], v[23:24], -v[35:36], v[123:124]
	s_delay_alu instid0(VALU_DEP_2) | instskip(NEXT) | instid1(VALU_DEP_1)
	v_fma_f64 v[113:114], v[117:118], v[113:114], s[96:97]
	v_fma_f64 v[113:114], v[117:118], v[113:114], s[98:99]
	s_delay_alu instid0(VALU_DEP_1) | instskip(SKIP_1) | instid1(VALU_DEP_1)
	v_fma_f64 v[125:126], v[117:118], v[113:114], s[54:55]
	v_mul_f64 v[113:114], v[23:24], -v[117:118]
	v_fma_f64 v[125:126], v[113:114], v[125:126], v[127:128]
	s_delay_alu instid0(VALU_DEP_1) | instskip(SKIP_1) | instid1(VALU_DEP_1)
	v_fma_f64 v[35:36], v[117:118], v[125:126], -v[35:36]
	v_fma_f64 v[125:126], v[117:118], s[86:87], s[84:85]
	v_fma_f64 v[125:126], v[117:118], v[125:126], s[88:89]
	s_delay_alu instid0(VALU_DEP_1) | instskip(NEXT) | instid1(VALU_DEP_1)
	v_fma_f64 v[125:126], v[117:118], v[125:126], s[100:101]
	v_fma_f64 v[125:126], v[117:118], v[125:126], s[90:91]
	s_delay_alu instid0(VALU_DEP_1) | instskip(SKIP_1) | instid1(VALU_DEP_1)
	v_fma_f64 v[125:126], v[117:118], v[125:126], s[102:103]
	v_mul_f64 v[117:118], v[117:118], v[117:118]
	v_fma_f64 v[117:118], v[117:118], v[125:126], v[123:124]
	v_mul_f64 v[125:126], v[129:130], 0.5
	s_delay_alu instid0(VALU_DEP_1) | instskip(NEXT) | instid1(VALU_DEP_1)
	v_add_f64 v[123:124], -v[125:126], 1.0
	v_add_f64 v[127:128], -v[123:124], 1.0
	s_delay_alu instid0(VALU_DEP_1) | instskip(SKIP_1) | instid1(VALU_DEP_2)
	v_add_f64 v[125:126], v[127:128], -v[125:126]
	v_fma_f64 v[127:128], v[129:130], s[86:87], s[84:85]
	v_fma_f64 v[125:126], v[27:28], -v[45:46], v[125:126]
	s_delay_alu instid0(VALU_DEP_2) | instskip(NEXT) | instid1(VALU_DEP_1)
	v_fma_f64 v[127:128], v[129:130], v[127:128], s[88:89]
	v_fma_f64 v[127:128], v[129:130], v[127:128], s[100:101]
	s_delay_alu instid0(VALU_DEP_1) | instskip(NEXT) | instid1(VALU_DEP_1)
	v_fma_f64 v[127:128], v[129:130], v[127:128], s[90:91]
	v_fma_f64 v[127:128], v[129:130], v[127:128], s[102:103]
	s_delay_alu instid0(VALU_DEP_1) | instskip(SKIP_1) | instid1(VALU_DEP_1)
	v_fma_f64 v[125:126], v[131:132], v[127:128], v[125:126]
	v_fma_f64 v[127:128], v[129:130], s[94:95], s[92:93]
	;; [unrolled: 1-line block ×3, first 2 shown]
	s_delay_alu instid0(VALU_DEP_1) | instskip(NEXT) | instid1(VALU_DEP_1)
	v_fma_f64 v[127:128], v[129:130], v[127:128], s[98:99]
	v_fma_f64 v[131:132], v[129:130], v[127:128], s[54:55]
	v_mul_f64 v[127:128], v[27:28], -v[129:130]
	s_delay_alu instid0(VALU_DEP_1) | instskip(SKIP_1) | instid1(VALU_DEP_2)
	v_fma_f64 v[131:132], v[127:128], v[131:132], v[133:134]
	v_mul_f64 v[133:134], v[55:56], v[55:56]
	v_fma_f64 v[45:46], v[129:130], v[131:132], -v[45:46]
	s_delay_alu instid0(VALU_DEP_2) | instskip(SKIP_1) | instid1(VALU_DEP_2)
	v_mul_f64 v[131:132], v[133:134], 0.5
	v_mul_f64 v[137:138], v[133:134], v[133:134]
	v_add_f64 v[129:130], -v[131:132], 1.0
	s_delay_alu instid0(VALU_DEP_1) | instskip(NEXT) | instid1(VALU_DEP_1)
	v_add_f64 v[135:136], -v[129:130], 1.0
	v_add_f64 v[131:132], v[135:136], -v[131:132]
	v_fma_f64 v[135:136], v[133:134], s[86:87], s[84:85]
	s_delay_alu instid0(VALU_DEP_2) | instskip(NEXT) | instid1(VALU_DEP_2)
	v_fma_f64 v[131:132], v[55:56], -v[115:116], v[131:132]
	v_fma_f64 v[135:136], v[133:134], v[135:136], s[88:89]
	s_delay_alu instid0(VALU_DEP_1) | instskip(NEXT) | instid1(VALU_DEP_1)
	v_fma_f64 v[135:136], v[133:134], v[135:136], s[100:101]
	v_fma_f64 v[135:136], v[133:134], v[135:136], s[90:91]
	s_delay_alu instid0(VALU_DEP_1) | instskip(NEXT) | instid1(VALU_DEP_1)
	v_fma_f64 v[135:136], v[133:134], v[135:136], s[102:103]
	v_fma_f64 v[131:132], v[137:138], v[135:136], v[131:132]
	;; [unrolled: 1-line block ×3, first 2 shown]
	v_mul_f64 v[137:138], v[55:56], -v[133:134]
	s_delay_alu instid0(VALU_DEP_2) | instskip(NEXT) | instid1(VALU_DEP_1)
	v_fma_f64 v[135:136], v[133:134], v[135:136], s[96:97]
	v_fma_f64 v[135:136], v[133:134], v[135:136], s[98:99]
	s_delay_alu instid0(VALU_DEP_1) | instskip(NEXT) | instid1(VALU_DEP_1)
	v_fma_f64 v[135:136], v[133:134], v[135:136], s[54:55]
	v_fma_f64 v[135:136], v[137:138], v[135:136], v[139:140]
	s_delay_alu instid0(VALU_DEP_1) | instskip(SKIP_1) | instid1(VALU_DEP_1)
	v_fma_f64 v[139:140], v[133:134], v[135:136], -v[115:116]
	v_mul_f64 v[135:136], v[49:50], v[49:50]
	v_mul_f64 v[133:134], v[135:136], 0.5
	s_delay_alu instid0(VALU_DEP_1) | instskip(NEXT) | instid1(VALU_DEP_1)
	v_add_f64 v[115:116], -v[133:134], 1.0
	v_add_f64 v[141:142], -v[115:116], 1.0
	s_delay_alu instid0(VALU_DEP_1) | instskip(SKIP_1) | instid1(VALU_DEP_2)
	v_add_f64 v[141:142], v[141:142], -v[133:134]
	v_fma_f64 v[133:134], v[135:136], s[94:95], s[92:93]
	v_fma_f64 v[141:142], v[49:50], -v[65:66], v[141:142]
	s_delay_alu instid0(VALU_DEP_2) | instskip(NEXT) | instid1(VALU_DEP_1)
	v_fma_f64 v[133:134], v[135:136], v[133:134], s[96:97]
	v_fma_f64 v[133:134], v[135:136], v[133:134], s[98:99]
	s_delay_alu instid0(VALU_DEP_1) | instskip(SKIP_1) | instid1(VALU_DEP_1)
	v_fma_f64 v[145:146], v[135:136], v[133:134], s[54:55]
	v_mul_f64 v[133:134], v[49:50], -v[135:136]
	v_fma_f64 v[145:146], v[133:134], v[145:146], v[147:148]
	s_delay_alu instid0(VALU_DEP_1) | instskip(SKIP_1) | instid1(VALU_DEP_1)
	v_fma_f64 v[65:66], v[135:136], v[145:146], -v[65:66]
	v_fma_f64 v[145:146], v[135:136], s[86:87], s[84:85]
	v_fma_f64 v[145:146], v[135:136], v[145:146], s[88:89]
	s_delay_alu instid0(VALU_DEP_1) | instskip(NEXT) | instid1(VALU_DEP_1)
	v_fma_f64 v[145:146], v[135:136], v[145:146], s[100:101]
	v_fma_f64 v[145:146], v[135:136], v[145:146], s[90:91]
	s_delay_alu instid0(VALU_DEP_1) | instskip(SKIP_1) | instid1(VALU_DEP_1)
	v_fma_f64 v[145:146], v[135:136], v[145:146], s[102:103]
	v_mul_f64 v[135:136], v[135:136], v[135:136]
	v_fma_f64 v[135:136], v[135:136], v[145:146], v[141:142]
	v_mul_f64 v[145:146], v[149:150], 0.5
	s_delay_alu instid0(VALU_DEP_1) | instskip(NEXT) | instid1(VALU_DEP_1)
	v_add_f64 v[141:142], -v[145:146], 1.0
	v_add_f64 v[147:148], -v[141:142], 1.0
	s_delay_alu instid0(VALU_DEP_1) | instskip(SKIP_1) | instid1(VALU_DEP_2)
	v_add_f64 v[145:146], v[147:148], -v[145:146]
	v_fma_f64 v[147:148], v[149:150], s[86:87], s[84:85]
	v_fma_f64 v[145:146], v[59:60], -v[143:144], v[145:146]
	s_delay_alu instid0(VALU_DEP_2) | instskip(NEXT) | instid1(VALU_DEP_1)
	v_fma_f64 v[147:148], v[149:150], v[147:148], s[88:89]
	v_fma_f64 v[147:148], v[149:150], v[147:148], s[100:101]
	s_delay_alu instid0(VALU_DEP_1) | instskip(NEXT) | instid1(VALU_DEP_1)
	v_fma_f64 v[147:148], v[149:150], v[147:148], s[90:91]
	v_fma_f64 v[147:148], v[149:150], v[147:148], s[102:103]
	s_delay_alu instid0(VALU_DEP_1) | instskip(SKIP_1) | instid1(VALU_DEP_1)
	v_fma_f64 v[145:146], v[164:165], v[147:148], v[145:146]
	v_fma_f64 v[147:148], v[149:150], s[94:95], s[92:93]
	;; [unrolled: 1-line block ×3, first 2 shown]
	s_delay_alu instid0(VALU_DEP_1) | instskip(NEXT) | instid1(VALU_DEP_1)
	v_fma_f64 v[147:148], v[149:150], v[147:148], s[98:99]
	v_fma_f64 v[164:165], v[149:150], v[147:148], s[54:55]
	v_mul_f64 v[147:148], v[59:60], -v[149:150]
	s_delay_alu instid0(VALU_DEP_1) | instskip(NEXT) | instid1(VALU_DEP_1)
	v_fma_f64 v[164:165], v[147:148], v[164:165], v[166:167]
	v_fma_f64 v[143:144], v[149:150], v[164:165], -v[143:144]
	v_mul_f64 v[149:150], v[13:14], s[36:37]
	s_delay_alu instid0(VALU_DEP_1) | instskip(NEXT) | instid1(VALU_DEP_1)
	v_rndne_f64_e32 v[149:150], v[149:150]
	v_fma_f64 v[164:165], v[149:150], s[38:39], v[13:14]
	v_cvt_i32_f64_e32 v18, v[149:150]
	v_cmp_eq_f64_e64 s4, 0x40900000, v[149:150]
	v_fma_f64 v[13:14], v[73:74], s[18:19], v[69:70]
	v_add_f64 v[69:70], v[71:72], v[77:78]
	v_fma_f64 v[164:165], v[149:150], s[40:41], v[164:165]
	s_delay_alu instid0(VALU_DEP_4) | instskip(NEXT) | instid1(VALU_DEP_4)
	v_cndmask_b32_e64 v166, v18, 0x3ff, s4
	v_add_f64 v[13:14], v[43:44], -v[13:14]
	v_add_f64 v[43:44], v[75:76], v[99:100]
	s_delay_alu instid0(VALU_DEP_3) | instskip(SKIP_2) | instid1(VALU_DEP_3)
	v_ldexp_f64 v[166:167], 1.0, v166
	v_fma_f64 v[149:150], v[164:165], s[64:65], s[62:63]
	v_fma_f64 v[85:86], v[164:165], s[44:45], s[42:43]
	v_add_f64 v[168:169], v[166:167], -1.0
	s_delay_alu instid0(VALU_DEP_3) | instskip(NEXT) | instid1(VALU_DEP_3)
	v_fma_f64 v[149:150], v[164:165], v[149:150], s[66:67]
	v_fma_f64 v[85:86], v[164:165], v[85:86], s[46:47]
	s_delay_alu instid0(VALU_DEP_2) | instskip(NEXT) | instid1(VALU_DEP_2)
	v_fma_f64 v[149:150], v[164:165], v[149:150], s[68:69]
	v_fma_f64 v[85:86], v[164:165], v[85:86], s[48:49]
	s_delay_alu instid0(VALU_DEP_2) | instskip(NEXT) | instid1(VALU_DEP_2)
	;; [unrolled: 3-line block ×8, first 2 shown]
	v_fma_f64 v[149:150], v[164:165], v[149:150], 0.5
	v_fma_f64 v[85:86], v[164:165], v[85:86], 1.0
	s_delay_alu instid0(VALU_DEP_2) | instskip(NEXT) | instid1(VALU_DEP_2)
	v_mul_f64 v[149:150], v[164:165], v[149:150]
	v_fma_f64 v[85:86], v[164:165], v[85:86], 1.0
	s_delay_alu instid0(VALU_DEP_2) | instskip(NEXT) | instid1(VALU_DEP_2)
	v_fma_f64 v[149:150], v[164:165], v[149:150], v[164:165]
	v_ldexp_f64 v[79:80], v[85:86], v18
	v_and_b32_e32 v18, 1, v159
	s_delay_alu instid0(VALU_DEP_1) | instskip(NEXT) | instid1(VALU_DEP_1)
	v_cmp_eq_u32_e64 s5, 0, v18
	v_cndmask_b32_e64 v51, v51, v67, s5
	v_fma_f64 v[166:167], v[166:167], v[149:150], v[168:169]
	v_mul_f64 v[149:150], v[9:10], s[36:37]
	v_cndmask_b32_e64 v67, 0x7ff00000, v80, s7
	s_delay_alu instid0(VALU_DEP_2) | instskip(NEXT) | instid1(VALU_DEP_1)
	v_rndne_f64_e32 v[149:150], v[149:150]
	v_fma_f64 v[168:169], v[149:150], s[38:39], v[9:10]
	v_cvt_i32_f64_e32 v182, v[149:150]
	v_cmp_eq_f64_e64 s3, 0x40900000, v[149:150]
	s_delay_alu instid0(VALU_DEP_3) | instskip(NEXT) | instid1(VALU_DEP_2)
	v_fma_f64 v[168:169], v[149:150], s[40:41], v[168:169]
	v_cndmask_b32_e64 v170, v182, 0x3ff, s3
	s_delay_alu instid0(VALU_DEP_1) | instskip(NEXT) | instid1(VALU_DEP_3)
	v_ldexp_f64 v[170:171], 1.0, v170
	v_fma_f64 v[149:150], v[168:169], s[64:65], s[62:63]
	s_delay_alu instid0(VALU_DEP_2) | instskip(NEXT) | instid1(VALU_DEP_2)
	v_add_f64 v[172:173], v[170:171], -1.0
	v_fma_f64 v[149:150], v[168:169], v[149:150], s[66:67]
	s_delay_alu instid0(VALU_DEP_1) | instskip(NEXT) | instid1(VALU_DEP_1)
	v_fma_f64 v[149:150], v[168:169], v[149:150], s[68:69]
	v_fma_f64 v[149:150], v[168:169], v[149:150], s[70:71]
	s_delay_alu instid0(VALU_DEP_1) | instskip(NEXT) | instid1(VALU_DEP_1)
	v_fma_f64 v[149:150], v[168:169], v[149:150], s[72:73]
	;; [unrolled: 3-line block ×4, first 2 shown]
	v_fma_f64 v[149:150], v[168:169], v[149:150], 0.5
	s_delay_alu instid0(VALU_DEP_1) | instskip(NEXT) | instid1(VALU_DEP_1)
	v_mul_f64 v[149:150], v[168:169], v[149:150]
	v_fma_f64 v[149:150], v[168:169], v[149:150], v[168:169]
	s_delay_alu instid0(VALU_DEP_1) | instskip(SKIP_1) | instid1(VALU_DEP_1)
	v_fma_f64 v[170:171], v[170:171], v[149:150], v[172:173]
	v_mul_f64 v[149:150], v[5:6], s[36:37]
	v_rndne_f64_e32 v[149:150], v[149:150]
	s_delay_alu instid0(VALU_DEP_1) | instskip(SKIP_2) | instid1(VALU_DEP_3)
	v_fma_f64 v[172:173], v[149:150], s[38:39], v[5:6]
	v_cvt_i32_f64_e32 v183, v[149:150]
	v_cmp_eq_f64_e64 s2, 0x40900000, v[149:150]
	v_fma_f64 v[172:173], v[149:150], s[40:41], v[172:173]
	s_delay_alu instid0(VALU_DEP_2) | instskip(NEXT) | instid1(VALU_DEP_1)
	v_cndmask_b32_e64 v174, v183, 0x3ff, s2
	v_ldexp_f64 v[174:175], 1.0, v174
	s_delay_alu instid0(VALU_DEP_3) | instskip(NEXT) | instid1(VALU_DEP_2)
	v_fma_f64 v[149:150], v[172:173], s[64:65], s[62:63]
	v_add_f64 v[176:177], v[174:175], -1.0
	s_delay_alu instid0(VALU_DEP_2) | instskip(NEXT) | instid1(VALU_DEP_1)
	v_fma_f64 v[149:150], v[172:173], v[149:150], s[66:67]
	v_fma_f64 v[149:150], v[172:173], v[149:150], s[68:69]
	s_delay_alu instid0(VALU_DEP_1) | instskip(NEXT) | instid1(VALU_DEP_1)
	v_fma_f64 v[149:150], v[172:173], v[149:150], s[70:71]
	v_fma_f64 v[149:150], v[172:173], v[149:150], s[72:73]
	s_delay_alu instid0(VALU_DEP_1) | instskip(NEXT) | instid1(VALU_DEP_1)
	v_fma_f64 v[149:150], v[172:173], v[149:150], s[74:75]
	v_fma_f64 v[149:150], v[172:173], v[149:150], s[76:77]
	s_delay_alu instid0(VALU_DEP_1) | instskip(NEXT) | instid1(VALU_DEP_1)
	v_fma_f64 v[149:150], v[172:173], v[149:150], s[78:79]
	v_fma_f64 v[149:150], v[172:173], v[149:150], s[80:81]
	s_delay_alu instid0(VALU_DEP_1) | instskip(NEXT) | instid1(VALU_DEP_1)
	v_fma_f64 v[149:150], v[172:173], v[149:150], 0.5
	v_mul_f64 v[149:150], v[172:173], v[149:150]
	s_delay_alu instid0(VALU_DEP_1) | instskip(NEXT) | instid1(VALU_DEP_1)
	v_fma_f64 v[149:150], v[172:173], v[149:150], v[172:173]
	v_fma_f64 v[174:175], v[174:175], v[149:150], v[176:177]
	v_mul_f64 v[149:150], v[1:2], s[36:37]
	s_delay_alu instid0(VALU_DEP_1) | instskip(NEXT) | instid1(VALU_DEP_1)
	v_rndne_f64_e32 v[149:150], v[149:150]
	v_fma_f64 v[176:177], v[149:150], s[38:39], v[1:2]
	v_cvt_i32_f64_e32 v184, v[149:150]
	v_cmp_eq_f64_e32 vcc_lo, 0x40900000, v[149:150]
	s_delay_alu instid0(VALU_DEP_3) | instskip(NEXT) | instid1(VALU_DEP_3)
	v_fma_f64 v[176:177], v[149:150], s[40:41], v[176:177]
	v_cndmask_b32_e64 v178, v184, 0x3ff, vcc_lo
	s_delay_alu instid0(VALU_DEP_1) | instskip(NEXT) | instid1(VALU_DEP_3)
	v_ldexp_f64 v[178:179], 1.0, v178
	v_fma_f64 v[149:150], v[176:177], s[64:65], s[62:63]
	s_delay_alu instid0(VALU_DEP_2) | instskip(NEXT) | instid1(VALU_DEP_2)
	v_add_f64 v[180:181], v[178:179], -1.0
	v_fma_f64 v[149:150], v[176:177], v[149:150], s[66:67]
	s_delay_alu instid0(VALU_DEP_1) | instskip(NEXT) | instid1(VALU_DEP_1)
	v_fma_f64 v[149:150], v[176:177], v[149:150], s[68:69]
	v_fma_f64 v[149:150], v[176:177], v[149:150], s[70:71]
	s_delay_alu instid0(VALU_DEP_1) | instskip(NEXT) | instid1(VALU_DEP_1)
	v_fma_f64 v[149:150], v[176:177], v[149:150], s[72:73]
	;; [unrolled: 3-line block ×4, first 2 shown]
	v_fma_f64 v[149:150], v[176:177], v[149:150], 0.5
	s_delay_alu instid0(VALU_DEP_1) | instskip(NEXT) | instid1(VALU_DEP_1)
	v_mul_f64 v[149:150], v[176:177], v[149:150]
	v_fma_f64 v[149:150], v[176:177], v[149:150], v[176:177]
	s_delay_alu instid0(VALU_DEP_1) | instskip(SKIP_1) | instid1(VALU_DEP_1)
	v_fma_f64 v[149:150], v[178:179], v[149:150], v[180:181]
	v_lshlrev_b32_e32 v18, 30, v162
	v_xor_b32_e32 v18, v18, v16
	v_add_f64 v[15:16], v[166:167], v[166:167]
	s_delay_alu instid0(VALU_DEP_2) | instskip(NEXT) | instid1(VALU_DEP_2)
	v_and_b32_e32 v18, 0x80000000, v18
	v_cndmask_b32_e64 v16, v167, v16, s4
	s_delay_alu instid0(VALU_DEP_1) | instskip(SKIP_1) | instid1(VALU_DEP_1)
	v_cndmask_b32_e64 v80, 0x7ff00000, v16, s9
	v_and_b32_e32 v16, 1, v158
	v_cmp_eq_u32_e64 s11, 0, v16
	s_delay_alu instid0(VALU_DEP_1) | instskip(SKIP_2) | instid1(VALU_DEP_1)
	v_cndmask_b32_e64 v16, v69, v13, s11
	v_cndmask_b32_e64 v69, v70, v14, s11
	v_fma_f64 v[13:14], v[103:104], s[18:19], v[109:110]
	v_add_f64 v[13:14], v[53:54], -v[13:14]
	v_and_b32_e32 v53, 1, v162
	s_delay_alu instid0(VALU_DEP_1) | instskip(NEXT) | instid1(VALU_DEP_1)
	v_cmp_eq_u32_e64 s11, 0, v53
	v_cndmask_b32_e64 v53, v43, v13, s11
	v_cndmask_b32_e64 v43, v166, v15, s4
	v_cmp_class_f64_e64 s4, v[39:40], 0x1f8
	v_lshlrev_b32_e32 v13, 30, v158
	v_cndmask_b32_e64 v54, v44, v14, s11
	v_cndmask_b32_e64 v44, 0xbff00000, v80, s10
	s_delay_alu instid0(VALU_DEP_3) | instskip(SKIP_1) | instid1(VALU_DEP_4)
	v_xor_b32_e32 v13, v13, v40
	v_lshlrev_b32_e32 v40, 30, v159
	v_xor_b32_e32 v18, v54, v18
	s_delay_alu instid0(VALU_DEP_3) | instskip(NEXT) | instid1(VALU_DEP_3)
	v_and_b32_e32 v13, 0x80000000, v13
	v_and_b32_e32 v40, 0x80000000, v40
	s_delay_alu instid0(VALU_DEP_2) | instskip(SKIP_1) | instid1(VALU_DEP_2)
	v_xor_b32_e32 v14, v69, v13
	v_cndmask_b32_e64 v13, 0, v16, s4
	v_cndmask_b32_e64 v14, 0x7ff80000, v14, s4
	s_and_b32 s4, s8, s7
	v_cmp_ngt_f64_e64 s7, 0xc090cc00, v[9:10]
	s_delay_alu instid0(VALU_DEP_2) | instskip(NEXT) | instid1(VALU_DEP_1)
	v_add_f64 v[15:16], v[13:14], v[13:14]
	v_mul_f64 v[13:14], v[15:16], v[13:14]
	v_xor_b32_e32 v15, 0x80000000, v52
	v_cndmask_b32_e64 v16, 0, v67, s8
	v_cmp_nlt_f64_e64 s8, s[82:83], v[9:10]
	s_delay_alu instid0(VALU_DEP_3)
	v_cndmask_b32_e64 v39, v15, v68, s5
	v_cndmask_b32_e64 v15, 0, v79, s4
	s_and_b32 s4, s10, s9
	v_cmp_ngt_f64_e64 s9, 0xc0428000, v[9:10]
	v_cndmask_b32_e64 v43, 0, v43, s4
	v_xor_b32_e32 v40, v39, v40
	v_cndmask_b32_e64 v39, 0, v51, s6
	v_cmp_class_f64_e64 s5, v[11:12], 0x1f8
	v_add_f64 v[51:52], v[81:82], v[87:88]
	s_delay_alu instid0(VALU_DEP_4) | instskip(NEXT) | instid1(VALU_DEP_1)
	v_cndmask_b32_e64 v40, 0x7ff80000, v40, s6
	v_fma_f64 v[13:14], v[43:44], v[39:40], -v[13:14]
	v_fma_f64 v[43:44], v[168:169], s[44:45], s[42:43]
	v_cndmask_b32_e64 v39, 0, v53, s6
	v_cndmask_b32_e64 v40, 0x7ff80000, v18, s6
	v_cmp_nlt_f64_e64 s6, 0x40900000, v[9:10]
	v_fma_f64 v[9:10], v[89:90], s[18:19], v[57:58]
	v_and_b32_e32 v18, 1, v156
	s_delay_alu instid0(VALU_DEP_4) | instskip(SKIP_1) | instid1(VALU_DEP_3)
	v_mul_f64 v[15:16], v[15:16], v[39:40]
	v_fma_f64 v[39:40], v[95:96], s[18:19], v[97:98]
	v_cmp_eq_u32_e64 s4, 0, v18
	v_lshlrev_b32_e32 v18, 30, v157
	s_delay_alu instid0(VALU_DEP_1) | instskip(SKIP_1) | instid1(VALU_DEP_2)
	v_xor_b32_e32 v18, v18, v12
	v_add_f64 v[11:12], v[170:171], v[170:171]
	v_and_b32_e32 v18, 0x80000000, v18
	v_fma_f64 v[43:44], v[168:169], v[43:44], s[46:47]
	v_add_f64 v[9:10], v[31:32], -v[9:10]
	v_add_f64 v[31:32], v[93:94], v[101:102]
	v_add_f64 v[33:34], v[33:34], -v[39:40]
	v_cndmask_b32_e64 v12, v171, v12, s3
	v_fma_f64 v[43:44], v[168:169], v[43:44], s[48:49]
	s_delay_alu instid0(VALU_DEP_3) | instskip(NEXT) | instid1(VALU_DEP_3)
	v_cndmask_b32_e64 v33, v33, v51, s4
	v_cndmask_b32_e64 v51, 0x7ff00000, v12, s8
	v_and_b32_e32 v12, 1, v155
	s_delay_alu instid0(VALU_DEP_1) | instskip(SKIP_1) | instid1(VALU_DEP_1)
	v_cmp_eq_u32_e64 s10, 0, v12
	v_fma_f64 v[43:44], v[168:169], v[43:44], s[50:51]
	v_fma_f64 v[43:44], v[168:169], v[43:44], s[52:53]
	s_delay_alu instid0(VALU_DEP_1) | instskip(NEXT) | instid1(VALU_DEP_1)
	v_fma_f64 v[43:44], v[168:169], v[43:44], s[16:17]
	v_fma_f64 v[43:44], v[168:169], v[43:44], s[56:57]
	s_delay_alu instid0(VALU_DEP_1) | instskip(NEXT) | instid1(VALU_DEP_1)
	;; [unrolled: 3-line block ×3, first 2 shown]
	v_fma_f64 v[43:44], v[168:169], v[43:44], 1.0
	v_fma_f64 v[43:44], v[168:169], v[43:44], 1.0
	s_delay_alu instid0(VALU_DEP_1) | instskip(SKIP_1) | instid1(VALU_DEP_2)
	v_ldexp_f64 v[39:40], v[43:44], v182
	v_add_f64 v[43:44], v[61:62], v[91:92]
	v_cndmask_b32_e64 v40, 0x7ff00000, v40, s6
	s_delay_alu instid0(VALU_DEP_2) | instskip(NEXT) | instid1(VALU_DEP_3)
	v_cndmask_b32_e64 v12, v43, v9, s10
	v_cndmask_b32_e64 v43, v44, v10, s10
	v_fma_f64 v[9:10], v[105:106], s[18:19], v[107:108]
	s_delay_alu instid0(VALU_DEP_1) | instskip(SKIP_1) | instid1(VALU_DEP_1)
	v_add_f64 v[9:10], v[37:38], -v[9:10]
	v_and_b32_e32 v37, 1, v157
	v_cmp_eq_u32_e64 s10, 0, v37
	s_delay_alu instid0(VALU_DEP_1)
	v_cndmask_b32_e64 v37, v31, v9, s10
	v_cndmask_b32_e64 v31, v170, v11, s3
	v_cmp_class_f64_e64 s3, v[29:30], 0x1f8
	v_lshlrev_b32_e32 v9, 30, v155
	v_cndmask_b32_e64 v38, v32, v10, s10
	v_cndmask_b32_e64 v32, 0xbff00000, v51, s9
	s_delay_alu instid0(VALU_DEP_3) | instskip(SKIP_1) | instid1(VALU_DEP_4)
	v_xor_b32_e32 v9, v9, v30
	v_lshlrev_b32_e32 v30, 30, v156
	v_xor_b32_e32 v18, v38, v18
	s_delay_alu instid0(VALU_DEP_3) | instskip(NEXT) | instid1(VALU_DEP_3)
	v_and_b32_e32 v9, 0x80000000, v9
	v_and_b32_e32 v30, 0x80000000, v30
	s_delay_alu instid0(VALU_DEP_2) | instskip(SKIP_1) | instid1(VALU_DEP_2)
	v_xor_b32_e32 v10, v43, v9
	v_cndmask_b32_e64 v9, 0, v12, s3
	v_cndmask_b32_e64 v10, 0x7ff80000, v10, s3
	s_and_b32 s3, s7, s6
	v_cmp_ngt_f64_e64 s6, 0xc090cc00, v[5:6]
	s_delay_alu instid0(VALU_DEP_2) | instskip(NEXT) | instid1(VALU_DEP_1)
	v_add_f64 v[11:12], v[9:10], v[9:10]
	v_mul_f64 v[9:10], v[11:12], v[9:10]
	v_xor_b32_e32 v11, 0x80000000, v34
	v_cndmask_b32_e64 v12, 0, v40, s7
	v_cmp_nlt_f64_e64 s7, s[82:83], v[5:6]
	s_delay_alu instid0(VALU_DEP_3)
	v_cndmask_b32_e64 v29, v11, v52, s4
	v_cndmask_b32_e64 v11, 0, v39, s3
	s_and_b32 s3, s9, s8
	v_cmp_ngt_f64_e64 s8, 0xc0428000, v[5:6]
	v_cndmask_b32_e64 v31, 0, v31, s3
	v_xor_b32_e32 v30, v29, v30
	v_cndmask_b32_e64 v29, 0, v33, s5
	v_cmp_class_f64_e64 s4, v[7:8], 0x1f8
	v_add_f64 v[33:34], v[63:64], v[111:112]
	s_delay_alu instid0(VALU_DEP_4) | instskip(NEXT) | instid1(VALU_DEP_1)
	v_cndmask_b32_e64 v30, 0x7ff80000, v30, s5
	v_fma_f64 v[9:10], v[31:32], v[29:30], -v[9:10]
	v_fma_f64 v[31:32], v[172:173], s[44:45], s[42:43]
	v_cndmask_b32_e64 v29, 0, v37, s5
	v_cndmask_b32_e64 v30, 0x7ff80000, v18, s5
	v_cmp_nlt_f64_e64 s5, 0x40900000, v[5:6]
	v_fma_f64 v[5:6], v[113:114], s[18:19], v[35:36]
	v_and_b32_e32 v18, 1, v153
	s_delay_alu instid0(VALU_DEP_4) | instskip(SKIP_1) | instid1(VALU_DEP_3)
	v_mul_f64 v[11:12], v[11:12], v[29:30]
	v_fma_f64 v[29:30], v[119:120], s[18:19], v[121:122]
	v_cmp_eq_u32_e64 s3, 0, v18
	v_lshlrev_b32_e32 v18, 30, v154
	s_delay_alu instid0(VALU_DEP_1) | instskip(SKIP_1) | instid1(VALU_DEP_2)
	v_xor_b32_e32 v18, v18, v8
	v_add_f64 v[7:8], v[174:175], v[174:175]
	v_and_b32_e32 v18, 0x80000000, v18
	v_fma_f64 v[31:32], v[172:173], v[31:32], s[46:47]
	v_add_f64 v[5:6], v[23:24], -v[5:6]
	v_add_f64 v[23:24], v[123:124], v[125:126]
	v_add_f64 v[25:26], v[25:26], -v[29:30]
	v_cndmask_b32_e64 v8, v175, v8, s2
	v_fma_f64 v[31:32], v[172:173], v[31:32], s[48:49]
	s_delay_alu instid0(VALU_DEP_3) | instskip(NEXT) | instid1(VALU_DEP_3)
	v_cndmask_b32_e64 v25, v25, v33, s3
	v_cndmask_b32_e64 v33, 0x7ff00000, v8, s7
	v_and_b32_e32 v8, 1, v152
	s_delay_alu instid0(VALU_DEP_1) | instskip(SKIP_1) | instid1(VALU_DEP_1)
	v_cmp_eq_u32_e64 s9, 0, v8
	v_fma_f64 v[31:32], v[172:173], v[31:32], s[50:51]
	v_fma_f64 v[31:32], v[172:173], v[31:32], s[52:53]
	s_delay_alu instid0(VALU_DEP_1) | instskip(NEXT) | instid1(VALU_DEP_1)
	v_fma_f64 v[31:32], v[172:173], v[31:32], s[16:17]
	v_fma_f64 v[31:32], v[172:173], v[31:32], s[56:57]
	s_delay_alu instid0(VALU_DEP_1) | instskip(NEXT) | instid1(VALU_DEP_1)
	;; [unrolled: 3-line block ×3, first 2 shown]
	v_fma_f64 v[31:32], v[172:173], v[31:32], 1.0
	v_fma_f64 v[31:32], v[172:173], v[31:32], 1.0
	s_delay_alu instid0(VALU_DEP_1) | instskip(NEXT) | instid1(VALU_DEP_1)
	v_ldexp_f64 v[29:30], v[31:32], v183
	v_cndmask_b32_e64 v32, 0x7ff00000, v30, s5
	v_add_f64 v[30:31], v[41:42], v[117:118]
	s_delay_alu instid0(VALU_DEP_1) | instskip(NEXT) | instid1(VALU_DEP_2)
	v_cndmask_b32_e64 v8, v30, v5, s9
	v_cndmask_b32_e64 v30, v31, v6, s9
	v_fma_f64 v[5:6], v[127:128], s[18:19], v[45:46]
	s_delay_alu instid0(VALU_DEP_1) | instskip(SKIP_1) | instid1(VALU_DEP_1)
	v_add_f64 v[5:6], v[27:28], -v[5:6]
	v_and_b32_e32 v27, 1, v154
	v_cmp_eq_u32_e64 s9, 0, v27
	s_delay_alu instid0(VALU_DEP_1)
	v_cndmask_b32_e64 v27, v23, v5, s9
	v_cndmask_b32_e64 v23, v174, v7, s2
	v_cmp_class_f64_e64 s2, v[21:22], 0x1f8
	v_lshlrev_b32_e32 v5, 30, v152
	v_cndmask_b32_e64 v28, v24, v6, s9
	v_cndmask_b32_e64 v24, 0xbff00000, v33, s8
	s_delay_alu instid0(VALU_DEP_3) | instskip(SKIP_1) | instid1(VALU_DEP_4)
	v_xor_b32_e32 v5, v5, v22
	v_lshlrev_b32_e32 v22, 30, v153
	v_xor_b32_e32 v18, v28, v18
	s_delay_alu instid0(VALU_DEP_3) | instskip(NEXT) | instid1(VALU_DEP_3)
	v_and_b32_e32 v5, 0x80000000, v5
	v_and_b32_e32 v22, 0x80000000, v22
	s_delay_alu instid0(VALU_DEP_2) | instskip(SKIP_2) | instid1(VALU_DEP_3)
	v_xor_b32_e32 v6, v30, v5
	v_and_b32_e32 v30, 1, v163
	v_cndmask_b32_e64 v5, 0, v8, s2
	v_cndmask_b32_e64 v6, 0x7ff80000, v6, s2
	s_and_b32 s2, s6, s5
	v_cmp_ngt_f64_e64 s5, 0xc090cc00, v[1:2]
	s_delay_alu instid0(VALU_DEP_2) | instskip(NEXT) | instid1(VALU_DEP_1)
	v_add_f64 v[7:8], v[5:6], v[5:6]
	v_mul_f64 v[5:6], v[7:8], v[5:6]
	v_xor_b32_e32 v7, 0x80000000, v26
	v_cndmask_b32_e64 v8, 0, v32, s6
	v_cmp_nlt_f64_e64 s6, s[82:83], v[1:2]
	s_delay_alu instid0(VALU_DEP_3)
	v_cndmask_b32_e64 v21, v7, v34, s3
	v_cndmask_b32_e64 v7, 0, v29, s2
	s_and_b32 s2, s8, s7
	v_cmp_ngt_f64_e64 s7, 0xc0428000, v[1:2]
	v_cndmask_b32_e64 v23, 0, v23, s2
	v_xor_b32_e32 v22, v21, v22
	v_cndmask_b32_e64 v21, 0, v25, s4
	v_add_f64 v[25:26], v[129:130], v[131:132]
	v_cmp_class_f64_e64 s3, v[3:4], 0x1f8
	s_delay_alu instid0(VALU_DEP_4) | instskip(NEXT) | instid1(VALU_DEP_1)
	v_cndmask_b32_e64 v22, 0x7ff80000, v22, s4
	v_fma_f64 v[5:6], v[23:24], v[21:22], -v[5:6]
	v_fma_f64 v[23:24], v[176:177], s[44:45], s[42:43]
	v_cndmask_b32_e64 v21, 0, v27, s4
	v_cndmask_b32_e64 v22, 0x7ff80000, v18, s4
	v_cmp_nlt_f64_e64 s4, 0x40900000, v[1:2]
	v_fma_f64 v[1:2], v[133:134], s[18:19], v[65:66]
	v_and_b32_e32 v18, 1, v161
	s_delay_alu instid0(VALU_DEP_4) | instskip(SKIP_1) | instid1(VALU_DEP_3)
	v_mul_f64 v[7:8], v[7:8], v[21:22]
	v_fma_f64 v[21:22], v[137:138], s[18:19], v[139:140]
	v_cmp_eq_u32_e64 s2, 0, v18
	v_lshlrev_b32_e32 v18, 30, v163
	s_delay_alu instid0(VALU_DEP_1) | instskip(SKIP_1) | instid1(VALU_DEP_2)
	v_xor_b32_e32 v18, v18, v4
	v_add_f64 v[3:4], v[149:150], v[149:150]
	v_and_b32_e32 v18, 0x80000000, v18
	v_fma_f64 v[23:24], v[176:177], v[23:24], s[46:47]
	v_add_f64 v[1:2], v[49:50], -v[1:2]
	v_add_f64 v[21:22], v[55:56], -v[21:22]
	v_dual_cndmask_b32 v4, v150, v4 :: v_dual_cndmask_b32 v31, v149, v3
	v_cmp_class_f64_e64 vcc_lo, v[47:48], 0x1f8
	s_delay_alu instid0(VALU_DEP_2) | instskip(SKIP_1) | instid1(VALU_DEP_1)
	v_cndmask_b32_e64 v28, 0x7ff00000, v4, s6
	v_and_b32_e32 v4, 1, v160
	v_cmp_eq_u32_e64 s8, 0, v4
	v_fma_f64 v[23:24], v[176:177], v[23:24], s[48:49]
	v_cndmask_b32_e64 v21, v21, v25, s2
	s_delay_alu instid0(VALU_DEP_1) | instskip(NEXT) | instid1(VALU_DEP_3)
	v_cndmask_b32_e64 v21, 0, v21, s3
	v_fma_f64 v[23:24], v[176:177], v[23:24], s[50:51]
	s_delay_alu instid0(VALU_DEP_1) | instskip(NEXT) | instid1(VALU_DEP_1)
	v_fma_f64 v[23:24], v[176:177], v[23:24], s[52:53]
	v_fma_f64 v[23:24], v[176:177], v[23:24], s[16:17]
	s_delay_alu instid0(VALU_DEP_1) | instskip(NEXT) | instid1(VALU_DEP_1)
	v_fma_f64 v[23:24], v[176:177], v[23:24], s[56:57]
	;; [unrolled: 3-line block ×3, first 2 shown]
	v_fma_f64 v[23:24], v[176:177], v[23:24], 1.0
	s_delay_alu instid0(VALU_DEP_1) | instskip(NEXT) | instid1(VALU_DEP_1)
	v_fma_f64 v[23:24], v[176:177], v[23:24], 1.0
	v_ldexp_f64 v[23:24], v[23:24], v184
	s_delay_alu instid0(VALU_DEP_1) | instskip(SKIP_1) | instid1(VALU_DEP_1)
	v_cndmask_b32_e64 v27, 0x7ff00000, v24, s4
	v_add_f64 v[24:25], v[115:116], v[135:136]
	v_cndmask_b32_e64 v4, v24, v1, s8
	s_delay_alu instid0(VALU_DEP_2) | instskip(SKIP_3) | instid1(VALU_DEP_3)
	v_cndmask_b32_e64 v29, v25, v2, s8
	v_fma_f64 v[1:2], v[147:148], s[18:19], v[143:144]
	v_add_f64 v[24:25], v[141:142], v[145:146]
	v_cmp_eq_u32_e64 s8, 0, v30
	v_add_f64 v[1:2], v[59:60], -v[1:2]
	s_delay_alu instid0(VALU_DEP_1) | instskip(SKIP_1) | instid1(VALU_DEP_3)
	v_cndmask_b32_e64 v30, v24, v1, s8
	v_lshlrev_b32_e32 v1, 30, v160
	v_cndmask_b32_e64 v25, v25, v2, s8
	v_cndmask_b32_e64 v24, 0xbff00000, v28, s7
	s_delay_alu instid0(VALU_DEP_3) | instskip(NEXT) | instid1(VALU_DEP_3)
	v_xor_b32_e32 v1, v1, v48
	v_xor_b32_e32 v18, v25, v18
	s_delay_alu instid0(VALU_DEP_2) | instskip(NEXT) | instid1(VALU_DEP_1)
	v_and_b32_e32 v1, 0x80000000, v1
	v_xor_b32_e32 v2, v29, v1
	v_cndmask_b32_e32 v1, 0, v4, vcc_lo
	s_delay_alu instid0(VALU_DEP_2) | instskip(SKIP_1) | instid1(VALU_DEP_1)
	v_cndmask_b32_e32 v2, 0x7ff80000, v2, vcc_lo
	s_and_b32 vcc_lo, s5, s4
	v_add_f64 v[3:4], v[1:2], v[1:2]
	s_delay_alu instid0(VALU_DEP_1) | instskip(SKIP_2) | instid1(VALU_DEP_2)
	v_mul_f64 v[1:2], v[3:4], v[1:2]
	v_xor_b32_e32 v3, 0x80000000, v22
	v_cndmask_b32_e64 v4, 0, v27, s5
	v_cndmask_b32_e64 v22, v3, v26, s2
	v_cndmask_b32_e32 v3, 0, v23, vcc_lo
	v_lshlrev_b32_e32 v23, 30, v161
	s_and_b32 vcc_lo, s7, s6
	s_delay_alu instid0(VALU_DEP_1) | instskip(NEXT) | instid1(VALU_DEP_1)
	v_and_b32_e32 v23, 0x80000000, v23
	v_xor_b32_e32 v22, v22, v23
	v_cndmask_b32_e32 v23, 0, v31, vcc_lo
	s_delay_alu instid0(VALU_DEP_2) | instskip(NEXT) | instid1(VALU_DEP_1)
	v_cndmask_b32_e64 v22, 0x7ff80000, v22, s3
	v_fma_f64 v[1:2], v[23:24], v[21:22], -v[1:2]
	v_cndmask_b32_e64 v21, 0, v30, s3
	v_cndmask_b32_e64 v22, 0x7ff80000, v18, s3
	s_delay_alu instid0(VALU_DEP_1) | instskip(SKIP_1) | instid1(VALU_DEP_1)
	v_mul_f64 v[3:4], v[3:4], v[21:22]
	v_add_co_u32 v21, s2, vcc_hi, v151
	v_add_co_ci_u32_e64 v22, null, s14, 0, s2
	v_readlane_b32 s2, v185, 4
	v_readlane_b32 s3, v185, 5
	s_clause 0x3
	global_store_b128 v[21:22], v[5:8], off
	global_store_b128 v[21:22], v[9:12], off offset:16
	global_store_b128 v[21:22], v[13:16], off offset:32
	;; [unrolled: 1-line block ×3, first 2 shown]
	v_cmp_le_i64_e32 vcc_lo, s[2:3], v[19:20]
	v_cmp_lt_u64_e64 s2, 0xffff, v[19:20]
	s_delay_alu instid0(VALU_DEP_1)
	s_or_b32 s2, vcc_lo, s2
	s_add_u32 s33, s33, s1
	s_addc_u32 s104, s104, 0
	v_add_co_u32 v19, vcc_lo, v19, s0
	s_add_u32 vcc_hi, vcc_hi, s1
	s_addc_u32 s14, s14, 0
	v_add_co_ci_u32_e32 v20, vcc_lo, 0, v20, vcc_lo
	s_and_b32 s2, exec_lo, s2
	s_delay_alu instid0(SALU_CYCLE_1) | instskip(NEXT) | instid1(SALU_CYCLE_1)
	s_or_b32 s15, s2, s15
	s_and_not1_b32 exec_lo, exec_lo, s15
	s_cbranch_execz .LBB144_52
.LBB144_4:                              ; =>This Inner Loop Header: Depth=1
	v_add_co_u32 v13, s2, s33, v151
	s_delay_alu instid0(VALU_DEP_1)
	v_add_co_ci_u32_e64 v14, null, s104, 0, s2
	s_mov_b32 s3, exec_lo
                                        ; implicit-def: $vgpr152
                                        ; implicit-def: $vgpr23_vgpr24
                                        ; implicit-def: $vgpr35_vgpr36
	s_clause 0x3
	global_load_b128 v[5:8], v[13:14], off
	global_load_b128 v[9:12], v[13:14], off offset:16
	global_load_b128 v[1:4], v[13:14], off offset:48
	;; [unrolled: 1-line block ×3, first 2 shown]
	s_waitcnt vmcnt(3)
	v_mul_f64 v[21:22], v[7:8], 0.5
	s_delay_alu instid0(VALU_DEP_1)
	v_cmpx_ngt_f64_e64 0x41d00000, |v[21:22]|
	s_xor_b32 s3, exec_lo, s3
	s_cbranch_execz .LBB144_6
; %bb.5:                                ;   in Loop: Header=BB144_4 Depth=1
	v_ldexp_f64 v[23:24], |v[21:22]|, 0xffffff80
	v_cmp_le_f64_e64 vcc_lo, 0x7b000000, |v[21:22]|
	v_trig_preop_f64 v[25:26], |v[21:22]|, 0
	v_and_b32_e32 v18, 0x7fffffff, v22
	v_trig_preop_f64 v[27:28], |v[21:22]|, 1
	v_trig_preop_f64 v[37:38], |v[21:22]|, 2
	s_mov_b32 s20, s22
	s_mov_b32 s27, s25
	v_dual_cndmask_b32 v23, v21, v23 :: v_dual_cndmask_b32 v24, v18, v24
	s_delay_alu instid0(VALU_DEP_1) | instskip(NEXT) | instid1(VALU_DEP_4)
	v_mul_f64 v[29:30], v[25:26], v[23:24]
	v_mul_f64 v[31:32], v[27:28], v[23:24]
	s_delay_alu instid0(VALU_DEP_2) | instskip(NEXT) | instid1(VALU_DEP_2)
	v_fma_f64 v[25:26], v[25:26], v[23:24], -v[29:30]
	v_fma_f64 v[27:28], v[27:28], v[23:24], -v[31:32]
	s_delay_alu instid0(VALU_DEP_2) | instskip(NEXT) | instid1(VALU_DEP_1)
	v_add_f64 v[33:34], v[31:32], v[25:26]
	v_add_f64 v[35:36], v[33:34], -v[31:32]
	v_add_f64 v[41:42], v[29:30], v[33:34]
	s_delay_alu instid0(VALU_DEP_2) | instskip(SKIP_1) | instid1(VALU_DEP_3)
	v_add_f64 v[39:40], v[33:34], -v[35:36]
	v_add_f64 v[25:26], v[25:26], -v[35:36]
	v_ldexp_f64 v[35:36], v[41:42], -2
	v_add_f64 v[29:30], v[41:42], -v[29:30]
	s_delay_alu instid0(VALU_DEP_4) | instskip(NEXT) | instid1(VALU_DEP_3)
	v_add_f64 v[31:32], v[31:32], -v[39:40]
	v_cmp_neq_f64_e64 vcc_lo, 0x7ff00000, |v[35:36]|
	s_delay_alu instid0(VALU_DEP_3) | instskip(NEXT) | instid1(VALU_DEP_3)
	v_add_f64 v[29:30], v[33:34], -v[29:30]
	v_add_f64 v[25:26], v[25:26], v[31:32]
	v_fract_f64_e32 v[31:32], v[35:36]
	s_delay_alu instid0(VALU_DEP_1) | instskip(SKIP_1) | instid1(VALU_DEP_3)
	v_cndmask_b32_e32 v31, 0, v31, vcc_lo
	v_mul_f64 v[43:44], v[37:38], v[23:24]
	v_cndmask_b32_e32 v32, 0, v32, vcc_lo
	s_delay_alu instid0(VALU_DEP_1) | instskip(NEXT) | instid1(VALU_DEP_3)
	v_ldexp_f64 v[31:32], v[31:32], 2
	v_add_f64 v[39:40], v[43:44], v[27:28]
	v_fma_f64 v[23:24], v[37:38], v[23:24], -v[43:44]
	s_delay_alu instid0(VALU_DEP_2) | instskip(NEXT) | instid1(VALU_DEP_1)
	v_add_f64 v[33:34], v[39:40], v[25:26]
	v_add_f64 v[35:36], v[29:30], v[33:34]
	v_add_f64 v[45:46], v[33:34], -v[39:40]
	s_delay_alu instid0(VALU_DEP_2) | instskip(NEXT) | instid1(VALU_DEP_2)
	v_add_f64 v[41:42], v[35:36], v[31:32]
	v_add_f64 v[51:52], v[33:34], -v[45:46]
	v_add_f64 v[25:26], v[25:26], -v[45:46]
	;; [unrolled: 1-line block ×3, first 2 shown]
	s_delay_alu instid0(VALU_DEP_4) | instskip(SKIP_1) | instid1(VALU_DEP_3)
	v_cmp_gt_f64_e32 vcc_lo, 0, v[41:42]
	v_add_f64 v[41:42], v[39:40], -v[43:44]
	v_add_f64 v[29:30], v[33:34], -v[29:30]
	v_cndmask_b32_e64 v18, 0, 0x40100000, vcc_lo
	s_delay_alu instid0(VALU_DEP_3) | instskip(SKIP_2) | instid1(VALU_DEP_4)
	v_add_f64 v[49:50], v[39:40], -v[41:42]
	v_add_f64 v[27:28], v[27:28], -v[41:42]
	;; [unrolled: 1-line block ×3, first 2 shown]
	v_add_f64 v[31:32], v[31:32], v[17:18]
	s_delay_alu instid0(VALU_DEP_4) | instskip(NEXT) | instid1(VALU_DEP_3)
	v_add_f64 v[41:42], v[43:44], -v[49:50]
	v_add_f64 v[25:26], v[25:26], v[39:40]
	s_delay_alu instid0(VALU_DEP_3) | instskip(NEXT) | instid1(VALU_DEP_3)
	v_add_f64 v[47:48], v[35:36], v[31:32]
	v_add_f64 v[27:28], v[27:28], v[41:42]
	s_delay_alu instid0(VALU_DEP_2) | instskip(NEXT) | instid1(VALU_DEP_2)
	v_cvt_i32_f64_e32 v18, v[47:48]
	v_add_f64 v[25:26], v[27:28], v[25:26]
	s_delay_alu instid0(VALU_DEP_2) | instskip(NEXT) | instid1(VALU_DEP_2)
	v_cvt_f64_i32_e32 v[45:46], v18
	v_add_f64 v[23:24], v[23:24], v[25:26]
	s_delay_alu instid0(VALU_DEP_2) | instskip(NEXT) | instid1(VALU_DEP_2)
	v_add_f64 v[31:32], v[31:32], -v[45:46]
	v_add_f64 v[23:24], v[29:30], v[23:24]
	s_delay_alu instid0(VALU_DEP_2) | instskip(NEXT) | instid1(VALU_DEP_1)
	v_add_f64 v[27:28], v[35:36], v[31:32]
	v_add_f64 v[25:26], v[27:28], -v[31:32]
	v_cmp_le_f64_e32 vcc_lo, 0.5, v[27:28]
	s_delay_alu instid0(VALU_DEP_2) | instskip(SKIP_2) | instid1(VALU_DEP_3)
	v_add_f64 v[25:26], v[35:36], -v[25:26]
	v_add_co_ci_u32_e64 v152, s2, 0, v18, vcc_lo
	v_cndmask_b32_e64 v18, 0, 0x3ff00000, vcc_lo
	v_add_f64 v[23:24], v[23:24], v[25:26]
	s_delay_alu instid0(VALU_DEP_2) | instskip(NEXT) | instid1(VALU_DEP_1)
	v_add_f64 v[25:26], v[27:28], -v[17:18]
	v_add_f64 v[27:28], v[25:26], v[23:24]
	s_delay_alu instid0(VALU_DEP_1) | instskip(SKIP_1) | instid1(VALU_DEP_2)
	v_mul_f64 v[29:30], v[27:28], s[20:21]
	v_add_f64 v[25:26], v[27:28], -v[25:26]
	v_fma_f64 v[31:32], v[27:28], s[20:21], -v[29:30]
	s_delay_alu instid0(VALU_DEP_2) | instskip(NEXT) | instid1(VALU_DEP_2)
	v_add_f64 v[23:24], v[23:24], -v[25:26]
	v_fma_f64 v[25:26], v[27:28], s[26:27], v[31:32]
	s_delay_alu instid0(VALU_DEP_1) | instskip(NEXT) | instid1(VALU_DEP_1)
	v_fma_f64 v[25:26], v[23:24], s[20:21], v[25:26]
	v_add_f64 v[23:24], v[29:30], v[25:26]
	s_delay_alu instid0(VALU_DEP_1) | instskip(NEXT) | instid1(VALU_DEP_1)
	v_add_f64 v[27:28], v[23:24], -v[29:30]
	v_add_f64 v[35:36], v[25:26], -v[27:28]
.LBB144_6:                              ;   in Loop: Header=BB144_4 Depth=1
	s_and_not1_saveexec_b32 s2, s3
	s_cbranch_execz .LBB144_8
; %bb.7:                                ;   in Loop: Header=BB144_4 Depth=1
	v_mul_f64 v[23:24], |v[21:22]|, s[28:29]
	s_mov_b32 s24, s30
	s_delay_alu instid0(VALU_DEP_1) | instskip(NEXT) | instid1(VALU_DEP_1)
	v_rndne_f64_e32 v[25:26], v[23:24]
	v_fma_f64 v[23:24], v[25:26], s[22:23], |v[21:22]|
	v_mul_f64 v[27:28], v[25:26], s[30:31]
	v_cvt_i32_f64_e32 v152, v[25:26]
	s_delay_alu instid0(VALU_DEP_3) | instskip(NEXT) | instid1(VALU_DEP_3)
	v_fma_f64 v[31:32], v[25:26], s[30:31], v[23:24]
	v_add_f64 v[29:30], v[23:24], v[27:28]
	s_delay_alu instid0(VALU_DEP_1) | instskip(NEXT) | instid1(VALU_DEP_3)
	v_add_f64 v[23:24], v[23:24], -v[29:30]
	v_add_f64 v[29:30], v[29:30], -v[31:32]
	s_delay_alu instid0(VALU_DEP_2) | instskip(SKIP_1) | instid1(VALU_DEP_2)
	v_add_f64 v[23:24], v[23:24], v[27:28]
	v_fma_f64 v[27:28], v[25:26], s[24:25], v[27:28]
	v_add_f64 v[23:24], v[29:30], v[23:24]
	s_delay_alu instid0(VALU_DEP_1) | instskip(NEXT) | instid1(VALU_DEP_1)
	v_add_f64 v[23:24], v[23:24], -v[27:28]
	v_fma_f64 v[27:28], v[25:26], s[34:35], v[23:24]
	s_delay_alu instid0(VALU_DEP_1) | instskip(NEXT) | instid1(VALU_DEP_1)
	v_add_f64 v[23:24], v[31:32], v[27:28]
	v_add_f64 v[29:30], v[23:24], -v[31:32]
	s_delay_alu instid0(VALU_DEP_1)
	v_add_f64 v[35:36], v[27:28], -v[29:30]
.LBB144_8:                              ;   in Loop: Header=BB144_4 Depth=1
	s_or_b32 exec_lo, exec_lo, s2
	v_cmp_ngt_f64_e64 s3, 0x41d00000, |v[7:8]|
                                        ; implicit-def: $vgpr153
                                        ; implicit-def: $vgpr25_vgpr26
                                        ; implicit-def: $vgpr41_vgpr42
	s_delay_alu instid0(VALU_DEP_1) | instskip(NEXT) | instid1(SALU_CYCLE_1)
	s_and_saveexec_b32 s2, s3
	s_xor_b32 s4, exec_lo, s2
	s_cbranch_execz .LBB144_10
; %bb.9:                                ;   in Loop: Header=BB144_4 Depth=1
	v_ldexp_f64 v[25:26], |v[7:8]|, 0xffffff80
	v_cmp_le_f64_e64 vcc_lo, 0x7b000000, |v[7:8]|
	v_trig_preop_f64 v[27:28], |v[7:8]|, 0
	v_and_b32_e32 v18, 0x7fffffff, v8
	v_trig_preop_f64 v[29:30], |v[7:8]|, 1
	v_trig_preop_f64 v[41:42], |v[7:8]|, 2
	s_mov_b32 s20, s22
	s_mov_b32 s27, s25
	v_dual_cndmask_b32 v25, v7, v25 :: v_dual_cndmask_b32 v26, v18, v26
	s_delay_alu instid0(VALU_DEP_1) | instskip(NEXT) | instid1(VALU_DEP_4)
	v_mul_f64 v[31:32], v[27:28], v[25:26]
	v_mul_f64 v[33:34], v[29:30], v[25:26]
	s_delay_alu instid0(VALU_DEP_2) | instskip(NEXT) | instid1(VALU_DEP_2)
	v_fma_f64 v[27:28], v[27:28], v[25:26], -v[31:32]
	v_fma_f64 v[29:30], v[29:30], v[25:26], -v[33:34]
	s_delay_alu instid0(VALU_DEP_2) | instskip(NEXT) | instid1(VALU_DEP_1)
	v_add_f64 v[37:38], v[33:34], v[27:28]
	v_add_f64 v[39:40], v[37:38], -v[33:34]
	v_add_f64 v[45:46], v[31:32], v[37:38]
	s_delay_alu instid0(VALU_DEP_2) | instskip(SKIP_1) | instid1(VALU_DEP_3)
	v_add_f64 v[43:44], v[37:38], -v[39:40]
	v_add_f64 v[27:28], v[27:28], -v[39:40]
	v_ldexp_f64 v[39:40], v[45:46], -2
	v_add_f64 v[31:32], v[45:46], -v[31:32]
	s_delay_alu instid0(VALU_DEP_4) | instskip(NEXT) | instid1(VALU_DEP_3)
	v_add_f64 v[33:34], v[33:34], -v[43:44]
	v_cmp_neq_f64_e64 vcc_lo, 0x7ff00000, |v[39:40]|
	s_delay_alu instid0(VALU_DEP_3) | instskip(NEXT) | instid1(VALU_DEP_3)
	v_add_f64 v[31:32], v[37:38], -v[31:32]
	v_add_f64 v[27:28], v[27:28], v[33:34]
	v_fract_f64_e32 v[33:34], v[39:40]
	s_delay_alu instid0(VALU_DEP_1) | instskip(SKIP_1) | instid1(VALU_DEP_3)
	v_cndmask_b32_e32 v33, 0, v33, vcc_lo
	v_mul_f64 v[47:48], v[41:42], v[25:26]
	v_cndmask_b32_e32 v34, 0, v34, vcc_lo
	s_delay_alu instid0(VALU_DEP_1) | instskip(NEXT) | instid1(VALU_DEP_3)
	v_ldexp_f64 v[33:34], v[33:34], 2
	v_add_f64 v[43:44], v[47:48], v[29:30]
	v_fma_f64 v[25:26], v[41:42], v[25:26], -v[47:48]
	s_delay_alu instid0(VALU_DEP_2) | instskip(NEXT) | instid1(VALU_DEP_1)
	v_add_f64 v[37:38], v[43:44], v[27:28]
	v_add_f64 v[39:40], v[31:32], v[37:38]
	v_add_f64 v[49:50], v[37:38], -v[43:44]
	s_delay_alu instid0(VALU_DEP_2) | instskip(NEXT) | instid1(VALU_DEP_2)
	v_add_f64 v[45:46], v[39:40], v[33:34]
	v_add_f64 v[55:56], v[37:38], -v[49:50]
	v_add_f64 v[27:28], v[27:28], -v[49:50]
	;; [unrolled: 1-line block ×3, first 2 shown]
	s_delay_alu instid0(VALU_DEP_4) | instskip(SKIP_1) | instid1(VALU_DEP_3)
	v_cmp_gt_f64_e32 vcc_lo, 0, v[45:46]
	v_add_f64 v[45:46], v[43:44], -v[47:48]
	v_add_f64 v[31:32], v[37:38], -v[31:32]
	v_cndmask_b32_e64 v18, 0, 0x40100000, vcc_lo
	s_delay_alu instid0(VALU_DEP_3) | instskip(SKIP_2) | instid1(VALU_DEP_4)
	v_add_f64 v[53:54], v[43:44], -v[45:46]
	v_add_f64 v[29:30], v[29:30], -v[45:46]
	;; [unrolled: 1-line block ×3, first 2 shown]
	v_add_f64 v[33:34], v[33:34], v[17:18]
	s_delay_alu instid0(VALU_DEP_4) | instskip(NEXT) | instid1(VALU_DEP_3)
	v_add_f64 v[45:46], v[47:48], -v[53:54]
	v_add_f64 v[27:28], v[27:28], v[43:44]
	s_delay_alu instid0(VALU_DEP_3) | instskip(NEXT) | instid1(VALU_DEP_3)
	v_add_f64 v[51:52], v[39:40], v[33:34]
	v_add_f64 v[29:30], v[29:30], v[45:46]
	s_delay_alu instid0(VALU_DEP_2) | instskip(NEXT) | instid1(VALU_DEP_2)
	v_cvt_i32_f64_e32 v18, v[51:52]
	v_add_f64 v[27:28], v[29:30], v[27:28]
	s_delay_alu instid0(VALU_DEP_2) | instskip(NEXT) | instid1(VALU_DEP_2)
	v_cvt_f64_i32_e32 v[49:50], v18
	v_add_f64 v[25:26], v[25:26], v[27:28]
	s_delay_alu instid0(VALU_DEP_2) | instskip(NEXT) | instid1(VALU_DEP_2)
	v_add_f64 v[33:34], v[33:34], -v[49:50]
	v_add_f64 v[25:26], v[31:32], v[25:26]
	s_delay_alu instid0(VALU_DEP_2) | instskip(NEXT) | instid1(VALU_DEP_1)
	v_add_f64 v[29:30], v[39:40], v[33:34]
	v_add_f64 v[27:28], v[29:30], -v[33:34]
	v_cmp_le_f64_e32 vcc_lo, 0.5, v[29:30]
	s_delay_alu instid0(VALU_DEP_2) | instskip(SKIP_2) | instid1(VALU_DEP_3)
	v_add_f64 v[27:28], v[39:40], -v[27:28]
	v_add_co_ci_u32_e64 v153, s2, 0, v18, vcc_lo
	v_cndmask_b32_e64 v18, 0, 0x3ff00000, vcc_lo
	v_add_f64 v[25:26], v[25:26], v[27:28]
	s_delay_alu instid0(VALU_DEP_2) | instskip(NEXT) | instid1(VALU_DEP_1)
	v_add_f64 v[27:28], v[29:30], -v[17:18]
	v_add_f64 v[29:30], v[27:28], v[25:26]
	s_delay_alu instid0(VALU_DEP_1) | instskip(SKIP_1) | instid1(VALU_DEP_2)
	v_mul_f64 v[31:32], v[29:30], s[20:21]
	v_add_f64 v[27:28], v[29:30], -v[27:28]
	v_fma_f64 v[33:34], v[29:30], s[20:21], -v[31:32]
	s_delay_alu instid0(VALU_DEP_2) | instskip(NEXT) | instid1(VALU_DEP_2)
	v_add_f64 v[25:26], v[25:26], -v[27:28]
	v_fma_f64 v[27:28], v[29:30], s[26:27], v[33:34]
	s_delay_alu instid0(VALU_DEP_1) | instskip(NEXT) | instid1(VALU_DEP_1)
	v_fma_f64 v[27:28], v[25:26], s[20:21], v[27:28]
	v_add_f64 v[25:26], v[31:32], v[27:28]
	s_delay_alu instid0(VALU_DEP_1) | instskip(NEXT) | instid1(VALU_DEP_1)
	v_add_f64 v[29:30], v[25:26], -v[31:32]
	v_add_f64 v[41:42], v[27:28], -v[29:30]
	s_and_not1_saveexec_b32 s2, s4
	s_cbranch_execz .LBB144_12
	s_branch .LBB144_11
.LBB144_10:                             ;   in Loop: Header=BB144_4 Depth=1
	s_and_not1_saveexec_b32 s2, s4
	s_cbranch_execz .LBB144_12
.LBB144_11:                             ;   in Loop: Header=BB144_4 Depth=1
	v_mul_f64 v[25:26], |v[7:8]|, s[28:29]
	s_mov_b32 s24, s30
	s_delay_alu instid0(VALU_DEP_1) | instskip(NEXT) | instid1(VALU_DEP_1)
	v_rndne_f64_e32 v[27:28], v[25:26]
	v_fma_f64 v[25:26], v[27:28], s[22:23], |v[7:8]|
	v_mul_f64 v[29:30], v[27:28], s[30:31]
	v_cvt_i32_f64_e32 v153, v[27:28]
	s_delay_alu instid0(VALU_DEP_3) | instskip(NEXT) | instid1(VALU_DEP_3)
	v_fma_f64 v[33:34], v[27:28], s[30:31], v[25:26]
	v_add_f64 v[31:32], v[25:26], v[29:30]
	s_delay_alu instid0(VALU_DEP_1) | instskip(NEXT) | instid1(VALU_DEP_3)
	v_add_f64 v[25:26], v[25:26], -v[31:32]
	v_add_f64 v[31:32], v[31:32], -v[33:34]
	s_delay_alu instid0(VALU_DEP_2) | instskip(SKIP_1) | instid1(VALU_DEP_2)
	v_add_f64 v[25:26], v[25:26], v[29:30]
	v_fma_f64 v[29:30], v[27:28], s[24:25], v[29:30]
	v_add_f64 v[25:26], v[31:32], v[25:26]
	s_delay_alu instid0(VALU_DEP_1) | instskip(NEXT) | instid1(VALU_DEP_1)
	v_add_f64 v[25:26], v[25:26], -v[29:30]
	v_fma_f64 v[29:30], v[27:28], s[34:35], v[25:26]
	s_delay_alu instid0(VALU_DEP_1) | instskip(NEXT) | instid1(VALU_DEP_1)
	v_add_f64 v[25:26], v[33:34], v[29:30]
	v_add_f64 v[31:32], v[25:26], -v[33:34]
	s_delay_alu instid0(VALU_DEP_1)
	v_add_f64 v[41:42], v[29:30], -v[31:32]
.LBB144_12:                             ;   in Loop: Header=BB144_4 Depth=1
	s_or_b32 exec_lo, exec_lo, s2
                                        ; implicit-def: $vgpr154
                                        ; implicit-def: $vgpr27_vgpr28
                                        ; implicit-def: $vgpr45_vgpr46
	s_and_saveexec_b32 s2, s3
	s_delay_alu instid0(SALU_CYCLE_1)
	s_xor_b32 s3, exec_lo, s2
	s_cbranch_execz .LBB144_14
; %bb.13:                               ;   in Loop: Header=BB144_4 Depth=1
	v_ldexp_f64 v[27:28], |v[7:8]|, 0xffffff80
	v_cmp_le_f64_e64 vcc_lo, 0x7b000000, |v[7:8]|
	v_trig_preop_f64 v[29:30], |v[7:8]|, 0
	v_and_b32_e32 v18, 0x7fffffff, v8
	v_trig_preop_f64 v[31:32], |v[7:8]|, 1
	v_trig_preop_f64 v[45:46], |v[7:8]|, 2
	s_mov_b32 s20, s22
	s_mov_b32 s27, s25
	v_dual_cndmask_b32 v27, v7, v27 :: v_dual_cndmask_b32 v28, v18, v28
	s_delay_alu instid0(VALU_DEP_1) | instskip(NEXT) | instid1(VALU_DEP_4)
	v_mul_f64 v[33:34], v[29:30], v[27:28]
	v_mul_f64 v[37:38], v[31:32], v[27:28]
	s_delay_alu instid0(VALU_DEP_2) | instskip(NEXT) | instid1(VALU_DEP_2)
	v_fma_f64 v[29:30], v[29:30], v[27:28], -v[33:34]
	v_fma_f64 v[31:32], v[31:32], v[27:28], -v[37:38]
	s_delay_alu instid0(VALU_DEP_2) | instskip(NEXT) | instid1(VALU_DEP_1)
	v_add_f64 v[39:40], v[37:38], v[29:30]
	v_add_f64 v[43:44], v[39:40], -v[37:38]
	v_add_f64 v[49:50], v[33:34], v[39:40]
	s_delay_alu instid0(VALU_DEP_2) | instskip(SKIP_1) | instid1(VALU_DEP_3)
	v_add_f64 v[47:48], v[39:40], -v[43:44]
	v_add_f64 v[29:30], v[29:30], -v[43:44]
	v_ldexp_f64 v[43:44], v[49:50], -2
	v_add_f64 v[33:34], v[49:50], -v[33:34]
	s_delay_alu instid0(VALU_DEP_4) | instskip(NEXT) | instid1(VALU_DEP_3)
	v_add_f64 v[37:38], v[37:38], -v[47:48]
	v_cmp_neq_f64_e64 vcc_lo, 0x7ff00000, |v[43:44]|
	s_delay_alu instid0(VALU_DEP_3) | instskip(NEXT) | instid1(VALU_DEP_3)
	v_add_f64 v[33:34], v[39:40], -v[33:34]
	v_add_f64 v[29:30], v[29:30], v[37:38]
	v_fract_f64_e32 v[37:38], v[43:44]
	s_delay_alu instid0(VALU_DEP_1) | instskip(SKIP_1) | instid1(VALU_DEP_3)
	v_cndmask_b32_e32 v37, 0, v37, vcc_lo
	v_mul_f64 v[51:52], v[45:46], v[27:28]
	v_cndmask_b32_e32 v38, 0, v38, vcc_lo
	s_delay_alu instid0(VALU_DEP_1) | instskip(NEXT) | instid1(VALU_DEP_3)
	v_ldexp_f64 v[37:38], v[37:38], 2
	v_add_f64 v[47:48], v[51:52], v[31:32]
	v_fma_f64 v[27:28], v[45:46], v[27:28], -v[51:52]
	s_delay_alu instid0(VALU_DEP_2) | instskip(NEXT) | instid1(VALU_DEP_1)
	v_add_f64 v[39:40], v[47:48], v[29:30]
	v_add_f64 v[43:44], v[33:34], v[39:40]
	v_add_f64 v[53:54], v[39:40], -v[47:48]
	s_delay_alu instid0(VALU_DEP_2) | instskip(NEXT) | instid1(VALU_DEP_2)
	v_add_f64 v[49:50], v[43:44], v[37:38]
	v_add_f64 v[59:60], v[39:40], -v[53:54]
	v_add_f64 v[29:30], v[29:30], -v[53:54]
	;; [unrolled: 1-line block ×3, first 2 shown]
	s_delay_alu instid0(VALU_DEP_4) | instskip(SKIP_1) | instid1(VALU_DEP_3)
	v_cmp_gt_f64_e32 vcc_lo, 0, v[49:50]
	v_add_f64 v[49:50], v[47:48], -v[51:52]
	v_add_f64 v[33:34], v[39:40], -v[33:34]
	v_cndmask_b32_e64 v18, 0, 0x40100000, vcc_lo
	s_delay_alu instid0(VALU_DEP_3) | instskip(SKIP_2) | instid1(VALU_DEP_4)
	v_add_f64 v[57:58], v[47:48], -v[49:50]
	v_add_f64 v[31:32], v[31:32], -v[49:50]
	;; [unrolled: 1-line block ×3, first 2 shown]
	v_add_f64 v[37:38], v[37:38], v[17:18]
	s_delay_alu instid0(VALU_DEP_4) | instskip(NEXT) | instid1(VALU_DEP_3)
	v_add_f64 v[49:50], v[51:52], -v[57:58]
	v_add_f64 v[29:30], v[29:30], v[47:48]
	s_delay_alu instid0(VALU_DEP_3) | instskip(NEXT) | instid1(VALU_DEP_3)
	v_add_f64 v[55:56], v[43:44], v[37:38]
	v_add_f64 v[31:32], v[31:32], v[49:50]
	s_delay_alu instid0(VALU_DEP_2) | instskip(NEXT) | instid1(VALU_DEP_2)
	v_cvt_i32_f64_e32 v18, v[55:56]
	v_add_f64 v[29:30], v[31:32], v[29:30]
	s_delay_alu instid0(VALU_DEP_2) | instskip(NEXT) | instid1(VALU_DEP_2)
	v_cvt_f64_i32_e32 v[53:54], v18
	v_add_f64 v[27:28], v[27:28], v[29:30]
	s_delay_alu instid0(VALU_DEP_2) | instskip(NEXT) | instid1(VALU_DEP_2)
	v_add_f64 v[37:38], v[37:38], -v[53:54]
	v_add_f64 v[27:28], v[33:34], v[27:28]
	s_delay_alu instid0(VALU_DEP_2) | instskip(NEXT) | instid1(VALU_DEP_1)
	v_add_f64 v[31:32], v[43:44], v[37:38]
	v_add_f64 v[29:30], v[31:32], -v[37:38]
	v_cmp_le_f64_e32 vcc_lo, 0.5, v[31:32]
	s_delay_alu instid0(VALU_DEP_2) | instskip(SKIP_2) | instid1(VALU_DEP_3)
	v_add_f64 v[29:30], v[43:44], -v[29:30]
	v_add_co_ci_u32_e64 v154, s2, 0, v18, vcc_lo
	v_cndmask_b32_e64 v18, 0, 0x3ff00000, vcc_lo
	v_add_f64 v[27:28], v[27:28], v[29:30]
	s_delay_alu instid0(VALU_DEP_2) | instskip(NEXT) | instid1(VALU_DEP_1)
	v_add_f64 v[29:30], v[31:32], -v[17:18]
	v_add_f64 v[31:32], v[29:30], v[27:28]
	s_delay_alu instid0(VALU_DEP_1) | instskip(SKIP_1) | instid1(VALU_DEP_2)
	v_mul_f64 v[33:34], v[31:32], s[20:21]
	v_add_f64 v[29:30], v[31:32], -v[29:30]
	v_fma_f64 v[37:38], v[31:32], s[20:21], -v[33:34]
	s_delay_alu instid0(VALU_DEP_2) | instskip(NEXT) | instid1(VALU_DEP_2)
	v_add_f64 v[27:28], v[27:28], -v[29:30]
	v_fma_f64 v[29:30], v[31:32], s[26:27], v[37:38]
	s_delay_alu instid0(VALU_DEP_1) | instskip(NEXT) | instid1(VALU_DEP_1)
	v_fma_f64 v[29:30], v[27:28], s[20:21], v[29:30]
	v_add_f64 v[27:28], v[33:34], v[29:30]
	s_delay_alu instid0(VALU_DEP_1) | instskip(NEXT) | instid1(VALU_DEP_1)
	v_add_f64 v[31:32], v[27:28], -v[33:34]
	v_add_f64 v[45:46], v[29:30], -v[31:32]
	s_and_not1_saveexec_b32 s2, s3
	s_cbranch_execnz .LBB144_15
	s_branch .LBB144_16
.LBB144_14:                             ;   in Loop: Header=BB144_4 Depth=1
	s_and_not1_saveexec_b32 s2, s3
	s_cbranch_execz .LBB144_16
.LBB144_15:                             ;   in Loop: Header=BB144_4 Depth=1
	v_mul_f64 v[27:28], |v[7:8]|, s[28:29]
	s_mov_b32 s24, s30
	s_delay_alu instid0(VALU_DEP_1) | instskip(NEXT) | instid1(VALU_DEP_1)
	v_rndne_f64_e32 v[29:30], v[27:28]
	v_fma_f64 v[27:28], v[29:30], s[22:23], |v[7:8]|
	v_mul_f64 v[31:32], v[29:30], s[30:31]
	v_cvt_i32_f64_e32 v154, v[29:30]
	s_delay_alu instid0(VALU_DEP_3) | instskip(NEXT) | instid1(VALU_DEP_3)
	v_fma_f64 v[37:38], v[29:30], s[30:31], v[27:28]
	v_add_f64 v[33:34], v[27:28], v[31:32]
	s_delay_alu instid0(VALU_DEP_1) | instskip(NEXT) | instid1(VALU_DEP_3)
	v_add_f64 v[27:28], v[27:28], -v[33:34]
	v_add_f64 v[33:34], v[33:34], -v[37:38]
	s_delay_alu instid0(VALU_DEP_2) | instskip(SKIP_1) | instid1(VALU_DEP_2)
	v_add_f64 v[27:28], v[27:28], v[31:32]
	v_fma_f64 v[31:32], v[29:30], s[24:25], v[31:32]
	v_add_f64 v[27:28], v[33:34], v[27:28]
	s_delay_alu instid0(VALU_DEP_1) | instskip(NEXT) | instid1(VALU_DEP_1)
	v_add_f64 v[27:28], v[27:28], -v[31:32]
	v_fma_f64 v[31:32], v[29:30], s[34:35], v[27:28]
	s_delay_alu instid0(VALU_DEP_1) | instskip(NEXT) | instid1(VALU_DEP_1)
	v_add_f64 v[27:28], v[37:38], v[31:32]
	v_add_f64 v[33:34], v[27:28], -v[37:38]
	s_delay_alu instid0(VALU_DEP_1)
	v_add_f64 v[45:46], v[31:32], -v[33:34]
.LBB144_16:                             ;   in Loop: Header=BB144_4 Depth=1
	s_or_b32 exec_lo, exec_lo, s2
	s_waitcnt vmcnt(2)
	v_mul_f64 v[29:30], v[11:12], 0.5
	s_mov_b32 s3, exec_lo
                                        ; implicit-def: $vgpr155
                                        ; implicit-def: $vgpr31_vgpr32
                                        ; implicit-def: $vgpr57_vgpr58
	s_delay_alu instid0(VALU_DEP_1)
	v_cmpx_ngt_f64_e64 0x41d00000, |v[29:30]|
	s_xor_b32 s3, exec_lo, s3
	s_cbranch_execz .LBB144_18
; %bb.17:                               ;   in Loop: Header=BB144_4 Depth=1
	v_ldexp_f64 v[31:32], |v[29:30]|, 0xffffff80
	v_cmp_le_f64_e64 vcc_lo, 0x7b000000, |v[29:30]|
	v_trig_preop_f64 v[33:34], |v[29:30]|, 0
	v_and_b32_e32 v18, 0x7fffffff, v30
	v_trig_preop_f64 v[37:38], |v[29:30]|, 1
	v_trig_preop_f64 v[51:52], |v[29:30]|, 2
	s_mov_b32 s20, s22
	s_mov_b32 s27, s25
	v_dual_cndmask_b32 v31, v29, v31 :: v_dual_cndmask_b32 v32, v18, v32
	s_delay_alu instid0(VALU_DEP_1) | instskip(NEXT) | instid1(VALU_DEP_4)
	v_mul_f64 v[39:40], v[33:34], v[31:32]
	v_mul_f64 v[43:44], v[37:38], v[31:32]
	s_delay_alu instid0(VALU_DEP_2) | instskip(NEXT) | instid1(VALU_DEP_2)
	v_fma_f64 v[33:34], v[33:34], v[31:32], -v[39:40]
	v_fma_f64 v[37:38], v[37:38], v[31:32], -v[43:44]
	s_delay_alu instid0(VALU_DEP_2) | instskip(NEXT) | instid1(VALU_DEP_1)
	v_add_f64 v[47:48], v[43:44], v[33:34]
	v_add_f64 v[49:50], v[47:48], -v[43:44]
	v_add_f64 v[55:56], v[39:40], v[47:48]
	s_delay_alu instid0(VALU_DEP_2) | instskip(SKIP_1) | instid1(VALU_DEP_3)
	v_add_f64 v[53:54], v[47:48], -v[49:50]
	v_add_f64 v[33:34], v[33:34], -v[49:50]
	v_ldexp_f64 v[49:50], v[55:56], -2
	v_add_f64 v[39:40], v[55:56], -v[39:40]
	s_delay_alu instid0(VALU_DEP_4) | instskip(NEXT) | instid1(VALU_DEP_3)
	v_add_f64 v[43:44], v[43:44], -v[53:54]
	v_cmp_neq_f64_e64 vcc_lo, 0x7ff00000, |v[49:50]|
	s_delay_alu instid0(VALU_DEP_3) | instskip(NEXT) | instid1(VALU_DEP_3)
	v_add_f64 v[39:40], v[47:48], -v[39:40]
	v_add_f64 v[33:34], v[33:34], v[43:44]
	v_fract_f64_e32 v[43:44], v[49:50]
	s_delay_alu instid0(VALU_DEP_1) | instskip(SKIP_1) | instid1(VALU_DEP_3)
	v_cndmask_b32_e32 v43, 0, v43, vcc_lo
	v_mul_f64 v[57:58], v[51:52], v[31:32]
	v_cndmask_b32_e32 v44, 0, v44, vcc_lo
	s_delay_alu instid0(VALU_DEP_1) | instskip(NEXT) | instid1(VALU_DEP_3)
	v_ldexp_f64 v[43:44], v[43:44], 2
	v_add_f64 v[53:54], v[57:58], v[37:38]
	v_fma_f64 v[31:32], v[51:52], v[31:32], -v[57:58]
	s_delay_alu instid0(VALU_DEP_2) | instskip(NEXT) | instid1(VALU_DEP_1)
	v_add_f64 v[47:48], v[53:54], v[33:34]
	v_add_f64 v[49:50], v[39:40], v[47:48]
	v_add_f64 v[59:60], v[47:48], -v[53:54]
	s_delay_alu instid0(VALU_DEP_2) | instskip(NEXT) | instid1(VALU_DEP_2)
	v_add_f64 v[55:56], v[49:50], v[43:44]
	v_add_f64 v[65:66], v[47:48], -v[59:60]
	v_add_f64 v[33:34], v[33:34], -v[59:60]
	v_add_f64 v[39:40], v[49:50], -v[39:40]
	s_delay_alu instid0(VALU_DEP_4) | instskip(SKIP_1) | instid1(VALU_DEP_3)
	v_cmp_gt_f64_e32 vcc_lo, 0, v[55:56]
	v_add_f64 v[55:56], v[53:54], -v[57:58]
	v_add_f64 v[39:40], v[47:48], -v[39:40]
	v_cndmask_b32_e64 v18, 0, 0x40100000, vcc_lo
	s_delay_alu instid0(VALU_DEP_3) | instskip(SKIP_2) | instid1(VALU_DEP_4)
	v_add_f64 v[63:64], v[53:54], -v[55:56]
	v_add_f64 v[37:38], v[37:38], -v[55:56]
	;; [unrolled: 1-line block ×3, first 2 shown]
	v_add_f64 v[43:44], v[43:44], v[17:18]
	s_delay_alu instid0(VALU_DEP_4) | instskip(NEXT) | instid1(VALU_DEP_3)
	v_add_f64 v[55:56], v[57:58], -v[63:64]
	v_add_f64 v[33:34], v[33:34], v[53:54]
	s_delay_alu instid0(VALU_DEP_3) | instskip(NEXT) | instid1(VALU_DEP_3)
	v_add_f64 v[61:62], v[49:50], v[43:44]
	v_add_f64 v[37:38], v[37:38], v[55:56]
	s_delay_alu instid0(VALU_DEP_2) | instskip(NEXT) | instid1(VALU_DEP_2)
	v_cvt_i32_f64_e32 v18, v[61:62]
	v_add_f64 v[33:34], v[37:38], v[33:34]
	s_delay_alu instid0(VALU_DEP_2) | instskip(NEXT) | instid1(VALU_DEP_2)
	v_cvt_f64_i32_e32 v[59:60], v18
	v_add_f64 v[31:32], v[31:32], v[33:34]
	s_delay_alu instid0(VALU_DEP_2) | instskip(NEXT) | instid1(VALU_DEP_2)
	v_add_f64 v[43:44], v[43:44], -v[59:60]
	v_add_f64 v[31:32], v[39:40], v[31:32]
	s_delay_alu instid0(VALU_DEP_2) | instskip(NEXT) | instid1(VALU_DEP_1)
	v_add_f64 v[37:38], v[49:50], v[43:44]
	v_add_f64 v[33:34], v[37:38], -v[43:44]
	v_cmp_le_f64_e32 vcc_lo, 0.5, v[37:38]
	s_delay_alu instid0(VALU_DEP_2) | instskip(SKIP_2) | instid1(VALU_DEP_3)
	v_add_f64 v[33:34], v[49:50], -v[33:34]
	v_add_co_ci_u32_e64 v155, s2, 0, v18, vcc_lo
	v_cndmask_b32_e64 v18, 0, 0x3ff00000, vcc_lo
	v_add_f64 v[31:32], v[31:32], v[33:34]
	s_delay_alu instid0(VALU_DEP_2) | instskip(NEXT) | instid1(VALU_DEP_1)
	v_add_f64 v[33:34], v[37:38], -v[17:18]
	v_add_f64 v[37:38], v[33:34], v[31:32]
	s_delay_alu instid0(VALU_DEP_1) | instskip(SKIP_1) | instid1(VALU_DEP_2)
	v_mul_f64 v[39:40], v[37:38], s[20:21]
	v_add_f64 v[33:34], v[37:38], -v[33:34]
	v_fma_f64 v[43:44], v[37:38], s[20:21], -v[39:40]
	s_delay_alu instid0(VALU_DEP_2) | instskip(NEXT) | instid1(VALU_DEP_2)
	v_add_f64 v[31:32], v[31:32], -v[33:34]
	v_fma_f64 v[33:34], v[37:38], s[26:27], v[43:44]
	s_delay_alu instid0(VALU_DEP_1) | instskip(NEXT) | instid1(VALU_DEP_1)
	v_fma_f64 v[33:34], v[31:32], s[20:21], v[33:34]
	v_add_f64 v[31:32], v[39:40], v[33:34]
	s_delay_alu instid0(VALU_DEP_1) | instskip(NEXT) | instid1(VALU_DEP_1)
	v_add_f64 v[37:38], v[31:32], -v[39:40]
	v_add_f64 v[57:58], v[33:34], -v[37:38]
.LBB144_18:                             ;   in Loop: Header=BB144_4 Depth=1
	s_and_not1_saveexec_b32 s2, s3
	s_cbranch_execz .LBB144_20
; %bb.19:                               ;   in Loop: Header=BB144_4 Depth=1
	v_mul_f64 v[31:32], |v[29:30]|, s[28:29]
	s_mov_b32 s24, s30
	s_delay_alu instid0(VALU_DEP_1) | instskip(NEXT) | instid1(VALU_DEP_1)
	v_rndne_f64_e32 v[33:34], v[31:32]
	v_fma_f64 v[31:32], v[33:34], s[22:23], |v[29:30]|
	v_mul_f64 v[37:38], v[33:34], s[30:31]
	v_cvt_i32_f64_e32 v155, v[33:34]
	s_delay_alu instid0(VALU_DEP_3) | instskip(NEXT) | instid1(VALU_DEP_3)
	v_fma_f64 v[43:44], v[33:34], s[30:31], v[31:32]
	v_add_f64 v[39:40], v[31:32], v[37:38]
	s_delay_alu instid0(VALU_DEP_1) | instskip(NEXT) | instid1(VALU_DEP_3)
	v_add_f64 v[31:32], v[31:32], -v[39:40]
	v_add_f64 v[39:40], v[39:40], -v[43:44]
	s_delay_alu instid0(VALU_DEP_2) | instskip(SKIP_1) | instid1(VALU_DEP_2)
	v_add_f64 v[31:32], v[31:32], v[37:38]
	v_fma_f64 v[37:38], v[33:34], s[24:25], v[37:38]
	v_add_f64 v[31:32], v[39:40], v[31:32]
	s_delay_alu instid0(VALU_DEP_1) | instskip(NEXT) | instid1(VALU_DEP_1)
	v_add_f64 v[31:32], v[31:32], -v[37:38]
	v_fma_f64 v[37:38], v[33:34], s[34:35], v[31:32]
	s_delay_alu instid0(VALU_DEP_1) | instskip(NEXT) | instid1(VALU_DEP_1)
	v_add_f64 v[31:32], v[43:44], v[37:38]
	v_add_f64 v[39:40], v[31:32], -v[43:44]
	s_delay_alu instid0(VALU_DEP_1)
	v_add_f64 v[57:58], v[37:38], -v[39:40]
.LBB144_20:                             ;   in Loop: Header=BB144_4 Depth=1
	s_or_b32 exec_lo, exec_lo, s2
	v_cmp_ngt_f64_e64 s3, 0x41d00000, |v[11:12]|
                                        ; implicit-def: $vgpr156
                                        ; implicit-def: $vgpr33_vgpr34
                                        ; implicit-def: $vgpr61_vgpr62
	s_delay_alu instid0(VALU_DEP_1) | instskip(NEXT) | instid1(SALU_CYCLE_1)
	s_and_saveexec_b32 s2, s3
	s_xor_b32 s4, exec_lo, s2
	s_cbranch_execz .LBB144_22
; %bb.21:                               ;   in Loop: Header=BB144_4 Depth=1
	v_ldexp_f64 v[33:34], |v[11:12]|, 0xffffff80
	v_cmp_le_f64_e64 vcc_lo, 0x7b000000, |v[11:12]|
	v_trig_preop_f64 v[37:38], |v[11:12]|, 0
	v_and_b32_e32 v18, 0x7fffffff, v12
	v_trig_preop_f64 v[39:40], |v[11:12]|, 1
	v_trig_preop_f64 v[53:54], |v[11:12]|, 2
	s_mov_b32 s20, s22
	s_mov_b32 s27, s25
	v_dual_cndmask_b32 v33, v11, v33 :: v_dual_cndmask_b32 v34, v18, v34
	s_delay_alu instid0(VALU_DEP_1) | instskip(NEXT) | instid1(VALU_DEP_4)
	v_mul_f64 v[43:44], v[37:38], v[33:34]
	v_mul_f64 v[47:48], v[39:40], v[33:34]
	s_delay_alu instid0(VALU_DEP_2) | instskip(NEXT) | instid1(VALU_DEP_2)
	v_fma_f64 v[37:38], v[37:38], v[33:34], -v[43:44]
	v_fma_f64 v[39:40], v[39:40], v[33:34], -v[47:48]
	s_delay_alu instid0(VALU_DEP_2) | instskip(NEXT) | instid1(VALU_DEP_1)
	v_add_f64 v[49:50], v[47:48], v[37:38]
	v_add_f64 v[51:52], v[49:50], -v[47:48]
	v_add_f64 v[59:60], v[43:44], v[49:50]
	s_delay_alu instid0(VALU_DEP_2) | instskip(SKIP_1) | instid1(VALU_DEP_3)
	v_add_f64 v[55:56], v[49:50], -v[51:52]
	v_add_f64 v[37:38], v[37:38], -v[51:52]
	v_ldexp_f64 v[51:52], v[59:60], -2
	v_add_f64 v[43:44], v[59:60], -v[43:44]
	s_delay_alu instid0(VALU_DEP_4) | instskip(NEXT) | instid1(VALU_DEP_3)
	v_add_f64 v[47:48], v[47:48], -v[55:56]
	v_cmp_neq_f64_e64 vcc_lo, 0x7ff00000, |v[51:52]|
	s_delay_alu instid0(VALU_DEP_3) | instskip(NEXT) | instid1(VALU_DEP_3)
	v_add_f64 v[43:44], v[49:50], -v[43:44]
	v_add_f64 v[37:38], v[37:38], v[47:48]
	v_fract_f64_e32 v[47:48], v[51:52]
	s_delay_alu instid0(VALU_DEP_1) | instskip(SKIP_1) | instid1(VALU_DEP_3)
	v_cndmask_b32_e32 v47, 0, v47, vcc_lo
	v_mul_f64 v[61:62], v[53:54], v[33:34]
	v_cndmask_b32_e32 v48, 0, v48, vcc_lo
	s_delay_alu instid0(VALU_DEP_1) | instskip(NEXT) | instid1(VALU_DEP_3)
	v_ldexp_f64 v[47:48], v[47:48], 2
	v_add_f64 v[55:56], v[61:62], v[39:40]
	v_fma_f64 v[33:34], v[53:54], v[33:34], -v[61:62]
	s_delay_alu instid0(VALU_DEP_2) | instskip(NEXT) | instid1(VALU_DEP_1)
	v_add_f64 v[49:50], v[55:56], v[37:38]
	v_add_f64 v[51:52], v[43:44], v[49:50]
	v_add_f64 v[63:64], v[49:50], -v[55:56]
	s_delay_alu instid0(VALU_DEP_2) | instskip(NEXT) | instid1(VALU_DEP_2)
	v_add_f64 v[59:60], v[51:52], v[47:48]
	v_add_f64 v[69:70], v[49:50], -v[63:64]
	v_add_f64 v[37:38], v[37:38], -v[63:64]
	;; [unrolled: 1-line block ×3, first 2 shown]
	s_delay_alu instid0(VALU_DEP_4) | instskip(SKIP_1) | instid1(VALU_DEP_3)
	v_cmp_gt_f64_e32 vcc_lo, 0, v[59:60]
	v_add_f64 v[59:60], v[55:56], -v[61:62]
	v_add_f64 v[43:44], v[49:50], -v[43:44]
	v_cndmask_b32_e64 v18, 0, 0x40100000, vcc_lo
	s_delay_alu instid0(VALU_DEP_3) | instskip(SKIP_2) | instid1(VALU_DEP_4)
	v_add_f64 v[67:68], v[55:56], -v[59:60]
	v_add_f64 v[39:40], v[39:40], -v[59:60]
	;; [unrolled: 1-line block ×3, first 2 shown]
	v_add_f64 v[47:48], v[47:48], v[17:18]
	s_delay_alu instid0(VALU_DEP_4) | instskip(NEXT) | instid1(VALU_DEP_3)
	v_add_f64 v[59:60], v[61:62], -v[67:68]
	v_add_f64 v[37:38], v[37:38], v[55:56]
	s_delay_alu instid0(VALU_DEP_3) | instskip(NEXT) | instid1(VALU_DEP_3)
	v_add_f64 v[65:66], v[51:52], v[47:48]
	v_add_f64 v[39:40], v[39:40], v[59:60]
	s_delay_alu instid0(VALU_DEP_2) | instskip(NEXT) | instid1(VALU_DEP_2)
	v_cvt_i32_f64_e32 v18, v[65:66]
	v_add_f64 v[37:38], v[39:40], v[37:38]
	s_delay_alu instid0(VALU_DEP_2) | instskip(NEXT) | instid1(VALU_DEP_2)
	v_cvt_f64_i32_e32 v[63:64], v18
	v_add_f64 v[33:34], v[33:34], v[37:38]
	s_delay_alu instid0(VALU_DEP_2) | instskip(NEXT) | instid1(VALU_DEP_2)
	v_add_f64 v[47:48], v[47:48], -v[63:64]
	v_add_f64 v[33:34], v[43:44], v[33:34]
	s_delay_alu instid0(VALU_DEP_2) | instskip(NEXT) | instid1(VALU_DEP_1)
	v_add_f64 v[39:40], v[51:52], v[47:48]
	v_add_f64 v[37:38], v[39:40], -v[47:48]
	v_cmp_le_f64_e32 vcc_lo, 0.5, v[39:40]
	s_delay_alu instid0(VALU_DEP_2) | instskip(SKIP_2) | instid1(VALU_DEP_3)
	v_add_f64 v[37:38], v[51:52], -v[37:38]
	v_add_co_ci_u32_e64 v156, s2, 0, v18, vcc_lo
	v_cndmask_b32_e64 v18, 0, 0x3ff00000, vcc_lo
	v_add_f64 v[33:34], v[33:34], v[37:38]
	s_delay_alu instid0(VALU_DEP_2) | instskip(NEXT) | instid1(VALU_DEP_1)
	v_add_f64 v[37:38], v[39:40], -v[17:18]
	v_add_f64 v[39:40], v[37:38], v[33:34]
	s_delay_alu instid0(VALU_DEP_1) | instskip(SKIP_1) | instid1(VALU_DEP_2)
	v_mul_f64 v[43:44], v[39:40], s[20:21]
	v_add_f64 v[37:38], v[39:40], -v[37:38]
	v_fma_f64 v[47:48], v[39:40], s[20:21], -v[43:44]
	s_delay_alu instid0(VALU_DEP_2) | instskip(NEXT) | instid1(VALU_DEP_2)
	v_add_f64 v[33:34], v[33:34], -v[37:38]
	v_fma_f64 v[37:38], v[39:40], s[26:27], v[47:48]
	s_delay_alu instid0(VALU_DEP_1) | instskip(NEXT) | instid1(VALU_DEP_1)
	v_fma_f64 v[37:38], v[33:34], s[20:21], v[37:38]
	v_add_f64 v[33:34], v[43:44], v[37:38]
	s_delay_alu instid0(VALU_DEP_1) | instskip(NEXT) | instid1(VALU_DEP_1)
	v_add_f64 v[39:40], v[33:34], -v[43:44]
	v_add_f64 v[61:62], v[37:38], -v[39:40]
	s_and_not1_saveexec_b32 s2, s4
	s_cbranch_execz .LBB144_24
	s_branch .LBB144_23
.LBB144_22:                             ;   in Loop: Header=BB144_4 Depth=1
	s_and_not1_saveexec_b32 s2, s4
	s_cbranch_execz .LBB144_24
.LBB144_23:                             ;   in Loop: Header=BB144_4 Depth=1
	v_mul_f64 v[33:34], |v[11:12]|, s[28:29]
	s_mov_b32 s24, s30
	s_delay_alu instid0(VALU_DEP_1) | instskip(NEXT) | instid1(VALU_DEP_1)
	v_rndne_f64_e32 v[37:38], v[33:34]
	v_fma_f64 v[33:34], v[37:38], s[22:23], |v[11:12]|
	v_mul_f64 v[39:40], v[37:38], s[30:31]
	v_cvt_i32_f64_e32 v156, v[37:38]
	s_delay_alu instid0(VALU_DEP_3) | instskip(NEXT) | instid1(VALU_DEP_3)
	v_fma_f64 v[47:48], v[37:38], s[30:31], v[33:34]
	v_add_f64 v[43:44], v[33:34], v[39:40]
	s_delay_alu instid0(VALU_DEP_1) | instskip(NEXT) | instid1(VALU_DEP_3)
	v_add_f64 v[33:34], v[33:34], -v[43:44]
	v_add_f64 v[43:44], v[43:44], -v[47:48]
	s_delay_alu instid0(VALU_DEP_2) | instskip(SKIP_1) | instid1(VALU_DEP_2)
	v_add_f64 v[33:34], v[33:34], v[39:40]
	v_fma_f64 v[39:40], v[37:38], s[24:25], v[39:40]
	v_add_f64 v[33:34], v[43:44], v[33:34]
	s_delay_alu instid0(VALU_DEP_1) | instskip(NEXT) | instid1(VALU_DEP_1)
	v_add_f64 v[33:34], v[33:34], -v[39:40]
	v_fma_f64 v[39:40], v[37:38], s[34:35], v[33:34]
	s_delay_alu instid0(VALU_DEP_1) | instskip(NEXT) | instid1(VALU_DEP_1)
	v_add_f64 v[33:34], v[47:48], v[39:40]
	v_add_f64 v[43:44], v[33:34], -v[47:48]
	s_delay_alu instid0(VALU_DEP_1)
	v_add_f64 v[61:62], v[39:40], -v[43:44]
.LBB144_24:                             ;   in Loop: Header=BB144_4 Depth=1
	s_or_b32 exec_lo, exec_lo, s2
                                        ; implicit-def: $vgpr157
                                        ; implicit-def: $vgpr37_vgpr38
                                        ; implicit-def: $vgpr63_vgpr64
	s_and_saveexec_b32 s2, s3
	s_delay_alu instid0(SALU_CYCLE_1)
	s_xor_b32 s3, exec_lo, s2
	s_cbranch_execz .LBB144_26
; %bb.25:                               ;   in Loop: Header=BB144_4 Depth=1
	v_ldexp_f64 v[37:38], |v[11:12]|, 0xffffff80
	v_cmp_le_f64_e64 vcc_lo, 0x7b000000, |v[11:12]|
	v_trig_preop_f64 v[39:40], |v[11:12]|, 0
	v_and_b32_e32 v18, 0x7fffffff, v12
	v_trig_preop_f64 v[43:44], |v[11:12]|, 1
	v_trig_preop_f64 v[55:56], |v[11:12]|, 2
	s_mov_b32 s20, s22
	s_mov_b32 s27, s25
	v_dual_cndmask_b32 v37, v11, v37 :: v_dual_cndmask_b32 v38, v18, v38
	s_delay_alu instid0(VALU_DEP_1) | instskip(NEXT) | instid1(VALU_DEP_4)
	v_mul_f64 v[47:48], v[39:40], v[37:38]
	v_mul_f64 v[49:50], v[43:44], v[37:38]
	s_delay_alu instid0(VALU_DEP_2) | instskip(NEXT) | instid1(VALU_DEP_2)
	v_fma_f64 v[39:40], v[39:40], v[37:38], -v[47:48]
	v_fma_f64 v[43:44], v[43:44], v[37:38], -v[49:50]
	s_delay_alu instid0(VALU_DEP_2) | instskip(NEXT) | instid1(VALU_DEP_1)
	v_add_f64 v[51:52], v[49:50], v[39:40]
	v_add_f64 v[53:54], v[51:52], -v[49:50]
	v_add_f64 v[63:64], v[47:48], v[51:52]
	s_delay_alu instid0(VALU_DEP_2) | instskip(SKIP_1) | instid1(VALU_DEP_3)
	v_add_f64 v[59:60], v[51:52], -v[53:54]
	v_add_f64 v[39:40], v[39:40], -v[53:54]
	v_ldexp_f64 v[53:54], v[63:64], -2
	v_add_f64 v[47:48], v[63:64], -v[47:48]
	s_delay_alu instid0(VALU_DEP_4) | instskip(NEXT) | instid1(VALU_DEP_3)
	v_add_f64 v[49:50], v[49:50], -v[59:60]
	v_cmp_neq_f64_e64 vcc_lo, 0x7ff00000, |v[53:54]|
	s_delay_alu instid0(VALU_DEP_3) | instskip(NEXT) | instid1(VALU_DEP_3)
	v_add_f64 v[47:48], v[51:52], -v[47:48]
	v_add_f64 v[39:40], v[39:40], v[49:50]
	v_fract_f64_e32 v[49:50], v[53:54]
	s_delay_alu instid0(VALU_DEP_1) | instskip(SKIP_1) | instid1(VALU_DEP_3)
	v_cndmask_b32_e32 v49, 0, v49, vcc_lo
	v_mul_f64 v[65:66], v[55:56], v[37:38]
	v_cndmask_b32_e32 v50, 0, v50, vcc_lo
	s_delay_alu instid0(VALU_DEP_1) | instskip(NEXT) | instid1(VALU_DEP_3)
	v_ldexp_f64 v[49:50], v[49:50], 2
	v_add_f64 v[59:60], v[65:66], v[43:44]
	v_fma_f64 v[37:38], v[55:56], v[37:38], -v[65:66]
	s_delay_alu instid0(VALU_DEP_2) | instskip(NEXT) | instid1(VALU_DEP_1)
	v_add_f64 v[51:52], v[59:60], v[39:40]
	v_add_f64 v[53:54], v[47:48], v[51:52]
	v_add_f64 v[67:68], v[51:52], -v[59:60]
	s_delay_alu instid0(VALU_DEP_2) | instskip(NEXT) | instid1(VALU_DEP_2)
	v_add_f64 v[63:64], v[53:54], v[49:50]
	v_add_f64 v[73:74], v[51:52], -v[67:68]
	v_add_f64 v[39:40], v[39:40], -v[67:68]
	;; [unrolled: 1-line block ×3, first 2 shown]
	s_delay_alu instid0(VALU_DEP_4) | instskip(SKIP_1) | instid1(VALU_DEP_3)
	v_cmp_gt_f64_e32 vcc_lo, 0, v[63:64]
	v_add_f64 v[63:64], v[59:60], -v[65:66]
	v_add_f64 v[47:48], v[51:52], -v[47:48]
	v_cndmask_b32_e64 v18, 0, 0x40100000, vcc_lo
	s_delay_alu instid0(VALU_DEP_3) | instskip(SKIP_2) | instid1(VALU_DEP_4)
	v_add_f64 v[71:72], v[59:60], -v[63:64]
	v_add_f64 v[43:44], v[43:44], -v[63:64]
	;; [unrolled: 1-line block ×3, first 2 shown]
	v_add_f64 v[49:50], v[49:50], v[17:18]
	s_delay_alu instid0(VALU_DEP_4) | instskip(NEXT) | instid1(VALU_DEP_3)
	v_add_f64 v[63:64], v[65:66], -v[71:72]
	v_add_f64 v[39:40], v[39:40], v[59:60]
	s_delay_alu instid0(VALU_DEP_3) | instskip(NEXT) | instid1(VALU_DEP_3)
	v_add_f64 v[69:70], v[53:54], v[49:50]
	v_add_f64 v[43:44], v[43:44], v[63:64]
	s_delay_alu instid0(VALU_DEP_2) | instskip(NEXT) | instid1(VALU_DEP_2)
	v_cvt_i32_f64_e32 v18, v[69:70]
	v_add_f64 v[39:40], v[43:44], v[39:40]
	s_delay_alu instid0(VALU_DEP_2) | instskip(NEXT) | instid1(VALU_DEP_2)
	v_cvt_f64_i32_e32 v[67:68], v18
	v_add_f64 v[37:38], v[37:38], v[39:40]
	s_delay_alu instid0(VALU_DEP_2) | instskip(NEXT) | instid1(VALU_DEP_2)
	v_add_f64 v[49:50], v[49:50], -v[67:68]
	v_add_f64 v[37:38], v[47:48], v[37:38]
	s_delay_alu instid0(VALU_DEP_2) | instskip(NEXT) | instid1(VALU_DEP_1)
	v_add_f64 v[43:44], v[53:54], v[49:50]
	v_add_f64 v[39:40], v[43:44], -v[49:50]
	v_cmp_le_f64_e32 vcc_lo, 0.5, v[43:44]
	s_delay_alu instid0(VALU_DEP_2) | instskip(SKIP_2) | instid1(VALU_DEP_3)
	v_add_f64 v[39:40], v[53:54], -v[39:40]
	v_add_co_ci_u32_e64 v157, s2, 0, v18, vcc_lo
	v_cndmask_b32_e64 v18, 0, 0x3ff00000, vcc_lo
	v_add_f64 v[37:38], v[37:38], v[39:40]
	s_delay_alu instid0(VALU_DEP_2) | instskip(NEXT) | instid1(VALU_DEP_1)
	v_add_f64 v[39:40], v[43:44], -v[17:18]
	v_add_f64 v[43:44], v[39:40], v[37:38]
	s_delay_alu instid0(VALU_DEP_1) | instskip(SKIP_1) | instid1(VALU_DEP_2)
	v_mul_f64 v[47:48], v[43:44], s[20:21]
	v_add_f64 v[39:40], v[43:44], -v[39:40]
	v_fma_f64 v[49:50], v[43:44], s[20:21], -v[47:48]
	s_delay_alu instid0(VALU_DEP_2) | instskip(NEXT) | instid1(VALU_DEP_2)
	v_add_f64 v[37:38], v[37:38], -v[39:40]
	v_fma_f64 v[39:40], v[43:44], s[26:27], v[49:50]
	s_delay_alu instid0(VALU_DEP_1) | instskip(NEXT) | instid1(VALU_DEP_1)
	v_fma_f64 v[39:40], v[37:38], s[20:21], v[39:40]
	v_add_f64 v[37:38], v[47:48], v[39:40]
	s_delay_alu instid0(VALU_DEP_1) | instskip(NEXT) | instid1(VALU_DEP_1)
	v_add_f64 v[43:44], v[37:38], -v[47:48]
	v_add_f64 v[63:64], v[39:40], -v[43:44]
	s_and_not1_saveexec_b32 s2, s3
	s_cbranch_execnz .LBB144_27
	s_branch .LBB144_28
.LBB144_26:                             ;   in Loop: Header=BB144_4 Depth=1
	s_and_not1_saveexec_b32 s2, s3
	s_cbranch_execz .LBB144_28
.LBB144_27:                             ;   in Loop: Header=BB144_4 Depth=1
	v_mul_f64 v[37:38], |v[11:12]|, s[28:29]
	s_mov_b32 s24, s30
	s_delay_alu instid0(VALU_DEP_1) | instskip(NEXT) | instid1(VALU_DEP_1)
	v_rndne_f64_e32 v[39:40], v[37:38]
	v_fma_f64 v[37:38], v[39:40], s[22:23], |v[11:12]|
	v_mul_f64 v[43:44], v[39:40], s[30:31]
	v_cvt_i32_f64_e32 v157, v[39:40]
	s_delay_alu instid0(VALU_DEP_3) | instskip(NEXT) | instid1(VALU_DEP_3)
	v_fma_f64 v[49:50], v[39:40], s[30:31], v[37:38]
	v_add_f64 v[47:48], v[37:38], v[43:44]
	s_delay_alu instid0(VALU_DEP_1) | instskip(NEXT) | instid1(VALU_DEP_3)
	v_add_f64 v[37:38], v[37:38], -v[47:48]
	v_add_f64 v[47:48], v[47:48], -v[49:50]
	s_delay_alu instid0(VALU_DEP_2) | instskip(SKIP_1) | instid1(VALU_DEP_2)
	v_add_f64 v[37:38], v[37:38], v[43:44]
	v_fma_f64 v[43:44], v[39:40], s[24:25], v[43:44]
	v_add_f64 v[37:38], v[47:48], v[37:38]
	s_delay_alu instid0(VALU_DEP_1) | instskip(NEXT) | instid1(VALU_DEP_1)
	v_add_f64 v[37:38], v[37:38], -v[43:44]
	v_fma_f64 v[43:44], v[39:40], s[34:35], v[37:38]
	s_delay_alu instid0(VALU_DEP_1) | instskip(NEXT) | instid1(VALU_DEP_1)
	v_add_f64 v[37:38], v[49:50], v[43:44]
	v_add_f64 v[47:48], v[37:38], -v[49:50]
	s_delay_alu instid0(VALU_DEP_1)
	v_add_f64 v[63:64], v[43:44], -v[47:48]
.LBB144_28:                             ;   in Loop: Header=BB144_4 Depth=1
	s_or_b32 exec_lo, exec_lo, s2
	s_waitcnt vmcnt(0)
	v_mul_f64 v[39:40], v[15:16], 0.5
	s_mov_b32 s3, exec_lo
                                        ; implicit-def: $vgpr158
                                        ; implicit-def: $vgpr43_vgpr44
                                        ; implicit-def: $vgpr69_vgpr70
	s_delay_alu instid0(VALU_DEP_1)
	v_cmpx_ngt_f64_e64 0x41d00000, |v[39:40]|
	s_xor_b32 s3, exec_lo, s3
	s_cbranch_execz .LBB144_30
; %bb.29:                               ;   in Loop: Header=BB144_4 Depth=1
	v_ldexp_f64 v[43:44], |v[39:40]|, 0xffffff80
	v_cmp_le_f64_e64 vcc_lo, 0x7b000000, |v[39:40]|
	v_trig_preop_f64 v[47:48], |v[39:40]|, 0
	v_and_b32_e32 v18, 0x7fffffff, v40
	v_trig_preop_f64 v[49:50], |v[39:40]|, 1
	v_trig_preop_f64 v[65:66], |v[39:40]|, 2
	s_mov_b32 s20, s22
	s_mov_b32 s27, s25
	v_dual_cndmask_b32 v43, v39, v43 :: v_dual_cndmask_b32 v44, v18, v44
	s_delay_alu instid0(VALU_DEP_1) | instskip(NEXT) | instid1(VALU_DEP_4)
	v_mul_f64 v[51:52], v[47:48], v[43:44]
	v_mul_f64 v[53:54], v[49:50], v[43:44]
	s_delay_alu instid0(VALU_DEP_2) | instskip(NEXT) | instid1(VALU_DEP_2)
	v_fma_f64 v[47:48], v[47:48], v[43:44], -v[51:52]
	v_fma_f64 v[49:50], v[49:50], v[43:44], -v[53:54]
	s_delay_alu instid0(VALU_DEP_2) | instskip(NEXT) | instid1(VALU_DEP_1)
	v_add_f64 v[55:56], v[53:54], v[47:48]
	v_add_f64 v[59:60], v[55:56], -v[53:54]
	v_add_f64 v[69:70], v[51:52], v[55:56]
	s_delay_alu instid0(VALU_DEP_2) | instskip(SKIP_1) | instid1(VALU_DEP_3)
	v_add_f64 v[67:68], v[55:56], -v[59:60]
	v_add_f64 v[47:48], v[47:48], -v[59:60]
	v_ldexp_f64 v[59:60], v[69:70], -2
	v_add_f64 v[51:52], v[69:70], -v[51:52]
	s_delay_alu instid0(VALU_DEP_4) | instskip(NEXT) | instid1(VALU_DEP_3)
	v_add_f64 v[53:54], v[53:54], -v[67:68]
	v_cmp_neq_f64_e64 vcc_lo, 0x7ff00000, |v[59:60]|
	s_delay_alu instid0(VALU_DEP_3) | instskip(NEXT) | instid1(VALU_DEP_3)
	v_add_f64 v[51:52], v[55:56], -v[51:52]
	v_add_f64 v[47:48], v[47:48], v[53:54]
	v_fract_f64_e32 v[53:54], v[59:60]
	s_delay_alu instid0(VALU_DEP_1) | instskip(SKIP_1) | instid1(VALU_DEP_3)
	v_cndmask_b32_e32 v53, 0, v53, vcc_lo
	v_mul_f64 v[71:72], v[65:66], v[43:44]
	v_cndmask_b32_e32 v54, 0, v54, vcc_lo
	s_delay_alu instid0(VALU_DEP_1) | instskip(NEXT) | instid1(VALU_DEP_3)
	v_ldexp_f64 v[53:54], v[53:54], 2
	v_add_f64 v[67:68], v[71:72], v[49:50]
	v_fma_f64 v[43:44], v[65:66], v[43:44], -v[71:72]
	s_delay_alu instid0(VALU_DEP_2) | instskip(NEXT) | instid1(VALU_DEP_1)
	v_add_f64 v[55:56], v[67:68], v[47:48]
	v_add_f64 v[59:60], v[51:52], v[55:56]
	v_add_f64 v[73:74], v[55:56], -v[67:68]
	s_delay_alu instid0(VALU_DEP_2) | instskip(NEXT) | instid1(VALU_DEP_2)
	v_add_f64 v[69:70], v[59:60], v[53:54]
	v_add_f64 v[79:80], v[55:56], -v[73:74]
	v_add_f64 v[47:48], v[47:48], -v[73:74]
	;; [unrolled: 1-line block ×3, first 2 shown]
	s_delay_alu instid0(VALU_DEP_4) | instskip(SKIP_1) | instid1(VALU_DEP_3)
	v_cmp_gt_f64_e32 vcc_lo, 0, v[69:70]
	v_add_f64 v[69:70], v[67:68], -v[71:72]
	v_add_f64 v[51:52], v[55:56], -v[51:52]
	v_cndmask_b32_e64 v18, 0, 0x40100000, vcc_lo
	s_delay_alu instid0(VALU_DEP_3) | instskip(SKIP_2) | instid1(VALU_DEP_4)
	v_add_f64 v[77:78], v[67:68], -v[69:70]
	v_add_f64 v[49:50], v[49:50], -v[69:70]
	;; [unrolled: 1-line block ×3, first 2 shown]
	v_add_f64 v[53:54], v[53:54], v[17:18]
	s_delay_alu instid0(VALU_DEP_4) | instskip(NEXT) | instid1(VALU_DEP_3)
	v_add_f64 v[69:70], v[71:72], -v[77:78]
	v_add_f64 v[47:48], v[47:48], v[67:68]
	s_delay_alu instid0(VALU_DEP_3) | instskip(NEXT) | instid1(VALU_DEP_3)
	v_add_f64 v[75:76], v[59:60], v[53:54]
	v_add_f64 v[49:50], v[49:50], v[69:70]
	s_delay_alu instid0(VALU_DEP_2) | instskip(NEXT) | instid1(VALU_DEP_2)
	v_cvt_i32_f64_e32 v18, v[75:76]
	v_add_f64 v[47:48], v[49:50], v[47:48]
	s_delay_alu instid0(VALU_DEP_2) | instskip(NEXT) | instid1(VALU_DEP_2)
	v_cvt_f64_i32_e32 v[73:74], v18
	v_add_f64 v[43:44], v[43:44], v[47:48]
	s_delay_alu instid0(VALU_DEP_2) | instskip(NEXT) | instid1(VALU_DEP_2)
	v_add_f64 v[53:54], v[53:54], -v[73:74]
	v_add_f64 v[43:44], v[51:52], v[43:44]
	s_delay_alu instid0(VALU_DEP_2) | instskip(NEXT) | instid1(VALU_DEP_1)
	v_add_f64 v[49:50], v[59:60], v[53:54]
	v_add_f64 v[47:48], v[49:50], -v[53:54]
	v_cmp_le_f64_e32 vcc_lo, 0.5, v[49:50]
	s_delay_alu instid0(VALU_DEP_2) | instskip(SKIP_2) | instid1(VALU_DEP_3)
	v_add_f64 v[47:48], v[59:60], -v[47:48]
	v_add_co_ci_u32_e64 v158, s2, 0, v18, vcc_lo
	v_cndmask_b32_e64 v18, 0, 0x3ff00000, vcc_lo
	v_add_f64 v[43:44], v[43:44], v[47:48]
	s_delay_alu instid0(VALU_DEP_2) | instskip(NEXT) | instid1(VALU_DEP_1)
	v_add_f64 v[47:48], v[49:50], -v[17:18]
	v_add_f64 v[49:50], v[47:48], v[43:44]
	s_delay_alu instid0(VALU_DEP_1) | instskip(SKIP_1) | instid1(VALU_DEP_2)
	v_mul_f64 v[51:52], v[49:50], s[20:21]
	v_add_f64 v[47:48], v[49:50], -v[47:48]
	v_fma_f64 v[53:54], v[49:50], s[20:21], -v[51:52]
	s_delay_alu instid0(VALU_DEP_2) | instskip(NEXT) | instid1(VALU_DEP_2)
	v_add_f64 v[43:44], v[43:44], -v[47:48]
	v_fma_f64 v[47:48], v[49:50], s[26:27], v[53:54]
	s_delay_alu instid0(VALU_DEP_1) | instskip(NEXT) | instid1(VALU_DEP_1)
	v_fma_f64 v[47:48], v[43:44], s[20:21], v[47:48]
	v_add_f64 v[43:44], v[51:52], v[47:48]
	s_delay_alu instid0(VALU_DEP_1) | instskip(NEXT) | instid1(VALU_DEP_1)
	v_add_f64 v[49:50], v[43:44], -v[51:52]
	v_add_f64 v[69:70], v[47:48], -v[49:50]
.LBB144_30:                             ;   in Loop: Header=BB144_4 Depth=1
	s_and_not1_saveexec_b32 s2, s3
	s_cbranch_execz .LBB144_32
; %bb.31:                               ;   in Loop: Header=BB144_4 Depth=1
	v_mul_f64 v[43:44], |v[39:40]|, s[28:29]
	s_mov_b32 s24, s30
	s_delay_alu instid0(VALU_DEP_1) | instskip(NEXT) | instid1(VALU_DEP_1)
	v_rndne_f64_e32 v[47:48], v[43:44]
	v_fma_f64 v[43:44], v[47:48], s[22:23], |v[39:40]|
	v_mul_f64 v[49:50], v[47:48], s[30:31]
	v_cvt_i32_f64_e32 v158, v[47:48]
	s_delay_alu instid0(VALU_DEP_3) | instskip(NEXT) | instid1(VALU_DEP_3)
	v_fma_f64 v[53:54], v[47:48], s[30:31], v[43:44]
	v_add_f64 v[51:52], v[43:44], v[49:50]
	s_delay_alu instid0(VALU_DEP_1) | instskip(NEXT) | instid1(VALU_DEP_3)
	v_add_f64 v[43:44], v[43:44], -v[51:52]
	v_add_f64 v[51:52], v[51:52], -v[53:54]
	s_delay_alu instid0(VALU_DEP_2) | instskip(SKIP_1) | instid1(VALU_DEP_2)
	v_add_f64 v[43:44], v[43:44], v[49:50]
	v_fma_f64 v[49:50], v[47:48], s[24:25], v[49:50]
	v_add_f64 v[43:44], v[51:52], v[43:44]
	s_delay_alu instid0(VALU_DEP_1) | instskip(NEXT) | instid1(VALU_DEP_1)
	v_add_f64 v[43:44], v[43:44], -v[49:50]
	v_fma_f64 v[49:50], v[47:48], s[34:35], v[43:44]
	s_delay_alu instid0(VALU_DEP_1) | instskip(NEXT) | instid1(VALU_DEP_1)
	v_add_f64 v[43:44], v[53:54], v[49:50]
	v_add_f64 v[51:52], v[43:44], -v[53:54]
	s_delay_alu instid0(VALU_DEP_1)
	v_add_f64 v[69:70], v[49:50], -v[51:52]
.LBB144_32:                             ;   in Loop: Header=BB144_4 Depth=1
	s_or_b32 exec_lo, exec_lo, s2
	v_cmp_ngt_f64_e64 s3, 0x41d00000, |v[15:16]|
                                        ; implicit-def: $vgpr159
                                        ; implicit-def: $vgpr51_vgpr52
                                        ; implicit-def: $vgpr71_vgpr72
	s_delay_alu instid0(VALU_DEP_1) | instskip(NEXT) | instid1(SALU_CYCLE_1)
	s_and_saveexec_b32 s2, s3
	s_xor_b32 s4, exec_lo, s2
	s_cbranch_execz .LBB144_34
; %bb.33:                               ;   in Loop: Header=BB144_4 Depth=1
	v_ldexp_f64 v[47:48], |v[15:16]|, 0xffffff80
	v_cmp_le_f64_e64 vcc_lo, 0x7b000000, |v[15:16]|
	v_trig_preop_f64 v[49:50], |v[15:16]|, 0
	v_and_b32_e32 v18, 0x7fffffff, v16
	v_trig_preop_f64 v[51:52], |v[15:16]|, 1
	v_trig_preop_f64 v[67:68], |v[15:16]|, 2
	s_mov_b32 s20, s22
	s_mov_b32 s27, s25
	v_dual_cndmask_b32 v47, v15, v47 :: v_dual_cndmask_b32 v48, v18, v48
	s_delay_alu instid0(VALU_DEP_1) | instskip(NEXT) | instid1(VALU_DEP_4)
	v_mul_f64 v[53:54], v[49:50], v[47:48]
	v_mul_f64 v[55:56], v[51:52], v[47:48]
	s_delay_alu instid0(VALU_DEP_2) | instskip(NEXT) | instid1(VALU_DEP_2)
	v_fma_f64 v[49:50], v[49:50], v[47:48], -v[53:54]
	v_fma_f64 v[51:52], v[51:52], v[47:48], -v[55:56]
	s_delay_alu instid0(VALU_DEP_2) | instskip(NEXT) | instid1(VALU_DEP_1)
	v_add_f64 v[59:60], v[55:56], v[49:50]
	v_add_f64 v[65:66], v[59:60], -v[55:56]
	v_add_f64 v[73:74], v[53:54], v[59:60]
	s_delay_alu instid0(VALU_DEP_2) | instskip(SKIP_1) | instid1(VALU_DEP_3)
	v_add_f64 v[71:72], v[59:60], -v[65:66]
	v_add_f64 v[49:50], v[49:50], -v[65:66]
	v_ldexp_f64 v[65:66], v[73:74], -2
	v_add_f64 v[53:54], v[73:74], -v[53:54]
	s_delay_alu instid0(VALU_DEP_4) | instskip(NEXT) | instid1(VALU_DEP_3)
	v_add_f64 v[55:56], v[55:56], -v[71:72]
	v_cmp_neq_f64_e64 vcc_lo, 0x7ff00000, |v[65:66]|
	s_delay_alu instid0(VALU_DEP_3) | instskip(NEXT) | instid1(VALU_DEP_3)
	v_add_f64 v[53:54], v[59:60], -v[53:54]
	v_add_f64 v[49:50], v[49:50], v[55:56]
	v_fract_f64_e32 v[55:56], v[65:66]
	s_delay_alu instid0(VALU_DEP_1) | instskip(SKIP_1) | instid1(VALU_DEP_3)
	v_cndmask_b32_e32 v55, 0, v55, vcc_lo
	v_mul_f64 v[75:76], v[67:68], v[47:48]
	v_cndmask_b32_e32 v56, 0, v56, vcc_lo
	s_delay_alu instid0(VALU_DEP_1) | instskip(NEXT) | instid1(VALU_DEP_3)
	v_ldexp_f64 v[55:56], v[55:56], 2
	v_add_f64 v[71:72], v[75:76], v[51:52]
	v_fma_f64 v[47:48], v[67:68], v[47:48], -v[75:76]
	s_delay_alu instid0(VALU_DEP_2) | instskip(NEXT) | instid1(VALU_DEP_1)
	v_add_f64 v[59:60], v[71:72], v[49:50]
	v_add_f64 v[65:66], v[53:54], v[59:60]
	v_add_f64 v[77:78], v[59:60], -v[71:72]
	s_delay_alu instid0(VALU_DEP_2) | instskip(NEXT) | instid1(VALU_DEP_2)
	v_add_f64 v[73:74], v[65:66], v[55:56]
	v_add_f64 v[83:84], v[59:60], -v[77:78]
	v_add_f64 v[49:50], v[49:50], -v[77:78]
	;; [unrolled: 1-line block ×3, first 2 shown]
	s_delay_alu instid0(VALU_DEP_4) | instskip(SKIP_1) | instid1(VALU_DEP_3)
	v_cmp_gt_f64_e32 vcc_lo, 0, v[73:74]
	v_add_f64 v[73:74], v[71:72], -v[75:76]
	v_add_f64 v[53:54], v[59:60], -v[53:54]
	v_cndmask_b32_e64 v18, 0, 0x40100000, vcc_lo
	s_delay_alu instid0(VALU_DEP_3) | instskip(SKIP_2) | instid1(VALU_DEP_4)
	v_add_f64 v[81:82], v[71:72], -v[73:74]
	v_add_f64 v[51:52], v[51:52], -v[73:74]
	;; [unrolled: 1-line block ×3, first 2 shown]
	v_add_f64 v[55:56], v[55:56], v[17:18]
	s_delay_alu instid0(VALU_DEP_4) | instskip(NEXT) | instid1(VALU_DEP_3)
	v_add_f64 v[73:74], v[75:76], -v[81:82]
	v_add_f64 v[49:50], v[49:50], v[71:72]
	s_delay_alu instid0(VALU_DEP_3) | instskip(NEXT) | instid1(VALU_DEP_3)
	v_add_f64 v[79:80], v[65:66], v[55:56]
	v_add_f64 v[51:52], v[51:52], v[73:74]
	s_delay_alu instid0(VALU_DEP_2) | instskip(NEXT) | instid1(VALU_DEP_2)
	v_cvt_i32_f64_e32 v18, v[79:80]
	v_add_f64 v[49:50], v[51:52], v[49:50]
	s_delay_alu instid0(VALU_DEP_2) | instskip(NEXT) | instid1(VALU_DEP_2)
	v_cvt_f64_i32_e32 v[77:78], v18
	v_add_f64 v[47:48], v[47:48], v[49:50]
	s_delay_alu instid0(VALU_DEP_2) | instskip(NEXT) | instid1(VALU_DEP_2)
	v_add_f64 v[55:56], v[55:56], -v[77:78]
	v_add_f64 v[47:48], v[53:54], v[47:48]
	s_delay_alu instid0(VALU_DEP_2) | instskip(NEXT) | instid1(VALU_DEP_1)
	v_add_f64 v[51:52], v[65:66], v[55:56]
	v_add_f64 v[49:50], v[51:52], -v[55:56]
	v_cmp_le_f64_e32 vcc_lo, 0.5, v[51:52]
	s_delay_alu instid0(VALU_DEP_2) | instskip(SKIP_2) | instid1(VALU_DEP_3)
	v_add_f64 v[49:50], v[65:66], -v[49:50]
	v_add_co_ci_u32_e64 v159, s2, 0, v18, vcc_lo
	v_cndmask_b32_e64 v18, 0, 0x3ff00000, vcc_lo
	v_add_f64 v[47:48], v[47:48], v[49:50]
	s_delay_alu instid0(VALU_DEP_2) | instskip(NEXT) | instid1(VALU_DEP_1)
	v_add_f64 v[49:50], v[51:52], -v[17:18]
	v_add_f64 v[51:52], v[49:50], v[47:48]
	s_delay_alu instid0(VALU_DEP_1) | instskip(SKIP_1) | instid1(VALU_DEP_2)
	v_mul_f64 v[53:54], v[51:52], s[20:21]
	v_add_f64 v[49:50], v[51:52], -v[49:50]
	v_fma_f64 v[55:56], v[51:52], s[20:21], -v[53:54]
	s_delay_alu instid0(VALU_DEP_2) | instskip(NEXT) | instid1(VALU_DEP_2)
	v_add_f64 v[47:48], v[47:48], -v[49:50]
	v_fma_f64 v[49:50], v[51:52], s[26:27], v[55:56]
	s_delay_alu instid0(VALU_DEP_1) | instskip(NEXT) | instid1(VALU_DEP_1)
	v_fma_f64 v[47:48], v[47:48], s[20:21], v[49:50]
	v_add_f64 v[51:52], v[53:54], v[47:48]
	s_delay_alu instid0(VALU_DEP_1) | instskip(NEXT) | instid1(VALU_DEP_1)
	v_add_f64 v[49:50], v[51:52], -v[53:54]
	v_add_f64 v[71:72], v[47:48], -v[49:50]
	s_and_not1_saveexec_b32 s2, s4
	s_cbranch_execz .LBB144_36
	s_branch .LBB144_35
.LBB144_34:                             ;   in Loop: Header=BB144_4 Depth=1
	s_and_not1_saveexec_b32 s2, s4
	s_cbranch_execz .LBB144_36
.LBB144_35:                             ;   in Loop: Header=BB144_4 Depth=1
	v_mul_f64 v[47:48], |v[15:16]|, s[28:29]
	s_mov_b32 s24, s30
	s_delay_alu instid0(VALU_DEP_1) | instskip(NEXT) | instid1(VALU_DEP_1)
	v_rndne_f64_e32 v[47:48], v[47:48]
	v_fma_f64 v[49:50], v[47:48], s[22:23], |v[15:16]|
	v_mul_f64 v[51:52], v[47:48], s[30:31]
	v_cvt_i32_f64_e32 v159, v[47:48]
	s_delay_alu instid0(VALU_DEP_3) | instskip(NEXT) | instid1(VALU_DEP_3)
	v_fma_f64 v[55:56], v[47:48], s[30:31], v[49:50]
	v_add_f64 v[53:54], v[49:50], v[51:52]
	s_delay_alu instid0(VALU_DEP_1) | instskip(NEXT) | instid1(VALU_DEP_3)
	v_add_f64 v[49:50], v[49:50], -v[53:54]
	v_add_f64 v[53:54], v[53:54], -v[55:56]
	s_delay_alu instid0(VALU_DEP_2) | instskip(SKIP_1) | instid1(VALU_DEP_2)
	v_add_f64 v[49:50], v[49:50], v[51:52]
	v_fma_f64 v[51:52], v[47:48], s[24:25], v[51:52]
	v_add_f64 v[49:50], v[53:54], v[49:50]
	s_delay_alu instid0(VALU_DEP_1) | instskip(NEXT) | instid1(VALU_DEP_1)
	v_add_f64 v[49:50], v[49:50], -v[51:52]
	v_fma_f64 v[49:50], v[47:48], s[34:35], v[49:50]
	s_delay_alu instid0(VALU_DEP_1) | instskip(NEXT) | instid1(VALU_DEP_1)
	v_add_f64 v[51:52], v[55:56], v[49:50]
	v_add_f64 v[53:54], v[51:52], -v[55:56]
	s_delay_alu instid0(VALU_DEP_1)
	v_add_f64 v[71:72], v[49:50], -v[53:54]
.LBB144_36:                             ;   in Loop: Header=BB144_4 Depth=1
	s_or_b32 exec_lo, exec_lo, s2
                                        ; implicit-def: $vgpr162
                                        ; implicit-def: $vgpr53_vgpr54
                                        ; implicit-def: $vgpr81_vgpr82
	s_and_saveexec_b32 s2, s3
	s_delay_alu instid0(SALU_CYCLE_1)
	s_xor_b32 s3, exec_lo, s2
	s_cbranch_execz .LBB144_38
; %bb.37:                               ;   in Loop: Header=BB144_4 Depth=1
	v_ldexp_f64 v[47:48], |v[15:16]|, 0xffffff80
	v_cmp_le_f64_e64 vcc_lo, 0x7b000000, |v[15:16]|
	v_trig_preop_f64 v[49:50], |v[15:16]|, 0
	v_and_b32_e32 v18, 0x7fffffff, v16
	v_trig_preop_f64 v[53:54], |v[15:16]|, 1
	v_trig_preop_f64 v[73:74], |v[15:16]|, 2
	s_mov_b32 s20, s22
	s_mov_b32 s27, s25
	v_dual_cndmask_b32 v47, v15, v47 :: v_dual_cndmask_b32 v48, v18, v48
	s_delay_alu instid0(VALU_DEP_1) | instskip(NEXT) | instid1(VALU_DEP_4)
	v_mul_f64 v[55:56], v[49:50], v[47:48]
	v_mul_f64 v[59:60], v[53:54], v[47:48]
	s_delay_alu instid0(VALU_DEP_2) | instskip(NEXT) | instid1(VALU_DEP_2)
	v_fma_f64 v[49:50], v[49:50], v[47:48], -v[55:56]
	v_fma_f64 v[53:54], v[53:54], v[47:48], -v[59:60]
	s_delay_alu instid0(VALU_DEP_2) | instskip(NEXT) | instid1(VALU_DEP_1)
	v_add_f64 v[65:66], v[59:60], v[49:50]
	v_add_f64 v[67:68], v[65:66], -v[59:60]
	v_add_f64 v[77:78], v[55:56], v[65:66]
	s_delay_alu instid0(VALU_DEP_2) | instskip(SKIP_1) | instid1(VALU_DEP_3)
	v_add_f64 v[75:76], v[65:66], -v[67:68]
	v_add_f64 v[49:50], v[49:50], -v[67:68]
	v_ldexp_f64 v[67:68], v[77:78], -2
	v_add_f64 v[55:56], v[77:78], -v[55:56]
	s_delay_alu instid0(VALU_DEP_4) | instskip(NEXT) | instid1(VALU_DEP_3)
	v_add_f64 v[59:60], v[59:60], -v[75:76]
	v_cmp_neq_f64_e64 vcc_lo, 0x7ff00000, |v[67:68]|
	s_delay_alu instid0(VALU_DEP_3) | instskip(NEXT) | instid1(VALU_DEP_3)
	v_add_f64 v[55:56], v[65:66], -v[55:56]
	v_add_f64 v[49:50], v[49:50], v[59:60]
	v_fract_f64_e32 v[59:60], v[67:68]
	s_delay_alu instid0(VALU_DEP_1) | instskip(SKIP_1) | instid1(VALU_DEP_3)
	v_cndmask_b32_e32 v59, 0, v59, vcc_lo
	v_mul_f64 v[79:80], v[73:74], v[47:48]
	v_cndmask_b32_e32 v60, 0, v60, vcc_lo
	s_delay_alu instid0(VALU_DEP_1) | instskip(NEXT) | instid1(VALU_DEP_3)
	v_ldexp_f64 v[59:60], v[59:60], 2
	v_add_f64 v[75:76], v[79:80], v[53:54]
	v_fma_f64 v[47:48], v[73:74], v[47:48], -v[79:80]
	s_delay_alu instid0(VALU_DEP_2) | instskip(NEXT) | instid1(VALU_DEP_1)
	v_add_f64 v[65:66], v[75:76], v[49:50]
	v_add_f64 v[67:68], v[55:56], v[65:66]
	v_add_f64 v[81:82], v[65:66], -v[75:76]
	s_delay_alu instid0(VALU_DEP_2) | instskip(NEXT) | instid1(VALU_DEP_2)
	v_add_f64 v[77:78], v[67:68], v[59:60]
	v_add_f64 v[87:88], v[65:66], -v[81:82]
	v_add_f64 v[49:50], v[49:50], -v[81:82]
	;; [unrolled: 1-line block ×3, first 2 shown]
	s_delay_alu instid0(VALU_DEP_4) | instskip(SKIP_1) | instid1(VALU_DEP_3)
	v_cmp_gt_f64_e32 vcc_lo, 0, v[77:78]
	v_add_f64 v[77:78], v[75:76], -v[79:80]
	v_add_f64 v[55:56], v[65:66], -v[55:56]
	v_cndmask_b32_e64 v18, 0, 0x40100000, vcc_lo
	s_delay_alu instid0(VALU_DEP_3) | instskip(SKIP_2) | instid1(VALU_DEP_4)
	v_add_f64 v[85:86], v[75:76], -v[77:78]
	v_add_f64 v[53:54], v[53:54], -v[77:78]
	;; [unrolled: 1-line block ×3, first 2 shown]
	v_add_f64 v[59:60], v[59:60], v[17:18]
	s_delay_alu instid0(VALU_DEP_4) | instskip(NEXT) | instid1(VALU_DEP_3)
	v_add_f64 v[77:78], v[79:80], -v[85:86]
	v_add_f64 v[49:50], v[49:50], v[75:76]
	s_delay_alu instid0(VALU_DEP_3) | instskip(NEXT) | instid1(VALU_DEP_3)
	v_add_f64 v[83:84], v[67:68], v[59:60]
	v_add_f64 v[53:54], v[53:54], v[77:78]
	s_delay_alu instid0(VALU_DEP_2) | instskip(NEXT) | instid1(VALU_DEP_2)
	v_cvt_i32_f64_e32 v18, v[83:84]
	v_add_f64 v[49:50], v[53:54], v[49:50]
	s_delay_alu instid0(VALU_DEP_2) | instskip(NEXT) | instid1(VALU_DEP_2)
	v_cvt_f64_i32_e32 v[81:82], v18
	v_add_f64 v[47:48], v[47:48], v[49:50]
	s_delay_alu instid0(VALU_DEP_2) | instskip(NEXT) | instid1(VALU_DEP_2)
	v_add_f64 v[59:60], v[59:60], -v[81:82]
	v_add_f64 v[47:48], v[55:56], v[47:48]
	s_delay_alu instid0(VALU_DEP_2) | instskip(NEXT) | instid1(VALU_DEP_1)
	v_add_f64 v[53:54], v[67:68], v[59:60]
	v_add_f64 v[49:50], v[53:54], -v[59:60]
	v_cmp_le_f64_e32 vcc_lo, 0.5, v[53:54]
	s_delay_alu instid0(VALU_DEP_2) | instskip(SKIP_2) | instid1(VALU_DEP_3)
	v_add_f64 v[49:50], v[67:68], -v[49:50]
	v_add_co_ci_u32_e64 v162, s2, 0, v18, vcc_lo
	v_cndmask_b32_e64 v18, 0, 0x3ff00000, vcc_lo
	v_add_f64 v[47:48], v[47:48], v[49:50]
	s_delay_alu instid0(VALU_DEP_2) | instskip(NEXT) | instid1(VALU_DEP_1)
	v_add_f64 v[49:50], v[53:54], -v[17:18]
	v_add_f64 v[53:54], v[49:50], v[47:48]
	s_delay_alu instid0(VALU_DEP_1) | instskip(SKIP_1) | instid1(VALU_DEP_2)
	v_mul_f64 v[55:56], v[53:54], s[20:21]
	v_add_f64 v[49:50], v[53:54], -v[49:50]
	v_fma_f64 v[59:60], v[53:54], s[20:21], -v[55:56]
	s_delay_alu instid0(VALU_DEP_2) | instskip(NEXT) | instid1(VALU_DEP_2)
	v_add_f64 v[47:48], v[47:48], -v[49:50]
	v_fma_f64 v[49:50], v[53:54], s[26:27], v[59:60]
	s_delay_alu instid0(VALU_DEP_1) | instskip(NEXT) | instid1(VALU_DEP_1)
	v_fma_f64 v[47:48], v[47:48], s[20:21], v[49:50]
	v_add_f64 v[53:54], v[55:56], v[47:48]
	s_delay_alu instid0(VALU_DEP_1) | instskip(NEXT) | instid1(VALU_DEP_1)
	v_add_f64 v[49:50], v[53:54], -v[55:56]
	v_add_f64 v[81:82], v[47:48], -v[49:50]
	s_and_not1_saveexec_b32 s2, s3
	s_cbranch_execnz .LBB144_39
	s_branch .LBB144_40
.LBB144_38:                             ;   in Loop: Header=BB144_4 Depth=1
	s_and_not1_saveexec_b32 s2, s3
	s_cbranch_execz .LBB144_40
.LBB144_39:                             ;   in Loop: Header=BB144_4 Depth=1
	v_mul_f64 v[47:48], |v[15:16]|, s[28:29]
	s_mov_b32 s24, s30
	s_delay_alu instid0(VALU_DEP_1) | instskip(NEXT) | instid1(VALU_DEP_1)
	v_rndne_f64_e32 v[47:48], v[47:48]
	v_fma_f64 v[49:50], v[47:48], s[22:23], |v[15:16]|
	v_mul_f64 v[53:54], v[47:48], s[30:31]
	v_cvt_i32_f64_e32 v162, v[47:48]
	s_delay_alu instid0(VALU_DEP_3) | instskip(NEXT) | instid1(VALU_DEP_3)
	v_fma_f64 v[59:60], v[47:48], s[30:31], v[49:50]
	v_add_f64 v[55:56], v[49:50], v[53:54]
	s_delay_alu instid0(VALU_DEP_1) | instskip(NEXT) | instid1(VALU_DEP_3)
	v_add_f64 v[49:50], v[49:50], -v[55:56]
	v_add_f64 v[55:56], v[55:56], -v[59:60]
	s_delay_alu instid0(VALU_DEP_2) | instskip(SKIP_1) | instid1(VALU_DEP_2)
	v_add_f64 v[49:50], v[49:50], v[53:54]
	v_fma_f64 v[53:54], v[47:48], s[24:25], v[53:54]
	v_add_f64 v[49:50], v[55:56], v[49:50]
	s_delay_alu instid0(VALU_DEP_1) | instskip(NEXT) | instid1(VALU_DEP_1)
	v_add_f64 v[49:50], v[49:50], -v[53:54]
	v_fma_f64 v[49:50], v[47:48], s[34:35], v[49:50]
	s_delay_alu instid0(VALU_DEP_1) | instskip(NEXT) | instid1(VALU_DEP_1)
	v_add_f64 v[53:54], v[59:60], v[49:50]
	v_add_f64 v[55:56], v[53:54], -v[59:60]
	s_delay_alu instid0(VALU_DEP_1)
	v_add_f64 v[81:82], v[49:50], -v[55:56]
.LBB144_40:                             ;   in Loop: Header=BB144_4 Depth=1
	s_or_b32 exec_lo, exec_lo, s2
	v_mul_f64 v[47:48], v[3:4], 0.5
	s_mov_b32 s3, exec_lo
                                        ; implicit-def: $vgpr160
                                        ; implicit-def: $vgpr49_vgpr50
                                        ; implicit-def: $vgpr65_vgpr66
	s_delay_alu instid0(VALU_DEP_1)
	v_cmpx_ngt_f64_e64 0x41d00000, |v[47:48]|
	s_xor_b32 s3, exec_lo, s3
	s_cbranch_execz .LBB144_42
; %bb.41:                               ;   in Loop: Header=BB144_4 Depth=1
	v_ldexp_f64 v[49:50], |v[47:48]|, 0xffffff80
	v_cmp_le_f64_e64 vcc_lo, 0x7b000000, |v[47:48]|
	v_trig_preop_f64 v[55:56], |v[47:48]|, 0
	v_and_b32_e32 v18, 0x7fffffff, v48
	v_trig_preop_f64 v[59:60], |v[47:48]|, 1
	v_trig_preop_f64 v[77:78], |v[47:48]|, 2
	s_mov_b32 s20, s22
	s_mov_b32 s27, s25
	v_dual_cndmask_b32 v49, v47, v49 :: v_dual_cndmask_b32 v50, v18, v50
	s_delay_alu instid0(VALU_DEP_1) | instskip(NEXT) | instid1(VALU_DEP_4)
	v_mul_f64 v[65:66], v[55:56], v[49:50]
	v_mul_f64 v[67:68], v[59:60], v[49:50]
	s_delay_alu instid0(VALU_DEP_2) | instskip(NEXT) | instid1(VALU_DEP_2)
	v_fma_f64 v[55:56], v[55:56], v[49:50], -v[65:66]
	v_fma_f64 v[59:60], v[59:60], v[49:50], -v[67:68]
	s_delay_alu instid0(VALU_DEP_2) | instskip(NEXT) | instid1(VALU_DEP_1)
	v_add_f64 v[73:74], v[67:68], v[55:56]
	v_add_f64 v[75:76], v[73:74], -v[67:68]
	v_add_f64 v[83:84], v[65:66], v[73:74]
	s_delay_alu instid0(VALU_DEP_2) | instskip(SKIP_1) | instid1(VALU_DEP_3)
	v_add_f64 v[79:80], v[73:74], -v[75:76]
	v_add_f64 v[55:56], v[55:56], -v[75:76]
	v_ldexp_f64 v[75:76], v[83:84], -2
	v_add_f64 v[65:66], v[83:84], -v[65:66]
	s_delay_alu instid0(VALU_DEP_4) | instskip(NEXT) | instid1(VALU_DEP_3)
	v_add_f64 v[67:68], v[67:68], -v[79:80]
	v_cmp_neq_f64_e64 vcc_lo, 0x7ff00000, |v[75:76]|
	s_delay_alu instid0(VALU_DEP_3) | instskip(NEXT) | instid1(VALU_DEP_3)
	v_add_f64 v[65:66], v[73:74], -v[65:66]
	v_add_f64 v[55:56], v[55:56], v[67:68]
	v_fract_f64_e32 v[67:68], v[75:76]
	s_delay_alu instid0(VALU_DEP_1) | instskip(SKIP_1) | instid1(VALU_DEP_3)
	v_cndmask_b32_e32 v67, 0, v67, vcc_lo
	v_mul_f64 v[85:86], v[77:78], v[49:50]
	v_cndmask_b32_e32 v68, 0, v68, vcc_lo
	s_delay_alu instid0(VALU_DEP_1) | instskip(NEXT) | instid1(VALU_DEP_3)
	v_ldexp_f64 v[67:68], v[67:68], 2
	v_add_f64 v[79:80], v[85:86], v[59:60]
	v_fma_f64 v[49:50], v[77:78], v[49:50], -v[85:86]
	s_delay_alu instid0(VALU_DEP_2) | instskip(NEXT) | instid1(VALU_DEP_1)
	v_add_f64 v[73:74], v[79:80], v[55:56]
	v_add_f64 v[75:76], v[65:66], v[73:74]
	v_add_f64 v[87:88], v[73:74], -v[79:80]
	s_delay_alu instid0(VALU_DEP_2) | instskip(NEXT) | instid1(VALU_DEP_2)
	v_add_f64 v[83:84], v[75:76], v[67:68]
	v_add_f64 v[93:94], v[73:74], -v[87:88]
	v_add_f64 v[55:56], v[55:56], -v[87:88]
	;; [unrolled: 1-line block ×3, first 2 shown]
	s_delay_alu instid0(VALU_DEP_4) | instskip(SKIP_1) | instid1(VALU_DEP_3)
	v_cmp_gt_f64_e32 vcc_lo, 0, v[83:84]
	v_add_f64 v[83:84], v[79:80], -v[85:86]
	v_add_f64 v[65:66], v[73:74], -v[65:66]
	v_cndmask_b32_e64 v18, 0, 0x40100000, vcc_lo
	s_delay_alu instid0(VALU_DEP_3) | instskip(SKIP_2) | instid1(VALU_DEP_4)
	v_add_f64 v[91:92], v[79:80], -v[83:84]
	v_add_f64 v[59:60], v[59:60], -v[83:84]
	;; [unrolled: 1-line block ×3, first 2 shown]
	v_add_f64 v[67:68], v[67:68], v[17:18]
	s_delay_alu instid0(VALU_DEP_4) | instskip(NEXT) | instid1(VALU_DEP_3)
	v_add_f64 v[83:84], v[85:86], -v[91:92]
	v_add_f64 v[55:56], v[55:56], v[79:80]
	s_delay_alu instid0(VALU_DEP_3) | instskip(NEXT) | instid1(VALU_DEP_3)
	v_add_f64 v[89:90], v[75:76], v[67:68]
	v_add_f64 v[59:60], v[59:60], v[83:84]
	s_delay_alu instid0(VALU_DEP_2) | instskip(NEXT) | instid1(VALU_DEP_2)
	v_cvt_i32_f64_e32 v18, v[89:90]
	v_add_f64 v[55:56], v[59:60], v[55:56]
	s_delay_alu instid0(VALU_DEP_2) | instskip(NEXT) | instid1(VALU_DEP_2)
	v_cvt_f64_i32_e32 v[87:88], v18
	v_add_f64 v[49:50], v[49:50], v[55:56]
	s_delay_alu instid0(VALU_DEP_2) | instskip(NEXT) | instid1(VALU_DEP_2)
	v_add_f64 v[67:68], v[67:68], -v[87:88]
	v_add_f64 v[49:50], v[65:66], v[49:50]
	s_delay_alu instid0(VALU_DEP_2) | instskip(NEXT) | instid1(VALU_DEP_1)
	v_add_f64 v[59:60], v[75:76], v[67:68]
	v_add_f64 v[55:56], v[59:60], -v[67:68]
	v_cmp_le_f64_e32 vcc_lo, 0.5, v[59:60]
	s_delay_alu instid0(VALU_DEP_2) | instskip(SKIP_2) | instid1(VALU_DEP_3)
	v_add_f64 v[55:56], v[75:76], -v[55:56]
	v_add_co_ci_u32_e64 v160, s2, 0, v18, vcc_lo
	v_cndmask_b32_e64 v18, 0, 0x3ff00000, vcc_lo
	v_add_f64 v[49:50], v[49:50], v[55:56]
	s_delay_alu instid0(VALU_DEP_2) | instskip(NEXT) | instid1(VALU_DEP_1)
	v_add_f64 v[55:56], v[59:60], -v[17:18]
	v_add_f64 v[59:60], v[55:56], v[49:50]
	s_delay_alu instid0(VALU_DEP_1) | instskip(SKIP_1) | instid1(VALU_DEP_2)
	v_mul_f64 v[65:66], v[59:60], s[20:21]
	v_add_f64 v[55:56], v[59:60], -v[55:56]
	v_fma_f64 v[67:68], v[59:60], s[20:21], -v[65:66]
	s_delay_alu instid0(VALU_DEP_2) | instskip(NEXT) | instid1(VALU_DEP_2)
	v_add_f64 v[49:50], v[49:50], -v[55:56]
	v_fma_f64 v[55:56], v[59:60], s[26:27], v[67:68]
	s_delay_alu instid0(VALU_DEP_1) | instskip(NEXT) | instid1(VALU_DEP_1)
	v_fma_f64 v[55:56], v[49:50], s[20:21], v[55:56]
	v_add_f64 v[49:50], v[65:66], v[55:56]
	s_delay_alu instid0(VALU_DEP_1) | instskip(NEXT) | instid1(VALU_DEP_1)
	v_add_f64 v[59:60], v[49:50], -v[65:66]
	v_add_f64 v[65:66], v[55:56], -v[59:60]
.LBB144_42:                             ;   in Loop: Header=BB144_4 Depth=1
	s_and_not1_saveexec_b32 s2, s3
	s_cbranch_execz .LBB144_44
; %bb.43:                               ;   in Loop: Header=BB144_4 Depth=1
	v_mul_f64 v[49:50], |v[47:48]|, s[28:29]
	s_mov_b32 s24, s30
	s_delay_alu instid0(VALU_DEP_1) | instskip(NEXT) | instid1(VALU_DEP_1)
	v_rndne_f64_e32 v[55:56], v[49:50]
	v_fma_f64 v[49:50], v[55:56], s[22:23], |v[47:48]|
	v_mul_f64 v[59:60], v[55:56], s[30:31]
	v_cvt_i32_f64_e32 v160, v[55:56]
	s_delay_alu instid0(VALU_DEP_3) | instskip(NEXT) | instid1(VALU_DEP_3)
	v_fma_f64 v[67:68], v[55:56], s[30:31], v[49:50]
	v_add_f64 v[65:66], v[49:50], v[59:60]
	s_delay_alu instid0(VALU_DEP_1) | instskip(NEXT) | instid1(VALU_DEP_3)
	v_add_f64 v[49:50], v[49:50], -v[65:66]
	v_add_f64 v[65:66], v[65:66], -v[67:68]
	s_delay_alu instid0(VALU_DEP_2) | instskip(SKIP_1) | instid1(VALU_DEP_2)
	v_add_f64 v[49:50], v[49:50], v[59:60]
	v_fma_f64 v[59:60], v[55:56], s[24:25], v[59:60]
	v_add_f64 v[49:50], v[65:66], v[49:50]
	s_delay_alu instid0(VALU_DEP_1) | instskip(NEXT) | instid1(VALU_DEP_1)
	v_add_f64 v[49:50], v[49:50], -v[59:60]
	v_fma_f64 v[59:60], v[55:56], s[34:35], v[49:50]
	s_delay_alu instid0(VALU_DEP_1) | instskip(NEXT) | instid1(VALU_DEP_1)
	v_add_f64 v[49:50], v[67:68], v[59:60]
	v_add_f64 v[65:66], v[49:50], -v[67:68]
	s_delay_alu instid0(VALU_DEP_1)
	v_add_f64 v[65:66], v[59:60], -v[65:66]
.LBB144_44:                             ;   in Loop: Header=BB144_4 Depth=1
	s_or_b32 exec_lo, exec_lo, s2
	v_cmp_ngt_f64_e64 s3, 0x41d00000, |v[3:4]|
                                        ; implicit-def: $vgpr161
                                        ; implicit-def: $vgpr55_vgpr56
                                        ; implicit-def: $vgpr115_vgpr116
	s_delay_alu instid0(VALU_DEP_1) | instskip(NEXT) | instid1(SALU_CYCLE_1)
	s_and_saveexec_b32 s2, s3
	s_xor_b32 s4, exec_lo, s2
	s_cbranch_execz .LBB144_46
; %bb.45:                               ;   in Loop: Header=BB144_4 Depth=1
	v_ldexp_f64 v[55:56], |v[3:4]|, 0xffffff80
	v_cmp_le_f64_e64 vcc_lo, 0x7b000000, |v[3:4]|
	v_trig_preop_f64 v[59:60], |v[3:4]|, 0
	v_and_b32_e32 v18, 0x7fffffff, v4
	v_trig_preop_f64 v[67:68], |v[3:4]|, 1
	v_trig_preop_f64 v[83:84], |v[3:4]|, 2
	s_mov_b32 s20, s22
	s_mov_b32 s27, s25
	v_dual_cndmask_b32 v55, v3, v55 :: v_dual_cndmask_b32 v56, v18, v56
	s_delay_alu instid0(VALU_DEP_1) | instskip(NEXT) | instid1(VALU_DEP_4)
	v_mul_f64 v[73:74], v[59:60], v[55:56]
	v_mul_f64 v[75:76], v[67:68], v[55:56]
	s_delay_alu instid0(VALU_DEP_2) | instskip(NEXT) | instid1(VALU_DEP_2)
	v_fma_f64 v[59:60], v[59:60], v[55:56], -v[73:74]
	v_fma_f64 v[67:68], v[67:68], v[55:56], -v[75:76]
	s_delay_alu instid0(VALU_DEP_2) | instskip(NEXT) | instid1(VALU_DEP_1)
	v_add_f64 v[77:78], v[75:76], v[59:60]
	v_add_f64 v[79:80], v[77:78], -v[75:76]
	v_add_f64 v[87:88], v[73:74], v[77:78]
	s_delay_alu instid0(VALU_DEP_2) | instskip(SKIP_1) | instid1(VALU_DEP_3)
	v_add_f64 v[85:86], v[77:78], -v[79:80]
	v_add_f64 v[59:60], v[59:60], -v[79:80]
	v_ldexp_f64 v[79:80], v[87:88], -2
	v_add_f64 v[73:74], v[87:88], -v[73:74]
	s_delay_alu instid0(VALU_DEP_4) | instskip(NEXT) | instid1(VALU_DEP_3)
	v_add_f64 v[75:76], v[75:76], -v[85:86]
	v_cmp_neq_f64_e64 vcc_lo, 0x7ff00000, |v[79:80]|
	s_delay_alu instid0(VALU_DEP_3) | instskip(NEXT) | instid1(VALU_DEP_3)
	v_add_f64 v[73:74], v[77:78], -v[73:74]
	v_add_f64 v[59:60], v[59:60], v[75:76]
	v_fract_f64_e32 v[75:76], v[79:80]
	s_delay_alu instid0(VALU_DEP_1) | instskip(SKIP_1) | instid1(VALU_DEP_3)
	v_cndmask_b32_e32 v75, 0, v75, vcc_lo
	v_mul_f64 v[89:90], v[83:84], v[55:56]
	v_cndmask_b32_e32 v76, 0, v76, vcc_lo
	s_delay_alu instid0(VALU_DEP_1) | instskip(NEXT) | instid1(VALU_DEP_3)
	v_ldexp_f64 v[75:76], v[75:76], 2
	v_add_f64 v[85:86], v[89:90], v[67:68]
	v_fma_f64 v[55:56], v[83:84], v[55:56], -v[89:90]
	s_delay_alu instid0(VALU_DEP_2) | instskip(NEXT) | instid1(VALU_DEP_1)
	v_add_f64 v[77:78], v[85:86], v[59:60]
	v_add_f64 v[79:80], v[73:74], v[77:78]
	v_add_f64 v[91:92], v[77:78], -v[85:86]
	s_delay_alu instid0(VALU_DEP_2) | instskip(NEXT) | instid1(VALU_DEP_2)
	v_add_f64 v[87:88], v[79:80], v[75:76]
	v_add_f64 v[97:98], v[77:78], -v[91:92]
	v_add_f64 v[59:60], v[59:60], -v[91:92]
	;; [unrolled: 1-line block ×3, first 2 shown]
	s_delay_alu instid0(VALU_DEP_4) | instskip(SKIP_1) | instid1(VALU_DEP_3)
	v_cmp_gt_f64_e32 vcc_lo, 0, v[87:88]
	v_add_f64 v[87:88], v[85:86], -v[89:90]
	v_add_f64 v[73:74], v[77:78], -v[73:74]
	v_cndmask_b32_e64 v18, 0, 0x40100000, vcc_lo
	s_delay_alu instid0(VALU_DEP_3) | instskip(SKIP_2) | instid1(VALU_DEP_4)
	v_add_f64 v[95:96], v[85:86], -v[87:88]
	v_add_f64 v[67:68], v[67:68], -v[87:88]
	;; [unrolled: 1-line block ×3, first 2 shown]
	v_add_f64 v[75:76], v[75:76], v[17:18]
	s_delay_alu instid0(VALU_DEP_4) | instskip(NEXT) | instid1(VALU_DEP_3)
	v_add_f64 v[87:88], v[89:90], -v[95:96]
	v_add_f64 v[59:60], v[59:60], v[85:86]
	s_delay_alu instid0(VALU_DEP_3) | instskip(NEXT) | instid1(VALU_DEP_3)
	v_add_f64 v[93:94], v[79:80], v[75:76]
	v_add_f64 v[67:68], v[67:68], v[87:88]
	s_delay_alu instid0(VALU_DEP_2) | instskip(NEXT) | instid1(VALU_DEP_2)
	v_cvt_i32_f64_e32 v18, v[93:94]
	v_add_f64 v[59:60], v[67:68], v[59:60]
	s_delay_alu instid0(VALU_DEP_2) | instskip(NEXT) | instid1(VALU_DEP_2)
	v_cvt_f64_i32_e32 v[91:92], v18
	v_add_f64 v[55:56], v[55:56], v[59:60]
	s_delay_alu instid0(VALU_DEP_2) | instskip(NEXT) | instid1(VALU_DEP_2)
	v_add_f64 v[75:76], v[75:76], -v[91:92]
	v_add_f64 v[55:56], v[73:74], v[55:56]
	s_delay_alu instid0(VALU_DEP_2) | instskip(NEXT) | instid1(VALU_DEP_1)
	v_add_f64 v[67:68], v[79:80], v[75:76]
	v_add_f64 v[59:60], v[67:68], -v[75:76]
	v_cmp_le_f64_e32 vcc_lo, 0.5, v[67:68]
	s_delay_alu instid0(VALU_DEP_2) | instskip(SKIP_2) | instid1(VALU_DEP_3)
	v_add_f64 v[59:60], v[79:80], -v[59:60]
	v_add_co_ci_u32_e64 v161, s2, 0, v18, vcc_lo
	v_cndmask_b32_e64 v18, 0, 0x3ff00000, vcc_lo
	v_add_f64 v[55:56], v[55:56], v[59:60]
	s_delay_alu instid0(VALU_DEP_2) | instskip(NEXT) | instid1(VALU_DEP_1)
	v_add_f64 v[59:60], v[67:68], -v[17:18]
	v_add_f64 v[67:68], v[59:60], v[55:56]
	s_delay_alu instid0(VALU_DEP_1) | instskip(SKIP_1) | instid1(VALU_DEP_2)
	v_mul_f64 v[73:74], v[67:68], s[20:21]
	v_add_f64 v[59:60], v[67:68], -v[59:60]
	v_fma_f64 v[75:76], v[67:68], s[20:21], -v[73:74]
	s_delay_alu instid0(VALU_DEP_2) | instskip(NEXT) | instid1(VALU_DEP_2)
	v_add_f64 v[55:56], v[55:56], -v[59:60]
	v_fma_f64 v[59:60], v[67:68], s[26:27], v[75:76]
	s_delay_alu instid0(VALU_DEP_1) | instskip(NEXT) | instid1(VALU_DEP_1)
	v_fma_f64 v[59:60], v[55:56], s[20:21], v[59:60]
	v_add_f64 v[55:56], v[73:74], v[59:60]
	s_delay_alu instid0(VALU_DEP_1) | instskip(NEXT) | instid1(VALU_DEP_1)
	v_add_f64 v[67:68], v[55:56], -v[73:74]
	v_add_f64 v[115:116], v[59:60], -v[67:68]
	s_and_not1_saveexec_b32 s2, s4
	s_cbranch_execz .LBB144_48
	s_branch .LBB144_47
.LBB144_46:                             ;   in Loop: Header=BB144_4 Depth=1
	s_and_not1_saveexec_b32 s2, s4
	s_cbranch_execz .LBB144_48
.LBB144_47:                             ;   in Loop: Header=BB144_4 Depth=1
	v_mul_f64 v[55:56], |v[3:4]|, s[28:29]
	s_mov_b32 s24, s30
	s_delay_alu instid0(VALU_DEP_1) | instskip(NEXT) | instid1(VALU_DEP_1)
	v_rndne_f64_e32 v[59:60], v[55:56]
	v_fma_f64 v[55:56], v[59:60], s[22:23], |v[3:4]|
	v_mul_f64 v[67:68], v[59:60], s[30:31]
	v_cvt_i32_f64_e32 v161, v[59:60]
	s_delay_alu instid0(VALU_DEP_3) | instskip(NEXT) | instid1(VALU_DEP_3)
	v_fma_f64 v[75:76], v[59:60], s[30:31], v[55:56]
	v_add_f64 v[73:74], v[55:56], v[67:68]
	s_delay_alu instid0(VALU_DEP_1) | instskip(NEXT) | instid1(VALU_DEP_3)
	v_add_f64 v[55:56], v[55:56], -v[73:74]
	v_add_f64 v[73:74], v[73:74], -v[75:76]
	s_delay_alu instid0(VALU_DEP_2) | instskip(SKIP_1) | instid1(VALU_DEP_2)
	v_add_f64 v[55:56], v[55:56], v[67:68]
	v_fma_f64 v[67:68], v[59:60], s[24:25], v[67:68]
	v_add_f64 v[55:56], v[73:74], v[55:56]
	s_delay_alu instid0(VALU_DEP_1) | instskip(NEXT) | instid1(VALU_DEP_1)
	v_add_f64 v[55:56], v[55:56], -v[67:68]
	v_fma_f64 v[67:68], v[59:60], s[34:35], v[55:56]
	s_delay_alu instid0(VALU_DEP_1) | instskip(NEXT) | instid1(VALU_DEP_1)
	v_add_f64 v[55:56], v[75:76], v[67:68]
	v_add_f64 v[73:74], v[55:56], -v[75:76]
	s_delay_alu instid0(VALU_DEP_1)
	v_add_f64 v[115:116], v[67:68], -v[73:74]
.LBB144_48:                             ;   in Loop: Header=BB144_4 Depth=1
	s_or_b32 exec_lo, exec_lo, s2
                                        ; implicit-def: $vgpr163
                                        ; implicit-def: $vgpr59_vgpr60
                                        ; implicit-def: $vgpr143_vgpr144
	s_and_saveexec_b32 s2, s3
	s_delay_alu instid0(SALU_CYCLE_1)
	s_xor_b32 s3, exec_lo, s2
	s_cbranch_execz .LBB144_50
; %bb.49:                               ;   in Loop: Header=BB144_4 Depth=1
	v_ldexp_f64 v[59:60], |v[3:4]|, 0xffffff80
	v_cmp_le_f64_e64 vcc_lo, 0x7b000000, |v[3:4]|
	v_trig_preop_f64 v[67:68], |v[3:4]|, 0
	v_and_b32_e32 v18, 0x7fffffff, v4
	v_trig_preop_f64 v[73:74], |v[3:4]|, 1
	v_trig_preop_f64 v[85:86], |v[3:4]|, 2
	s_mov_b32 s20, s22
	s_mov_b32 s27, s25
	v_dual_cndmask_b32 v59, v3, v59 :: v_dual_cndmask_b32 v60, v18, v60
	s_delay_alu instid0(VALU_DEP_1) | instskip(NEXT) | instid1(VALU_DEP_4)
	v_mul_f64 v[75:76], v[67:68], v[59:60]
	v_mul_f64 v[77:78], v[73:74], v[59:60]
	s_delay_alu instid0(VALU_DEP_2) | instskip(NEXT) | instid1(VALU_DEP_2)
	v_fma_f64 v[67:68], v[67:68], v[59:60], -v[75:76]
	v_fma_f64 v[73:74], v[73:74], v[59:60], -v[77:78]
	s_delay_alu instid0(VALU_DEP_2) | instskip(NEXT) | instid1(VALU_DEP_1)
	v_add_f64 v[79:80], v[77:78], v[67:68]
	v_add_f64 v[83:84], v[79:80], -v[77:78]
	v_add_f64 v[89:90], v[75:76], v[79:80]
	s_delay_alu instid0(VALU_DEP_2) | instskip(SKIP_1) | instid1(VALU_DEP_3)
	v_add_f64 v[87:88], v[79:80], -v[83:84]
	v_add_f64 v[67:68], v[67:68], -v[83:84]
	v_ldexp_f64 v[83:84], v[89:90], -2
	v_add_f64 v[75:76], v[89:90], -v[75:76]
	s_delay_alu instid0(VALU_DEP_4) | instskip(NEXT) | instid1(VALU_DEP_3)
	v_add_f64 v[77:78], v[77:78], -v[87:88]
	v_cmp_neq_f64_e64 vcc_lo, 0x7ff00000, |v[83:84]|
	s_delay_alu instid0(VALU_DEP_3) | instskip(NEXT) | instid1(VALU_DEP_3)
	v_add_f64 v[75:76], v[79:80], -v[75:76]
	v_add_f64 v[67:68], v[67:68], v[77:78]
	v_fract_f64_e32 v[77:78], v[83:84]
	s_delay_alu instid0(VALU_DEP_1) | instskip(SKIP_1) | instid1(VALU_DEP_3)
	v_cndmask_b32_e32 v77, 0, v77, vcc_lo
	v_mul_f64 v[91:92], v[85:86], v[59:60]
	v_cndmask_b32_e32 v78, 0, v78, vcc_lo
	s_delay_alu instid0(VALU_DEP_1) | instskip(NEXT) | instid1(VALU_DEP_3)
	v_ldexp_f64 v[77:78], v[77:78], 2
	v_add_f64 v[87:88], v[91:92], v[73:74]
	v_fma_f64 v[59:60], v[85:86], v[59:60], -v[91:92]
	s_delay_alu instid0(VALU_DEP_2) | instskip(NEXT) | instid1(VALU_DEP_1)
	v_add_f64 v[79:80], v[87:88], v[67:68]
	v_add_f64 v[83:84], v[75:76], v[79:80]
	v_add_f64 v[93:94], v[79:80], -v[87:88]
	s_delay_alu instid0(VALU_DEP_2) | instskip(NEXT) | instid1(VALU_DEP_2)
	v_add_f64 v[89:90], v[83:84], v[77:78]
	v_add_f64 v[99:100], v[79:80], -v[93:94]
	v_add_f64 v[67:68], v[67:68], -v[93:94]
	;; [unrolled: 1-line block ×3, first 2 shown]
	s_delay_alu instid0(VALU_DEP_4) | instskip(SKIP_1) | instid1(VALU_DEP_3)
	v_cmp_gt_f64_e32 vcc_lo, 0, v[89:90]
	v_add_f64 v[89:90], v[87:88], -v[91:92]
	v_add_f64 v[75:76], v[79:80], -v[75:76]
	v_cndmask_b32_e64 v18, 0, 0x40100000, vcc_lo
	s_delay_alu instid0(VALU_DEP_3) | instskip(SKIP_2) | instid1(VALU_DEP_4)
	v_add_f64 v[97:98], v[87:88], -v[89:90]
	v_add_f64 v[73:74], v[73:74], -v[89:90]
	;; [unrolled: 1-line block ×3, first 2 shown]
	v_add_f64 v[77:78], v[77:78], v[17:18]
	s_delay_alu instid0(VALU_DEP_4) | instskip(NEXT) | instid1(VALU_DEP_3)
	v_add_f64 v[89:90], v[91:92], -v[97:98]
	v_add_f64 v[67:68], v[67:68], v[87:88]
	s_delay_alu instid0(VALU_DEP_3) | instskip(NEXT) | instid1(VALU_DEP_3)
	v_add_f64 v[95:96], v[83:84], v[77:78]
	v_add_f64 v[73:74], v[73:74], v[89:90]
	s_delay_alu instid0(VALU_DEP_2) | instskip(NEXT) | instid1(VALU_DEP_2)
	v_cvt_i32_f64_e32 v18, v[95:96]
	v_add_f64 v[67:68], v[73:74], v[67:68]
	s_delay_alu instid0(VALU_DEP_2) | instskip(NEXT) | instid1(VALU_DEP_2)
	v_cvt_f64_i32_e32 v[93:94], v18
	v_add_f64 v[59:60], v[59:60], v[67:68]
	s_delay_alu instid0(VALU_DEP_2) | instskip(NEXT) | instid1(VALU_DEP_2)
	v_add_f64 v[77:78], v[77:78], -v[93:94]
	v_add_f64 v[59:60], v[75:76], v[59:60]
	s_delay_alu instid0(VALU_DEP_2) | instskip(NEXT) | instid1(VALU_DEP_1)
	v_add_f64 v[73:74], v[83:84], v[77:78]
	v_add_f64 v[67:68], v[73:74], -v[77:78]
	v_cmp_le_f64_e32 vcc_lo, 0.5, v[73:74]
	s_delay_alu instid0(VALU_DEP_2) | instskip(SKIP_2) | instid1(VALU_DEP_3)
	v_add_f64 v[67:68], v[83:84], -v[67:68]
	v_add_co_ci_u32_e64 v163, s2, 0, v18, vcc_lo
	v_cndmask_b32_e64 v18, 0, 0x3ff00000, vcc_lo
	v_add_f64 v[59:60], v[59:60], v[67:68]
	s_delay_alu instid0(VALU_DEP_2) | instskip(NEXT) | instid1(VALU_DEP_1)
	v_add_f64 v[67:68], v[73:74], -v[17:18]
	v_add_f64 v[73:74], v[67:68], v[59:60]
	s_delay_alu instid0(VALU_DEP_1) | instskip(SKIP_1) | instid1(VALU_DEP_2)
	v_mul_f64 v[75:76], v[73:74], s[20:21]
	v_add_f64 v[67:68], v[73:74], -v[67:68]
	v_fma_f64 v[77:78], v[73:74], s[20:21], -v[75:76]
	s_delay_alu instid0(VALU_DEP_2) | instskip(NEXT) | instid1(VALU_DEP_2)
	v_add_f64 v[59:60], v[59:60], -v[67:68]
	v_fma_f64 v[67:68], v[73:74], s[26:27], v[77:78]
	s_delay_alu instid0(VALU_DEP_1) | instskip(NEXT) | instid1(VALU_DEP_1)
	v_fma_f64 v[67:68], v[59:60], s[20:21], v[67:68]
	v_add_f64 v[59:60], v[75:76], v[67:68]
	s_delay_alu instid0(VALU_DEP_1) | instskip(NEXT) | instid1(VALU_DEP_1)
	v_add_f64 v[73:74], v[59:60], -v[75:76]
	v_add_f64 v[143:144], v[67:68], -v[73:74]
	s_and_not1_saveexec_b32 s2, s3
	s_cbranch_execz .LBB144_3
	s_branch .LBB144_51
.LBB144_50:                             ;   in Loop: Header=BB144_4 Depth=1
	s_and_not1_saveexec_b32 s2, s3
	s_cbranch_execz .LBB144_3
.LBB144_51:                             ;   in Loop: Header=BB144_4 Depth=1
	v_mul_f64 v[59:60], |v[3:4]|, s[28:29]
	s_mov_b32 s24, s30
	s_delay_alu instid0(VALU_DEP_1) | instskip(NEXT) | instid1(VALU_DEP_1)
	v_rndne_f64_e32 v[67:68], v[59:60]
	v_fma_f64 v[59:60], v[67:68], s[22:23], |v[3:4]|
	v_mul_f64 v[73:74], v[67:68], s[30:31]
	v_cvt_i32_f64_e32 v163, v[67:68]
	s_delay_alu instid0(VALU_DEP_3) | instskip(NEXT) | instid1(VALU_DEP_3)
	v_fma_f64 v[77:78], v[67:68], s[30:31], v[59:60]
	v_add_f64 v[75:76], v[59:60], v[73:74]
	s_delay_alu instid0(VALU_DEP_1) | instskip(NEXT) | instid1(VALU_DEP_3)
	v_add_f64 v[59:60], v[59:60], -v[75:76]
	v_add_f64 v[75:76], v[75:76], -v[77:78]
	s_delay_alu instid0(VALU_DEP_2) | instskip(SKIP_1) | instid1(VALU_DEP_2)
	v_add_f64 v[59:60], v[59:60], v[73:74]
	v_fma_f64 v[73:74], v[67:68], s[24:25], v[73:74]
	v_add_f64 v[59:60], v[75:76], v[59:60]
	s_delay_alu instid0(VALU_DEP_1) | instskip(NEXT) | instid1(VALU_DEP_1)
	v_add_f64 v[59:60], v[59:60], -v[73:74]
	v_fma_f64 v[73:74], v[67:68], s[34:35], v[59:60]
	s_delay_alu instid0(VALU_DEP_1) | instskip(NEXT) | instid1(VALU_DEP_1)
	v_add_f64 v[59:60], v[77:78], v[73:74]
	v_add_f64 v[75:76], v[59:60], -v[77:78]
	s_delay_alu instid0(VALU_DEP_1)
	v_add_f64 v[143:144], v[73:74], -v[75:76]
	s_branch .LBB144_3
.LBB144_52:
	s_delay_alu instid0(VALU_DEP_1) | instskip(NEXT) | instid1(VALU_DEP_1)
	v_readlane_b32 s0, v185, 8
	s_or_b32 exec_lo, exec_lo, s0
	v_readlane_b32 s16, v185, 6
	s_mov_b32 s0, 0
	v_readlane_b32 s17, v185, 7
.LBB144_53:
	s_and_not1_b32 vcc_lo, exec_lo, s0
	s_cbranch_vccnz .LBB144_121
; %bb.54:
	v_readlane_b32 s0, v185, 4
	v_readlane_b32 s1, v185, 5
	s_delay_alu instid0(VALU_DEP_1) | instskip(NEXT) | instid1(VALU_DEP_1)
	v_cmp_lt_i64_e64 s0, s[0:1], 1
	s_and_b32 vcc_lo, exec_lo, s0
	s_cbranch_vccnz .LBB144_121
; %bb.55:
	s_load_b32 s0, s[16:17], 0xc5c
	v_mov_b32_e32 v18, 0
	v_readlane_b32 s4, v185, 4
	v_readlane_b32 s5, v185, 5
	v_lshl_or_b32 v2, v0, 4, 8
	v_readlane_b32 s8, v185, 2
	v_mov_b32_e32 v3, v18
	v_readlane_b32 s6, v185, 0
	v_cmp_gt_u64_e64 s1, 0x10000, s[4:5]
	v_readlane_b32 s9, v185, 3
	v_readlane_b32 s7, v185, 1
	v_mov_b32_e32 v1, v18
	v_add_co_u32 v76, s2, s6, v2
	s_mov_b32 s39, 0
	s_delay_alu instid0(VALU_DEP_3) | instskip(SKIP_1) | instid1(VALU_DEP_1)
	v_add_co_ci_u32_e64 v77, null, s7, 0, s2
	v_add_co_u32 v78, s2, s8, v2
	v_add_co_ci_u32_e64 v79, null, s9, 0, s2
	s_waitcnt lgkmcnt(0)
	s_and_b32 s14, s0, 0xffff
	s_and_b32 s0, s1, exec_lo
	v_add_lshl_u32 v6, v0, s14, 4
	v_mad_u64_u32 v[4:5], null, s14, 48, v[2:3]
	s_cselect_b32 s17, s5, 0
	s_cselect_b32 s16, s4, 0x10000
	s_delay_alu instid0(VALU_DEP_2) | instskip(NEXT) | instid1(VALU_DEP_1)
	v_add_co_u32 v80, s0, s8, v6
	v_add_co_ci_u32_e64 v81, null, s9, 0, s0
	v_add_co_u32 v84, s0, s6, v6
	s_delay_alu instid0(VALU_DEP_1)
	v_add_co_ci_u32_e64 v85, null, s7, 0, s0
	s_lshl_b32 s0, s14, 5
	v_add_co_u32 v82, vcc_lo, s6, v4
	v_add_co_u32 v2, s0, v2, s0
	v_add_co_ci_u32_e32 v83, vcc_lo, s7, v5, vcc_lo
	v_add_co_ci_u32_e64 v3, null, 0, 0, s0
	v_add_co_u32 v86, vcc_lo, s8, v4
	v_add_co_ci_u32_e32 v87, vcc_lo, s9, v5, vcc_lo
	v_add_co_u32 v88, vcc_lo, s6, v2
	s_delay_alu instid0(VALU_DEP_4)
	v_add_co_ci_u32_e32 v89, vcc_lo, s7, v3, vcc_lo
	v_add_co_u32 v90, vcc_lo, s8, v2
	v_add_co_ci_u32_e32 v91, vcc_lo, s9, v3, vcc_lo
	s_lshl_b32 s38, s14, 2
	s_mov_b32 s20, 0x54442d18
	s_mov_b32 s26, 0x6dc9c883
	;; [unrolled: 1-line block ×28, first 2 shown]
	s_lshl_b32 s15, s14, 1
	s_mul_i32 s33, s14, 3
	s_lshl_b32 s104, s14, 6
	s_mov_b32 s19, 0x3ff921fb
	s_mov_b32 s21, 0xbff921fb
	;; [unrolled: 1-line block ×41, first 2 shown]
	s_mov_b64 s[10:11], s[38:39]
	s_branch .LBB144_57
.LBB144_56:                             ;   in Loop: Header=BB144_57 Depth=1
	s_or_b32 exec_lo, exec_lo, s7
	v_add_co_u32 v0, vcc_lo, v0, s38
	v_add_co_ci_u32_e32 v1, vcc_lo, 0, v1, vcc_lo
	v_add_co_u32 v76, vcc_lo, v76, s104
	v_add_co_ci_u32_e32 v77, vcc_lo, 0, v77, vcc_lo
	;; [unrolled: 2-line block ×5, first 2 shown]
	v_readlane_b32 s0, v185, 4
	v_add_co_u32 v84, vcc_lo, v84, s104
	v_readlane_b32 s1, v185, 5
	v_add_co_ci_u32_e32 v85, vcc_lo, 0, v85, vcc_lo
	v_add_co_u32 v86, vcc_lo, v86, s104
	v_add_co_ci_u32_e32 v87, vcc_lo, 0, v87, vcc_lo
	s_delay_alu instid0(VALU_DEP_4)
	v_cmp_ge_i64_e64 s0, s[10:11], s[0:1]
	v_cmp_lt_u64_e64 s1, 0xffff, s[10:11]
	v_add_co_u32 v88, vcc_lo, v88, s104
	v_add_co_ci_u32_e32 v89, vcc_lo, 0, v89, vcc_lo
	v_add_co_u32 v90, vcc_lo, v90, s104
	v_add_co_ci_u32_e32 v91, vcc_lo, 0, v91, vcc_lo
	s_or_b32 s0, s0, s1
	s_add_u32 s10, s10, s38
	s_addc_u32 s11, s11, 0
	s_and_b32 vcc_lo, exec_lo, s0
	s_cbranch_vccnz .LBB144_121
.LBB144_57:                             ; =>This Inner Loop Header: Depth=1
	v_mov_b32_e32 v12, 0
	v_mov_b32_e32 v13, 0
	v_cmp_gt_u64_e64 s2, s[16:17], v[0:1]
	s_delay_alu instid0(VALU_DEP_2) | instskip(SKIP_1) | instid1(VALU_DEP_3)
	v_dual_mov_b32 v17, v13 :: v_dual_mov_b32 v16, v12
	v_dual_mov_b32 v15, v13 :: v_dual_mov_b32 v14, v12
	s_and_saveexec_b32 s0, s2
	s_cbranch_execz .LBB144_59
; %bb.58:                               ;   in Loop: Header=BB144_57 Depth=1
	v_add_co_u32 v2, vcc_lo, v76, s12
	v_add_co_ci_u32_e32 v3, vcc_lo, s13, v77, vcc_lo
	global_load_b128 v[14:17], v[2:3], off offset:-8
.LBB144_59:                             ;   in Loop: Header=BB144_57 Depth=1
	s_or_b32 exec_lo, exec_lo, s0
	v_add_co_u32 v2, vcc_lo, s14, v0
	v_add_co_ci_u32_e32 v3, vcc_lo, 0, v1, vcc_lo
	v_dual_mov_b32 v10, v12 :: v_dual_mov_b32 v11, v13
	s_delay_alu instid0(VALU_DEP_2) | instskip(NEXT) | instid1(VALU_DEP_1)
	v_cmp_gt_u64_e64 s1, s[16:17], v[2:3]
	s_and_saveexec_b32 s0, s1
	s_cbranch_execz .LBB144_61
; %bb.60:                               ;   in Loop: Header=BB144_57 Depth=1
	v_add_co_u32 v2, vcc_lo, v84, s12
	v_add_co_ci_u32_e32 v3, vcc_lo, s13, v85, vcc_lo
	global_load_b128 v[10:13], v[2:3], off
.LBB144_61:                             ;   in Loop: Header=BB144_57 Depth=1
	s_or_b32 exec_lo, exec_lo, s0
	v_add_co_u32 v2, vcc_lo, s15, v0
	v_add_co_ci_u32_e32 v3, vcc_lo, 0, v1, vcc_lo
	v_mov_b32_e32 v4, 0
	v_mov_b32_e32 v5, 0
	s_delay_alu instid0(VALU_DEP_3) | instskip(NEXT) | instid1(VALU_DEP_2)
	v_cmp_gt_u64_e64 s0, s[16:17], v[2:3]
	v_dual_mov_b32 v9, v5 :: v_dual_mov_b32 v8, v4
	v_dual_mov_b32 v7, v5 :: v_dual_mov_b32 v6, v4
	s_delay_alu instid0(VALU_DEP_3)
	s_and_saveexec_b32 s3, s0
	s_cbranch_execz .LBB144_63
; %bb.62:                               ;   in Loop: Header=BB144_57 Depth=1
	v_add_co_u32 v2, vcc_lo, v88, s12
	v_add_co_ci_u32_e32 v3, vcc_lo, s13, v89, vcc_lo
	global_load_b128 v[6:9], v[2:3], off offset:-8
.LBB144_63:                             ;   in Loop: Header=BB144_57 Depth=1
	s_or_b32 exec_lo, exec_lo, s3
	v_add_co_u32 v2, vcc_lo, s33, v0
	v_add_co_ci_u32_e32 v3, vcc_lo, 0, v1, vcc_lo
	s_delay_alu instid0(VALU_DEP_1)
	v_cmp_gt_u64_e32 vcc_lo, s[16:17], v[2:3]
	v_dual_mov_b32 v2, v4 :: v_dual_mov_b32 v3, v5
	s_and_saveexec_b32 s4, vcc_lo
	s_cbranch_execz .LBB144_65
; %bb.64:                               ;   in Loop: Header=BB144_57 Depth=1
	v_add_co_u32 v2, s3, v82, s12
	s_delay_alu instid0(VALU_DEP_1)
	v_add_co_ci_u32_e64 v3, s3, s13, v83, s3
	global_load_b128 v[2:5], v[2:3], off offset:-8
.LBB144_65:                             ;   in Loop: Header=BB144_57 Depth=1
	s_or_b32 exec_lo, exec_lo, s4
	s_waitcnt vmcnt(0)
	v_mul_f64 v[20:21], v[16:17], 0.5
                                        ; implicit-def: $vgpr92
                                        ; implicit-def: $vgpr22_vgpr23
                                        ; implicit-def: $vgpr26_vgpr27
	s_mov_b32 s4, exec_lo
	s_delay_alu instid0(VALU_DEP_1)
	v_cmpx_ngt_f64_e64 0x41d00000, |v[20:21]|
	s_xor_b32 s5, exec_lo, s4
	s_cbranch_execz .LBB144_67
; %bb.66:                               ;   in Loop: Header=BB144_57 Depth=1
	v_ldexp_f64 v[22:23], |v[20:21]|, 0xffffff80
	v_cmp_le_f64_e64 s3, 0x7b000000, |v[20:21]|
	v_trig_preop_f64 v[24:25], |v[20:21]|, 0
	v_and_b32_e32 v19, 0x7fffffff, v21
	v_trig_preop_f64 v[26:27], |v[20:21]|, 1
	v_trig_preop_f64 v[36:37], |v[20:21]|, 2
	s_mov_b32 s18, s20
	s_mov_b32 s25, s23
	v_cndmask_b32_e64 v23, v19, v23, s3
	v_cndmask_b32_e64 v22, v20, v22, s3
	s_delay_alu instid0(VALU_DEP_1) | instskip(SKIP_2) | instid1(VALU_DEP_3)
	v_mul_f64 v[28:29], v[24:25], v[22:23]
	v_mul_f64 v[30:31], v[26:27], v[22:23]
	;; [unrolled: 1-line block ×3, first 2 shown]
	v_fma_f64 v[24:25], v[24:25], v[22:23], -v[28:29]
	s_delay_alu instid0(VALU_DEP_3) | instskip(NEXT) | instid1(VALU_DEP_3)
	v_fma_f64 v[26:27], v[26:27], v[22:23], -v[30:31]
	v_fma_f64 v[22:23], v[36:37], v[22:23], -v[42:43]
	s_delay_alu instid0(VALU_DEP_3) | instskip(NEXT) | instid1(VALU_DEP_1)
	v_add_f64 v[32:33], v[30:31], v[24:25]
	v_add_f64 v[34:35], v[32:33], -v[30:31]
	v_add_f64 v[40:41], v[28:29], v[32:33]
	s_delay_alu instid0(VALU_DEP_2) | instskip(SKIP_1) | instid1(VALU_DEP_3)
	v_add_f64 v[38:39], v[32:33], -v[34:35]
	v_add_f64 v[24:25], v[24:25], -v[34:35]
	v_ldexp_f64 v[34:35], v[40:41], -2
	v_add_f64 v[28:29], v[40:41], -v[28:29]
	s_delay_alu instid0(VALU_DEP_4) | instskip(SKIP_1) | instid1(VALU_DEP_4)
	v_add_f64 v[30:31], v[30:31], -v[38:39]
	v_add_f64 v[38:39], v[42:43], v[26:27]
	v_cmp_neq_f64_e64 s3, 0x7ff00000, |v[34:35]|
	s_delay_alu instid0(VALU_DEP_4) | instskip(NEXT) | instid1(VALU_DEP_4)
	v_add_f64 v[28:29], v[32:33], -v[28:29]
	v_add_f64 v[24:25], v[24:25], v[30:31]
	v_fract_f64_e32 v[30:31], v[34:35]
	s_delay_alu instid0(VALU_DEP_2) | instskip(NEXT) | instid1(VALU_DEP_2)
	v_add_f64 v[32:33], v[38:39], v[24:25]
	v_cndmask_b32_e64 v31, 0, v31, s3
	s_delay_alu instid0(VALU_DEP_3) | instskip(NEXT) | instid1(VALU_DEP_1)
	v_cndmask_b32_e64 v30, 0, v30, s3
	v_ldexp_f64 v[30:31], v[30:31], 2
	s_delay_alu instid0(VALU_DEP_4) | instskip(SKIP_1) | instid1(VALU_DEP_2)
	v_add_f64 v[34:35], v[28:29], v[32:33]
	v_add_f64 v[44:45], v[32:33], -v[38:39]
	v_add_f64 v[40:41], v[34:35], v[30:31]
	s_delay_alu instid0(VALU_DEP_2) | instskip(SKIP_2) | instid1(VALU_DEP_4)
	v_add_f64 v[50:51], v[32:33], -v[44:45]
	v_add_f64 v[24:25], v[24:25], -v[44:45]
	;; [unrolled: 1-line block ×3, first 2 shown]
	v_cmp_gt_f64_e64 s3, 0, v[40:41]
	v_add_f64 v[40:41], v[38:39], -v[42:43]
	s_delay_alu instid0(VALU_DEP_3) | instskip(NEXT) | instid1(VALU_DEP_3)
	v_add_f64 v[28:29], v[32:33], -v[28:29]
	v_cndmask_b32_e64 v19, 0, 0x40100000, s3
	s_delay_alu instid0(VALU_DEP_3) | instskip(SKIP_2) | instid1(VALU_DEP_4)
	v_add_f64 v[48:49], v[38:39], -v[40:41]
	v_add_f64 v[26:27], v[26:27], -v[40:41]
	;; [unrolled: 1-line block ×3, first 2 shown]
	v_add_f64 v[30:31], v[30:31], v[18:19]
	s_delay_alu instid0(VALU_DEP_4) | instskip(NEXT) | instid1(VALU_DEP_3)
	v_add_f64 v[40:41], v[42:43], -v[48:49]
	v_add_f64 v[24:25], v[24:25], v[38:39]
	s_delay_alu instid0(VALU_DEP_3) | instskip(NEXT) | instid1(VALU_DEP_3)
	v_add_f64 v[46:47], v[34:35], v[30:31]
	v_add_f64 v[26:27], v[26:27], v[40:41]
	s_delay_alu instid0(VALU_DEP_2) | instskip(NEXT) | instid1(VALU_DEP_2)
	v_cvt_i32_f64_e32 v19, v[46:47]
	v_add_f64 v[24:25], v[26:27], v[24:25]
	s_delay_alu instid0(VALU_DEP_2) | instskip(NEXT) | instid1(VALU_DEP_2)
	v_cvt_f64_i32_e32 v[44:45], v19
	v_add_f64 v[22:23], v[22:23], v[24:25]
	s_delay_alu instid0(VALU_DEP_2) | instskip(NEXT) | instid1(VALU_DEP_2)
	v_add_f64 v[30:31], v[30:31], -v[44:45]
	v_add_f64 v[22:23], v[28:29], v[22:23]
	s_delay_alu instid0(VALU_DEP_2) | instskip(NEXT) | instid1(VALU_DEP_1)
	v_add_f64 v[26:27], v[34:35], v[30:31]
	v_add_f64 v[24:25], v[26:27], -v[30:31]
	v_cmp_le_f64_e64 s3, 0.5, v[26:27]
	s_delay_alu instid0(VALU_DEP_2) | instskip(NEXT) | instid1(VALU_DEP_2)
	v_add_f64 v[24:25], v[34:35], -v[24:25]
	v_add_co_ci_u32_e64 v92, s4, 0, v19, s3
	v_cndmask_b32_e64 v19, 0, 0x3ff00000, s3
	s_delay_alu instid0(VALU_DEP_3) | instskip(NEXT) | instid1(VALU_DEP_2)
	v_add_f64 v[22:23], v[22:23], v[24:25]
	v_add_f64 v[24:25], v[26:27], -v[18:19]
	s_delay_alu instid0(VALU_DEP_1) | instskip(NEXT) | instid1(VALU_DEP_1)
	v_add_f64 v[26:27], v[24:25], v[22:23]
	v_mul_f64 v[28:29], v[26:27], s[18:19]
	v_add_f64 v[24:25], v[26:27], -v[24:25]
	s_delay_alu instid0(VALU_DEP_2) | instskip(NEXT) | instid1(VALU_DEP_2)
	v_fma_f64 v[30:31], v[26:27], s[18:19], -v[28:29]
	v_add_f64 v[22:23], v[22:23], -v[24:25]
	s_delay_alu instid0(VALU_DEP_2) | instskip(NEXT) | instid1(VALU_DEP_1)
	v_fma_f64 v[24:25], v[26:27], s[24:25], v[30:31]
	v_fma_f64 v[24:25], v[22:23], s[18:19], v[24:25]
	s_delay_alu instid0(VALU_DEP_1) | instskip(NEXT) | instid1(VALU_DEP_1)
	v_add_f64 v[22:23], v[28:29], v[24:25]
	v_add_f64 v[26:27], v[22:23], -v[28:29]
	s_delay_alu instid0(VALU_DEP_1)
	v_add_f64 v[26:27], v[24:25], -v[26:27]
.LBB144_67:                             ;   in Loop: Header=BB144_57 Depth=1
	s_and_not1_saveexec_b32 s3, s5
	s_cbranch_execz .LBB144_69
; %bb.68:                               ;   in Loop: Header=BB144_57 Depth=1
	v_mul_f64 v[22:23], |v[20:21]|, s[26:27]
	s_mov_b32 s22, s28
	s_delay_alu instid0(VALU_DEP_1) | instskip(NEXT) | instid1(VALU_DEP_1)
	v_rndne_f64_e32 v[24:25], v[22:23]
	v_fma_f64 v[22:23], v[24:25], s[20:21], |v[20:21]|
	v_mul_f64 v[26:27], v[24:25], s[28:29]
	v_cvt_i32_f64_e32 v92, v[24:25]
	s_delay_alu instid0(VALU_DEP_3) | instskip(NEXT) | instid1(VALU_DEP_3)
	v_fma_f64 v[30:31], v[24:25], s[28:29], v[22:23]
	v_add_f64 v[28:29], v[22:23], v[26:27]
	s_delay_alu instid0(VALU_DEP_1) | instskip(NEXT) | instid1(VALU_DEP_3)
	v_add_f64 v[22:23], v[22:23], -v[28:29]
	v_add_f64 v[28:29], v[28:29], -v[30:31]
	s_delay_alu instid0(VALU_DEP_2) | instskip(SKIP_1) | instid1(VALU_DEP_2)
	v_add_f64 v[22:23], v[22:23], v[26:27]
	v_fma_f64 v[26:27], v[24:25], s[22:23], v[26:27]
	v_add_f64 v[22:23], v[28:29], v[22:23]
	s_delay_alu instid0(VALU_DEP_1) | instskip(NEXT) | instid1(VALU_DEP_1)
	v_add_f64 v[22:23], v[22:23], -v[26:27]
	v_fma_f64 v[26:27], v[24:25], s[30:31], v[22:23]
	s_delay_alu instid0(VALU_DEP_1) | instskip(NEXT) | instid1(VALU_DEP_1)
	v_add_f64 v[22:23], v[30:31], v[26:27]
	v_add_f64 v[28:29], v[22:23], -v[30:31]
	s_delay_alu instid0(VALU_DEP_1)
	v_add_f64 v[26:27], v[26:27], -v[28:29]
.LBB144_69:                             ;   in Loop: Header=BB144_57 Depth=1
	s_or_b32 exec_lo, exec_lo, s3
	v_cmp_ngt_f64_e64 s5, 0x41d00000, |v[16:17]|
                                        ; implicit-def: $vgpr93
                                        ; implicit-def: $vgpr32_vgpr33
                                        ; implicit-def: $vgpr34_vgpr35
	s_delay_alu instid0(VALU_DEP_1) | instskip(NEXT) | instid1(SALU_CYCLE_1)
	s_and_saveexec_b32 s3, s5
	s_xor_b32 s6, exec_lo, s3
	s_cbranch_execz .LBB144_71
; %bb.70:                               ;   in Loop: Header=BB144_57 Depth=1
	v_ldexp_f64 v[24:25], |v[16:17]|, 0xffffff80
	v_cmp_le_f64_e64 s3, 0x7b000000, |v[16:17]|
	v_trig_preop_f64 v[28:29], |v[16:17]|, 0
	v_and_b32_e32 v19, 0x7fffffff, v17
	v_trig_preop_f64 v[30:31], |v[16:17]|, 1
	v_trig_preop_f64 v[40:41], |v[16:17]|, 2
	s_mov_b32 s18, s20
	s_mov_b32 s25, s23
	v_cndmask_b32_e64 v25, v19, v25, s3
	v_cndmask_b32_e64 v24, v16, v24, s3
	s_delay_alu instid0(VALU_DEP_1) | instskip(SKIP_2) | instid1(VALU_DEP_3)
	v_mul_f64 v[32:33], v[28:29], v[24:25]
	v_mul_f64 v[34:35], v[30:31], v[24:25]
	;; [unrolled: 1-line block ×3, first 2 shown]
	v_fma_f64 v[28:29], v[28:29], v[24:25], -v[32:33]
	s_delay_alu instid0(VALU_DEP_3) | instskip(NEXT) | instid1(VALU_DEP_3)
	v_fma_f64 v[30:31], v[30:31], v[24:25], -v[34:35]
	v_fma_f64 v[24:25], v[40:41], v[24:25], -v[46:47]
	s_delay_alu instid0(VALU_DEP_3) | instskip(NEXT) | instid1(VALU_DEP_1)
	v_add_f64 v[36:37], v[34:35], v[28:29]
	v_add_f64 v[38:39], v[36:37], -v[34:35]
	v_add_f64 v[44:45], v[32:33], v[36:37]
	s_delay_alu instid0(VALU_DEP_2) | instskip(SKIP_1) | instid1(VALU_DEP_3)
	v_add_f64 v[42:43], v[36:37], -v[38:39]
	v_add_f64 v[28:29], v[28:29], -v[38:39]
	v_ldexp_f64 v[38:39], v[44:45], -2
	v_add_f64 v[32:33], v[44:45], -v[32:33]
	s_delay_alu instid0(VALU_DEP_4) | instskip(SKIP_1) | instid1(VALU_DEP_4)
	v_add_f64 v[34:35], v[34:35], -v[42:43]
	v_add_f64 v[42:43], v[46:47], v[30:31]
	v_cmp_neq_f64_e64 s3, 0x7ff00000, |v[38:39]|
	s_delay_alu instid0(VALU_DEP_4) | instskip(NEXT) | instid1(VALU_DEP_4)
	v_add_f64 v[32:33], v[36:37], -v[32:33]
	v_add_f64 v[28:29], v[28:29], v[34:35]
	v_fract_f64_e32 v[34:35], v[38:39]
	s_delay_alu instid0(VALU_DEP_2) | instskip(NEXT) | instid1(VALU_DEP_2)
	v_add_f64 v[36:37], v[42:43], v[28:29]
	v_cndmask_b32_e64 v35, 0, v35, s3
	s_delay_alu instid0(VALU_DEP_3) | instskip(NEXT) | instid1(VALU_DEP_1)
	v_cndmask_b32_e64 v34, 0, v34, s3
	v_ldexp_f64 v[34:35], v[34:35], 2
	s_delay_alu instid0(VALU_DEP_4) | instskip(SKIP_1) | instid1(VALU_DEP_2)
	v_add_f64 v[38:39], v[32:33], v[36:37]
	v_add_f64 v[48:49], v[36:37], -v[42:43]
	v_add_f64 v[44:45], v[38:39], v[34:35]
	s_delay_alu instid0(VALU_DEP_2) | instskip(SKIP_2) | instid1(VALU_DEP_4)
	v_add_f64 v[54:55], v[36:37], -v[48:49]
	v_add_f64 v[28:29], v[28:29], -v[48:49]
	;; [unrolled: 1-line block ×3, first 2 shown]
	v_cmp_gt_f64_e64 s3, 0, v[44:45]
	v_add_f64 v[44:45], v[42:43], -v[46:47]
	s_delay_alu instid0(VALU_DEP_3) | instskip(NEXT) | instid1(VALU_DEP_3)
	v_add_f64 v[32:33], v[36:37], -v[32:33]
	v_cndmask_b32_e64 v19, 0, 0x40100000, s3
	s_delay_alu instid0(VALU_DEP_3) | instskip(SKIP_2) | instid1(VALU_DEP_4)
	v_add_f64 v[52:53], v[42:43], -v[44:45]
	v_add_f64 v[30:31], v[30:31], -v[44:45]
	;; [unrolled: 1-line block ×3, first 2 shown]
	v_add_f64 v[34:35], v[34:35], v[18:19]
	s_delay_alu instid0(VALU_DEP_4) | instskip(NEXT) | instid1(VALU_DEP_3)
	v_add_f64 v[44:45], v[46:47], -v[52:53]
	v_add_f64 v[28:29], v[28:29], v[42:43]
	s_delay_alu instid0(VALU_DEP_3) | instskip(NEXT) | instid1(VALU_DEP_3)
	v_add_f64 v[50:51], v[38:39], v[34:35]
	v_add_f64 v[30:31], v[30:31], v[44:45]
	s_delay_alu instid0(VALU_DEP_2) | instskip(NEXT) | instid1(VALU_DEP_2)
	v_cvt_i32_f64_e32 v19, v[50:51]
	v_add_f64 v[28:29], v[30:31], v[28:29]
	s_delay_alu instid0(VALU_DEP_2) | instskip(NEXT) | instid1(VALU_DEP_2)
	v_cvt_f64_i32_e32 v[48:49], v19
	v_add_f64 v[24:25], v[24:25], v[28:29]
	s_delay_alu instid0(VALU_DEP_2) | instskip(NEXT) | instid1(VALU_DEP_2)
	v_add_f64 v[34:35], v[34:35], -v[48:49]
	v_add_f64 v[24:25], v[32:33], v[24:25]
	s_delay_alu instid0(VALU_DEP_2) | instskip(NEXT) | instid1(VALU_DEP_1)
	v_add_f64 v[30:31], v[38:39], v[34:35]
	v_add_f64 v[28:29], v[30:31], -v[34:35]
	v_cmp_le_f64_e64 s3, 0.5, v[30:31]
	s_delay_alu instid0(VALU_DEP_2) | instskip(NEXT) | instid1(VALU_DEP_2)
	v_add_f64 v[28:29], v[38:39], -v[28:29]
	v_add_co_ci_u32_e64 v93, s4, 0, v19, s3
	v_cndmask_b32_e64 v19, 0, 0x3ff00000, s3
	s_delay_alu instid0(VALU_DEP_3) | instskip(NEXT) | instid1(VALU_DEP_2)
	v_add_f64 v[24:25], v[24:25], v[28:29]
	v_add_f64 v[28:29], v[30:31], -v[18:19]
	s_delay_alu instid0(VALU_DEP_1) | instskip(NEXT) | instid1(VALU_DEP_1)
	v_add_f64 v[30:31], v[28:29], v[24:25]
	v_mul_f64 v[34:35], v[30:31], s[18:19]
	v_add_f64 v[28:29], v[30:31], -v[28:29]
	s_delay_alu instid0(VALU_DEP_2) | instskip(NEXT) | instid1(VALU_DEP_2)
	v_fma_f64 v[32:33], v[30:31], s[18:19], -v[34:35]
	v_add_f64 v[24:25], v[24:25], -v[28:29]
	s_delay_alu instid0(VALU_DEP_2) | instskip(NEXT) | instid1(VALU_DEP_1)
	v_fma_f64 v[28:29], v[30:31], s[24:25], v[32:33]
	v_fma_f64 v[24:25], v[24:25], s[18:19], v[28:29]
	s_delay_alu instid0(VALU_DEP_1) | instskip(NEXT) | instid1(VALU_DEP_1)
	v_add_f64 v[32:33], v[34:35], v[24:25]
	v_add_f64 v[28:29], v[32:33], -v[34:35]
	s_delay_alu instid0(VALU_DEP_1)
	v_add_f64 v[34:35], v[24:25], -v[28:29]
	s_and_not1_saveexec_b32 s3, s6
	s_cbranch_execz .LBB144_73
	s_branch .LBB144_72
.LBB144_71:                             ;   in Loop: Header=BB144_57 Depth=1
	s_and_not1_saveexec_b32 s3, s6
	s_cbranch_execz .LBB144_73
.LBB144_72:                             ;   in Loop: Header=BB144_57 Depth=1
	v_mul_f64 v[24:25], |v[16:17]|, s[26:27]
	s_mov_b32 s22, s28
	s_delay_alu instid0(VALU_DEP_1) | instskip(NEXT) | instid1(VALU_DEP_1)
	v_rndne_f64_e32 v[24:25], v[24:25]
	v_fma_f64 v[28:29], v[24:25], s[20:21], |v[16:17]|
	v_mul_f64 v[30:31], v[24:25], s[28:29]
	v_cvt_i32_f64_e32 v93, v[24:25]
	s_delay_alu instid0(VALU_DEP_3) | instskip(NEXT) | instid1(VALU_DEP_3)
	v_fma_f64 v[34:35], v[24:25], s[28:29], v[28:29]
	v_add_f64 v[32:33], v[28:29], v[30:31]
	s_delay_alu instid0(VALU_DEP_1) | instskip(NEXT) | instid1(VALU_DEP_3)
	v_add_f64 v[28:29], v[28:29], -v[32:33]
	v_add_f64 v[32:33], v[32:33], -v[34:35]
	s_delay_alu instid0(VALU_DEP_2) | instskip(SKIP_1) | instid1(VALU_DEP_2)
	v_add_f64 v[28:29], v[28:29], v[30:31]
	v_fma_f64 v[30:31], v[24:25], s[22:23], v[30:31]
	v_add_f64 v[28:29], v[32:33], v[28:29]
	s_delay_alu instid0(VALU_DEP_1) | instskip(NEXT) | instid1(VALU_DEP_1)
	v_add_f64 v[28:29], v[28:29], -v[30:31]
	v_fma_f64 v[28:29], v[24:25], s[30:31], v[28:29]
	s_delay_alu instid0(VALU_DEP_1) | instskip(NEXT) | instid1(VALU_DEP_1)
	v_add_f64 v[32:33], v[34:35], v[28:29]
	v_add_f64 v[30:31], v[32:33], -v[34:35]
	s_delay_alu instid0(VALU_DEP_1)
	v_add_f64 v[34:35], v[28:29], -v[30:31]
.LBB144_73:                             ;   in Loop: Header=BB144_57 Depth=1
	s_or_b32 exec_lo, exec_lo, s3
                                        ; implicit-def: $vgpr97
                                        ; implicit-def: $vgpr44_vgpr45
                                        ; implicit-def: $vgpr50_vgpr51
	s_and_saveexec_b32 s3, s5
	s_delay_alu instid0(SALU_CYCLE_1)
	s_xor_b32 s5, exec_lo, s3
	s_cbranch_execz .LBB144_75
; %bb.74:                               ;   in Loop: Header=BB144_57 Depth=1
	v_ldexp_f64 v[24:25], |v[16:17]|, 0xffffff80
	v_cmp_le_f64_e64 s3, 0x7b000000, |v[16:17]|
	v_trig_preop_f64 v[28:29], |v[16:17]|, 0
	v_and_b32_e32 v19, 0x7fffffff, v17
	v_trig_preop_f64 v[30:31], |v[16:17]|, 1
	v_trig_preop_f64 v[44:45], |v[16:17]|, 2
	s_mov_b32 s18, s20
	s_mov_b32 s25, s23
	v_cndmask_b32_e64 v25, v19, v25, s3
	v_cndmask_b32_e64 v24, v16, v24, s3
	s_delay_alu instid0(VALU_DEP_1) | instskip(SKIP_2) | instid1(VALU_DEP_3)
	v_mul_f64 v[36:37], v[28:29], v[24:25]
	v_mul_f64 v[38:39], v[30:31], v[24:25]
	;; [unrolled: 1-line block ×3, first 2 shown]
	v_fma_f64 v[28:29], v[28:29], v[24:25], -v[36:37]
	s_delay_alu instid0(VALU_DEP_3) | instskip(NEXT) | instid1(VALU_DEP_3)
	v_fma_f64 v[30:31], v[30:31], v[24:25], -v[38:39]
	v_fma_f64 v[24:25], v[44:45], v[24:25], -v[50:51]
	s_delay_alu instid0(VALU_DEP_3) | instskip(NEXT) | instid1(VALU_DEP_1)
	v_add_f64 v[40:41], v[38:39], v[28:29]
	v_add_f64 v[42:43], v[40:41], -v[38:39]
	v_add_f64 v[48:49], v[36:37], v[40:41]
	s_delay_alu instid0(VALU_DEP_2) | instskip(SKIP_1) | instid1(VALU_DEP_3)
	v_add_f64 v[46:47], v[40:41], -v[42:43]
	v_add_f64 v[28:29], v[28:29], -v[42:43]
	v_ldexp_f64 v[42:43], v[48:49], -2
	v_add_f64 v[36:37], v[48:49], -v[36:37]
	s_delay_alu instid0(VALU_DEP_4) | instskip(SKIP_1) | instid1(VALU_DEP_4)
	v_add_f64 v[38:39], v[38:39], -v[46:47]
	v_add_f64 v[46:47], v[50:51], v[30:31]
	v_cmp_neq_f64_e64 s3, 0x7ff00000, |v[42:43]|
	s_delay_alu instid0(VALU_DEP_4) | instskip(NEXT) | instid1(VALU_DEP_4)
	v_add_f64 v[36:37], v[40:41], -v[36:37]
	v_add_f64 v[28:29], v[28:29], v[38:39]
	v_fract_f64_e32 v[38:39], v[42:43]
	s_delay_alu instid0(VALU_DEP_2) | instskip(NEXT) | instid1(VALU_DEP_2)
	v_add_f64 v[40:41], v[46:47], v[28:29]
	v_cndmask_b32_e64 v39, 0, v39, s3
	s_delay_alu instid0(VALU_DEP_3) | instskip(NEXT) | instid1(VALU_DEP_1)
	v_cndmask_b32_e64 v38, 0, v38, s3
	v_ldexp_f64 v[38:39], v[38:39], 2
	s_delay_alu instid0(VALU_DEP_4) | instskip(SKIP_1) | instid1(VALU_DEP_2)
	v_add_f64 v[42:43], v[36:37], v[40:41]
	v_add_f64 v[52:53], v[40:41], -v[46:47]
	v_add_f64 v[48:49], v[42:43], v[38:39]
	s_delay_alu instid0(VALU_DEP_2) | instskip(SKIP_2) | instid1(VALU_DEP_4)
	v_add_f64 v[58:59], v[40:41], -v[52:53]
	v_add_f64 v[28:29], v[28:29], -v[52:53]
	;; [unrolled: 1-line block ×3, first 2 shown]
	v_cmp_gt_f64_e64 s3, 0, v[48:49]
	v_add_f64 v[48:49], v[46:47], -v[50:51]
	s_delay_alu instid0(VALU_DEP_3) | instskip(NEXT) | instid1(VALU_DEP_3)
	v_add_f64 v[36:37], v[40:41], -v[36:37]
	v_cndmask_b32_e64 v19, 0, 0x40100000, s3
	s_delay_alu instid0(VALU_DEP_3) | instskip(SKIP_2) | instid1(VALU_DEP_4)
	v_add_f64 v[56:57], v[46:47], -v[48:49]
	v_add_f64 v[30:31], v[30:31], -v[48:49]
	;; [unrolled: 1-line block ×3, first 2 shown]
	v_add_f64 v[38:39], v[38:39], v[18:19]
	s_delay_alu instid0(VALU_DEP_4) | instskip(NEXT) | instid1(VALU_DEP_3)
	v_add_f64 v[48:49], v[50:51], -v[56:57]
	v_add_f64 v[28:29], v[28:29], v[46:47]
	s_delay_alu instid0(VALU_DEP_3) | instskip(NEXT) | instid1(VALU_DEP_3)
	v_add_f64 v[54:55], v[42:43], v[38:39]
	v_add_f64 v[30:31], v[30:31], v[48:49]
	s_delay_alu instid0(VALU_DEP_2) | instskip(NEXT) | instid1(VALU_DEP_2)
	v_cvt_i32_f64_e32 v19, v[54:55]
	v_add_f64 v[28:29], v[30:31], v[28:29]
	s_delay_alu instid0(VALU_DEP_2) | instskip(NEXT) | instid1(VALU_DEP_2)
	v_cvt_f64_i32_e32 v[52:53], v19
	v_add_f64 v[24:25], v[24:25], v[28:29]
	s_delay_alu instid0(VALU_DEP_2) | instskip(NEXT) | instid1(VALU_DEP_2)
	v_add_f64 v[38:39], v[38:39], -v[52:53]
	v_add_f64 v[24:25], v[36:37], v[24:25]
	s_delay_alu instid0(VALU_DEP_2) | instskip(NEXT) | instid1(VALU_DEP_1)
	v_add_f64 v[30:31], v[42:43], v[38:39]
	v_add_f64 v[28:29], v[30:31], -v[38:39]
	v_cmp_le_f64_e64 s3, 0.5, v[30:31]
	s_delay_alu instid0(VALU_DEP_2) | instskip(NEXT) | instid1(VALU_DEP_2)
	v_add_f64 v[28:29], v[42:43], -v[28:29]
	v_add_co_ci_u32_e64 v97, s4, 0, v19, s3
	v_cndmask_b32_e64 v19, 0, 0x3ff00000, s3
	s_delay_alu instid0(VALU_DEP_3) | instskip(NEXT) | instid1(VALU_DEP_2)
	v_add_f64 v[24:25], v[24:25], v[28:29]
	v_add_f64 v[28:29], v[30:31], -v[18:19]
	s_delay_alu instid0(VALU_DEP_1) | instskip(NEXT) | instid1(VALU_DEP_1)
	v_add_f64 v[30:31], v[28:29], v[24:25]
	v_mul_f64 v[36:37], v[30:31], s[18:19]
	v_add_f64 v[28:29], v[30:31], -v[28:29]
	s_delay_alu instid0(VALU_DEP_2) | instskip(NEXT) | instid1(VALU_DEP_2)
	v_fma_f64 v[38:39], v[30:31], s[18:19], -v[36:37]
	v_add_f64 v[24:25], v[24:25], -v[28:29]
	s_delay_alu instid0(VALU_DEP_2) | instskip(NEXT) | instid1(VALU_DEP_1)
	v_fma_f64 v[28:29], v[30:31], s[24:25], v[38:39]
	v_fma_f64 v[24:25], v[24:25], s[18:19], v[28:29]
	s_delay_alu instid0(VALU_DEP_1) | instskip(NEXT) | instid1(VALU_DEP_1)
	v_add_f64 v[44:45], v[36:37], v[24:25]
	v_add_f64 v[28:29], v[44:45], -v[36:37]
	s_delay_alu instid0(VALU_DEP_1)
	v_add_f64 v[50:51], v[24:25], -v[28:29]
	s_and_not1_saveexec_b32 s3, s5
	s_cbranch_execnz .LBB144_76
	s_branch .LBB144_77
.LBB144_75:                             ;   in Loop: Header=BB144_57 Depth=1
	s_and_not1_saveexec_b32 s3, s5
	s_cbranch_execz .LBB144_77
.LBB144_76:                             ;   in Loop: Header=BB144_57 Depth=1
	v_mul_f64 v[24:25], |v[16:17]|, s[26:27]
	s_mov_b32 s22, s28
	s_delay_alu instid0(VALU_DEP_1) | instskip(NEXT) | instid1(VALU_DEP_1)
	v_rndne_f64_e32 v[24:25], v[24:25]
	v_fma_f64 v[28:29], v[24:25], s[20:21], |v[16:17]|
	v_mul_f64 v[30:31], v[24:25], s[28:29]
	v_cvt_i32_f64_e32 v97, v[24:25]
	s_delay_alu instid0(VALU_DEP_3) | instskip(NEXT) | instid1(VALU_DEP_3)
	v_fma_f64 v[38:39], v[24:25], s[28:29], v[28:29]
	v_add_f64 v[36:37], v[28:29], v[30:31]
	s_delay_alu instid0(VALU_DEP_1) | instskip(NEXT) | instid1(VALU_DEP_3)
	v_add_f64 v[28:29], v[28:29], -v[36:37]
	v_add_f64 v[36:37], v[36:37], -v[38:39]
	s_delay_alu instid0(VALU_DEP_2) | instskip(SKIP_1) | instid1(VALU_DEP_2)
	v_add_f64 v[28:29], v[28:29], v[30:31]
	v_fma_f64 v[30:31], v[24:25], s[22:23], v[30:31]
	v_add_f64 v[28:29], v[36:37], v[28:29]
	s_delay_alu instid0(VALU_DEP_1) | instskip(NEXT) | instid1(VALU_DEP_1)
	v_add_f64 v[28:29], v[28:29], -v[30:31]
	v_fma_f64 v[28:29], v[24:25], s[30:31], v[28:29]
	s_delay_alu instid0(VALU_DEP_1) | instskip(NEXT) | instid1(VALU_DEP_1)
	v_add_f64 v[44:45], v[38:39], v[28:29]
	v_add_f64 v[30:31], v[44:45], -v[38:39]
	s_delay_alu instid0(VALU_DEP_1)
	v_add_f64 v[50:51], v[28:29], -v[30:31]
.LBB144_77:                             ;   in Loop: Header=BB144_57 Depth=1
	s_or_b32 exec_lo, exec_lo, s3
	v_mul_f64 v[24:25], v[12:13], 0.5
                                        ; implicit-def: $vgpr94
                                        ; implicit-def: $vgpr30_vgpr31
                                        ; implicit-def: $vgpr36_vgpr37
	s_mov_b32 s4, exec_lo
	s_delay_alu instid0(VALU_DEP_1)
	v_cmpx_ngt_f64_e64 0x41d00000, |v[24:25]|
	s_xor_b32 s5, exec_lo, s4
	s_cbranch_execz .LBB144_79
; %bb.78:                               ;   in Loop: Header=BB144_57 Depth=1
	v_ldexp_f64 v[28:29], |v[24:25]|, 0xffffff80
	v_cmp_le_f64_e64 s3, 0x7b000000, |v[24:25]|
	v_trig_preop_f64 v[30:31], |v[24:25]|, 0
	v_and_b32_e32 v19, 0x7fffffff, v25
	v_trig_preop_f64 v[36:37], |v[24:25]|, 1
	v_trig_preop_f64 v[48:49], |v[24:25]|, 2
	s_mov_b32 s18, s20
	s_mov_b32 s25, s23
	v_cndmask_b32_e64 v29, v19, v29, s3
	v_cndmask_b32_e64 v28, v24, v28, s3
	s_delay_alu instid0(VALU_DEP_1) | instskip(SKIP_2) | instid1(VALU_DEP_3)
	v_mul_f64 v[38:39], v[30:31], v[28:29]
	v_mul_f64 v[40:41], v[36:37], v[28:29]
	;; [unrolled: 1-line block ×3, first 2 shown]
	v_fma_f64 v[30:31], v[30:31], v[28:29], -v[38:39]
	s_delay_alu instid0(VALU_DEP_3) | instskip(NEXT) | instid1(VALU_DEP_3)
	v_fma_f64 v[36:37], v[36:37], v[28:29], -v[40:41]
	v_fma_f64 v[28:29], v[48:49], v[28:29], -v[56:57]
	s_delay_alu instid0(VALU_DEP_3) | instskip(NEXT) | instid1(VALU_DEP_1)
	v_add_f64 v[42:43], v[40:41], v[30:31]
	v_add_f64 v[46:47], v[42:43], -v[40:41]
	v_add_f64 v[54:55], v[38:39], v[42:43]
	s_delay_alu instid0(VALU_DEP_2) | instskip(SKIP_1) | instid1(VALU_DEP_3)
	v_add_f64 v[52:53], v[42:43], -v[46:47]
	v_add_f64 v[30:31], v[30:31], -v[46:47]
	v_ldexp_f64 v[46:47], v[54:55], -2
	v_add_f64 v[38:39], v[54:55], -v[38:39]
	s_delay_alu instid0(VALU_DEP_4) | instskip(SKIP_1) | instid1(VALU_DEP_4)
	v_add_f64 v[40:41], v[40:41], -v[52:53]
	v_add_f64 v[52:53], v[56:57], v[36:37]
	v_cmp_neq_f64_e64 s3, 0x7ff00000, |v[46:47]|
	s_delay_alu instid0(VALU_DEP_4) | instskip(NEXT) | instid1(VALU_DEP_4)
	v_add_f64 v[38:39], v[42:43], -v[38:39]
	v_add_f64 v[30:31], v[30:31], v[40:41]
	v_fract_f64_e32 v[40:41], v[46:47]
	s_delay_alu instid0(VALU_DEP_2) | instskip(NEXT) | instid1(VALU_DEP_2)
	v_add_f64 v[42:43], v[52:53], v[30:31]
	v_cndmask_b32_e64 v41, 0, v41, s3
	s_delay_alu instid0(VALU_DEP_3) | instskip(NEXT) | instid1(VALU_DEP_1)
	v_cndmask_b32_e64 v40, 0, v40, s3
	v_ldexp_f64 v[40:41], v[40:41], 2
	s_delay_alu instid0(VALU_DEP_4) | instskip(SKIP_1) | instid1(VALU_DEP_2)
	v_add_f64 v[46:47], v[38:39], v[42:43]
	v_add_f64 v[58:59], v[42:43], -v[52:53]
	v_add_f64 v[54:55], v[46:47], v[40:41]
	s_delay_alu instid0(VALU_DEP_2) | instskip(SKIP_2) | instid1(VALU_DEP_4)
	v_add_f64 v[64:65], v[42:43], -v[58:59]
	v_add_f64 v[30:31], v[30:31], -v[58:59]
	;; [unrolled: 1-line block ×3, first 2 shown]
	v_cmp_gt_f64_e64 s3, 0, v[54:55]
	v_add_f64 v[54:55], v[52:53], -v[56:57]
	s_delay_alu instid0(VALU_DEP_3) | instskip(NEXT) | instid1(VALU_DEP_3)
	v_add_f64 v[38:39], v[42:43], -v[38:39]
	v_cndmask_b32_e64 v19, 0, 0x40100000, s3
	s_delay_alu instid0(VALU_DEP_3) | instskip(SKIP_2) | instid1(VALU_DEP_4)
	v_add_f64 v[62:63], v[52:53], -v[54:55]
	v_add_f64 v[36:37], v[36:37], -v[54:55]
	;; [unrolled: 1-line block ×3, first 2 shown]
	v_add_f64 v[40:41], v[40:41], v[18:19]
	s_delay_alu instid0(VALU_DEP_4) | instskip(NEXT) | instid1(VALU_DEP_3)
	v_add_f64 v[54:55], v[56:57], -v[62:63]
	v_add_f64 v[30:31], v[30:31], v[52:53]
	s_delay_alu instid0(VALU_DEP_3) | instskip(NEXT) | instid1(VALU_DEP_3)
	v_add_f64 v[60:61], v[46:47], v[40:41]
	v_add_f64 v[36:37], v[36:37], v[54:55]
	s_delay_alu instid0(VALU_DEP_2) | instskip(NEXT) | instid1(VALU_DEP_2)
	v_cvt_i32_f64_e32 v19, v[60:61]
	v_add_f64 v[30:31], v[36:37], v[30:31]
	s_delay_alu instid0(VALU_DEP_2) | instskip(NEXT) | instid1(VALU_DEP_2)
	v_cvt_f64_i32_e32 v[58:59], v19
	v_add_f64 v[28:29], v[28:29], v[30:31]
	s_delay_alu instid0(VALU_DEP_2) | instskip(NEXT) | instid1(VALU_DEP_2)
	v_add_f64 v[40:41], v[40:41], -v[58:59]
	v_add_f64 v[28:29], v[38:39], v[28:29]
	s_delay_alu instid0(VALU_DEP_2) | instskip(NEXT) | instid1(VALU_DEP_1)
	v_add_f64 v[36:37], v[46:47], v[40:41]
	v_add_f64 v[30:31], v[36:37], -v[40:41]
	v_cmp_le_f64_e64 s3, 0.5, v[36:37]
	s_delay_alu instid0(VALU_DEP_2) | instskip(NEXT) | instid1(VALU_DEP_2)
	v_add_f64 v[30:31], v[46:47], -v[30:31]
	v_add_co_ci_u32_e64 v94, s4, 0, v19, s3
	v_cndmask_b32_e64 v19, 0, 0x3ff00000, s3
	s_delay_alu instid0(VALU_DEP_3) | instskip(NEXT) | instid1(VALU_DEP_2)
	v_add_f64 v[28:29], v[28:29], v[30:31]
	v_add_f64 v[30:31], v[36:37], -v[18:19]
	s_delay_alu instid0(VALU_DEP_1) | instskip(NEXT) | instid1(VALU_DEP_1)
	v_add_f64 v[36:37], v[30:31], v[28:29]
	v_mul_f64 v[38:39], v[36:37], s[18:19]
	v_add_f64 v[30:31], v[36:37], -v[30:31]
	s_delay_alu instid0(VALU_DEP_2) | instskip(NEXT) | instid1(VALU_DEP_2)
	v_fma_f64 v[40:41], v[36:37], s[18:19], -v[38:39]
	v_add_f64 v[28:29], v[28:29], -v[30:31]
	s_delay_alu instid0(VALU_DEP_2) | instskip(NEXT) | instid1(VALU_DEP_1)
	v_fma_f64 v[30:31], v[36:37], s[24:25], v[40:41]
	v_fma_f64 v[28:29], v[28:29], s[18:19], v[30:31]
	s_delay_alu instid0(VALU_DEP_1) | instskip(NEXT) | instid1(VALU_DEP_1)
	v_add_f64 v[30:31], v[38:39], v[28:29]
	v_add_f64 v[36:37], v[30:31], -v[38:39]
	s_delay_alu instid0(VALU_DEP_1)
	v_add_f64 v[36:37], v[28:29], -v[36:37]
.LBB144_79:                             ;   in Loop: Header=BB144_57 Depth=1
	s_and_not1_saveexec_b32 s3, s5
	s_cbranch_execz .LBB144_81
; %bb.80:                               ;   in Loop: Header=BB144_57 Depth=1
	v_mul_f64 v[28:29], |v[24:25]|, s[26:27]
	s_mov_b32 s22, s28
	s_delay_alu instid0(VALU_DEP_1) | instskip(NEXT) | instid1(VALU_DEP_1)
	v_rndne_f64_e32 v[28:29], v[28:29]
	v_fma_f64 v[30:31], v[28:29], s[20:21], |v[24:25]|
	v_mul_f64 v[36:37], v[28:29], s[28:29]
	v_cvt_i32_f64_e32 v94, v[28:29]
	s_delay_alu instid0(VALU_DEP_3) | instskip(NEXT) | instid1(VALU_DEP_3)
	v_fma_f64 v[40:41], v[28:29], s[28:29], v[30:31]
	v_add_f64 v[38:39], v[30:31], v[36:37]
	s_delay_alu instid0(VALU_DEP_1) | instskip(NEXT) | instid1(VALU_DEP_3)
	v_add_f64 v[30:31], v[30:31], -v[38:39]
	v_add_f64 v[38:39], v[38:39], -v[40:41]
	s_delay_alu instid0(VALU_DEP_2) | instskip(SKIP_1) | instid1(VALU_DEP_2)
	v_add_f64 v[30:31], v[30:31], v[36:37]
	v_fma_f64 v[36:37], v[28:29], s[22:23], v[36:37]
	v_add_f64 v[30:31], v[38:39], v[30:31]
	s_delay_alu instid0(VALU_DEP_1) | instskip(NEXT) | instid1(VALU_DEP_1)
	v_add_f64 v[30:31], v[30:31], -v[36:37]
	v_fma_f64 v[36:37], v[28:29], s[30:31], v[30:31]
	s_delay_alu instid0(VALU_DEP_1) | instskip(NEXT) | instid1(VALU_DEP_1)
	v_add_f64 v[30:31], v[40:41], v[36:37]
	v_add_f64 v[38:39], v[30:31], -v[40:41]
	s_delay_alu instid0(VALU_DEP_1)
	v_add_f64 v[36:37], v[36:37], -v[38:39]
.LBB144_81:                             ;   in Loop: Header=BB144_57 Depth=1
	s_or_b32 exec_lo, exec_lo, s3
	v_cmp_ngt_f64_e64 s5, 0x41d00000, |v[12:13]|
                                        ; implicit-def: $vgpr95
                                        ; implicit-def: $vgpr42_vgpr43
                                        ; implicit-def: $vgpr46_vgpr47
	s_delay_alu instid0(VALU_DEP_1) | instskip(NEXT) | instid1(SALU_CYCLE_1)
	s_and_saveexec_b32 s3, s5
	s_xor_b32 s6, exec_lo, s3
	s_cbranch_execz .LBB144_83
; %bb.82:                               ;   in Loop: Header=BB144_57 Depth=1
	v_ldexp_f64 v[28:29], |v[12:13]|, 0xffffff80
	v_cmp_le_f64_e64 s3, 0x7b000000, |v[12:13]|
	v_trig_preop_f64 v[38:39], |v[12:13]|, 0
	v_and_b32_e32 v19, 0x7fffffff, v13
	v_trig_preop_f64 v[40:41], |v[12:13]|, 1
	v_trig_preop_f64 v[54:55], |v[12:13]|, 2
	s_mov_b32 s18, s20
	s_mov_b32 s25, s23
	v_cndmask_b32_e64 v29, v19, v29, s3
	v_cndmask_b32_e64 v28, v12, v28, s3
	s_delay_alu instid0(VALU_DEP_1) | instskip(SKIP_2) | instid1(VALU_DEP_3)
	v_mul_f64 v[42:43], v[38:39], v[28:29]
	v_mul_f64 v[46:47], v[40:41], v[28:29]
	v_mul_f64 v[60:61], v[54:55], v[28:29]
	v_fma_f64 v[38:39], v[38:39], v[28:29], -v[42:43]
	s_delay_alu instid0(VALU_DEP_3) | instskip(NEXT) | instid1(VALU_DEP_3)
	v_fma_f64 v[40:41], v[40:41], v[28:29], -v[46:47]
	v_fma_f64 v[28:29], v[54:55], v[28:29], -v[60:61]
	s_delay_alu instid0(VALU_DEP_3) | instskip(NEXT) | instid1(VALU_DEP_1)
	v_add_f64 v[48:49], v[46:47], v[38:39]
	v_add_f64 v[52:53], v[48:49], -v[46:47]
	v_add_f64 v[58:59], v[42:43], v[48:49]
	s_delay_alu instid0(VALU_DEP_2) | instskip(SKIP_1) | instid1(VALU_DEP_3)
	v_add_f64 v[56:57], v[48:49], -v[52:53]
	v_add_f64 v[38:39], v[38:39], -v[52:53]
	v_ldexp_f64 v[52:53], v[58:59], -2
	v_add_f64 v[42:43], v[58:59], -v[42:43]
	s_delay_alu instid0(VALU_DEP_4) | instskip(SKIP_1) | instid1(VALU_DEP_4)
	v_add_f64 v[46:47], v[46:47], -v[56:57]
	v_add_f64 v[56:57], v[60:61], v[40:41]
	v_cmp_neq_f64_e64 s3, 0x7ff00000, |v[52:53]|
	s_delay_alu instid0(VALU_DEP_4) | instskip(NEXT) | instid1(VALU_DEP_4)
	v_add_f64 v[42:43], v[48:49], -v[42:43]
	v_add_f64 v[38:39], v[38:39], v[46:47]
	v_fract_f64_e32 v[46:47], v[52:53]
	s_delay_alu instid0(VALU_DEP_2) | instskip(NEXT) | instid1(VALU_DEP_2)
	v_add_f64 v[48:49], v[56:57], v[38:39]
	v_cndmask_b32_e64 v47, 0, v47, s3
	s_delay_alu instid0(VALU_DEP_3) | instskip(NEXT) | instid1(VALU_DEP_1)
	v_cndmask_b32_e64 v46, 0, v46, s3
	v_ldexp_f64 v[46:47], v[46:47], 2
	s_delay_alu instid0(VALU_DEP_4) | instskip(SKIP_1) | instid1(VALU_DEP_2)
	v_add_f64 v[52:53], v[42:43], v[48:49]
	v_add_f64 v[62:63], v[48:49], -v[56:57]
	v_add_f64 v[58:59], v[52:53], v[46:47]
	s_delay_alu instid0(VALU_DEP_2) | instskip(SKIP_2) | instid1(VALU_DEP_4)
	v_add_f64 v[68:69], v[48:49], -v[62:63]
	v_add_f64 v[38:39], v[38:39], -v[62:63]
	v_add_f64 v[42:43], v[52:53], -v[42:43]
	v_cmp_gt_f64_e64 s3, 0, v[58:59]
	v_add_f64 v[58:59], v[56:57], -v[60:61]
	s_delay_alu instid0(VALU_DEP_3) | instskip(NEXT) | instid1(VALU_DEP_3)
	v_add_f64 v[42:43], v[48:49], -v[42:43]
	v_cndmask_b32_e64 v19, 0, 0x40100000, s3
	s_delay_alu instid0(VALU_DEP_3) | instskip(SKIP_2) | instid1(VALU_DEP_4)
	v_add_f64 v[66:67], v[56:57], -v[58:59]
	v_add_f64 v[40:41], v[40:41], -v[58:59]
	v_add_f64 v[56:57], v[56:57], -v[68:69]
	v_add_f64 v[46:47], v[46:47], v[18:19]
	s_delay_alu instid0(VALU_DEP_4) | instskip(NEXT) | instid1(VALU_DEP_3)
	v_add_f64 v[58:59], v[60:61], -v[66:67]
	v_add_f64 v[38:39], v[38:39], v[56:57]
	s_delay_alu instid0(VALU_DEP_3) | instskip(NEXT) | instid1(VALU_DEP_3)
	v_add_f64 v[64:65], v[52:53], v[46:47]
	v_add_f64 v[40:41], v[40:41], v[58:59]
	s_delay_alu instid0(VALU_DEP_2) | instskip(NEXT) | instid1(VALU_DEP_2)
	v_cvt_i32_f64_e32 v19, v[64:65]
	v_add_f64 v[38:39], v[40:41], v[38:39]
	s_delay_alu instid0(VALU_DEP_2) | instskip(NEXT) | instid1(VALU_DEP_2)
	v_cvt_f64_i32_e32 v[62:63], v19
	v_add_f64 v[28:29], v[28:29], v[38:39]
	s_delay_alu instid0(VALU_DEP_2) | instskip(NEXT) | instid1(VALU_DEP_2)
	v_add_f64 v[46:47], v[46:47], -v[62:63]
	v_add_f64 v[28:29], v[42:43], v[28:29]
	s_delay_alu instid0(VALU_DEP_2) | instskip(NEXT) | instid1(VALU_DEP_1)
	v_add_f64 v[40:41], v[52:53], v[46:47]
	v_add_f64 v[38:39], v[40:41], -v[46:47]
	v_cmp_le_f64_e64 s3, 0.5, v[40:41]
	s_delay_alu instid0(VALU_DEP_2) | instskip(NEXT) | instid1(VALU_DEP_2)
	v_add_f64 v[38:39], v[52:53], -v[38:39]
	v_add_co_ci_u32_e64 v95, s4, 0, v19, s3
	v_cndmask_b32_e64 v19, 0, 0x3ff00000, s3
	s_delay_alu instid0(VALU_DEP_3) | instskip(NEXT) | instid1(VALU_DEP_2)
	v_add_f64 v[28:29], v[28:29], v[38:39]
	v_add_f64 v[38:39], v[40:41], -v[18:19]
	s_delay_alu instid0(VALU_DEP_1) | instskip(NEXT) | instid1(VALU_DEP_1)
	v_add_f64 v[40:41], v[38:39], v[28:29]
	v_mul_f64 v[46:47], v[40:41], s[18:19]
	v_add_f64 v[38:39], v[40:41], -v[38:39]
	s_delay_alu instid0(VALU_DEP_2) | instskip(NEXT) | instid1(VALU_DEP_2)
	v_fma_f64 v[42:43], v[40:41], s[18:19], -v[46:47]
	v_add_f64 v[28:29], v[28:29], -v[38:39]
	s_delay_alu instid0(VALU_DEP_2) | instskip(NEXT) | instid1(VALU_DEP_1)
	v_fma_f64 v[38:39], v[40:41], s[24:25], v[42:43]
	v_fma_f64 v[28:29], v[28:29], s[18:19], v[38:39]
	s_delay_alu instid0(VALU_DEP_1) | instskip(NEXT) | instid1(VALU_DEP_1)
	v_add_f64 v[42:43], v[46:47], v[28:29]
	v_add_f64 v[38:39], v[42:43], -v[46:47]
	s_delay_alu instid0(VALU_DEP_1)
	v_add_f64 v[46:47], v[28:29], -v[38:39]
	s_and_not1_saveexec_b32 s3, s6
	s_cbranch_execz .LBB144_85
	s_branch .LBB144_84
.LBB144_83:                             ;   in Loop: Header=BB144_57 Depth=1
	s_and_not1_saveexec_b32 s3, s6
	s_cbranch_execz .LBB144_85
.LBB144_84:                             ;   in Loop: Header=BB144_57 Depth=1
	v_mul_f64 v[28:29], |v[12:13]|, s[26:27]
	s_mov_b32 s22, s28
	s_delay_alu instid0(VALU_DEP_1) | instskip(NEXT) | instid1(VALU_DEP_1)
	v_rndne_f64_e32 v[28:29], v[28:29]
	v_fma_f64 v[38:39], v[28:29], s[20:21], |v[12:13]|
	v_mul_f64 v[40:41], v[28:29], s[28:29]
	v_cvt_i32_f64_e32 v95, v[28:29]
	s_delay_alu instid0(VALU_DEP_3) | instskip(NEXT) | instid1(VALU_DEP_3)
	v_fma_f64 v[46:47], v[28:29], s[28:29], v[38:39]
	v_add_f64 v[42:43], v[38:39], v[40:41]
	s_delay_alu instid0(VALU_DEP_1) | instskip(NEXT) | instid1(VALU_DEP_3)
	v_add_f64 v[38:39], v[38:39], -v[42:43]
	v_add_f64 v[42:43], v[42:43], -v[46:47]
	s_delay_alu instid0(VALU_DEP_2) | instskip(SKIP_1) | instid1(VALU_DEP_2)
	v_add_f64 v[38:39], v[38:39], v[40:41]
	v_fma_f64 v[40:41], v[28:29], s[22:23], v[40:41]
	v_add_f64 v[38:39], v[42:43], v[38:39]
	s_delay_alu instid0(VALU_DEP_1) | instskip(NEXT) | instid1(VALU_DEP_1)
	v_add_f64 v[38:39], v[38:39], -v[40:41]
	v_fma_f64 v[38:39], v[28:29], s[30:31], v[38:39]
	s_delay_alu instid0(VALU_DEP_1) | instskip(NEXT) | instid1(VALU_DEP_1)
	v_add_f64 v[42:43], v[46:47], v[38:39]
	v_add_f64 v[40:41], v[42:43], -v[46:47]
	s_delay_alu instid0(VALU_DEP_1)
	v_add_f64 v[46:47], v[38:39], -v[40:41]
.LBB144_85:                             ;   in Loop: Header=BB144_57 Depth=1
	s_or_b32 exec_lo, exec_lo, s3
                                        ; implicit-def: $vgpr100
                                        ; implicit-def: $vgpr56_vgpr57
                                        ; implicit-def: $vgpr62_vgpr63
	s_and_saveexec_b32 s3, s5
	s_delay_alu instid0(SALU_CYCLE_1)
	s_xor_b32 s5, exec_lo, s3
	s_cbranch_execz .LBB144_87
; %bb.86:                               ;   in Loop: Header=BB144_57 Depth=1
	v_ldexp_f64 v[28:29], |v[12:13]|, 0xffffff80
	v_cmp_le_f64_e64 s3, 0x7b000000, |v[12:13]|
	v_trig_preop_f64 v[38:39], |v[12:13]|, 0
	v_and_b32_e32 v19, 0x7fffffff, v13
	v_trig_preop_f64 v[40:41], |v[12:13]|, 1
	v_trig_preop_f64 v[58:59], |v[12:13]|, 2
	s_mov_b32 s18, s20
	s_mov_b32 s25, s23
	v_cndmask_b32_e64 v29, v19, v29, s3
	v_cndmask_b32_e64 v28, v12, v28, s3
	s_delay_alu instid0(VALU_DEP_1) | instskip(SKIP_2) | instid1(VALU_DEP_3)
	v_mul_f64 v[48:49], v[38:39], v[28:29]
	v_mul_f64 v[52:53], v[40:41], v[28:29]
	;; [unrolled: 1-line block ×3, first 2 shown]
	v_fma_f64 v[38:39], v[38:39], v[28:29], -v[48:49]
	s_delay_alu instid0(VALU_DEP_3) | instskip(NEXT) | instid1(VALU_DEP_3)
	v_fma_f64 v[40:41], v[40:41], v[28:29], -v[52:53]
	v_fma_f64 v[28:29], v[58:59], v[28:29], -v[64:65]
	s_delay_alu instid0(VALU_DEP_3) | instskip(NEXT) | instid1(VALU_DEP_1)
	v_add_f64 v[54:55], v[52:53], v[38:39]
	v_add_f64 v[56:57], v[54:55], -v[52:53]
	v_add_f64 v[62:63], v[48:49], v[54:55]
	s_delay_alu instid0(VALU_DEP_2) | instskip(SKIP_1) | instid1(VALU_DEP_3)
	v_add_f64 v[60:61], v[54:55], -v[56:57]
	v_add_f64 v[38:39], v[38:39], -v[56:57]
	v_ldexp_f64 v[56:57], v[62:63], -2
	v_add_f64 v[48:49], v[62:63], -v[48:49]
	s_delay_alu instid0(VALU_DEP_4) | instskip(SKIP_1) | instid1(VALU_DEP_4)
	v_add_f64 v[52:53], v[52:53], -v[60:61]
	v_add_f64 v[60:61], v[64:65], v[40:41]
	v_cmp_neq_f64_e64 s3, 0x7ff00000, |v[56:57]|
	s_delay_alu instid0(VALU_DEP_4) | instskip(NEXT) | instid1(VALU_DEP_4)
	v_add_f64 v[48:49], v[54:55], -v[48:49]
	v_add_f64 v[38:39], v[38:39], v[52:53]
	v_fract_f64_e32 v[52:53], v[56:57]
	s_delay_alu instid0(VALU_DEP_2) | instskip(NEXT) | instid1(VALU_DEP_2)
	v_add_f64 v[54:55], v[60:61], v[38:39]
	v_cndmask_b32_e64 v53, 0, v53, s3
	s_delay_alu instid0(VALU_DEP_3) | instskip(NEXT) | instid1(VALU_DEP_1)
	v_cndmask_b32_e64 v52, 0, v52, s3
	v_ldexp_f64 v[52:53], v[52:53], 2
	s_delay_alu instid0(VALU_DEP_4) | instskip(SKIP_1) | instid1(VALU_DEP_2)
	v_add_f64 v[56:57], v[48:49], v[54:55]
	v_add_f64 v[66:67], v[54:55], -v[60:61]
	v_add_f64 v[62:63], v[56:57], v[52:53]
	s_delay_alu instid0(VALU_DEP_2) | instskip(SKIP_2) | instid1(VALU_DEP_4)
	v_add_f64 v[72:73], v[54:55], -v[66:67]
	v_add_f64 v[38:39], v[38:39], -v[66:67]
	;; [unrolled: 1-line block ×3, first 2 shown]
	v_cmp_gt_f64_e64 s3, 0, v[62:63]
	v_add_f64 v[62:63], v[60:61], -v[64:65]
	s_delay_alu instid0(VALU_DEP_3) | instskip(NEXT) | instid1(VALU_DEP_3)
	v_add_f64 v[48:49], v[54:55], -v[48:49]
	v_cndmask_b32_e64 v19, 0, 0x40100000, s3
	s_delay_alu instid0(VALU_DEP_3) | instskip(SKIP_2) | instid1(VALU_DEP_4)
	v_add_f64 v[70:71], v[60:61], -v[62:63]
	v_add_f64 v[40:41], v[40:41], -v[62:63]
	;; [unrolled: 1-line block ×3, first 2 shown]
	v_add_f64 v[52:53], v[52:53], v[18:19]
	s_delay_alu instid0(VALU_DEP_4) | instskip(NEXT) | instid1(VALU_DEP_3)
	v_add_f64 v[62:63], v[64:65], -v[70:71]
	v_add_f64 v[38:39], v[38:39], v[60:61]
	s_delay_alu instid0(VALU_DEP_3) | instskip(NEXT) | instid1(VALU_DEP_3)
	v_add_f64 v[68:69], v[56:57], v[52:53]
	v_add_f64 v[40:41], v[40:41], v[62:63]
	s_delay_alu instid0(VALU_DEP_2) | instskip(NEXT) | instid1(VALU_DEP_2)
	v_cvt_i32_f64_e32 v19, v[68:69]
	v_add_f64 v[38:39], v[40:41], v[38:39]
	s_delay_alu instid0(VALU_DEP_2) | instskip(NEXT) | instid1(VALU_DEP_2)
	v_cvt_f64_i32_e32 v[66:67], v19
	v_add_f64 v[28:29], v[28:29], v[38:39]
	s_delay_alu instid0(VALU_DEP_2) | instskip(NEXT) | instid1(VALU_DEP_2)
	v_add_f64 v[52:53], v[52:53], -v[66:67]
	v_add_f64 v[28:29], v[48:49], v[28:29]
	s_delay_alu instid0(VALU_DEP_2) | instskip(NEXT) | instid1(VALU_DEP_1)
	v_add_f64 v[40:41], v[56:57], v[52:53]
	v_add_f64 v[38:39], v[40:41], -v[52:53]
	v_cmp_le_f64_e64 s3, 0.5, v[40:41]
	s_delay_alu instid0(VALU_DEP_2) | instskip(NEXT) | instid1(VALU_DEP_2)
	v_add_f64 v[38:39], v[56:57], -v[38:39]
	v_add_co_ci_u32_e64 v100, s4, 0, v19, s3
	v_cndmask_b32_e64 v19, 0, 0x3ff00000, s3
	s_delay_alu instid0(VALU_DEP_3) | instskip(NEXT) | instid1(VALU_DEP_2)
	v_add_f64 v[28:29], v[28:29], v[38:39]
	v_add_f64 v[38:39], v[40:41], -v[18:19]
	s_delay_alu instid0(VALU_DEP_1) | instskip(NEXT) | instid1(VALU_DEP_1)
	v_add_f64 v[40:41], v[38:39], v[28:29]
	v_mul_f64 v[48:49], v[40:41], s[18:19]
	v_add_f64 v[38:39], v[40:41], -v[38:39]
	s_delay_alu instid0(VALU_DEP_2) | instskip(NEXT) | instid1(VALU_DEP_2)
	v_fma_f64 v[52:53], v[40:41], s[18:19], -v[48:49]
	v_add_f64 v[28:29], v[28:29], -v[38:39]
	s_delay_alu instid0(VALU_DEP_2) | instskip(NEXT) | instid1(VALU_DEP_1)
	v_fma_f64 v[38:39], v[40:41], s[24:25], v[52:53]
	v_fma_f64 v[28:29], v[28:29], s[18:19], v[38:39]
	s_delay_alu instid0(VALU_DEP_1) | instskip(NEXT) | instid1(VALU_DEP_1)
	v_add_f64 v[56:57], v[48:49], v[28:29]
	v_add_f64 v[38:39], v[56:57], -v[48:49]
	s_delay_alu instid0(VALU_DEP_1)
	v_add_f64 v[62:63], v[28:29], -v[38:39]
	s_and_not1_saveexec_b32 s3, s5
	s_cbranch_execnz .LBB144_88
	s_branch .LBB144_89
.LBB144_87:                             ;   in Loop: Header=BB144_57 Depth=1
	s_and_not1_saveexec_b32 s3, s5
	s_cbranch_execz .LBB144_89
.LBB144_88:                             ;   in Loop: Header=BB144_57 Depth=1
	v_mul_f64 v[28:29], |v[12:13]|, s[26:27]
	s_mov_b32 s22, s28
	s_delay_alu instid0(VALU_DEP_1) | instskip(NEXT) | instid1(VALU_DEP_1)
	v_rndne_f64_e32 v[28:29], v[28:29]
	v_fma_f64 v[38:39], v[28:29], s[20:21], |v[12:13]|
	v_mul_f64 v[40:41], v[28:29], s[28:29]
	v_cvt_i32_f64_e32 v100, v[28:29]
	s_delay_alu instid0(VALU_DEP_3) | instskip(NEXT) | instid1(VALU_DEP_3)
	v_fma_f64 v[52:53], v[28:29], s[28:29], v[38:39]
	v_add_f64 v[48:49], v[38:39], v[40:41]
	s_delay_alu instid0(VALU_DEP_1) | instskip(NEXT) | instid1(VALU_DEP_3)
	v_add_f64 v[38:39], v[38:39], -v[48:49]
	v_add_f64 v[48:49], v[48:49], -v[52:53]
	s_delay_alu instid0(VALU_DEP_2) | instskip(SKIP_1) | instid1(VALU_DEP_2)
	v_add_f64 v[38:39], v[38:39], v[40:41]
	v_fma_f64 v[40:41], v[28:29], s[22:23], v[40:41]
	v_add_f64 v[38:39], v[48:49], v[38:39]
	s_delay_alu instid0(VALU_DEP_1) | instskip(NEXT) | instid1(VALU_DEP_1)
	v_add_f64 v[38:39], v[38:39], -v[40:41]
	v_fma_f64 v[38:39], v[28:29], s[30:31], v[38:39]
	s_delay_alu instid0(VALU_DEP_1) | instskip(NEXT) | instid1(VALU_DEP_1)
	v_add_f64 v[56:57], v[52:53], v[38:39]
	v_add_f64 v[40:41], v[56:57], -v[52:53]
	s_delay_alu instid0(VALU_DEP_1)
	v_add_f64 v[62:63], v[38:39], -v[40:41]
.LBB144_89:                             ;   in Loop: Header=BB144_57 Depth=1
	s_or_b32 exec_lo, exec_lo, s3
	v_mul_f64 v[28:29], v[8:9], 0.5
                                        ; implicit-def: $vgpr96
                                        ; implicit-def: $vgpr40_vgpr41
                                        ; implicit-def: $vgpr48_vgpr49
	s_mov_b32 s4, exec_lo
	s_delay_alu instid0(VALU_DEP_1)
	v_cmpx_ngt_f64_e64 0x41d00000, |v[28:29]|
	s_xor_b32 s5, exec_lo, s4
	s_cbranch_execz .LBB144_91
; %bb.90:                               ;   in Loop: Header=BB144_57 Depth=1
	v_ldexp_f64 v[38:39], |v[28:29]|, 0xffffff80
	v_cmp_le_f64_e64 s3, 0x7b000000, |v[28:29]|
	v_trig_preop_f64 v[40:41], |v[28:29]|, 0
	v_and_b32_e32 v19, 0x7fffffff, v29
	v_trig_preop_f64 v[48:49], |v[28:29]|, 1
	v_trig_preop_f64 v[64:65], |v[28:29]|, 2
	s_mov_b32 s18, s20
	s_mov_b32 s25, s23
	v_cndmask_b32_e64 v39, v19, v39, s3
	v_cndmask_b32_e64 v38, v28, v38, s3
	s_delay_alu instid0(VALU_DEP_1) | instskip(SKIP_2) | instid1(VALU_DEP_3)
	v_mul_f64 v[52:53], v[40:41], v[38:39]
	v_mul_f64 v[54:55], v[48:49], v[38:39]
	;; [unrolled: 1-line block ×3, first 2 shown]
	v_fma_f64 v[40:41], v[40:41], v[38:39], -v[52:53]
	s_delay_alu instid0(VALU_DEP_3) | instskip(NEXT) | instid1(VALU_DEP_3)
	v_fma_f64 v[48:49], v[48:49], v[38:39], -v[54:55]
	v_fma_f64 v[38:39], v[64:65], v[38:39], -v[70:71]
	s_delay_alu instid0(VALU_DEP_3) | instskip(NEXT) | instid1(VALU_DEP_1)
	v_add_f64 v[58:59], v[54:55], v[40:41]
	v_add_f64 v[60:61], v[58:59], -v[54:55]
	v_add_f64 v[68:69], v[52:53], v[58:59]
	s_delay_alu instid0(VALU_DEP_2) | instskip(SKIP_1) | instid1(VALU_DEP_3)
	v_add_f64 v[66:67], v[58:59], -v[60:61]
	v_add_f64 v[40:41], v[40:41], -v[60:61]
	v_ldexp_f64 v[60:61], v[68:69], -2
	v_add_f64 v[52:53], v[68:69], -v[52:53]
	s_delay_alu instid0(VALU_DEP_4) | instskip(SKIP_1) | instid1(VALU_DEP_4)
	v_add_f64 v[54:55], v[54:55], -v[66:67]
	v_add_f64 v[66:67], v[70:71], v[48:49]
	v_cmp_neq_f64_e64 s3, 0x7ff00000, |v[60:61]|
	s_delay_alu instid0(VALU_DEP_4) | instskip(NEXT) | instid1(VALU_DEP_4)
	v_add_f64 v[52:53], v[58:59], -v[52:53]
	v_add_f64 v[40:41], v[40:41], v[54:55]
	v_fract_f64_e32 v[54:55], v[60:61]
	s_delay_alu instid0(VALU_DEP_2) | instskip(NEXT) | instid1(VALU_DEP_2)
	v_add_f64 v[58:59], v[66:67], v[40:41]
	v_cndmask_b32_e64 v55, 0, v55, s3
	s_delay_alu instid0(VALU_DEP_3) | instskip(NEXT) | instid1(VALU_DEP_1)
	v_cndmask_b32_e64 v54, 0, v54, s3
	v_ldexp_f64 v[54:55], v[54:55], 2
	s_delay_alu instid0(VALU_DEP_4) | instskip(SKIP_1) | instid1(VALU_DEP_2)
	v_add_f64 v[60:61], v[52:53], v[58:59]
	v_add_f64 v[72:73], v[58:59], -v[66:67]
	v_add_f64 v[68:69], v[60:61], v[54:55]
	s_delay_alu instid0(VALU_DEP_2) | instskip(SKIP_2) | instid1(VALU_DEP_4)
	v_add_f64 v[101:102], v[58:59], -v[72:73]
	v_add_f64 v[40:41], v[40:41], -v[72:73]
	v_add_f64 v[52:53], v[60:61], -v[52:53]
	v_cmp_gt_f64_e64 s3, 0, v[68:69]
	v_add_f64 v[68:69], v[66:67], -v[70:71]
	s_delay_alu instid0(VALU_DEP_3) | instskip(NEXT) | instid1(VALU_DEP_3)
	v_add_f64 v[52:53], v[58:59], -v[52:53]
	v_cndmask_b32_e64 v19, 0, 0x40100000, s3
	s_delay_alu instid0(VALU_DEP_3) | instskip(SKIP_2) | instid1(VALU_DEP_4)
	v_add_f64 v[98:99], v[66:67], -v[68:69]
	v_add_f64 v[48:49], v[48:49], -v[68:69]
	;; [unrolled: 1-line block ×3, first 2 shown]
	v_add_f64 v[54:55], v[54:55], v[18:19]
	s_delay_alu instid0(VALU_DEP_4) | instskip(NEXT) | instid1(VALU_DEP_3)
	v_add_f64 v[68:69], v[70:71], -v[98:99]
	v_add_f64 v[40:41], v[40:41], v[66:67]
	s_delay_alu instid0(VALU_DEP_3) | instskip(NEXT) | instid1(VALU_DEP_3)
	v_add_f64 v[74:75], v[60:61], v[54:55]
	v_add_f64 v[48:49], v[48:49], v[68:69]
	s_delay_alu instid0(VALU_DEP_2) | instskip(NEXT) | instid1(VALU_DEP_2)
	v_cvt_i32_f64_e32 v19, v[74:75]
	v_add_f64 v[40:41], v[48:49], v[40:41]
	s_delay_alu instid0(VALU_DEP_2) | instskip(NEXT) | instid1(VALU_DEP_2)
	v_cvt_f64_i32_e32 v[72:73], v19
	v_add_f64 v[38:39], v[38:39], v[40:41]
	s_delay_alu instid0(VALU_DEP_2) | instskip(NEXT) | instid1(VALU_DEP_2)
	v_add_f64 v[54:55], v[54:55], -v[72:73]
	v_add_f64 v[38:39], v[52:53], v[38:39]
	s_delay_alu instid0(VALU_DEP_2) | instskip(NEXT) | instid1(VALU_DEP_1)
	v_add_f64 v[48:49], v[60:61], v[54:55]
	v_add_f64 v[40:41], v[48:49], -v[54:55]
	v_cmp_le_f64_e64 s3, 0.5, v[48:49]
	s_delay_alu instid0(VALU_DEP_2) | instskip(NEXT) | instid1(VALU_DEP_2)
	v_add_f64 v[40:41], v[60:61], -v[40:41]
	v_add_co_ci_u32_e64 v96, s4, 0, v19, s3
	v_cndmask_b32_e64 v19, 0, 0x3ff00000, s3
	s_delay_alu instid0(VALU_DEP_3) | instskip(NEXT) | instid1(VALU_DEP_2)
	v_add_f64 v[38:39], v[38:39], v[40:41]
	v_add_f64 v[40:41], v[48:49], -v[18:19]
	s_delay_alu instid0(VALU_DEP_1) | instskip(NEXT) | instid1(VALU_DEP_1)
	v_add_f64 v[48:49], v[40:41], v[38:39]
	v_mul_f64 v[52:53], v[48:49], s[18:19]
	v_add_f64 v[40:41], v[48:49], -v[40:41]
	s_delay_alu instid0(VALU_DEP_2) | instskip(NEXT) | instid1(VALU_DEP_2)
	v_fma_f64 v[54:55], v[48:49], s[18:19], -v[52:53]
	v_add_f64 v[38:39], v[38:39], -v[40:41]
	s_delay_alu instid0(VALU_DEP_2) | instskip(NEXT) | instid1(VALU_DEP_1)
	v_fma_f64 v[40:41], v[48:49], s[24:25], v[54:55]
	v_fma_f64 v[38:39], v[38:39], s[18:19], v[40:41]
	s_delay_alu instid0(VALU_DEP_1) | instskip(NEXT) | instid1(VALU_DEP_1)
	v_add_f64 v[40:41], v[52:53], v[38:39]
	v_add_f64 v[48:49], v[40:41], -v[52:53]
	s_delay_alu instid0(VALU_DEP_1)
	v_add_f64 v[48:49], v[38:39], -v[48:49]
.LBB144_91:                             ;   in Loop: Header=BB144_57 Depth=1
	s_and_not1_saveexec_b32 s3, s5
	s_cbranch_execz .LBB144_93
; %bb.92:                               ;   in Loop: Header=BB144_57 Depth=1
	v_mul_f64 v[38:39], |v[28:29]|, s[26:27]
	s_mov_b32 s22, s28
	s_delay_alu instid0(VALU_DEP_1) | instskip(NEXT) | instid1(VALU_DEP_1)
	v_rndne_f64_e32 v[38:39], v[38:39]
	v_fma_f64 v[40:41], v[38:39], s[20:21], |v[28:29]|
	v_mul_f64 v[48:49], v[38:39], s[28:29]
	v_cvt_i32_f64_e32 v96, v[38:39]
	s_delay_alu instid0(VALU_DEP_3) | instskip(NEXT) | instid1(VALU_DEP_3)
	v_fma_f64 v[54:55], v[38:39], s[28:29], v[40:41]
	v_add_f64 v[52:53], v[40:41], v[48:49]
	s_delay_alu instid0(VALU_DEP_1) | instskip(NEXT) | instid1(VALU_DEP_3)
	v_add_f64 v[40:41], v[40:41], -v[52:53]
	v_add_f64 v[52:53], v[52:53], -v[54:55]
	s_delay_alu instid0(VALU_DEP_2) | instskip(SKIP_1) | instid1(VALU_DEP_2)
	v_add_f64 v[40:41], v[40:41], v[48:49]
	v_fma_f64 v[48:49], v[38:39], s[22:23], v[48:49]
	v_add_f64 v[40:41], v[52:53], v[40:41]
	s_delay_alu instid0(VALU_DEP_1) | instskip(NEXT) | instid1(VALU_DEP_1)
	v_add_f64 v[40:41], v[40:41], -v[48:49]
	v_fma_f64 v[48:49], v[38:39], s[30:31], v[40:41]
	s_delay_alu instid0(VALU_DEP_1) | instskip(NEXT) | instid1(VALU_DEP_1)
	v_add_f64 v[40:41], v[54:55], v[48:49]
	v_add_f64 v[52:53], v[40:41], -v[54:55]
	s_delay_alu instid0(VALU_DEP_1)
	v_add_f64 v[48:49], v[48:49], -v[52:53]
.LBB144_93:                             ;   in Loop: Header=BB144_57 Depth=1
	s_or_b32 exec_lo, exec_lo, s3
	v_cmp_ngt_f64_e64 s5, 0x41d00000, |v[8:9]|
                                        ; implicit-def: $vgpr98
                                        ; implicit-def: $vgpr54_vgpr55
                                        ; implicit-def: $vgpr58_vgpr59
	s_delay_alu instid0(VALU_DEP_1) | instskip(NEXT) | instid1(SALU_CYCLE_1)
	s_and_saveexec_b32 s3, s5
	s_xor_b32 s6, exec_lo, s3
	s_cbranch_execz .LBB144_95
; %bb.94:                               ;   in Loop: Header=BB144_57 Depth=1
	v_ldexp_f64 v[38:39], |v[8:9]|, 0xffffff80
	v_cmp_le_f64_e64 s3, 0x7b000000, |v[8:9]|
	v_trig_preop_f64 v[52:53], |v[8:9]|, 0
	v_and_b32_e32 v19, 0x7fffffff, v9
	v_trig_preop_f64 v[54:55], |v[8:9]|, 1
	v_trig_preop_f64 v[68:69], |v[8:9]|, 2
	s_mov_b32 s18, s20
	s_mov_b32 s25, s23
	v_cndmask_b32_e64 v39, v19, v39, s3
	v_cndmask_b32_e64 v38, v8, v38, s3
	s_delay_alu instid0(VALU_DEP_1) | instskip(SKIP_2) | instid1(VALU_DEP_3)
	v_mul_f64 v[58:59], v[52:53], v[38:39]
	v_mul_f64 v[60:61], v[54:55], v[38:39]
	v_mul_f64 v[74:75], v[68:69], v[38:39]
	v_fma_f64 v[52:53], v[52:53], v[38:39], -v[58:59]
	s_delay_alu instid0(VALU_DEP_3) | instskip(NEXT) | instid1(VALU_DEP_3)
	v_fma_f64 v[54:55], v[54:55], v[38:39], -v[60:61]
	v_fma_f64 v[38:39], v[68:69], v[38:39], -v[74:75]
	s_delay_alu instid0(VALU_DEP_3) | instskip(NEXT) | instid1(VALU_DEP_1)
	v_add_f64 v[64:65], v[60:61], v[52:53]
	v_add_f64 v[66:67], v[64:65], -v[60:61]
	v_add_f64 v[72:73], v[58:59], v[64:65]
	s_delay_alu instid0(VALU_DEP_2) | instskip(SKIP_1) | instid1(VALU_DEP_3)
	v_add_f64 v[70:71], v[64:65], -v[66:67]
	v_add_f64 v[52:53], v[52:53], -v[66:67]
	v_ldexp_f64 v[66:67], v[72:73], -2
	v_add_f64 v[58:59], v[72:73], -v[58:59]
	s_delay_alu instid0(VALU_DEP_4) | instskip(SKIP_1) | instid1(VALU_DEP_4)
	v_add_f64 v[60:61], v[60:61], -v[70:71]
	v_add_f64 v[70:71], v[74:75], v[54:55]
	v_cmp_neq_f64_e64 s3, 0x7ff00000, |v[66:67]|
	s_delay_alu instid0(VALU_DEP_4) | instskip(NEXT) | instid1(VALU_DEP_4)
	v_add_f64 v[58:59], v[64:65], -v[58:59]
	v_add_f64 v[52:53], v[52:53], v[60:61]
	v_fract_f64_e32 v[60:61], v[66:67]
	s_delay_alu instid0(VALU_DEP_2) | instskip(NEXT) | instid1(VALU_DEP_2)
	v_add_f64 v[64:65], v[70:71], v[52:53]
	v_cndmask_b32_e64 v61, 0, v61, s3
	s_delay_alu instid0(VALU_DEP_3) | instskip(NEXT) | instid1(VALU_DEP_1)
	v_cndmask_b32_e64 v60, 0, v60, s3
	v_ldexp_f64 v[60:61], v[60:61], 2
	s_delay_alu instid0(VALU_DEP_4) | instskip(SKIP_1) | instid1(VALU_DEP_2)
	v_add_f64 v[66:67], v[58:59], v[64:65]
	v_add_f64 v[98:99], v[64:65], -v[70:71]
	v_add_f64 v[72:73], v[66:67], v[60:61]
	s_delay_alu instid0(VALU_DEP_2) | instskip(SKIP_2) | instid1(VALU_DEP_4)
	v_add_f64 v[105:106], v[64:65], -v[98:99]
	v_add_f64 v[52:53], v[52:53], -v[98:99]
	;; [unrolled: 1-line block ×3, first 2 shown]
	v_cmp_gt_f64_e64 s3, 0, v[72:73]
	v_add_f64 v[72:73], v[70:71], -v[74:75]
	s_delay_alu instid0(VALU_DEP_3) | instskip(NEXT) | instid1(VALU_DEP_3)
	v_add_f64 v[58:59], v[64:65], -v[58:59]
	v_cndmask_b32_e64 v19, 0, 0x40100000, s3
	s_delay_alu instid0(VALU_DEP_3) | instskip(SKIP_2) | instid1(VALU_DEP_4)
	v_add_f64 v[103:104], v[70:71], -v[72:73]
	v_add_f64 v[54:55], v[54:55], -v[72:73]
	;; [unrolled: 1-line block ×3, first 2 shown]
	v_add_f64 v[60:61], v[60:61], v[18:19]
	s_delay_alu instid0(VALU_DEP_4) | instskip(NEXT) | instid1(VALU_DEP_3)
	v_add_f64 v[72:73], v[74:75], -v[103:104]
	v_add_f64 v[52:53], v[52:53], v[70:71]
	s_delay_alu instid0(VALU_DEP_3) | instskip(NEXT) | instid1(VALU_DEP_3)
	v_add_f64 v[101:102], v[66:67], v[60:61]
	v_add_f64 v[54:55], v[54:55], v[72:73]
	s_delay_alu instid0(VALU_DEP_2) | instskip(NEXT) | instid1(VALU_DEP_2)
	v_cvt_i32_f64_e32 v19, v[101:102]
	v_add_f64 v[52:53], v[54:55], v[52:53]
	s_delay_alu instid0(VALU_DEP_2) | instskip(NEXT) | instid1(VALU_DEP_2)
	v_cvt_f64_i32_e32 v[98:99], v19
	v_add_f64 v[38:39], v[38:39], v[52:53]
	s_delay_alu instid0(VALU_DEP_2) | instskip(NEXT) | instid1(VALU_DEP_2)
	v_add_f64 v[60:61], v[60:61], -v[98:99]
	v_add_f64 v[38:39], v[58:59], v[38:39]
	s_delay_alu instid0(VALU_DEP_2) | instskip(NEXT) | instid1(VALU_DEP_1)
	v_add_f64 v[54:55], v[66:67], v[60:61]
	v_add_f64 v[52:53], v[54:55], -v[60:61]
	v_cmp_le_f64_e64 s3, 0.5, v[54:55]
	s_delay_alu instid0(VALU_DEP_2) | instskip(NEXT) | instid1(VALU_DEP_2)
	v_add_f64 v[52:53], v[66:67], -v[52:53]
	v_add_co_ci_u32_e64 v98, s4, 0, v19, s3
	v_cndmask_b32_e64 v19, 0, 0x3ff00000, s3
	s_delay_alu instid0(VALU_DEP_3) | instskip(NEXT) | instid1(VALU_DEP_2)
	v_add_f64 v[38:39], v[38:39], v[52:53]
	v_add_f64 v[52:53], v[54:55], -v[18:19]
	s_delay_alu instid0(VALU_DEP_1) | instskip(NEXT) | instid1(VALU_DEP_1)
	v_add_f64 v[54:55], v[52:53], v[38:39]
	v_mul_f64 v[58:59], v[54:55], s[18:19]
	v_add_f64 v[52:53], v[54:55], -v[52:53]
	s_delay_alu instid0(VALU_DEP_2) | instskip(NEXT) | instid1(VALU_DEP_2)
	v_fma_f64 v[60:61], v[54:55], s[18:19], -v[58:59]
	v_add_f64 v[38:39], v[38:39], -v[52:53]
	s_delay_alu instid0(VALU_DEP_2) | instskip(NEXT) | instid1(VALU_DEP_1)
	v_fma_f64 v[52:53], v[54:55], s[24:25], v[60:61]
	v_fma_f64 v[38:39], v[38:39], s[18:19], v[52:53]
	s_delay_alu instid0(VALU_DEP_1) | instskip(NEXT) | instid1(VALU_DEP_1)
	v_add_f64 v[54:55], v[58:59], v[38:39]
	v_add_f64 v[52:53], v[54:55], -v[58:59]
	s_delay_alu instid0(VALU_DEP_1)
	v_add_f64 v[58:59], v[38:39], -v[52:53]
	s_and_not1_saveexec_b32 s3, s6
	s_cbranch_execz .LBB144_97
	s_branch .LBB144_96
.LBB144_95:                             ;   in Loop: Header=BB144_57 Depth=1
	s_and_not1_saveexec_b32 s3, s6
	s_cbranch_execz .LBB144_97
.LBB144_96:                             ;   in Loop: Header=BB144_57 Depth=1
	v_mul_f64 v[38:39], |v[8:9]|, s[26:27]
	s_mov_b32 s22, s28
	s_delay_alu instid0(VALU_DEP_1) | instskip(NEXT) | instid1(VALU_DEP_1)
	v_rndne_f64_e32 v[38:39], v[38:39]
	v_fma_f64 v[52:53], v[38:39], s[20:21], |v[8:9]|
	v_mul_f64 v[54:55], v[38:39], s[28:29]
	v_cvt_i32_f64_e32 v98, v[38:39]
	s_delay_alu instid0(VALU_DEP_3) | instskip(NEXT) | instid1(VALU_DEP_3)
	v_fma_f64 v[60:61], v[38:39], s[28:29], v[52:53]
	v_add_f64 v[58:59], v[52:53], v[54:55]
	s_delay_alu instid0(VALU_DEP_1) | instskip(NEXT) | instid1(VALU_DEP_3)
	v_add_f64 v[52:53], v[52:53], -v[58:59]
	v_add_f64 v[58:59], v[58:59], -v[60:61]
	s_delay_alu instid0(VALU_DEP_2) | instskip(SKIP_1) | instid1(VALU_DEP_2)
	v_add_f64 v[52:53], v[52:53], v[54:55]
	v_fma_f64 v[54:55], v[38:39], s[22:23], v[54:55]
	v_add_f64 v[52:53], v[58:59], v[52:53]
	s_delay_alu instid0(VALU_DEP_1) | instskip(NEXT) | instid1(VALU_DEP_1)
	v_add_f64 v[52:53], v[52:53], -v[54:55]
	v_fma_f64 v[52:53], v[38:39], s[30:31], v[52:53]
	s_delay_alu instid0(VALU_DEP_1) | instskip(NEXT) | instid1(VALU_DEP_1)
	v_add_f64 v[54:55], v[60:61], v[52:53]
	v_add_f64 v[58:59], v[54:55], -v[60:61]
	s_delay_alu instid0(VALU_DEP_1)
	v_add_f64 v[58:59], v[52:53], -v[58:59]
.LBB144_97:                             ;   in Loop: Header=BB144_57 Depth=1
	s_or_b32 exec_lo, exec_lo, s3
                                        ; implicit-def: $vgpr102
                                        ; implicit-def: $vgpr66_vgpr67
                                        ; implicit-def: $vgpr70_vgpr71
	s_and_saveexec_b32 s3, s5
	s_delay_alu instid0(SALU_CYCLE_1)
	s_xor_b32 s5, exec_lo, s3
	s_cbranch_execz .LBB144_99
; %bb.98:                               ;   in Loop: Header=BB144_57 Depth=1
	v_ldexp_f64 v[38:39], |v[8:9]|, 0xffffff80
	v_cmp_le_f64_e64 s3, 0x7b000000, |v[8:9]|
	v_trig_preop_f64 v[52:53], |v[8:9]|, 0
	v_and_b32_e32 v19, 0x7fffffff, v9
	v_trig_preop_f64 v[60:61], |v[8:9]|, 1
	v_trig_preop_f64 v[72:73], |v[8:9]|, 2
	s_mov_b32 s18, s20
	s_mov_b32 s25, s23
	v_cndmask_b32_e64 v39, v19, v39, s3
	v_cndmask_b32_e64 v38, v8, v38, s3
	s_delay_alu instid0(VALU_DEP_1) | instskip(SKIP_2) | instid1(VALU_DEP_3)
	v_mul_f64 v[64:65], v[52:53], v[38:39]
	v_mul_f64 v[66:67], v[60:61], v[38:39]
	v_mul_f64 v[103:104], v[72:73], v[38:39]
	v_fma_f64 v[52:53], v[52:53], v[38:39], -v[64:65]
	s_delay_alu instid0(VALU_DEP_3) | instskip(NEXT) | instid1(VALU_DEP_3)
	v_fma_f64 v[60:61], v[60:61], v[38:39], -v[66:67]
	v_fma_f64 v[38:39], v[72:73], v[38:39], -v[103:104]
	s_delay_alu instid0(VALU_DEP_3) | instskip(NEXT) | instid1(VALU_DEP_1)
	v_add_f64 v[68:69], v[66:67], v[52:53]
	v_add_f64 v[70:71], v[68:69], -v[66:67]
	v_add_f64 v[101:102], v[64:65], v[68:69]
	s_delay_alu instid0(VALU_DEP_2) | instskip(SKIP_1) | instid1(VALU_DEP_3)
	v_add_f64 v[74:75], v[68:69], -v[70:71]
	v_add_f64 v[52:53], v[52:53], -v[70:71]
	v_ldexp_f64 v[70:71], v[101:102], -2
	v_add_f64 v[64:65], v[101:102], -v[64:65]
	s_delay_alu instid0(VALU_DEP_4) | instskip(SKIP_1) | instid1(VALU_DEP_4)
	v_add_f64 v[66:67], v[66:67], -v[74:75]
	v_add_f64 v[74:75], v[103:104], v[60:61]
	v_cmp_neq_f64_e64 s3, 0x7ff00000, |v[70:71]|
	s_delay_alu instid0(VALU_DEP_4) | instskip(NEXT) | instid1(VALU_DEP_4)
	v_add_f64 v[64:65], v[68:69], -v[64:65]
	v_add_f64 v[52:53], v[52:53], v[66:67]
	v_fract_f64_e32 v[66:67], v[70:71]
	s_delay_alu instid0(VALU_DEP_2) | instskip(NEXT) | instid1(VALU_DEP_2)
	v_add_f64 v[68:69], v[74:75], v[52:53]
	v_cndmask_b32_e64 v67, 0, v67, s3
	s_delay_alu instid0(VALU_DEP_3) | instskip(NEXT) | instid1(VALU_DEP_1)
	v_cndmask_b32_e64 v66, 0, v66, s3
	v_ldexp_f64 v[66:67], v[66:67], 2
	s_delay_alu instid0(VALU_DEP_4) | instskip(SKIP_1) | instid1(VALU_DEP_2)
	v_add_f64 v[70:71], v[64:65], v[68:69]
	v_add_f64 v[105:106], v[68:69], -v[74:75]
	v_add_f64 v[101:102], v[70:71], v[66:67]
	s_delay_alu instid0(VALU_DEP_2) | instskip(SKIP_2) | instid1(VALU_DEP_4)
	v_add_f64 v[111:112], v[68:69], -v[105:106]
	v_add_f64 v[52:53], v[52:53], -v[105:106]
	;; [unrolled: 1-line block ×3, first 2 shown]
	v_cmp_gt_f64_e64 s3, 0, v[101:102]
	v_add_f64 v[101:102], v[74:75], -v[103:104]
	s_delay_alu instid0(VALU_DEP_3) | instskip(NEXT) | instid1(VALU_DEP_3)
	v_add_f64 v[64:65], v[68:69], -v[64:65]
	v_cndmask_b32_e64 v19, 0, 0x40100000, s3
	s_delay_alu instid0(VALU_DEP_3) | instskip(SKIP_2) | instid1(VALU_DEP_4)
	v_add_f64 v[109:110], v[74:75], -v[101:102]
	v_add_f64 v[60:61], v[60:61], -v[101:102]
	;; [unrolled: 1-line block ×3, first 2 shown]
	v_add_f64 v[66:67], v[66:67], v[18:19]
	s_delay_alu instid0(VALU_DEP_4) | instskip(NEXT) | instid1(VALU_DEP_3)
	v_add_f64 v[101:102], v[103:104], -v[109:110]
	v_add_f64 v[52:53], v[52:53], v[74:75]
	s_delay_alu instid0(VALU_DEP_3) | instskip(NEXT) | instid1(VALU_DEP_3)
	v_add_f64 v[107:108], v[70:71], v[66:67]
	v_add_f64 v[60:61], v[60:61], v[101:102]
	s_delay_alu instid0(VALU_DEP_2) | instskip(NEXT) | instid1(VALU_DEP_2)
	v_cvt_i32_f64_e32 v19, v[107:108]
	v_add_f64 v[52:53], v[60:61], v[52:53]
	s_delay_alu instid0(VALU_DEP_2) | instskip(NEXT) | instid1(VALU_DEP_2)
	v_cvt_f64_i32_e32 v[105:106], v19
	v_add_f64 v[38:39], v[38:39], v[52:53]
	s_delay_alu instid0(VALU_DEP_2) | instskip(NEXT) | instid1(VALU_DEP_2)
	v_add_f64 v[66:67], v[66:67], -v[105:106]
	v_add_f64 v[38:39], v[64:65], v[38:39]
	s_delay_alu instid0(VALU_DEP_2) | instskip(NEXT) | instid1(VALU_DEP_1)
	v_add_f64 v[60:61], v[70:71], v[66:67]
	v_add_f64 v[52:53], v[60:61], -v[66:67]
	v_cmp_le_f64_e64 s3, 0.5, v[60:61]
	s_delay_alu instid0(VALU_DEP_2) | instskip(NEXT) | instid1(VALU_DEP_2)
	v_add_f64 v[52:53], v[70:71], -v[52:53]
	v_add_co_ci_u32_e64 v102, s4, 0, v19, s3
	v_cndmask_b32_e64 v19, 0, 0x3ff00000, s3
	s_delay_alu instid0(VALU_DEP_3) | instskip(NEXT) | instid1(VALU_DEP_2)
	v_add_f64 v[38:39], v[38:39], v[52:53]
	v_add_f64 v[52:53], v[60:61], -v[18:19]
	s_delay_alu instid0(VALU_DEP_1) | instskip(NEXT) | instid1(VALU_DEP_1)
	v_add_f64 v[60:61], v[52:53], v[38:39]
	v_mul_f64 v[64:65], v[60:61], s[18:19]
	v_add_f64 v[52:53], v[60:61], -v[52:53]
	s_delay_alu instid0(VALU_DEP_2) | instskip(NEXT) | instid1(VALU_DEP_2)
	v_fma_f64 v[66:67], v[60:61], s[18:19], -v[64:65]
	v_add_f64 v[38:39], v[38:39], -v[52:53]
	s_delay_alu instid0(VALU_DEP_2) | instskip(NEXT) | instid1(VALU_DEP_1)
	v_fma_f64 v[52:53], v[60:61], s[24:25], v[66:67]
	v_fma_f64 v[38:39], v[38:39], s[18:19], v[52:53]
	s_delay_alu instid0(VALU_DEP_1) | instskip(NEXT) | instid1(VALU_DEP_1)
	v_add_f64 v[66:67], v[64:65], v[38:39]
	v_add_f64 v[52:53], v[66:67], -v[64:65]
	s_delay_alu instid0(VALU_DEP_1)
	v_add_f64 v[70:71], v[38:39], -v[52:53]
	s_and_not1_saveexec_b32 s3, s5
	s_cbranch_execnz .LBB144_100
	s_branch .LBB144_101
.LBB144_99:                             ;   in Loop: Header=BB144_57 Depth=1
	s_and_not1_saveexec_b32 s3, s5
	s_cbranch_execz .LBB144_101
.LBB144_100:                            ;   in Loop: Header=BB144_57 Depth=1
	v_mul_f64 v[38:39], |v[8:9]|, s[26:27]
	s_mov_b32 s22, s28
	s_delay_alu instid0(VALU_DEP_1) | instskip(NEXT) | instid1(VALU_DEP_1)
	v_rndne_f64_e32 v[38:39], v[38:39]
	v_fma_f64 v[52:53], v[38:39], s[20:21], |v[8:9]|
	v_mul_f64 v[60:61], v[38:39], s[28:29]
	v_cvt_i32_f64_e32 v102, v[38:39]
	s_delay_alu instid0(VALU_DEP_3) | instskip(NEXT) | instid1(VALU_DEP_3)
	v_fma_f64 v[68:69], v[38:39], s[28:29], v[52:53]
	v_add_f64 v[64:65], v[52:53], v[60:61]
	s_delay_alu instid0(VALU_DEP_1) | instskip(NEXT) | instid1(VALU_DEP_3)
	v_add_f64 v[52:53], v[52:53], -v[64:65]
	v_add_f64 v[64:65], v[64:65], -v[68:69]
	s_delay_alu instid0(VALU_DEP_2) | instskip(SKIP_1) | instid1(VALU_DEP_2)
	v_add_f64 v[52:53], v[52:53], v[60:61]
	v_fma_f64 v[60:61], v[38:39], s[22:23], v[60:61]
	v_add_f64 v[52:53], v[64:65], v[52:53]
	s_delay_alu instid0(VALU_DEP_1) | instskip(NEXT) | instid1(VALU_DEP_1)
	v_add_f64 v[52:53], v[52:53], -v[60:61]
	v_fma_f64 v[52:53], v[38:39], s[30:31], v[52:53]
	s_delay_alu instid0(VALU_DEP_1) | instskip(NEXT) | instid1(VALU_DEP_1)
	v_add_f64 v[66:67], v[68:69], v[52:53]
	v_add_f64 v[60:61], v[66:67], -v[68:69]
	s_delay_alu instid0(VALU_DEP_1)
	v_add_f64 v[70:71], v[52:53], -v[60:61]
.LBB144_101:                            ;   in Loop: Header=BB144_57 Depth=1
	s_or_b32 exec_lo, exec_lo, s3
	v_mul_f64 v[38:39], v[4:5], 0.5
                                        ; implicit-def: $vgpr99
                                        ; implicit-def: $vgpr52_vgpr53
                                        ; implicit-def: $vgpr60_vgpr61
	s_mov_b32 s4, exec_lo
	s_delay_alu instid0(VALU_DEP_1)
	v_cmpx_ngt_f64_e64 0x41d00000, |v[38:39]|
	s_xor_b32 s5, exec_lo, s4
	s_cbranch_execz .LBB144_103
; %bb.102:                              ;   in Loop: Header=BB144_57 Depth=1
	v_ldexp_f64 v[52:53], |v[38:39]|, 0xffffff80
	v_cmp_le_f64_e64 s3, 0x7b000000, |v[38:39]|
	v_trig_preop_f64 v[60:61], |v[38:39]|, 0
	v_and_b32_e32 v19, 0x7fffffff, v39
	v_trig_preop_f64 v[64:65], |v[38:39]|, 1
	v_trig_preop_f64 v[105:106], |v[38:39]|, 2
	s_mov_b32 s18, s20
	s_mov_b32 s25, s23
	v_cndmask_b32_e64 v53, v19, v53, s3
	v_cndmask_b32_e64 v52, v38, v52, s3
	s_delay_alu instid0(VALU_DEP_1) | instskip(SKIP_2) | instid1(VALU_DEP_3)
	v_mul_f64 v[68:69], v[60:61], v[52:53]
	v_mul_f64 v[72:73], v[64:65], v[52:53]
	;; [unrolled: 1-line block ×3, first 2 shown]
	v_fma_f64 v[60:61], v[60:61], v[52:53], -v[68:69]
	s_delay_alu instid0(VALU_DEP_3) | instskip(NEXT) | instid1(VALU_DEP_3)
	v_fma_f64 v[64:65], v[64:65], v[52:53], -v[72:73]
	v_fma_f64 v[52:53], v[105:106], v[52:53], -v[111:112]
	s_delay_alu instid0(VALU_DEP_3) | instskip(NEXT) | instid1(VALU_DEP_1)
	v_add_f64 v[74:75], v[72:73], v[60:61]
	v_add_f64 v[103:104], v[74:75], -v[72:73]
	v_add_f64 v[109:110], v[68:69], v[74:75]
	s_delay_alu instid0(VALU_DEP_2) | instskip(SKIP_1) | instid1(VALU_DEP_3)
	v_add_f64 v[107:108], v[74:75], -v[103:104]
	v_add_f64 v[60:61], v[60:61], -v[103:104]
	v_ldexp_f64 v[103:104], v[109:110], -2
	v_add_f64 v[68:69], v[109:110], -v[68:69]
	s_delay_alu instid0(VALU_DEP_4) | instskip(SKIP_1) | instid1(VALU_DEP_4)
	v_add_f64 v[72:73], v[72:73], -v[107:108]
	v_add_f64 v[107:108], v[111:112], v[64:65]
	v_cmp_neq_f64_e64 s3, 0x7ff00000, |v[103:104]|
	s_delay_alu instid0(VALU_DEP_4) | instskip(NEXT) | instid1(VALU_DEP_4)
	v_add_f64 v[68:69], v[74:75], -v[68:69]
	v_add_f64 v[60:61], v[60:61], v[72:73]
	v_fract_f64_e32 v[72:73], v[103:104]
	s_delay_alu instid0(VALU_DEP_2) | instskip(NEXT) | instid1(VALU_DEP_2)
	v_add_f64 v[74:75], v[107:108], v[60:61]
	v_cndmask_b32_e64 v73, 0, v73, s3
	s_delay_alu instid0(VALU_DEP_3) | instskip(NEXT) | instid1(VALU_DEP_1)
	v_cndmask_b32_e64 v72, 0, v72, s3
	v_ldexp_f64 v[72:73], v[72:73], 2
	s_delay_alu instid0(VALU_DEP_4) | instskip(SKIP_1) | instid1(VALU_DEP_2)
	v_add_f64 v[103:104], v[68:69], v[74:75]
	v_add_f64 v[113:114], v[74:75], -v[107:108]
	v_add_f64 v[109:110], v[103:104], v[72:73]
	s_delay_alu instid0(VALU_DEP_2) | instskip(SKIP_2) | instid1(VALU_DEP_4)
	v_add_f64 v[119:120], v[74:75], -v[113:114]
	v_add_f64 v[60:61], v[60:61], -v[113:114]
	;; [unrolled: 1-line block ×3, first 2 shown]
	v_cmp_gt_f64_e64 s3, 0, v[109:110]
	v_add_f64 v[109:110], v[107:108], -v[111:112]
	s_delay_alu instid0(VALU_DEP_3) | instskip(NEXT) | instid1(VALU_DEP_3)
	v_add_f64 v[68:69], v[74:75], -v[68:69]
	v_cndmask_b32_e64 v19, 0, 0x40100000, s3
	s_delay_alu instid0(VALU_DEP_3) | instskip(SKIP_2) | instid1(VALU_DEP_4)
	v_add_f64 v[117:118], v[107:108], -v[109:110]
	v_add_f64 v[64:65], v[64:65], -v[109:110]
	v_add_f64 v[107:108], v[107:108], -v[119:120]
	v_add_f64 v[72:73], v[72:73], v[18:19]
	s_delay_alu instid0(VALU_DEP_4) | instskip(NEXT) | instid1(VALU_DEP_3)
	v_add_f64 v[109:110], v[111:112], -v[117:118]
	v_add_f64 v[60:61], v[60:61], v[107:108]
	s_delay_alu instid0(VALU_DEP_3) | instskip(NEXT) | instid1(VALU_DEP_3)
	v_add_f64 v[115:116], v[103:104], v[72:73]
	v_add_f64 v[64:65], v[64:65], v[109:110]
	s_delay_alu instid0(VALU_DEP_2) | instskip(NEXT) | instid1(VALU_DEP_2)
	v_cvt_i32_f64_e32 v19, v[115:116]
	v_add_f64 v[60:61], v[64:65], v[60:61]
	s_delay_alu instid0(VALU_DEP_2) | instskip(NEXT) | instid1(VALU_DEP_2)
	v_cvt_f64_i32_e32 v[113:114], v19
	v_add_f64 v[52:53], v[52:53], v[60:61]
	s_delay_alu instid0(VALU_DEP_2) | instskip(NEXT) | instid1(VALU_DEP_2)
	v_add_f64 v[72:73], v[72:73], -v[113:114]
	v_add_f64 v[52:53], v[68:69], v[52:53]
	s_delay_alu instid0(VALU_DEP_2) | instskip(NEXT) | instid1(VALU_DEP_1)
	v_add_f64 v[64:65], v[103:104], v[72:73]
	v_add_f64 v[60:61], v[64:65], -v[72:73]
	v_cmp_le_f64_e64 s3, 0.5, v[64:65]
	s_delay_alu instid0(VALU_DEP_2) | instskip(NEXT) | instid1(VALU_DEP_2)
	v_add_f64 v[60:61], v[103:104], -v[60:61]
	v_add_co_ci_u32_e64 v99, s4, 0, v19, s3
	v_cndmask_b32_e64 v19, 0, 0x3ff00000, s3
	s_delay_alu instid0(VALU_DEP_3) | instskip(NEXT) | instid1(VALU_DEP_2)
	v_add_f64 v[52:53], v[52:53], v[60:61]
	v_add_f64 v[60:61], v[64:65], -v[18:19]
	s_delay_alu instid0(VALU_DEP_1) | instskip(NEXT) | instid1(VALU_DEP_1)
	v_add_f64 v[64:65], v[60:61], v[52:53]
	v_mul_f64 v[68:69], v[64:65], s[18:19]
	v_add_f64 v[60:61], v[64:65], -v[60:61]
	s_delay_alu instid0(VALU_DEP_2) | instskip(NEXT) | instid1(VALU_DEP_2)
	v_fma_f64 v[72:73], v[64:65], s[18:19], -v[68:69]
	v_add_f64 v[52:53], v[52:53], -v[60:61]
	s_delay_alu instid0(VALU_DEP_2) | instskip(NEXT) | instid1(VALU_DEP_1)
	v_fma_f64 v[60:61], v[64:65], s[24:25], v[72:73]
	v_fma_f64 v[60:61], v[52:53], s[18:19], v[60:61]
	s_delay_alu instid0(VALU_DEP_1) | instskip(NEXT) | instid1(VALU_DEP_1)
	v_add_f64 v[52:53], v[68:69], v[60:61]
	v_add_f64 v[64:65], v[52:53], -v[68:69]
	s_delay_alu instid0(VALU_DEP_1)
	v_add_f64 v[60:61], v[60:61], -v[64:65]
.LBB144_103:                            ;   in Loop: Header=BB144_57 Depth=1
	s_and_not1_saveexec_b32 s3, s5
	s_cbranch_execz .LBB144_105
; %bb.104:                              ;   in Loop: Header=BB144_57 Depth=1
	v_mul_f64 v[52:53], |v[38:39]|, s[26:27]
	s_mov_b32 s22, s28
	s_delay_alu instid0(VALU_DEP_1) | instskip(NEXT) | instid1(VALU_DEP_1)
	v_rndne_f64_e32 v[64:65], v[52:53]
	v_fma_f64 v[52:53], v[64:65], s[20:21], |v[38:39]|
	v_mul_f64 v[60:61], v[64:65], s[28:29]
	v_cvt_i32_f64_e32 v99, v[64:65]
	s_delay_alu instid0(VALU_DEP_3) | instskip(NEXT) | instid1(VALU_DEP_3)
	v_fma_f64 v[72:73], v[64:65], s[28:29], v[52:53]
	v_add_f64 v[68:69], v[52:53], v[60:61]
	s_delay_alu instid0(VALU_DEP_1) | instskip(NEXT) | instid1(VALU_DEP_3)
	v_add_f64 v[52:53], v[52:53], -v[68:69]
	v_add_f64 v[68:69], v[68:69], -v[72:73]
	s_delay_alu instid0(VALU_DEP_2) | instskip(SKIP_1) | instid1(VALU_DEP_2)
	v_add_f64 v[52:53], v[52:53], v[60:61]
	v_fma_f64 v[60:61], v[64:65], s[22:23], v[60:61]
	v_add_f64 v[52:53], v[68:69], v[52:53]
	s_delay_alu instid0(VALU_DEP_1) | instskip(NEXT) | instid1(VALU_DEP_1)
	v_add_f64 v[52:53], v[52:53], -v[60:61]
	v_fma_f64 v[60:61], v[64:65], s[30:31], v[52:53]
	s_delay_alu instid0(VALU_DEP_1) | instskip(NEXT) | instid1(VALU_DEP_1)
	v_add_f64 v[52:53], v[72:73], v[60:61]
	v_add_f64 v[68:69], v[52:53], -v[72:73]
	s_delay_alu instid0(VALU_DEP_1)
	v_add_f64 v[60:61], v[60:61], -v[68:69]
.LBB144_105:                            ;   in Loop: Header=BB144_57 Depth=1
	s_or_b32 exec_lo, exec_lo, s3
	v_cmp_ngt_f64_e64 s5, 0x41d00000, |v[4:5]|
                                        ; implicit-def: $vgpr101
                                        ; implicit-def: $vgpr64_vgpr65
                                        ; implicit-def: $vgpr68_vgpr69
	s_delay_alu instid0(VALU_DEP_1) | instskip(NEXT) | instid1(SALU_CYCLE_1)
	s_and_saveexec_b32 s3, s5
	s_xor_b32 s6, exec_lo, s3
	s_cbranch_execz .LBB144_107
; %bb.106:                              ;   in Loop: Header=BB144_57 Depth=1
	v_ldexp_f64 v[64:65], |v[4:5]|, 0xffffff80
	v_cmp_le_f64_e64 s3, 0x7b000000, |v[4:5]|
	v_trig_preop_f64 v[68:69], |v[4:5]|, 0
	v_and_b32_e32 v19, 0x7fffffff, v5
	v_trig_preop_f64 v[72:73], |v[4:5]|, 1
	v_trig_preop_f64 v[109:110], |v[4:5]|, 2
	s_mov_b32 s18, s20
	s_mov_b32 s25, s23
	v_cndmask_b32_e64 v65, v19, v65, s3
	v_cndmask_b32_e64 v64, v4, v64, s3
	s_delay_alu instid0(VALU_DEP_1) | instskip(SKIP_2) | instid1(VALU_DEP_3)
	v_mul_f64 v[74:75], v[68:69], v[64:65]
	v_mul_f64 v[103:104], v[72:73], v[64:65]
	;; [unrolled: 1-line block ×3, first 2 shown]
	v_fma_f64 v[68:69], v[68:69], v[64:65], -v[74:75]
	s_delay_alu instid0(VALU_DEP_3) | instskip(NEXT) | instid1(VALU_DEP_3)
	v_fma_f64 v[72:73], v[72:73], v[64:65], -v[103:104]
	v_fma_f64 v[64:65], v[109:110], v[64:65], -v[115:116]
	s_delay_alu instid0(VALU_DEP_3) | instskip(NEXT) | instid1(VALU_DEP_1)
	v_add_f64 v[105:106], v[103:104], v[68:69]
	v_add_f64 v[107:108], v[105:106], -v[103:104]
	v_add_f64 v[113:114], v[74:75], v[105:106]
	s_delay_alu instid0(VALU_DEP_2) | instskip(SKIP_1) | instid1(VALU_DEP_3)
	v_add_f64 v[111:112], v[105:106], -v[107:108]
	v_add_f64 v[68:69], v[68:69], -v[107:108]
	v_ldexp_f64 v[107:108], v[113:114], -2
	v_add_f64 v[74:75], v[113:114], -v[74:75]
	s_delay_alu instid0(VALU_DEP_4) | instskip(SKIP_1) | instid1(VALU_DEP_4)
	v_add_f64 v[103:104], v[103:104], -v[111:112]
	v_add_f64 v[111:112], v[115:116], v[72:73]
	v_cmp_neq_f64_e64 s3, 0x7ff00000, |v[107:108]|
	s_delay_alu instid0(VALU_DEP_4) | instskip(NEXT) | instid1(VALU_DEP_4)
	v_add_f64 v[74:75], v[105:106], -v[74:75]
	v_add_f64 v[68:69], v[68:69], v[103:104]
	v_fract_f64_e32 v[103:104], v[107:108]
	s_delay_alu instid0(VALU_DEP_2) | instskip(NEXT) | instid1(VALU_DEP_2)
	v_add_f64 v[105:106], v[111:112], v[68:69]
	v_cndmask_b32_e64 v104, 0, v104, s3
	s_delay_alu instid0(VALU_DEP_3) | instskip(NEXT) | instid1(VALU_DEP_1)
	v_cndmask_b32_e64 v103, 0, v103, s3
	v_ldexp_f64 v[103:104], v[103:104], 2
	s_delay_alu instid0(VALU_DEP_4) | instskip(SKIP_1) | instid1(VALU_DEP_2)
	v_add_f64 v[107:108], v[74:75], v[105:106]
	v_add_f64 v[117:118], v[105:106], -v[111:112]
	v_add_f64 v[113:114], v[107:108], v[103:104]
	s_delay_alu instid0(VALU_DEP_2) | instskip(SKIP_2) | instid1(VALU_DEP_4)
	v_add_f64 v[123:124], v[105:106], -v[117:118]
	v_add_f64 v[68:69], v[68:69], -v[117:118]
	;; [unrolled: 1-line block ×3, first 2 shown]
	v_cmp_gt_f64_e64 s3, 0, v[113:114]
	v_add_f64 v[113:114], v[111:112], -v[115:116]
	s_delay_alu instid0(VALU_DEP_3) | instskip(NEXT) | instid1(VALU_DEP_3)
	v_add_f64 v[74:75], v[105:106], -v[74:75]
	v_cndmask_b32_e64 v19, 0, 0x40100000, s3
	s_delay_alu instid0(VALU_DEP_3) | instskip(SKIP_2) | instid1(VALU_DEP_4)
	v_add_f64 v[121:122], v[111:112], -v[113:114]
	v_add_f64 v[72:73], v[72:73], -v[113:114]
	;; [unrolled: 1-line block ×3, first 2 shown]
	v_add_f64 v[103:104], v[103:104], v[18:19]
	s_delay_alu instid0(VALU_DEP_4) | instskip(NEXT) | instid1(VALU_DEP_3)
	v_add_f64 v[113:114], v[115:116], -v[121:122]
	v_add_f64 v[68:69], v[68:69], v[111:112]
	s_delay_alu instid0(VALU_DEP_3) | instskip(NEXT) | instid1(VALU_DEP_3)
	v_add_f64 v[119:120], v[107:108], v[103:104]
	v_add_f64 v[72:73], v[72:73], v[113:114]
	s_delay_alu instid0(VALU_DEP_2) | instskip(NEXT) | instid1(VALU_DEP_2)
	v_cvt_i32_f64_e32 v19, v[119:120]
	v_add_f64 v[68:69], v[72:73], v[68:69]
	s_delay_alu instid0(VALU_DEP_2) | instskip(NEXT) | instid1(VALU_DEP_2)
	v_cvt_f64_i32_e32 v[117:118], v19
	v_add_f64 v[64:65], v[64:65], v[68:69]
	s_delay_alu instid0(VALU_DEP_2) | instskip(NEXT) | instid1(VALU_DEP_2)
	v_add_f64 v[103:104], v[103:104], -v[117:118]
	v_add_f64 v[64:65], v[74:75], v[64:65]
	s_delay_alu instid0(VALU_DEP_2) | instskip(NEXT) | instid1(VALU_DEP_1)
	v_add_f64 v[72:73], v[107:108], v[103:104]
	v_add_f64 v[68:69], v[72:73], -v[103:104]
	v_cmp_le_f64_e64 s3, 0.5, v[72:73]
	s_delay_alu instid0(VALU_DEP_2) | instskip(NEXT) | instid1(VALU_DEP_2)
	v_add_f64 v[68:69], v[107:108], -v[68:69]
	v_add_co_ci_u32_e64 v101, s4, 0, v19, s3
	v_cndmask_b32_e64 v19, 0, 0x3ff00000, s3
	s_delay_alu instid0(VALU_DEP_3) | instskip(NEXT) | instid1(VALU_DEP_2)
	v_add_f64 v[64:65], v[64:65], v[68:69]
	v_add_f64 v[68:69], v[72:73], -v[18:19]
	s_delay_alu instid0(VALU_DEP_1) | instskip(NEXT) | instid1(VALU_DEP_1)
	v_add_f64 v[72:73], v[68:69], v[64:65]
	v_mul_f64 v[74:75], v[72:73], s[18:19]
	v_add_f64 v[68:69], v[72:73], -v[68:69]
	s_delay_alu instid0(VALU_DEP_2) | instskip(NEXT) | instid1(VALU_DEP_2)
	v_fma_f64 v[103:104], v[72:73], s[18:19], -v[74:75]
	v_add_f64 v[64:65], v[64:65], -v[68:69]
	s_delay_alu instid0(VALU_DEP_2) | instskip(NEXT) | instid1(VALU_DEP_1)
	v_fma_f64 v[68:69], v[72:73], s[24:25], v[103:104]
	v_fma_f64 v[68:69], v[64:65], s[18:19], v[68:69]
	s_delay_alu instid0(VALU_DEP_1) | instskip(NEXT) | instid1(VALU_DEP_1)
	v_add_f64 v[64:65], v[74:75], v[68:69]
	v_add_f64 v[72:73], v[64:65], -v[74:75]
	s_delay_alu instid0(VALU_DEP_1)
	v_add_f64 v[68:69], v[68:69], -v[72:73]
	s_and_not1_saveexec_b32 s3, s6
	s_cbranch_execz .LBB144_109
	s_branch .LBB144_108
.LBB144_107:                            ;   in Loop: Header=BB144_57 Depth=1
	s_and_not1_saveexec_b32 s3, s6
	s_cbranch_execz .LBB144_109
.LBB144_108:                            ;   in Loop: Header=BB144_57 Depth=1
	v_mul_f64 v[64:65], |v[4:5]|, s[26:27]
	s_mov_b32 s22, s28
	s_delay_alu instid0(VALU_DEP_1) | instskip(NEXT) | instid1(VALU_DEP_1)
	v_rndne_f64_e32 v[72:73], v[64:65]
	v_fma_f64 v[64:65], v[72:73], s[20:21], |v[4:5]|
	v_mul_f64 v[68:69], v[72:73], s[28:29]
	v_cvt_i32_f64_e32 v101, v[72:73]
	s_delay_alu instid0(VALU_DEP_3) | instskip(NEXT) | instid1(VALU_DEP_3)
	v_fma_f64 v[103:104], v[72:73], s[28:29], v[64:65]
	v_add_f64 v[74:75], v[64:65], v[68:69]
	s_delay_alu instid0(VALU_DEP_1) | instskip(NEXT) | instid1(VALU_DEP_3)
	v_add_f64 v[64:65], v[64:65], -v[74:75]
	v_add_f64 v[74:75], v[74:75], -v[103:104]
	s_delay_alu instid0(VALU_DEP_2) | instskip(SKIP_1) | instid1(VALU_DEP_2)
	v_add_f64 v[64:65], v[64:65], v[68:69]
	v_fma_f64 v[68:69], v[72:73], s[22:23], v[68:69]
	v_add_f64 v[64:65], v[74:75], v[64:65]
	s_delay_alu instid0(VALU_DEP_1) | instskip(NEXT) | instid1(VALU_DEP_1)
	v_add_f64 v[64:65], v[64:65], -v[68:69]
	v_fma_f64 v[68:69], v[72:73], s[30:31], v[64:65]
	s_delay_alu instid0(VALU_DEP_1) | instskip(NEXT) | instid1(VALU_DEP_1)
	v_add_f64 v[64:65], v[103:104], v[68:69]
	v_add_f64 v[74:75], v[64:65], -v[103:104]
	s_delay_alu instid0(VALU_DEP_1)
	v_add_f64 v[68:69], v[68:69], -v[74:75]
.LBB144_109:                            ;   in Loop: Header=BB144_57 Depth=1
	s_or_b32 exec_lo, exec_lo, s3
                                        ; implicit-def: $vgpr103
                                        ; implicit-def: $vgpr72_vgpr73
                                        ; implicit-def: $vgpr74_vgpr75
	s_and_saveexec_b32 s3, s5
	s_delay_alu instid0(SALU_CYCLE_1)
	s_xor_b32 s5, exec_lo, s3
	s_cbranch_execz .LBB144_115
; %bb.110:                              ;   in Loop: Header=BB144_57 Depth=1
	v_ldexp_f64 v[72:73], |v[4:5]|, 0xffffff80
	v_cmp_le_f64_e64 s3, 0x7b000000, |v[4:5]|
	v_trig_preop_f64 v[74:75], |v[4:5]|, 0
	v_and_b32_e32 v19, 0x7fffffff, v5
	v_trig_preop_f64 v[103:104], |v[4:5]|, 1
	v_trig_preop_f64 v[113:114], |v[4:5]|, 2
	s_mov_b32 s18, s20
	s_mov_b32 s25, s23
	v_cndmask_b32_e64 v73, v19, v73, s3
	v_cndmask_b32_e64 v72, v4, v72, s3
	s_delay_alu instid0(VALU_DEP_1) | instskip(SKIP_2) | instid1(VALU_DEP_3)
	v_mul_f64 v[105:106], v[74:75], v[72:73]
	v_mul_f64 v[107:108], v[103:104], v[72:73]
	;; [unrolled: 1-line block ×3, first 2 shown]
	v_fma_f64 v[74:75], v[74:75], v[72:73], -v[105:106]
	s_delay_alu instid0(VALU_DEP_3) | instskip(NEXT) | instid1(VALU_DEP_3)
	v_fma_f64 v[103:104], v[103:104], v[72:73], -v[107:108]
	v_fma_f64 v[72:73], v[113:114], v[72:73], -v[119:120]
	s_delay_alu instid0(VALU_DEP_3) | instskip(NEXT) | instid1(VALU_DEP_1)
	v_add_f64 v[109:110], v[107:108], v[74:75]
	v_add_f64 v[111:112], v[109:110], -v[107:108]
	v_add_f64 v[117:118], v[105:106], v[109:110]
	s_delay_alu instid0(VALU_DEP_2) | instskip(SKIP_1) | instid1(VALU_DEP_3)
	v_add_f64 v[115:116], v[109:110], -v[111:112]
	v_add_f64 v[74:75], v[74:75], -v[111:112]
	v_ldexp_f64 v[111:112], v[117:118], -2
	v_add_f64 v[105:106], v[117:118], -v[105:106]
	s_delay_alu instid0(VALU_DEP_4) | instskip(SKIP_1) | instid1(VALU_DEP_4)
	v_add_f64 v[107:108], v[107:108], -v[115:116]
	v_add_f64 v[115:116], v[119:120], v[103:104]
	v_cmp_neq_f64_e64 s3, 0x7ff00000, |v[111:112]|
	s_delay_alu instid0(VALU_DEP_4) | instskip(NEXT) | instid1(VALU_DEP_4)
	v_add_f64 v[105:106], v[109:110], -v[105:106]
	v_add_f64 v[74:75], v[74:75], v[107:108]
	v_fract_f64_e32 v[107:108], v[111:112]
	s_delay_alu instid0(VALU_DEP_2) | instskip(NEXT) | instid1(VALU_DEP_2)
	v_add_f64 v[109:110], v[115:116], v[74:75]
	v_cndmask_b32_e64 v108, 0, v108, s3
	s_delay_alu instid0(VALU_DEP_3) | instskip(NEXT) | instid1(VALU_DEP_1)
	v_cndmask_b32_e64 v107, 0, v107, s3
	v_ldexp_f64 v[107:108], v[107:108], 2
	s_delay_alu instid0(VALU_DEP_4) | instskip(SKIP_1) | instid1(VALU_DEP_2)
	v_add_f64 v[111:112], v[105:106], v[109:110]
	v_add_f64 v[121:122], v[109:110], -v[115:116]
	v_add_f64 v[117:118], v[111:112], v[107:108]
	s_delay_alu instid0(VALU_DEP_2) | instskip(SKIP_2) | instid1(VALU_DEP_4)
	v_add_f64 v[127:128], v[109:110], -v[121:122]
	v_add_f64 v[74:75], v[74:75], -v[121:122]
	;; [unrolled: 1-line block ×3, first 2 shown]
	v_cmp_gt_f64_e64 s3, 0, v[117:118]
	v_add_f64 v[117:118], v[115:116], -v[119:120]
	s_delay_alu instid0(VALU_DEP_2) | instskip(NEXT) | instid1(VALU_DEP_2)
	v_cndmask_b32_e64 v19, 0, 0x40100000, s3
	v_add_f64 v[125:126], v[115:116], -v[117:118]
	v_add_f64 v[103:104], v[103:104], -v[117:118]
	;; [unrolled: 1-line block ×3, first 2 shown]
	s_delay_alu instid0(VALU_DEP_4) | instskip(NEXT) | instid1(VALU_DEP_4)
	v_add_f64 v[107:108], v[107:108], v[18:19]
	v_add_f64 v[117:118], v[119:120], -v[125:126]
	s_delay_alu instid0(VALU_DEP_3) | instskip(NEXT) | instid1(VALU_DEP_3)
	v_add_f64 v[74:75], v[74:75], v[115:116]
	v_add_f64 v[123:124], v[111:112], v[107:108]
	s_delay_alu instid0(VALU_DEP_3) | instskip(NEXT) | instid1(VALU_DEP_2)
	v_add_f64 v[103:104], v[103:104], v[117:118]
	v_cvt_i32_f64_e32 v19, v[123:124]
	s_delay_alu instid0(VALU_DEP_2) | instskip(SKIP_1) | instid1(VALU_DEP_3)
	v_add_f64 v[74:75], v[103:104], v[74:75]
	v_add_f64 v[103:104], v[109:110], -v[105:106]
	v_cvt_f64_i32_e32 v[121:122], v19
	s_delay_alu instid0(VALU_DEP_3) | instskip(NEXT) | instid1(VALU_DEP_2)
	v_add_f64 v[72:73], v[72:73], v[74:75]
	v_add_f64 v[107:108], v[107:108], -v[121:122]
	s_delay_alu instid0(VALU_DEP_2) | instskip(NEXT) | instid1(VALU_DEP_2)
	v_add_f64 v[72:73], v[103:104], v[72:73]
	v_add_f64 v[113:114], v[111:112], v[107:108]
	s_delay_alu instid0(VALU_DEP_1) | instskip(SKIP_1) | instid1(VALU_DEP_2)
	v_add_f64 v[74:75], v[113:114], -v[107:108]
	v_cmp_le_f64_e64 s3, 0.5, v[113:114]
	v_add_f64 v[74:75], v[111:112], -v[74:75]
	s_delay_alu instid0(VALU_DEP_2) | instskip(SKIP_1) | instid1(VALU_DEP_3)
	v_add_co_ci_u32_e64 v103, s4, 0, v19, s3
	v_cndmask_b32_e64 v19, 0, 0x3ff00000, s3
	v_add_f64 v[72:73], v[72:73], v[74:75]
	s_delay_alu instid0(VALU_DEP_2) | instskip(NEXT) | instid1(VALU_DEP_1)
	v_add_f64 v[74:75], v[113:114], -v[18:19]
	v_add_f64 v[104:105], v[74:75], v[72:73]
	s_delay_alu instid0(VALU_DEP_1) | instskip(SKIP_1) | instid1(VALU_DEP_2)
	v_mul_f64 v[106:107], v[104:105], s[18:19]
	v_add_f64 v[74:75], v[104:105], -v[74:75]
	v_fma_f64 v[108:109], v[104:105], s[18:19], -v[106:107]
	s_delay_alu instid0(VALU_DEP_2) | instskip(NEXT) | instid1(VALU_DEP_2)
	v_add_f64 v[72:73], v[72:73], -v[74:75]
	v_fma_f64 v[74:75], v[104:105], s[24:25], v[108:109]
	s_delay_alu instid0(VALU_DEP_1) | instskip(NEXT) | instid1(VALU_DEP_1)
	v_fma_f64 v[74:75], v[72:73], s[18:19], v[74:75]
	v_add_f64 v[72:73], v[106:107], v[74:75]
	s_delay_alu instid0(VALU_DEP_1) | instskip(NEXT) | instid1(VALU_DEP_1)
	v_add_f64 v[104:105], v[72:73], -v[106:107]
	v_add_f64 v[74:75], v[74:75], -v[104:105]
	s_and_not1_saveexec_b32 s3, s5
	s_cbranch_execnz .LBB144_116
.LBB144_111:                            ;   in Loop: Header=BB144_57 Depth=1
	s_or_b32 exec_lo, exec_lo, s3
	s_and_saveexec_b32 s3, s2
	s_delay_alu instid0(SALU_CYCLE_1)
	s_xor_b32 s18, exec_lo, s3
	s_cbranch_execz .LBB144_117
.LBB144_112:                            ;   in Loop: Header=BB144_57 Depth=1
	s_mov_b32 s2, 0x652b82fe
	s_mov_b32 s3, 0x3ff71547
	v_mul_f64 v[112:113], v[22:23], v[22:23]
	v_mul_f64 v[104:105], v[14:15], s[2:3]
	s_mov_b32 s2, 0x3b39803f
	s_mov_b32 s3, 0xbc7abc9e
	;; [unrolled: 1-line block ×4, first 2 shown]
	v_mul_f64 v[116:117], v[32:33], v[32:33]
	v_mul_f64 v[122:123], v[44:45], v[44:45]
	s_mov_b32 s75, s53
	s_mov_b32 s77, s55
	s_mov_b32 s89, s69
	s_mov_b32 s103, s53
	v_mul_f64 v[134:135], v[26:27], 0.5
	s_mov_b32 s79, s57
	s_mov_b32 s101, s55
	;; [unrolled: 1-line block ×3, first 2 shown]
	v_cmp_class_f64_e64 s4, v[20:21], 0x1f8
	s_mov_b32 s80, s36
	v_cmp_nlt_f64_e64 s7, 0x40900000, v[14:15]
	v_cmp_nlt_f64_e64 s5, s[80:81], v[14:15]
	v_cmp_ngt_f64_e64 s6, 0xc0428000, v[14:15]
	v_cmp_ngt_f64_e64 s8, 0xc090cc00, v[14:15]
	v_fma_f64 v[114:115], v[112:113], s[94:95], s[92:93]
	v_rndne_f64_e32 v[104:105], v[104:105]
	v_fma_f64 v[118:119], v[112:113], s[84:85], s[82:83]
	v_mul_f64 v[120:121], v[112:113], 0.5
	v_mul_f64 v[136:137], v[22:23], -v[112:113]
	v_mul_f64 v[150:151], v[112:113], v[112:113]
	v_fma_f64 v[124:125], v[116:117], s[94:95], s[92:93]
	v_fma_f64 v[128:129], v[122:123], s[94:95], s[92:93]
	;; [unrolled: 1-line block ×3, first 2 shown]
	v_mul_f64 v[132:133], v[116:117], 0.5
	v_mul_f64 v[140:141], v[122:123], 0.5
	v_fma_f64 v[142:143], v[122:123], s[84:85], s[82:83]
	v_mul_f64 v[146:147], v[32:33], -v[116:117]
	v_fma_f64 v[114:115], v[112:113], v[114:115], s[96:97]
	v_fma_f64 v[106:107], v[104:105], s[36:37], v[14:15]
	;; [unrolled: 1-line block ×3, first 2 shown]
	v_add_f64 v[126:127], -v[120:121], 1.0
	v_cvt_i32_f64_e32 v154, v[104:105]
	v_fma_f64 v[124:125], v[116:117], v[124:125], s[96:97]
	v_fma_f64 v[128:129], v[122:123], v[128:129], s[96:97]
	;; [unrolled: 1-line block ×3, first 2 shown]
	v_add_f64 v[144:145], -v[132:133], 1.0
	v_fma_f64 v[114:115], v[112:113], v[114:115], s[98:99]
	v_fma_f64 v[106:107], v[104:105], s[2:3], v[106:107]
	;; [unrolled: 1-line block ×3, first 2 shown]
	v_add_f64 v[138:139], -v[126:127], 1.0
	v_cmp_eq_f64_e64 s2, 0x40900000, v[104:105]
	v_fma_f64 v[124:125], v[116:117], v[124:125], s[98:99]
	v_fma_f64 v[128:129], v[122:123], v[128:129], s[98:99]
	v_fma_f64 v[130:131], v[116:117], v[130:131], s[88:89]
	v_add_f64 v[148:149], -v[144:145], 1.0
	v_fma_f64 v[114:115], v[112:113], v[114:115], s[102:103]
	v_fma_f64 v[108:109], v[106:107], s[62:63], s[60:61]
	;; [unrolled: 1-line block ×4, first 2 shown]
	v_add_f64 v[120:121], v[138:139], -v[120:121]
	v_fma_f64 v[138:139], v[122:123], v[142:143], s[86:87]
	v_mul_f64 v[142:143], v[34:35], 0.5
	v_fma_f64 v[124:125], v[116:117], v[124:125], s[102:103]
	v_fma_f64 v[128:129], v[122:123], v[128:129], s[102:103]
	;; [unrolled: 1-line block ×3, first 2 shown]
	v_add_f64 v[130:131], v[148:149], -v[132:133]
	v_cndmask_b32_e64 v19, v154, 0x3ff, s2
	s_delay_alu instid0(VALU_DEP_1) | instskip(SKIP_1) | instid1(VALU_DEP_1)
	v_ldexp_f64 v[132:133], 1.0, v19
	v_and_b32_e32 v19, 1, v92
	v_cmp_eq_u32_e64 s3, 0, v19
	v_lshlrev_b32_e32 v19, 30, v92
	s_delay_alu instid0(VALU_DEP_1) | instskip(NEXT) | instid1(VALU_DEP_1)
	v_xor_b32_e32 v92, v19, v21
	v_and_b32_e32 v92, 0x80000000, v92
	v_fma_f64 v[114:115], v[136:137], v[114:115], v[134:135]
	v_fma_f64 v[108:109], v[106:107], v[108:109], s[64:65]
	;; [unrolled: 1-line block ×3, first 2 shown]
	v_add_f64 v[134:135], -v[140:141], 1.0
	v_fma_f64 v[118:119], v[112:113], v[118:119], s[100:101]
	v_fma_f64 v[120:121], v[22:23], -v[26:27], v[120:121]
	v_fma_f64 v[138:139], v[122:123], v[138:139], s[88:89]
	v_fma_f64 v[124:125], v[146:147], v[124:125], v[142:143]
	;; [unrolled: 1-line block ×3, first 2 shown]
	v_fma_f64 v[130:131], v[32:33], -v[34:35], v[130:131]
	v_fma_f64 v[26:27], v[112:113], v[114:115], -v[26:27]
	v_fma_f64 v[108:109], v[106:107], v[108:109], s[66:67]
	v_fma_f64 v[110:111], v[106:107], v[110:111], s[46:47]
	v_mul_f64 v[112:113], v[50:51], 0.5
	v_mul_f64 v[114:115], v[44:45], -v[122:123]
	v_add_f64 v[152:153], -v[134:135], 1.0
	v_fma_f64 v[118:119], v[150:151], v[118:119], v[120:121]
	v_fma_f64 v[120:121], v[122:123], v[138:139], s[90:91]
	v_fma_f64 v[34:35], v[116:117], v[124:125], -v[34:35]
	v_fma_f64 v[26:27], v[136:137], s[34:35], v[26:27]
	v_fma_f64 v[108:109], v[106:107], v[108:109], s[68:69]
	;; [unrolled: 1-line block ×4, first 2 shown]
	v_add_f64 v[136:137], v[152:153], -v[140:141]
	v_mul_f64 v[128:129], v[116:117], v[116:117]
	v_add_f64 v[116:117], v[132:133], -1.0
	v_add_f64 v[118:119], v[126:127], v[118:119]
	v_fma_f64 v[120:121], v[122:123], v[120:121], s[100:101]
	v_fma_f64 v[34:35], v[146:147], s[34:35], v[34:35]
	v_add_f64 v[22:23], v[22:23], -v[26:27]
	v_fma_f64 v[108:109], v[106:107], v[108:109], s[70:71]
	v_fma_f64 v[110:111], v[106:107], v[110:111], s[50:51]
	v_fma_f64 v[124:125], v[44:45], -v[50:51], v[136:137]
	v_fma_f64 v[50:51], v[122:123], v[112:113], -v[50:51]
	v_fma_f64 v[104:105], v[128:129], v[104:105], v[130:131]
	v_add_f64 v[32:33], v[32:33], -v[34:35]
	v_cndmask_b32_e64 v112, v118, v22, s3
	v_fma_f64 v[108:109], v[106:107], v[108:109], s[72:73]
	v_fma_f64 v[110:111], v[106:107], v[110:111], s[52:53]
	v_cndmask_b32_e64 v23, v119, v23, s3
	v_fma_f64 v[21:22], v[114:115], s[34:35], v[50:51]
	v_add_f64 v[50:51], v[144:145], v[104:105]
	s_delay_alu instid0(VALU_DEP_3) | instskip(SKIP_2) | instid1(VALU_DEP_3)
	v_xor_b32_e32 v23, v23, v92
	v_cndmask_b32_e64 v104, 0, v112, s4
	v_xor_b32_e32 v33, 0x80000000, v33
	v_cndmask_b32_e64 v105, 0x7ff80000, v23, s4
	v_cmp_class_f64_e64 s4, v[16:17], 0x1f8
	v_and_b32_e32 v23, 1, v93
	v_lshlrev_b32_e32 v16, 30, v97
	s_delay_alu instid0(VALU_DEP_2) | instskip(NEXT) | instid1(VALU_DEP_2)
	v_cmp_eq_u32_e64 s3, 0, v23
	v_xor_b32_e32 v16, v16, v17
	s_delay_alu instid0(VALU_DEP_1)
	v_and_b32_e32 v16, 0x80000000, v16
	v_fma_f64 v[108:109], v[106:107], v[108:109], s[74:75]
	v_fma_f64 v[110:111], v[106:107], v[110:111], s[54:55]
	v_add_f64 v[21:22], v[44:45], -v[21:22]
	v_cndmask_b32_e64 v23, v32, v50, s3
	v_lshlrev_b32_e32 v44, 30, v93
	v_cndmask_b32_e64 v33, v33, v51, s3
	s_delay_alu instid0(VALU_DEP_2) | instskip(NEXT) | instid1(VALU_DEP_1)
	v_and_b32_e32 v17, 0x80000000, v44
	v_xor_b32_e32 v17, v33, v17
	s_delay_alu instid0(VALU_DEP_1) | instskip(SKIP_2) | instid1(VALU_DEP_2)
	v_cndmask_b32_e64 v17, 0x7ff80000, v17, s4
	v_fma_f64 v[108:109], v[106:107], v[108:109], s[76:77]
	v_fma_f64 v[110:111], v[106:107], v[110:111], s[56:57]
	;; [unrolled: 1-line block ×3, first 2 shown]
	s_delay_alu instid0(VALU_DEP_2) | instskip(NEXT) | instid1(VALU_DEP_2)
	v_fma_f64 v[110:111], v[106:107], v[110:111], s[58:59]
	v_fma_f64 v[108:109], v[106:107], v[108:109], 0.5
	s_delay_alu instid0(VALU_DEP_2) | instskip(SKIP_1) | instid1(VALU_DEP_3)
	v_fma_f64 v[26:27], v[106:107], v[110:111], 1.0
	v_mul_f64 v[110:111], v[122:123], v[122:123]
	v_mul_f64 v[108:109], v[106:107], v[108:109]
	s_delay_alu instid0(VALU_DEP_3) | instskip(NEXT) | instid1(VALU_DEP_3)
	v_fma_f64 v[26:27], v[106:107], v[26:27], 1.0
	v_fma_f64 v[19:20], v[110:111], v[120:121], v[124:125]
	s_delay_alu instid0(VALU_DEP_3) | instskip(SKIP_1) | instid1(VALU_DEP_3)
	v_fma_f64 v[108:109], v[106:107], v[108:109], v[106:107]
	v_add_f64 v[106:107], v[104:105], v[104:105]
	v_add_f64 v[19:20], v[134:135], v[19:20]
	v_ldexp_f64 v[26:27], v[26:27], v154
	s_delay_alu instid0(VALU_DEP_4) | instskip(NEXT) | instid1(VALU_DEP_4)
	v_fma_f64 v[108:109], v[132:133], v[108:109], v[116:117]
	v_mul_f64 v[14:15], v[106:107], v[104:105]
	s_delay_alu instid0(VALU_DEP_3) | instskip(NEXT) | instid1(VALU_DEP_3)
	v_cndmask_b32_e64 v27, 0x7ff00000, v27, s7
	v_add_f64 v[34:35], v[108:109], v[108:109]
	s_delay_alu instid0(VALU_DEP_1) | instskip(SKIP_1) | instid1(VALU_DEP_2)
	v_cndmask_b32_e64 v32, v109, v35, s2
	v_and_b32_e32 v35, 1, v97
	v_cndmask_b32_e64 v32, 0x7ff00000, v32, s5
	s_delay_alu instid0(VALU_DEP_2) | instskip(NEXT) | instid1(VALU_DEP_2)
	v_cmp_eq_u32_e64 s9, 0, v35
	v_cndmask_b32_e64 v33, 0xbff00000, v32, s6
	s_delay_alu instid0(VALU_DEP_2)
	v_cndmask_b32_e64 v20, v20, v22, s9
	v_cndmask_b32_e64 v19, v19, v21, s9
	;; [unrolled: 1-line block ×3, first 2 shown]
	s_and_b32 s2, s6, s5
	v_cndmask_b32_e64 v22, 0, v27, s8
	v_xor_b32_e32 v20, v20, v16
	v_cndmask_b32_e64 v16, 0, v23, s4
	v_cndmask_b32_e64 v32, 0, v21, s2
	s_and_b32 s2, s8, s7
	v_cndmask_b32_e64 v19, 0, v19, s4
	v_cndmask_b32_e64 v20, 0x7ff80000, v20, s4
	;; [unrolled: 1-line block ×3, first 2 shown]
	v_fma_f64 v[14:15], v[32:33], v[16:17], -v[14:15]
	s_delay_alu instid0(VALU_DEP_2) | instskip(SKIP_1) | instid1(VALU_DEP_1)
	v_mul_f64 v[16:17], v[21:22], v[19:20]
	v_add_co_u32 v19, s2, v78, s12
	v_add_co_ci_u32_e64 v20, s2, s13, v79, s2
	global_store_b128 v[19:20], v[14:17], off offset:-8
	s_or_b32 exec_lo, exec_lo, s18
	s_and_saveexec_b32 s9, s1
	s_cbranch_execnz .LBB144_118
.LBB144_113:                            ;   in Loop: Header=BB144_57 Depth=1
	s_or_b32 exec_lo, exec_lo, s9
	s_and_saveexec_b32 s8, s0
	s_cbranch_execz .LBB144_119
.LBB144_114:                            ;   in Loop: Header=BB144_57 Depth=1
	s_mov_b32 s0, 0x652b82fe
	s_mov_b32 s1, 0x3ff71547
	v_mul_f64 v[19:20], v[40:41], v[40:41]
	v_mul_f64 v[10:11], v[6:7], s[0:1]
	s_mov_b32 s0, 0x3b39803f
	s_mov_b32 s1, 0xbc7abc9e
	;; [unrolled: 1-line block ×4, first 2 shown]
	v_mul_f64 v[23:24], v[54:55], v[54:55]
	v_mul_f64 v[32:33], v[66:67], v[66:67]
	s_mov_b32 s75, s53
	s_mov_b32 s77, s55
	;; [unrolled: 1-line block ×4, first 2 shown]
	v_mul_f64 v[50:51], v[48:49], 0.5
	s_mov_b32 s79, s57
	s_mov_b32 s101, s55
	;; [unrolled: 1-line block ×3, first 2 shown]
	v_cmp_class_f64_e64 s2, v[28:29], 0x1f8
	s_mov_b32 s80, s36
	v_cmp_nlt_f64_e64 s5, 0x40900000, v[6:7]
	v_cmp_nlt_f64_e64 s3, s[80:81], v[6:7]
	v_cmp_ngt_f64_e64 s4, 0xc0428000, v[6:7]
	v_cmp_ngt_f64_e64 s6, 0xc090cc00, v[6:7]
	v_fma_f64 v[21:22], v[19:20], s[94:95], s[92:93]
	v_rndne_f64_e32 v[10:11], v[10:11]
	v_fma_f64 v[25:26], v[19:20], s[84:85], s[82:83]
	v_mul_f64 v[30:31], v[19:20], 0.5
	v_mul_f64 v[56:57], v[40:41], -v[19:20]
	v_mul_f64 v[110:111], v[19:20], v[19:20]
	v_fma_f64 v[34:35], v[23:24], s[94:95], s[92:93]
	v_fma_f64 v[42:43], v[32:33], s[94:95], s[92:93]
	;; [unrolled: 1-line block ×3, first 2 shown]
	v_mul_f64 v[46:47], v[23:24], 0.5
	v_mul_f64 v[92:93], v[32:33], 0.5
	v_fma_f64 v[94:95], v[32:33], s[84:85], s[82:83]
	v_mul_f64 v[106:107], v[54:55], -v[23:24]
	v_fma_f64 v[21:22], v[19:20], v[21:22], s[96:97]
	v_fma_f64 v[12:13], v[10:11], s[36:37], v[6:7]
	;; [unrolled: 1-line block ×3, first 2 shown]
	v_add_f64 v[36:37], -v[30:31], 1.0
	v_cvt_i32_f64_e32 v27, v[10:11]
	v_fma_f64 v[34:35], v[23:24], v[34:35], s[96:97]
	v_fma_f64 v[42:43], v[32:33], v[42:43], s[96:97]
	;; [unrolled: 1-line block ×3, first 2 shown]
	v_add_f64 v[104:105], -v[46:47], 1.0
	v_fma_f64 v[21:22], v[19:20], v[21:22], s[98:99]
	v_fma_f64 v[12:13], v[10:11], s[0:1], v[12:13]
	v_fma_f64 v[25:26], v[19:20], v[25:26], s[88:89]
	v_add_f64 v[62:63], -v[36:37], 1.0
	v_cmp_eq_f64_e64 s0, 0x40900000, v[10:11]
	v_fma_f64 v[34:35], v[23:24], v[34:35], s[98:99]
	v_fma_f64 v[42:43], v[32:33], v[42:43], s[98:99]
	v_fma_f64 v[44:45], v[23:24], v[44:45], s[88:89]
	v_add_f64 v[108:109], -v[104:105], 1.0
	v_fma_f64 v[21:22], v[19:20], v[21:22], s[102:103]
	v_fma_f64 v[14:15], v[12:13], s[62:63], s[60:61]
	;; [unrolled: 1-line block ×4, first 2 shown]
	v_add_f64 v[30:31], v[62:63], -v[30:31]
	v_fma_f64 v[62:63], v[32:33], v[94:95], s[86:87]
	v_mul_f64 v[94:95], v[58:59], 0.5
	v_fma_f64 v[34:35], v[23:24], v[34:35], s[102:103]
	v_fma_f64 v[42:43], v[32:33], v[42:43], s[102:103]
	v_cndmask_b32_e64 v97, v27, 0x3ff, s0
	v_fma_f64 v[10:11], v[23:24], v[44:45], s[90:91]
	v_add_f64 v[44:45], v[108:109], -v[46:47]
	s_delay_alu instid0(VALU_DEP_3)
	v_ldexp_f64 v[46:47], 1.0, v97
	v_fma_f64 v[21:22], v[56:57], v[21:22], v[50:51]
	v_fma_f64 v[14:15], v[12:13], v[14:15], s[64:65]
	;; [unrolled: 1-line block ×3, first 2 shown]
	v_add_f64 v[50:51], -v[92:93], 1.0
	v_fma_f64 v[25:26], v[19:20], v[25:26], s[100:101]
	v_fma_f64 v[30:31], v[40:41], -v[48:49], v[30:31]
	v_fma_f64 v[62:63], v[32:33], v[62:63], s[88:89]
	v_fma_f64 v[34:35], v[106:107], v[34:35], v[94:95]
	;; [unrolled: 1-line block ×3, first 2 shown]
	v_fma_f64 v[44:45], v[54:55], -v[58:59], v[44:45]
	v_fma_f64 v[19:20], v[19:20], v[21:22], -v[48:49]
	v_fma_f64 v[14:15], v[12:13], v[14:15], s[66:67]
	v_fma_f64 v[16:17], v[12:13], v[16:17], s[46:47]
	v_mul_f64 v[21:22], v[70:71], 0.5
	v_mul_f64 v[48:49], v[66:67], -v[32:33]
	v_add_f64 v[112:113], -v[50:51], 1.0
	v_fma_f64 v[25:26], v[110:111], v[25:26], v[30:31]
	v_fma_f64 v[30:31], v[32:33], v[62:63], s[90:91]
	;; [unrolled: 1-line block ×6, first 2 shown]
	v_add_f64 v[56:57], v[112:113], -v[92:93]
	v_mul_f64 v[42:43], v[23:24], v[23:24]
	v_fma_f64 v[23:24], v[23:24], v[34:35], -v[58:59]
	v_add_f64 v[34:35], v[46:47], -1.0
	v_add_f64 v[25:26], v[36:37], v[25:26]
	v_mul_f64 v[36:37], v[32:33], v[32:33]
	v_fma_f64 v[30:31], v[32:33], v[30:31], s[100:101]
	v_add_f64 v[19:20], v[40:41], -v[19:20]
	v_fma_f64 v[14:15], v[12:13], v[14:15], s[70:71]
	v_fma_f64 v[16:17], v[12:13], v[16:17], s[50:51]
	v_fma_f64 v[21:22], v[32:33], v[21:22], -v[70:71]
	v_fma_f64 v[40:41], v[66:67], -v[70:71], v[56:57]
	v_and_b32_e32 v32, 1, v96
	v_fma_f64 v[10:11], v[42:43], v[10:11], v[44:45]
	v_fma_f64 v[23:24], v[106:107], s[34:35], v[23:24]
	s_delay_alu instid0(VALU_DEP_3) | instskip(NEXT) | instid1(VALU_DEP_1)
	v_cmp_eq_u32_e64 s1, 0, v32
	v_cndmask_b32_e64 v25, v25, v19, s1
	v_fma_f64 v[14:15], v[12:13], v[14:15], s[72:73]
	v_fma_f64 v[16:17], v[12:13], v[16:17], s[52:53]
	v_cndmask_b32_e64 v26, v26, v20, s1
	v_fma_f64 v[21:22], v[48:49], s[34:35], v[21:22]
	v_cndmask_b32_e64 v25, 0, v25, s2
	v_add_f64 v[10:11], v[104:105], v[10:11]
	v_add_f64 v[23:24], v[54:55], -v[23:24]
	v_fma_f64 v[14:15], v[12:13], v[14:15], s[74:75]
	v_fma_f64 v[16:17], v[12:13], v[16:17], s[54:55]
	v_add_f64 v[21:22], v[66:67], -v[21:22]
	s_delay_alu instid0(VALU_DEP_4) | instskip(NEXT) | instid1(VALU_DEP_4)
	v_xor_b32_e32 v24, 0x80000000, v24
	v_fma_f64 v[14:15], v[12:13], v[14:15], s[76:77]
	s_delay_alu instid0(VALU_DEP_4) | instskip(NEXT) | instid1(VALU_DEP_2)
	v_fma_f64 v[16:17], v[12:13], v[16:17], s[56:57]
	v_fma_f64 v[14:15], v[12:13], v[14:15], s[78:79]
	s_delay_alu instid0(VALU_DEP_2) | instskip(NEXT) | instid1(VALU_DEP_2)
	v_fma_f64 v[16:17], v[12:13], v[16:17], s[58:59]
	v_fma_f64 v[14:15], v[12:13], v[14:15], 0.5
	s_delay_alu instid0(VALU_DEP_2) | instskip(NEXT) | instid1(VALU_DEP_2)
	v_fma_f64 v[16:17], v[12:13], v[16:17], 1.0
	v_mul_f64 v[14:15], v[12:13], v[14:15]
	s_delay_alu instid0(VALU_DEP_1) | instskip(NEXT) | instid1(VALU_DEP_3)
	v_fma_f64 v[14:15], v[12:13], v[14:15], v[12:13]
	v_fma_f64 v[12:13], v[12:13], v[16:17], 1.0
	v_lshlrev_b32_e32 v16, 30, v96
	s_delay_alu instid0(VALU_DEP_1) | instskip(SKIP_2) | instid1(VALU_DEP_3)
	v_xor_b32_e32 v19, v16, v29
	v_fma_f64 v[16:17], v[36:37], v[30:31], v[40:41]
	v_and_b32_e32 v29, 1, v98
	v_and_b32_e32 v28, 0x80000000, v19
	s_delay_alu instid0(VALU_DEP_2) | instskip(NEXT) | instid1(VALU_DEP_2)
	v_cmp_eq_u32_e64 s1, 0, v29
	v_xor_b32_e32 v26, v26, v28
	s_delay_alu instid0(VALU_DEP_2) | instskip(SKIP_2) | instid1(VALU_DEP_4)
	v_cndmask_b32_e64 v10, v23, v10, s1
	v_lshlrev_b32_e32 v23, 30, v98
	v_cndmask_b32_e64 v11, v24, v11, s1
	v_cndmask_b32_e64 v26, 0x7ff80000, v26, s2
	v_cmp_class_f64_e64 s2, v[8:9], 0x1f8
	v_lshlrev_b32_e32 v8, 30, v102
	s_delay_alu instid0(VALU_DEP_1) | instskip(SKIP_1) | instid1(VALU_DEP_2)
	v_xor_b32_e32 v8, v8, v9
	v_and_b32_e32 v9, 0x80000000, v23
	v_and_b32_e32 v8, 0x80000000, v8
	s_delay_alu instid0(VALU_DEP_2)
	v_xor_b32_e32 v9, v11, v9
	v_fma_f64 v[14:15], v[46:47], v[14:15], v[34:35]
	v_ldexp_f64 v[12:13], v[12:13], v27
	v_add_f64 v[27:28], v[25:26], v[25:26]
	v_add_f64 v[16:17], v[50:51], v[16:17]
	v_cndmask_b32_e64 v9, 0x7ff80000, v9, s2
	v_add_f64 v[19:20], v[14:15], v[14:15]
	v_cndmask_b32_e64 v13, 0x7ff00000, v13, s5
	v_mul_f64 v[6:7], v[27:28], v[25:26]
	s_delay_alu instid0(VALU_DEP_2) | instskip(NEXT) | instid1(VALU_DEP_4)
	v_cndmask_b32_e64 v13, 0, v13, s6
	v_cndmask_b32_e64 v15, v15, v20, s0
	v_and_b32_e32 v20, 1, v102
	v_cndmask_b32_e64 v14, v14, v19, s0
	s_and_b32 s0, s4, s3
	s_delay_alu instid0(VALU_DEP_3) | instskip(NEXT) | instid1(VALU_DEP_3)
	v_cndmask_b32_e64 v15, 0x7ff00000, v15, s3
	v_cmp_eq_u32_e64 s7, 0, v20
	s_delay_alu instid0(VALU_DEP_3) | instskip(SKIP_1) | instid1(SALU_CYCLE_1)
	v_cndmask_b32_e64 v14, 0, v14, s0
	s_and_b32 s0, s6, s5
	v_cndmask_b32_e64 v12, 0, v12, s0
	s_delay_alu instid0(VALU_DEP_3) | instskip(SKIP_2) | instid1(VALU_DEP_3)
	v_cndmask_b32_e64 v17, v17, v22, s7
	v_cndmask_b32_e64 v16, v16, v21, s7
	;; [unrolled: 1-line block ×3, first 2 shown]
	v_xor_b32_e32 v11, v17, v8
	v_cndmask_b32_e64 v8, 0, v10, s2
	s_delay_alu instid0(VALU_DEP_4) | instskip(NEXT) | instid1(VALU_DEP_3)
	v_cndmask_b32_e64 v10, 0, v16, s2
	v_cndmask_b32_e64 v11, 0x7ff80000, v11, s2
	s_delay_alu instid0(VALU_DEP_3) | instskip(NEXT) | instid1(VALU_DEP_2)
	v_fma_f64 v[6:7], v[14:15], v[8:9], -v[6:7]
	v_mul_f64 v[8:9], v[12:13], v[10:11]
	v_add_co_u32 v10, s0, v90, s12
	s_delay_alu instid0(VALU_DEP_1)
	v_add_co_ci_u32_e64 v11, s0, s13, v91, s0
	global_store_b128 v[10:11], v[6:9], off offset:-8
	s_or_b32 exec_lo, exec_lo, s8
	s_and_saveexec_b32 s7, vcc_lo
	s_cbranch_execz .LBB144_56
	s_branch .LBB144_120
.LBB144_115:                            ;   in Loop: Header=BB144_57 Depth=1
	s_and_not1_saveexec_b32 s3, s5
	s_cbranch_execz .LBB144_111
.LBB144_116:                            ;   in Loop: Header=BB144_57 Depth=1
	v_mul_f64 v[72:73], |v[4:5]|, s[26:27]
	s_mov_b32 s22, s28
	s_delay_alu instid0(VALU_DEP_1) | instskip(NEXT) | instid1(VALU_DEP_1)
	v_rndne_f64_e32 v[103:104], v[72:73]
	v_fma_f64 v[72:73], v[103:104], s[20:21], |v[4:5]|
	v_mul_f64 v[74:75], v[103:104], s[28:29]
	s_delay_alu instid0(VALU_DEP_2) | instskip(NEXT) | instid1(VALU_DEP_2)
	v_fma_f64 v[107:108], v[103:104], s[28:29], v[72:73]
	v_add_f64 v[105:106], v[72:73], v[74:75]
	s_delay_alu instid0(VALU_DEP_1) | instskip(NEXT) | instid1(VALU_DEP_3)
	v_add_f64 v[72:73], v[72:73], -v[105:106]
	v_add_f64 v[105:106], v[105:106], -v[107:108]
	s_delay_alu instid0(VALU_DEP_2) | instskip(SKIP_1) | instid1(VALU_DEP_2)
	v_add_f64 v[72:73], v[72:73], v[74:75]
	v_fma_f64 v[74:75], v[103:104], s[22:23], v[74:75]
	v_add_f64 v[72:73], v[105:106], v[72:73]
	s_delay_alu instid0(VALU_DEP_1) | instskip(NEXT) | instid1(VALU_DEP_1)
	v_add_f64 v[72:73], v[72:73], -v[74:75]
	v_fma_f64 v[74:75], v[103:104], s[30:31], v[72:73]
	v_cvt_i32_f64_e32 v103, v[103:104]
	s_delay_alu instid0(VALU_DEP_2) | instskip(NEXT) | instid1(VALU_DEP_1)
	v_add_f64 v[72:73], v[107:108], v[74:75]
	v_add_f64 v[105:106], v[72:73], -v[107:108]
	s_delay_alu instid0(VALU_DEP_1) | instskip(SKIP_2) | instid1(SALU_CYCLE_1)
	v_add_f64 v[74:75], v[74:75], -v[105:106]
	s_or_b32 exec_lo, exec_lo, s3
	s_and_saveexec_b32 s3, s2
	s_xor_b32 s18, exec_lo, s3
	s_cbranch_execnz .LBB144_112
.LBB144_117:                            ;   in Loop: Header=BB144_57 Depth=1
	s_or_b32 exec_lo, exec_lo, s18
	s_and_saveexec_b32 s9, s1
	s_cbranch_execz .LBB144_113
.LBB144_118:                            ;   in Loop: Header=BB144_57 Depth=1
	s_mov_b32 s2, 0x652b82fe
	s_mov_b32 s3, 0x3ff71547
	v_mul_f64 v[26:27], v[30:31], v[30:31]
	v_mul_f64 v[14:15], v[10:11], s[2:3]
	s_mov_b32 s2, 0x3b39803f
	s_mov_b32 s3, 0xbc7abc9e
	;; [unrolled: 1-line block ×3, first 2 shown]
	v_mul_f64 v[34:35], v[42:43], v[42:43]
	s_mov_b32 s73, s51
	v_mul_f64 v[92:93], v[56:57], v[56:57]
	s_mov_b32 s75, s53
	s_mov_b32 s77, s55
	;; [unrolled: 1-line block ×4, first 2 shown]
	v_mul_f64 v[114:115], v[36:37], 0.5
	s_mov_b32 s79, s57
	s_mov_b32 s101, s55
	s_mov_b32 s34, s100
	s_mov_b32 s80, s36
	v_cmp_nlt_f64_e64 s6, 0x40900000, v[10:11]
	v_cmp_nlt_f64_e64 s4, s[80:81], v[10:11]
	v_cmp_ngt_f64_e64 s5, 0xc0428000, v[10:11]
	v_cmp_ngt_f64_e64 s7, 0xc090cc00, v[10:11]
	v_fma_f64 v[32:33], v[26:27], s[94:95], s[92:93]
	v_rndne_f64_e32 v[14:15], v[14:15]
	v_fma_f64 v[44:45], v[26:27], s[84:85], s[82:83]
	v_mul_f64 v[50:51], v[26:27], 0.5
	v_mul_f64 v[116:117], v[30:31], -v[26:27]
	v_fma_f64 v[104:105], v[34:35], s[94:95], s[92:93]
	v_fma_f64 v[110:111], v[34:35], s[84:85], s[82:83]
	v_fma_f64 v[108:109], v[92:93], s[94:95], s[92:93]
	v_mul_f64 v[112:113], v[34:35], 0.5
	v_mul_f64 v[120:121], v[92:93], 0.5
	v_fma_f64 v[122:123], v[92:93], s[84:85], s[82:83]
	v_mul_f64 v[126:127], v[42:43], -v[34:35]
	v_mul_f64 v[130:131], v[26:27], v[26:27]
	v_fma_f64 v[32:33], v[26:27], v[32:33], s[96:97]
	v_fma_f64 v[16:17], v[14:15], s[36:37], v[10:11]
	;; [unrolled: 1-line block ×3, first 2 shown]
	v_add_f64 v[106:107], -v[50:51], 1.0
	v_cvt_i32_f64_e32 v97, v[14:15]
	v_fma_f64 v[104:105], v[34:35], v[104:105], s[96:97]
	v_fma_f64 v[110:111], v[34:35], v[110:111], s[86:87]
	;; [unrolled: 1-line block ×3, first 2 shown]
	v_add_f64 v[124:125], -v[112:113], 1.0
	v_cmp_eq_f64_e64 s1, 0x40900000, v[14:15]
	v_fma_f64 v[32:33], v[26:27], v[32:33], s[98:99]
	v_fma_f64 v[16:17], v[14:15], s[2:3], v[16:17]
	;; [unrolled: 1-line block ×3, first 2 shown]
	v_add_f64 v[118:119], -v[106:107], 1.0
	v_cmp_class_f64_e64 s3, v[24:25], 0x1f8
	v_fma_f64 v[104:105], v[34:35], v[104:105], s[98:99]
	v_fma_f64 v[110:111], v[34:35], v[110:111], s[88:89]
	;; [unrolled: 1-line block ×3, first 2 shown]
	v_add_f64 v[128:129], -v[124:125], 1.0
	v_cndmask_b32_e64 v23, v97, 0x3ff, s1
	v_fma_f64 v[32:33], v[26:27], v[32:33], s[102:103]
	v_fma_f64 v[19:20], v[16:17], s[62:63], s[60:61]
	;; [unrolled: 1-line block ×4, first 2 shown]
	v_add_f64 v[50:51], v[118:119], -v[50:51]
	v_fma_f64 v[118:119], v[92:93], v[122:123], s[86:87]
	v_mul_f64 v[122:123], v[46:47], 0.5
	v_fma_f64 v[104:105], v[34:35], v[104:105], s[102:103]
	v_fma_f64 v[108:109], v[92:93], v[108:109], s[102:103]
	;; [unrolled: 1-line block ×3, first 2 shown]
	v_add_f64 v[110:111], v[128:129], -v[112:113]
	v_ldexp_f64 v[112:113], 1.0, v23
	v_and_b32_e32 v23, 1, v94
	s_delay_alu instid0(VALU_DEP_1)
	v_cmp_eq_u32_e64 s2, 0, v23
	v_fma_f64 v[32:33], v[116:117], v[32:33], v[114:115]
	v_fma_f64 v[19:20], v[16:17], v[19:20], s[64:65]
	;; [unrolled: 1-line block ×3, first 2 shown]
	v_add_f64 v[114:115], -v[120:121], 1.0
	v_fma_f64 v[44:45], v[26:27], v[44:45], s[100:101]
	v_fma_f64 v[50:51], v[30:31], -v[36:37], v[50:51]
	v_fma_f64 v[118:119], v[92:93], v[118:119], s[88:89]
	v_fma_f64 v[104:105], v[126:127], v[104:105], v[122:123]
	;; [unrolled: 1-line block ×3, first 2 shown]
	v_fma_f64 v[110:111], v[42:43], -v[46:47], v[110:111]
	v_fma_f64 v[26:27], v[26:27], v[32:33], -v[36:37]
	v_fma_f64 v[19:20], v[16:17], v[19:20], s[66:67]
	v_fma_f64 v[21:22], v[16:17], v[21:22], s[46:47]
	v_mul_f64 v[32:33], v[62:63], 0.5
	v_mul_f64 v[36:37], v[56:57], -v[92:93]
	v_add_f64 v[132:133], -v[114:115], 1.0
	v_fma_f64 v[44:45], v[130:131], v[44:45], v[50:51]
	v_fma_f64 v[50:51], v[92:93], v[118:119], s[90:91]
	;; [unrolled: 1-line block ×6, first 2 shown]
	v_add_f64 v[116:117], v[132:133], -v[120:121]
	v_mul_f64 v[108:109], v[34:35], v[34:35]
	v_fma_f64 v[34:35], v[34:35], v[104:105], -v[46:47]
	v_add_f64 v[46:47], v[112:113], -1.0
	v_add_f64 v[44:45], v[106:107], v[44:45]
	v_fma_f64 v[50:51], v[92:93], v[50:51], s[100:101]
	v_add_f64 v[26:27], v[30:31], -v[26:27]
	v_fma_f64 v[19:20], v[16:17], v[19:20], s[70:71]
	v_fma_f64 v[21:22], v[16:17], v[21:22], s[50:51]
	v_mul_f64 v[30:31], v[92:93], v[92:93]
	v_fma_f64 v[32:33], v[92:93], v[32:33], -v[62:63]
	v_fma_f64 v[104:105], v[56:57], -v[62:63], v[116:117]
	v_fma_f64 v[14:15], v[108:109], v[14:15], v[110:111]
	v_fma_f64 v[34:35], v[126:127], s[34:35], v[34:35]
	v_cndmask_b32_e64 v27, v45, v27, s2
	v_fma_f64 v[19:20], v[16:17], v[19:20], s[72:73]
	v_fma_f64 v[21:22], v[16:17], v[21:22], s[52:53]
	v_cndmask_b32_e64 v44, v44, v26, s2
	v_fma_f64 v[23:24], v[36:37], s[34:35], v[32:33]
	v_add_f64 v[14:15], v[124:125], v[14:15]
	v_fma_f64 v[19:20], v[16:17], v[19:20], s[74:75]
	v_fma_f64 v[21:22], v[16:17], v[21:22], s[54:55]
	s_delay_alu instid0(VALU_DEP_4) | instskip(NEXT) | instid1(VALU_DEP_3)
	v_add_f64 v[23:24], v[56:57], -v[23:24]
	v_fma_f64 v[19:20], v[16:17], v[19:20], s[76:77]
	s_delay_alu instid0(VALU_DEP_3) | instskip(NEXT) | instid1(VALU_DEP_2)
	v_fma_f64 v[21:22], v[16:17], v[21:22], s[56:57]
	v_fma_f64 v[19:20], v[16:17], v[19:20], s[78:79]
	s_delay_alu instid0(VALU_DEP_2) | instskip(NEXT) | instid1(VALU_DEP_2)
	v_fma_f64 v[21:22], v[16:17], v[21:22], s[58:59]
	v_fma_f64 v[19:20], v[16:17], v[19:20], 0.5
	s_delay_alu instid0(VALU_DEP_2) | instskip(NEXT) | instid1(VALU_DEP_2)
	v_fma_f64 v[21:22], v[16:17], v[21:22], 1.0
	v_mul_f64 v[19:20], v[16:17], v[19:20]
	s_delay_alu instid0(VALU_DEP_1) | instskip(NEXT) | instid1(VALU_DEP_3)
	v_fma_f64 v[19:20], v[16:17], v[19:20], v[16:17]
	v_fma_f64 v[16:17], v[16:17], v[21:22], 1.0
	v_lshlrev_b32_e32 v21, 30, v94
	s_delay_alu instid0(VALU_DEP_1) | instskip(SKIP_1) | instid1(VALU_DEP_2)
	v_xor_b32_e32 v25, v21, v25
	v_fma_f64 v[21:22], v[30:31], v[50:51], v[104:105]
	v_and_b32_e32 v32, 0x80000000, v25
	v_add_f64 v[25:26], v[42:43], -v[34:35]
	s_delay_alu instid0(VALU_DEP_2) | instskip(SKIP_1) | instid1(VALU_DEP_2)
	v_xor_b32_e32 v27, v27, v32
	v_cndmask_b32_e64 v32, 0, v44, s3
	v_cndmask_b32_e64 v33, 0x7ff80000, v27, s3
	v_cmp_class_f64_e64 s3, v[12:13], 0x1f8
	v_and_b32_e32 v27, 1, v95
	v_lshlrev_b32_e32 v12, 30, v100
	s_delay_alu instid0(VALU_DEP_4) | instskip(NEXT) | instid1(VALU_DEP_3)
	v_add_f64 v[34:35], v[32:33], v[32:33]
	v_cmp_eq_u32_e64 s2, 0, v27
	v_lshlrev_b32_e32 v27, 30, v95
	s_delay_alu instid0(VALU_DEP_4) | instskip(NEXT) | instid1(VALU_DEP_2)
	v_xor_b32_e32 v12, v12, v13
	v_and_b32_e32 v13, 0x80000000, v27
	s_delay_alu instid0(VALU_DEP_2)
	v_and_b32_e32 v12, 0x80000000, v12
	v_fma_f64 v[19:20], v[112:113], v[19:20], v[46:47]
	v_ldexp_f64 v[16:17], v[16:17], v97
	v_add_f64 v[21:22], v[114:115], v[21:22]
	v_cndmask_b32_e64 v14, v25, v14, s2
	v_and_b32_e32 v25, 1, v100
	v_xor_b32_e32 v26, 0x80000000, v26
	s_delay_alu instid0(VALU_DEP_2) | instskip(NEXT) | instid1(VALU_DEP_2)
	v_cmp_eq_u32_e64 s8, 0, v25
	v_cndmask_b32_e64 v15, v26, v15, s2
	s_delay_alu instid0(VALU_DEP_1) | instskip(SKIP_1) | instid1(VALU_DEP_2)
	v_xor_b32_e32 v13, v15, v13
	v_mul_f64 v[10:11], v[34:35], v[32:33]
	v_cndmask_b32_e64 v13, 0x7ff80000, v13, s3
	v_add_f64 v[30:31], v[19:20], v[19:20]
	v_cndmask_b32_e64 v17, 0x7ff00000, v17, s6
	s_delay_alu instid0(VALU_DEP_1) | instskip(SKIP_2) | instid1(VALU_DEP_2)
	v_cndmask_b32_e64 v17, 0, v17, s7
	v_cndmask_b32_e64 v22, v22, v24, s8
	;; [unrolled: 1-line block ×3, first 2 shown]
	v_xor_b32_e32 v15, v22, v12
	v_cndmask_b32_e64 v12, 0, v14, s3
	s_delay_alu instid0(VALU_DEP_3) | instskip(NEXT) | instid1(VALU_DEP_3)
	v_cndmask_b32_e64 v14, 0, v21, s3
	v_cndmask_b32_e64 v15, 0x7ff80000, v15, s3
	v_cndmask_b32_e64 v20, v20, v31, s1
	v_cndmask_b32_e64 v19, v19, v30, s1
	s_and_b32 s1, s5, s4
	s_delay_alu instid0(VALU_DEP_2) | instskip(NEXT) | instid1(VALU_DEP_2)
	v_cndmask_b32_e64 v20, 0x7ff00000, v20, s4
	v_cndmask_b32_e64 v19, 0, v19, s1
	s_and_b32 s1, s7, s6
	s_delay_alu instid0(SALU_CYCLE_1) | instskip(NEXT) | instid1(VALU_DEP_3)
	v_cndmask_b32_e64 v16, 0, v16, s1
	v_cndmask_b32_e64 v20, 0xbff00000, v20, s5
	s_delay_alu instid0(VALU_DEP_1) | instskip(NEXT) | instid1(VALU_DEP_3)
	v_fma_f64 v[10:11], v[19:20], v[12:13], -v[10:11]
	v_mul_f64 v[12:13], v[16:17], v[14:15]
	v_add_co_u32 v14, s1, v80, s12
	s_delay_alu instid0(VALU_DEP_1)
	v_add_co_ci_u32_e64 v15, s1, s13, v81, s1
	global_store_b128 v[14:15], v[10:13], off
	s_or_b32 exec_lo, exec_lo, s9
	s_and_saveexec_b32 s8, s0
	s_cbranch_execnz .LBB144_114
.LBB144_119:                            ;   in Loop: Header=BB144_57 Depth=1
	s_or_b32 exec_lo, exec_lo, s8
	s_and_saveexec_b32 s7, vcc_lo
	s_cbranch_execz .LBB144_56
.LBB144_120:                            ;   in Loop: Header=BB144_57 Depth=1
	s_mov_b32 s0, 0x652b82fe
	s_mov_b32 s1, 0x3ff71547
	v_mul_f64 v[14:15], v[52:53], v[52:53]
	v_mul_f64 v[6:7], v[2:3], s[0:1]
	s_mov_b32 s0, 0x3b39803f
	s_mov_b32 s1, 0xbc7abc9e
	;; [unrolled: 1-line block ×4, first 2 shown]
	v_mul_f64 v[19:20], v[64:65], v[64:65]
	s_mov_b32 s75, s53
	v_mul_f64 v[25:26], v[72:73], v[72:73]
	s_mov_b32 s77, s55
	s_mov_b32 s89, s69
	;; [unrolled: 1-line block ×3, first 2 shown]
	v_mul_f64 v[40:41], v[60:61], 0.5
	s_mov_b32 s79, s57
	s_mov_b32 s101, s55
	;; [unrolled: 1-line block ×4, first 2 shown]
	v_cmp_ngt_f64_e64 s3, 0xc0428000, v[2:3]
	v_cmp_nlt_f64_e64 s2, s[80:81], v[2:3]
	v_cmp_nlt_f64_e64 s4, 0x40900000, v[2:3]
	v_cmp_ngt_f64_e64 s5, 0xc090cc00, v[2:3]
	v_fma_f64 v[16:17], v[14:15], s[94:95], s[92:93]
	v_rndne_f64_e32 v[6:7], v[6:7]
	v_fma_f64 v[21:22], v[14:15], s[84:85], s[82:83]
	v_mul_f64 v[23:24], v[14:15], 0.5
	v_mul_f64 v[42:43], v[52:53], -v[14:15]
	v_mul_f64 v[58:59], v[14:15], v[14:15]
	v_fma_f64 v[27:28], v[19:20], s[94:95], s[92:93]
	v_fma_f64 v[33:34], v[19:20], s[84:85], s[82:83]
	;; [unrolled: 1-line block ×3, first 2 shown]
	v_mul_f64 v[35:36], v[19:20], 0.5
	v_mul_f64 v[46:47], v[25:26], 0.5
	v_fma_f64 v[48:49], v[25:26], s[84:85], s[82:83]
	v_mul_f64 v[54:55], v[64:65], -v[19:20]
	v_fma_f64 v[16:17], v[14:15], v[16:17], s[96:97]
	v_fma_f64 v[8:9], v[6:7], s[36:37], v[2:3]
	;; [unrolled: 1-line block ×3, first 2 shown]
	v_add_f64 v[29:30], -v[23:24], 1.0
	v_cvt_i32_f64_e32 v37, v[6:7]
	v_cmp_eq_f64_e32 vcc_lo, 0x40900000, v[6:7]
	v_fma_f64 v[27:28], v[19:20], v[27:28], s[96:97]
	v_fma_f64 v[33:34], v[19:20], v[33:34], s[86:87]
	;; [unrolled: 1-line block ×3, first 2 shown]
	v_add_f64 v[50:51], -v[35:36], 1.0
	v_fma_f64 v[16:17], v[14:15], v[16:17], s[98:99]
	v_fma_f64 v[8:9], v[6:7], s[0:1], v[8:9]
	;; [unrolled: 1-line block ×3, first 2 shown]
	v_add_f64 v[44:45], -v[29:30], 1.0
	v_cmp_class_f64_e64 s1, v[38:39], 0x1f8
	v_cndmask_b32_e64 v66, v37, 0x3ff, vcc_lo
	v_fma_f64 v[27:28], v[19:20], v[27:28], s[98:99]
	v_fma_f64 v[33:34], v[19:20], v[33:34], s[88:89]
	;; [unrolled: 1-line block ×3, first 2 shown]
	v_add_f64 v[56:57], -v[50:51], 1.0
	v_fma_f64 v[16:17], v[14:15], v[16:17], s[102:103]
	v_fma_f64 v[10:11], v[8:9], s[62:63], s[60:61]
	;; [unrolled: 1-line block ×4, first 2 shown]
	v_add_f64 v[23:24], v[44:45], -v[23:24]
	v_fma_f64 v[44:45], v[25:26], v[48:49], s[86:87]
	v_mul_f64 v[48:49], v[68:69], 0.5
	v_fma_f64 v[27:28], v[19:20], v[27:28], s[102:103]
	v_fma_f64 v[31:32], v[25:26], v[31:32], s[102:103]
	;; [unrolled: 1-line block ×3, first 2 shown]
	v_add_f64 v[33:34], v[56:57], -v[35:36]
	v_ldexp_f64 v[35:36], 1.0, v66
	v_fma_f64 v[16:17], v[42:43], v[16:17], v[40:41]
	v_fma_f64 v[10:11], v[8:9], v[10:11], s[64:65]
	;; [unrolled: 1-line block ×3, first 2 shown]
	v_add_f64 v[40:41], -v[46:47], 1.0
	v_fma_f64 v[21:22], v[14:15], v[21:22], s[100:101]
	v_fma_f64 v[23:24], v[52:53], -v[60:61], v[23:24]
	v_fma_f64 v[44:45], v[25:26], v[44:45], s[88:89]
	v_fma_f64 v[27:28], v[54:55], v[27:28], v[48:49]
	;; [unrolled: 1-line block ×3, first 2 shown]
	v_fma_f64 v[33:34], v[64:65], -v[68:69], v[33:34]
	v_fma_f64 v[14:15], v[14:15], v[16:17], -v[60:61]
	v_fma_f64 v[10:11], v[8:9], v[10:11], s[66:67]
	v_fma_f64 v[12:13], v[8:9], v[12:13], s[46:47]
	v_mul_f64 v[16:17], v[74:75], 0.5
	v_mul_f64 v[60:61], v[72:73], -v[25:26]
	v_add_f64 v[62:63], -v[40:41], 1.0
	v_fma_f64 v[21:22], v[58:59], v[21:22], v[23:24]
	v_fma_f64 v[23:24], v[25:26], v[44:45], s[90:91]
	;; [unrolled: 1-line block ×6, first 2 shown]
	v_add_f64 v[42:43], v[62:63], -v[46:47]
	v_mul_f64 v[31:32], v[19:20], v[19:20]
	v_fma_f64 v[19:20], v[19:20], v[27:28], -v[68:69]
	v_add_f64 v[27:28], v[35:36], -1.0
	v_add_f64 v[21:22], v[29:30], v[21:22]
	v_mul_f64 v[29:30], v[25:26], v[25:26]
	v_fma_f64 v[23:24], v[25:26], v[23:24], s[100:101]
	v_add_f64 v[14:15], v[52:53], -v[14:15]
	v_fma_f64 v[10:11], v[8:9], v[10:11], s[70:71]
	v_fma_f64 v[12:13], v[8:9], v[12:13], s[50:51]
	v_fma_f64 v[16:17], v[25:26], v[16:17], -v[74:75]
	v_fma_f64 v[42:43], v[72:73], -v[74:75], v[42:43]
	v_fma_f64 v[6:7], v[31:32], v[6:7], v[33:34]
	v_fma_f64 v[19:20], v[54:55], s[34:35], v[19:20]
	;; [unrolled: 1-line block ×5, first 2 shown]
	v_add_f64 v[6:7], v[50:51], v[6:7]
	v_add_f64 v[19:20], v[64:65], -v[19:20]
	v_fma_f64 v[10:11], v[8:9], v[10:11], s[74:75]
	v_fma_f64 v[12:13], v[8:9], v[12:13], s[54:55]
	v_add_f64 v[16:17], v[72:73], -v[16:17]
	s_delay_alu instid0(VALU_DEP_4) | instskip(NEXT) | instid1(VALU_DEP_4)
	v_xor_b32_e32 v20, 0x80000000, v20
	v_fma_f64 v[10:11], v[8:9], v[10:11], s[76:77]
	s_delay_alu instid0(VALU_DEP_4) | instskip(NEXT) | instid1(VALU_DEP_2)
	v_fma_f64 v[12:13], v[8:9], v[12:13], s[56:57]
	v_fma_f64 v[10:11], v[8:9], v[10:11], s[78:79]
	s_delay_alu instid0(VALU_DEP_2) | instskip(NEXT) | instid1(VALU_DEP_2)
	v_fma_f64 v[12:13], v[8:9], v[12:13], s[58:59]
	v_fma_f64 v[10:11], v[8:9], v[10:11], 0.5
	s_delay_alu instid0(VALU_DEP_2) | instskip(NEXT) | instid1(VALU_DEP_2)
	v_fma_f64 v[12:13], v[8:9], v[12:13], 1.0
	v_mul_f64 v[10:11], v[8:9], v[10:11]
	s_delay_alu instid0(VALU_DEP_1) | instskip(NEXT) | instid1(VALU_DEP_3)
	v_fma_f64 v[10:11], v[8:9], v[10:11], v[8:9]
	v_fma_f64 v[8:9], v[8:9], v[12:13], 1.0
	v_lshlrev_b32_e32 v12, 30, v99
	s_delay_alu instid0(VALU_DEP_3) | instskip(SKIP_1) | instid1(VALU_DEP_4)
	v_fma_f64 v[10:11], v[35:36], v[10:11], v[27:28]
	v_and_b32_e32 v25, 1, v99
	v_ldexp_f64 v[8:9], v[8:9], v37
	s_delay_alu instid0(VALU_DEP_2) | instskip(NEXT) | instid1(VALU_DEP_1)
	v_cmp_eq_u32_e64 s0, 0, v25
	v_cndmask_b32_e64 v21, v21, v14, s0
	v_xor_b32_e32 v14, v12, v39
	v_fma_f64 v[12:13], v[29:30], v[23:24], v[42:43]
	v_cndmask_b32_e64 v22, v22, v15, s0
	s_delay_alu instid0(VALU_DEP_4) | instskip(NEXT) | instid1(VALU_DEP_4)
	v_cndmask_b32_e64 v21, 0, v21, s1
	v_and_b32_e32 v23, 0x80000000, v14
	v_add_f64 v[14:15], v[10:11], v[10:11]
	v_cndmask_b32_e64 v9, 0x7ff00000, v9, s4
	s_delay_alu instid0(VALU_DEP_1) | instskip(SKIP_1) | instid1(VALU_DEP_4)
	v_cndmask_b32_e64 v9, 0, v9, s5
	v_add_f64 v[12:13], v[40:41], v[12:13]
	v_dual_cndmask_b32 v10, v10, v14 :: v_dual_cndmask_b32 v11, v11, v15
	s_and_b32 vcc_lo, s3, s2
	v_and_b32_e32 v25, 1, v101
	s_delay_alu instid0(VALU_DEP_2)
	v_dual_cndmask_b32 v10, 0, v10 :: v_dual_and_b32 v15, 1, v103
	s_and_b32 vcc_lo, s5, s4
	v_cndmask_b32_e32 v8, 0, v8, vcc_lo
	v_xor_b32_e32 v22, v22, v23
	v_cmp_eq_u32_e64 s0, 0, v25
	v_cmp_eq_u32_e64 s6, 0, v15
	s_delay_alu instid0(VALU_DEP_3)
	v_cndmask_b32_e64 v22, 0x7ff80000, v22, s1
	v_cmp_class_f64_e64 s1, v[4:5], 0x1f8
	v_lshlrev_b32_e32 v4, 30, v103
	v_cndmask_b32_e64 v6, v19, v6, s0
	v_lshlrev_b32_e32 v19, 30, v101
	v_add_f64 v[23:24], v[21:22], v[21:22]
	v_cndmask_b32_e64 v7, v20, v7, s0
	v_xor_b32_e32 v4, v4, v5
	v_cndmask_b32_e64 v13, v13, v17, s6
	v_and_b32_e32 v5, 0x80000000, v19
	v_cndmask_b32_e64 v12, v12, v16, s6
	s_delay_alu instid0(VALU_DEP_4) | instskip(SKIP_1) | instid1(VALU_DEP_4)
	v_and_b32_e32 v4, 0x80000000, v4
	v_cndmask_b32_e64 v11, 0x7ff00000, v11, s2
	v_xor_b32_e32 v5, v7, v5
	s_delay_alu instid0(VALU_DEP_3) | instskip(NEXT) | instid1(VALU_DEP_3)
	v_xor_b32_e32 v7, v13, v4
	v_cndmask_b32_e64 v11, 0xbff00000, v11, s3
	v_cndmask_b32_e64 v4, 0, v6, s1
	s_delay_alu instid0(VALU_DEP_4) | instskip(SKIP_3) | instid1(VALU_DEP_1)
	v_cndmask_b32_e64 v5, 0x7ff80000, v5, s1
	v_cndmask_b32_e64 v6, 0, v12, s1
	;; [unrolled: 1-line block ×3, first 2 shown]
	v_mul_f64 v[2:3], v[23:24], v[21:22]
	v_fma_f64 v[2:3], v[10:11], v[4:5], -v[2:3]
	s_delay_alu instid0(VALU_DEP_3)
	v_mul_f64 v[4:5], v[8:9], v[6:7]
	v_add_co_u32 v6, vcc_lo, v86, s12
	v_add_co_ci_u32_e32 v7, vcc_lo, s13, v87, vcc_lo
	global_store_b128 v[6:7], v[2:5], off offset:-8
	s_branch .LBB144_56
.LBB144_121:
	s_nop 0
	s_sendmsg sendmsg(MSG_DEALLOC_VGPRS)
	s_endpgm
	.section	.rodata,"a",@progbits
	.p2align	6, 0x0
	.amdhsa_kernel _ZN2at6native12_GLOBAL__N_125multi_tensor_apply_kernelINS1_18TensorListMetadataILi2EEENS1_14UnaryOpFunctorIN3c107complexIdEELi2ELi1ELi1EEEJNS0_5Expm1IS8_EEEEEvT_T0_DpT1_
		.amdhsa_group_segment_fixed_size 0
		.amdhsa_private_segment_fixed_size 0
		.amdhsa_kernarg_size 3408
		.amdhsa_user_sgpr_count 15
		.amdhsa_user_sgpr_dispatch_ptr 0
		.amdhsa_user_sgpr_queue_ptr 0
		.amdhsa_user_sgpr_kernarg_segment_ptr 1
		.amdhsa_user_sgpr_dispatch_id 0
		.amdhsa_user_sgpr_private_segment_size 0
		.amdhsa_wavefront_size32 1
		.amdhsa_uses_dynamic_stack 0
		.amdhsa_enable_private_segment 0
		.amdhsa_system_sgpr_workgroup_id_x 1
		.amdhsa_system_sgpr_workgroup_id_y 0
		.amdhsa_system_sgpr_workgroup_id_z 0
		.amdhsa_system_sgpr_workgroup_info 0
		.amdhsa_system_vgpr_workitem_id 0
		.amdhsa_next_free_vgpr 186
		.amdhsa_next_free_sgpr 105
		.amdhsa_reserve_vcc 1
		.amdhsa_float_round_mode_32 0
		.amdhsa_float_round_mode_16_64 0
		.amdhsa_float_denorm_mode_32 3
		.amdhsa_float_denorm_mode_16_64 3
		.amdhsa_dx10_clamp 1
		.amdhsa_ieee_mode 1
		.amdhsa_fp16_overflow 0
		.amdhsa_workgroup_processor_mode 1
		.amdhsa_memory_ordered 1
		.amdhsa_forward_progress 0
		.amdhsa_shared_vgpr_count 0
		.amdhsa_exception_fp_ieee_invalid_op 0
		.amdhsa_exception_fp_denorm_src 0
		.amdhsa_exception_fp_ieee_div_zero 0
		.amdhsa_exception_fp_ieee_overflow 0
		.amdhsa_exception_fp_ieee_underflow 0
		.amdhsa_exception_fp_ieee_inexact 0
		.amdhsa_exception_int_div_zero 0
	.end_amdhsa_kernel
	.section	.text._ZN2at6native12_GLOBAL__N_125multi_tensor_apply_kernelINS1_18TensorListMetadataILi2EEENS1_14UnaryOpFunctorIN3c107complexIdEELi2ELi1ELi1EEEJNS0_5Expm1IS8_EEEEEvT_T0_DpT1_,"axG",@progbits,_ZN2at6native12_GLOBAL__N_125multi_tensor_apply_kernelINS1_18TensorListMetadataILi2EEENS1_14UnaryOpFunctorIN3c107complexIdEELi2ELi1ELi1EEEJNS0_5Expm1IS8_EEEEEvT_T0_DpT1_,comdat
.Lfunc_end144:
	.size	_ZN2at6native12_GLOBAL__N_125multi_tensor_apply_kernelINS1_18TensorListMetadataILi2EEENS1_14UnaryOpFunctorIN3c107complexIdEELi2ELi1ELi1EEEJNS0_5Expm1IS8_EEEEEvT_T0_DpT1_, .Lfunc_end144-_ZN2at6native12_GLOBAL__N_125multi_tensor_apply_kernelINS1_18TensorListMetadataILi2EEENS1_14UnaryOpFunctorIN3c107complexIdEELi2ELi1ELi1EEEJNS0_5Expm1IS8_EEEEEvT_T0_DpT1_
                                        ; -- End function
	.section	.AMDGPU.csdata,"",@progbits
; Kernel info:
; codeLenInByte = 35532
; NumSgprs: 107
; NumVgprs: 186
; ScratchSize: 0
; MemoryBound: 1
; FloatMode: 240
; IeeeMode: 1
; LDSByteSize: 0 bytes/workgroup (compile time only)
; SGPRBlocks: 13
; VGPRBlocks: 23
; NumSGPRsForWavesPerEU: 107
; NumVGPRsForWavesPerEU: 186
; Occupancy: 8
; WaveLimiterHint : 0
; COMPUTE_PGM_RSRC2:SCRATCH_EN: 0
; COMPUTE_PGM_RSRC2:USER_SGPR: 15
; COMPUTE_PGM_RSRC2:TRAP_HANDLER: 0
; COMPUTE_PGM_RSRC2:TGID_X_EN: 1
; COMPUTE_PGM_RSRC2:TGID_Y_EN: 0
; COMPUTE_PGM_RSRC2:TGID_Z_EN: 0
; COMPUTE_PGM_RSRC2:TIDIG_COMP_CNT: 0
	.section	.text._ZN2at6native12_GLOBAL__N_125multi_tensor_apply_kernelINS1_18TensorListMetadataILi2EEENS1_14UnaryOpFunctorIN3c107complexIfEELi2ELi1ELi1EEEJNS0_5Expm1IS8_EEEEEvT_T0_DpT1_,"axG",@progbits,_ZN2at6native12_GLOBAL__N_125multi_tensor_apply_kernelINS1_18TensorListMetadataILi2EEENS1_14UnaryOpFunctorIN3c107complexIfEELi2ELi1ELi1EEEJNS0_5Expm1IS8_EEEEEvT_T0_DpT1_,comdat
	.globl	_ZN2at6native12_GLOBAL__N_125multi_tensor_apply_kernelINS1_18TensorListMetadataILi2EEENS1_14UnaryOpFunctorIN3c107complexIfEELi2ELi1ELi1EEEJNS0_5Expm1IS8_EEEEEvT_T0_DpT1_ ; -- Begin function _ZN2at6native12_GLOBAL__N_125multi_tensor_apply_kernelINS1_18TensorListMetadataILi2EEENS1_14UnaryOpFunctorIN3c107complexIfEELi2ELi1ELi1EEEJNS0_5Expm1IS8_EEEEEvT_T0_DpT1_
	.p2align	8
	.type	_ZN2at6native12_GLOBAL__N_125multi_tensor_apply_kernelINS1_18TensorListMetadataILi2EEENS1_14UnaryOpFunctorIN3c107complexIfEELi2ELi1ELi1EEEJNS0_5Expm1IS8_EEEEEvT_T0_DpT1_,@function
_ZN2at6native12_GLOBAL__N_125multi_tensor_apply_kernelINS1_18TensorListMetadataILi2EEENS1_14UnaryOpFunctorIN3c107complexIfEELi2ELi1ELi1EEEJNS0_5Expm1IS8_EEEEEvT_T0_DpT1_: ; @_ZN2at6native12_GLOBAL__N_125multi_tensor_apply_kernelINS1_18TensorListMetadataILi2EEENS1_14UnaryOpFunctorIN3c107complexIfEELi2ELi1ELi1EEEJNS0_5Expm1IS8_EEEEEvT_T0_DpT1_
; %bb.0:
	v_mov_b32_e32 v1, s15
	s_add_u32 s2, s0, s15
	s_mul_hi_u32 s3, s15, 3
	s_mul_i32 s15, s15, 3
	s_addc_u32 s4, s1, 0
	global_load_u8 v1, v1, s[0:1] offset:1536
	s_add_u32 s2, s2, s15
	s_addc_u32 s3, s4, s3
	s_mov_b32 s19, 0
	s_load_b32 s2, s[2:3], 0x740
	s_mov_b32 s21, s19
	s_mov_b32 s23, s19
	s_waitcnt vmcnt(0)
	v_readfirstlane_b32 s5, v1
	s_delay_alu instid0(VALU_DEP_1)
	s_lshl_b32 s3, s5, 3
	s_clause 0x2
	s_load_b64 s[6:7], s[0:1], s3 offset:0x0
	s_load_b64 s[16:17], s[0:1], s3 offset:0x200
	;; [unrolled: 1-line block ×3, first 2 shown]
	s_waitcnt lgkmcnt(0)
	s_ashr_i32 s3, s2, 31
	s_delay_alu instid0(SALU_CYCLE_1) | instskip(NEXT) | instid1(SALU_CYCLE_1)
	s_lshl_b64 s[8:9], s[2:3], 19
	s_add_u32 s5, s6, s8
	s_addc_u32 s12, s7, s9
	s_add_u32 s13, s16, s8
	s_addc_u32 s14, s17, s9
	s_and_b32 s20, s5, 31
	s_and_b32 s22, s10, 3
	;; [unrolled: 1-line block ×3, first 2 shown]
	s_or_b64 s[20:21], s[20:21], s[22:23]
	s_lshl_b64 s[2:3], s[2:3], 16
	s_or_b64 s[18:19], s[18:19], s[20:21]
	s_sub_u32 s10, s10, s2
	s_subb_u32 s11, s11, s3
	s_cmp_eq_u64 s[18:19], 0
	s_mov_b32 s2, -1
	s_cbranch_scc0 .LBB145_53
; %bb.1:
	v_dual_mov_b32 v10, 0 :: v_dual_lshlrev_b32 v9, 2, v0
	s_mov_b32 s15, exec_lo
	s_delay_alu instid0(VALU_DEP_1)
	v_cmpx_gt_i64_e64 s[10:11], v[9:10]
	s_cbranch_execz .LBB145_52
; %bb.2:
	s_load_b32 s2, s[0:1], 0xc5c
	s_mov_b32 s18, 0
	s_mov_b32 s21, 0x7fffff
	;; [unrolled: 1-line block ×5, first 2 shown]
	s_waitcnt lgkmcnt(0)
	s_and_b32 s2, s2, 0xffff
	s_delay_alu instid0(SALU_CYCLE_1) | instskip(SKIP_3) | instid1(VALU_DEP_2)
	v_add_lshl_u32 v9, v0, s2, 2
	v_dual_mov_b32 v12, v10 :: v_dual_lshlrev_b32 v13, 5, v0
	s_lshl_b32 s19, s2, 2
	s_lshl_b32 s20, s2, 5
	v_mov_b32_e32 v11, v9
	s_branch .LBB145_4
.LBB145_3:                              ;   in Loop: Header=BB145_4 Depth=1
	s_or_b32 exec_lo, exec_lo, s2
	v_dual_mul_f32 v49, 0x3fb8aa3b, v1 :: v_dual_mul_f32 v52, v42, v42
	v_dual_mul_f32 v55, v36, v36 :: v_dual_lshlrev_b32 v50, 30, v45
	v_dual_mul_f32 v56, v46, v46 :: v_dual_lshlrev_b32 v53, 30, v41
	s_delay_alu instid0(VALU_DEP_3)
	v_rndne_f32_e32 v51, v49
	v_and_b32_e32 v45, 1, v45
	v_fma_f32 v58, 0x3fb8aa3b, v1, -v49
	v_and_b32_e32 v50, 0x80000000, v50
	v_fmaak_f32 v59, s23, v52, 0xbab64f3b
	v_fmamk_f32 v54, v51, 0xbf317218, v1
	v_cvt_i32_f32_e32 v67, v51
	v_cmp_eq_f32_e32 vcc_lo, 0x43000000, v51
	v_and_b32_e32 v41, 1, v41
	v_sub_f32_e32 v49, v49, v51
	v_fmac_f32_e32 v54, 0x3102e308, v51
	v_fmaak_f32 v59, v52, v59, 0x3d2aabf7
	v_cndmask_b32_e64 v51, v67, 0x7f, vcc_lo
	v_cmp_eq_u32_e64 s2, 0, v45
	v_xor_b32_e32 v35, v35, v32
	v_xor_b32_e32 v24, v24, v23
	;; [unrolled: 1-line block ×3, first 2 shown]
	v_ldexp_f32 v51, 1.0, v51
	v_fmac_f32_e32 v58, 0x32a5705f, v1
	v_fmaak_f32 v60, s24, v52, 0x3c0881c4
	v_xor_b32_e32 v15, v15, v14
	s_delay_alu instid0(VALU_DEP_2) | instskip(SKIP_1) | instid1(VALU_DEP_2)
	v_dual_add_f32 v49, v49, v58 :: v_dual_fmaak_f32 v60, v52, v60, 0xbe2aaa9d
	v_mul_f32_e32 v57, 0x3fb8aa3b, v7
	v_exp_f32_e32 v49, v49
	s_delay_alu instid0(VALU_DEP_2) | instskip(NEXT) | instid1(VALU_DEP_2)
	v_dual_mul_f32 v60, v52, v60 :: v_dual_fmaak_f32 v61, s22, v54, 0x3ab69700
	v_rndne_f32_e32 v66, v57
	s_delay_alu instid0(VALU_DEP_2) | instskip(NEXT) | instid1(VALU_DEP_2)
	v_dual_fmaak_f32 v63, s23, v55, 0xbab64f3b :: v_dual_fmac_f32 v42, v42, v60
	v_fmamk_f32 v68, v66, 0xbf317218, v7
	s_waitcnt_depctr 0xfff
	v_ldexp_f32 v49, v49, v67
	v_fmaak_f32 v58, v52, v59, 0xbf000004
	v_fmac_f32_e32 v68, 0x3102e308, v66
	s_delay_alu instid0(VALU_DEP_2) | instskip(NEXT) | instid1(VALU_DEP_1)
	v_fma_f32 v52, v52, v58, 1.0
	v_cndmask_b32_e64 v42, -v42, v52, s2
	v_dual_sub_f32 v52, v57, v66 :: v_dual_fmaak_f32 v63, v55, v63, 0x3d2aabf7
	v_cmp_eq_u32_e64 s2, 0, v41
	s_delay_alu instid0(VALU_DEP_3) | instskip(SKIP_1) | instid1(VALU_DEP_1)
	v_xor_b32_e32 v42, v50, v42
	v_fma_f32 v50, 0x3fb8aa3b, v7, -v57
	v_fmac_f32_e32 v50, 0x32a5705f, v7
	s_delay_alu instid0(VALU_DEP_1) | instskip(NEXT) | instid1(VALU_DEP_1)
	v_dual_fmaak_f32 v61, v54, v61, 0x3c0887f9 :: v_dual_add_f32 v50, v52, v50
	v_fmaak_f32 v61, v54, v61, 0x3d2aaa81
	s_delay_alu instid0(VALU_DEP_2) | instskip(NEXT) | instid1(VALU_DEP_1)
	v_exp_f32_e32 v50, v50
	v_fmaak_f32 v61, v54, v61, 0x3e2aaaab
	s_delay_alu instid0(VALU_DEP_1) | instskip(NEXT) | instid1(VALU_DEP_1)
	v_fma_f32 v61, v54, v61, 0.5
	v_dual_fmaak_f32 v62, s24, v55, 0x3c0881c4 :: v_dual_mul_f32 v59, v54, v61
	s_delay_alu instid0(VALU_DEP_1) | instskip(SKIP_2) | instid1(VALU_DEP_3)
	v_fmaak_f32 v62, v55, v62, 0xbe2aaa9d
	v_and_b32_e32 v53, 0x80000000, v53
	v_fmaak_f32 v64, s24, v56, 0x3c0881c4
	v_dual_fmac_f32 v54, v54, v59 :: v_dual_mul_f32 v61, v55, v62
	v_fmaak_f32 v62, v55, v63, 0xbf000004
	s_delay_alu instid0(VALU_DEP_2) | instskip(NEXT) | instid1(VALU_DEP_1)
	v_dual_add_f32 v63, -1.0, v51 :: v_dual_fmac_f32 v36, v36, v61
	v_dual_fmac_f32 v63, v51, v54 :: v_dual_fmaak_f32 v64, v56, v64, 0xbe2aaa9d
	s_delay_alu instid0(VALU_DEP_3) | instskip(NEXT) | instid1(VALU_DEP_2)
	v_fma_f32 v51, v55, v62, 1.0
	v_add_f32_e32 v55, v63, v63
	s_delay_alu instid0(VALU_DEP_3) | instskip(NEXT) | instid1(VALU_DEP_3)
	v_mul_f32_e32 v59, v56, v64
	v_cndmask_b32_e64 v36, v51, v36, s2
	v_fmaak_f32 v65, s23, v56, 0xbab64f3b
	v_cmp_eq_f32_e64 s2, 0x43000000, v66
	v_cndmask_b32_e32 v45, v63, v55, vcc_lo
	v_fmac_f32_e32 v46, v46, v59
	v_cmp_nlt_f32_e32 vcc_lo, 0x42b17217, v1
	v_xor3_b32 v35, v35, v53, v36
	v_fmaak_f32 v65, v56, v65, 0x3d2aabf7
	v_cvt_i32_f32_e32 v53, v66
	v_dual_cndmask_b32 v36, 0x7f800000, v45 :: v_dual_and_b32 v51, 1, v47
	v_lshlrev_b32_e32 v47, 30, v47
	v_cmp_ngt_f32_e32 vcc_lo, 0xc2ce8ed0, v1
	s_delay_alu instid0(VALU_DEP_3) | instskip(SKIP_4) | instid1(VALU_DEP_2)
	v_cmp_eq_u32_e64 s3, 0, v51
	v_cndmask_b32_e32 v45, 0, v49, vcc_lo
	v_cmp_class_f32_e64 vcc_lo, v32, 0x1f8
	v_cndmask_b32_e32 v32, 0x7fc00000, v35, vcc_lo
	v_cmp_ngt_f32_e32 vcc_lo, 0xc1880000, v1
	v_add_f32_e32 v49, v32, v32
	v_fmaak_f32 v54, s22, v68, 0x3ab69700
	v_dual_cndmask_b32 v35, -1.0, v36 :: v_dual_fmaak_f32 v36, v56, v65, 0xbf000004
	v_cmp_class_f32_e64 vcc_lo, v2, 0x1f8
	v_xor_b32_e32 v2, v37, v2
	s_delay_alu instid0(VALU_DEP_4) | instskip(SKIP_2) | instid1(VALU_DEP_3)
	v_fmaak_f32 v41, v68, v54, 0x3c0887f9
	v_cndmask_b32_e64 v54, v53, 0x7f, s2
	v_fma_f32 v36, v56, v36, 1.0
	v_fmaak_f32 v41, v68, v41, 0x3d2aaa81
	s_delay_alu instid0(VALU_DEP_2) | instskip(NEXT) | instid1(VALU_DEP_4)
	v_cndmask_b32_e64 v36, v36, v46, s3
	v_ldexp_f32 v46, 1.0, v54
	v_cmp_nlt_f32_e64 s3, 0x42b17218, v1
	s_delay_alu instid0(VALU_DEP_4) | instskip(NEXT) | instid1(VALU_DEP_3)
	v_fmaak_f32 v41, v68, v41, 0x3e2aaaab
	v_add_f32_e32 v37, -1.0, v46
	s_delay_alu instid0(VALU_DEP_2) | instskip(NEXT) | instid1(VALU_DEP_1)
	v_fma_f32 v41, v68, v41, 0.5
	v_mul_f32_e32 v41, v68, v41
	v_dual_mul_f32 v32, v32, v49 :: v_dual_and_b32 v47, 0x80000000, v47
	s_delay_alu instid0(VALU_DEP_2) | instskip(SKIP_1) | instid1(VALU_DEP_3)
	v_dual_mul_f32 v49, v30, v30 :: v_dual_fmac_f32 v68, v68, v41
	v_cndmask_b32_e32 v42, 0x7fc00000, v42, vcc_lo
	v_xor3_b32 v2, v2, v47, v36
	v_cndmask_b32_e64 v41, 0x7f800000, v45, s3
	s_delay_alu instid0(VALU_DEP_4)
	v_fmaak_f32 v51, s23, v49, 0xbab64f3b
	v_fmac_f32_e32 v37, v46, v68
	v_fma_f32 v1, v35, v42, -v32
	v_ldexp_f32 v32, v50, v53
	v_cndmask_b32_e32 v2, 0x7fc00000, v2, vcc_lo
	v_cmp_ngt_f32_e32 vcc_lo, 0xc2ce8ed0, v7
	v_dual_add_f32 v36, v37, v37 :: v_dual_mul_f32 v35, v28, v28
	v_fmaak_f32 v50, s24, v49, 0x3c0881c4
	v_cndmask_b32_e32 v32, 0, v32, vcc_lo
	v_cmp_nlt_f32_e32 vcc_lo, 0x42b17218, v7
	s_delay_alu instid0(VALU_DEP_4)
	v_cndmask_b32_e64 v36, v37, v36, s2
	v_fmaak_f32 v42, s23, v35, 0xbab64f3b
	v_fmaak_f32 v45, s24, v35, 0x3c0881c4
	v_cmp_class_f32_e64 s2, v8, 0x1f8
	v_cndmask_b32_e32 v32, 0x7f800000, v32, vcc_lo
	v_cmp_nlt_f32_e32 vcc_lo, 0x42b17217, v7
	v_fmaak_f32 v37, v35, v42, 0x3d2aabf7
	v_cndmask_b32_e32 v36, 0x7f800000, v36, vcc_lo
	v_cmp_ngt_f32_e32 vcc_lo, 0xc1880000, v7
	v_fmaak_f32 v42, v35, v45, 0xbe2aaa9d
	v_lshlrev_b32_e32 v45, 30, v29
	v_dual_mul_f32 v2, v41, v2 :: v_dual_and_b32 v29, 1, v29
	s_delay_alu instid0(VALU_DEP_3) | instskip(NEXT) | instid1(VALU_DEP_3)
	v_dual_cndmask_b32 v7, -1.0, v36 :: v_dual_mul_f32 v42, v35, v42
	v_and_b32_e32 v36, 0x80000000, v45
	s_delay_alu instid0(VALU_DEP_3) | instskip(SKIP_1) | instid1(VALU_DEP_4)
	v_cmp_eq_u32_e32 vcc_lo, 0, v29
	v_lshlrev_b32_e32 v29, 30, v27
	v_dual_fmac_f32 v28, v28, v42 :: v_dual_and_b32 v27, 1, v27
	v_mul_f32_e32 v42, v25, v25
	s_delay_alu instid0(VALU_DEP_3) | instskip(NEXT) | instid1(VALU_DEP_2)
	v_and_b32_e32 v29, 0x80000000, v29
	v_fmaak_f32 v45, s24, v42, 0x3c0881c4
	v_fmaak_f32 v46, s23, v42, 0xbab64f3b
	s_delay_alu instid0(VALU_DEP_2) | instskip(NEXT) | instid1(VALU_DEP_2)
	v_fmaak_f32 v45, v42, v45, 0xbe2aaa9d
	v_fmaak_f32 v46, v42, v46, 0x3d2aabf7
	s_delay_alu instid0(VALU_DEP_2) | instskip(NEXT) | instid1(VALU_DEP_1)
	v_mul_f32_e32 v45, v42, v45
	v_dual_fmaak_f32 v46, v42, v46, 0xbf000004 :: v_dual_fmac_f32 v25, v25, v45
	s_delay_alu instid0(VALU_DEP_1) | instskip(SKIP_3) | instid1(VALU_DEP_2)
	v_fma_f32 v42, v42, v46, 1.0
	v_fmaak_f32 v46, v49, v51, 0x3d2aabf7
	v_fmaak_f32 v37, v35, v37, 0xbf000004
	;; [unrolled: 1-line block ×3, first 2 shown]
	v_fma_f32 v35, v35, v37, 1.0
	v_mul_f32_e32 v37, 0x3fb8aa3b, v5
	s_delay_alu instid0(VALU_DEP_2) | instskip(SKIP_2) | instid1(VALU_DEP_4)
	v_cndmask_b32_e64 v28, -v28, v35, vcc_lo
	v_cmp_eq_u32_e32 vcc_lo, 0, v27
	v_mul_f32_e32 v27, v49, v45
	v_rndne_f32_e32 v35, v37
	v_dual_cndmask_b32 v25, v42, v25 :: v_dual_fmaak_f32 v42, v49, v46, 0xbf000004
	s_delay_alu instid0(VALU_DEP_3) | instskip(SKIP_2) | instid1(VALU_DEP_4)
	v_fmac_f32_e32 v30, v30, v27
	v_and_b32_e32 v27, 1, v31
	v_cmp_class_f32_e64 vcc_lo, v23, 0x1f8
	v_xor3_b32 v24, v24, v29, v25
	v_fma_f32 v25, v49, v42, 1.0
	v_lshlrev_b32_e32 v31, 30, v31
	v_fmamk_f32 v47, v35, 0xbf317218, v5
	s_delay_alu instid0(VALU_DEP_4) | instskip(SKIP_1) | instid1(VALU_DEP_4)
	v_cndmask_b32_e32 v23, 0x7fc00000, v24, vcc_lo
	v_cmp_eq_u32_e32 vcc_lo, 0, v27
	v_and_b32_e32 v31, 0x80000000, v31
	v_cvt_i32_f32_e32 v24, v35
	v_cndmask_b32_e32 v25, v25, v30, vcc_lo
	v_fma_f32 v30, 0x3fb8aa3b, v5, -v37
	v_cmp_eq_f32_e32 vcc_lo, 0x43000000, v35
	v_xor_b32_e32 v28, v36, v28
	s_delay_alu instid0(VALU_DEP_4) | instskip(NEXT) | instid1(VALU_DEP_4)
	v_xor3_b32 v25, v26, v31, v25
	v_fmac_f32_e32 v30, 0x32a5705f, v5
	s_delay_alu instid0(VALU_DEP_3) | instskip(NEXT) | instid1(VALU_DEP_3)
	v_cndmask_b32_e64 v8, 0x7fc00000, v28, s2
	v_cndmask_b32_e64 v25, 0x7fc00000, v25, s2
	v_fmac_f32_e32 v47, 0x3102e308, v35
	v_sub_f32_e32 v35, v37, v35
	s_delay_alu instid0(VALU_DEP_1) | instskip(SKIP_1) | instid1(VALU_DEP_2)
	v_add_f32_e32 v30, v35, v30
	v_add_f32_e32 v35, v23, v23
	v_exp_f32_e32 v26, v30
	s_delay_alu instid0(VALU_DEP_1) | instskip(NEXT) | instid1(VALU_DEP_1)
	v_mul_f32_e32 v23, v23, v35
	v_fma_f32 v7, v7, v8, -v23
	v_mul_f32_e32 v8, v32, v25
	v_fmaak_f32 v52, s22, v47, 0x3ab69700
	s_delay_alu instid0(VALU_DEP_1) | instskip(NEXT) | instid1(VALU_DEP_1)
	v_fmaak_f32 v50, v47, v52, 0x3c0887f9
	v_fmaak_f32 v36, v47, v50, 0x3d2aaa81
	s_delay_alu instid0(VALU_DEP_1) | instskip(NEXT) | instid1(VALU_DEP_1)
	v_fmaak_f32 v29, v47, v36, 0x3e2aaaab
	v_fma_f32 v27, v47, v29, 0.5
	v_cndmask_b32_e64 v29, v24, 0x7f, vcc_lo
	v_ldexp_f32 v24, v26, v24
	s_delay_alu instid0(VALU_DEP_3) | instskip(NEXT) | instid1(VALU_DEP_3)
	v_mul_f32_e32 v27, v47, v27
	v_ldexp_f32 v29, 1.0, v29
	s_delay_alu instid0(VALU_DEP_2) | instskip(NEXT) | instid1(VALU_DEP_2)
	v_fmac_f32_e32 v47, v47, v27
	v_add_f32_e32 v27, -1.0, v29
	s_delay_alu instid0(VALU_DEP_1) | instskip(SKIP_1) | instid1(VALU_DEP_2)
	v_fmac_f32_e32 v27, v29, v47
	v_mul_f32_e32 v29, v19, v19
	v_add_f32_e32 v28, v27, v27
	s_delay_alu instid0(VALU_DEP_2) | instskip(SKIP_1) | instid1(VALU_DEP_3)
	v_fmaak_f32 v26, s24, v29, 0x3c0881c4
	v_fmaak_f32 v25, s23, v29, 0xbab64f3b
	v_cndmask_b32_e32 v23, v27, v28, vcc_lo
	v_cmp_nlt_f32_e32 vcc_lo, 0x42b17217, v5
	s_delay_alu instid0(VALU_DEP_4) | instskip(SKIP_1) | instid1(VALU_DEP_4)
	v_dual_fmaak_f32 v26, v29, v26, 0xbe2aaa9d :: v_dual_mul_f32 v27, v16, v16
	v_lshlrev_b32_e32 v28, 30, v20
	v_dual_cndmask_b32 v23, 0x7f800000, v23 :: v_dual_and_b32 v20, 1, v20
	v_cmp_ngt_f32_e32 vcc_lo, 0xc2ce8ed0, v5
	s_delay_alu instid0(VALU_DEP_4)
	v_mul_f32_e32 v26, v29, v26
	v_fmaak_f32 v30, s24, v27, 0x3c0881c4
	v_fmaak_f32 v31, s23, v27, 0xbab64f3b
	v_cndmask_b32_e32 v24, 0, v24, vcc_lo
	v_cmp_ngt_f32_e32 vcc_lo, 0xc1880000, v5
	v_dual_fmac_f32 v19, v19, v26 :: v_dual_and_b32 v26, 0x80000000, v28
	v_dual_fmaak_f32 v28, v27, v30, 0xbe2aaa9d :: v_dual_cndmask_b32 v23, -1.0, v23
	v_cmp_eq_u32_e32 vcc_lo, 0, v20
	v_mul_f32_e32 v20, 0x3fb8aa3b, v3
	s_delay_alu instid0(VALU_DEP_1) | instskip(SKIP_1) | instid1(VALU_DEP_2)
	v_rndne_f32_e32 v30, v20
	v_fmaak_f32 v25, v29, v25, 0x3d2aabf7
	v_cmp_eq_f32_e64 s2, 0x43000000, v30
	s_delay_alu instid0(VALU_DEP_2) | instskip(NEXT) | instid1(VALU_DEP_1)
	v_fmaak_f32 v25, v29, v25, 0xbf000004
	v_fma_f32 v25, v29, v25, 1.0
	v_fmaak_f32 v29, v27, v31, 0x3d2aabf7
	s_delay_alu instid0(VALU_DEP_2) | instskip(SKIP_1) | instid1(VALU_DEP_3)
	v_cndmask_b32_e64 v19, -v19, v25, vcc_lo
	v_mul_f32_e32 v25, v27, v28
	v_fmaak_f32 v28, v27, v29, 0xbf000004
	s_delay_alu instid0(VALU_DEP_3) | instskip(NEXT) | instid1(VALU_DEP_3)
	v_xor_b32_e32 v19, v26, v19
	v_fmac_f32_e32 v16, v16, v25
	s_delay_alu instid0(VALU_DEP_3) | instskip(SKIP_3) | instid1(VALU_DEP_3)
	v_fma_f32 v25, v27, v28, 1.0
	v_fmamk_f32 v28, v30, 0xbf317218, v3
	v_fma_f32 v26, 0x3fb8aa3b, v3, -v20
	v_sub_f32_e32 v20, v20, v30
	v_dual_fmac_f32 v28, 0x3102e308, v30 :: v_dual_mul_f32 v27, v21, v21
	v_lshlrev_b32_e32 v29, 30, v18
	v_and_b32_e32 v18, 1, v18
	v_fmac_f32_e32 v26, 0x32a5705f, v3
	s_delay_alu instid0(VALU_DEP_3) | instskip(NEXT) | instid1(VALU_DEP_3)
	v_and_b32_e32 v29, 0x80000000, v29
	v_cmp_eq_u32_e32 vcc_lo, 0, v18
	v_fmaak_f32 v18, s24, v27, 0x3c0881c4
	v_cndmask_b32_e32 v16, v25, v16, vcc_lo
	v_cmp_class_f32_e64 vcc_lo, v14, 0x1f8
	s_delay_alu instid0(VALU_DEP_2) | instskip(NEXT) | instid1(VALU_DEP_4)
	v_xor3_b32 v15, v15, v29, v16
	v_fmaak_f32 v16, v27, v18, 0xbe2aaa9d
	v_fmaak_f32 v18, s22, v28, 0x3ab69700
	s_delay_alu instid0(VALU_DEP_2) | instskip(NEXT) | instid1(VALU_DEP_2)
	v_dual_cndmask_b32 v14, 0x7fc00000, v15 :: v_dual_mul_f32 v15, v27, v16
	v_fmaak_f32 v16, v28, v18, 0x3c0887f9
	v_cmp_class_f32_e64 vcc_lo, v6, 0x1f8
	v_xor_b32_e32 v6, v17, v6
	s_delay_alu instid0(VALU_DEP_3) | instskip(NEXT) | instid1(VALU_DEP_1)
	v_dual_fmac_f32 v21, v21, v15 :: v_dual_fmaak_f32 v16, v28, v16, 0x3d2aaa81
	v_fmaak_f32 v16, v28, v16, 0x3e2aaaab
	s_delay_alu instid0(VALU_DEP_1) | instskip(NEXT) | instid1(VALU_DEP_1)
	v_fma_f32 v16, v28, v16, 0.5
	v_mul_f32_e32 v16, v28, v16
	s_delay_alu instid0(VALU_DEP_1) | instskip(NEXT) | instid1(VALU_DEP_1)
	v_dual_fmac_f32 v28, v28, v16 :: v_dual_fmaak_f32 v25, s23, v27, 0xbab64f3b
	v_fmaak_f32 v25, v27, v25, 0x3d2aabf7
	s_delay_alu instid0(VALU_DEP_1) | instskip(NEXT) | instid1(VALU_DEP_1)
	v_dual_fmaak_f32 v18, v27, v25, 0xbf000004 :: v_dual_add_f32 v25, v14, v14
	v_fma_f32 v15, v27, v18, 1.0
	v_cvt_i32_f32_e32 v27, v30
	v_and_b32_e32 v18, 1, v22
	v_lshlrev_b32_e32 v22, 30, v22
	s_delay_alu instid0(VALU_DEP_3) | instskip(NEXT) | instid1(VALU_DEP_3)
	v_cndmask_b32_e64 v29, v27, 0x7f, s2
	v_cmp_eq_u32_e64 s3, 0, v18
	v_add_f32_e32 v18, v20, v26
	s_delay_alu instid0(VALU_DEP_3) | instskip(NEXT) | instid1(VALU_DEP_3)
	v_ldexp_f32 v20, 1.0, v29
	v_cndmask_b32_e64 v15, v15, v21, s3
	s_delay_alu instid0(VALU_DEP_3) | instskip(SKIP_4) | instid1(VALU_DEP_3)
	v_exp_f32_e32 v17, v18
	v_mul_f32_e32 v18, v43, v43
	v_dual_cndmask_b32 v19, 0x7fc00000, v19 :: v_dual_mul_f32 v14, v14, v25
	v_add_f32_e32 v16, -1.0, v20
	v_cmp_nlt_f32_e64 s3, 0x42b17218, v5
	v_fma_f32 v5, v23, v19, -v14
	s_delay_alu instid0(VALU_DEP_3) | instskip(SKIP_1) | instid1(TRANS32_DEP_1)
	v_fmac_f32_e32 v16, v20, v28
	v_fmaak_f32 v20, s24, v18, 0x3c0881c4
	v_ldexp_f32 v14, v17, v27
	v_dual_fmaak_f32 v19, s23, v18, 0xbab64f3b :: v_dual_and_b32 v28, 1, v39
	s_delay_alu instid0(VALU_DEP_4) | instskip(NEXT) | instid1(VALU_DEP_4)
	v_add_f32_e32 v17, v16, v16
	v_fmaak_f32 v20, v18, v20, 0xbe2aaa9d
	v_and_b32_e32 v21, 0x80000000, v22
	s_delay_alu instid0(VALU_DEP_3) | instskip(NEXT) | instid1(VALU_DEP_3)
	v_cndmask_b32_e64 v16, v16, v17, s2
	v_mul_f32_e32 v20, v18, v20
	s_delay_alu instid0(VALU_DEP_3) | instskip(SKIP_2) | instid1(VALU_DEP_3)
	v_xor3_b32 v6, v6, v21, v15
	v_cndmask_b32_e64 v15, 0x7f800000, v24, s3
	v_dual_fmaak_f32 v19, v18, v19, 0x3d2aabf7 :: v_dual_and_b32 v24, 1, v44
	v_dual_fmac_f32 v43, v43, v20 :: v_dual_cndmask_b32 v6, 0x7fc00000, v6
	v_cmp_ngt_f32_e32 vcc_lo, 0xc2ce8ed0, v3
	v_lshlrev_b32_e32 v17, 30, v44
	v_cmp_nlt_f32_e64 s2, 0x42b17218, v3
	s_delay_alu instid0(VALU_DEP_4) | instskip(SKIP_3) | instid1(VALU_DEP_3)
	v_mul_f32_e32 v6, v15, v6
	v_cndmask_b32_e32 v14, 0, v14, vcc_lo
	v_cmp_nlt_f32_e32 vcc_lo, 0x42b17217, v3
	v_mul_f32_e32 v21, v38, v38
	v_cndmask_b32_e64 v14, 0x7f800000, v14, s2
	v_cndmask_b32_e32 v16, 0x7f800000, v16, vcc_lo
	s_delay_alu instid0(VALU_DEP_3) | instskip(SKIP_3) | instid1(VALU_DEP_4)
	v_fmaak_f32 v23, s23, v21, 0xbab64f3b
	v_fmaak_f32 v22, s24, v21, 0x3c0881c4
	v_cmp_eq_u32_e32 vcc_lo, 0, v28
	v_cmp_lt_u64_e64 s2, 0xffff, v[11:12]
	v_fmaak_f32 v20, v21, v23, 0x3d2aabf7
	v_fmaak_f32 v19, v18, v19, 0xbf000004
	v_xor_b32_e32 v23, v34, v33
	s_delay_alu instid0(VALU_DEP_3) | instskip(NEXT) | instid1(VALU_DEP_3)
	v_fmaak_f32 v20, v21, v20, 0xbf000004
	v_fma_f32 v18, v18, v19, 1.0
	v_fmaak_f32 v19, v21, v22, 0xbe2aaa9d
	v_dual_mul_f32 v22, v9, v9 :: v_dual_lshlrev_b32 v25, 30, v39
	s_delay_alu instid0(VALU_DEP_1) | instskip(SKIP_1) | instid1(VALU_DEP_2)
	v_dual_fmaak_f32 v26, s24, v22, 0x3c0881c4 :: v_dual_mul_f32 v19, v21, v19
	v_and_b32_e32 v17, 0x80000000, v17
	v_dual_fmac_f32 v38, v38, v19 :: v_dual_and_b32 v25, 0x80000000, v25
	v_fma_f32 v19, v21, v20, 1.0
	s_delay_alu instid0(VALU_DEP_4) | instskip(SKIP_1) | instid1(VALU_DEP_2)
	v_fmaak_f32 v20, v22, v26, 0xbe2aaa9d
	v_fmaak_f32 v27, s23, v22, 0xbab64f3b
	v_dual_cndmask_b32 v19, v19, v38 :: v_dual_mul_f32 v20, v22, v20
	s_delay_alu instid0(VALU_DEP_2) | instskip(SKIP_1) | instid1(VALU_DEP_3)
	v_fmaak_f32 v21, v22, v27, 0x3d2aabf7
	v_cmp_eq_u32_e32 vcc_lo, 0, v24
	v_xor3_b32 v19, v23, v25, v19
	s_delay_alu instid0(VALU_DEP_4) | instskip(NEXT) | instid1(VALU_DEP_4)
	v_fmac_f32_e32 v9, v9, v20
	v_dual_fmaak_f32 v21, v22, v21, 0xbf000004 :: v_dual_and_b32 v20, 1, v48
	v_cndmask_b32_e64 v18, -v43, v18, vcc_lo
	v_cmp_class_f32_e64 vcc_lo, v33, 0x1f8
	s_delay_alu instid0(VALU_DEP_3) | instskip(SKIP_3) | instid1(VALU_DEP_3)
	v_fma_f32 v21, v22, v21, 1.0
	v_dual_cndmask_b32 v19, 0x7fc00000, v19 :: v_dual_lshlrev_b32 v22, 30, v48
	v_cmp_eq_u32_e32 vcc_lo, 0, v20
	v_xor_b32_e32 v17, v17, v18
	v_and_b32_e32 v20, 0x80000000, v22
	s_delay_alu instid0(VALU_DEP_4) | instskip(SKIP_3) | instid1(VALU_DEP_3)
	v_dual_add_f32 v18, v19, v19 :: v_dual_cndmask_b32 v9, v21, v9
	v_xor_b32_e32 v21, v40, v4
	v_cmp_ngt_f32_e32 vcc_lo, 0xc1880000, v3
	v_cndmask_b32_e32 v16, -1.0, v16, vcc_lo
	v_xor3_b32 v9, v21, v20, v9
	v_cmp_class_f32_e64 vcc_lo, v4, 0x1f8
	v_dual_cndmask_b32 v4, 0x7fc00000, v17 :: v_dual_mul_f32 v17, v19, v18
	s_delay_alu instid0(VALU_DEP_3) | instskip(SKIP_1) | instid1(VALU_DEP_3)
	v_cndmask_b32_e32 v9, 0x7fc00000, v9, vcc_lo
	v_cmp_le_i64_e32 vcc_lo, s[10:11], v[11:12]
	v_fma_f32 v3, v16, v4, -v17
	s_delay_alu instid0(VALU_DEP_3)
	v_mul_f32_e32 v4, v14, v9
	v_add_co_u32 v14, s3, s13, v13
	s_or_b32 s2, vcc_lo, s2
	s_add_u32 s5, s5, s20
	v_add_co_u32 v11, vcc_lo, v11, s19
	s_addc_u32 s12, s12, 0
	s_add_u32 s13, s13, s20
	v_add_co_ci_u32_e64 v15, null, s14, 0, s3
	v_add_co_ci_u32_e32 v12, vcc_lo, 0, v12, vcc_lo
	s_addc_u32 s14, s14, 0
	s_and_b32 s2, exec_lo, s2
	s_clause 0x1
	global_store_b128 v[14:15], v[5:8], off
	global_store_b128 v[14:15], v[1:4], off offset:16
	s_or_b32 s18, s2, s18
	s_delay_alu instid0(SALU_CYCLE_1)
	s_and_not1_b32 exec_lo, exec_lo, s18
	s_cbranch_execz .LBB145_52
.LBB145_4:                              ; =>This Inner Loop Header: Depth=1
	v_add_co_u32 v1, s2, s5, v13
	s_delay_alu instid0(VALU_DEP_1)
	v_add_co_ci_u32_e64 v2, null, s12, 0, s2
                                        ; implicit-def: $vgpr18
                                        ; implicit-def: $vgpr16
	s_mov_b32 s3, exec_lo
	s_clause 0x1
	global_load_b128 v[5:8], v[1:2], off
	global_load_b128 v[1:4], v[1:2], off offset:16
	s_waitcnt vmcnt(1)
	v_mul_f32_e32 v14, 0.5, v6
	s_delay_alu instid0(VALU_DEP_1)
	v_and_b32_e32 v15, 0x7fffffff, v14
	v_cmpx_ngt_f32_e64 0x48000000, |v14|
	s_xor_b32 s25, exec_lo, s3
	s_cbranch_execz .LBB145_6
; %bb.5:                                ;   in Loop: Header=BB145_4 Depth=1
	s_delay_alu instid0(VALU_DEP_2) | instskip(SKIP_1) | instid1(VALU_DEP_2)
	v_and_or_b32 v24, v15, s21, 0x800000
	v_lshrrev_b32_e32 v21, 23, v15
	v_mad_u64_u32 v[16:17], null, 0xfe5163ab, v24, 0
	s_delay_alu instid0(VALU_DEP_2) | instskip(NEXT) | instid1(VALU_DEP_1)
	v_add_nc_u32_e32 v22, 0xffffff88, v21
	v_cmp_lt_u32_e32 vcc_lo, 63, v22
	s_delay_alu instid0(VALU_DEP_3) | instskip(SKIP_1) | instid1(VALU_DEP_2)
	v_mov_b32_e32 v9, v17
	v_cndmask_b32_e64 v23, 0, 0xffffffc0, vcc_lo
	v_mad_u64_u32 v[17:18], null, 0x3c439041, v24, v[9:10]
	s_delay_alu instid0(VALU_DEP_2) | instskip(NEXT) | instid1(VALU_DEP_2)
	v_add_nc_u32_e32 v23, v23, v22
	v_mov_b32_e32 v9, v18
	s_delay_alu instid0(VALU_DEP_2) | instskip(NEXT) | instid1(VALU_DEP_2)
	v_cmp_lt_u32_e64 s2, 31, v23
	v_mad_u64_u32 v[18:19], null, 0xdb629599, v24, v[9:10]
	s_delay_alu instid0(VALU_DEP_2) | instskip(NEXT) | instid1(VALU_DEP_1)
	v_cndmask_b32_e64 v25, 0, 0xffffffe0, s2
	v_add_nc_u32_e32 v25, v25, v23
	s_delay_alu instid0(VALU_DEP_3) | instskip(NEXT) | instid1(VALU_DEP_2)
	v_dual_mov_b32 v9, v19 :: v_dual_cndmask_b32 v16, v18, v16
	v_cmp_lt_u32_e64 s3, 31, v25
	s_delay_alu instid0(VALU_DEP_2) | instskip(NEXT) | instid1(VALU_DEP_1)
	v_mad_u64_u32 v[19:20], null, 0xf534ddc0, v24, v[9:10]
	v_mov_b32_e32 v9, v20
	s_delay_alu instid0(VALU_DEP_2) | instskip(NEXT) | instid1(VALU_DEP_2)
	v_cndmask_b32_e32 v17, v19, v17, vcc_lo
	v_mad_u64_u32 v[20:21], null, 0xfc2757d1, v24, v[9:10]
	s_delay_alu instid0(VALU_DEP_2) | instskip(NEXT) | instid1(VALU_DEP_2)
	v_cndmask_b32_e64 v16, v17, v16, s2
	v_mov_b32_e32 v9, v21
	s_delay_alu instid0(VALU_DEP_1) | instskip(NEXT) | instid1(VALU_DEP_1)
	v_mad_u64_u32 v[21:22], null, 0x4e441529, v24, v[9:10]
	v_mov_b32_e32 v9, v22
	s_delay_alu instid0(VALU_DEP_1) | instskip(SKIP_1) | instid1(VALU_DEP_4)
	v_mad_u64_u32 v[22:23], null, 0xa2f9836e, v24, v[9:10]
	v_cndmask_b32_e64 v9, 0, 0xffffffe0, s3
	v_cndmask_b32_e32 v24, v21, v19, vcc_lo
	s_delay_alu instid0(VALU_DEP_2) | instskip(NEXT) | instid1(VALU_DEP_4)
	v_dual_cndmask_b32 v22, v22, v20 :: v_dual_add_nc_u32 v9, v9, v25
	v_dual_cndmask_b32 v21, v23, v21 :: v_dual_cndmask_b32 v20, v20, v18
	s_delay_alu instid0(VALU_DEP_2) | instskip(NEXT) | instid1(VALU_DEP_3)
	v_sub_nc_u32_e32 v23, 32, v9
	v_cndmask_b32_e64 v19, v22, v24, s2
	s_delay_alu instid0(VALU_DEP_3) | instskip(NEXT) | instid1(VALU_DEP_4)
	v_cndmask_b32_e64 v21, v21, v22, s2
	v_cndmask_b32_e64 v22, v24, v20, s2
	v_cndmask_b32_e64 v20, v20, v17, s2
	v_cmp_eq_u32_e64 s4, 0, v9
	s_delay_alu instid0(VALU_DEP_4) | instskip(NEXT) | instid1(VALU_DEP_4)
	v_cndmask_b32_e64 v21, v21, v19, s3
	v_cndmask_b32_e64 v19, v19, v22, s3
	s_delay_alu instid0(VALU_DEP_4) | instskip(SKIP_1) | instid1(VALU_DEP_3)
	v_cndmask_b32_e64 v22, v22, v20, s3
	v_cndmask_b32_e64 v16, v20, v16, s3
	v_alignbit_b32 v24, v21, v19, v23
	s_delay_alu instid0(VALU_DEP_3) | instskip(NEXT) | instid1(VALU_DEP_3)
	v_alignbit_b32 v25, v19, v22, v23
	v_alignbit_b32 v23, v22, v16, v23
	s_delay_alu instid0(VALU_DEP_3) | instskip(NEXT) | instid1(VALU_DEP_3)
	v_cndmask_b32_e64 v9, v24, v21, s4
	v_cndmask_b32_e64 v18, v25, v19, s4
	s_delay_alu instid0(VALU_DEP_3) | instskip(NEXT) | instid1(VALU_DEP_3)
	v_cndmask_b32_e64 v22, v23, v22, s4
	v_bfe_u32 v19, v9, 29, 1
	s_delay_alu instid0(VALU_DEP_3) | instskip(NEXT) | instid1(VALU_DEP_3)
	v_alignbit_b32 v17, v9, v18, 30
	v_alignbit_b32 v18, v18, v22, 30
	;; [unrolled: 1-line block ×3, first 2 shown]
	s_delay_alu instid0(VALU_DEP_4) | instskip(NEXT) | instid1(VALU_DEP_1)
	v_sub_nc_u32_e32 v21, 0, v19
	v_xor_b32_e32 v20, v17, v21
	v_cmp_ne_u32_e32 vcc_lo, v17, v21
	v_xor_b32_e32 v18, v18, v21
	v_xor_b32_e32 v16, v16, v21
	s_delay_alu instid0(VALU_DEP_4) | instskip(NEXT) | instid1(VALU_DEP_1)
	v_clz_i32_u32_e32 v24, v20
	v_add_nc_u32_e32 v23, 1, v24
	s_delay_alu instid0(VALU_DEP_1) | instskip(NEXT) | instid1(VALU_DEP_1)
	v_cndmask_b32_e32 v17, 33, v23, vcc_lo
	v_sub_nc_u32_e32 v22, 32, v17
	s_delay_alu instid0(VALU_DEP_1) | instskip(SKIP_3) | instid1(VALU_DEP_3)
	v_alignbit_b32 v20, v20, v18, v22
	v_alignbit_b32 v16, v18, v16, v22
	v_lshrrev_b32_e32 v18, 29, v9
	v_lshrrev_b32_e32 v9, 30, v9
	v_alignbit_b32 v21, v20, v16, 9
	s_delay_alu instid0(VALU_DEP_3) | instskip(SKIP_1) | instid1(VALU_DEP_3)
	v_lshlrev_b32_e32 v18, 31, v18
	v_alignbit_b32 v20, v17, v20, 9
	v_clz_i32_u32_e32 v22, v21
	s_delay_alu instid0(VALU_DEP_2) | instskip(SKIP_1) | instid1(VALU_DEP_3)
	v_or_b32_e32 v20, v20, v18
	v_or_b32_e32 v18, 0x33800000, v18
	v_min_u32_e32 v22, 32, v22
	s_delay_alu instid0(VALU_DEP_3) | instskip(NEXT) | instid1(VALU_DEP_2)
	v_xor_b32_e32 v20, 1.0, v20
	v_sub_nc_u32_e32 v23, 31, v22
	v_add_lshl_u32 v17, v22, v17, 23
	s_delay_alu instid0(VALU_DEP_3) | instskip(NEXT) | instid1(VALU_DEP_3)
	v_mul_f32_e32 v22, 0x3fc90fda, v20
	v_alignbit_b32 v16, v21, v16, v23
	s_delay_alu instid0(VALU_DEP_3) | instskip(NEXT) | instid1(VALU_DEP_3)
	v_sub_nc_u32_e32 v17, v18, v17
	v_fma_f32 v18, 0x3fc90fda, v20, -v22
	s_delay_alu instid0(VALU_DEP_3) | instskip(NEXT) | instid1(VALU_DEP_2)
	v_lshrrev_b32_e32 v16, 9, v16
	v_fmac_f32_e32 v18, 0x33a22168, v20
	s_delay_alu instid0(VALU_DEP_2) | instskip(NEXT) | instid1(VALU_DEP_1)
	v_or_b32_e32 v16, v17, v16
	v_fmac_f32_e32 v18, 0x3fc90fda, v16
	s_delay_alu instid0(VALU_DEP_1)
	v_add_f32_e32 v16, v22, v18
	v_add_nc_u32_e32 v18, v19, v9
.LBB145_6:                              ;   in Loop: Header=BB145_4 Depth=1
	s_and_not1_saveexec_b32 s2, s25
; %bb.7:                                ;   in Loop: Header=BB145_4 Depth=1
	v_mul_f32_e64 v9, 0x3f22f983, |v14|
	s_delay_alu instid0(VALU_DEP_1) | instskip(NEXT) | instid1(VALU_DEP_1)
	v_rndne_f32_e32 v9, v9
	v_fma_f32 v16, 0xbfc90fda, v9, |v14|
	v_cvt_i32_f32_e32 v18, v9
	s_delay_alu instid0(VALU_DEP_2) | instskip(NEXT) | instid1(VALU_DEP_1)
	v_fmac_f32_e32 v16, 0xb3a22168, v9
	v_fmac_f32_e32 v16, 0xa7c234c4, v9
; %bb.8:                                ;   in Loop: Header=BB145_4 Depth=1
	s_or_b32 exec_lo, exec_lo, s2
	v_and_b32_e32 v17, 0x7fffffff, v6
	v_cmp_ngt_f32_e64 s25, 0x48000000, |v6|
                                        ; implicit-def: $vgpr20
                                        ; implicit-def: $vgpr19
	s_delay_alu instid0(VALU_DEP_1) | instskip(NEXT) | instid1(SALU_CYCLE_1)
	s_and_saveexec_b32 s2, s25
	s_xor_b32 s26, exec_lo, s2
	s_cbranch_execz .LBB145_10
; %bb.9:                                ;   in Loop: Header=BB145_4 Depth=1
	v_lshrrev_b32_e32 v24, 23, v17
	v_and_or_b32 v27, v17, s21, 0x800000
	s_delay_alu instid0(VALU_DEP_2) | instskip(NEXT) | instid1(VALU_DEP_2)
	v_add_nc_u32_e32 v25, 0xffffff88, v24
	v_mad_u64_u32 v[19:20], null, 0xfe5163ab, v27, 0
	s_delay_alu instid0(VALU_DEP_2) | instskip(SKIP_1) | instid1(VALU_DEP_1)
	v_cmp_lt_u32_e32 vcc_lo, 63, v25
	v_cndmask_b32_e64 v26, 0, 0xffffffc0, vcc_lo
	v_dual_mov_b32 v9, v20 :: v_dual_add_nc_u32 v26, v26, v25
	s_delay_alu instid0(VALU_DEP_1) | instskip(NEXT) | instid1(VALU_DEP_2)
	v_mad_u64_u32 v[20:21], null, 0x3c439041, v27, v[9:10]
	v_cmp_lt_u32_e64 s2, 31, v26
	s_delay_alu instid0(VALU_DEP_1) | instskip(NEXT) | instid1(VALU_DEP_1)
	v_cndmask_b32_e64 v28, 0, 0xffffffe0, s2
	v_dual_mov_b32 v9, v21 :: v_dual_add_nc_u32 v28, v28, v26
	s_delay_alu instid0(VALU_DEP_1) | instskip(NEXT) | instid1(VALU_DEP_2)
	v_mad_u64_u32 v[21:22], null, 0xdb629599, v27, v[9:10]
	v_cmp_lt_u32_e64 s3, 31, v28
	s_delay_alu instid0(VALU_DEP_2) | instskip(NEXT) | instid1(VALU_DEP_3)
	v_mov_b32_e32 v9, v22
	v_cndmask_b32_e32 v19, v21, v19, vcc_lo
	s_delay_alu instid0(VALU_DEP_2) | instskip(NEXT) | instid1(VALU_DEP_1)
	v_mad_u64_u32 v[22:23], null, 0xf534ddc0, v27, v[9:10]
	v_dual_mov_b32 v9, v23 :: v_dual_cndmask_b32 v20, v22, v20
	s_delay_alu instid0(VALU_DEP_1) | instskip(NEXT) | instid1(VALU_DEP_2)
	v_mad_u64_u32 v[23:24], null, 0xfc2757d1, v27, v[9:10]
	v_cndmask_b32_e64 v19, v20, v19, s2
	s_delay_alu instid0(VALU_DEP_2) | instskip(NEXT) | instid1(VALU_DEP_1)
	v_mov_b32_e32 v9, v24
	v_mad_u64_u32 v[24:25], null, 0x4e441529, v27, v[9:10]
	s_delay_alu instid0(VALU_DEP_1) | instskip(NEXT) | instid1(VALU_DEP_1)
	v_mov_b32_e32 v9, v25
	v_mad_u64_u32 v[25:26], null, 0xa2f9836e, v27, v[9:10]
	v_cndmask_b32_e64 v9, 0, 0xffffffe0, s3
	s_delay_alu instid0(VALU_DEP_4) | instskip(NEXT) | instid1(VALU_DEP_2)
	v_cndmask_b32_e32 v27, v24, v22, vcc_lo
	v_add_nc_u32_e32 v9, v9, v28
	s_delay_alu instid0(VALU_DEP_4) | instskip(SKIP_1) | instid1(VALU_DEP_3)
	v_dual_cndmask_b32 v25, v25, v23 :: v_dual_cndmask_b32 v24, v26, v24
	v_cndmask_b32_e32 v23, v23, v21, vcc_lo
	v_sub_nc_u32_e32 v26, 32, v9
	s_delay_alu instid0(VALU_DEP_3) | instskip(NEXT) | instid1(VALU_DEP_4)
	v_cndmask_b32_e64 v22, v25, v27, s2
	v_cndmask_b32_e64 v24, v24, v25, s2
	s_delay_alu instid0(VALU_DEP_4) | instskip(SKIP_2) | instid1(VALU_DEP_4)
	v_cndmask_b32_e64 v25, v27, v23, s2
	v_cndmask_b32_e64 v23, v23, v20, s2
	v_cmp_eq_u32_e64 s4, 0, v9
	v_cndmask_b32_e64 v24, v24, v22, s3
	s_delay_alu instid0(VALU_DEP_4) | instskip(NEXT) | instid1(VALU_DEP_4)
	v_cndmask_b32_e64 v22, v22, v25, s3
	v_cndmask_b32_e64 v25, v25, v23, s3
	;; [unrolled: 1-line block ×3, first 2 shown]
	s_delay_alu instid0(VALU_DEP_3) | instskip(NEXT) | instid1(VALU_DEP_3)
	v_alignbit_b32 v27, v24, v22, v26
	v_alignbit_b32 v28, v22, v25, v26
	s_delay_alu instid0(VALU_DEP_3) | instskip(NEXT) | instid1(VALU_DEP_3)
	v_alignbit_b32 v26, v25, v19, v26
	v_cndmask_b32_e64 v9, v27, v24, s4
	s_delay_alu instid0(VALU_DEP_3) | instskip(NEXT) | instid1(VALU_DEP_3)
	v_cndmask_b32_e64 v21, v28, v22, s4
	v_cndmask_b32_e64 v25, v26, v25, s4
	s_delay_alu instid0(VALU_DEP_3) | instskip(NEXT) | instid1(VALU_DEP_3)
	v_bfe_u32 v22, v9, 29, 1
	v_alignbit_b32 v20, v9, v21, 30
	s_delay_alu instid0(VALU_DEP_3) | instskip(SKIP_1) | instid1(VALU_DEP_4)
	v_alignbit_b32 v21, v21, v25, 30
	v_alignbit_b32 v19, v25, v19, 30
	v_sub_nc_u32_e32 v24, 0, v22
	s_delay_alu instid0(VALU_DEP_1) | instskip(SKIP_3) | instid1(VALU_DEP_4)
	v_xor_b32_e32 v23, v20, v24
	v_cmp_ne_u32_e32 vcc_lo, v20, v24
	v_xor_b32_e32 v21, v21, v24
	v_xor_b32_e32 v19, v19, v24
	v_clz_i32_u32_e32 v27, v23
	s_delay_alu instid0(VALU_DEP_1) | instskip(NEXT) | instid1(VALU_DEP_1)
	v_add_nc_u32_e32 v26, 1, v27
	v_cndmask_b32_e32 v20, 33, v26, vcc_lo
	s_delay_alu instid0(VALU_DEP_1) | instskip(NEXT) | instid1(VALU_DEP_1)
	v_sub_nc_u32_e32 v25, 32, v20
	v_alignbit_b32 v23, v23, v21, v25
	v_alignbit_b32 v19, v21, v19, v25
	v_lshrrev_b32_e32 v21, 29, v9
	v_lshrrev_b32_e32 v9, 30, v9
	s_delay_alu instid0(VALU_DEP_3) | instskip(NEXT) | instid1(VALU_DEP_3)
	v_alignbit_b32 v24, v23, v19, 9
	v_lshlrev_b32_e32 v21, 31, v21
	v_alignbit_b32 v23, v20, v23, 9
	s_delay_alu instid0(VALU_DEP_3) | instskip(NEXT) | instid1(VALU_DEP_2)
	v_clz_i32_u32_e32 v25, v24
	v_or_b32_e32 v23, v23, v21
	v_or_b32_e32 v21, 0x33800000, v21
	s_delay_alu instid0(VALU_DEP_3) | instskip(NEXT) | instid1(VALU_DEP_3)
	v_min_u32_e32 v25, 32, v25
	v_xor_b32_e32 v23, 1.0, v23
	s_delay_alu instid0(VALU_DEP_2) | instskip(SKIP_1) | instid1(VALU_DEP_3)
	v_sub_nc_u32_e32 v26, 31, v25
	v_add_lshl_u32 v20, v25, v20, 23
	v_mul_f32_e32 v25, 0x3fc90fda, v23
	s_delay_alu instid0(VALU_DEP_3) | instskip(NEXT) | instid1(VALU_DEP_3)
	v_alignbit_b32 v19, v24, v19, v26
	v_sub_nc_u32_e32 v20, v21, v20
	s_delay_alu instid0(VALU_DEP_3) | instskip(NEXT) | instid1(VALU_DEP_3)
	v_fma_f32 v21, 0x3fc90fda, v23, -v25
	v_lshrrev_b32_e32 v19, 9, v19
	s_delay_alu instid0(VALU_DEP_2) | instskip(NEXT) | instid1(VALU_DEP_2)
	v_fmac_f32_e32 v21, 0x33a22168, v23
	v_or_b32_e32 v19, v20, v19
	s_delay_alu instid0(VALU_DEP_1) | instskip(NEXT) | instid1(VALU_DEP_1)
	v_dual_fmac_f32 v21, 0x3fc90fda, v19 :: v_dual_add_nc_u32 v20, v22, v9
	v_add_f32_e32 v19, v25, v21
	s_and_not1_saveexec_b32 s2, s26
	s_branch .LBB145_11
.LBB145_10:                             ;   in Loop: Header=BB145_4 Depth=1
	s_and_not1_saveexec_b32 s2, s26
.LBB145_11:                             ;   in Loop: Header=BB145_4 Depth=1
	v_mul_f32_e64 v9, 0x3f22f983, |v6|
	s_delay_alu instid0(VALU_DEP_1) | instskip(NEXT) | instid1(VALU_DEP_1)
	v_rndne_f32_e32 v9, v9
	v_fma_f32 v19, 0xbfc90fda, v9, |v6|
	v_cvt_i32_f32_e32 v20, v9
	s_delay_alu instid0(VALU_DEP_2) | instskip(NEXT) | instid1(VALU_DEP_1)
	v_fmac_f32_e32 v19, 0xb3a22168, v9
	v_fmac_f32_e32 v19, 0xa7c234c4, v9
; %bb.12:                               ;   in Loop: Header=BB145_4 Depth=1
	s_or_b32 exec_lo, exec_lo, s2
                                        ; implicit-def: $vgpr22
                                        ; implicit-def: $vgpr21
	s_and_saveexec_b32 s2, s25
	s_delay_alu instid0(SALU_CYCLE_1)
	s_xor_b32 s25, exec_lo, s2
	s_cbranch_execz .LBB145_14
; %bb.13:                               ;   in Loop: Header=BB145_4 Depth=1
	v_lshrrev_b32_e32 v26, 23, v17
	v_and_or_b32 v29, v17, s21, 0x800000
	s_delay_alu instid0(VALU_DEP_2) | instskip(NEXT) | instid1(VALU_DEP_2)
	v_add_nc_u32_e32 v27, 0xffffff88, v26
	v_mad_u64_u32 v[21:22], null, 0xfe5163ab, v29, 0
	s_delay_alu instid0(VALU_DEP_2) | instskip(SKIP_1) | instid1(VALU_DEP_1)
	v_cmp_lt_u32_e32 vcc_lo, 63, v27
	v_cndmask_b32_e64 v28, 0, 0xffffffc0, vcc_lo
	v_dual_mov_b32 v9, v22 :: v_dual_add_nc_u32 v28, v28, v27
	s_delay_alu instid0(VALU_DEP_1) | instskip(NEXT) | instid1(VALU_DEP_2)
	v_mad_u64_u32 v[22:23], null, 0x3c439041, v29, v[9:10]
	v_cmp_lt_u32_e64 s2, 31, v28
	s_delay_alu instid0(VALU_DEP_1) | instskip(NEXT) | instid1(VALU_DEP_1)
	v_cndmask_b32_e64 v30, 0, 0xffffffe0, s2
	v_dual_mov_b32 v9, v23 :: v_dual_add_nc_u32 v30, v30, v28
	s_delay_alu instid0(VALU_DEP_1) | instskip(NEXT) | instid1(VALU_DEP_2)
	v_mad_u64_u32 v[23:24], null, 0xdb629599, v29, v[9:10]
	v_cmp_lt_u32_e64 s3, 31, v30
	s_delay_alu instid0(VALU_DEP_2) | instskip(NEXT) | instid1(VALU_DEP_3)
	v_mov_b32_e32 v9, v24
	v_cndmask_b32_e32 v21, v23, v21, vcc_lo
	s_delay_alu instid0(VALU_DEP_2) | instskip(NEXT) | instid1(VALU_DEP_1)
	v_mad_u64_u32 v[24:25], null, 0xf534ddc0, v29, v[9:10]
	v_dual_mov_b32 v9, v25 :: v_dual_cndmask_b32 v22, v24, v22
	s_delay_alu instid0(VALU_DEP_1) | instskip(NEXT) | instid1(VALU_DEP_2)
	v_mad_u64_u32 v[25:26], null, 0xfc2757d1, v29, v[9:10]
	v_cndmask_b32_e64 v21, v22, v21, s2
	s_delay_alu instid0(VALU_DEP_2) | instskip(NEXT) | instid1(VALU_DEP_1)
	v_mov_b32_e32 v9, v26
	v_mad_u64_u32 v[26:27], null, 0x4e441529, v29, v[9:10]
	s_delay_alu instid0(VALU_DEP_1) | instskip(NEXT) | instid1(VALU_DEP_1)
	v_mov_b32_e32 v9, v27
	v_mad_u64_u32 v[27:28], null, 0xa2f9836e, v29, v[9:10]
	v_cndmask_b32_e64 v9, 0, 0xffffffe0, s3
	s_delay_alu instid0(VALU_DEP_4) | instskip(NEXT) | instid1(VALU_DEP_2)
	v_cndmask_b32_e32 v29, v26, v24, vcc_lo
	v_add_nc_u32_e32 v9, v9, v30
	s_delay_alu instid0(VALU_DEP_4) | instskip(SKIP_1) | instid1(VALU_DEP_3)
	v_dual_cndmask_b32 v27, v27, v25 :: v_dual_cndmask_b32 v26, v28, v26
	v_cndmask_b32_e32 v25, v25, v23, vcc_lo
	v_sub_nc_u32_e32 v28, 32, v9
	s_delay_alu instid0(VALU_DEP_3) | instskip(NEXT) | instid1(VALU_DEP_4)
	v_cndmask_b32_e64 v24, v27, v29, s2
	v_cndmask_b32_e64 v26, v26, v27, s2
	s_delay_alu instid0(VALU_DEP_4) | instskip(SKIP_2) | instid1(VALU_DEP_4)
	v_cndmask_b32_e64 v27, v29, v25, s2
	v_cndmask_b32_e64 v25, v25, v22, s2
	v_cmp_eq_u32_e64 s4, 0, v9
	v_cndmask_b32_e64 v26, v26, v24, s3
	s_delay_alu instid0(VALU_DEP_4) | instskip(NEXT) | instid1(VALU_DEP_4)
	v_cndmask_b32_e64 v24, v24, v27, s3
	v_cndmask_b32_e64 v27, v27, v25, s3
	;; [unrolled: 1-line block ×3, first 2 shown]
	s_delay_alu instid0(VALU_DEP_3) | instskip(NEXT) | instid1(VALU_DEP_3)
	v_alignbit_b32 v29, v26, v24, v28
	v_alignbit_b32 v30, v24, v27, v28
	s_delay_alu instid0(VALU_DEP_3) | instskip(NEXT) | instid1(VALU_DEP_3)
	v_alignbit_b32 v28, v27, v21, v28
	v_cndmask_b32_e64 v9, v29, v26, s4
	s_delay_alu instid0(VALU_DEP_3) | instskip(NEXT) | instid1(VALU_DEP_3)
	v_cndmask_b32_e64 v23, v30, v24, s4
	v_cndmask_b32_e64 v27, v28, v27, s4
	s_delay_alu instid0(VALU_DEP_3) | instskip(NEXT) | instid1(VALU_DEP_3)
	v_bfe_u32 v24, v9, 29, 1
	v_alignbit_b32 v22, v9, v23, 30
	s_delay_alu instid0(VALU_DEP_3) | instskip(SKIP_1) | instid1(VALU_DEP_4)
	v_alignbit_b32 v23, v23, v27, 30
	v_alignbit_b32 v21, v27, v21, 30
	v_sub_nc_u32_e32 v26, 0, v24
	s_delay_alu instid0(VALU_DEP_1) | instskip(SKIP_3) | instid1(VALU_DEP_4)
	v_xor_b32_e32 v25, v22, v26
	v_cmp_ne_u32_e32 vcc_lo, v22, v26
	v_xor_b32_e32 v23, v23, v26
	v_xor_b32_e32 v21, v21, v26
	v_clz_i32_u32_e32 v29, v25
	s_delay_alu instid0(VALU_DEP_1) | instskip(NEXT) | instid1(VALU_DEP_1)
	v_add_nc_u32_e32 v28, 1, v29
	v_cndmask_b32_e32 v22, 33, v28, vcc_lo
	s_delay_alu instid0(VALU_DEP_1) | instskip(NEXT) | instid1(VALU_DEP_1)
	v_sub_nc_u32_e32 v27, 32, v22
	v_alignbit_b32 v25, v25, v23, v27
	v_alignbit_b32 v21, v23, v21, v27
	v_lshrrev_b32_e32 v23, 29, v9
	v_lshrrev_b32_e32 v9, 30, v9
	s_delay_alu instid0(VALU_DEP_3) | instskip(NEXT) | instid1(VALU_DEP_3)
	v_alignbit_b32 v26, v25, v21, 9
	v_lshlrev_b32_e32 v23, 31, v23
	v_alignbit_b32 v25, v22, v25, 9
	s_delay_alu instid0(VALU_DEP_3) | instskip(NEXT) | instid1(VALU_DEP_2)
	v_clz_i32_u32_e32 v27, v26
	v_or_b32_e32 v25, v25, v23
	v_or_b32_e32 v23, 0x33800000, v23
	s_delay_alu instid0(VALU_DEP_3) | instskip(NEXT) | instid1(VALU_DEP_3)
	v_min_u32_e32 v27, 32, v27
	v_xor_b32_e32 v25, 1.0, v25
	s_delay_alu instid0(VALU_DEP_2) | instskip(SKIP_1) | instid1(VALU_DEP_3)
	v_sub_nc_u32_e32 v28, 31, v27
	v_add_lshl_u32 v22, v27, v22, 23
	v_mul_f32_e32 v27, 0x3fc90fda, v25
	s_delay_alu instid0(VALU_DEP_3) | instskip(NEXT) | instid1(VALU_DEP_3)
	v_alignbit_b32 v21, v26, v21, v28
	v_sub_nc_u32_e32 v22, v23, v22
	s_delay_alu instid0(VALU_DEP_3) | instskip(NEXT) | instid1(VALU_DEP_3)
	v_fma_f32 v23, 0x3fc90fda, v25, -v27
	v_lshrrev_b32_e32 v21, 9, v21
	s_delay_alu instid0(VALU_DEP_2) | instskip(NEXT) | instid1(VALU_DEP_2)
	v_fmac_f32_e32 v23, 0x33a22168, v25
	v_or_b32_e32 v21, v22, v21
	v_add_nc_u32_e32 v22, v24, v9
	s_delay_alu instid0(VALU_DEP_2) | instskip(NEXT) | instid1(VALU_DEP_1)
	v_fmac_f32_e32 v23, 0x3fc90fda, v21
	v_add_f32_e32 v21, v27, v23
	s_and_not1_saveexec_b32 s2, s25
	s_cbranch_execnz .LBB145_15
	s_branch .LBB145_16
.LBB145_14:                             ;   in Loop: Header=BB145_4 Depth=1
	s_and_not1_saveexec_b32 s2, s25
.LBB145_15:                             ;   in Loop: Header=BB145_4 Depth=1
	v_mul_f32_e64 v9, 0x3f22f983, |v6|
	s_delay_alu instid0(VALU_DEP_1) | instskip(NEXT) | instid1(VALU_DEP_1)
	v_rndne_f32_e32 v9, v9
	v_fma_f32 v21, 0xbfc90fda, v9, |v6|
	v_cvt_i32_f32_e32 v22, v9
	s_delay_alu instid0(VALU_DEP_2) | instskip(NEXT) | instid1(VALU_DEP_1)
	v_fmac_f32_e32 v21, 0xb3a22168, v9
	v_fmac_f32_e32 v21, 0xa7c234c4, v9
.LBB145_16:                             ;   in Loop: Header=BB145_4 Depth=1
	s_or_b32 exec_lo, exec_lo, s2
	v_mul_f32_e32 v23, 0.5, v8
                                        ; implicit-def: $vgpr27
                                        ; implicit-def: $vgpr25
	s_mov_b32 s3, exec_lo
	s_delay_alu instid0(VALU_DEP_1)
	v_and_b32_e32 v24, 0x7fffffff, v23
	v_cmpx_ngt_f32_e64 0x48000000, |v23|
	s_xor_b32 s25, exec_lo, s3
	s_cbranch_execz .LBB145_18
; %bb.17:                               ;   in Loop: Header=BB145_4 Depth=1
	s_delay_alu instid0(VALU_DEP_2) | instskip(SKIP_1) | instid1(VALU_DEP_2)
	v_lshrrev_b32_e32 v30, 23, v24
	v_and_or_b32 v33, v24, s21, 0x800000
	v_add_nc_u32_e32 v31, 0xffffff88, v30
	s_delay_alu instid0(VALU_DEP_2) | instskip(NEXT) | instid1(VALU_DEP_2)
	v_mad_u64_u32 v[25:26], null, 0xfe5163ab, v33, 0
	v_cmp_lt_u32_e32 vcc_lo, 63, v31
	v_cndmask_b32_e64 v32, 0, 0xffffffc0, vcc_lo
	s_delay_alu instid0(VALU_DEP_1) | instskip(NEXT) | instid1(VALU_DEP_1)
	v_dual_mov_b32 v9, v26 :: v_dual_add_nc_u32 v32, v32, v31
	v_mad_u64_u32 v[26:27], null, 0x3c439041, v33, v[9:10]
	s_delay_alu instid0(VALU_DEP_2) | instskip(NEXT) | instid1(VALU_DEP_1)
	v_cmp_lt_u32_e64 s2, 31, v32
	v_cndmask_b32_e64 v34, 0, 0xffffffe0, s2
	s_delay_alu instid0(VALU_DEP_1) | instskip(NEXT) | instid1(VALU_DEP_1)
	v_dual_mov_b32 v9, v27 :: v_dual_add_nc_u32 v34, v34, v32
	v_mad_u64_u32 v[27:28], null, 0xdb629599, v33, v[9:10]
	s_delay_alu instid0(VALU_DEP_2) | instskip(NEXT) | instid1(VALU_DEP_2)
	v_cmp_lt_u32_e64 s3, 31, v34
	v_mov_b32_e32 v9, v28
	s_delay_alu instid0(VALU_DEP_3) | instskip(NEXT) | instid1(VALU_DEP_2)
	v_cndmask_b32_e32 v25, v27, v25, vcc_lo
	v_mad_u64_u32 v[28:29], null, 0xf534ddc0, v33, v[9:10]
	s_delay_alu instid0(VALU_DEP_1) | instskip(NEXT) | instid1(VALU_DEP_1)
	v_dual_mov_b32 v9, v29 :: v_dual_cndmask_b32 v26, v28, v26
	v_mad_u64_u32 v[29:30], null, 0xfc2757d1, v33, v[9:10]
	s_delay_alu instid0(VALU_DEP_2) | instskip(NEXT) | instid1(VALU_DEP_2)
	v_cndmask_b32_e64 v25, v26, v25, s2
	v_mov_b32_e32 v9, v30
	s_delay_alu instid0(VALU_DEP_1) | instskip(NEXT) | instid1(VALU_DEP_1)
	v_mad_u64_u32 v[30:31], null, 0x4e441529, v33, v[9:10]
	v_mov_b32_e32 v9, v31
	s_delay_alu instid0(VALU_DEP_1) | instskip(SKIP_1) | instid1(VALU_DEP_4)
	v_mad_u64_u32 v[31:32], null, 0xa2f9836e, v33, v[9:10]
	v_cndmask_b32_e64 v9, 0, 0xffffffe0, s3
	v_cndmask_b32_e32 v33, v30, v28, vcc_lo
	s_delay_alu instid0(VALU_DEP_2) | instskip(NEXT) | instid1(VALU_DEP_4)
	v_add_nc_u32_e32 v9, v9, v34
	v_dual_cndmask_b32 v31, v31, v29 :: v_dual_cndmask_b32 v30, v32, v30
	v_cndmask_b32_e32 v29, v29, v27, vcc_lo
	s_delay_alu instid0(VALU_DEP_3) | instskip(NEXT) | instid1(VALU_DEP_3)
	v_sub_nc_u32_e32 v32, 32, v9
	v_cndmask_b32_e64 v28, v31, v33, s2
	s_delay_alu instid0(VALU_DEP_4) | instskip(NEXT) | instid1(VALU_DEP_4)
	v_cndmask_b32_e64 v30, v30, v31, s2
	v_cndmask_b32_e64 v31, v33, v29, s2
	;; [unrolled: 1-line block ×3, first 2 shown]
	v_cmp_eq_u32_e64 s4, 0, v9
	s_delay_alu instid0(VALU_DEP_4) | instskip(NEXT) | instid1(VALU_DEP_4)
	v_cndmask_b32_e64 v30, v30, v28, s3
	v_cndmask_b32_e64 v28, v28, v31, s3
	s_delay_alu instid0(VALU_DEP_4) | instskip(SKIP_1) | instid1(VALU_DEP_3)
	v_cndmask_b32_e64 v31, v31, v29, s3
	v_cndmask_b32_e64 v25, v29, v25, s3
	v_alignbit_b32 v33, v30, v28, v32
	s_delay_alu instid0(VALU_DEP_3) | instskip(NEXT) | instid1(VALU_DEP_3)
	v_alignbit_b32 v34, v28, v31, v32
	v_alignbit_b32 v32, v31, v25, v32
	s_delay_alu instid0(VALU_DEP_3) | instskip(NEXT) | instid1(VALU_DEP_3)
	v_cndmask_b32_e64 v9, v33, v30, s4
	v_cndmask_b32_e64 v27, v34, v28, s4
	s_delay_alu instid0(VALU_DEP_3) | instskip(NEXT) | instid1(VALU_DEP_3)
	v_cndmask_b32_e64 v31, v32, v31, s4
	v_bfe_u32 v28, v9, 29, 1
	s_delay_alu instid0(VALU_DEP_3) | instskip(NEXT) | instid1(VALU_DEP_3)
	v_alignbit_b32 v26, v9, v27, 30
	v_alignbit_b32 v27, v27, v31, 30
	;; [unrolled: 1-line block ×3, first 2 shown]
	s_delay_alu instid0(VALU_DEP_4) | instskip(NEXT) | instid1(VALU_DEP_1)
	v_sub_nc_u32_e32 v30, 0, v28
	v_xor_b32_e32 v29, v26, v30
	v_cmp_ne_u32_e32 vcc_lo, v26, v30
	v_xor_b32_e32 v27, v27, v30
	v_xor_b32_e32 v25, v25, v30
	s_delay_alu instid0(VALU_DEP_4) | instskip(NEXT) | instid1(VALU_DEP_1)
	v_clz_i32_u32_e32 v33, v29
	v_add_nc_u32_e32 v32, 1, v33
	s_delay_alu instid0(VALU_DEP_1) | instskip(NEXT) | instid1(VALU_DEP_1)
	v_cndmask_b32_e32 v26, 33, v32, vcc_lo
	v_sub_nc_u32_e32 v31, 32, v26
	s_delay_alu instid0(VALU_DEP_1) | instskip(SKIP_3) | instid1(VALU_DEP_3)
	v_alignbit_b32 v29, v29, v27, v31
	v_alignbit_b32 v25, v27, v25, v31
	v_lshrrev_b32_e32 v27, 29, v9
	v_lshrrev_b32_e32 v9, 30, v9
	v_alignbit_b32 v30, v29, v25, 9
	s_delay_alu instid0(VALU_DEP_3) | instskip(SKIP_1) | instid1(VALU_DEP_3)
	v_lshlrev_b32_e32 v27, 31, v27
	v_alignbit_b32 v29, v26, v29, 9
	v_clz_i32_u32_e32 v31, v30
	s_delay_alu instid0(VALU_DEP_2) | instskip(SKIP_1) | instid1(VALU_DEP_3)
	v_or_b32_e32 v29, v29, v27
	v_or_b32_e32 v27, 0x33800000, v27
	v_min_u32_e32 v31, 32, v31
	s_delay_alu instid0(VALU_DEP_3) | instskip(NEXT) | instid1(VALU_DEP_2)
	v_xor_b32_e32 v29, 1.0, v29
	v_sub_nc_u32_e32 v32, 31, v31
	v_add_lshl_u32 v26, v31, v26, 23
	s_delay_alu instid0(VALU_DEP_3) | instskip(NEXT) | instid1(VALU_DEP_3)
	v_mul_f32_e32 v31, 0x3fc90fda, v29
	v_alignbit_b32 v25, v30, v25, v32
	s_delay_alu instid0(VALU_DEP_3) | instskip(NEXT) | instid1(VALU_DEP_3)
	v_sub_nc_u32_e32 v26, v27, v26
	v_fma_f32 v27, 0x3fc90fda, v29, -v31
	s_delay_alu instid0(VALU_DEP_3) | instskip(NEXT) | instid1(VALU_DEP_2)
	v_lshrrev_b32_e32 v25, 9, v25
	v_fmac_f32_e32 v27, 0x33a22168, v29
	s_delay_alu instid0(VALU_DEP_2) | instskip(NEXT) | instid1(VALU_DEP_1)
	v_or_b32_e32 v25, v26, v25
	v_fmac_f32_e32 v27, 0x3fc90fda, v25
	s_delay_alu instid0(VALU_DEP_1)
	v_add_f32_e32 v25, v31, v27
	v_add_nc_u32_e32 v27, v28, v9
.LBB145_18:                             ;   in Loop: Header=BB145_4 Depth=1
	s_and_not1_saveexec_b32 s2, s25
; %bb.19:                               ;   in Loop: Header=BB145_4 Depth=1
	v_mul_f32_e64 v9, 0x3f22f983, |v23|
	s_delay_alu instid0(VALU_DEP_1) | instskip(NEXT) | instid1(VALU_DEP_1)
	v_rndne_f32_e32 v9, v9
	v_fma_f32 v25, 0xbfc90fda, v9, |v23|
	v_cvt_i32_f32_e32 v27, v9
	s_delay_alu instid0(VALU_DEP_2) | instskip(NEXT) | instid1(VALU_DEP_1)
	v_fmac_f32_e32 v25, 0xb3a22168, v9
	v_fmac_f32_e32 v25, 0xa7c234c4, v9
; %bb.20:                               ;   in Loop: Header=BB145_4 Depth=1
	s_or_b32 exec_lo, exec_lo, s2
	v_and_b32_e32 v26, 0x7fffffff, v8
	v_cmp_ngt_f32_e64 s25, 0x48000000, |v8|
                                        ; implicit-def: $vgpr29
                                        ; implicit-def: $vgpr28
	s_delay_alu instid0(VALU_DEP_1) | instskip(NEXT) | instid1(SALU_CYCLE_1)
	s_and_saveexec_b32 s2, s25
	s_xor_b32 s26, exec_lo, s2
	s_cbranch_execz .LBB145_22
; %bb.21:                               ;   in Loop: Header=BB145_4 Depth=1
	v_and_or_b32 v36, v26, s21, 0x800000
	v_lshrrev_b32_e32 v33, 23, v26
	s_delay_alu instid0(VALU_DEP_2) | instskip(NEXT) | instid1(VALU_DEP_2)
	v_mad_u64_u32 v[28:29], null, 0xfe5163ab, v36, 0
	v_add_nc_u32_e32 v34, 0xffffff88, v33
	s_delay_alu instid0(VALU_DEP_1) | instskip(NEXT) | instid1(VALU_DEP_3)
	v_cmp_lt_u32_e32 vcc_lo, 63, v34
	v_mov_b32_e32 v9, v29
	v_cndmask_b32_e64 v35, 0, 0xffffffc0, vcc_lo
	s_delay_alu instid0(VALU_DEP_2) | instskip(NEXT) | instid1(VALU_DEP_2)
	v_mad_u64_u32 v[29:30], null, 0x3c439041, v36, v[9:10]
	v_add_nc_u32_e32 v35, v35, v34
	s_delay_alu instid0(VALU_DEP_2) | instskip(NEXT) | instid1(VALU_DEP_2)
	v_mov_b32_e32 v9, v30
	v_cmp_lt_u32_e64 s2, 31, v35
	s_delay_alu instid0(VALU_DEP_2) | instskip(NEXT) | instid1(VALU_DEP_2)
	v_mad_u64_u32 v[30:31], null, 0xdb629599, v36, v[9:10]
	v_cndmask_b32_e64 v37, 0, 0xffffffe0, s2
	s_delay_alu instid0(VALU_DEP_1) | instskip(NEXT) | instid1(VALU_DEP_3)
	v_add_nc_u32_e32 v37, v37, v35
	v_dual_mov_b32 v9, v31 :: v_dual_cndmask_b32 v28, v30, v28
	s_delay_alu instid0(VALU_DEP_2) | instskip(NEXT) | instid1(VALU_DEP_2)
	v_cmp_lt_u32_e64 s3, 31, v37
	v_mad_u64_u32 v[31:32], null, 0xf534ddc0, v36, v[9:10]
	s_delay_alu instid0(VALU_DEP_1) | instskip(NEXT) | instid1(VALU_DEP_2)
	v_mov_b32_e32 v9, v32
	v_cndmask_b32_e32 v29, v31, v29, vcc_lo
	s_delay_alu instid0(VALU_DEP_2) | instskip(NEXT) | instid1(VALU_DEP_2)
	v_mad_u64_u32 v[32:33], null, 0xfc2757d1, v36, v[9:10]
	v_cndmask_b32_e64 v28, v29, v28, s2
	s_delay_alu instid0(VALU_DEP_2) | instskip(NEXT) | instid1(VALU_DEP_1)
	v_mov_b32_e32 v9, v33
	v_mad_u64_u32 v[33:34], null, 0x4e441529, v36, v[9:10]
	s_delay_alu instid0(VALU_DEP_1) | instskip(NEXT) | instid1(VALU_DEP_1)
	v_mov_b32_e32 v9, v34
	v_mad_u64_u32 v[34:35], null, 0xa2f9836e, v36, v[9:10]
	v_cndmask_b32_e64 v9, 0, 0xffffffe0, s3
	s_delay_alu instid0(VALU_DEP_4) | instskip(NEXT) | instid1(VALU_DEP_2)
	v_cndmask_b32_e32 v36, v33, v31, vcc_lo
	v_dual_cndmask_b32 v34, v34, v32 :: v_dual_add_nc_u32 v9, v9, v37
	s_delay_alu instid0(VALU_DEP_4) | instskip(NEXT) | instid1(VALU_DEP_2)
	v_dual_cndmask_b32 v33, v35, v33 :: v_dual_cndmask_b32 v32, v32, v30
	v_sub_nc_u32_e32 v35, 32, v9
	s_delay_alu instid0(VALU_DEP_3) | instskip(NEXT) | instid1(VALU_DEP_3)
	v_cndmask_b32_e64 v31, v34, v36, s2
	v_cndmask_b32_e64 v33, v33, v34, s2
	s_delay_alu instid0(VALU_DEP_4) | instskip(SKIP_2) | instid1(VALU_DEP_4)
	v_cndmask_b32_e64 v34, v36, v32, s2
	v_cndmask_b32_e64 v32, v32, v29, s2
	v_cmp_eq_u32_e64 s4, 0, v9
	v_cndmask_b32_e64 v33, v33, v31, s3
	s_delay_alu instid0(VALU_DEP_4) | instskip(NEXT) | instid1(VALU_DEP_4)
	v_cndmask_b32_e64 v31, v31, v34, s3
	v_cndmask_b32_e64 v34, v34, v32, s3
	;; [unrolled: 1-line block ×3, first 2 shown]
	s_delay_alu instid0(VALU_DEP_3) | instskip(NEXT) | instid1(VALU_DEP_3)
	v_alignbit_b32 v36, v33, v31, v35
	v_alignbit_b32 v37, v31, v34, v35
	s_delay_alu instid0(VALU_DEP_3) | instskip(NEXT) | instid1(VALU_DEP_3)
	v_alignbit_b32 v35, v34, v28, v35
	v_cndmask_b32_e64 v9, v36, v33, s4
	s_delay_alu instid0(VALU_DEP_3) | instskip(NEXT) | instid1(VALU_DEP_3)
	v_cndmask_b32_e64 v30, v37, v31, s4
	v_cndmask_b32_e64 v34, v35, v34, s4
	s_delay_alu instid0(VALU_DEP_3) | instskip(NEXT) | instid1(VALU_DEP_3)
	v_bfe_u32 v31, v9, 29, 1
	v_alignbit_b32 v29, v9, v30, 30
	s_delay_alu instid0(VALU_DEP_3) | instskip(SKIP_1) | instid1(VALU_DEP_4)
	v_alignbit_b32 v30, v30, v34, 30
	v_alignbit_b32 v28, v34, v28, 30
	v_sub_nc_u32_e32 v33, 0, v31
	s_delay_alu instid0(VALU_DEP_1) | instskip(SKIP_3) | instid1(VALU_DEP_4)
	v_xor_b32_e32 v32, v29, v33
	v_cmp_ne_u32_e32 vcc_lo, v29, v33
	v_xor_b32_e32 v30, v30, v33
	v_xor_b32_e32 v28, v28, v33
	v_clz_i32_u32_e32 v36, v32
	s_delay_alu instid0(VALU_DEP_1) | instskip(NEXT) | instid1(VALU_DEP_1)
	v_add_nc_u32_e32 v35, 1, v36
	v_cndmask_b32_e32 v29, 33, v35, vcc_lo
	s_delay_alu instid0(VALU_DEP_1) | instskip(NEXT) | instid1(VALU_DEP_1)
	v_sub_nc_u32_e32 v34, 32, v29
	v_alignbit_b32 v32, v32, v30, v34
	v_alignbit_b32 v28, v30, v28, v34
	v_lshrrev_b32_e32 v30, 29, v9
	v_lshrrev_b32_e32 v9, 30, v9
	s_delay_alu instid0(VALU_DEP_3) | instskip(NEXT) | instid1(VALU_DEP_3)
	v_alignbit_b32 v33, v32, v28, 9
	v_lshlrev_b32_e32 v30, 31, v30
	v_alignbit_b32 v32, v29, v32, 9
	s_delay_alu instid0(VALU_DEP_3) | instskip(NEXT) | instid1(VALU_DEP_2)
	v_clz_i32_u32_e32 v34, v33
	v_or_b32_e32 v32, v32, v30
	v_or_b32_e32 v30, 0x33800000, v30
	s_delay_alu instid0(VALU_DEP_3) | instskip(NEXT) | instid1(VALU_DEP_3)
	v_min_u32_e32 v34, 32, v34
	v_xor_b32_e32 v32, 1.0, v32
	s_delay_alu instid0(VALU_DEP_2) | instskip(SKIP_1) | instid1(VALU_DEP_3)
	v_sub_nc_u32_e32 v35, 31, v34
	v_add_lshl_u32 v29, v34, v29, 23
	v_mul_f32_e32 v34, 0x3fc90fda, v32
	s_delay_alu instid0(VALU_DEP_3) | instskip(NEXT) | instid1(VALU_DEP_3)
	v_alignbit_b32 v28, v33, v28, v35
	v_sub_nc_u32_e32 v29, v30, v29
	s_delay_alu instid0(VALU_DEP_3) | instskip(NEXT) | instid1(VALU_DEP_3)
	v_fma_f32 v30, 0x3fc90fda, v32, -v34
	v_lshrrev_b32_e32 v28, 9, v28
	s_delay_alu instid0(VALU_DEP_2) | instskip(NEXT) | instid1(VALU_DEP_2)
	v_fmac_f32_e32 v30, 0x33a22168, v32
	v_or_b32_e32 v28, v29, v28
	s_delay_alu instid0(VALU_DEP_1) | instskip(NEXT) | instid1(VALU_DEP_1)
	v_dual_fmac_f32 v30, 0x3fc90fda, v28 :: v_dual_add_nc_u32 v29, v31, v9
	v_add_f32_e32 v28, v34, v30
	s_and_not1_saveexec_b32 s2, s26
	s_branch .LBB145_23
.LBB145_22:                             ;   in Loop: Header=BB145_4 Depth=1
	s_and_not1_saveexec_b32 s2, s26
.LBB145_23:                             ;   in Loop: Header=BB145_4 Depth=1
	v_mul_f32_e64 v9, 0x3f22f983, |v8|
	s_delay_alu instid0(VALU_DEP_1) | instskip(NEXT) | instid1(VALU_DEP_1)
	v_rndne_f32_e32 v9, v9
	v_fma_f32 v28, 0xbfc90fda, v9, |v8|
	v_cvt_i32_f32_e32 v29, v9
	s_delay_alu instid0(VALU_DEP_2) | instskip(NEXT) | instid1(VALU_DEP_1)
	v_fmac_f32_e32 v28, 0xb3a22168, v9
	v_fmac_f32_e32 v28, 0xa7c234c4, v9
; %bb.24:                               ;   in Loop: Header=BB145_4 Depth=1
	s_or_b32 exec_lo, exec_lo, s2
                                        ; implicit-def: $vgpr31
                                        ; implicit-def: $vgpr30
	s_and_saveexec_b32 s2, s25
	s_delay_alu instid0(SALU_CYCLE_1)
	s_xor_b32 s25, exec_lo, s2
	s_cbranch_execz .LBB145_26
; %bb.25:                               ;   in Loop: Header=BB145_4 Depth=1
	v_and_or_b32 v38, v26, s21, 0x800000
	v_lshrrev_b32_e32 v35, 23, v26
	s_delay_alu instid0(VALU_DEP_2) | instskip(NEXT) | instid1(VALU_DEP_2)
	v_mad_u64_u32 v[30:31], null, 0xfe5163ab, v38, 0
	v_add_nc_u32_e32 v36, 0xffffff88, v35
	s_delay_alu instid0(VALU_DEP_1) | instskip(NEXT) | instid1(VALU_DEP_3)
	v_cmp_lt_u32_e32 vcc_lo, 63, v36
	v_mov_b32_e32 v9, v31
	v_cndmask_b32_e64 v37, 0, 0xffffffc0, vcc_lo
	s_delay_alu instid0(VALU_DEP_2) | instskip(NEXT) | instid1(VALU_DEP_2)
	v_mad_u64_u32 v[31:32], null, 0x3c439041, v38, v[9:10]
	v_add_nc_u32_e32 v37, v37, v36
	s_delay_alu instid0(VALU_DEP_2) | instskip(NEXT) | instid1(VALU_DEP_2)
	v_mov_b32_e32 v9, v32
	v_cmp_lt_u32_e64 s2, 31, v37
	s_delay_alu instid0(VALU_DEP_2) | instskip(NEXT) | instid1(VALU_DEP_2)
	v_mad_u64_u32 v[32:33], null, 0xdb629599, v38, v[9:10]
	v_cndmask_b32_e64 v39, 0, 0xffffffe0, s2
	s_delay_alu instid0(VALU_DEP_1) | instskip(NEXT) | instid1(VALU_DEP_3)
	v_add_nc_u32_e32 v39, v39, v37
	v_dual_mov_b32 v9, v33 :: v_dual_cndmask_b32 v30, v32, v30
	s_delay_alu instid0(VALU_DEP_2) | instskip(NEXT) | instid1(VALU_DEP_2)
	v_cmp_lt_u32_e64 s3, 31, v39
	v_mad_u64_u32 v[33:34], null, 0xf534ddc0, v38, v[9:10]
	s_delay_alu instid0(VALU_DEP_1) | instskip(NEXT) | instid1(VALU_DEP_2)
	v_mov_b32_e32 v9, v34
	v_cndmask_b32_e32 v31, v33, v31, vcc_lo
	s_delay_alu instid0(VALU_DEP_2) | instskip(NEXT) | instid1(VALU_DEP_2)
	v_mad_u64_u32 v[34:35], null, 0xfc2757d1, v38, v[9:10]
	v_cndmask_b32_e64 v30, v31, v30, s2
	s_delay_alu instid0(VALU_DEP_2) | instskip(NEXT) | instid1(VALU_DEP_1)
	v_mov_b32_e32 v9, v35
	v_mad_u64_u32 v[35:36], null, 0x4e441529, v38, v[9:10]
	s_delay_alu instid0(VALU_DEP_1) | instskip(NEXT) | instid1(VALU_DEP_1)
	v_mov_b32_e32 v9, v36
	v_mad_u64_u32 v[36:37], null, 0xa2f9836e, v38, v[9:10]
	v_cndmask_b32_e64 v9, 0, 0xffffffe0, s3
	s_delay_alu instid0(VALU_DEP_1) | instskip(NEXT) | instid1(VALU_DEP_3)
	v_dual_cndmask_b32 v38, v35, v33 :: v_dual_add_nc_u32 v9, v9, v39
	v_dual_cndmask_b32 v36, v36, v34 :: v_dual_cndmask_b32 v35, v37, v35
	v_cndmask_b32_e32 v34, v34, v32, vcc_lo
	s_delay_alu instid0(VALU_DEP_3) | instskip(NEXT) | instid1(VALU_DEP_3)
	v_sub_nc_u32_e32 v37, 32, v9
	v_cndmask_b32_e64 v33, v36, v38, s2
	s_delay_alu instid0(VALU_DEP_4) | instskip(NEXT) | instid1(VALU_DEP_4)
	v_cndmask_b32_e64 v35, v35, v36, s2
	v_cndmask_b32_e64 v36, v38, v34, s2
	;; [unrolled: 1-line block ×3, first 2 shown]
	v_cmp_eq_u32_e64 s4, 0, v9
	s_delay_alu instid0(VALU_DEP_4) | instskip(NEXT) | instid1(VALU_DEP_4)
	v_cndmask_b32_e64 v35, v35, v33, s3
	v_cndmask_b32_e64 v33, v33, v36, s3
	s_delay_alu instid0(VALU_DEP_4) | instskip(SKIP_1) | instid1(VALU_DEP_3)
	v_cndmask_b32_e64 v36, v36, v34, s3
	v_cndmask_b32_e64 v30, v34, v30, s3
	v_alignbit_b32 v38, v35, v33, v37
	s_delay_alu instid0(VALU_DEP_3) | instskip(NEXT) | instid1(VALU_DEP_3)
	v_alignbit_b32 v39, v33, v36, v37
	v_alignbit_b32 v37, v36, v30, v37
	s_delay_alu instid0(VALU_DEP_3) | instskip(NEXT) | instid1(VALU_DEP_3)
	v_cndmask_b32_e64 v9, v38, v35, s4
	v_cndmask_b32_e64 v32, v39, v33, s4
	s_delay_alu instid0(VALU_DEP_3) | instskip(NEXT) | instid1(VALU_DEP_3)
	v_cndmask_b32_e64 v36, v37, v36, s4
	v_bfe_u32 v33, v9, 29, 1
	s_delay_alu instid0(VALU_DEP_3) | instskip(NEXT) | instid1(VALU_DEP_3)
	v_alignbit_b32 v31, v9, v32, 30
	v_alignbit_b32 v32, v32, v36, 30
	;; [unrolled: 1-line block ×3, first 2 shown]
	s_delay_alu instid0(VALU_DEP_4) | instskip(NEXT) | instid1(VALU_DEP_1)
	v_sub_nc_u32_e32 v35, 0, v33
	v_xor_b32_e32 v34, v31, v35
	v_cmp_ne_u32_e32 vcc_lo, v31, v35
	v_xor_b32_e32 v32, v32, v35
	v_xor_b32_e32 v30, v30, v35
	s_delay_alu instid0(VALU_DEP_4) | instskip(NEXT) | instid1(VALU_DEP_1)
	v_clz_i32_u32_e32 v38, v34
	v_add_nc_u32_e32 v37, 1, v38
	s_delay_alu instid0(VALU_DEP_1) | instskip(NEXT) | instid1(VALU_DEP_1)
	v_cndmask_b32_e32 v31, 33, v37, vcc_lo
	v_sub_nc_u32_e32 v36, 32, v31
	s_delay_alu instid0(VALU_DEP_1) | instskip(SKIP_3) | instid1(VALU_DEP_3)
	v_alignbit_b32 v34, v34, v32, v36
	v_alignbit_b32 v30, v32, v30, v36
	v_lshrrev_b32_e32 v32, 29, v9
	v_lshrrev_b32_e32 v9, 30, v9
	v_alignbit_b32 v35, v34, v30, 9
	s_delay_alu instid0(VALU_DEP_3) | instskip(SKIP_1) | instid1(VALU_DEP_3)
	v_lshlrev_b32_e32 v32, 31, v32
	v_alignbit_b32 v34, v31, v34, 9
	v_clz_i32_u32_e32 v36, v35
	s_delay_alu instid0(VALU_DEP_2) | instskip(SKIP_1) | instid1(VALU_DEP_3)
	v_or_b32_e32 v34, v34, v32
	v_or_b32_e32 v32, 0x33800000, v32
	v_min_u32_e32 v36, 32, v36
	s_delay_alu instid0(VALU_DEP_3) | instskip(NEXT) | instid1(VALU_DEP_2)
	v_xor_b32_e32 v34, 1.0, v34
	v_sub_nc_u32_e32 v37, 31, v36
	v_add_lshl_u32 v31, v36, v31, 23
	s_delay_alu instid0(VALU_DEP_3) | instskip(NEXT) | instid1(VALU_DEP_3)
	v_mul_f32_e32 v36, 0x3fc90fda, v34
	v_alignbit_b32 v30, v35, v30, v37
	s_delay_alu instid0(VALU_DEP_3) | instskip(NEXT) | instid1(VALU_DEP_3)
	v_sub_nc_u32_e32 v31, v32, v31
	v_fma_f32 v32, 0x3fc90fda, v34, -v36
	s_delay_alu instid0(VALU_DEP_3) | instskip(NEXT) | instid1(VALU_DEP_2)
	v_lshrrev_b32_e32 v30, 9, v30
	v_fmac_f32_e32 v32, 0x33a22168, v34
	s_delay_alu instid0(VALU_DEP_2) | instskip(NEXT) | instid1(VALU_DEP_1)
	v_or_b32_e32 v30, v31, v30
	v_dual_fmac_f32 v32, 0x3fc90fda, v30 :: v_dual_add_nc_u32 v31, v33, v9
	s_delay_alu instid0(VALU_DEP_1)
	v_add_f32_e32 v30, v36, v32
	s_and_not1_saveexec_b32 s2, s25
	s_cbranch_execnz .LBB145_27
	s_branch .LBB145_28
.LBB145_26:                             ;   in Loop: Header=BB145_4 Depth=1
	s_and_not1_saveexec_b32 s2, s25
.LBB145_27:                             ;   in Loop: Header=BB145_4 Depth=1
	v_mul_f32_e64 v9, 0x3f22f983, |v8|
	s_delay_alu instid0(VALU_DEP_1) | instskip(NEXT) | instid1(VALU_DEP_1)
	v_rndne_f32_e32 v9, v9
	v_fma_f32 v30, 0xbfc90fda, v9, |v8|
	v_cvt_i32_f32_e32 v31, v9
	s_delay_alu instid0(VALU_DEP_2) | instskip(NEXT) | instid1(VALU_DEP_1)
	v_fmac_f32_e32 v30, 0xb3a22168, v9
	v_fmac_f32_e32 v30, 0xa7c234c4, v9
.LBB145_28:                             ;   in Loop: Header=BB145_4 Depth=1
	s_or_b32 exec_lo, exec_lo, s2
	s_waitcnt vmcnt(0)
	v_mul_f32_e32 v32, 0.5, v2
                                        ; implicit-def: $vgpr41
                                        ; implicit-def: $vgpr36
	s_mov_b32 s3, exec_lo
	s_delay_alu instid0(VALU_DEP_1)
	v_and_b32_e32 v35, 0x7fffffff, v32
	v_cmpx_ngt_f32_e64 0x48000000, |v32|
	s_xor_b32 s25, exec_lo, s3
	s_cbranch_execz .LBB145_30
; %bb.29:                               ;   in Loop: Header=BB145_4 Depth=1
	s_delay_alu instid0(VALU_DEP_2) | instskip(NEXT) | instid1(VALU_DEP_1)
	v_and_or_b32 v43, v35, s21, 0x800000
	v_mad_u64_u32 v[33:34], null, 0xfe5163ab, v43, 0
	s_delay_alu instid0(VALU_DEP_1) | instskip(SKIP_1) | instid1(VALU_DEP_1)
	v_mov_b32_e32 v9, v34
	v_lshrrev_b32_e32 v34, 23, v35
	v_add_nc_u32_e32 v34, 0xffffff88, v34
	s_delay_alu instid0(VALU_DEP_3) | instskip(NEXT) | instid1(VALU_DEP_2)
	v_mad_u64_u32 v[36:37], null, 0x3c439041, v43, v[9:10]
	v_cmp_lt_u32_e32 vcc_lo, 63, v34
	v_cndmask_b32_e64 v41, 0, 0xffffffc0, vcc_lo
	s_delay_alu instid0(VALU_DEP_1) | instskip(NEXT) | instid1(VALU_DEP_1)
	v_add_nc_u32_e32 v34, v41, v34
	v_cmp_lt_u32_e64 s2, 31, v34
	s_delay_alu instid0(VALU_DEP_1) | instskip(NEXT) | instid1(VALU_DEP_1)
	v_cndmask_b32_e64 v42, 0, 0xffffffe0, s2
	v_dual_mov_b32 v9, v37 :: v_dual_add_nc_u32 v34, v42, v34
	s_delay_alu instid0(VALU_DEP_1) | instskip(NEXT) | instid1(VALU_DEP_2)
	v_mad_u64_u32 v[37:38], null, 0xdb629599, v43, v[9:10]
	v_cmp_lt_u32_e64 s3, 31, v34
	s_delay_alu instid0(VALU_DEP_2) | instskip(NEXT) | instid1(VALU_DEP_3)
	v_mov_b32_e32 v9, v38
	v_cndmask_b32_e32 v33, v37, v33, vcc_lo
	s_delay_alu instid0(VALU_DEP_2) | instskip(NEXT) | instid1(VALU_DEP_1)
	v_mad_u64_u32 v[38:39], null, 0xf534ddc0, v43, v[9:10]
	v_mov_b32_e32 v9, v39
	s_delay_alu instid0(VALU_DEP_1) | instskip(NEXT) | instid1(VALU_DEP_1)
	v_mad_u64_u32 v[39:40], null, 0xfc2757d1, v43, v[9:10]
	v_mov_b32_e32 v9, v40
	s_delay_alu instid0(VALU_DEP_1) | instskip(NEXT) | instid1(VALU_DEP_1)
	v_mad_u64_u32 v[40:41], null, 0x4e441529, v43, v[9:10]
	v_mov_b32_e32 v9, v41
	s_delay_alu instid0(VALU_DEP_1) | instskip(SKIP_1) | instid1(VALU_DEP_4)
	v_mad_u64_u32 v[41:42], null, 0xa2f9836e, v43, v[9:10]
	v_cndmask_b32_e64 v9, 0, 0xffffffe0, s3
	v_cndmask_b32_e32 v43, v40, v38, vcc_lo
	s_delay_alu instid0(VALU_DEP_2) | instskip(NEXT) | instid1(VALU_DEP_4)
	v_add_nc_u32_e32 v9, v9, v34
	v_dual_cndmask_b32 v41, v41, v39 :: v_dual_cndmask_b32 v40, v42, v40
	v_dual_cndmask_b32 v39, v39, v37 :: v_dual_cndmask_b32 v34, v38, v36
	s_delay_alu instid0(VALU_DEP_3) | instskip(NEXT) | instid1(VALU_DEP_3)
	v_cmp_eq_u32_e64 s4, 0, v9
	v_cndmask_b32_e64 v36, v41, v43, s2
	s_delay_alu instid0(VALU_DEP_4) | instskip(NEXT) | instid1(VALU_DEP_4)
	v_cndmask_b32_e64 v38, v40, v41, s2
	v_cndmask_b32_e64 v40, v43, v39, s2
	v_sub_nc_u32_e32 v41, 32, v9
	v_cndmask_b32_e64 v39, v39, v34, s2
	v_cndmask_b32_e64 v33, v34, v33, s2
	;; [unrolled: 1-line block ×4, first 2 shown]
	s_delay_alu instid0(VALU_DEP_4) | instskip(NEXT) | instid1(VALU_DEP_4)
	v_cndmask_b32_e64 v40, v40, v39, s3
	v_cndmask_b32_e64 v33, v39, v33, s3
	s_delay_alu instid0(VALU_DEP_3) | instskip(NEXT) | instid1(VALU_DEP_3)
	v_alignbit_b32 v42, v38, v36, v41
	v_alignbit_b32 v43, v36, v40, v41
	s_delay_alu instid0(VALU_DEP_3) | instskip(NEXT) | instid1(VALU_DEP_3)
	v_alignbit_b32 v41, v40, v33, v41
	v_cndmask_b32_e64 v9, v42, v38, s4
	s_delay_alu instid0(VALU_DEP_3) | instskip(NEXT) | instid1(VALU_DEP_3)
	v_cndmask_b32_e64 v36, v43, v36, s4
	v_cndmask_b32_e64 v40, v41, v40, s4
	s_delay_alu instid0(VALU_DEP_3) | instskip(NEXT) | instid1(VALU_DEP_3)
	v_bfe_u32 v37, v9, 29, 1
	v_alignbit_b32 v34, v9, v36, 30
	s_delay_alu instid0(VALU_DEP_3) | instskip(SKIP_1) | instid1(VALU_DEP_4)
	v_alignbit_b32 v36, v36, v40, 30
	v_alignbit_b32 v33, v40, v33, 30
	v_sub_nc_u32_e32 v38, 0, v37
	s_delay_alu instid0(VALU_DEP_1) | instskip(SKIP_3) | instid1(VALU_DEP_4)
	v_xor_b32_e32 v39, v34, v38
	v_cmp_ne_u32_e32 vcc_lo, v34, v38
	v_xor_b32_e32 v36, v36, v38
	v_xor_b32_e32 v33, v33, v38
	v_clz_i32_u32_e32 v42, v39
	s_delay_alu instid0(VALU_DEP_1) | instskip(NEXT) | instid1(VALU_DEP_1)
	v_add_nc_u32_e32 v41, 1, v42
	v_cndmask_b32_e32 v34, 33, v41, vcc_lo
	s_delay_alu instid0(VALU_DEP_1) | instskip(NEXT) | instid1(VALU_DEP_1)
	v_sub_nc_u32_e32 v40, 32, v34
	v_alignbit_b32 v38, v39, v36, v40
	v_alignbit_b32 v33, v36, v33, v40
	v_lshrrev_b32_e32 v36, 29, v9
	v_lshrrev_b32_e32 v9, 30, v9
	s_delay_alu instid0(VALU_DEP_3) | instskip(NEXT) | instid1(VALU_DEP_3)
	v_alignbit_b32 v39, v38, v33, 9
	v_lshlrev_b32_e32 v36, 31, v36
	v_alignbit_b32 v38, v34, v38, 9
	s_delay_alu instid0(VALU_DEP_3) | instskip(NEXT) | instid1(VALU_DEP_2)
	v_clz_i32_u32_e32 v40, v39
	v_or_b32_e32 v38, v38, v36
	v_or_b32_e32 v36, 0x33800000, v36
	s_delay_alu instid0(VALU_DEP_3) | instskip(NEXT) | instid1(VALU_DEP_3)
	v_min_u32_e32 v40, 32, v40
	v_xor_b32_e32 v38, 1.0, v38
	s_delay_alu instid0(VALU_DEP_2) | instskip(SKIP_1) | instid1(VALU_DEP_3)
	v_sub_nc_u32_e32 v41, 31, v40
	v_add_lshl_u32 v34, v40, v34, 23
	v_mul_f32_e32 v40, 0x3fc90fda, v38
	s_delay_alu instid0(VALU_DEP_3) | instskip(NEXT) | instid1(VALU_DEP_3)
	v_alignbit_b32 v33, v39, v33, v41
	v_sub_nc_u32_e32 v34, v36, v34
	s_delay_alu instid0(VALU_DEP_3) | instskip(SKIP_1) | instid1(VALU_DEP_4)
	v_fma_f32 v36, 0x3fc90fda, v38, -v40
	v_add_nc_u32_e32 v41, v37, v9
	v_lshrrev_b32_e32 v33, 9, v33
	s_delay_alu instid0(VALU_DEP_3) | instskip(NEXT) | instid1(VALU_DEP_2)
	v_fmac_f32_e32 v36, 0x33a22168, v38
	v_or_b32_e32 v33, v34, v33
	s_delay_alu instid0(VALU_DEP_1) | instskip(NEXT) | instid1(VALU_DEP_1)
	v_fmac_f32_e32 v36, 0x3fc90fda, v33
	v_add_f32_e32 v36, v40, v36
.LBB145_30:                             ;   in Loop: Header=BB145_4 Depth=1
	s_and_not1_saveexec_b32 s2, s25
; %bb.31:                               ;   in Loop: Header=BB145_4 Depth=1
	v_mul_f32_e64 v9, 0x3f22f983, |v32|
	s_delay_alu instid0(VALU_DEP_1) | instskip(NEXT) | instid1(VALU_DEP_1)
	v_rndne_f32_e32 v9, v9
	v_fma_f32 v36, 0xbfc90fda, v9, |v32|
	v_cvt_i32_f32_e32 v41, v9
	s_delay_alu instid0(VALU_DEP_2) | instskip(NEXT) | instid1(VALU_DEP_1)
	v_fmac_f32_e32 v36, 0xb3a22168, v9
	v_fmac_f32_e32 v36, 0xa7c234c4, v9
; %bb.32:                               ;   in Loop: Header=BB145_4 Depth=1
	s_or_b32 exec_lo, exec_lo, s2
	v_and_b32_e32 v37, 0x7fffffff, v2
	v_cmp_ngt_f32_e64 s25, 0x48000000, |v2|
                                        ; implicit-def: $vgpr45
                                        ; implicit-def: $vgpr42
	s_delay_alu instid0(VALU_DEP_1) | instskip(NEXT) | instid1(SALU_CYCLE_1)
	s_and_saveexec_b32 s2, s25
	s_xor_b32 s26, exec_lo, s2
	s_cbranch_execz .LBB145_34
; %bb.33:                               ;   in Loop: Header=BB145_4 Depth=1
	v_and_or_b32 v47, v37, s21, 0x800000
	s_delay_alu instid0(VALU_DEP_1) | instskip(NEXT) | instid1(VALU_DEP_1)
	v_mad_u64_u32 v[33:34], null, 0xfe5163ab, v47, 0
	v_mov_b32_e32 v9, v34
	v_lshrrev_b32_e32 v34, 23, v37
	s_delay_alu instid0(VALU_DEP_1) | instskip(NEXT) | instid1(VALU_DEP_3)
	v_add_nc_u32_e32 v34, 0xffffff88, v34
	v_mad_u64_u32 v[38:39], null, 0x3c439041, v47, v[9:10]
	s_delay_alu instid0(VALU_DEP_2) | instskip(NEXT) | instid1(VALU_DEP_2)
	v_cmp_lt_u32_e32 vcc_lo, 63, v34
	v_mov_b32_e32 v9, v39
	s_delay_alu instid0(VALU_DEP_1) | instskip(NEXT) | instid1(VALU_DEP_1)
	v_mad_u64_u32 v[39:40], null, 0xdb629599, v47, v[9:10]
	v_mov_b32_e32 v9, v40
	v_cndmask_b32_e64 v40, 0, 0xffffffc0, vcc_lo
	s_delay_alu instid0(VALU_DEP_3) | instskip(NEXT) | instid1(VALU_DEP_3)
	v_cndmask_b32_e32 v33, v39, v33, vcc_lo
	v_mad_u64_u32 v[42:43], null, 0xf534ddc0, v47, v[9:10]
	s_delay_alu instid0(VALU_DEP_3) | instskip(NEXT) | instid1(VALU_DEP_1)
	v_add_nc_u32_e32 v34, v40, v34
	v_cmp_lt_u32_e64 s2, 31, v34
	s_delay_alu instid0(VALU_DEP_1) | instskip(NEXT) | instid1(VALU_DEP_1)
	v_cndmask_b32_e64 v40, 0, 0xffffffe0, s2
	v_dual_mov_b32 v9, v43 :: v_dual_add_nc_u32 v34, v40, v34
	s_delay_alu instid0(VALU_DEP_1) | instskip(NEXT) | instid1(VALU_DEP_2)
	v_mad_u64_u32 v[43:44], null, 0xfc2757d1, v47, v[9:10]
	v_cmp_lt_u32_e64 s3, 31, v34
	s_delay_alu instid0(VALU_DEP_2) | instskip(NEXT) | instid1(VALU_DEP_1)
	v_mov_b32_e32 v9, v44
	v_mad_u64_u32 v[44:45], null, 0x4e441529, v47, v[9:10]
	s_delay_alu instid0(VALU_DEP_1) | instskip(NEXT) | instid1(VALU_DEP_1)
	v_dual_mov_b32 v9, v45 :: v_dual_cndmask_b32 v40, v44, v42
	v_mad_u64_u32 v[45:46], null, 0xa2f9836e, v47, v[9:10]
	v_cndmask_b32_e64 v9, 0, 0xffffffe0, s3
	s_delay_alu instid0(VALU_DEP_1) | instskip(NEXT) | instid1(VALU_DEP_3)
	v_add_nc_u32_e32 v9, v9, v34
	v_dual_cndmask_b32 v45, v45, v43 :: v_dual_cndmask_b32 v44, v46, v44
	v_dual_cndmask_b32 v43, v43, v39 :: v_dual_cndmask_b32 v34, v42, v38
	s_delay_alu instid0(VALU_DEP_3) | instskip(NEXT) | instid1(VALU_DEP_3)
	v_cmp_eq_u32_e64 s4, 0, v9
	v_cndmask_b32_e64 v38, v45, v40, s2
	s_delay_alu instid0(VALU_DEP_4) | instskip(NEXT) | instid1(VALU_DEP_4)
	v_cndmask_b32_e64 v42, v44, v45, s2
	v_cndmask_b32_e64 v40, v40, v43, s2
	v_sub_nc_u32_e32 v44, 32, v9
	v_cndmask_b32_e64 v43, v43, v34, s2
	v_cndmask_b32_e64 v33, v34, v33, s2
	;; [unrolled: 1-line block ×4, first 2 shown]
	s_delay_alu instid0(VALU_DEP_4) | instskip(NEXT) | instid1(VALU_DEP_4)
	v_cndmask_b32_e64 v40, v40, v43, s3
	v_cndmask_b32_e64 v33, v43, v33, s3
	s_delay_alu instid0(VALU_DEP_3) | instskip(NEXT) | instid1(VALU_DEP_3)
	v_alignbit_b32 v45, v42, v38, v44
	v_alignbit_b32 v46, v38, v40, v44
	s_delay_alu instid0(VALU_DEP_3) | instskip(NEXT) | instid1(VALU_DEP_3)
	v_alignbit_b32 v44, v40, v33, v44
	v_cndmask_b32_e64 v9, v45, v42, s4
	s_delay_alu instid0(VALU_DEP_3) | instskip(NEXT) | instid1(VALU_DEP_3)
	v_cndmask_b32_e64 v38, v46, v38, s4
	v_cndmask_b32_e64 v40, v44, v40, s4
	s_delay_alu instid0(VALU_DEP_3) | instskip(NEXT) | instid1(VALU_DEP_3)
	v_bfe_u32 v39, v9, 29, 1
	v_alignbit_b32 v34, v9, v38, 30
	s_delay_alu instid0(VALU_DEP_3) | instskip(SKIP_1) | instid1(VALU_DEP_4)
	v_alignbit_b32 v38, v38, v40, 30
	v_alignbit_b32 v33, v40, v33, 30
	v_sub_nc_u32_e32 v42, 0, v39
	s_delay_alu instid0(VALU_DEP_1) | instskip(SKIP_3) | instid1(VALU_DEP_4)
	v_xor_b32_e32 v43, v34, v42
	v_cmp_ne_u32_e32 vcc_lo, v34, v42
	v_xor_b32_e32 v38, v38, v42
	v_xor_b32_e32 v33, v33, v42
	v_clz_i32_u32_e32 v45, v43
	s_delay_alu instid0(VALU_DEP_1) | instskip(NEXT) | instid1(VALU_DEP_1)
	v_add_nc_u32_e32 v44, 1, v45
	v_cndmask_b32_e32 v34, 33, v44, vcc_lo
	s_delay_alu instid0(VALU_DEP_1) | instskip(NEXT) | instid1(VALU_DEP_1)
	v_sub_nc_u32_e32 v40, 32, v34
	v_alignbit_b32 v42, v43, v38, v40
	v_alignbit_b32 v33, v38, v33, v40
	v_lshrrev_b32_e32 v38, 29, v9
	v_lshrrev_b32_e32 v9, 30, v9
	s_delay_alu instid0(VALU_DEP_3) | instskip(NEXT) | instid1(VALU_DEP_3)
	v_alignbit_b32 v40, v42, v33, 9
	v_lshlrev_b32_e32 v38, 31, v38
	v_alignbit_b32 v42, v34, v42, 9
	s_delay_alu instid0(VALU_DEP_4) | instskip(NEXT) | instid1(VALU_DEP_4)
	v_add_nc_u32_e32 v45, v39, v9
	v_clz_i32_u32_e32 v43, v40
	s_delay_alu instid0(VALU_DEP_3) | instskip(SKIP_1) | instid1(VALU_DEP_3)
	v_or_b32_e32 v42, v42, v38
	v_or_b32_e32 v38, 0x33800000, v38
	v_min_u32_e32 v43, 32, v43
	s_delay_alu instid0(VALU_DEP_3) | instskip(NEXT) | instid1(VALU_DEP_2)
	v_xor_b32_e32 v42, 1.0, v42
	v_sub_nc_u32_e32 v44, 31, v43
	v_add_lshl_u32 v34, v43, v34, 23
	s_delay_alu instid0(VALU_DEP_3) | instskip(NEXT) | instid1(VALU_DEP_3)
	v_mul_f32_e32 v43, 0x3fc90fda, v42
	v_alignbit_b32 v33, v40, v33, v44
	s_delay_alu instid0(VALU_DEP_3) | instskip(NEXT) | instid1(VALU_DEP_3)
	v_sub_nc_u32_e32 v34, v38, v34
	v_fma_f32 v38, 0x3fc90fda, v42, -v43
	s_delay_alu instid0(VALU_DEP_3) | instskip(NEXT) | instid1(VALU_DEP_2)
	v_lshrrev_b32_e32 v33, 9, v33
	v_fmac_f32_e32 v38, 0x33a22168, v42
	s_delay_alu instid0(VALU_DEP_2) | instskip(NEXT) | instid1(VALU_DEP_1)
	v_or_b32_e32 v33, v34, v33
	v_fmac_f32_e32 v38, 0x3fc90fda, v33
	s_delay_alu instid0(VALU_DEP_1)
	v_add_f32_e32 v42, v43, v38
	s_and_not1_saveexec_b32 s2, s26
	s_branch .LBB145_35
.LBB145_34:                             ;   in Loop: Header=BB145_4 Depth=1
	s_and_not1_saveexec_b32 s2, s26
.LBB145_35:                             ;   in Loop: Header=BB145_4 Depth=1
	v_mul_f32_e64 v9, 0x3f22f983, |v2|
	s_delay_alu instid0(VALU_DEP_1) | instskip(NEXT) | instid1(VALU_DEP_1)
	v_rndne_f32_e32 v9, v9
	v_fma_f32 v42, 0xbfc90fda, v9, |v2|
	v_cvt_i32_f32_e32 v45, v9
	s_delay_alu instid0(VALU_DEP_2) | instskip(NEXT) | instid1(VALU_DEP_1)
	v_fmac_f32_e32 v42, 0xb3a22168, v9
	v_fmac_f32_e32 v42, 0xa7c234c4, v9
; %bb.36:                               ;   in Loop: Header=BB145_4 Depth=1
	s_or_b32 exec_lo, exec_lo, s2
                                        ; implicit-def: $vgpr47
                                        ; implicit-def: $vgpr46
	s_and_saveexec_b32 s2, s25
	s_delay_alu instid0(SALU_CYCLE_1)
	s_xor_b32 s25, exec_lo, s2
	s_cbranch_execz .LBB145_38
; %bb.37:                               ;   in Loop: Header=BB145_4 Depth=1
	v_and_or_b32 v50, v37, s21, 0x800000
	s_delay_alu instid0(VALU_DEP_1) | instskip(NEXT) | instid1(VALU_DEP_1)
	v_mad_u64_u32 v[33:34], null, 0xfe5163ab, v50, 0
	v_mov_b32_e32 v9, v34
	v_lshrrev_b32_e32 v34, 23, v37
	s_delay_alu instid0(VALU_DEP_1) | instskip(NEXT) | instid1(VALU_DEP_3)
	v_add_nc_u32_e32 v34, 0xffffff88, v34
	v_mad_u64_u32 v[38:39], null, 0x3c439041, v50, v[9:10]
	s_delay_alu instid0(VALU_DEP_2) | instskip(NEXT) | instid1(VALU_DEP_2)
	v_cmp_lt_u32_e32 vcc_lo, 63, v34
	v_mov_b32_e32 v9, v39
	s_delay_alu instid0(VALU_DEP_1) | instskip(NEXT) | instid1(VALU_DEP_1)
	v_mad_u64_u32 v[39:40], null, 0xdb629599, v50, v[9:10]
	v_mov_b32_e32 v9, v40
	v_cndmask_b32_e64 v40, 0, 0xffffffc0, vcc_lo
	s_delay_alu instid0(VALU_DEP_3) | instskip(NEXT) | instid1(VALU_DEP_3)
	v_cndmask_b32_e32 v33, v39, v33, vcc_lo
	v_mad_u64_u32 v[43:44], null, 0xf534ddc0, v50, v[9:10]
	s_delay_alu instid0(VALU_DEP_3) | instskip(NEXT) | instid1(VALU_DEP_1)
	v_add_nc_u32_e32 v34, v40, v34
	v_cmp_lt_u32_e64 s2, 31, v34
	s_delay_alu instid0(VALU_DEP_3) | instskip(NEXT) | instid1(VALU_DEP_2)
	v_mov_b32_e32 v9, v44
	v_cndmask_b32_e64 v40, 0, 0xffffffe0, s2
	s_delay_alu instid0(VALU_DEP_2) | instskip(NEXT) | instid1(VALU_DEP_1)
	v_mad_u64_u32 v[46:47], null, 0xfc2757d1, v50, v[9:10]
	v_dual_mov_b32 v9, v47 :: v_dual_add_nc_u32 v34, v40, v34
	s_delay_alu instid0(VALU_DEP_1) | instskip(NEXT) | instid1(VALU_DEP_2)
	v_cmp_lt_u32_e64 s3, 31, v34
	v_mad_u64_u32 v[47:48], null, 0x4e441529, v50, v[9:10]
	s_delay_alu instid0(VALU_DEP_1) | instskip(NEXT) | instid1(VALU_DEP_1)
	v_dual_mov_b32 v9, v48 :: v_dual_cndmask_b32 v40, v47, v43
	v_mad_u64_u32 v[48:49], null, 0xa2f9836e, v50, v[9:10]
	s_delay_alu instid0(VALU_DEP_4) | instskip(NEXT) | instid1(VALU_DEP_1)
	v_cndmask_b32_e64 v9, 0, 0xffffffe0, s3
	v_add_nc_u32_e32 v9, v9, v34
	s_delay_alu instid0(VALU_DEP_3) | instskip(SKIP_2) | instid1(VALU_DEP_4)
	v_dual_cndmask_b32 v44, v48, v46 :: v_dual_cndmask_b32 v47, v49, v47
	v_cndmask_b32_e32 v46, v46, v39, vcc_lo
	v_cndmask_b32_e32 v34, v43, v38, vcc_lo
	v_cmp_eq_u32_e64 s4, 0, v9
	s_delay_alu instid0(VALU_DEP_4)
	v_cndmask_b32_e64 v38, v44, v40, s2
	v_cndmask_b32_e64 v43, v47, v44, s2
	;; [unrolled: 1-line block ×3, first 2 shown]
	v_sub_nc_u32_e32 v44, 32, v9
	v_cndmask_b32_e64 v46, v46, v34, s2
	v_cndmask_b32_e64 v33, v34, v33, s2
	;; [unrolled: 1-line block ×4, first 2 shown]
	s_delay_alu instid0(VALU_DEP_4) | instskip(NEXT) | instid1(VALU_DEP_4)
	v_cndmask_b32_e64 v40, v40, v46, s3
	v_cndmask_b32_e64 v33, v46, v33, s3
	s_delay_alu instid0(VALU_DEP_3) | instskip(NEXT) | instid1(VALU_DEP_3)
	v_alignbit_b32 v47, v43, v38, v44
	v_alignbit_b32 v48, v38, v40, v44
	s_delay_alu instid0(VALU_DEP_3) | instskip(NEXT) | instid1(VALU_DEP_3)
	v_alignbit_b32 v44, v40, v33, v44
	v_cndmask_b32_e64 v9, v47, v43, s4
	s_delay_alu instid0(VALU_DEP_3) | instskip(NEXT) | instid1(VALU_DEP_3)
	v_cndmask_b32_e64 v38, v48, v38, s4
	v_cndmask_b32_e64 v40, v44, v40, s4
	s_delay_alu instid0(VALU_DEP_3) | instskip(NEXT) | instid1(VALU_DEP_3)
	v_bfe_u32 v39, v9, 29, 1
	v_alignbit_b32 v34, v9, v38, 30
	s_delay_alu instid0(VALU_DEP_3) | instskip(SKIP_1) | instid1(VALU_DEP_4)
	v_alignbit_b32 v38, v38, v40, 30
	v_alignbit_b32 v33, v40, v33, 30
	v_sub_nc_u32_e32 v43, 0, v39
	s_delay_alu instid0(VALU_DEP_1) | instskip(SKIP_3) | instid1(VALU_DEP_4)
	v_xor_b32_e32 v46, v34, v43
	v_cmp_ne_u32_e32 vcc_lo, v34, v43
	v_xor_b32_e32 v38, v38, v43
	v_xor_b32_e32 v33, v33, v43
	v_clz_i32_u32_e32 v47, v46
	s_delay_alu instid0(VALU_DEP_1) | instskip(NEXT) | instid1(VALU_DEP_1)
	v_add_nc_u32_e32 v44, 1, v47
	v_cndmask_b32_e32 v34, 33, v44, vcc_lo
	s_delay_alu instid0(VALU_DEP_1) | instskip(NEXT) | instid1(VALU_DEP_1)
	v_sub_nc_u32_e32 v40, 32, v34
	v_alignbit_b32 v43, v46, v38, v40
	v_alignbit_b32 v33, v38, v33, v40
	v_lshrrev_b32_e32 v38, 29, v9
	v_lshrrev_b32_e32 v9, 30, v9
	s_delay_alu instid0(VALU_DEP_3) | instskip(NEXT) | instid1(VALU_DEP_3)
	v_alignbit_b32 v40, v43, v33, 9
	v_lshlrev_b32_e32 v38, 31, v38
	v_alignbit_b32 v43, v34, v43, 9
	s_delay_alu instid0(VALU_DEP_4) | instskip(NEXT) | instid1(VALU_DEP_4)
	v_add_nc_u32_e32 v47, v39, v9
	v_clz_i32_u32_e32 v44, v40
	s_delay_alu instid0(VALU_DEP_3) | instskip(SKIP_1) | instid1(VALU_DEP_3)
	v_or_b32_e32 v43, v43, v38
	v_or_b32_e32 v38, 0x33800000, v38
	v_min_u32_e32 v44, 32, v44
	s_delay_alu instid0(VALU_DEP_3) | instskip(NEXT) | instid1(VALU_DEP_2)
	v_xor_b32_e32 v43, 1.0, v43
	v_sub_nc_u32_e32 v46, 31, v44
	v_add_lshl_u32 v34, v44, v34, 23
	s_delay_alu instid0(VALU_DEP_3) | instskip(NEXT) | instid1(VALU_DEP_3)
	v_mul_f32_e32 v44, 0x3fc90fda, v43
	v_alignbit_b32 v33, v40, v33, v46
	s_delay_alu instid0(VALU_DEP_3) | instskip(NEXT) | instid1(VALU_DEP_3)
	v_sub_nc_u32_e32 v34, v38, v34
	v_fma_f32 v38, 0x3fc90fda, v43, -v44
	s_delay_alu instid0(VALU_DEP_3) | instskip(NEXT) | instid1(VALU_DEP_2)
	v_lshrrev_b32_e32 v33, 9, v33
	v_fmac_f32_e32 v38, 0x33a22168, v43
	s_delay_alu instid0(VALU_DEP_2) | instskip(NEXT) | instid1(VALU_DEP_1)
	v_or_b32_e32 v33, v34, v33
	v_fmac_f32_e32 v38, 0x3fc90fda, v33
	s_delay_alu instid0(VALU_DEP_1)
	v_add_f32_e32 v46, v44, v38
	s_and_not1_saveexec_b32 s2, s25
	s_cbranch_execnz .LBB145_39
	s_branch .LBB145_40
.LBB145_38:                             ;   in Loop: Header=BB145_4 Depth=1
	s_and_not1_saveexec_b32 s2, s25
.LBB145_39:                             ;   in Loop: Header=BB145_4 Depth=1
	v_mul_f32_e64 v9, 0x3f22f983, |v2|
	s_delay_alu instid0(VALU_DEP_1) | instskip(NEXT) | instid1(VALU_DEP_1)
	v_rndne_f32_e32 v9, v9
	v_fma_f32 v46, 0xbfc90fda, v9, |v2|
	v_cvt_i32_f32_e32 v47, v9
	s_delay_alu instid0(VALU_DEP_2) | instskip(NEXT) | instid1(VALU_DEP_1)
	v_fmac_f32_e32 v46, 0xb3a22168, v9
	v_fmac_f32_e32 v46, 0xa7c234c4, v9
.LBB145_40:                             ;   in Loop: Header=BB145_4 Depth=1
	s_or_b32 exec_lo, exec_lo, s2
	v_mul_f32_e32 v33, 0.5, v4
                                        ; implicit-def: $vgpr39
                                        ; implicit-def: $vgpr38
	s_mov_b32 s3, exec_lo
	s_delay_alu instid0(VALU_DEP_1)
	v_and_b32_e32 v34, 0x7fffffff, v33
	v_cmpx_ngt_f32_e64 0x48000000, |v33|
	s_xor_b32 s25, exec_lo, s3
	s_cbranch_execz .LBB145_42
; %bb.41:                               ;   in Loop: Header=BB145_4 Depth=1
	s_delay_alu instid0(VALU_DEP_2) | instskip(NEXT) | instid1(VALU_DEP_1)
	v_and_or_b32 v53, v34, s21, 0x800000
	v_mad_u64_u32 v[38:39], null, 0xfe5163ab, v53, 0
	s_delay_alu instid0(VALU_DEP_1) | instskip(NEXT) | instid1(VALU_DEP_1)
	v_mov_b32_e32 v9, v39
	v_mad_u64_u32 v[39:40], null, 0x3c439041, v53, v[9:10]
	s_delay_alu instid0(VALU_DEP_1) | instskip(SKIP_1) | instid1(VALU_DEP_2)
	v_mov_b32_e32 v9, v40
	v_lshrrev_b32_e32 v40, 23, v34
	v_mad_u64_u32 v[43:44], null, 0xdb629599, v53, v[9:10]
	s_delay_alu instid0(VALU_DEP_2) | instskip(NEXT) | instid1(VALU_DEP_1)
	v_add_nc_u32_e32 v40, 0xffffff88, v40
	v_cmp_lt_u32_e32 vcc_lo, 63, v40
	s_delay_alu instid0(VALU_DEP_3) | instskip(NEXT) | instid1(VALU_DEP_1)
	v_dual_mov_b32 v9, v44 :: v_dual_cndmask_b32 v38, v43, v38
	v_mad_u64_u32 v[48:49], null, 0xf534ddc0, v53, v[9:10]
	v_cndmask_b32_e64 v44, 0, 0xffffffc0, vcc_lo
	s_delay_alu instid0(VALU_DEP_1) | instskip(NEXT) | instid1(VALU_DEP_3)
	v_dual_mov_b32 v9, v49 :: v_dual_add_nc_u32 v40, v44, v40
	v_cndmask_b32_e32 v39, v48, v39, vcc_lo
	s_delay_alu instid0(VALU_DEP_2) | instskip(NEXT) | instid1(VALU_DEP_3)
	v_cmp_lt_u32_e64 s2, 31, v40
	v_mad_u64_u32 v[49:50], null, 0xfc2757d1, v53, v[9:10]
	s_delay_alu instid0(VALU_DEP_2) | instskip(NEXT) | instid1(VALU_DEP_4)
	v_cndmask_b32_e64 v44, 0, 0xffffffe0, s2
	v_cndmask_b32_e64 v38, v39, v38, s2
	s_delay_alu instid0(VALU_DEP_2) | instskip(NEXT) | instid1(VALU_DEP_1)
	v_dual_mov_b32 v9, v50 :: v_dual_add_nc_u32 v40, v44, v40
	v_mad_u64_u32 v[50:51], null, 0x4e441529, v53, v[9:10]
	s_delay_alu instid0(VALU_DEP_2) | instskip(NEXT) | instid1(VALU_DEP_2)
	v_cmp_lt_u32_e64 s3, 31, v40
	v_dual_mov_b32 v9, v51 :: v_dual_cndmask_b32 v44, v50, v48
	s_delay_alu instid0(VALU_DEP_1) | instskip(NEXT) | instid1(VALU_DEP_3)
	v_mad_u64_u32 v[51:52], null, 0xa2f9836e, v53, v[9:10]
	v_cndmask_b32_e64 v9, 0, 0xffffffe0, s3
	s_delay_alu instid0(VALU_DEP_1) | instskip(NEXT) | instid1(VALU_DEP_3)
	v_add_nc_u32_e32 v9, v9, v40
	v_dual_cndmask_b32 v51, v51, v49 :: v_dual_cndmask_b32 v50, v52, v50
	v_cndmask_b32_e32 v49, v49, v43, vcc_lo
	s_delay_alu instid0(VALU_DEP_3) | instskip(NEXT) | instid1(VALU_DEP_3)
	v_cmp_eq_u32_e64 s4, 0, v9
	v_cndmask_b32_e64 v40, v51, v44, s2
	s_delay_alu instid0(VALU_DEP_4) | instskip(NEXT) | instid1(VALU_DEP_4)
	v_cndmask_b32_e64 v48, v50, v51, s2
	v_cndmask_b32_e64 v44, v44, v49, s2
	v_sub_nc_u32_e32 v50, 32, v9
	v_cndmask_b32_e64 v49, v49, v39, s2
	s_delay_alu instid0(VALU_DEP_4) | instskip(NEXT) | instid1(VALU_DEP_4)
	v_cndmask_b32_e64 v48, v48, v40, s3
	v_cndmask_b32_e64 v40, v40, v44, s3
	s_delay_alu instid0(VALU_DEP_3) | instskip(SKIP_1) | instid1(VALU_DEP_3)
	v_cndmask_b32_e64 v44, v44, v49, s3
	v_cndmask_b32_e64 v38, v49, v38, s3
	v_alignbit_b32 v51, v48, v40, v50
	s_delay_alu instid0(VALU_DEP_3) | instskip(NEXT) | instid1(VALU_DEP_3)
	v_alignbit_b32 v52, v40, v44, v50
	v_alignbit_b32 v50, v44, v38, v50
	s_delay_alu instid0(VALU_DEP_3) | instskip(NEXT) | instid1(VALU_DEP_3)
	v_cndmask_b32_e64 v9, v51, v48, s4
	v_cndmask_b32_e64 v40, v52, v40, s4
	s_delay_alu instid0(VALU_DEP_3) | instskip(NEXT) | instid1(VALU_DEP_3)
	v_cndmask_b32_e64 v44, v50, v44, s4
	v_bfe_u32 v43, v9, 29, 1
	s_delay_alu instid0(VALU_DEP_3) | instskip(NEXT) | instid1(VALU_DEP_3)
	v_alignbit_b32 v39, v9, v40, 30
	v_alignbit_b32 v40, v40, v44, 30
	;; [unrolled: 1-line block ×3, first 2 shown]
	s_delay_alu instid0(VALU_DEP_4) | instskip(NEXT) | instid1(VALU_DEP_1)
	v_sub_nc_u32_e32 v48, 0, v43
	v_xor_b32_e32 v49, v39, v48
	v_cmp_ne_u32_e32 vcc_lo, v39, v48
	v_xor_b32_e32 v40, v40, v48
	v_xor_b32_e32 v38, v38, v48
	s_delay_alu instid0(VALU_DEP_4) | instskip(NEXT) | instid1(VALU_DEP_1)
	v_clz_i32_u32_e32 v51, v49
	v_add_nc_u32_e32 v50, 1, v51
	s_delay_alu instid0(VALU_DEP_1) | instskip(NEXT) | instid1(VALU_DEP_1)
	v_cndmask_b32_e32 v39, 33, v50, vcc_lo
	v_sub_nc_u32_e32 v44, 32, v39
	s_delay_alu instid0(VALU_DEP_1) | instskip(SKIP_3) | instid1(VALU_DEP_3)
	v_alignbit_b32 v48, v49, v40, v44
	v_alignbit_b32 v38, v40, v38, v44
	v_lshrrev_b32_e32 v40, 29, v9
	v_lshrrev_b32_e32 v9, 30, v9
	v_alignbit_b32 v44, v48, v38, 9
	s_delay_alu instid0(VALU_DEP_3) | instskip(SKIP_1) | instid1(VALU_DEP_3)
	v_lshlrev_b32_e32 v40, 31, v40
	v_alignbit_b32 v48, v39, v48, 9
	v_clz_i32_u32_e32 v49, v44
	s_delay_alu instid0(VALU_DEP_2) | instskip(SKIP_1) | instid1(VALU_DEP_3)
	v_or_b32_e32 v48, v48, v40
	v_or_b32_e32 v40, 0x33800000, v40
	v_min_u32_e32 v49, 32, v49
	s_delay_alu instid0(VALU_DEP_3) | instskip(NEXT) | instid1(VALU_DEP_2)
	v_xor_b32_e32 v48, 1.0, v48
	v_sub_nc_u32_e32 v50, 31, v49
	v_add_lshl_u32 v39, v49, v39, 23
	s_delay_alu instid0(VALU_DEP_3) | instskip(NEXT) | instid1(VALU_DEP_3)
	v_mul_f32_e32 v49, 0x3fc90fda, v48
	v_alignbit_b32 v38, v44, v38, v50
	s_delay_alu instid0(VALU_DEP_3) | instskip(NEXT) | instid1(VALU_DEP_3)
	v_sub_nc_u32_e32 v39, v40, v39
	v_fma_f32 v40, 0x3fc90fda, v48, -v49
	s_delay_alu instid0(VALU_DEP_3) | instskip(NEXT) | instid1(VALU_DEP_2)
	v_lshrrev_b32_e32 v38, 9, v38
	v_fmac_f32_e32 v40, 0x33a22168, v48
	s_delay_alu instid0(VALU_DEP_2) | instskip(NEXT) | instid1(VALU_DEP_1)
	v_or_b32_e32 v38, v39, v38
	v_dual_fmac_f32 v40, 0x3fc90fda, v38 :: v_dual_add_nc_u32 v39, v43, v9
	s_delay_alu instid0(VALU_DEP_1)
	v_add_f32_e32 v38, v49, v40
.LBB145_42:                             ;   in Loop: Header=BB145_4 Depth=1
	s_and_not1_saveexec_b32 s2, s25
; %bb.43:                               ;   in Loop: Header=BB145_4 Depth=1
	v_mul_f32_e64 v9, 0x3f22f983, |v33|
	s_delay_alu instid0(VALU_DEP_1) | instskip(NEXT) | instid1(VALU_DEP_1)
	v_rndne_f32_e32 v9, v9
	v_fma_f32 v38, 0xbfc90fda, v9, |v33|
	v_cvt_i32_f32_e32 v39, v9
	s_delay_alu instid0(VALU_DEP_2) | instskip(NEXT) | instid1(VALU_DEP_1)
	v_fmac_f32_e32 v38, 0xb3a22168, v9
	v_fmac_f32_e32 v38, 0xa7c234c4, v9
; %bb.44:                               ;   in Loop: Header=BB145_4 Depth=1
	s_or_b32 exec_lo, exec_lo, s2
	v_and_b32_e32 v40, 0x7fffffff, v4
	v_cmp_ngt_f32_e64 s25, 0x48000000, |v4|
                                        ; implicit-def: $vgpr44
                                        ; implicit-def: $vgpr43
	s_delay_alu instid0(VALU_DEP_1) | instskip(NEXT) | instid1(SALU_CYCLE_1)
	s_and_saveexec_b32 s2, s25
	s_xor_b32 s26, exec_lo, s2
	s_cbranch_execz .LBB145_46
; %bb.45:                               ;   in Loop: Header=BB145_4 Depth=1
	v_and_or_b32 v55, v40, s21, 0x800000
	s_delay_alu instid0(VALU_DEP_1) | instskip(NEXT) | instid1(VALU_DEP_1)
	v_mad_u64_u32 v[43:44], null, 0xfe5163ab, v55, 0
	v_mov_b32_e32 v9, v44
	v_lshrrev_b32_e32 v44, 23, v40
	s_delay_alu instid0(VALU_DEP_1) | instskip(NEXT) | instid1(VALU_DEP_3)
	v_add_nc_u32_e32 v44, 0xffffff88, v44
	v_mad_u64_u32 v[48:49], null, 0x3c439041, v55, v[9:10]
	s_delay_alu instid0(VALU_DEP_2) | instskip(SKIP_1) | instid1(VALU_DEP_1)
	v_cmp_lt_u32_e32 vcc_lo, 63, v44
	v_cndmask_b32_e64 v53, 0, 0xffffffc0, vcc_lo
	v_add_nc_u32_e32 v44, v53, v44
	s_delay_alu instid0(VALU_DEP_1) | instskip(NEXT) | instid1(VALU_DEP_1)
	v_cmp_lt_u32_e64 s2, 31, v44
	v_cndmask_b32_e64 v54, 0, 0xffffffe0, s2
	s_delay_alu instid0(VALU_DEP_1) | instskip(NEXT) | instid1(VALU_DEP_1)
	v_dual_mov_b32 v9, v49 :: v_dual_add_nc_u32 v44, v54, v44
	v_mad_u64_u32 v[49:50], null, 0xdb629599, v55, v[9:10]
	s_delay_alu instid0(VALU_DEP_2) | instskip(NEXT) | instid1(VALU_DEP_2)
	v_cmp_lt_u32_e64 s3, 31, v44
	v_mov_b32_e32 v9, v50
	s_delay_alu instid0(VALU_DEP_3) | instskip(NEXT) | instid1(VALU_DEP_2)
	v_cndmask_b32_e32 v43, v49, v43, vcc_lo
	v_mad_u64_u32 v[50:51], null, 0xf534ddc0, v55, v[9:10]
	s_delay_alu instid0(VALU_DEP_1) | instskip(NEXT) | instid1(VALU_DEP_1)
	v_mov_b32_e32 v9, v51
	v_mad_u64_u32 v[51:52], null, 0xfc2757d1, v55, v[9:10]
	s_delay_alu instid0(VALU_DEP_1) | instskip(NEXT) | instid1(VALU_DEP_1)
	v_mov_b32_e32 v9, v52
	;; [unrolled: 3-line block ×3, first 2 shown]
	v_mad_u64_u32 v[53:54], null, 0xa2f9836e, v55, v[9:10]
	v_cndmask_b32_e64 v9, 0, 0xffffffe0, s3
	s_delay_alu instid0(VALU_DEP_4) | instskip(NEXT) | instid1(VALU_DEP_2)
	v_cndmask_b32_e32 v55, v52, v50, vcc_lo
	v_add_nc_u32_e32 v9, v9, v44
	s_delay_alu instid0(VALU_DEP_4) | instskip(SKIP_1) | instid1(VALU_DEP_3)
	v_dual_cndmask_b32 v53, v53, v51 :: v_dual_cndmask_b32 v52, v54, v52
	v_dual_cndmask_b32 v51, v51, v49 :: v_dual_cndmask_b32 v44, v50, v48
	v_cmp_eq_u32_e64 s4, 0, v9
	s_delay_alu instid0(VALU_DEP_3) | instskip(NEXT) | instid1(VALU_DEP_4)
	v_cndmask_b32_e64 v48, v53, v55, s2
	v_cndmask_b32_e64 v50, v52, v53, s2
	s_delay_alu instid0(VALU_DEP_4)
	v_cndmask_b32_e64 v52, v55, v51, s2
	v_sub_nc_u32_e32 v53, 32, v9
	v_cndmask_b32_e64 v51, v51, v44, s2
	v_cndmask_b32_e64 v43, v44, v43, s2
	;; [unrolled: 1-line block ×4, first 2 shown]
	s_delay_alu instid0(VALU_DEP_4) | instskip(NEXT) | instid1(VALU_DEP_4)
	v_cndmask_b32_e64 v52, v52, v51, s3
	v_cndmask_b32_e64 v43, v51, v43, s3
	s_delay_alu instid0(VALU_DEP_3) | instskip(NEXT) | instid1(VALU_DEP_3)
	v_alignbit_b32 v54, v50, v48, v53
	v_alignbit_b32 v55, v48, v52, v53
	s_delay_alu instid0(VALU_DEP_3) | instskip(NEXT) | instid1(VALU_DEP_3)
	v_alignbit_b32 v53, v52, v43, v53
	v_cndmask_b32_e64 v9, v54, v50, s4
	s_delay_alu instid0(VALU_DEP_3) | instskip(NEXT) | instid1(VALU_DEP_3)
	v_cndmask_b32_e64 v48, v55, v48, s4
	v_cndmask_b32_e64 v52, v53, v52, s4
	s_delay_alu instid0(VALU_DEP_3) | instskip(NEXT) | instid1(VALU_DEP_3)
	v_bfe_u32 v49, v9, 29, 1
	v_alignbit_b32 v44, v9, v48, 30
	s_delay_alu instid0(VALU_DEP_3) | instskip(SKIP_1) | instid1(VALU_DEP_4)
	v_alignbit_b32 v48, v48, v52, 30
	v_alignbit_b32 v43, v52, v43, 30
	v_sub_nc_u32_e32 v50, 0, v49
	s_delay_alu instid0(VALU_DEP_1) | instskip(SKIP_3) | instid1(VALU_DEP_4)
	v_xor_b32_e32 v51, v44, v50
	v_cmp_ne_u32_e32 vcc_lo, v44, v50
	v_xor_b32_e32 v48, v48, v50
	v_xor_b32_e32 v43, v43, v50
	v_clz_i32_u32_e32 v54, v51
	s_delay_alu instid0(VALU_DEP_1) | instskip(NEXT) | instid1(VALU_DEP_1)
	v_add_nc_u32_e32 v53, 1, v54
	v_cndmask_b32_e32 v44, 33, v53, vcc_lo
	s_delay_alu instid0(VALU_DEP_1) | instskip(NEXT) | instid1(VALU_DEP_1)
	v_sub_nc_u32_e32 v52, 32, v44
	v_alignbit_b32 v50, v51, v48, v52
	v_alignbit_b32 v43, v48, v43, v52
	v_lshrrev_b32_e32 v48, 29, v9
	v_lshrrev_b32_e32 v9, 30, v9
	s_delay_alu instid0(VALU_DEP_3) | instskip(NEXT) | instid1(VALU_DEP_3)
	v_alignbit_b32 v51, v50, v43, 9
	v_lshlrev_b32_e32 v48, 31, v48
	v_alignbit_b32 v50, v44, v50, 9
	s_delay_alu instid0(VALU_DEP_3) | instskip(NEXT) | instid1(VALU_DEP_2)
	v_clz_i32_u32_e32 v52, v51
	v_or_b32_e32 v50, v50, v48
	v_or_b32_e32 v48, 0x33800000, v48
	s_delay_alu instid0(VALU_DEP_3) | instskip(NEXT) | instid1(VALU_DEP_3)
	v_min_u32_e32 v52, 32, v52
	v_xor_b32_e32 v50, 1.0, v50
	s_delay_alu instid0(VALU_DEP_2) | instskip(SKIP_1) | instid1(VALU_DEP_3)
	v_sub_nc_u32_e32 v53, 31, v52
	v_add_lshl_u32 v44, v52, v44, 23
	v_mul_f32_e32 v52, 0x3fc90fda, v50
	s_delay_alu instid0(VALU_DEP_3) | instskip(NEXT) | instid1(VALU_DEP_3)
	v_alignbit_b32 v43, v51, v43, v53
	v_sub_nc_u32_e32 v44, v48, v44
	s_delay_alu instid0(VALU_DEP_3) | instskip(NEXT) | instid1(VALU_DEP_3)
	v_fma_f32 v48, 0x3fc90fda, v50, -v52
	v_lshrrev_b32_e32 v43, 9, v43
	s_delay_alu instid0(VALU_DEP_2) | instskip(NEXT) | instid1(VALU_DEP_2)
	v_fmac_f32_e32 v48, 0x33a22168, v50
	v_or_b32_e32 v43, v44, v43
	v_add_nc_u32_e32 v44, v49, v9
	s_delay_alu instid0(VALU_DEP_2) | instskip(NEXT) | instid1(VALU_DEP_1)
	v_fmac_f32_e32 v48, 0x3fc90fda, v43
	v_add_f32_e32 v43, v52, v48
	s_and_not1_saveexec_b32 s2, s26
	s_branch .LBB145_47
.LBB145_46:                             ;   in Loop: Header=BB145_4 Depth=1
	s_and_not1_saveexec_b32 s2, s26
.LBB145_47:                             ;   in Loop: Header=BB145_4 Depth=1
	v_mul_f32_e64 v9, 0x3f22f983, |v4|
	s_delay_alu instid0(VALU_DEP_1) | instskip(NEXT) | instid1(VALU_DEP_1)
	v_rndne_f32_e32 v9, v9
	v_fma_f32 v43, 0xbfc90fda, v9, |v4|
	v_cvt_i32_f32_e32 v44, v9
	s_delay_alu instid0(VALU_DEP_2) | instskip(NEXT) | instid1(VALU_DEP_1)
	v_fmac_f32_e32 v43, 0xb3a22168, v9
	v_fmac_f32_e32 v43, 0xa7c234c4, v9
; %bb.48:                               ;   in Loop: Header=BB145_4 Depth=1
	s_or_b32 exec_lo, exec_lo, s2
                                        ; implicit-def: $vgpr48
                                        ; implicit-def: $vgpr9
	s_and_saveexec_b32 s2, s25
	s_delay_alu instid0(SALU_CYCLE_1)
	s_xor_b32 s25, exec_lo, s2
	s_cbranch_execz .LBB145_50
; %bb.49:                               ;   in Loop: Header=BB145_4 Depth=1
	v_and_or_b32 v56, v40, s21, 0x800000
	v_lshrrev_b32_e32 v53, 23, v40
	s_delay_alu instid0(VALU_DEP_2) | instskip(NEXT) | instid1(VALU_DEP_2)
	v_mad_u64_u32 v[48:49], null, 0xfe5163ab, v56, 0
	v_add_nc_u32_e32 v54, 0xffffff88, v53
	s_delay_alu instid0(VALU_DEP_1) | instskip(NEXT) | instid1(VALU_DEP_3)
	v_cmp_lt_u32_e32 vcc_lo, 63, v54
	v_mov_b32_e32 v9, v49
	v_cndmask_b32_e64 v55, 0, 0xffffffc0, vcc_lo
	s_delay_alu instid0(VALU_DEP_2) | instskip(NEXT) | instid1(VALU_DEP_2)
	v_mad_u64_u32 v[49:50], null, 0x3c439041, v56, v[9:10]
	v_add_nc_u32_e32 v55, v55, v54
	s_delay_alu instid0(VALU_DEP_2) | instskip(NEXT) | instid1(VALU_DEP_2)
	v_mov_b32_e32 v9, v50
	v_cmp_lt_u32_e64 s2, 31, v55
	s_delay_alu instid0(VALU_DEP_2) | instskip(NEXT) | instid1(VALU_DEP_2)
	v_mad_u64_u32 v[50:51], null, 0xdb629599, v56, v[9:10]
	v_cndmask_b32_e64 v57, 0, 0xffffffe0, s2
	s_delay_alu instid0(VALU_DEP_1) | instskip(NEXT) | instid1(VALU_DEP_3)
	v_add_nc_u32_e32 v57, v57, v55
	v_dual_mov_b32 v9, v51 :: v_dual_cndmask_b32 v48, v50, v48
	s_delay_alu instid0(VALU_DEP_2) | instskip(NEXT) | instid1(VALU_DEP_2)
	v_cmp_lt_u32_e64 s3, 31, v57
	v_mad_u64_u32 v[51:52], null, 0xf534ddc0, v56, v[9:10]
	s_delay_alu instid0(VALU_DEP_1) | instskip(NEXT) | instid1(VALU_DEP_2)
	v_mov_b32_e32 v9, v52
	v_cndmask_b32_e32 v49, v51, v49, vcc_lo
	s_delay_alu instid0(VALU_DEP_2) | instskip(NEXT) | instid1(VALU_DEP_2)
	v_mad_u64_u32 v[52:53], null, 0xfc2757d1, v56, v[9:10]
	v_cndmask_b32_e64 v48, v49, v48, s2
	s_delay_alu instid0(VALU_DEP_2) | instskip(NEXT) | instid1(VALU_DEP_1)
	v_mov_b32_e32 v9, v53
	v_mad_u64_u32 v[53:54], null, 0x4e441529, v56, v[9:10]
	s_delay_alu instid0(VALU_DEP_1) | instskip(NEXT) | instid1(VALU_DEP_1)
	v_mov_b32_e32 v9, v54
	v_mad_u64_u32 v[54:55], null, 0xa2f9836e, v56, v[9:10]
	v_cndmask_b32_e64 v9, 0, 0xffffffe0, s3
	s_delay_alu instid0(VALU_DEP_4) | instskip(NEXT) | instid1(VALU_DEP_2)
	v_cndmask_b32_e32 v56, v53, v51, vcc_lo
	v_dual_cndmask_b32 v54, v54, v52 :: v_dual_add_nc_u32 v9, v9, v57
	s_delay_alu instid0(VALU_DEP_4) | instskip(NEXT) | instid1(VALU_DEP_2)
	v_dual_cndmask_b32 v53, v55, v53 :: v_dual_cndmask_b32 v52, v52, v50
	v_sub_nc_u32_e32 v55, 32, v9
	s_delay_alu instid0(VALU_DEP_3) | instskip(NEXT) | instid1(VALU_DEP_3)
	v_cndmask_b32_e64 v51, v54, v56, s2
	v_cndmask_b32_e64 v53, v53, v54, s2
	s_delay_alu instid0(VALU_DEP_4) | instskip(SKIP_2) | instid1(VALU_DEP_4)
	v_cndmask_b32_e64 v54, v56, v52, s2
	v_cndmask_b32_e64 v52, v52, v49, s2
	v_cmp_eq_u32_e64 s4, 0, v9
	v_cndmask_b32_e64 v53, v53, v51, s3
	s_delay_alu instid0(VALU_DEP_4) | instskip(NEXT) | instid1(VALU_DEP_4)
	v_cndmask_b32_e64 v51, v51, v54, s3
	v_cndmask_b32_e64 v54, v54, v52, s3
	;; [unrolled: 1-line block ×3, first 2 shown]
	s_delay_alu instid0(VALU_DEP_3) | instskip(NEXT) | instid1(VALU_DEP_3)
	v_alignbit_b32 v56, v53, v51, v55
	v_alignbit_b32 v57, v51, v54, v55
	s_delay_alu instid0(VALU_DEP_3) | instskip(NEXT) | instid1(VALU_DEP_3)
	v_alignbit_b32 v55, v54, v48, v55
	v_cndmask_b32_e64 v9, v56, v53, s4
	s_delay_alu instid0(VALU_DEP_3) | instskip(NEXT) | instid1(VALU_DEP_3)
	v_cndmask_b32_e64 v50, v57, v51, s4
	v_cndmask_b32_e64 v54, v55, v54, s4
	s_delay_alu instid0(VALU_DEP_3) | instskip(NEXT) | instid1(VALU_DEP_3)
	v_bfe_u32 v51, v9, 29, 1
	v_alignbit_b32 v49, v9, v50, 30
	s_delay_alu instid0(VALU_DEP_3) | instskip(SKIP_1) | instid1(VALU_DEP_4)
	v_alignbit_b32 v50, v50, v54, 30
	v_alignbit_b32 v48, v54, v48, 30
	v_sub_nc_u32_e32 v53, 0, v51
	s_delay_alu instid0(VALU_DEP_1) | instskip(SKIP_3) | instid1(VALU_DEP_4)
	v_xor_b32_e32 v52, v49, v53
	v_cmp_ne_u32_e32 vcc_lo, v49, v53
	v_xor_b32_e32 v50, v50, v53
	v_xor_b32_e32 v48, v48, v53
	v_clz_i32_u32_e32 v56, v52
	s_delay_alu instid0(VALU_DEP_1) | instskip(NEXT) | instid1(VALU_DEP_1)
	v_add_nc_u32_e32 v55, 1, v56
	v_cndmask_b32_e32 v49, 33, v55, vcc_lo
	s_delay_alu instid0(VALU_DEP_1) | instskip(NEXT) | instid1(VALU_DEP_1)
	v_sub_nc_u32_e32 v54, 32, v49
	v_alignbit_b32 v52, v52, v50, v54
	v_alignbit_b32 v48, v50, v48, v54
	v_lshrrev_b32_e32 v50, 29, v9
	s_delay_alu instid0(VALU_DEP_2) | instskip(NEXT) | instid1(VALU_DEP_2)
	v_alignbit_b32 v53, v52, v48, 9
	v_lshlrev_b32_e32 v50, 31, v50
	v_alignbit_b32 v52, v49, v52, 9
	s_delay_alu instid0(VALU_DEP_3) | instskip(NEXT) | instid1(VALU_DEP_2)
	v_clz_i32_u32_e32 v54, v53
	v_or_b32_e32 v52, v52, v50
	v_or_b32_e32 v50, 0x33800000, v50
	s_delay_alu instid0(VALU_DEP_3) | instskip(NEXT) | instid1(VALU_DEP_3)
	v_min_u32_e32 v54, 32, v54
	v_xor_b32_e32 v52, 1.0, v52
	s_delay_alu instid0(VALU_DEP_2) | instskip(SKIP_1) | instid1(VALU_DEP_3)
	v_sub_nc_u32_e32 v55, 31, v54
	v_add_lshl_u32 v49, v54, v49, 23
	v_mul_f32_e32 v54, 0x3fc90fda, v52
	s_delay_alu instid0(VALU_DEP_3) | instskip(NEXT) | instid1(VALU_DEP_3)
	v_alignbit_b32 v48, v53, v48, v55
	v_sub_nc_u32_e32 v49, v50, v49
	s_delay_alu instid0(VALU_DEP_3) | instskip(NEXT) | instid1(VALU_DEP_3)
	v_fma_f32 v50, 0x3fc90fda, v52, -v54
	v_lshrrev_b32_e32 v48, 9, v48
	s_delay_alu instid0(VALU_DEP_2) | instskip(NEXT) | instid1(VALU_DEP_2)
	v_fmac_f32_e32 v50, 0x33a22168, v52
	v_or_b32_e32 v48, v49, v48
	s_delay_alu instid0(VALU_DEP_1) | instskip(SKIP_1) | instid1(VALU_DEP_1)
	v_fmac_f32_e32 v50, 0x3fc90fda, v48
	v_lshrrev_b32_e32 v48, 30, v9
	v_dual_add_f32 v9, v54, v50 :: v_dual_add_nc_u32 v48, v51, v48
	s_and_not1_saveexec_b32 s2, s25
	s_cbranch_execz .LBB145_3
	s_branch .LBB145_51
.LBB145_50:                             ;   in Loop: Header=BB145_4 Depth=1
	s_and_not1_saveexec_b32 s2, s25
	s_cbranch_execz .LBB145_3
.LBB145_51:                             ;   in Loop: Header=BB145_4 Depth=1
	v_mul_f32_e64 v9, 0x3f22f983, |v4|
	s_delay_alu instid0(VALU_DEP_1) | instskip(NEXT) | instid1(VALU_DEP_1)
	v_rndne_f32_e32 v48, v9
	v_fma_f32 v9, 0xbfc90fda, v48, |v4|
	s_delay_alu instid0(VALU_DEP_1) | instskip(NEXT) | instid1(VALU_DEP_1)
	v_fmac_f32_e32 v9, 0xb3a22168, v48
	v_fmac_f32_e32 v9, 0xa7c234c4, v48
	v_cvt_i32_f32_e32 v48, v48
	s_branch .LBB145_3
.LBB145_52:
	s_or_b32 exec_lo, exec_lo, s15
	s_mov_b32 s2, 0
.LBB145_53:
	s_delay_alu instid0(SALU_CYCLE_1)
	s_and_not1_b32 vcc_lo, exec_lo, s2
	s_cbranch_vccnz .LBB145_121
; %bb.54:
	v_cmp_lt_i64_e64 s2, s[10:11], 1
	s_delay_alu instid0(VALU_DEP_1)
	s_and_b32 vcc_lo, exec_lo, s2
	s_cbranch_vccnz .LBB145_121
; %bb.55:
	s_load_b32 s0, s[0:1], 0xc5c
	v_mov_b32_e32 v1, 0
	v_lshl_or_b32 v2, v0, 3, 4
	v_cmp_gt_u64_e64 s1, 0x10000, s[10:11]
	s_mov_b32 s13, 0
	s_mov_b32 s22, 0x395133b1
	v_mov_b32_e32 v3, v1
	v_add_co_u32 v12, s2, s6, v2
	s_delay_alu instid0(VALU_DEP_1) | instskip(SKIP_1) | instid1(VALU_DEP_1)
	v_add_co_ci_u32_e64 v13, null, s7, 0, s2
	v_add_co_u32 v14, s2, s16, v2
	v_add_co_ci_u32_e64 v15, null, s17, 0, s2
	s_mov_b32 s23, 0x37d75334
	s_mov_b32 s24, 0xb94c1982
	s_waitcnt lgkmcnt(0)
	s_and_b32 s18, s0, 0xffff
	s_and_b32 s0, s1, exec_lo
	v_add_lshl_u32 v6, v0, s18, 3
	v_mad_u64_u32 v[4:5], null, s18, 24, v[2:3]
	s_cselect_b32 s15, s11, 0
	s_cselect_b32 s14, s10, 0x10000
	s_delay_alu instid0(VALU_DEP_2) | instskip(NEXT) | instid1(VALU_DEP_1)
	v_add_co_u32 v16, s0, s16, v6
	v_add_co_ci_u32_e64 v17, null, s17, 0, s0
	v_add_co_u32 v20, s0, s6, v6
	s_delay_alu instid0(VALU_DEP_1)
	v_add_co_ci_u32_e64 v21, null, s7, 0, s0
	s_lshl_b32 s0, s18, 4
	v_add_co_u32 v18, vcc_lo, s6, v4
	v_add_co_u32 v2, s0, v2, s0
	v_add_co_ci_u32_e32 v19, vcc_lo, s7, v5, vcc_lo
	v_add_co_ci_u32_e64 v3, null, 0, 0, s0
	v_add_co_u32 v22, vcc_lo, s16, v4
	v_add_co_ci_u32_e32 v23, vcc_lo, s17, v5, vcc_lo
	v_add_co_u32 v24, vcc_lo, s6, v2
	s_delay_alu instid0(VALU_DEP_4)
	v_add_co_ci_u32_e32 v25, vcc_lo, s7, v3, vcc_lo
	v_add_co_u32 v26, vcc_lo, s16, v2
	v_add_co_ci_u32_e32 v27, vcc_lo, s17, v3, vcc_lo
	v_dual_mov_b32 v3, v1 :: v_dual_mov_b32 v2, v0
	s_lshl_b32 s12, s18, 2
	s_lshl_b32 s19, s18, 1
	s_mul_i32 s20, s18, 3
	s_lshl_b32 s21, s18, 5
	s_mov_b32 s7, 0x7fffff
	s_mov_b64 s[16:17], s[12:13]
	s_branch .LBB145_57
.LBB145_56:                             ;   in Loop: Header=BB145_57 Depth=1
	s_or_b32 exec_lo, exec_lo, s1
	v_add_co_u32 v2, vcc_lo, v2, s12
	v_add_co_ci_u32_e32 v3, vcc_lo, 0, v3, vcc_lo
	v_add_co_u32 v12, vcc_lo, v12, s21
	v_add_co_ci_u32_e32 v13, vcc_lo, 0, v13, vcc_lo
	v_add_co_u32 v14, vcc_lo, v14, s21
	v_add_co_ci_u32_e32 v15, vcc_lo, 0, v15, vcc_lo
	v_add_co_u32 v16, vcc_lo, v16, s21
	v_add_co_ci_u32_e32 v17, vcc_lo, 0, v17, vcc_lo
	v_add_co_u32 v18, vcc_lo, v18, s21
	v_add_co_ci_u32_e32 v19, vcc_lo, 0, v19, vcc_lo
	v_add_co_u32 v20, vcc_lo, v20, s21
	v_add_co_ci_u32_e32 v21, vcc_lo, 0, v21, vcc_lo
	v_add_co_u32 v22, vcc_lo, v22, s21
	v_add_co_ci_u32_e32 v23, vcc_lo, 0, v23, vcc_lo
	v_cmp_ge_i64_e64 s0, s[16:17], s[10:11]
	v_cmp_lt_u64_e64 s1, 0xffff, s[16:17]
	v_add_co_u32 v24, vcc_lo, v24, s21
	v_add_co_ci_u32_e32 v25, vcc_lo, 0, v25, vcc_lo
	v_add_co_u32 v26, vcc_lo, v26, s21
	v_add_co_ci_u32_e32 v27, vcc_lo, 0, v27, vcc_lo
	s_or_b32 s0, s0, s1
	s_add_u32 s16, s16, s12
	s_addc_u32 s17, s17, 0
	s_and_b32 vcc_lo, exec_lo, s0
	s_cbranch_vccnz .LBB145_121
.LBB145_57:                             ; =>This Inner Loop Header: Depth=1
	v_cmp_gt_u64_e64 s2, s[14:15], v[2:3]
	v_dual_mov_b32 v11, 0 :: v_dual_mov_b32 v10, 0
	s_delay_alu instid0(VALU_DEP_2)
	s_and_saveexec_b32 s0, s2
	s_cbranch_execz .LBB145_59
; %bb.58:                               ;   in Loop: Header=BB145_57 Depth=1
	v_add_co_u32 v4, vcc_lo, v12, s8
	v_add_co_ci_u32_e32 v5, vcc_lo, s9, v13, vcc_lo
	global_load_b64 v[10:11], v[4:5], off offset:-4
.LBB145_59:                             ;   in Loop: Header=BB145_57 Depth=1
	s_or_b32 exec_lo, exec_lo, s0
	v_add_co_u32 v4, vcc_lo, s18, v2
	v_add_co_ci_u32_e32 v5, vcc_lo, 0, v3, vcc_lo
	v_dual_mov_b32 v7, 0 :: v_dual_mov_b32 v8, 0
	v_mov_b32_e32 v9, 0
	s_delay_alu instid0(VALU_DEP_3) | instskip(NEXT) | instid1(VALU_DEP_1)
	v_cmp_gt_u64_e64 s1, s[14:15], v[4:5]
	s_and_saveexec_b32 s0, s1
	s_cbranch_execz .LBB145_61
; %bb.60:                               ;   in Loop: Header=BB145_57 Depth=1
	v_add_co_u32 v4, vcc_lo, v20, s8
	v_add_co_ci_u32_e32 v5, vcc_lo, s9, v21, vcc_lo
	global_load_b64 v[8:9], v[4:5], off
.LBB145_61:                             ;   in Loop: Header=BB145_57 Depth=1
	s_or_b32 exec_lo, exec_lo, s0
	v_add_co_u32 v4, vcc_lo, s19, v2
	v_add_co_ci_u32_e32 v5, vcc_lo, 0, v3, vcc_lo
	v_mov_b32_e32 v6, 0
	s_delay_alu instid0(VALU_DEP_2) | instskip(NEXT) | instid1(VALU_DEP_1)
	v_cmp_gt_u64_e64 s0, s[14:15], v[4:5]
	s_and_saveexec_b32 s3, s0
	s_cbranch_execz .LBB145_63
; %bb.62:                               ;   in Loop: Header=BB145_57 Depth=1
	v_add_co_u32 v4, vcc_lo, v24, s8
	v_add_co_ci_u32_e32 v5, vcc_lo, s9, v25, vcc_lo
	global_load_b64 v[6:7], v[4:5], off offset:-4
.LBB145_63:                             ;   in Loop: Header=BB145_57 Depth=1
	s_or_b32 exec_lo, exec_lo, s3
	v_add_co_u32 v4, vcc_lo, s20, v2
	v_add_co_ci_u32_e32 v5, vcc_lo, 0, v3, vcc_lo
	s_delay_alu instid0(VALU_DEP_1)
	v_cmp_gt_u64_e32 vcc_lo, s[14:15], v[4:5]
	v_dual_mov_b32 v5, 0 :: v_dual_mov_b32 v4, 0
	s_and_saveexec_b32 s4, vcc_lo
	s_cbranch_execz .LBB145_65
; %bb.64:                               ;   in Loop: Header=BB145_57 Depth=1
	v_add_co_u32 v4, s3, v18, s8
	s_delay_alu instid0(VALU_DEP_1)
	v_add_co_ci_u32_e64 v5, s3, s9, v19, s3
	global_load_b64 v[4:5], v[4:5], off offset:-4
.LBB145_65:                             ;   in Loop: Header=BB145_57 Depth=1
	s_or_b32 exec_lo, exec_lo, s4
	s_waitcnt vmcnt(0)
	v_mul_f32_e32 v28, 0.5, v11
                                        ; implicit-def: $vgpr32
                                        ; implicit-def: $vgpr30
	s_mov_b32 s4, exec_lo
	s_delay_alu instid0(VALU_DEP_1)
	v_and_b32_e32 v29, 0x7fffffff, v28
	v_cmpx_ngt_f32_e64 0x48000000, |v28|
	s_xor_b32 s13, exec_lo, s4
	s_cbranch_execz .LBB145_67
; %bb.66:                               ;   in Loop: Header=BB145_57 Depth=1
	s_delay_alu instid0(VALU_DEP_2) | instskip(SKIP_1) | instid1(VALU_DEP_2)
	v_lshrrev_b32_e32 v35, 23, v29
	v_and_or_b32 v38, v29, s7, 0x800000
	v_add_nc_u32_e32 v36, 0xffffff88, v35
	s_delay_alu instid0(VALU_DEP_2) | instskip(NEXT) | instid1(VALU_DEP_2)
	v_mad_u64_u32 v[30:31], null, 0xfe5163ab, v38, 0
	v_cmp_lt_u32_e64 s3, 63, v36
	s_delay_alu instid0(VALU_DEP_1) | instskip(NEXT) | instid1(VALU_DEP_1)
	v_cndmask_b32_e64 v37, 0, 0xffffffc0, s3
	v_dual_mov_b32 v0, v31 :: v_dual_add_nc_u32 v37, v37, v36
	s_delay_alu instid0(VALU_DEP_1) | instskip(NEXT) | instid1(VALU_DEP_2)
	v_mad_u64_u32 v[31:32], null, 0x3c439041, v38, v[0:1]
	v_cmp_lt_u32_e64 s4, 31, v37
	s_delay_alu instid0(VALU_DEP_1) | instskip(NEXT) | instid1(VALU_DEP_1)
	v_cndmask_b32_e64 v39, 0, 0xffffffe0, s4
	v_dual_mov_b32 v0, v32 :: v_dual_add_nc_u32 v39, v39, v37
	s_delay_alu instid0(VALU_DEP_1) | instskip(NEXT) | instid1(VALU_DEP_2)
	v_mad_u64_u32 v[32:33], null, 0xdb629599, v38, v[0:1]
	v_cmp_lt_u32_e64 s5, 31, v39
	s_delay_alu instid0(VALU_DEP_2) | instskip(NEXT) | instid1(VALU_DEP_3)
	v_mov_b32_e32 v0, v33
	v_cndmask_b32_e64 v30, v32, v30, s3
	s_delay_alu instid0(VALU_DEP_2) | instskip(NEXT) | instid1(VALU_DEP_1)
	v_mad_u64_u32 v[33:34], null, 0xf534ddc0, v38, v[0:1]
	v_mov_b32_e32 v0, v34
	s_delay_alu instid0(VALU_DEP_2) | instskip(NEXT) | instid1(VALU_DEP_2)
	v_cndmask_b32_e64 v31, v33, v31, s3
	v_mad_u64_u32 v[34:35], null, 0xfc2757d1, v38, v[0:1]
	s_delay_alu instid0(VALU_DEP_2) | instskip(NEXT) | instid1(VALU_DEP_2)
	v_cndmask_b32_e64 v30, v31, v30, s4
	v_mov_b32_e32 v0, v35
	s_delay_alu instid0(VALU_DEP_1) | instskip(NEXT) | instid1(VALU_DEP_1)
	v_mad_u64_u32 v[35:36], null, 0x4e441529, v38, v[0:1]
	v_mov_b32_e32 v0, v36
	s_delay_alu instid0(VALU_DEP_1) | instskip(SKIP_1) | instid1(VALU_DEP_4)
	v_mad_u64_u32 v[36:37], null, 0xa2f9836e, v38, v[0:1]
	v_cndmask_b32_e64 v0, 0, 0xffffffe0, s5
	v_cndmask_b32_e64 v38, v35, v33, s3
	s_delay_alu instid0(VALU_DEP_2) | instskip(NEXT) | instid1(VALU_DEP_4)
	v_add_nc_u32_e32 v0, v0, v39
	v_cndmask_b32_e64 v36, v36, v34, s3
	v_cndmask_b32_e64 v35, v37, v35, s3
	;; [unrolled: 1-line block ×3, first 2 shown]
	s_delay_alu instid0(VALU_DEP_4) | instskip(NEXT) | instid1(VALU_DEP_4)
	v_sub_nc_u32_e32 v37, 32, v0
	v_cndmask_b32_e64 v33, v36, v38, s4
	s_delay_alu instid0(VALU_DEP_4) | instskip(NEXT) | instid1(VALU_DEP_4)
	v_cndmask_b32_e64 v35, v35, v36, s4
	v_cndmask_b32_e64 v36, v38, v34, s4
	;; [unrolled: 1-line block ×3, first 2 shown]
	v_cmp_eq_u32_e64 s6, 0, v0
	s_delay_alu instid0(VALU_DEP_4) | instskip(NEXT) | instid1(VALU_DEP_4)
	v_cndmask_b32_e64 v35, v35, v33, s5
	v_cndmask_b32_e64 v33, v33, v36, s5
	s_delay_alu instid0(VALU_DEP_4) | instskip(SKIP_1) | instid1(VALU_DEP_3)
	v_cndmask_b32_e64 v36, v36, v34, s5
	v_cndmask_b32_e64 v30, v34, v30, s5
	v_alignbit_b32 v38, v35, v33, v37
	s_delay_alu instid0(VALU_DEP_3) | instskip(NEXT) | instid1(VALU_DEP_3)
	v_alignbit_b32 v39, v33, v36, v37
	v_alignbit_b32 v37, v36, v30, v37
	s_delay_alu instid0(VALU_DEP_3) | instskip(NEXT) | instid1(VALU_DEP_3)
	v_cndmask_b32_e64 v0, v38, v35, s6
	v_cndmask_b32_e64 v32, v39, v33, s6
	s_delay_alu instid0(VALU_DEP_3) | instskip(NEXT) | instid1(VALU_DEP_3)
	v_cndmask_b32_e64 v36, v37, v36, s6
	v_bfe_u32 v33, v0, 29, 1
	s_delay_alu instid0(VALU_DEP_3) | instskip(NEXT) | instid1(VALU_DEP_3)
	v_alignbit_b32 v31, v0, v32, 30
	v_alignbit_b32 v32, v32, v36, 30
	;; [unrolled: 1-line block ×3, first 2 shown]
	s_delay_alu instid0(VALU_DEP_4) | instskip(NEXT) | instid1(VALU_DEP_1)
	v_sub_nc_u32_e32 v35, 0, v33
	v_xor_b32_e32 v34, v31, v35
	v_cmp_ne_u32_e64 s3, v31, v35
	v_xor_b32_e32 v32, v32, v35
	v_xor_b32_e32 v30, v30, v35
	s_delay_alu instid0(VALU_DEP_4) | instskip(NEXT) | instid1(VALU_DEP_1)
	v_clz_i32_u32_e32 v38, v34
	v_add_nc_u32_e32 v37, 1, v38
	s_delay_alu instid0(VALU_DEP_1) | instskip(NEXT) | instid1(VALU_DEP_1)
	v_cndmask_b32_e64 v31, 33, v37, s3
	v_sub_nc_u32_e32 v36, 32, v31
	s_delay_alu instid0(VALU_DEP_1) | instskip(SKIP_3) | instid1(VALU_DEP_3)
	v_alignbit_b32 v34, v34, v32, v36
	v_alignbit_b32 v30, v32, v30, v36
	v_lshrrev_b32_e32 v32, 29, v0
	v_lshrrev_b32_e32 v0, 30, v0
	v_alignbit_b32 v35, v34, v30, 9
	s_delay_alu instid0(VALU_DEP_3) | instskip(SKIP_1) | instid1(VALU_DEP_3)
	v_lshlrev_b32_e32 v32, 31, v32
	v_alignbit_b32 v34, v31, v34, 9
	v_clz_i32_u32_e32 v36, v35
	s_delay_alu instid0(VALU_DEP_2) | instskip(SKIP_1) | instid1(VALU_DEP_3)
	v_or_b32_e32 v34, v34, v32
	v_or_b32_e32 v32, 0x33800000, v32
	v_min_u32_e32 v36, 32, v36
	s_delay_alu instid0(VALU_DEP_3) | instskip(NEXT) | instid1(VALU_DEP_2)
	v_xor_b32_e32 v34, 1.0, v34
	v_sub_nc_u32_e32 v37, 31, v36
	v_add_lshl_u32 v31, v36, v31, 23
	s_delay_alu instid0(VALU_DEP_3) | instskip(NEXT) | instid1(VALU_DEP_3)
	v_mul_f32_e32 v36, 0x3fc90fda, v34
	v_alignbit_b32 v30, v35, v30, v37
	s_delay_alu instid0(VALU_DEP_3) | instskip(NEXT) | instid1(VALU_DEP_3)
	v_sub_nc_u32_e32 v31, v32, v31
	v_fma_f32 v32, 0x3fc90fda, v34, -v36
	s_delay_alu instid0(VALU_DEP_3) | instskip(NEXT) | instid1(VALU_DEP_2)
	v_lshrrev_b32_e32 v30, 9, v30
	v_fmac_f32_e32 v32, 0x33a22168, v34
	s_delay_alu instid0(VALU_DEP_2) | instskip(NEXT) | instid1(VALU_DEP_1)
	v_or_b32_e32 v30, v31, v30
	v_fmac_f32_e32 v32, 0x3fc90fda, v30
	s_delay_alu instid0(VALU_DEP_1)
	v_add_f32_e32 v30, v36, v32
	v_add_nc_u32_e32 v32, v33, v0
.LBB145_67:                             ;   in Loop: Header=BB145_57 Depth=1
	s_and_not1_saveexec_b32 s3, s13
; %bb.68:                               ;   in Loop: Header=BB145_57 Depth=1
	v_mul_f32_e64 v0, 0x3f22f983, |v28|
	s_delay_alu instid0(VALU_DEP_1) | instskip(NEXT) | instid1(VALU_DEP_1)
	v_rndne_f32_e32 v0, v0
	v_fma_f32 v30, 0xbfc90fda, v0, |v28|
	v_cvt_i32_f32_e32 v32, v0
	s_delay_alu instid0(VALU_DEP_2) | instskip(NEXT) | instid1(VALU_DEP_1)
	v_fmac_f32_e32 v30, 0xb3a22168, v0
	v_fmac_f32_e32 v30, 0xa7c234c4, v0
; %bb.69:                               ;   in Loop: Header=BB145_57 Depth=1
	s_or_b32 exec_lo, exec_lo, s3
	v_and_b32_e32 v31, 0x7fffffff, v11
	v_cmp_ngt_f32_e64 s13, 0x48000000, |v11|
                                        ; implicit-def: $vgpr35
                                        ; implicit-def: $vgpr33
	s_delay_alu instid0(VALU_DEP_1) | instskip(NEXT) | instid1(SALU_CYCLE_1)
	s_and_saveexec_b32 s3, s13
	s_xor_b32 s25, exec_lo, s3
	s_cbranch_execz .LBB145_71
; %bb.70:                               ;   in Loop: Header=BB145_57 Depth=1
	v_and_or_b32 v41, v31, s7, 0x800000
	v_lshrrev_b32_e32 v38, 23, v31
	s_delay_alu instid0(VALU_DEP_2) | instskip(NEXT) | instid1(VALU_DEP_2)
	v_mad_u64_u32 v[33:34], null, 0xfe5163ab, v41, 0
	v_add_nc_u32_e32 v39, 0xffffff88, v38
	s_delay_alu instid0(VALU_DEP_1) | instskip(NEXT) | instid1(VALU_DEP_3)
	v_cmp_lt_u32_e64 s3, 63, v39
	v_mov_b32_e32 v0, v34
	s_delay_alu instid0(VALU_DEP_2) | instskip(NEXT) | instid1(VALU_DEP_2)
	v_cndmask_b32_e64 v40, 0, 0xffffffc0, s3
	v_mad_u64_u32 v[34:35], null, 0x3c439041, v41, v[0:1]
	s_delay_alu instid0(VALU_DEP_2) | instskip(NEXT) | instid1(VALU_DEP_2)
	v_add_nc_u32_e32 v40, v40, v39
	v_mov_b32_e32 v0, v35
	s_delay_alu instid0(VALU_DEP_2) | instskip(NEXT) | instid1(VALU_DEP_2)
	v_cmp_lt_u32_e64 s4, 31, v40
	v_mad_u64_u32 v[35:36], null, 0xdb629599, v41, v[0:1]
	s_delay_alu instid0(VALU_DEP_2) | instskip(NEXT) | instid1(VALU_DEP_1)
	v_cndmask_b32_e64 v42, 0, 0xffffffe0, s4
	v_add_nc_u32_e32 v42, v42, v40
	s_delay_alu instid0(VALU_DEP_3) | instskip(NEXT) | instid1(VALU_DEP_4)
	v_mov_b32_e32 v0, v36
	v_cndmask_b32_e64 v33, v35, v33, s3
	s_delay_alu instid0(VALU_DEP_3) | instskip(NEXT) | instid1(VALU_DEP_3)
	v_cmp_lt_u32_e64 s5, 31, v42
	v_mad_u64_u32 v[36:37], null, 0xf534ddc0, v41, v[0:1]
	s_delay_alu instid0(VALU_DEP_1) | instskip(NEXT) | instid1(VALU_DEP_2)
	v_mov_b32_e32 v0, v37
	v_cndmask_b32_e64 v34, v36, v34, s3
	s_delay_alu instid0(VALU_DEP_2) | instskip(NEXT) | instid1(VALU_DEP_2)
	v_mad_u64_u32 v[37:38], null, 0xfc2757d1, v41, v[0:1]
	v_cndmask_b32_e64 v33, v34, v33, s4
	s_delay_alu instid0(VALU_DEP_2) | instskip(NEXT) | instid1(VALU_DEP_1)
	v_mov_b32_e32 v0, v38
	v_mad_u64_u32 v[38:39], null, 0x4e441529, v41, v[0:1]
	s_delay_alu instid0(VALU_DEP_1) | instskip(NEXT) | instid1(VALU_DEP_1)
	v_mov_b32_e32 v0, v39
	v_mad_u64_u32 v[39:40], null, 0xa2f9836e, v41, v[0:1]
	v_cndmask_b32_e64 v0, 0, 0xffffffe0, s5
	s_delay_alu instid0(VALU_DEP_4) | instskip(NEXT) | instid1(VALU_DEP_2)
	v_cndmask_b32_e64 v41, v38, v36, s3
	v_add_nc_u32_e32 v0, v0, v42
	s_delay_alu instid0(VALU_DEP_4) | instskip(SKIP_2) | instid1(VALU_DEP_4)
	v_cndmask_b32_e64 v39, v39, v37, s3
	v_cndmask_b32_e64 v38, v40, v38, s3
	;; [unrolled: 1-line block ×3, first 2 shown]
	v_sub_nc_u32_e32 v40, 32, v0
	s_delay_alu instid0(VALU_DEP_4) | instskip(NEXT) | instid1(VALU_DEP_4)
	v_cndmask_b32_e64 v36, v39, v41, s4
	v_cndmask_b32_e64 v38, v38, v39, s4
	s_delay_alu instid0(VALU_DEP_4) | instskip(SKIP_2) | instid1(VALU_DEP_4)
	v_cndmask_b32_e64 v39, v41, v37, s4
	v_cndmask_b32_e64 v37, v37, v34, s4
	v_cmp_eq_u32_e64 s6, 0, v0
	v_cndmask_b32_e64 v38, v38, v36, s5
	s_delay_alu instid0(VALU_DEP_4) | instskip(NEXT) | instid1(VALU_DEP_4)
	v_cndmask_b32_e64 v36, v36, v39, s5
	v_cndmask_b32_e64 v39, v39, v37, s5
	v_cndmask_b32_e64 v33, v37, v33, s5
	s_delay_alu instid0(VALU_DEP_3) | instskip(NEXT) | instid1(VALU_DEP_3)
	v_alignbit_b32 v41, v38, v36, v40
	v_alignbit_b32 v42, v36, v39, v40
	s_delay_alu instid0(VALU_DEP_3) | instskip(NEXT) | instid1(VALU_DEP_3)
	v_alignbit_b32 v40, v39, v33, v40
	v_cndmask_b32_e64 v0, v41, v38, s6
	s_delay_alu instid0(VALU_DEP_3) | instskip(NEXT) | instid1(VALU_DEP_3)
	v_cndmask_b32_e64 v35, v42, v36, s6
	v_cndmask_b32_e64 v39, v40, v39, s6
	s_delay_alu instid0(VALU_DEP_3) | instskip(NEXT) | instid1(VALU_DEP_3)
	v_bfe_u32 v36, v0, 29, 1
	v_alignbit_b32 v34, v0, v35, 30
	s_delay_alu instid0(VALU_DEP_3) | instskip(SKIP_1) | instid1(VALU_DEP_4)
	v_alignbit_b32 v35, v35, v39, 30
	v_alignbit_b32 v33, v39, v33, 30
	v_sub_nc_u32_e32 v38, 0, v36
	s_delay_alu instid0(VALU_DEP_1) | instskip(SKIP_3) | instid1(VALU_DEP_4)
	v_xor_b32_e32 v37, v34, v38
	v_cmp_ne_u32_e64 s3, v34, v38
	v_xor_b32_e32 v35, v35, v38
	v_xor_b32_e32 v33, v33, v38
	v_clz_i32_u32_e32 v41, v37
	s_delay_alu instid0(VALU_DEP_1) | instskip(NEXT) | instid1(VALU_DEP_1)
	v_add_nc_u32_e32 v40, 1, v41
	v_cndmask_b32_e64 v34, 33, v40, s3
	s_delay_alu instid0(VALU_DEP_1) | instskip(NEXT) | instid1(VALU_DEP_1)
	v_sub_nc_u32_e32 v39, 32, v34
	v_alignbit_b32 v37, v37, v35, v39
	v_alignbit_b32 v33, v35, v33, v39
	v_lshrrev_b32_e32 v35, 29, v0
	v_lshrrev_b32_e32 v0, 30, v0
	s_delay_alu instid0(VALU_DEP_3) | instskip(NEXT) | instid1(VALU_DEP_3)
	v_alignbit_b32 v38, v37, v33, 9
	v_lshlrev_b32_e32 v35, 31, v35
	v_alignbit_b32 v37, v34, v37, 9
	s_delay_alu instid0(VALU_DEP_3) | instskip(NEXT) | instid1(VALU_DEP_2)
	v_clz_i32_u32_e32 v39, v38
	v_or_b32_e32 v37, v37, v35
	v_or_b32_e32 v35, 0x33800000, v35
	s_delay_alu instid0(VALU_DEP_3) | instskip(NEXT) | instid1(VALU_DEP_3)
	v_min_u32_e32 v39, 32, v39
	v_xor_b32_e32 v37, 1.0, v37
	s_delay_alu instid0(VALU_DEP_2) | instskip(SKIP_1) | instid1(VALU_DEP_3)
	v_sub_nc_u32_e32 v40, 31, v39
	v_add_lshl_u32 v34, v39, v34, 23
	v_mul_f32_e32 v39, 0x3fc90fda, v37
	s_delay_alu instid0(VALU_DEP_3) | instskip(NEXT) | instid1(VALU_DEP_3)
	v_alignbit_b32 v33, v38, v33, v40
	v_sub_nc_u32_e32 v34, v35, v34
	s_delay_alu instid0(VALU_DEP_3) | instskip(NEXT) | instid1(VALU_DEP_3)
	v_fma_f32 v35, 0x3fc90fda, v37, -v39
	v_lshrrev_b32_e32 v33, 9, v33
	s_delay_alu instid0(VALU_DEP_2) | instskip(NEXT) | instid1(VALU_DEP_2)
	v_fmac_f32_e32 v35, 0x33a22168, v37
	v_or_b32_e32 v33, v34, v33
	s_delay_alu instid0(VALU_DEP_1) | instskip(NEXT) | instid1(VALU_DEP_1)
	v_fmac_f32_e32 v35, 0x3fc90fda, v33
	v_add_f32_e32 v33, v39, v35
	v_add_nc_u32_e32 v35, v36, v0
	s_and_not1_saveexec_b32 s3, s25
	s_branch .LBB145_72
.LBB145_71:                             ;   in Loop: Header=BB145_57 Depth=1
	s_and_not1_saveexec_b32 s3, s25
.LBB145_72:                             ;   in Loop: Header=BB145_57 Depth=1
	v_mul_f32_e64 v0, 0x3f22f983, |v11|
	s_delay_alu instid0(VALU_DEP_1) | instskip(NEXT) | instid1(VALU_DEP_1)
	v_rndne_f32_e32 v0, v0
	v_fma_f32 v33, 0xbfc90fda, v0, |v11|
	v_cvt_i32_f32_e32 v35, v0
	s_delay_alu instid0(VALU_DEP_2) | instskip(NEXT) | instid1(VALU_DEP_1)
	v_fmac_f32_e32 v33, 0xb3a22168, v0
	v_fmac_f32_e32 v33, 0xa7c234c4, v0
; %bb.73:                               ;   in Loop: Header=BB145_57 Depth=1
	s_or_b32 exec_lo, exec_lo, s3
                                        ; implicit-def: $vgpr38
                                        ; implicit-def: $vgpr37
	s_and_saveexec_b32 s3, s13
	s_delay_alu instid0(SALU_CYCLE_1)
	s_xor_b32 s13, exec_lo, s3
	s_cbranch_execz .LBB145_75
; %bb.74:                               ;   in Loop: Header=BB145_57 Depth=1
	v_lshrrev_b32_e32 v41, 23, v31
	v_and_or_b32 v34, v31, s7, 0x800000
	s_delay_alu instid0(VALU_DEP_2) | instskip(NEXT) | instid1(VALU_DEP_2)
	v_add_nc_u32_e32 v42, 0xffffff88, v41
	v_mad_u64_u32 v[36:37], null, 0xfe5163ab, v34, 0
	s_delay_alu instid0(VALU_DEP_2) | instskip(NEXT) | instid1(VALU_DEP_1)
	v_cmp_lt_u32_e64 s3, 63, v42
	v_cndmask_b32_e64 v43, 0, 0xffffffc0, s3
	s_delay_alu instid0(VALU_DEP_1) | instskip(NEXT) | instid1(VALU_DEP_1)
	v_dual_mov_b32 v0, v37 :: v_dual_add_nc_u32 v43, v43, v42
	v_mad_u64_u32 v[37:38], null, 0x3c439041, v34, v[0:1]
	s_delay_alu instid0(VALU_DEP_2) | instskip(NEXT) | instid1(VALU_DEP_2)
	v_cmp_lt_u32_e64 s4, 31, v43
	v_mov_b32_e32 v0, v38
	s_delay_alu instid0(VALU_DEP_2) | instskip(NEXT) | instid1(VALU_DEP_2)
	v_cndmask_b32_e64 v44, 0, 0xffffffe0, s4
	v_mad_u64_u32 v[38:39], null, 0xdb629599, v34, v[0:1]
	s_delay_alu instid0(VALU_DEP_2) | instskip(NEXT) | instid1(VALU_DEP_1)
	v_add_nc_u32_e32 v44, v44, v43
	v_cmp_lt_u32_e64 s5, 31, v44
	s_delay_alu instid0(VALU_DEP_3) | instskip(NEXT) | instid1(VALU_DEP_4)
	v_mov_b32_e32 v0, v39
	v_cndmask_b32_e64 v36, v38, v36, s3
	s_delay_alu instid0(VALU_DEP_2) | instskip(NEXT) | instid1(VALU_DEP_1)
	v_mad_u64_u32 v[39:40], null, 0xf534ddc0, v34, v[0:1]
	v_mov_b32_e32 v0, v40
	s_delay_alu instid0(VALU_DEP_2) | instskip(NEXT) | instid1(VALU_DEP_2)
	v_cndmask_b32_e64 v37, v39, v37, s3
	v_mad_u64_u32 v[40:41], null, 0xfc2757d1, v34, v[0:1]
	s_delay_alu instid0(VALU_DEP_2) | instskip(NEXT) | instid1(VALU_DEP_2)
	v_cndmask_b32_e64 v36, v37, v36, s4
	v_mov_b32_e32 v0, v41
	s_delay_alu instid0(VALU_DEP_1) | instskip(NEXT) | instid1(VALU_DEP_1)
	v_mad_u64_u32 v[41:42], null, 0x4e441529, v34, v[0:1]
	v_mov_b32_e32 v0, v42
	s_delay_alu instid0(VALU_DEP_1) | instskip(SKIP_1) | instid1(VALU_DEP_4)
	v_mad_u64_u32 v[42:43], null, 0xa2f9836e, v34, v[0:1]
	v_cndmask_b32_e64 v0, 0, 0xffffffe0, s5
	v_cndmask_b32_e64 v34, v41, v39, s3
	s_delay_alu instid0(VALU_DEP_2) | instskip(NEXT) | instid1(VALU_DEP_4)
	v_add_nc_u32_e32 v0, v0, v44
	v_cndmask_b32_e64 v42, v42, v40, s3
	v_cndmask_b32_e64 v41, v43, v41, s3
	;; [unrolled: 1-line block ×3, first 2 shown]
	s_delay_alu instid0(VALU_DEP_4) | instskip(NEXT) | instid1(VALU_DEP_4)
	v_cmp_eq_u32_e64 s6, 0, v0
	v_cndmask_b32_e64 v39, v42, v34, s4
	s_delay_alu instid0(VALU_DEP_4) | instskip(NEXT) | instid1(VALU_DEP_4)
	v_cndmask_b32_e64 v41, v41, v42, s4
	v_cndmask_b32_e64 v34, v34, v40, s4
	v_sub_nc_u32_e32 v42, 32, v0
	v_cndmask_b32_e64 v40, v40, v37, s4
	s_delay_alu instid0(VALU_DEP_4) | instskip(NEXT) | instid1(VALU_DEP_4)
	v_cndmask_b32_e64 v41, v41, v39, s5
	v_cndmask_b32_e64 v39, v39, v34, s5
	s_delay_alu instid0(VALU_DEP_3) | instskip(SKIP_1) | instid1(VALU_DEP_3)
	v_cndmask_b32_e64 v34, v34, v40, s5
	v_cndmask_b32_e64 v36, v40, v36, s5
	v_alignbit_b32 v43, v41, v39, v42
	s_delay_alu instid0(VALU_DEP_3) | instskip(NEXT) | instid1(VALU_DEP_3)
	v_alignbit_b32 v44, v39, v34, v42
	v_alignbit_b32 v42, v34, v36, v42
	s_delay_alu instid0(VALU_DEP_3) | instskip(NEXT) | instid1(VALU_DEP_3)
	v_cndmask_b32_e64 v0, v43, v41, s6
	v_cndmask_b32_e64 v38, v44, v39, s6
	s_delay_alu instid0(VALU_DEP_3) | instskip(NEXT) | instid1(VALU_DEP_3)
	v_cndmask_b32_e64 v34, v42, v34, s6
	v_bfe_u32 v39, v0, 29, 1
	s_delay_alu instid0(VALU_DEP_3) | instskip(NEXT) | instid1(VALU_DEP_3)
	v_alignbit_b32 v37, v0, v38, 30
	v_alignbit_b32 v38, v38, v34, 30
	;; [unrolled: 1-line block ×3, first 2 shown]
	s_delay_alu instid0(VALU_DEP_4) | instskip(NEXT) | instid1(VALU_DEP_1)
	v_sub_nc_u32_e32 v41, 0, v39
	v_xor_b32_e32 v40, v37, v41
	v_cmp_ne_u32_e64 s3, v37, v41
	v_xor_b32_e32 v36, v38, v41
	v_xor_b32_e32 v34, v34, v41
	s_delay_alu instid0(VALU_DEP_4) | instskip(NEXT) | instid1(VALU_DEP_1)
	v_clz_i32_u32_e32 v43, v40
	v_add_nc_u32_e32 v42, 1, v43
	s_delay_alu instid0(VALU_DEP_1) | instskip(NEXT) | instid1(VALU_DEP_1)
	v_cndmask_b32_e64 v37, 33, v42, s3
	v_sub_nc_u32_e32 v38, 32, v37
	s_delay_alu instid0(VALU_DEP_1) | instskip(SKIP_3) | instid1(VALU_DEP_3)
	v_alignbit_b32 v40, v40, v36, v38
	v_alignbit_b32 v34, v36, v34, v38
	v_lshrrev_b32_e32 v36, 29, v0
	v_lshrrev_b32_e32 v0, 30, v0
	v_alignbit_b32 v38, v40, v34, 9
	s_delay_alu instid0(VALU_DEP_3) | instskip(SKIP_1) | instid1(VALU_DEP_3)
	v_lshlrev_b32_e32 v36, 31, v36
	v_alignbit_b32 v40, v37, v40, 9
	v_clz_i32_u32_e32 v41, v38
	s_delay_alu instid0(VALU_DEP_2) | instskip(SKIP_1) | instid1(VALU_DEP_3)
	v_or_b32_e32 v40, v40, v36
	v_or_b32_e32 v36, 0x33800000, v36
	v_min_u32_e32 v41, 32, v41
	s_delay_alu instid0(VALU_DEP_3) | instskip(NEXT) | instid1(VALU_DEP_2)
	v_xor_b32_e32 v40, 1.0, v40
	v_sub_nc_u32_e32 v42, 31, v41
	v_add_lshl_u32 v37, v41, v37, 23
	s_delay_alu instid0(VALU_DEP_3) | instskip(NEXT) | instid1(VALU_DEP_3)
	v_mul_f32_e32 v41, 0x3fc90fda, v40
	v_alignbit_b32 v34, v38, v34, v42
	s_delay_alu instid0(VALU_DEP_3) | instskip(NEXT) | instid1(VALU_DEP_3)
	v_sub_nc_u32_e32 v36, v36, v37
	v_fma_f32 v37, 0x3fc90fda, v40, -v41
	v_add_nc_u32_e32 v38, v39, v0
	s_delay_alu instid0(VALU_DEP_4) | instskip(NEXT) | instid1(VALU_DEP_3)
	v_lshrrev_b32_e32 v34, 9, v34
	v_fmac_f32_e32 v37, 0x33a22168, v40
	s_delay_alu instid0(VALU_DEP_2) | instskip(NEXT) | instid1(VALU_DEP_1)
	v_or_b32_e32 v34, v36, v34
	v_fmac_f32_e32 v37, 0x3fc90fda, v34
	s_delay_alu instid0(VALU_DEP_1)
	v_add_f32_e32 v37, v41, v37
	s_and_not1_saveexec_b32 s3, s13
	s_cbranch_execnz .LBB145_76
	s_branch .LBB145_77
.LBB145_75:                             ;   in Loop: Header=BB145_57 Depth=1
	s_and_not1_saveexec_b32 s3, s13
.LBB145_76:                             ;   in Loop: Header=BB145_57 Depth=1
	v_mul_f32_e64 v0, 0x3f22f983, |v11|
	s_delay_alu instid0(VALU_DEP_1) | instskip(NEXT) | instid1(VALU_DEP_1)
	v_rndne_f32_e32 v0, v0
	v_fma_f32 v37, 0xbfc90fda, v0, |v11|
	v_cvt_i32_f32_e32 v38, v0
	s_delay_alu instid0(VALU_DEP_2) | instskip(NEXT) | instid1(VALU_DEP_1)
	v_fmac_f32_e32 v37, 0xb3a22168, v0
	v_fmac_f32_e32 v37, 0xa7c234c4, v0
.LBB145_77:                             ;   in Loop: Header=BB145_57 Depth=1
	s_or_b32 exec_lo, exec_lo, s3
	v_mul_f32_e32 v34, 0.5, v9
                                        ; implicit-def: $vgpr41
                                        ; implicit-def: $vgpr39
	s_mov_b32 s4, exec_lo
	s_delay_alu instid0(VALU_DEP_1)
	v_and_b32_e32 v36, 0x7fffffff, v34
	v_cmpx_ngt_f32_e64 0x48000000, |v34|
	s_xor_b32 s13, exec_lo, s4
	s_cbranch_execz .LBB145_79
; %bb.78:                               ;   in Loop: Header=BB145_57 Depth=1
	s_delay_alu instid0(VALU_DEP_2) | instskip(SKIP_1) | instid1(VALU_DEP_2)
	v_and_or_b32 v47, v36, s7, 0x800000
	v_lshrrev_b32_e32 v44, 23, v36
	v_mad_u64_u32 v[39:40], null, 0xfe5163ab, v47, 0
	s_delay_alu instid0(VALU_DEP_2) | instskip(NEXT) | instid1(VALU_DEP_1)
	v_add_nc_u32_e32 v45, 0xffffff88, v44
	v_cmp_lt_u32_e64 s3, 63, v45
	s_delay_alu instid0(VALU_DEP_3) | instskip(NEXT) | instid1(VALU_DEP_2)
	v_mov_b32_e32 v0, v40
	v_cndmask_b32_e64 v46, 0, 0xffffffc0, s3
	s_delay_alu instid0(VALU_DEP_2) | instskip(NEXT) | instid1(VALU_DEP_2)
	v_mad_u64_u32 v[40:41], null, 0x3c439041, v47, v[0:1]
	v_add_nc_u32_e32 v46, v46, v45
	s_delay_alu instid0(VALU_DEP_2) | instskip(NEXT) | instid1(VALU_DEP_2)
	v_mov_b32_e32 v0, v41
	v_cmp_lt_u32_e64 s4, 31, v46
	s_delay_alu instid0(VALU_DEP_2) | instskip(NEXT) | instid1(VALU_DEP_2)
	v_mad_u64_u32 v[41:42], null, 0xdb629599, v47, v[0:1]
	v_cndmask_b32_e64 v48, 0, 0xffffffe0, s4
	s_delay_alu instid0(VALU_DEP_1) | instskip(NEXT) | instid1(VALU_DEP_3)
	v_add_nc_u32_e32 v48, v48, v46
	v_mov_b32_e32 v0, v42
	s_delay_alu instid0(VALU_DEP_4) | instskip(NEXT) | instid1(VALU_DEP_3)
	v_cndmask_b32_e64 v39, v41, v39, s3
	v_cmp_lt_u32_e64 s5, 31, v48
	s_delay_alu instid0(VALU_DEP_3) | instskip(NEXT) | instid1(VALU_DEP_1)
	v_mad_u64_u32 v[42:43], null, 0xf534ddc0, v47, v[0:1]
	v_mov_b32_e32 v0, v43
	s_delay_alu instid0(VALU_DEP_2) | instskip(NEXT) | instid1(VALU_DEP_2)
	v_cndmask_b32_e64 v40, v42, v40, s3
	v_mad_u64_u32 v[43:44], null, 0xfc2757d1, v47, v[0:1]
	s_delay_alu instid0(VALU_DEP_2) | instskip(NEXT) | instid1(VALU_DEP_2)
	v_cndmask_b32_e64 v39, v40, v39, s4
	v_mov_b32_e32 v0, v44
	s_delay_alu instid0(VALU_DEP_1) | instskip(NEXT) | instid1(VALU_DEP_1)
	v_mad_u64_u32 v[44:45], null, 0x4e441529, v47, v[0:1]
	v_mov_b32_e32 v0, v45
	s_delay_alu instid0(VALU_DEP_1) | instskip(SKIP_1) | instid1(VALU_DEP_4)
	v_mad_u64_u32 v[45:46], null, 0xa2f9836e, v47, v[0:1]
	v_cndmask_b32_e64 v0, 0, 0xffffffe0, s5
	v_cndmask_b32_e64 v47, v44, v42, s3
	s_delay_alu instid0(VALU_DEP_2) | instskip(NEXT) | instid1(VALU_DEP_4)
	v_add_nc_u32_e32 v0, v0, v48
	v_cndmask_b32_e64 v45, v45, v43, s3
	v_cndmask_b32_e64 v44, v46, v44, s3
	;; [unrolled: 1-line block ×3, first 2 shown]
	s_delay_alu instid0(VALU_DEP_4) | instskip(NEXT) | instid1(VALU_DEP_4)
	v_sub_nc_u32_e32 v46, 32, v0
	v_cndmask_b32_e64 v42, v45, v47, s4
	s_delay_alu instid0(VALU_DEP_4) | instskip(NEXT) | instid1(VALU_DEP_4)
	v_cndmask_b32_e64 v44, v44, v45, s4
	v_cndmask_b32_e64 v45, v47, v43, s4
	;; [unrolled: 1-line block ×3, first 2 shown]
	v_cmp_eq_u32_e64 s6, 0, v0
	s_delay_alu instid0(VALU_DEP_4) | instskip(NEXT) | instid1(VALU_DEP_4)
	v_cndmask_b32_e64 v44, v44, v42, s5
	v_cndmask_b32_e64 v42, v42, v45, s5
	s_delay_alu instid0(VALU_DEP_4) | instskip(SKIP_1) | instid1(VALU_DEP_3)
	v_cndmask_b32_e64 v45, v45, v43, s5
	v_cndmask_b32_e64 v39, v43, v39, s5
	v_alignbit_b32 v47, v44, v42, v46
	s_delay_alu instid0(VALU_DEP_3) | instskip(NEXT) | instid1(VALU_DEP_3)
	v_alignbit_b32 v48, v42, v45, v46
	v_alignbit_b32 v46, v45, v39, v46
	s_delay_alu instid0(VALU_DEP_3) | instskip(NEXT) | instid1(VALU_DEP_3)
	v_cndmask_b32_e64 v0, v47, v44, s6
	v_cndmask_b32_e64 v41, v48, v42, s6
	s_delay_alu instid0(VALU_DEP_3) | instskip(NEXT) | instid1(VALU_DEP_3)
	v_cndmask_b32_e64 v45, v46, v45, s6
	v_bfe_u32 v42, v0, 29, 1
	s_delay_alu instid0(VALU_DEP_3) | instskip(NEXT) | instid1(VALU_DEP_3)
	v_alignbit_b32 v40, v0, v41, 30
	v_alignbit_b32 v41, v41, v45, 30
	;; [unrolled: 1-line block ×3, first 2 shown]
	s_delay_alu instid0(VALU_DEP_4) | instskip(NEXT) | instid1(VALU_DEP_1)
	v_sub_nc_u32_e32 v44, 0, v42
	v_xor_b32_e32 v43, v40, v44
	v_cmp_ne_u32_e64 s3, v40, v44
	v_xor_b32_e32 v41, v41, v44
	v_xor_b32_e32 v39, v39, v44
	s_delay_alu instid0(VALU_DEP_4) | instskip(NEXT) | instid1(VALU_DEP_1)
	v_clz_i32_u32_e32 v47, v43
	v_add_nc_u32_e32 v46, 1, v47
	s_delay_alu instid0(VALU_DEP_1) | instskip(NEXT) | instid1(VALU_DEP_1)
	v_cndmask_b32_e64 v40, 33, v46, s3
	v_sub_nc_u32_e32 v45, 32, v40
	s_delay_alu instid0(VALU_DEP_1) | instskip(SKIP_3) | instid1(VALU_DEP_3)
	v_alignbit_b32 v43, v43, v41, v45
	v_alignbit_b32 v39, v41, v39, v45
	v_lshrrev_b32_e32 v41, 29, v0
	v_lshrrev_b32_e32 v0, 30, v0
	v_alignbit_b32 v44, v43, v39, 9
	s_delay_alu instid0(VALU_DEP_3) | instskip(SKIP_1) | instid1(VALU_DEP_3)
	v_lshlrev_b32_e32 v41, 31, v41
	v_alignbit_b32 v43, v40, v43, 9
	v_clz_i32_u32_e32 v45, v44
	s_delay_alu instid0(VALU_DEP_2) | instskip(SKIP_1) | instid1(VALU_DEP_3)
	v_or_b32_e32 v43, v43, v41
	v_or_b32_e32 v41, 0x33800000, v41
	v_min_u32_e32 v45, 32, v45
	s_delay_alu instid0(VALU_DEP_3) | instskip(NEXT) | instid1(VALU_DEP_2)
	v_xor_b32_e32 v43, 1.0, v43
	v_sub_nc_u32_e32 v46, 31, v45
	v_add_lshl_u32 v40, v45, v40, 23
	s_delay_alu instid0(VALU_DEP_3) | instskip(NEXT) | instid1(VALU_DEP_3)
	v_mul_f32_e32 v45, 0x3fc90fda, v43
	v_alignbit_b32 v39, v44, v39, v46
	s_delay_alu instid0(VALU_DEP_3) | instskip(NEXT) | instid1(VALU_DEP_3)
	v_sub_nc_u32_e32 v40, v41, v40
	v_fma_f32 v41, 0x3fc90fda, v43, -v45
	s_delay_alu instid0(VALU_DEP_3) | instskip(NEXT) | instid1(VALU_DEP_2)
	v_lshrrev_b32_e32 v39, 9, v39
	v_fmac_f32_e32 v41, 0x33a22168, v43
	s_delay_alu instid0(VALU_DEP_2) | instskip(NEXT) | instid1(VALU_DEP_1)
	v_or_b32_e32 v39, v40, v39
	v_fmac_f32_e32 v41, 0x3fc90fda, v39
	s_delay_alu instid0(VALU_DEP_1)
	v_add_f32_e32 v39, v45, v41
	v_add_nc_u32_e32 v41, v42, v0
.LBB145_79:                             ;   in Loop: Header=BB145_57 Depth=1
	s_and_not1_saveexec_b32 s3, s13
; %bb.80:                               ;   in Loop: Header=BB145_57 Depth=1
	v_mul_f32_e64 v0, 0x3f22f983, |v34|
	s_delay_alu instid0(VALU_DEP_1) | instskip(NEXT) | instid1(VALU_DEP_1)
	v_rndne_f32_e32 v0, v0
	v_fma_f32 v39, 0xbfc90fda, v0, |v34|
	v_cvt_i32_f32_e32 v41, v0
	s_delay_alu instid0(VALU_DEP_2) | instskip(NEXT) | instid1(VALU_DEP_1)
	v_fmac_f32_e32 v39, 0xb3a22168, v0
	v_fmac_f32_e32 v39, 0xa7c234c4, v0
; %bb.81:                               ;   in Loop: Header=BB145_57 Depth=1
	s_or_b32 exec_lo, exec_lo, s3
	v_and_b32_e32 v40, 0x7fffffff, v9
	v_cmp_ngt_f32_e64 s13, 0x48000000, |v9|
                                        ; implicit-def: $vgpr44
                                        ; implicit-def: $vgpr42
	s_delay_alu instid0(VALU_DEP_1) | instskip(NEXT) | instid1(SALU_CYCLE_1)
	s_and_saveexec_b32 s3, s13
	s_xor_b32 s25, exec_lo, s3
	s_cbranch_execz .LBB145_83
; %bb.82:                               ;   in Loop: Header=BB145_57 Depth=1
	v_lshrrev_b32_e32 v47, 23, v40
	v_and_or_b32 v50, v40, s7, 0x800000
	s_delay_alu instid0(VALU_DEP_2) | instskip(NEXT) | instid1(VALU_DEP_2)
	v_add_nc_u32_e32 v48, 0xffffff88, v47
	v_mad_u64_u32 v[42:43], null, 0xfe5163ab, v50, 0
	s_delay_alu instid0(VALU_DEP_2) | instskip(NEXT) | instid1(VALU_DEP_1)
	v_cmp_lt_u32_e64 s3, 63, v48
	v_cndmask_b32_e64 v49, 0, 0xffffffc0, s3
	s_delay_alu instid0(VALU_DEP_1) | instskip(NEXT) | instid1(VALU_DEP_1)
	v_dual_mov_b32 v0, v43 :: v_dual_add_nc_u32 v49, v49, v48
	v_mad_u64_u32 v[43:44], null, 0x3c439041, v50, v[0:1]
	s_delay_alu instid0(VALU_DEP_2) | instskip(NEXT) | instid1(VALU_DEP_1)
	v_cmp_lt_u32_e64 s4, 31, v49
	v_cndmask_b32_e64 v51, 0, 0xffffffe0, s4
	s_delay_alu instid0(VALU_DEP_1) | instskip(NEXT) | instid1(VALU_DEP_1)
	v_dual_mov_b32 v0, v44 :: v_dual_add_nc_u32 v51, v51, v49
	v_mad_u64_u32 v[44:45], null, 0xdb629599, v50, v[0:1]
	s_delay_alu instid0(VALU_DEP_2) | instskip(NEXT) | instid1(VALU_DEP_2)
	v_cmp_lt_u32_e64 s5, 31, v51
	v_mov_b32_e32 v0, v45
	s_delay_alu instid0(VALU_DEP_3) | instskip(NEXT) | instid1(VALU_DEP_2)
	v_cndmask_b32_e64 v42, v44, v42, s3
	v_mad_u64_u32 v[45:46], null, 0xf534ddc0, v50, v[0:1]
	s_delay_alu instid0(VALU_DEP_1) | instskip(NEXT) | instid1(VALU_DEP_2)
	v_mov_b32_e32 v0, v46
	v_cndmask_b32_e64 v43, v45, v43, s3
	s_delay_alu instid0(VALU_DEP_2) | instskip(NEXT) | instid1(VALU_DEP_2)
	v_mad_u64_u32 v[46:47], null, 0xfc2757d1, v50, v[0:1]
	v_cndmask_b32_e64 v42, v43, v42, s4
	s_delay_alu instid0(VALU_DEP_2) | instskip(NEXT) | instid1(VALU_DEP_1)
	v_mov_b32_e32 v0, v47
	v_mad_u64_u32 v[47:48], null, 0x4e441529, v50, v[0:1]
	s_delay_alu instid0(VALU_DEP_1) | instskip(NEXT) | instid1(VALU_DEP_1)
	v_mov_b32_e32 v0, v48
	v_mad_u64_u32 v[48:49], null, 0xa2f9836e, v50, v[0:1]
	v_cndmask_b32_e64 v0, 0, 0xffffffe0, s5
	s_delay_alu instid0(VALU_DEP_4) | instskip(NEXT) | instid1(VALU_DEP_2)
	v_cndmask_b32_e64 v50, v47, v45, s3
	v_add_nc_u32_e32 v0, v0, v51
	s_delay_alu instid0(VALU_DEP_4) | instskip(SKIP_2) | instid1(VALU_DEP_4)
	v_cndmask_b32_e64 v48, v48, v46, s3
	v_cndmask_b32_e64 v47, v49, v47, s3
	;; [unrolled: 1-line block ×3, first 2 shown]
	v_sub_nc_u32_e32 v49, 32, v0
	s_delay_alu instid0(VALU_DEP_4) | instskip(NEXT) | instid1(VALU_DEP_4)
	v_cndmask_b32_e64 v45, v48, v50, s4
	v_cndmask_b32_e64 v47, v47, v48, s4
	s_delay_alu instid0(VALU_DEP_4) | instskip(SKIP_2) | instid1(VALU_DEP_4)
	v_cndmask_b32_e64 v48, v50, v46, s4
	v_cndmask_b32_e64 v46, v46, v43, s4
	v_cmp_eq_u32_e64 s6, 0, v0
	v_cndmask_b32_e64 v47, v47, v45, s5
	s_delay_alu instid0(VALU_DEP_4) | instskip(NEXT) | instid1(VALU_DEP_4)
	v_cndmask_b32_e64 v45, v45, v48, s5
	v_cndmask_b32_e64 v48, v48, v46, s5
	;; [unrolled: 1-line block ×3, first 2 shown]
	s_delay_alu instid0(VALU_DEP_3) | instskip(NEXT) | instid1(VALU_DEP_3)
	v_alignbit_b32 v50, v47, v45, v49
	v_alignbit_b32 v51, v45, v48, v49
	s_delay_alu instid0(VALU_DEP_3) | instskip(NEXT) | instid1(VALU_DEP_3)
	v_alignbit_b32 v49, v48, v42, v49
	v_cndmask_b32_e64 v0, v50, v47, s6
	s_delay_alu instid0(VALU_DEP_3) | instskip(NEXT) | instid1(VALU_DEP_3)
	v_cndmask_b32_e64 v44, v51, v45, s6
	v_cndmask_b32_e64 v48, v49, v48, s6
	s_delay_alu instid0(VALU_DEP_3) | instskip(NEXT) | instid1(VALU_DEP_3)
	v_bfe_u32 v45, v0, 29, 1
	v_alignbit_b32 v43, v0, v44, 30
	s_delay_alu instid0(VALU_DEP_3) | instskip(SKIP_1) | instid1(VALU_DEP_4)
	v_alignbit_b32 v44, v44, v48, 30
	v_alignbit_b32 v42, v48, v42, 30
	v_sub_nc_u32_e32 v47, 0, v45
	s_delay_alu instid0(VALU_DEP_1) | instskip(SKIP_3) | instid1(VALU_DEP_4)
	v_xor_b32_e32 v46, v43, v47
	v_cmp_ne_u32_e64 s3, v43, v47
	v_xor_b32_e32 v44, v44, v47
	v_xor_b32_e32 v42, v42, v47
	v_clz_i32_u32_e32 v50, v46
	s_delay_alu instid0(VALU_DEP_1) | instskip(NEXT) | instid1(VALU_DEP_1)
	v_add_nc_u32_e32 v49, 1, v50
	v_cndmask_b32_e64 v43, 33, v49, s3
	s_delay_alu instid0(VALU_DEP_1) | instskip(NEXT) | instid1(VALU_DEP_1)
	v_sub_nc_u32_e32 v48, 32, v43
	v_alignbit_b32 v46, v46, v44, v48
	v_alignbit_b32 v42, v44, v42, v48
	v_lshrrev_b32_e32 v44, 29, v0
	v_lshrrev_b32_e32 v0, 30, v0
	s_delay_alu instid0(VALU_DEP_3) | instskip(NEXT) | instid1(VALU_DEP_3)
	v_alignbit_b32 v47, v46, v42, 9
	v_lshlrev_b32_e32 v44, 31, v44
	v_alignbit_b32 v46, v43, v46, 9
	s_delay_alu instid0(VALU_DEP_3) | instskip(NEXT) | instid1(VALU_DEP_2)
	v_clz_i32_u32_e32 v48, v47
	v_or_b32_e32 v46, v46, v44
	v_or_b32_e32 v44, 0x33800000, v44
	s_delay_alu instid0(VALU_DEP_3) | instskip(NEXT) | instid1(VALU_DEP_3)
	v_min_u32_e32 v48, 32, v48
	v_xor_b32_e32 v46, 1.0, v46
	s_delay_alu instid0(VALU_DEP_2) | instskip(SKIP_1) | instid1(VALU_DEP_3)
	v_sub_nc_u32_e32 v49, 31, v48
	v_add_lshl_u32 v43, v48, v43, 23
	v_mul_f32_e32 v48, 0x3fc90fda, v46
	s_delay_alu instid0(VALU_DEP_3) | instskip(NEXT) | instid1(VALU_DEP_3)
	v_alignbit_b32 v42, v47, v42, v49
	v_sub_nc_u32_e32 v43, v44, v43
	s_delay_alu instid0(VALU_DEP_3) | instskip(NEXT) | instid1(VALU_DEP_3)
	v_fma_f32 v44, 0x3fc90fda, v46, -v48
	v_lshrrev_b32_e32 v42, 9, v42
	s_delay_alu instid0(VALU_DEP_2) | instskip(NEXT) | instid1(VALU_DEP_2)
	v_fmac_f32_e32 v44, 0x33a22168, v46
	v_or_b32_e32 v42, v43, v42
	s_delay_alu instid0(VALU_DEP_1) | instskip(NEXT) | instid1(VALU_DEP_1)
	v_fmac_f32_e32 v44, 0x3fc90fda, v42
	v_add_f32_e32 v42, v48, v44
	v_add_nc_u32_e32 v44, v45, v0
	s_and_not1_saveexec_b32 s3, s25
	s_branch .LBB145_84
.LBB145_83:                             ;   in Loop: Header=BB145_57 Depth=1
	s_and_not1_saveexec_b32 s3, s25
.LBB145_84:                             ;   in Loop: Header=BB145_57 Depth=1
	v_mul_f32_e64 v0, 0x3f22f983, |v9|
	s_delay_alu instid0(VALU_DEP_1) | instskip(NEXT) | instid1(VALU_DEP_1)
	v_rndne_f32_e32 v0, v0
	v_fma_f32 v42, 0xbfc90fda, v0, |v9|
	v_cvt_i32_f32_e32 v44, v0
	s_delay_alu instid0(VALU_DEP_2) | instskip(NEXT) | instid1(VALU_DEP_1)
	v_fmac_f32_e32 v42, 0xb3a22168, v0
	v_fmac_f32_e32 v42, 0xa7c234c4, v0
; %bb.85:                               ;   in Loop: Header=BB145_57 Depth=1
	s_or_b32 exec_lo, exec_lo, s3
                                        ; implicit-def: $vgpr47
                                        ; implicit-def: $vgpr46
	s_and_saveexec_b32 s3, s13
	s_delay_alu instid0(SALU_CYCLE_1)
	s_xor_b32 s13, exec_lo, s3
	s_cbranch_execz .LBB145_87
; %bb.86:                               ;   in Loop: Header=BB145_57 Depth=1
	v_and_or_b32 v43, v40, s7, 0x800000
	v_lshrrev_b32_e32 v50, 23, v40
	s_delay_alu instid0(VALU_DEP_2) | instskip(NEXT) | instid1(VALU_DEP_2)
	v_mad_u64_u32 v[45:46], null, 0xfe5163ab, v43, 0
	v_add_nc_u32_e32 v51, 0xffffff88, v50
	s_delay_alu instid0(VALU_DEP_1) | instskip(NEXT) | instid1(VALU_DEP_3)
	v_cmp_lt_u32_e64 s3, 63, v51
	v_mov_b32_e32 v0, v46
	s_delay_alu instid0(VALU_DEP_2) | instskip(NEXT) | instid1(VALU_DEP_2)
	v_cndmask_b32_e64 v52, 0, 0xffffffc0, s3
	v_mad_u64_u32 v[46:47], null, 0x3c439041, v43, v[0:1]
	s_delay_alu instid0(VALU_DEP_2) | instskip(NEXT) | instid1(VALU_DEP_1)
	v_add_nc_u32_e32 v52, v52, v51
	v_cmp_lt_u32_e64 s4, 31, v52
	s_delay_alu instid0(VALU_DEP_1) | instskip(NEXT) | instid1(VALU_DEP_1)
	v_cndmask_b32_e64 v53, 0, 0xffffffe0, s4
	v_dual_mov_b32 v0, v47 :: v_dual_add_nc_u32 v53, v53, v52
	s_delay_alu instid0(VALU_DEP_1) | instskip(NEXT) | instid1(VALU_DEP_2)
	v_mad_u64_u32 v[47:48], null, 0xdb629599, v43, v[0:1]
	v_cmp_lt_u32_e64 s5, 31, v53
	s_delay_alu instid0(VALU_DEP_2) | instskip(NEXT) | instid1(VALU_DEP_3)
	v_mov_b32_e32 v0, v48
	v_cndmask_b32_e64 v45, v47, v45, s3
	s_delay_alu instid0(VALU_DEP_2) | instskip(NEXT) | instid1(VALU_DEP_1)
	v_mad_u64_u32 v[48:49], null, 0xf534ddc0, v43, v[0:1]
	v_mov_b32_e32 v0, v49
	s_delay_alu instid0(VALU_DEP_2) | instskip(NEXT) | instid1(VALU_DEP_2)
	v_cndmask_b32_e64 v46, v48, v46, s3
	v_mad_u64_u32 v[49:50], null, 0xfc2757d1, v43, v[0:1]
	s_delay_alu instid0(VALU_DEP_2) | instskip(NEXT) | instid1(VALU_DEP_2)
	v_cndmask_b32_e64 v45, v46, v45, s4
	v_mov_b32_e32 v0, v50
	s_delay_alu instid0(VALU_DEP_1) | instskip(NEXT) | instid1(VALU_DEP_1)
	v_mad_u64_u32 v[50:51], null, 0x4e441529, v43, v[0:1]
	v_mov_b32_e32 v0, v51
	s_delay_alu instid0(VALU_DEP_1) | instskip(SKIP_1) | instid1(VALU_DEP_4)
	v_mad_u64_u32 v[51:52], null, 0xa2f9836e, v43, v[0:1]
	v_cndmask_b32_e64 v0, 0, 0xffffffe0, s5
	v_cndmask_b32_e64 v43, v50, v48, s3
	s_delay_alu instid0(VALU_DEP_2) | instskip(NEXT) | instid1(VALU_DEP_4)
	v_add_nc_u32_e32 v0, v0, v53
	v_cndmask_b32_e64 v51, v51, v49, s3
	v_cndmask_b32_e64 v50, v52, v50, s3
	;; [unrolled: 1-line block ×3, first 2 shown]
	s_delay_alu instid0(VALU_DEP_4) | instskip(NEXT) | instid1(VALU_DEP_4)
	v_cmp_eq_u32_e64 s6, 0, v0
	v_cndmask_b32_e64 v48, v51, v43, s4
	s_delay_alu instid0(VALU_DEP_4) | instskip(NEXT) | instid1(VALU_DEP_4)
	v_cndmask_b32_e64 v50, v50, v51, s4
	v_cndmask_b32_e64 v43, v43, v49, s4
	v_sub_nc_u32_e32 v51, 32, v0
	v_cndmask_b32_e64 v49, v49, v46, s4
	s_delay_alu instid0(VALU_DEP_4) | instskip(NEXT) | instid1(VALU_DEP_4)
	v_cndmask_b32_e64 v50, v50, v48, s5
	v_cndmask_b32_e64 v48, v48, v43, s5
	s_delay_alu instid0(VALU_DEP_3) | instskip(SKIP_1) | instid1(VALU_DEP_3)
	v_cndmask_b32_e64 v43, v43, v49, s5
	v_cndmask_b32_e64 v45, v49, v45, s5
	v_alignbit_b32 v52, v50, v48, v51
	s_delay_alu instid0(VALU_DEP_3) | instskip(NEXT) | instid1(VALU_DEP_3)
	v_alignbit_b32 v53, v48, v43, v51
	v_alignbit_b32 v51, v43, v45, v51
	s_delay_alu instid0(VALU_DEP_3) | instskip(NEXT) | instid1(VALU_DEP_3)
	v_cndmask_b32_e64 v0, v52, v50, s6
	v_cndmask_b32_e64 v47, v53, v48, s6
	s_delay_alu instid0(VALU_DEP_3) | instskip(NEXT) | instid1(VALU_DEP_3)
	v_cndmask_b32_e64 v43, v51, v43, s6
	v_bfe_u32 v48, v0, 29, 1
	s_delay_alu instid0(VALU_DEP_3) | instskip(NEXT) | instid1(VALU_DEP_3)
	v_alignbit_b32 v46, v0, v47, 30
	v_alignbit_b32 v47, v47, v43, 30
	;; [unrolled: 1-line block ×3, first 2 shown]
	s_delay_alu instid0(VALU_DEP_4) | instskip(NEXT) | instid1(VALU_DEP_1)
	v_sub_nc_u32_e32 v50, 0, v48
	v_xor_b32_e32 v49, v46, v50
	v_cmp_ne_u32_e64 s3, v46, v50
	v_xor_b32_e32 v45, v47, v50
	v_xor_b32_e32 v43, v43, v50
	s_delay_alu instid0(VALU_DEP_4) | instskip(NEXT) | instid1(VALU_DEP_1)
	v_clz_i32_u32_e32 v52, v49
	v_add_nc_u32_e32 v51, 1, v52
	s_delay_alu instid0(VALU_DEP_1) | instskip(NEXT) | instid1(VALU_DEP_1)
	v_cndmask_b32_e64 v46, 33, v51, s3
	v_sub_nc_u32_e32 v47, 32, v46
	s_delay_alu instid0(VALU_DEP_1) | instskip(SKIP_3) | instid1(VALU_DEP_3)
	v_alignbit_b32 v49, v49, v45, v47
	v_alignbit_b32 v43, v45, v43, v47
	v_lshrrev_b32_e32 v45, 29, v0
	v_lshrrev_b32_e32 v0, 30, v0
	v_alignbit_b32 v47, v49, v43, 9
	s_delay_alu instid0(VALU_DEP_3) | instskip(SKIP_1) | instid1(VALU_DEP_3)
	v_lshlrev_b32_e32 v45, 31, v45
	v_alignbit_b32 v49, v46, v49, 9
	v_clz_i32_u32_e32 v50, v47
	s_delay_alu instid0(VALU_DEP_2) | instskip(SKIP_1) | instid1(VALU_DEP_3)
	v_or_b32_e32 v49, v49, v45
	v_or_b32_e32 v45, 0x33800000, v45
	v_min_u32_e32 v50, 32, v50
	s_delay_alu instid0(VALU_DEP_3) | instskip(NEXT) | instid1(VALU_DEP_2)
	v_xor_b32_e32 v49, 1.0, v49
	v_sub_nc_u32_e32 v51, 31, v50
	v_add_lshl_u32 v46, v50, v46, 23
	s_delay_alu instid0(VALU_DEP_3) | instskip(NEXT) | instid1(VALU_DEP_3)
	v_mul_f32_e32 v50, 0x3fc90fda, v49
	v_alignbit_b32 v43, v47, v43, v51
	v_add_nc_u32_e32 v47, v48, v0
	s_delay_alu instid0(VALU_DEP_4) | instskip(NEXT) | instid1(VALU_DEP_4)
	v_sub_nc_u32_e32 v45, v45, v46
	v_fma_f32 v46, 0x3fc90fda, v49, -v50
	s_delay_alu instid0(VALU_DEP_4) | instskip(NEXT) | instid1(VALU_DEP_2)
	v_lshrrev_b32_e32 v43, 9, v43
	v_fmac_f32_e32 v46, 0x33a22168, v49
	s_delay_alu instid0(VALU_DEP_2) | instskip(NEXT) | instid1(VALU_DEP_1)
	v_or_b32_e32 v43, v45, v43
	v_fmac_f32_e32 v46, 0x3fc90fda, v43
	s_delay_alu instid0(VALU_DEP_1)
	v_add_f32_e32 v46, v50, v46
	s_and_not1_saveexec_b32 s3, s13
	s_cbranch_execnz .LBB145_88
	s_branch .LBB145_89
.LBB145_87:                             ;   in Loop: Header=BB145_57 Depth=1
	s_and_not1_saveexec_b32 s3, s13
.LBB145_88:                             ;   in Loop: Header=BB145_57 Depth=1
	v_mul_f32_e64 v0, 0x3f22f983, |v9|
	s_delay_alu instid0(VALU_DEP_1) | instskip(NEXT) | instid1(VALU_DEP_1)
	v_rndne_f32_e32 v0, v0
	v_fma_f32 v46, 0xbfc90fda, v0, |v9|
	v_cvt_i32_f32_e32 v47, v0
	s_delay_alu instid0(VALU_DEP_2) | instskip(NEXT) | instid1(VALU_DEP_1)
	v_fmac_f32_e32 v46, 0xb3a22168, v0
	v_fmac_f32_e32 v46, 0xa7c234c4, v0
.LBB145_89:                             ;   in Loop: Header=BB145_57 Depth=1
	s_or_b32 exec_lo, exec_lo, s3
	v_mul_f32_e32 v43, 0.5, v7
                                        ; implicit-def: $vgpr50
                                        ; implicit-def: $vgpr48
	s_mov_b32 s4, exec_lo
	s_delay_alu instid0(VALU_DEP_1)
	v_and_b32_e32 v45, 0x7fffffff, v43
	v_cmpx_ngt_f32_e64 0x48000000, |v43|
	s_xor_b32 s13, exec_lo, s4
	s_cbranch_execz .LBB145_91
; %bb.90:                               ;   in Loop: Header=BB145_57 Depth=1
	s_delay_alu instid0(VALU_DEP_2) | instskip(SKIP_1) | instid1(VALU_DEP_2)
	v_lshrrev_b32_e32 v53, 23, v45
	v_and_or_b32 v56, v45, s7, 0x800000
	v_add_nc_u32_e32 v54, 0xffffff88, v53
	s_delay_alu instid0(VALU_DEP_2) | instskip(NEXT) | instid1(VALU_DEP_2)
	v_mad_u64_u32 v[48:49], null, 0xfe5163ab, v56, 0
	v_cmp_lt_u32_e64 s3, 63, v54
	s_delay_alu instid0(VALU_DEP_1) | instskip(NEXT) | instid1(VALU_DEP_1)
	v_cndmask_b32_e64 v55, 0, 0xffffffc0, s3
	v_dual_mov_b32 v0, v49 :: v_dual_add_nc_u32 v55, v55, v54
	s_delay_alu instid0(VALU_DEP_1) | instskip(NEXT) | instid1(VALU_DEP_2)
	v_mad_u64_u32 v[49:50], null, 0x3c439041, v56, v[0:1]
	v_cmp_lt_u32_e64 s4, 31, v55
	s_delay_alu instid0(VALU_DEP_1) | instskip(NEXT) | instid1(VALU_DEP_1)
	v_cndmask_b32_e64 v57, 0, 0xffffffe0, s4
	v_dual_mov_b32 v0, v50 :: v_dual_add_nc_u32 v57, v57, v55
	s_delay_alu instid0(VALU_DEP_1) | instskip(NEXT) | instid1(VALU_DEP_2)
	v_mad_u64_u32 v[50:51], null, 0xdb629599, v56, v[0:1]
	v_cmp_lt_u32_e64 s5, 31, v57
	s_delay_alu instid0(VALU_DEP_2) | instskip(NEXT) | instid1(VALU_DEP_3)
	v_mov_b32_e32 v0, v51
	v_cndmask_b32_e64 v48, v50, v48, s3
	s_delay_alu instid0(VALU_DEP_2) | instskip(NEXT) | instid1(VALU_DEP_1)
	v_mad_u64_u32 v[51:52], null, 0xf534ddc0, v56, v[0:1]
	v_mov_b32_e32 v0, v52
	s_delay_alu instid0(VALU_DEP_2) | instskip(NEXT) | instid1(VALU_DEP_2)
	v_cndmask_b32_e64 v49, v51, v49, s3
	v_mad_u64_u32 v[52:53], null, 0xfc2757d1, v56, v[0:1]
	s_delay_alu instid0(VALU_DEP_2) | instskip(NEXT) | instid1(VALU_DEP_2)
	v_cndmask_b32_e64 v48, v49, v48, s4
	v_mov_b32_e32 v0, v53
	s_delay_alu instid0(VALU_DEP_1) | instskip(NEXT) | instid1(VALU_DEP_1)
	v_mad_u64_u32 v[53:54], null, 0x4e441529, v56, v[0:1]
	v_mov_b32_e32 v0, v54
	s_delay_alu instid0(VALU_DEP_1) | instskip(SKIP_1) | instid1(VALU_DEP_4)
	v_mad_u64_u32 v[54:55], null, 0xa2f9836e, v56, v[0:1]
	v_cndmask_b32_e64 v0, 0, 0xffffffe0, s5
	v_cndmask_b32_e64 v56, v53, v51, s3
	s_delay_alu instid0(VALU_DEP_2) | instskip(NEXT) | instid1(VALU_DEP_4)
	v_add_nc_u32_e32 v0, v0, v57
	v_cndmask_b32_e64 v54, v54, v52, s3
	v_cndmask_b32_e64 v53, v55, v53, s3
	;; [unrolled: 1-line block ×3, first 2 shown]
	s_delay_alu instid0(VALU_DEP_4) | instskip(NEXT) | instid1(VALU_DEP_4)
	v_sub_nc_u32_e32 v55, 32, v0
	v_cndmask_b32_e64 v51, v54, v56, s4
	s_delay_alu instid0(VALU_DEP_4) | instskip(NEXT) | instid1(VALU_DEP_4)
	v_cndmask_b32_e64 v53, v53, v54, s4
	v_cndmask_b32_e64 v54, v56, v52, s4
	;; [unrolled: 1-line block ×3, first 2 shown]
	v_cmp_eq_u32_e64 s6, 0, v0
	s_delay_alu instid0(VALU_DEP_4) | instskip(NEXT) | instid1(VALU_DEP_4)
	v_cndmask_b32_e64 v53, v53, v51, s5
	v_cndmask_b32_e64 v51, v51, v54, s5
	s_delay_alu instid0(VALU_DEP_4) | instskip(SKIP_1) | instid1(VALU_DEP_3)
	v_cndmask_b32_e64 v54, v54, v52, s5
	v_cndmask_b32_e64 v48, v52, v48, s5
	v_alignbit_b32 v56, v53, v51, v55
	s_delay_alu instid0(VALU_DEP_3) | instskip(NEXT) | instid1(VALU_DEP_3)
	v_alignbit_b32 v57, v51, v54, v55
	v_alignbit_b32 v55, v54, v48, v55
	s_delay_alu instid0(VALU_DEP_3) | instskip(NEXT) | instid1(VALU_DEP_3)
	v_cndmask_b32_e64 v0, v56, v53, s6
	v_cndmask_b32_e64 v50, v57, v51, s6
	s_delay_alu instid0(VALU_DEP_3) | instskip(NEXT) | instid1(VALU_DEP_3)
	v_cndmask_b32_e64 v54, v55, v54, s6
	v_bfe_u32 v51, v0, 29, 1
	s_delay_alu instid0(VALU_DEP_3) | instskip(NEXT) | instid1(VALU_DEP_3)
	v_alignbit_b32 v49, v0, v50, 30
	v_alignbit_b32 v50, v50, v54, 30
	;; [unrolled: 1-line block ×3, first 2 shown]
	s_delay_alu instid0(VALU_DEP_4) | instskip(NEXT) | instid1(VALU_DEP_1)
	v_sub_nc_u32_e32 v53, 0, v51
	v_xor_b32_e32 v52, v49, v53
	v_cmp_ne_u32_e64 s3, v49, v53
	v_xor_b32_e32 v50, v50, v53
	v_xor_b32_e32 v48, v48, v53
	s_delay_alu instid0(VALU_DEP_4) | instskip(NEXT) | instid1(VALU_DEP_1)
	v_clz_i32_u32_e32 v56, v52
	v_add_nc_u32_e32 v55, 1, v56
	s_delay_alu instid0(VALU_DEP_1) | instskip(NEXT) | instid1(VALU_DEP_1)
	v_cndmask_b32_e64 v49, 33, v55, s3
	v_sub_nc_u32_e32 v54, 32, v49
	s_delay_alu instid0(VALU_DEP_1) | instskip(SKIP_3) | instid1(VALU_DEP_3)
	v_alignbit_b32 v52, v52, v50, v54
	v_alignbit_b32 v48, v50, v48, v54
	v_lshrrev_b32_e32 v50, 29, v0
	v_lshrrev_b32_e32 v0, 30, v0
	v_alignbit_b32 v53, v52, v48, 9
	s_delay_alu instid0(VALU_DEP_3) | instskip(SKIP_1) | instid1(VALU_DEP_3)
	v_lshlrev_b32_e32 v50, 31, v50
	v_alignbit_b32 v52, v49, v52, 9
	v_clz_i32_u32_e32 v54, v53
	s_delay_alu instid0(VALU_DEP_2) | instskip(SKIP_1) | instid1(VALU_DEP_3)
	v_or_b32_e32 v52, v52, v50
	v_or_b32_e32 v50, 0x33800000, v50
	v_min_u32_e32 v54, 32, v54
	s_delay_alu instid0(VALU_DEP_3) | instskip(NEXT) | instid1(VALU_DEP_2)
	v_xor_b32_e32 v52, 1.0, v52
	v_sub_nc_u32_e32 v55, 31, v54
	v_add_lshl_u32 v49, v54, v49, 23
	s_delay_alu instid0(VALU_DEP_3) | instskip(NEXT) | instid1(VALU_DEP_3)
	v_mul_f32_e32 v54, 0x3fc90fda, v52
	v_alignbit_b32 v48, v53, v48, v55
	s_delay_alu instid0(VALU_DEP_3) | instskip(NEXT) | instid1(VALU_DEP_3)
	v_sub_nc_u32_e32 v49, v50, v49
	v_fma_f32 v50, 0x3fc90fda, v52, -v54
	s_delay_alu instid0(VALU_DEP_3) | instskip(NEXT) | instid1(VALU_DEP_2)
	v_lshrrev_b32_e32 v48, 9, v48
	v_fmac_f32_e32 v50, 0x33a22168, v52
	s_delay_alu instid0(VALU_DEP_2) | instskip(NEXT) | instid1(VALU_DEP_1)
	v_or_b32_e32 v48, v49, v48
	v_fmac_f32_e32 v50, 0x3fc90fda, v48
	s_delay_alu instid0(VALU_DEP_1)
	v_add_f32_e32 v48, v54, v50
	v_add_nc_u32_e32 v50, v51, v0
.LBB145_91:                             ;   in Loop: Header=BB145_57 Depth=1
	s_and_not1_saveexec_b32 s3, s13
; %bb.92:                               ;   in Loop: Header=BB145_57 Depth=1
	v_mul_f32_e64 v0, 0x3f22f983, |v43|
	s_delay_alu instid0(VALU_DEP_1) | instskip(NEXT) | instid1(VALU_DEP_1)
	v_rndne_f32_e32 v0, v0
	v_fma_f32 v48, 0xbfc90fda, v0, |v43|
	v_cvt_i32_f32_e32 v50, v0
	s_delay_alu instid0(VALU_DEP_2) | instskip(NEXT) | instid1(VALU_DEP_1)
	v_fmac_f32_e32 v48, 0xb3a22168, v0
	v_fmac_f32_e32 v48, 0xa7c234c4, v0
; %bb.93:                               ;   in Loop: Header=BB145_57 Depth=1
	s_or_b32 exec_lo, exec_lo, s3
	v_and_b32_e32 v49, 0x7fffffff, v7
	v_cmp_ngt_f32_e64 s13, 0x48000000, |v7|
                                        ; implicit-def: $vgpr53
                                        ; implicit-def: $vgpr51
	s_delay_alu instid0(VALU_DEP_1) | instskip(NEXT) | instid1(SALU_CYCLE_1)
	s_and_saveexec_b32 s3, s13
	s_xor_b32 s25, exec_lo, s3
	s_cbranch_execz .LBB145_95
; %bb.94:                               ;   in Loop: Header=BB145_57 Depth=1
	v_and_or_b32 v59, v49, s7, 0x800000
	v_lshrrev_b32_e32 v56, 23, v49
	s_delay_alu instid0(VALU_DEP_2) | instskip(NEXT) | instid1(VALU_DEP_2)
	v_mad_u64_u32 v[51:52], null, 0xfe5163ab, v59, 0
	v_add_nc_u32_e32 v57, 0xffffff88, v56
	s_delay_alu instid0(VALU_DEP_1) | instskip(NEXT) | instid1(VALU_DEP_3)
	v_cmp_lt_u32_e64 s3, 63, v57
	v_mov_b32_e32 v0, v52
	s_delay_alu instid0(VALU_DEP_2) | instskip(NEXT) | instid1(VALU_DEP_2)
	v_cndmask_b32_e64 v58, 0, 0xffffffc0, s3
	v_mad_u64_u32 v[52:53], null, 0x3c439041, v59, v[0:1]
	s_delay_alu instid0(VALU_DEP_2) | instskip(NEXT) | instid1(VALU_DEP_2)
	v_add_nc_u32_e32 v58, v58, v57
	v_mov_b32_e32 v0, v53
	s_delay_alu instid0(VALU_DEP_2) | instskip(NEXT) | instid1(VALU_DEP_2)
	v_cmp_lt_u32_e64 s4, 31, v58
	v_mad_u64_u32 v[53:54], null, 0xdb629599, v59, v[0:1]
	s_delay_alu instid0(VALU_DEP_2) | instskip(NEXT) | instid1(VALU_DEP_1)
	v_cndmask_b32_e64 v60, 0, 0xffffffe0, s4
	v_add_nc_u32_e32 v60, v60, v58
	s_delay_alu instid0(VALU_DEP_3) | instskip(NEXT) | instid1(VALU_DEP_4)
	v_mov_b32_e32 v0, v54
	v_cndmask_b32_e64 v51, v53, v51, s3
	s_delay_alu instid0(VALU_DEP_3) | instskip(NEXT) | instid1(VALU_DEP_3)
	v_cmp_lt_u32_e64 s5, 31, v60
	v_mad_u64_u32 v[54:55], null, 0xf534ddc0, v59, v[0:1]
	s_delay_alu instid0(VALU_DEP_1) | instskip(NEXT) | instid1(VALU_DEP_2)
	v_mov_b32_e32 v0, v55
	v_cndmask_b32_e64 v52, v54, v52, s3
	s_delay_alu instid0(VALU_DEP_2) | instskip(NEXT) | instid1(VALU_DEP_2)
	v_mad_u64_u32 v[55:56], null, 0xfc2757d1, v59, v[0:1]
	v_cndmask_b32_e64 v51, v52, v51, s4
	s_delay_alu instid0(VALU_DEP_2) | instskip(NEXT) | instid1(VALU_DEP_1)
	v_mov_b32_e32 v0, v56
	v_mad_u64_u32 v[56:57], null, 0x4e441529, v59, v[0:1]
	s_delay_alu instid0(VALU_DEP_1) | instskip(NEXT) | instid1(VALU_DEP_1)
	v_mov_b32_e32 v0, v57
	v_mad_u64_u32 v[57:58], null, 0xa2f9836e, v59, v[0:1]
	v_cndmask_b32_e64 v0, 0, 0xffffffe0, s5
	s_delay_alu instid0(VALU_DEP_4) | instskip(NEXT) | instid1(VALU_DEP_2)
	v_cndmask_b32_e64 v59, v56, v54, s3
	v_add_nc_u32_e32 v0, v0, v60
	s_delay_alu instid0(VALU_DEP_4) | instskip(SKIP_2) | instid1(VALU_DEP_4)
	v_cndmask_b32_e64 v57, v57, v55, s3
	v_cndmask_b32_e64 v56, v58, v56, s3
	;; [unrolled: 1-line block ×3, first 2 shown]
	v_sub_nc_u32_e32 v58, 32, v0
	s_delay_alu instid0(VALU_DEP_4) | instskip(NEXT) | instid1(VALU_DEP_4)
	v_cndmask_b32_e64 v54, v57, v59, s4
	v_cndmask_b32_e64 v56, v56, v57, s4
	s_delay_alu instid0(VALU_DEP_4) | instskip(SKIP_2) | instid1(VALU_DEP_4)
	v_cndmask_b32_e64 v57, v59, v55, s4
	v_cndmask_b32_e64 v55, v55, v52, s4
	v_cmp_eq_u32_e64 s6, 0, v0
	v_cndmask_b32_e64 v56, v56, v54, s5
	s_delay_alu instid0(VALU_DEP_4) | instskip(NEXT) | instid1(VALU_DEP_4)
	v_cndmask_b32_e64 v54, v54, v57, s5
	v_cndmask_b32_e64 v57, v57, v55, s5
	;; [unrolled: 1-line block ×3, first 2 shown]
	s_delay_alu instid0(VALU_DEP_3) | instskip(NEXT) | instid1(VALU_DEP_3)
	v_alignbit_b32 v59, v56, v54, v58
	v_alignbit_b32 v60, v54, v57, v58
	s_delay_alu instid0(VALU_DEP_3) | instskip(NEXT) | instid1(VALU_DEP_3)
	v_alignbit_b32 v58, v57, v51, v58
	v_cndmask_b32_e64 v0, v59, v56, s6
	s_delay_alu instid0(VALU_DEP_3) | instskip(NEXT) | instid1(VALU_DEP_3)
	v_cndmask_b32_e64 v53, v60, v54, s6
	v_cndmask_b32_e64 v57, v58, v57, s6
	s_delay_alu instid0(VALU_DEP_3) | instskip(NEXT) | instid1(VALU_DEP_3)
	v_bfe_u32 v54, v0, 29, 1
	v_alignbit_b32 v52, v0, v53, 30
	s_delay_alu instid0(VALU_DEP_3) | instskip(SKIP_1) | instid1(VALU_DEP_4)
	v_alignbit_b32 v53, v53, v57, 30
	v_alignbit_b32 v51, v57, v51, 30
	v_sub_nc_u32_e32 v56, 0, v54
	s_delay_alu instid0(VALU_DEP_1) | instskip(SKIP_3) | instid1(VALU_DEP_4)
	v_xor_b32_e32 v55, v52, v56
	v_cmp_ne_u32_e64 s3, v52, v56
	v_xor_b32_e32 v53, v53, v56
	v_xor_b32_e32 v51, v51, v56
	v_clz_i32_u32_e32 v59, v55
	s_delay_alu instid0(VALU_DEP_1) | instskip(NEXT) | instid1(VALU_DEP_1)
	v_add_nc_u32_e32 v58, 1, v59
	v_cndmask_b32_e64 v52, 33, v58, s3
	s_delay_alu instid0(VALU_DEP_1) | instskip(NEXT) | instid1(VALU_DEP_1)
	v_sub_nc_u32_e32 v57, 32, v52
	v_alignbit_b32 v55, v55, v53, v57
	v_alignbit_b32 v51, v53, v51, v57
	v_lshrrev_b32_e32 v53, 29, v0
	v_lshrrev_b32_e32 v0, 30, v0
	s_delay_alu instid0(VALU_DEP_3) | instskip(NEXT) | instid1(VALU_DEP_3)
	v_alignbit_b32 v56, v55, v51, 9
	v_lshlrev_b32_e32 v53, 31, v53
	v_alignbit_b32 v55, v52, v55, 9
	s_delay_alu instid0(VALU_DEP_3) | instskip(NEXT) | instid1(VALU_DEP_2)
	v_clz_i32_u32_e32 v57, v56
	v_or_b32_e32 v55, v55, v53
	v_or_b32_e32 v53, 0x33800000, v53
	s_delay_alu instid0(VALU_DEP_3) | instskip(NEXT) | instid1(VALU_DEP_3)
	v_min_u32_e32 v57, 32, v57
	v_xor_b32_e32 v55, 1.0, v55
	s_delay_alu instid0(VALU_DEP_2) | instskip(SKIP_1) | instid1(VALU_DEP_3)
	v_sub_nc_u32_e32 v58, 31, v57
	v_add_lshl_u32 v52, v57, v52, 23
	v_mul_f32_e32 v57, 0x3fc90fda, v55
	s_delay_alu instid0(VALU_DEP_3) | instskip(NEXT) | instid1(VALU_DEP_3)
	v_alignbit_b32 v51, v56, v51, v58
	v_sub_nc_u32_e32 v52, v53, v52
	s_delay_alu instid0(VALU_DEP_3) | instskip(NEXT) | instid1(VALU_DEP_3)
	v_fma_f32 v53, 0x3fc90fda, v55, -v57
	v_lshrrev_b32_e32 v51, 9, v51
	s_delay_alu instid0(VALU_DEP_2) | instskip(NEXT) | instid1(VALU_DEP_2)
	v_fmac_f32_e32 v53, 0x33a22168, v55
	v_or_b32_e32 v51, v52, v51
	s_delay_alu instid0(VALU_DEP_1) | instskip(NEXT) | instid1(VALU_DEP_1)
	v_fmac_f32_e32 v53, 0x3fc90fda, v51
	v_add_f32_e32 v51, v57, v53
	v_add_nc_u32_e32 v53, v54, v0
	s_and_not1_saveexec_b32 s3, s25
	s_branch .LBB145_96
.LBB145_95:                             ;   in Loop: Header=BB145_57 Depth=1
	s_and_not1_saveexec_b32 s3, s25
.LBB145_96:                             ;   in Loop: Header=BB145_57 Depth=1
	v_mul_f32_e64 v0, 0x3f22f983, |v7|
	s_delay_alu instid0(VALU_DEP_1) | instskip(NEXT) | instid1(VALU_DEP_1)
	v_rndne_f32_e32 v0, v0
	v_fma_f32 v51, 0xbfc90fda, v0, |v7|
	v_cvt_i32_f32_e32 v53, v0
	s_delay_alu instid0(VALU_DEP_2) | instskip(NEXT) | instid1(VALU_DEP_1)
	v_fmac_f32_e32 v51, 0xb3a22168, v0
	v_fmac_f32_e32 v51, 0xa7c234c4, v0
; %bb.97:                               ;   in Loop: Header=BB145_57 Depth=1
	s_or_b32 exec_lo, exec_lo, s3
                                        ; implicit-def: $vgpr56
                                        ; implicit-def: $vgpr55
	s_and_saveexec_b32 s3, s13
	s_delay_alu instid0(SALU_CYCLE_1)
	s_xor_b32 s13, exec_lo, s3
	s_cbranch_execz .LBB145_99
; %bb.98:                               ;   in Loop: Header=BB145_57 Depth=1
	v_lshrrev_b32_e32 v59, 23, v49
	v_and_or_b32 v52, v49, s7, 0x800000
	s_delay_alu instid0(VALU_DEP_2) | instskip(NEXT) | instid1(VALU_DEP_2)
	v_add_nc_u32_e32 v60, 0xffffff88, v59
	v_mad_u64_u32 v[54:55], null, 0xfe5163ab, v52, 0
	s_delay_alu instid0(VALU_DEP_2) | instskip(NEXT) | instid1(VALU_DEP_1)
	v_cmp_lt_u32_e64 s3, 63, v60
	v_cndmask_b32_e64 v61, 0, 0xffffffc0, s3
	s_delay_alu instid0(VALU_DEP_1) | instskip(NEXT) | instid1(VALU_DEP_1)
	v_dual_mov_b32 v0, v55 :: v_dual_add_nc_u32 v61, v61, v60
	v_mad_u64_u32 v[55:56], null, 0x3c439041, v52, v[0:1]
	s_delay_alu instid0(VALU_DEP_2) | instskip(NEXT) | instid1(VALU_DEP_2)
	v_cmp_lt_u32_e64 s4, 31, v61
	v_mov_b32_e32 v0, v56
	s_delay_alu instid0(VALU_DEP_2) | instskip(NEXT) | instid1(VALU_DEP_2)
	v_cndmask_b32_e64 v62, 0, 0xffffffe0, s4
	v_mad_u64_u32 v[56:57], null, 0xdb629599, v52, v[0:1]
	s_delay_alu instid0(VALU_DEP_2) | instskip(NEXT) | instid1(VALU_DEP_1)
	v_add_nc_u32_e32 v62, v62, v61
	v_cmp_lt_u32_e64 s5, 31, v62
	s_delay_alu instid0(VALU_DEP_3) | instskip(NEXT) | instid1(VALU_DEP_4)
	v_mov_b32_e32 v0, v57
	v_cndmask_b32_e64 v54, v56, v54, s3
	s_delay_alu instid0(VALU_DEP_2) | instskip(NEXT) | instid1(VALU_DEP_1)
	v_mad_u64_u32 v[57:58], null, 0xf534ddc0, v52, v[0:1]
	v_mov_b32_e32 v0, v58
	s_delay_alu instid0(VALU_DEP_2) | instskip(NEXT) | instid1(VALU_DEP_2)
	v_cndmask_b32_e64 v55, v57, v55, s3
	v_mad_u64_u32 v[58:59], null, 0xfc2757d1, v52, v[0:1]
	s_delay_alu instid0(VALU_DEP_2) | instskip(NEXT) | instid1(VALU_DEP_2)
	v_cndmask_b32_e64 v54, v55, v54, s4
	v_mov_b32_e32 v0, v59
	s_delay_alu instid0(VALU_DEP_1) | instskip(NEXT) | instid1(VALU_DEP_1)
	v_mad_u64_u32 v[59:60], null, 0x4e441529, v52, v[0:1]
	v_mov_b32_e32 v0, v60
	s_delay_alu instid0(VALU_DEP_1) | instskip(SKIP_1) | instid1(VALU_DEP_4)
	v_mad_u64_u32 v[60:61], null, 0xa2f9836e, v52, v[0:1]
	v_cndmask_b32_e64 v0, 0, 0xffffffe0, s5
	v_cndmask_b32_e64 v52, v59, v57, s3
	s_delay_alu instid0(VALU_DEP_2) | instskip(NEXT) | instid1(VALU_DEP_4)
	v_add_nc_u32_e32 v0, v0, v62
	v_cndmask_b32_e64 v60, v60, v58, s3
	v_cndmask_b32_e64 v59, v61, v59, s3
	;; [unrolled: 1-line block ×3, first 2 shown]
	s_delay_alu instid0(VALU_DEP_4) | instskip(NEXT) | instid1(VALU_DEP_4)
	v_cmp_eq_u32_e64 s6, 0, v0
	v_cndmask_b32_e64 v57, v60, v52, s4
	s_delay_alu instid0(VALU_DEP_4) | instskip(NEXT) | instid1(VALU_DEP_4)
	v_cndmask_b32_e64 v59, v59, v60, s4
	v_cndmask_b32_e64 v52, v52, v58, s4
	v_sub_nc_u32_e32 v60, 32, v0
	v_cndmask_b32_e64 v58, v58, v55, s4
	s_delay_alu instid0(VALU_DEP_4) | instskip(NEXT) | instid1(VALU_DEP_4)
	v_cndmask_b32_e64 v59, v59, v57, s5
	v_cndmask_b32_e64 v57, v57, v52, s5
	s_delay_alu instid0(VALU_DEP_3) | instskip(SKIP_1) | instid1(VALU_DEP_3)
	v_cndmask_b32_e64 v52, v52, v58, s5
	v_cndmask_b32_e64 v54, v58, v54, s5
	v_alignbit_b32 v61, v59, v57, v60
	s_delay_alu instid0(VALU_DEP_3) | instskip(NEXT) | instid1(VALU_DEP_3)
	v_alignbit_b32 v62, v57, v52, v60
	v_alignbit_b32 v60, v52, v54, v60
	s_delay_alu instid0(VALU_DEP_3) | instskip(NEXT) | instid1(VALU_DEP_3)
	v_cndmask_b32_e64 v0, v61, v59, s6
	v_cndmask_b32_e64 v56, v62, v57, s6
	s_delay_alu instid0(VALU_DEP_3) | instskip(NEXT) | instid1(VALU_DEP_3)
	v_cndmask_b32_e64 v52, v60, v52, s6
	v_bfe_u32 v57, v0, 29, 1
	s_delay_alu instid0(VALU_DEP_3) | instskip(NEXT) | instid1(VALU_DEP_3)
	v_alignbit_b32 v55, v0, v56, 30
	v_alignbit_b32 v56, v56, v52, 30
	;; [unrolled: 1-line block ×3, first 2 shown]
	s_delay_alu instid0(VALU_DEP_4) | instskip(NEXT) | instid1(VALU_DEP_1)
	v_sub_nc_u32_e32 v59, 0, v57
	v_xor_b32_e32 v58, v55, v59
	v_cmp_ne_u32_e64 s3, v55, v59
	v_xor_b32_e32 v54, v56, v59
	v_xor_b32_e32 v52, v52, v59
	s_delay_alu instid0(VALU_DEP_4) | instskip(NEXT) | instid1(VALU_DEP_1)
	v_clz_i32_u32_e32 v61, v58
	v_add_nc_u32_e32 v60, 1, v61
	s_delay_alu instid0(VALU_DEP_1) | instskip(NEXT) | instid1(VALU_DEP_1)
	v_cndmask_b32_e64 v55, 33, v60, s3
	v_sub_nc_u32_e32 v56, 32, v55
	s_delay_alu instid0(VALU_DEP_1) | instskip(SKIP_3) | instid1(VALU_DEP_3)
	v_alignbit_b32 v58, v58, v54, v56
	v_alignbit_b32 v52, v54, v52, v56
	v_lshrrev_b32_e32 v54, 29, v0
	v_lshrrev_b32_e32 v0, 30, v0
	v_alignbit_b32 v56, v58, v52, 9
	s_delay_alu instid0(VALU_DEP_3) | instskip(SKIP_1) | instid1(VALU_DEP_3)
	v_lshlrev_b32_e32 v54, 31, v54
	v_alignbit_b32 v58, v55, v58, 9
	v_clz_i32_u32_e32 v59, v56
	s_delay_alu instid0(VALU_DEP_2) | instskip(SKIP_1) | instid1(VALU_DEP_3)
	v_or_b32_e32 v58, v58, v54
	v_or_b32_e32 v54, 0x33800000, v54
	v_min_u32_e32 v59, 32, v59
	s_delay_alu instid0(VALU_DEP_3) | instskip(NEXT) | instid1(VALU_DEP_2)
	v_xor_b32_e32 v58, 1.0, v58
	v_sub_nc_u32_e32 v60, 31, v59
	v_add_lshl_u32 v55, v59, v55, 23
	s_delay_alu instid0(VALU_DEP_3) | instskip(NEXT) | instid1(VALU_DEP_3)
	v_mul_f32_e32 v59, 0x3fc90fda, v58
	v_alignbit_b32 v52, v56, v52, v60
	s_delay_alu instid0(VALU_DEP_3) | instskip(NEXT) | instid1(VALU_DEP_3)
	v_sub_nc_u32_e32 v54, v54, v55
	v_fma_f32 v55, 0x3fc90fda, v58, -v59
	v_add_nc_u32_e32 v56, v57, v0
	s_delay_alu instid0(VALU_DEP_4) | instskip(NEXT) | instid1(VALU_DEP_3)
	v_lshrrev_b32_e32 v52, 9, v52
	v_fmac_f32_e32 v55, 0x33a22168, v58
	s_delay_alu instid0(VALU_DEP_2) | instskip(NEXT) | instid1(VALU_DEP_1)
	v_or_b32_e32 v52, v54, v52
	v_fmac_f32_e32 v55, 0x3fc90fda, v52
	s_delay_alu instid0(VALU_DEP_1)
	v_add_f32_e32 v55, v59, v55
	s_and_not1_saveexec_b32 s3, s13
	s_cbranch_execnz .LBB145_100
	s_branch .LBB145_101
.LBB145_99:                             ;   in Loop: Header=BB145_57 Depth=1
	s_and_not1_saveexec_b32 s3, s13
.LBB145_100:                            ;   in Loop: Header=BB145_57 Depth=1
	v_mul_f32_e64 v0, 0x3f22f983, |v7|
	s_delay_alu instid0(VALU_DEP_1) | instskip(NEXT) | instid1(VALU_DEP_1)
	v_rndne_f32_e32 v0, v0
	v_fma_f32 v55, 0xbfc90fda, v0, |v7|
	v_cvt_i32_f32_e32 v56, v0
	s_delay_alu instid0(VALU_DEP_2) | instskip(NEXT) | instid1(VALU_DEP_1)
	v_fmac_f32_e32 v55, 0xb3a22168, v0
	v_fmac_f32_e32 v55, 0xa7c234c4, v0
.LBB145_101:                            ;   in Loop: Header=BB145_57 Depth=1
	s_or_b32 exec_lo, exec_lo, s3
	v_mul_f32_e32 v52, 0.5, v5
                                        ; implicit-def: $vgpr59
                                        ; implicit-def: $vgpr57
	s_mov_b32 s4, exec_lo
	s_delay_alu instid0(VALU_DEP_1)
	v_and_b32_e32 v54, 0x7fffffff, v52
	v_cmpx_ngt_f32_e64 0x48000000, |v52|
	s_xor_b32 s13, exec_lo, s4
	s_cbranch_execz .LBB145_103
; %bb.102:                              ;   in Loop: Header=BB145_57 Depth=1
	s_delay_alu instid0(VALU_DEP_2) | instskip(SKIP_1) | instid1(VALU_DEP_2)
	v_and_or_b32 v65, v54, s7, 0x800000
	v_lshrrev_b32_e32 v62, 23, v54
	v_mad_u64_u32 v[57:58], null, 0xfe5163ab, v65, 0
	s_delay_alu instid0(VALU_DEP_2) | instskip(NEXT) | instid1(VALU_DEP_1)
	v_add_nc_u32_e32 v63, 0xffffff88, v62
	v_cmp_lt_u32_e64 s3, 63, v63
	s_delay_alu instid0(VALU_DEP_3) | instskip(NEXT) | instid1(VALU_DEP_2)
	v_mov_b32_e32 v0, v58
	v_cndmask_b32_e64 v64, 0, 0xffffffc0, s3
	s_delay_alu instid0(VALU_DEP_2) | instskip(NEXT) | instid1(VALU_DEP_2)
	v_mad_u64_u32 v[58:59], null, 0x3c439041, v65, v[0:1]
	v_add_nc_u32_e32 v64, v64, v63
	s_delay_alu instid0(VALU_DEP_2) | instskip(NEXT) | instid1(VALU_DEP_2)
	v_mov_b32_e32 v0, v59
	v_cmp_lt_u32_e64 s4, 31, v64
	s_delay_alu instid0(VALU_DEP_2) | instskip(NEXT) | instid1(VALU_DEP_2)
	v_mad_u64_u32 v[59:60], null, 0xdb629599, v65, v[0:1]
	v_cndmask_b32_e64 v66, 0, 0xffffffe0, s4
	s_delay_alu instid0(VALU_DEP_1) | instskip(NEXT) | instid1(VALU_DEP_3)
	v_add_nc_u32_e32 v66, v66, v64
	v_mov_b32_e32 v0, v60
	s_delay_alu instid0(VALU_DEP_4) | instskip(NEXT) | instid1(VALU_DEP_3)
	v_cndmask_b32_e64 v57, v59, v57, s3
	v_cmp_lt_u32_e64 s5, 31, v66
	s_delay_alu instid0(VALU_DEP_3) | instskip(NEXT) | instid1(VALU_DEP_1)
	v_mad_u64_u32 v[60:61], null, 0xf534ddc0, v65, v[0:1]
	v_mov_b32_e32 v0, v61
	s_delay_alu instid0(VALU_DEP_2) | instskip(NEXT) | instid1(VALU_DEP_2)
	v_cndmask_b32_e64 v58, v60, v58, s3
	v_mad_u64_u32 v[61:62], null, 0xfc2757d1, v65, v[0:1]
	s_delay_alu instid0(VALU_DEP_2) | instskip(NEXT) | instid1(VALU_DEP_2)
	v_cndmask_b32_e64 v57, v58, v57, s4
	v_mov_b32_e32 v0, v62
	s_delay_alu instid0(VALU_DEP_1) | instskip(NEXT) | instid1(VALU_DEP_1)
	v_mad_u64_u32 v[62:63], null, 0x4e441529, v65, v[0:1]
	v_mov_b32_e32 v0, v63
	s_delay_alu instid0(VALU_DEP_1) | instskip(SKIP_1) | instid1(VALU_DEP_4)
	v_mad_u64_u32 v[63:64], null, 0xa2f9836e, v65, v[0:1]
	v_cndmask_b32_e64 v0, 0, 0xffffffe0, s5
	v_cndmask_b32_e64 v65, v62, v60, s3
	s_delay_alu instid0(VALU_DEP_2) | instskip(NEXT) | instid1(VALU_DEP_4)
	v_add_nc_u32_e32 v0, v0, v66
	v_cndmask_b32_e64 v63, v63, v61, s3
	v_cndmask_b32_e64 v62, v64, v62, s3
	;; [unrolled: 1-line block ×3, first 2 shown]
	s_delay_alu instid0(VALU_DEP_4) | instskip(NEXT) | instid1(VALU_DEP_4)
	v_sub_nc_u32_e32 v64, 32, v0
	v_cndmask_b32_e64 v60, v63, v65, s4
	s_delay_alu instid0(VALU_DEP_4) | instskip(NEXT) | instid1(VALU_DEP_4)
	v_cndmask_b32_e64 v62, v62, v63, s4
	v_cndmask_b32_e64 v63, v65, v61, s4
	;; [unrolled: 1-line block ×3, first 2 shown]
	v_cmp_eq_u32_e64 s6, 0, v0
	s_delay_alu instid0(VALU_DEP_4) | instskip(NEXT) | instid1(VALU_DEP_4)
	v_cndmask_b32_e64 v62, v62, v60, s5
	v_cndmask_b32_e64 v60, v60, v63, s5
	s_delay_alu instid0(VALU_DEP_4) | instskip(SKIP_1) | instid1(VALU_DEP_3)
	v_cndmask_b32_e64 v63, v63, v61, s5
	v_cndmask_b32_e64 v57, v61, v57, s5
	v_alignbit_b32 v65, v62, v60, v64
	s_delay_alu instid0(VALU_DEP_3) | instskip(NEXT) | instid1(VALU_DEP_3)
	v_alignbit_b32 v66, v60, v63, v64
	v_alignbit_b32 v64, v63, v57, v64
	s_delay_alu instid0(VALU_DEP_3) | instskip(NEXT) | instid1(VALU_DEP_3)
	v_cndmask_b32_e64 v0, v65, v62, s6
	v_cndmask_b32_e64 v59, v66, v60, s6
	s_delay_alu instid0(VALU_DEP_3) | instskip(NEXT) | instid1(VALU_DEP_3)
	v_cndmask_b32_e64 v63, v64, v63, s6
	v_bfe_u32 v60, v0, 29, 1
	s_delay_alu instid0(VALU_DEP_3) | instskip(NEXT) | instid1(VALU_DEP_3)
	v_alignbit_b32 v58, v0, v59, 30
	v_alignbit_b32 v59, v59, v63, 30
	;; [unrolled: 1-line block ×3, first 2 shown]
	s_delay_alu instid0(VALU_DEP_4) | instskip(NEXT) | instid1(VALU_DEP_1)
	v_sub_nc_u32_e32 v62, 0, v60
	v_xor_b32_e32 v61, v58, v62
	v_cmp_ne_u32_e64 s3, v58, v62
	v_xor_b32_e32 v59, v59, v62
	v_xor_b32_e32 v57, v57, v62
	s_delay_alu instid0(VALU_DEP_4) | instskip(NEXT) | instid1(VALU_DEP_1)
	v_clz_i32_u32_e32 v65, v61
	v_add_nc_u32_e32 v64, 1, v65
	s_delay_alu instid0(VALU_DEP_1) | instskip(NEXT) | instid1(VALU_DEP_1)
	v_cndmask_b32_e64 v58, 33, v64, s3
	v_sub_nc_u32_e32 v63, 32, v58
	s_delay_alu instid0(VALU_DEP_1) | instskip(SKIP_3) | instid1(VALU_DEP_3)
	v_alignbit_b32 v61, v61, v59, v63
	v_alignbit_b32 v57, v59, v57, v63
	v_lshrrev_b32_e32 v59, 29, v0
	v_lshrrev_b32_e32 v0, 30, v0
	v_alignbit_b32 v62, v61, v57, 9
	s_delay_alu instid0(VALU_DEP_3) | instskip(SKIP_1) | instid1(VALU_DEP_3)
	v_lshlrev_b32_e32 v59, 31, v59
	v_alignbit_b32 v61, v58, v61, 9
	v_clz_i32_u32_e32 v63, v62
	s_delay_alu instid0(VALU_DEP_2) | instskip(SKIP_1) | instid1(VALU_DEP_3)
	v_or_b32_e32 v61, v61, v59
	v_or_b32_e32 v59, 0x33800000, v59
	v_min_u32_e32 v63, 32, v63
	s_delay_alu instid0(VALU_DEP_3) | instskip(NEXT) | instid1(VALU_DEP_2)
	v_xor_b32_e32 v61, 1.0, v61
	v_sub_nc_u32_e32 v64, 31, v63
	v_add_lshl_u32 v58, v63, v58, 23
	s_delay_alu instid0(VALU_DEP_3) | instskip(NEXT) | instid1(VALU_DEP_3)
	v_mul_f32_e32 v63, 0x3fc90fda, v61
	v_alignbit_b32 v57, v62, v57, v64
	s_delay_alu instid0(VALU_DEP_3) | instskip(NEXT) | instid1(VALU_DEP_3)
	v_sub_nc_u32_e32 v58, v59, v58
	v_fma_f32 v59, 0x3fc90fda, v61, -v63
	s_delay_alu instid0(VALU_DEP_3) | instskip(NEXT) | instid1(VALU_DEP_2)
	v_lshrrev_b32_e32 v57, 9, v57
	v_fmac_f32_e32 v59, 0x33a22168, v61
	s_delay_alu instid0(VALU_DEP_2) | instskip(NEXT) | instid1(VALU_DEP_1)
	v_or_b32_e32 v57, v58, v57
	v_fmac_f32_e32 v59, 0x3fc90fda, v57
	s_delay_alu instid0(VALU_DEP_1)
	v_add_f32_e32 v57, v63, v59
	v_add_nc_u32_e32 v59, v60, v0
.LBB145_103:                            ;   in Loop: Header=BB145_57 Depth=1
	s_and_not1_saveexec_b32 s3, s13
; %bb.104:                              ;   in Loop: Header=BB145_57 Depth=1
	v_mul_f32_e64 v0, 0x3f22f983, |v52|
	s_delay_alu instid0(VALU_DEP_1) | instskip(NEXT) | instid1(VALU_DEP_1)
	v_rndne_f32_e32 v0, v0
	v_fma_f32 v57, 0xbfc90fda, v0, |v52|
	v_cvt_i32_f32_e32 v59, v0
	s_delay_alu instid0(VALU_DEP_2) | instskip(NEXT) | instid1(VALU_DEP_1)
	v_fmac_f32_e32 v57, 0xb3a22168, v0
	v_fmac_f32_e32 v57, 0xa7c234c4, v0
; %bb.105:                              ;   in Loop: Header=BB145_57 Depth=1
	s_or_b32 exec_lo, exec_lo, s3
	v_and_b32_e32 v58, 0x7fffffff, v5
	v_cmp_ngt_f32_e64 s13, 0x48000000, |v5|
                                        ; implicit-def: $vgpr61
                                        ; implicit-def: $vgpr60
	s_delay_alu instid0(VALU_DEP_1) | instskip(NEXT) | instid1(SALU_CYCLE_1)
	s_and_saveexec_b32 s3, s13
	s_xor_b32 s25, exec_lo, s3
	s_cbranch_execz .LBB145_107
; %bb.106:                              ;   in Loop: Header=BB145_57 Depth=1
	v_lshrrev_b32_e32 v65, 23, v58
	v_and_or_b32 v68, v58, s7, 0x800000
	s_delay_alu instid0(VALU_DEP_2) | instskip(NEXT) | instid1(VALU_DEP_2)
	v_add_nc_u32_e32 v66, 0xffffff88, v65
	v_mad_u64_u32 v[60:61], null, 0xfe5163ab, v68, 0
	s_delay_alu instid0(VALU_DEP_2) | instskip(NEXT) | instid1(VALU_DEP_1)
	v_cmp_lt_u32_e64 s3, 63, v66
	v_cndmask_b32_e64 v67, 0, 0xffffffc0, s3
	s_delay_alu instid0(VALU_DEP_1) | instskip(NEXT) | instid1(VALU_DEP_1)
	v_dual_mov_b32 v0, v61 :: v_dual_add_nc_u32 v67, v67, v66
	v_mad_u64_u32 v[61:62], null, 0x3c439041, v68, v[0:1]
	s_delay_alu instid0(VALU_DEP_2) | instskip(NEXT) | instid1(VALU_DEP_1)
	v_cmp_lt_u32_e64 s4, 31, v67
	v_cndmask_b32_e64 v69, 0, 0xffffffe0, s4
	s_delay_alu instid0(VALU_DEP_1) | instskip(NEXT) | instid1(VALU_DEP_1)
	v_dual_mov_b32 v0, v62 :: v_dual_add_nc_u32 v69, v69, v67
	v_mad_u64_u32 v[62:63], null, 0xdb629599, v68, v[0:1]
	s_delay_alu instid0(VALU_DEP_2) | instskip(NEXT) | instid1(VALU_DEP_2)
	v_cmp_lt_u32_e64 s5, 31, v69
	v_mov_b32_e32 v0, v63
	s_delay_alu instid0(VALU_DEP_3) | instskip(NEXT) | instid1(VALU_DEP_2)
	v_cndmask_b32_e64 v60, v62, v60, s3
	v_mad_u64_u32 v[63:64], null, 0xf534ddc0, v68, v[0:1]
	s_delay_alu instid0(VALU_DEP_1) | instskip(NEXT) | instid1(VALU_DEP_2)
	v_mov_b32_e32 v0, v64
	v_cndmask_b32_e64 v61, v63, v61, s3
	s_delay_alu instid0(VALU_DEP_2) | instskip(NEXT) | instid1(VALU_DEP_2)
	v_mad_u64_u32 v[64:65], null, 0xfc2757d1, v68, v[0:1]
	v_cndmask_b32_e64 v60, v61, v60, s4
	s_delay_alu instid0(VALU_DEP_2) | instskip(NEXT) | instid1(VALU_DEP_1)
	v_mov_b32_e32 v0, v65
	v_mad_u64_u32 v[65:66], null, 0x4e441529, v68, v[0:1]
	s_delay_alu instid0(VALU_DEP_1) | instskip(NEXT) | instid1(VALU_DEP_1)
	v_mov_b32_e32 v0, v66
	v_mad_u64_u32 v[66:67], null, 0xa2f9836e, v68, v[0:1]
	v_cndmask_b32_e64 v0, 0, 0xffffffe0, s5
	s_delay_alu instid0(VALU_DEP_4) | instskip(NEXT) | instid1(VALU_DEP_2)
	v_cndmask_b32_e64 v68, v65, v63, s3
	v_add_nc_u32_e32 v0, v0, v69
	s_delay_alu instid0(VALU_DEP_4) | instskip(SKIP_2) | instid1(VALU_DEP_4)
	v_cndmask_b32_e64 v66, v66, v64, s3
	v_cndmask_b32_e64 v65, v67, v65, s3
	;; [unrolled: 1-line block ×3, first 2 shown]
	v_sub_nc_u32_e32 v67, 32, v0
	s_delay_alu instid0(VALU_DEP_4) | instskip(NEXT) | instid1(VALU_DEP_4)
	v_cndmask_b32_e64 v63, v66, v68, s4
	v_cndmask_b32_e64 v65, v65, v66, s4
	s_delay_alu instid0(VALU_DEP_4) | instskip(SKIP_2) | instid1(VALU_DEP_4)
	v_cndmask_b32_e64 v66, v68, v64, s4
	v_cndmask_b32_e64 v64, v64, v61, s4
	v_cmp_eq_u32_e64 s6, 0, v0
	v_cndmask_b32_e64 v65, v65, v63, s5
	s_delay_alu instid0(VALU_DEP_4) | instskip(NEXT) | instid1(VALU_DEP_4)
	v_cndmask_b32_e64 v63, v63, v66, s5
	v_cndmask_b32_e64 v66, v66, v64, s5
	v_cndmask_b32_e64 v60, v64, v60, s5
	s_delay_alu instid0(VALU_DEP_3) | instskip(NEXT) | instid1(VALU_DEP_3)
	v_alignbit_b32 v68, v65, v63, v67
	v_alignbit_b32 v69, v63, v66, v67
	s_delay_alu instid0(VALU_DEP_3) | instskip(NEXT) | instid1(VALU_DEP_3)
	v_alignbit_b32 v67, v66, v60, v67
	v_cndmask_b32_e64 v0, v68, v65, s6
	s_delay_alu instid0(VALU_DEP_3) | instskip(NEXT) | instid1(VALU_DEP_3)
	v_cndmask_b32_e64 v62, v69, v63, s6
	v_cndmask_b32_e64 v66, v67, v66, s6
	s_delay_alu instid0(VALU_DEP_3) | instskip(NEXT) | instid1(VALU_DEP_3)
	v_bfe_u32 v63, v0, 29, 1
	v_alignbit_b32 v61, v0, v62, 30
	s_delay_alu instid0(VALU_DEP_3) | instskip(SKIP_1) | instid1(VALU_DEP_4)
	v_alignbit_b32 v62, v62, v66, 30
	v_alignbit_b32 v60, v66, v60, 30
	v_sub_nc_u32_e32 v65, 0, v63
	s_delay_alu instid0(VALU_DEP_1) | instskip(SKIP_3) | instid1(VALU_DEP_4)
	v_xor_b32_e32 v64, v61, v65
	v_cmp_ne_u32_e64 s3, v61, v65
	v_xor_b32_e32 v62, v62, v65
	v_xor_b32_e32 v60, v60, v65
	v_clz_i32_u32_e32 v68, v64
	s_delay_alu instid0(VALU_DEP_1) | instskip(NEXT) | instid1(VALU_DEP_1)
	v_add_nc_u32_e32 v67, 1, v68
	v_cndmask_b32_e64 v61, 33, v67, s3
	s_delay_alu instid0(VALU_DEP_1) | instskip(NEXT) | instid1(VALU_DEP_1)
	v_sub_nc_u32_e32 v66, 32, v61
	v_alignbit_b32 v64, v64, v62, v66
	v_alignbit_b32 v60, v62, v60, v66
	v_lshrrev_b32_e32 v62, 29, v0
	v_lshrrev_b32_e32 v0, 30, v0
	s_delay_alu instid0(VALU_DEP_3) | instskip(NEXT) | instid1(VALU_DEP_3)
	v_alignbit_b32 v65, v64, v60, 9
	v_lshlrev_b32_e32 v62, 31, v62
	v_alignbit_b32 v64, v61, v64, 9
	s_delay_alu instid0(VALU_DEP_3) | instskip(NEXT) | instid1(VALU_DEP_2)
	v_clz_i32_u32_e32 v66, v65
	v_or_b32_e32 v64, v64, v62
	v_or_b32_e32 v62, 0x33800000, v62
	s_delay_alu instid0(VALU_DEP_3) | instskip(NEXT) | instid1(VALU_DEP_3)
	v_min_u32_e32 v66, 32, v66
	v_xor_b32_e32 v64, 1.0, v64
	s_delay_alu instid0(VALU_DEP_2) | instskip(SKIP_1) | instid1(VALU_DEP_3)
	v_sub_nc_u32_e32 v67, 31, v66
	v_add_lshl_u32 v61, v66, v61, 23
	v_mul_f32_e32 v66, 0x3fc90fda, v64
	s_delay_alu instid0(VALU_DEP_3) | instskip(NEXT) | instid1(VALU_DEP_3)
	v_alignbit_b32 v60, v65, v60, v67
	v_sub_nc_u32_e32 v61, v62, v61
	s_delay_alu instid0(VALU_DEP_3) | instskip(NEXT) | instid1(VALU_DEP_3)
	v_fma_f32 v62, 0x3fc90fda, v64, -v66
	v_lshrrev_b32_e32 v60, 9, v60
	s_delay_alu instid0(VALU_DEP_2) | instskip(NEXT) | instid1(VALU_DEP_2)
	v_fmac_f32_e32 v62, 0x33a22168, v64
	v_or_b32_e32 v60, v61, v60
	v_add_nc_u32_e32 v61, v63, v0
	s_delay_alu instid0(VALU_DEP_2) | instskip(NEXT) | instid1(VALU_DEP_1)
	v_fmac_f32_e32 v62, 0x3fc90fda, v60
	v_add_f32_e32 v60, v66, v62
	s_and_not1_saveexec_b32 s3, s25
	s_branch .LBB145_108
.LBB145_107:                            ;   in Loop: Header=BB145_57 Depth=1
	s_and_not1_saveexec_b32 s3, s25
.LBB145_108:                            ;   in Loop: Header=BB145_57 Depth=1
	v_mul_f32_e64 v0, 0x3f22f983, |v5|
	s_delay_alu instid0(VALU_DEP_1) | instskip(NEXT) | instid1(VALU_DEP_1)
	v_rndne_f32_e32 v0, v0
	v_fma_f32 v60, 0xbfc90fda, v0, |v5|
	v_cvt_i32_f32_e32 v61, v0
	s_delay_alu instid0(VALU_DEP_2) | instskip(NEXT) | instid1(VALU_DEP_1)
	v_fmac_f32_e32 v60, 0xb3a22168, v0
	v_fmac_f32_e32 v60, 0xa7c234c4, v0
; %bb.109:                              ;   in Loop: Header=BB145_57 Depth=1
	s_or_b32 exec_lo, exec_lo, s3
                                        ; implicit-def: $vgpr62
                                        ; implicit-def: $vgpr0
	s_and_saveexec_b32 s3, s13
	s_delay_alu instid0(SALU_CYCLE_1)
	s_xor_b32 s13, exec_lo, s3
	s_cbranch_execz .LBB145_115
; %bb.110:                              ;   in Loop: Header=BB145_57 Depth=1
	v_lshrrev_b32_e32 v67, 23, v58
	v_and_or_b32 v70, v58, s7, 0x800000
	s_delay_alu instid0(VALU_DEP_2) | instskip(NEXT) | instid1(VALU_DEP_2)
	v_add_nc_u32_e32 v68, 0xffffff88, v67
	v_mad_u64_u32 v[62:63], null, 0xfe5163ab, v70, 0
	s_delay_alu instid0(VALU_DEP_2) | instskip(NEXT) | instid1(VALU_DEP_1)
	v_cmp_lt_u32_e64 s3, 63, v68
	v_cndmask_b32_e64 v69, 0, 0xffffffc0, s3
	s_delay_alu instid0(VALU_DEP_1) | instskip(NEXT) | instid1(VALU_DEP_1)
	v_dual_mov_b32 v0, v63 :: v_dual_add_nc_u32 v69, v69, v68
	v_mad_u64_u32 v[63:64], null, 0x3c439041, v70, v[0:1]
	s_delay_alu instid0(VALU_DEP_2) | instskip(NEXT) | instid1(VALU_DEP_1)
	v_cmp_lt_u32_e64 s4, 31, v69
	v_cndmask_b32_e64 v71, 0, 0xffffffe0, s4
	s_delay_alu instid0(VALU_DEP_1) | instskip(NEXT) | instid1(VALU_DEP_1)
	v_dual_mov_b32 v0, v64 :: v_dual_add_nc_u32 v71, v71, v69
	v_mad_u64_u32 v[64:65], null, 0xdb629599, v70, v[0:1]
	s_delay_alu instid0(VALU_DEP_2) | instskip(NEXT) | instid1(VALU_DEP_2)
	v_cmp_lt_u32_e64 s5, 31, v71
	v_mov_b32_e32 v0, v65
	s_delay_alu instid0(VALU_DEP_3) | instskip(NEXT) | instid1(VALU_DEP_2)
	v_cndmask_b32_e64 v62, v64, v62, s3
	v_mad_u64_u32 v[65:66], null, 0xf534ddc0, v70, v[0:1]
	s_delay_alu instid0(VALU_DEP_1) | instskip(NEXT) | instid1(VALU_DEP_2)
	v_mov_b32_e32 v0, v66
	v_cndmask_b32_e64 v63, v65, v63, s3
	s_delay_alu instid0(VALU_DEP_2) | instskip(NEXT) | instid1(VALU_DEP_2)
	v_mad_u64_u32 v[66:67], null, 0xfc2757d1, v70, v[0:1]
	v_cndmask_b32_e64 v62, v63, v62, s4
	s_delay_alu instid0(VALU_DEP_2) | instskip(NEXT) | instid1(VALU_DEP_1)
	v_mov_b32_e32 v0, v67
	v_mad_u64_u32 v[67:68], null, 0x4e441529, v70, v[0:1]
	s_delay_alu instid0(VALU_DEP_1) | instskip(NEXT) | instid1(VALU_DEP_1)
	v_mov_b32_e32 v0, v68
	v_mad_u64_u32 v[68:69], null, 0xa2f9836e, v70, v[0:1]
	v_cndmask_b32_e64 v0, 0, 0xffffffe0, s5
	s_delay_alu instid0(VALU_DEP_4) | instskip(NEXT) | instid1(VALU_DEP_2)
	v_cndmask_b32_e64 v70, v67, v65, s3
	v_add_nc_u32_e32 v0, v0, v71
	s_delay_alu instid0(VALU_DEP_4) | instskip(SKIP_2) | instid1(VALU_DEP_4)
	v_cndmask_b32_e64 v68, v68, v66, s3
	v_cndmask_b32_e64 v67, v69, v67, s3
	;; [unrolled: 1-line block ×3, first 2 shown]
	v_sub_nc_u32_e32 v69, 32, v0
	s_delay_alu instid0(VALU_DEP_4) | instskip(NEXT) | instid1(VALU_DEP_4)
	v_cndmask_b32_e64 v65, v68, v70, s4
	v_cndmask_b32_e64 v67, v67, v68, s4
	s_delay_alu instid0(VALU_DEP_4) | instskip(SKIP_2) | instid1(VALU_DEP_4)
	v_cndmask_b32_e64 v68, v70, v66, s4
	v_cndmask_b32_e64 v66, v66, v63, s4
	v_cmp_eq_u32_e64 s6, 0, v0
	v_cndmask_b32_e64 v67, v67, v65, s5
	s_delay_alu instid0(VALU_DEP_4) | instskip(NEXT) | instid1(VALU_DEP_4)
	v_cndmask_b32_e64 v65, v65, v68, s5
	v_cndmask_b32_e64 v68, v68, v66, s5
	;; [unrolled: 1-line block ×3, first 2 shown]
	s_delay_alu instid0(VALU_DEP_3) | instskip(NEXT) | instid1(VALU_DEP_3)
	v_alignbit_b32 v70, v67, v65, v69
	v_alignbit_b32 v71, v65, v68, v69
	s_delay_alu instid0(VALU_DEP_3) | instskip(NEXT) | instid1(VALU_DEP_3)
	v_alignbit_b32 v69, v68, v62, v69
	v_cndmask_b32_e64 v0, v70, v67, s6
	s_delay_alu instid0(VALU_DEP_3) | instskip(NEXT) | instid1(VALU_DEP_3)
	v_cndmask_b32_e64 v64, v71, v65, s6
	v_cndmask_b32_e64 v68, v69, v68, s6
	s_delay_alu instid0(VALU_DEP_3) | instskip(NEXT) | instid1(VALU_DEP_3)
	v_bfe_u32 v65, v0, 29, 1
	v_alignbit_b32 v63, v0, v64, 30
	s_delay_alu instid0(VALU_DEP_3) | instskip(SKIP_1) | instid1(VALU_DEP_4)
	v_alignbit_b32 v64, v64, v68, 30
	v_alignbit_b32 v62, v68, v62, 30
	v_sub_nc_u32_e32 v67, 0, v65
	s_delay_alu instid0(VALU_DEP_1) | instskip(SKIP_3) | instid1(VALU_DEP_4)
	v_xor_b32_e32 v66, v63, v67
	v_cmp_ne_u32_e64 s3, v63, v67
	v_xor_b32_e32 v64, v64, v67
	v_xor_b32_e32 v62, v62, v67
	v_clz_i32_u32_e32 v70, v66
	s_delay_alu instid0(VALU_DEP_1) | instskip(NEXT) | instid1(VALU_DEP_1)
	v_add_nc_u32_e32 v69, 1, v70
	v_cndmask_b32_e64 v63, 33, v69, s3
	s_delay_alu instid0(VALU_DEP_1) | instskip(NEXT) | instid1(VALU_DEP_1)
	v_sub_nc_u32_e32 v68, 32, v63
	v_alignbit_b32 v66, v66, v64, v68
	v_alignbit_b32 v62, v64, v62, v68
	v_lshrrev_b32_e32 v64, 29, v0
	s_delay_alu instid0(VALU_DEP_2) | instskip(NEXT) | instid1(VALU_DEP_2)
	v_alignbit_b32 v67, v66, v62, 9
	v_lshlrev_b32_e32 v64, 31, v64
	v_alignbit_b32 v66, v63, v66, 9
	s_delay_alu instid0(VALU_DEP_3) | instskip(NEXT) | instid1(VALU_DEP_2)
	v_clz_i32_u32_e32 v68, v67
	v_or_b32_e32 v66, v66, v64
	v_or_b32_e32 v64, 0x33800000, v64
	s_delay_alu instid0(VALU_DEP_3) | instskip(NEXT) | instid1(VALU_DEP_3)
	v_min_u32_e32 v68, 32, v68
	v_xor_b32_e32 v66, 1.0, v66
	s_delay_alu instid0(VALU_DEP_2) | instskip(SKIP_1) | instid1(VALU_DEP_3)
	v_sub_nc_u32_e32 v69, 31, v68
	v_add_lshl_u32 v63, v68, v63, 23
	v_mul_f32_e32 v68, 0x3fc90fda, v66
	s_delay_alu instid0(VALU_DEP_3) | instskip(NEXT) | instid1(VALU_DEP_3)
	v_alignbit_b32 v62, v67, v62, v69
	v_sub_nc_u32_e32 v63, v64, v63
	s_delay_alu instid0(VALU_DEP_3) | instskip(NEXT) | instid1(VALU_DEP_3)
	v_fma_f32 v64, 0x3fc90fda, v66, -v68
	v_lshrrev_b32_e32 v62, 9, v62
	s_delay_alu instid0(VALU_DEP_2) | instskip(NEXT) | instid1(VALU_DEP_2)
	v_fmac_f32_e32 v64, 0x33a22168, v66
	v_or_b32_e32 v62, v63, v62
	s_delay_alu instid0(VALU_DEP_1) | instskip(SKIP_1) | instid1(VALU_DEP_2)
	v_fmac_f32_e32 v64, 0x3fc90fda, v62
	v_lshrrev_b32_e32 v62, 30, v0
	v_add_f32_e32 v0, v68, v64
	s_delay_alu instid0(VALU_DEP_2)
	v_add_nc_u32_e32 v62, v65, v62
	s_and_not1_saveexec_b32 s3, s13
	s_cbranch_execnz .LBB145_116
.LBB145_111:                            ;   in Loop: Header=BB145_57 Depth=1
	s_or_b32 exec_lo, exec_lo, s3
	s_and_saveexec_b32 s3, s2
	s_delay_alu instid0(SALU_CYCLE_1)
	s_xor_b32 s4, exec_lo, s3
	s_cbranch_execz .LBB145_117
.LBB145_112:                            ;   in Loop: Header=BB145_57 Depth=1
	v_dual_mul_f32 v63, 0x3fb8aa3b, v10 :: v_dual_lshlrev_b32 v64, 30, v35
	v_dual_mul_f32 v68, v30, v30 :: v_dual_and_b32 v35, 1, v35
	v_mul_f32_e32 v65, v33, v33
	s_delay_alu instid0(VALU_DEP_3) | instskip(SKIP_1) | instid1(VALU_DEP_3)
	v_rndne_f32_e32 v66, v63
	v_dual_mul_f32 v70, v37, v37 :: v_dual_lshlrev_b32 v67, 30, v32
	v_dual_fmaak_f32 v73, s24, v65, 0x3c0881c4 :: v_dual_and_b32 v32, 1, v32
	v_fmaak_f32 v74, s24, v68, 0x3c0881c4
	v_fma_f32 v71, 0x3fb8aa3b, v10, -v63
	s_delay_alu instid0(VALU_DEP_4) | instskip(SKIP_1) | instid1(VALU_DEP_4)
	v_fmaak_f32 v77, s24, v70, 0x3c0881c4
	v_dual_sub_f32 v63, v63, v66 :: v_dual_and_b32 v64, 0x80000000, v64
	v_dual_fmaak_f32 v73, v65, v73, 0xbe2aaa9d :: v_dual_fmaak_f32 v74, v68, v74, 0xbe2aaa9d
	v_fmamk_f32 v69, v66, 0xbf317218, v10
	v_dual_fmaak_f32 v72, s23, v65, 0xbab64f3b :: v_dual_fmaak_f32 v75, s23, v68, 0xbab64f3b
	v_fmac_f32_e32 v71, 0x32a5705f, v10
	s_delay_alu instid0(VALU_DEP_4) | instskip(NEXT) | instid1(VALU_DEP_4)
	v_dual_fmaak_f32 v77, v70, v77, 0xbe2aaa9d :: v_dual_mul_f32 v74, v68, v74
	v_fmac_f32_e32 v69, 0x3102e308, v66
	s_delay_alu instid0(VALU_DEP_4) | instskip(NEXT) | instid1(VALU_DEP_4)
	v_dual_fmaak_f32 v72, v65, v72, 0x3d2aabf7 :: v_dual_fmaak_f32 v75, v68, v75, 0x3d2aabf7
	v_dual_add_f32 v63, v63, v71 :: v_dual_fmaak_f32 v78, s23, v70, 0xbab64f3b
	v_mul_f32_e32 v73, v65, v73
	s_delay_alu instid0(VALU_DEP_4) | instskip(NEXT) | instid1(VALU_DEP_4)
	v_fmaak_f32 v76, s22, v69, 0x3ab69700
	v_dual_fmaak_f32 v72, v65, v72, 0xbf000004 :: v_dual_fmaak_f32 v75, v68, v75, 0xbf000004
	s_delay_alu instid0(VALU_DEP_4) | instskip(SKIP_2) | instid1(VALU_DEP_3)
	v_exp_f32_e32 v63, v63
	v_cvt_i32_f32_e32 v79, v66
	v_dual_fmac_f32 v30, v30, v74 :: v_dual_fmac_f32 v33, v33, v73
	v_fma_f32 v68, v68, v75, 1.0
	v_cmp_eq_u32_e64 s3, 0, v32
	v_fmaak_f32 v76, v69, v76, 0x3c0887f9
	v_cmp_eq_f32_e64 s2, 0x43000000, v66
	v_fma_f32 v65, v65, v72, 1.0
	v_xor_b32_e32 v29, v29, v28
	s_delay_alu instid0(TRANS32_DEP_1) | instskip(SKIP_4) | instid1(VALU_DEP_3)
	v_ldexp_f32 v63, v63, v79
	v_cndmask_b32_e64 v30, v68, v30, s3
	v_cmp_ngt_f32_e64 s3, 0xc2ce8ed0, v10
	v_cndmask_b32_e64 v66, v79, 0x7f, s2
	v_xor_b32_e32 v31, v31, v11
	v_cndmask_b32_e64 v32, 0, v63, s3
	v_cmp_eq_u32_e64 s3, 0, v35
	v_dual_fmaak_f32 v76, v69, v76, 0x3d2aaa81 :: v_dual_and_b32 v35, 1, v38
	v_lshlrev_b32_e32 v38, 30, v38
	v_ldexp_f32 v66, 1.0, v66
	v_and_b32_e32 v67, 0x80000000, v67
	v_cndmask_b32_e64 v33, -v33, v65, s3
	v_dual_fmaak_f32 v71, v69, v76, 0x3e2aaaab :: v_dual_mul_f32 v76, v70, v77
	s_delay_alu instid0(VALU_DEP_4) | instskip(SKIP_2) | instid1(VALU_DEP_4)
	v_add_f32_e32 v72, -1.0, v66
	v_cmp_nlt_f32_e64 s3, 0x42b17218, v10
	v_xor3_b32 v29, v29, v67, v30
	v_fma_f32 v71, v69, v71, 0.5
	v_dual_fmaak_f32 v78, v70, v78, 0x3d2aabf7 :: v_dual_fmac_f32 v37, v37, v76
	s_delay_alu instid0(VALU_DEP_4) | instskip(SKIP_1) | instid1(VALU_DEP_4)
	v_cndmask_b32_e64 v30, 0x7f800000, v32, s3
	v_xor_b32_e32 v33, v64, v33
	v_mul_f32_e32 v71, v69, v71
	s_delay_alu instid0(VALU_DEP_4) | instskip(SKIP_1) | instid1(VALU_DEP_3)
	v_fmaak_f32 v77, v70, v78, 0xbf000004
	v_cmp_ngt_f32_e64 s3, 0xc1880000, v10
	v_fmac_f32_e32 v69, v69, v71
	s_delay_alu instid0(VALU_DEP_1) | instskip(NEXT) | instid1(VALU_DEP_1)
	v_fmac_f32_e32 v72, v66, v69
	v_add_f32_e32 v63, v72, v72
	s_delay_alu instid0(VALU_DEP_1) | instskip(SKIP_2) | instid1(VALU_DEP_2)
	v_cndmask_b32_e64 v32, v72, v63, s2
	v_cmp_class_f32_e64 s2, v28, 0x1f8
	v_fma_f32 v63, v70, v77, 1.0
	v_cndmask_b32_e64 v28, 0x7fc00000, v29, s2
	v_cmp_eq_u32_e64 s2, 0, v35
	v_and_b32_e32 v35, 0x80000000, v38
	s_delay_alu instid0(VALU_DEP_2) | instskip(SKIP_1) | instid1(VALU_DEP_2)
	v_cndmask_b32_e64 v29, v63, v37, s2
	v_cmp_nlt_f32_e64 s2, 0x42b17217, v10
	v_xor3_b32 v29, v31, v35, v29
	s_delay_alu instid0(VALU_DEP_2) | instskip(SKIP_2) | instid1(VALU_DEP_3)
	v_cndmask_b32_e64 v32, 0x7f800000, v32, s2
	v_cmp_class_f32_e64 s2, v11, 0x1f8
	v_add_f32_e32 v11, v28, v28
	v_cndmask_b32_e64 v10, -1.0, v32, s3
	s_delay_alu instid0(VALU_DEP_3) | instskip(NEXT) | instid1(VALU_DEP_3)
	v_cndmask_b32_e64 v31, 0x7fc00000, v33, s2
	v_mul_f32_e32 v11, v28, v11
	v_cndmask_b32_e64 v28, 0x7fc00000, v29, s2
	s_delay_alu instid0(VALU_DEP_2) | instskip(NEXT) | instid1(VALU_DEP_2)
	v_fma_f32 v10, v10, v31, -v11
	v_mul_f32_e32 v11, v30, v28
	v_add_co_u32 v28, s2, v14, s8
	s_delay_alu instid0(VALU_DEP_1)
	v_add_co_ci_u32_e64 v29, s2, s9, v15, s2
	global_store_b64 v[28:29], v[10:11], off offset:-4
	s_or_b32 exec_lo, exec_lo, s4
	s_and_saveexec_b32 s3, s1
	s_cbranch_execnz .LBB145_118
.LBB145_113:                            ;   in Loop: Header=BB145_57 Depth=1
	s_or_b32 exec_lo, exec_lo, s3
	s_and_saveexec_b32 s2, s0
	s_cbranch_execz .LBB145_119
.LBB145_114:                            ;   in Loop: Header=BB145_57 Depth=1
	v_dual_mul_f32 v8, 0x3fb8aa3b, v6 :: v_dual_lshlrev_b32 v9, 30, v53
	v_dual_mul_f32 v11, v51, v51 :: v_dual_and_b32 v10, 1, v53
	v_dual_mul_f32 v32, v48, v48 :: v_dual_and_b32 v31, 1, v50
	s_delay_alu instid0(VALU_DEP_3) | instskip(NEXT) | instid1(VALU_DEP_4)
	v_rndne_f32_e32 v28, v8
	v_dual_mul_f32 v34, v55, v55 :: v_dual_and_b32 v9, 0x80000000, v9
	s_delay_alu instid0(VALU_DEP_3) | instskip(NEXT) | instid1(VALU_DEP_3)
	v_dual_fmaak_f32 v37, s24, v11, 0x3c0881c4 :: v_dual_fmaak_f32 v38, s24, v32, 0x3c0881c4
	v_dual_fmamk_f32 v33, v28, 0xbf317218, v6 :: v_dual_lshlrev_b32 v30, 30, v50
	v_fma_f32 v35, 0x3fb8aa3b, v6, -v8
	s_delay_alu instid0(VALU_DEP_4) | instskip(NEXT) | instid1(VALU_DEP_4)
	v_dual_fmaak_f32 v41, s24, v34, 0x3c0881c4 :: v_dual_sub_f32 v8, v8, v28
	v_dual_fmaak_f32 v37, v11, v37, 0xbe2aaa9d :: v_dual_fmaak_f32 v38, v32, v38, 0xbe2aaa9d
	s_delay_alu instid0(VALU_DEP_4) | instskip(NEXT) | instid1(VALU_DEP_3)
	v_and_b32_e32 v30, 0x80000000, v30
	v_fmaak_f32 v41, v34, v41, 0xbe2aaa9d
	v_dual_fmaak_f32 v36, s23, v11, 0xbab64f3b :: v_dual_fmaak_f32 v39, s23, v32, 0xbab64f3b
	s_delay_alu instid0(VALU_DEP_4)
	v_mul_f32_e32 v38, v32, v38
	v_fmac_f32_e32 v35, 0x32a5705f, v6
	v_fmac_f32_e32 v33, 0x3102e308, v28
	v_mul_f32_e32 v37, v11, v37
	v_cvt_i32_f32_e32 v44, v28
	v_cmp_eq_f32_e64 s0, 0x43000000, v28
	v_add_f32_e32 v8, v8, v35
	v_fmaak_f32 v40, s22, v33, 0x3ab69700
	v_fmac_f32_e32 v51, v51, v37
	v_dual_fmaak_f32 v36, v11, v36, 0x3d2aabf7 :: v_dual_fmaak_f32 v39, v32, v39, 0x3d2aabf7
	v_cndmask_b32_e64 v28, v44, 0x7f, s0
	s_delay_alu instid0(VALU_DEP_4) | instskip(SKIP_1) | instid1(VALU_DEP_4)
	v_fmaak_f32 v40, v33, v40, 0x3c0887f9
	v_fmac_f32_e32 v48, v48, v38
	v_dual_fmaak_f32 v36, v11, v36, 0xbf000004 :: v_dual_fmaak_f32 v39, v32, v39, 0xbf000004
	v_exp_f32_e32 v8, v8
	s_delay_alu instid0(VALU_DEP_3) | instskip(SKIP_1) | instid1(VALU_DEP_3)
	v_fmaak_f32 v40, v33, v40, 0x3d2aaa81
	v_ldexp_f32 v28, 1.0, v28
	v_fma_f32 v11, v11, v36, 1.0
	v_fma_f32 v32, v32, v39, 1.0
	v_cmp_eq_u32_e64 s1, 0, v31
	v_fmaak_f32 v35, v33, v40, 0x3e2aaaab
	v_add_f32_e32 v36, -1.0, v28
	v_mul_f32_e32 v40, v34, v41
	v_xor_b32_e32 v29, v45, v43
	v_ldexp_f32 v8, v8, v44
	v_fma_f32 v35, v33, v35, 0.5
	s_delay_alu instid0(VALU_DEP_4) | instskip(NEXT) | instid1(VALU_DEP_2)
	v_fmac_f32_e32 v55, v55, v40
	v_dual_mul_f32 v35, v33, v35 :: v_dual_fmaak_f32 v42, s23, v34, 0xbab64f3b
	s_delay_alu instid0(VALU_DEP_1) | instskip(NEXT) | instid1(VALU_DEP_1)
	v_fmac_f32_e32 v33, v33, v35
	v_fmac_f32_e32 v36, v28, v33
	v_cndmask_b32_e64 v28, v32, v48, s1
	v_cmp_ngt_f32_e64 s1, 0xc2ce8ed0, v6
	s_delay_alu instid0(VALU_DEP_3) | instskip(NEXT) | instid1(VALU_DEP_2)
	v_dual_fmaak_f32 v42, v34, v42, 0x3d2aabf7 :: v_dual_add_f32 v31, v36, v36
	v_cndmask_b32_e64 v8, 0, v8, s1
	v_cmp_eq_u32_e64 s1, 0, v10
	s_delay_alu instid0(VALU_DEP_3) | instskip(NEXT) | instid1(VALU_DEP_2)
	v_fmaak_f32 v41, v34, v42, 0xbf000004
	v_cndmask_b32_e64 v10, -v51, v11, s1
	v_xor3_b32 v11, v29, v30, v28
	v_cndmask_b32_e64 v28, v36, v31, s0
	v_and_b32_e32 v29, 1, v56
	v_cmp_class_f32_e64 s0, v43, 0x1f8
	v_cmp_nlt_f32_e64 s1, 0x42b17218, v6
	v_fma_f32 v30, v34, v41, 1.0
	v_lshlrev_b32_e32 v31, 30, v56
	v_xor_b32_e32 v9, v9, v10
	v_cndmask_b32_e64 v11, 0x7fc00000, v11, s0
	v_cmp_eq_u32_e64 s0, 0, v29
	v_cndmask_b32_e64 v8, 0x7f800000, v8, s1
	v_cmp_ngt_f32_e64 s1, 0xc1880000, v6
	s_delay_alu instid0(VALU_DEP_3) | instskip(SKIP_3) | instid1(VALU_DEP_2)
	v_cndmask_b32_e64 v29, v30, v55, s0
	v_and_b32_e32 v30, 0x80000000, v31
	v_xor_b32_e32 v31, v49, v7
	v_cmp_nlt_f32_e64 s0, 0x42b17217, v6
	v_xor3_b32 v10, v31, v30, v29
	s_delay_alu instid0(VALU_DEP_2) | instskip(SKIP_2) | instid1(VALU_DEP_3)
	v_cndmask_b32_e64 v28, 0x7f800000, v28, s0
	v_cmp_class_f32_e64 s0, v7, 0x1f8
	v_add_f32_e32 v7, v11, v11
	v_cndmask_b32_e64 v6, -1.0, v28, s1
	s_delay_alu instid0(VALU_DEP_3) | instskip(NEXT) | instid1(VALU_DEP_3)
	v_cndmask_b32_e64 v9, 0x7fc00000, v9, s0
	v_mul_f32_e32 v7, v11, v7
	v_cndmask_b32_e64 v10, 0x7fc00000, v10, s0
	s_delay_alu instid0(VALU_DEP_2) | instskip(NEXT) | instid1(VALU_DEP_2)
	v_fma_f32 v6, v6, v9, -v7
	v_mul_f32_e32 v7, v8, v10
	v_add_co_u32 v8, s0, v26, s8
	s_delay_alu instid0(VALU_DEP_1)
	v_add_co_ci_u32_e64 v9, s0, s9, v27, s0
	global_store_b64 v[8:9], v[6:7], off offset:-4
	s_or_b32 exec_lo, exec_lo, s2
	s_and_saveexec_b32 s1, vcc_lo
	s_cbranch_execz .LBB145_56
	s_branch .LBB145_120
.LBB145_115:                            ;   in Loop: Header=BB145_57 Depth=1
	s_and_not1_saveexec_b32 s3, s13
	s_cbranch_execz .LBB145_111
.LBB145_116:                            ;   in Loop: Header=BB145_57 Depth=1
	v_mul_f32_e64 v0, 0x3f22f983, |v5|
	s_delay_alu instid0(VALU_DEP_1) | instskip(NEXT) | instid1(VALU_DEP_1)
	v_rndne_f32_e32 v62, v0
	v_fma_f32 v0, 0xbfc90fda, v62, |v5|
	s_delay_alu instid0(VALU_DEP_1) | instskip(NEXT) | instid1(VALU_DEP_1)
	v_fmac_f32_e32 v0, 0xb3a22168, v62
	v_fmac_f32_e32 v0, 0xa7c234c4, v62
	v_cvt_i32_f32_e32 v62, v62
	s_or_b32 exec_lo, exec_lo, s3
	s_and_saveexec_b32 s3, s2
	s_delay_alu instid0(SALU_CYCLE_1)
	s_xor_b32 s4, exec_lo, s3
	s_cbranch_execnz .LBB145_112
.LBB145_117:                            ;   in Loop: Header=BB145_57 Depth=1
	s_or_b32 exec_lo, exec_lo, s4
	s_and_saveexec_b32 s3, s1
	s_cbranch_execz .LBB145_113
.LBB145_118:                            ;   in Loop: Header=BB145_57 Depth=1
	v_dual_mul_f32 v10, 0x3fb8aa3b, v8 :: v_dual_mul_f32 v29, v42, v42
	v_dual_mul_f32 v35, v39, v39 :: v_dual_and_b32 v28, 1, v44
	v_xor_b32_e32 v31, v36, v34
	s_delay_alu instid0(VALU_DEP_3) | instskip(SKIP_3) | instid1(VALU_DEP_4)
	v_rndne_f32_e32 v30, v10
	v_lshlrev_b32_e32 v11, 30, v44
	v_dual_mul_f32 v37, v46, v46 :: v_dual_lshlrev_b32 v32, 30, v41
	v_dual_fmaak_f32 v44, s24, v29, 0x3c0881c4 :: v_dual_fmaak_f32 v63, s24, v35, 0x3c0881c4
	v_dual_fmamk_f32 v36, v30, 0xbf317218, v8 :: v_dual_and_b32 v33, 1, v41
	v_dual_fmaak_f32 v41, s23, v29, 0xbab64f3b :: v_dual_fmaak_f32 v64, s23, v35, 0xbab64f3b
	v_cvt_i32_f32_e32 v68, v30
	v_cmp_eq_f32_e64 s1, 0x43000000, v30
	v_fma_f32 v38, 0x3fb8aa3b, v8, -v10
	v_dual_sub_f32 v10, v10, v30 :: v_dual_and_b32 v11, 0x80000000, v11
	v_fmac_f32_e32 v36, 0x3102e308, v30
	v_dual_fmaak_f32 v41, v29, v41, 0x3d2aabf7 :: v_dual_fmaak_f32 v64, v35, v64, 0x3d2aabf7
	v_dual_fmaak_f32 v44, v29, v44, 0xbe2aaa9d :: v_dual_fmaak_f32 v63, v35, v63, 0xbe2aaa9d
	v_cndmask_b32_e64 v30, v68, 0x7f, s1
	v_and_b32_e32 v32, 0x80000000, v32
	s_delay_alu instid0(VALU_DEP_4) | instskip(NEXT) | instid1(VALU_DEP_4)
	v_dual_fmaak_f32 v41, v29, v41, 0xbf000004 :: v_dual_fmaak_f32 v64, v35, v64, 0xbf000004
	v_mul_f32_e32 v63, v35, v63
	s_delay_alu instid0(VALU_DEP_4) | instskip(SKIP_3) | instid1(VALU_DEP_4)
	v_ldexp_f32 v30, 1.0, v30
	v_fmaak_f32 v66, s24, v37, 0x3c0881c4
	v_dual_fmaak_f32 v67, s23, v37, 0xbab64f3b :: v_dual_mul_f32 v44, v29, v44
	v_fma_f32 v29, v29, v41, 1.0
	v_add_f32_e32 v41, -1.0, v30
	s_delay_alu instid0(VALU_DEP_4)
	v_dual_fmaak_f32 v66, v37, v66, 0xbe2aaa9d :: v_dual_fmac_f32 v39, v39, v63
	v_fmac_f32_e32 v38, 0x32a5705f, v8
	v_fmaak_f32 v65, s22, v36, 0x3ab69700
	v_fmac_f32_e32 v42, v42, v44
	v_fma_f32 v35, v35, v64, 1.0
	v_cmp_eq_u32_e64 s2, 0, v33
	s_delay_alu instid0(VALU_DEP_4) | instskip(NEXT) | instid1(VALU_DEP_1)
	v_dual_add_f32 v10, v10, v38 :: v_dual_fmaak_f32 v65, v36, v65, 0x3c0887f9
	v_exp_f32_e32 v10, v10
	s_delay_alu instid0(VALU_DEP_1) | instskip(NEXT) | instid1(VALU_DEP_1)
	v_fmaak_f32 v65, v36, v65, 0x3d2aaa81
	v_dual_fmaak_f32 v38, v36, v65, 0x3e2aaaab :: v_dual_mul_f32 v65, v37, v66
	s_waitcnt_depctr 0xfff
	v_ldexp_f32 v10, v10, v68
	v_fma_f32 v38, v36, v38, 0.5
	v_dual_fmaak_f32 v67, v37, v67, 0x3d2aabf7 :: v_dual_fmac_f32 v46, v46, v65
	s_delay_alu instid0(VALU_DEP_2) | instskip(NEXT) | instid1(VALU_DEP_1)
	v_mul_f32_e32 v38, v36, v38
	v_fmac_f32_e32 v36, v36, v38
	s_delay_alu instid0(VALU_DEP_1) | instskip(SKIP_2) | instid1(VALU_DEP_3)
	v_fmac_f32_e32 v41, v30, v36
	v_cndmask_b32_e64 v30, v35, v39, s2
	v_cmp_ngt_f32_e64 s2, 0xc2ce8ed0, v8
	v_add_f32_e32 v33, v41, v41
	s_delay_alu instid0(VALU_DEP_2) | instskip(SKIP_1) | instid1(VALU_DEP_1)
	v_cndmask_b32_e64 v10, 0, v10, s2
	v_cmp_eq_u32_e64 s2, 0, v28
	v_cndmask_b32_e64 v28, -v42, v29, s2
	v_cmp_nlt_f32_e64 s2, 0x42b17218, v8
	v_xor3_b32 v29, v31, v32, v30
	v_cndmask_b32_e64 v30, v41, v33, s1
	v_and_b32_e32 v31, 1, v47
	v_cmp_class_f32_e64 s1, v34, 0x1f8
	v_cndmask_b32_e64 v10, 0x7f800000, v10, s2
	v_fmaak_f32 v66, v37, v67, 0xbf000004
	v_lshlrev_b32_e32 v33, 30, v47
	v_xor_b32_e32 v11, v11, v28
	v_cndmask_b32_e64 v29, 0x7fc00000, v29, s1
	v_cmp_eq_u32_e64 s1, 0, v31
	v_fma_f32 v32, v37, v66, 1.0
	v_cmp_ngt_f32_e64 s2, 0xc1880000, v8
	s_delay_alu instid0(VALU_DEP_2) | instskip(SKIP_3) | instid1(VALU_DEP_2)
	v_cndmask_b32_e64 v31, v32, v46, s1
	v_and_b32_e32 v32, 0x80000000, v33
	v_xor_b32_e32 v33, v40, v9
	v_cmp_nlt_f32_e64 s1, 0x42b17217, v8
	v_xor3_b32 v28, v33, v32, v31
	s_delay_alu instid0(VALU_DEP_2) | instskip(SKIP_2) | instid1(VALU_DEP_3)
	v_cndmask_b32_e64 v30, 0x7f800000, v30, s1
	v_cmp_class_f32_e64 s1, v9, 0x1f8
	v_add_f32_e32 v9, v29, v29
	v_cndmask_b32_e64 v8, -1.0, v30, s2
	s_delay_alu instid0(VALU_DEP_3) | instskip(NEXT) | instid1(VALU_DEP_3)
	v_cndmask_b32_e64 v11, 0x7fc00000, v11, s1
	v_mul_f32_e32 v9, v29, v9
	v_cndmask_b32_e64 v28, 0x7fc00000, v28, s1
	s_delay_alu instid0(VALU_DEP_2) | instskip(NEXT) | instid1(VALU_DEP_2)
	v_fma_f32 v8, v8, v11, -v9
	v_mul_f32_e32 v9, v10, v28
	v_add_co_u32 v10, s1, v16, s8
	s_delay_alu instid0(VALU_DEP_1)
	v_add_co_ci_u32_e64 v11, s1, s9, v17, s1
	global_store_b64 v[10:11], v[8:9], off
	s_or_b32 exec_lo, exec_lo, s3
	s_and_saveexec_b32 s2, s0
	s_cbranch_execnz .LBB145_114
.LBB145_119:                            ;   in Loop: Header=BB145_57 Depth=1
	s_or_b32 exec_lo, exec_lo, s2
	s_and_saveexec_b32 s1, vcc_lo
	s_cbranch_execz .LBB145_56
.LBB145_120:                            ;   in Loop: Header=BB145_57 Depth=1
	v_dual_mul_f32 v6, 0x3fb8aa3b, v4 :: v_dual_lshlrev_b32 v7, 30, v61
	v_dual_mul_f32 v9, v60, v60 :: v_dual_and_b32 v8, 1, v61
	v_dual_mul_f32 v30, v57, v57 :: v_dual_and_b32 v29, 1, v59
	s_delay_alu instid0(VALU_DEP_3) | instskip(NEXT) | instid1(VALU_DEP_4)
	v_rndne_f32_e32 v10, v6
	v_dual_mul_f32 v32, v0, v0 :: v_dual_and_b32 v7, 0x80000000, v7
	s_delay_alu instid0(VALU_DEP_3) | instskip(NEXT) | instid1(VALU_DEP_3)
	v_dual_fmaak_f32 v35, s24, v9, 0x3c0881c4 :: v_dual_fmaak_f32 v36, s24, v30, 0x3c0881c4
	v_dual_fmamk_f32 v31, v10, 0xbf317218, v4 :: v_dual_lshlrev_b32 v28, 30, v59
	v_fma_f32 v33, 0x3fb8aa3b, v4, -v6
	s_delay_alu instid0(VALU_DEP_4) | instskip(NEXT) | instid1(VALU_DEP_4)
	v_dual_fmaak_f32 v39, s24, v32, 0x3c0881c4 :: v_dual_sub_f32 v6, v6, v10
	v_dual_fmaak_f32 v35, v9, v35, 0xbe2aaa9d :: v_dual_fmaak_f32 v36, v30, v36, 0xbe2aaa9d
	v_dual_fmaak_f32 v34, s23, v9, 0xbab64f3b :: v_dual_fmaak_f32 v37, s23, v30, 0xbab64f3b
	s_delay_alu instid0(VALU_DEP_3) | instskip(NEXT) | instid1(VALU_DEP_3)
	v_fmaak_f32 v39, v32, v39, 0xbe2aaa9d
	v_dual_mul_f32 v35, v9, v35 :: v_dual_and_b32 v28, 0x80000000, v28
	s_delay_alu instid0(VALU_DEP_4) | instskip(SKIP_4) | instid1(VALU_DEP_4)
	v_mul_f32_e32 v36, v30, v36
	v_fmac_f32_e32 v33, 0x32a5705f, v4
	v_fmac_f32_e32 v31, 0x3102e308, v10
	v_cvt_i32_f32_e32 v41, v10
	v_cmp_eq_f32_e32 vcc_lo, 0x43000000, v10
	v_dual_fmac_f32 v57, v57, v36 :: v_dual_add_f32 v6, v6, v33
	s_delay_alu instid0(VALU_DEP_4) | instskip(SKIP_2) | instid1(VALU_DEP_4)
	v_fmaak_f32 v38, s22, v31, 0x3ab69700
	v_dual_fmaak_f32 v34, v9, v34, 0x3d2aabf7 :: v_dual_fmaak_f32 v37, v30, v37, 0x3d2aabf7
	v_cndmask_b32_e64 v10, v41, 0x7f, vcc_lo
	v_exp_f32_e32 v6, v6
	s_delay_alu instid0(VALU_DEP_3) | instskip(SKIP_3) | instid1(VALU_DEP_4)
	v_fmaak_f32 v38, v31, v38, 0x3c0887f9
	v_fmac_f32_e32 v60, v60, v35
	v_dual_fmaak_f32 v34, v9, v34, 0xbf000004 :: v_dual_fmaak_f32 v37, v30, v37, 0xbf000004
	v_ldexp_f32 v10, 1.0, v10
	v_fmaak_f32 v38, v31, v38, 0x3d2aaa81
	v_cmp_eq_u32_e64 s0, 0, v29
	s_delay_alu instid0(VALU_DEP_4)
	v_fma_f32 v9, v9, v34, 1.0
	v_fma_f32 v30, v30, v37, 1.0
	v_add_f32_e32 v34, -1.0, v10
	v_fmaak_f32 v33, v31, v38, 0x3e2aaaab
	v_ldexp_f32 v6, v6, v41
	v_xor_b32_e32 v11, v54, v52
	v_mul_f32_e32 v38, v32, v39
	s_delay_alu instid0(VALU_DEP_4) | instskip(NEXT) | instid1(VALU_DEP_1)
	v_fma_f32 v33, v31, v33, 0.5
	v_dual_mul_f32 v33, v31, v33 :: v_dual_fmaak_f32 v40, s23, v32, 0xbab64f3b
	s_delay_alu instid0(VALU_DEP_1) | instskip(NEXT) | instid1(VALU_DEP_1)
	v_fmac_f32_e32 v31, v31, v33
	v_fmac_f32_e32 v34, v10, v31
	v_cndmask_b32_e64 v10, v30, v57, s0
	v_cmp_ngt_f32_e64 s0, 0xc2ce8ed0, v4
	s_delay_alu instid0(VALU_DEP_1) | instskip(SKIP_1) | instid1(VALU_DEP_1)
	v_cndmask_b32_e64 v6, 0, v6, s0
	v_cmp_eq_u32_e64 s0, 0, v8
	v_cndmask_b32_e64 v8, -v60, v9, s0
	v_xor3_b32 v9, v11, v28, v10
	v_dual_fmaak_f32 v40, v32, v40, 0x3d2aabf7 :: v_dual_and_b32 v11, 1, v62
	v_add_f32_e32 v29, v34, v34
	v_cmp_nlt_f32_e64 s0, 0x42b17218, v4
	v_xor_b32_e32 v7, v7, v8
	s_delay_alu instid0(VALU_DEP_3) | instskip(SKIP_1) | instid1(VALU_DEP_4)
	v_dual_fmaak_f32 v39, v32, v40, 0xbf000004 :: v_dual_cndmask_b32 v10, v34, v29
	v_cmp_class_f32_e64 vcc_lo, v52, 0x1f8
	v_cndmask_b32_e64 v6, 0x7f800000, v6, s0
	v_cmp_ngt_f32_e64 s0, 0xc1880000, v4
	s_delay_alu instid0(VALU_DEP_4) | instskip(SKIP_3) | instid1(VALU_DEP_1)
	v_fma_f32 v28, v32, v39, 1.0
	v_cndmask_b32_e32 v9, 0x7fc00000, v9, vcc_lo
	v_cmp_eq_u32_e32 vcc_lo, 0, v11
	v_lshlrev_b32_e32 v29, 30, v62
	v_dual_fmac_f32 v0, v0, v38 :: v_dual_and_b32 v11, 0x80000000, v29
	s_delay_alu instid0(VALU_DEP_1) | instskip(SKIP_2) | instid1(VALU_DEP_2)
	v_cndmask_b32_e32 v0, v28, v0, vcc_lo
	v_xor_b32_e32 v28, v58, v5
	v_cmp_nlt_f32_e32 vcc_lo, 0x42b17217, v4
	v_xor3_b32 v0, v28, v11, v0
	v_cndmask_b32_e32 v10, 0x7f800000, v10, vcc_lo
	v_cmp_class_f32_e64 vcc_lo, v5, 0x1f8
	v_add_f32_e32 v5, v9, v9
	v_cndmask_b32_e32 v7, 0x7fc00000, v7, vcc_lo
	s_delay_alu instid0(VALU_DEP_2) | instskip(SKIP_2) | instid1(VALU_DEP_2)
	v_mul_f32_e32 v5, v9, v5
	v_cndmask_b32_e64 v4, -1.0, v10, s0
	v_cndmask_b32_e32 v0, 0x7fc00000, v0, vcc_lo
	v_fma_f32 v4, v4, v7, -v5
	s_delay_alu instid0(VALU_DEP_2)
	v_mul_f32_e32 v5, v6, v0
	v_add_co_u32 v6, vcc_lo, v22, s8
	v_add_co_ci_u32_e32 v7, vcc_lo, s9, v23, vcc_lo
	global_store_b64 v[6:7], v[4:5], off offset:-4
	s_branch .LBB145_56
.LBB145_121:
	s_nop 0
	s_sendmsg sendmsg(MSG_DEALLOC_VGPRS)
	s_endpgm
	.section	.rodata,"a",@progbits
	.p2align	6, 0x0
	.amdhsa_kernel _ZN2at6native12_GLOBAL__N_125multi_tensor_apply_kernelINS1_18TensorListMetadataILi2EEENS1_14UnaryOpFunctorIN3c107complexIfEELi2ELi1ELi1EEEJNS0_5Expm1IS8_EEEEEvT_T0_DpT1_
		.amdhsa_group_segment_fixed_size 0
		.amdhsa_private_segment_fixed_size 0
		.amdhsa_kernarg_size 3408
		.amdhsa_user_sgpr_count 15
		.amdhsa_user_sgpr_dispatch_ptr 0
		.amdhsa_user_sgpr_queue_ptr 0
		.amdhsa_user_sgpr_kernarg_segment_ptr 1
		.amdhsa_user_sgpr_dispatch_id 0
		.amdhsa_user_sgpr_private_segment_size 0
		.amdhsa_wavefront_size32 1
		.amdhsa_uses_dynamic_stack 0
		.amdhsa_enable_private_segment 0
		.amdhsa_system_sgpr_workgroup_id_x 1
		.amdhsa_system_sgpr_workgroup_id_y 0
		.amdhsa_system_sgpr_workgroup_id_z 0
		.amdhsa_system_sgpr_workgroup_info 0
		.amdhsa_system_vgpr_workitem_id 0
		.amdhsa_next_free_vgpr 80
		.amdhsa_next_free_sgpr 27
		.amdhsa_reserve_vcc 1
		.amdhsa_float_round_mode_32 0
		.amdhsa_float_round_mode_16_64 0
		.amdhsa_float_denorm_mode_32 3
		.amdhsa_float_denorm_mode_16_64 3
		.amdhsa_dx10_clamp 1
		.amdhsa_ieee_mode 1
		.amdhsa_fp16_overflow 0
		.amdhsa_workgroup_processor_mode 1
		.amdhsa_memory_ordered 1
		.amdhsa_forward_progress 0
		.amdhsa_shared_vgpr_count 0
		.amdhsa_exception_fp_ieee_invalid_op 0
		.amdhsa_exception_fp_denorm_src 0
		.amdhsa_exception_fp_ieee_div_zero 0
		.amdhsa_exception_fp_ieee_overflow 0
		.amdhsa_exception_fp_ieee_underflow 0
		.amdhsa_exception_fp_ieee_inexact 0
		.amdhsa_exception_int_div_zero 0
	.end_amdhsa_kernel
	.section	.text._ZN2at6native12_GLOBAL__N_125multi_tensor_apply_kernelINS1_18TensorListMetadataILi2EEENS1_14UnaryOpFunctorIN3c107complexIfEELi2ELi1ELi1EEEJNS0_5Expm1IS8_EEEEEvT_T0_DpT1_,"axG",@progbits,_ZN2at6native12_GLOBAL__N_125multi_tensor_apply_kernelINS1_18TensorListMetadataILi2EEENS1_14UnaryOpFunctorIN3c107complexIfEELi2ELi1ELi1EEEJNS0_5Expm1IS8_EEEEEvT_T0_DpT1_,comdat
.Lfunc_end145:
	.size	_ZN2at6native12_GLOBAL__N_125multi_tensor_apply_kernelINS1_18TensorListMetadataILi2EEENS1_14UnaryOpFunctorIN3c107complexIfEELi2ELi1ELi1EEEJNS0_5Expm1IS8_EEEEEvT_T0_DpT1_, .Lfunc_end145-_ZN2at6native12_GLOBAL__N_125multi_tensor_apply_kernelINS1_18TensorListMetadataILi2EEENS1_14UnaryOpFunctorIN3c107complexIfEELi2ELi1ELi1EEEJNS0_5Expm1IS8_EEEEEvT_T0_DpT1_
                                        ; -- End function
	.section	.AMDGPU.csdata,"",@progbits
; Kernel info:
; codeLenInByte = 26388
; NumSgprs: 29
; NumVgprs: 80
; ScratchSize: 0
; MemoryBound: 1
; FloatMode: 240
; IeeeMode: 1
; LDSByteSize: 0 bytes/workgroup (compile time only)
; SGPRBlocks: 3
; VGPRBlocks: 9
; NumSGPRsForWavesPerEU: 29
; NumVGPRsForWavesPerEU: 80
; Occupancy: 16
; WaveLimiterHint : 0
; COMPUTE_PGM_RSRC2:SCRATCH_EN: 0
; COMPUTE_PGM_RSRC2:USER_SGPR: 15
; COMPUTE_PGM_RSRC2:TRAP_HANDLER: 0
; COMPUTE_PGM_RSRC2:TGID_X_EN: 1
; COMPUTE_PGM_RSRC2:TGID_Y_EN: 0
; COMPUTE_PGM_RSRC2:TGID_Z_EN: 0
; COMPUTE_PGM_RSRC2:TIDIG_COMP_CNT: 0
	.section	.text._ZN2at6native12_GLOBAL__N_125multi_tensor_apply_kernelINS1_18TensorListMetadataILi2EEENS1_14UnaryOpFunctorIN3c104HalfELi2ELi1ELi1EEEJNS0_5Expm1IfEEEEEvT_T0_DpT1_,"axG",@progbits,_ZN2at6native12_GLOBAL__N_125multi_tensor_apply_kernelINS1_18TensorListMetadataILi2EEENS1_14UnaryOpFunctorIN3c104HalfELi2ELi1ELi1EEEJNS0_5Expm1IfEEEEEvT_T0_DpT1_,comdat
	.globl	_ZN2at6native12_GLOBAL__N_125multi_tensor_apply_kernelINS1_18TensorListMetadataILi2EEENS1_14UnaryOpFunctorIN3c104HalfELi2ELi1ELi1EEEJNS0_5Expm1IfEEEEEvT_T0_DpT1_ ; -- Begin function _ZN2at6native12_GLOBAL__N_125multi_tensor_apply_kernelINS1_18TensorListMetadataILi2EEENS1_14UnaryOpFunctorIN3c104HalfELi2ELi1ELi1EEEJNS0_5Expm1IfEEEEEvT_T0_DpT1_
	.p2align	8
	.type	_ZN2at6native12_GLOBAL__N_125multi_tensor_apply_kernelINS1_18TensorListMetadataILi2EEENS1_14UnaryOpFunctorIN3c104HalfELi2ELi1ELi1EEEJNS0_5Expm1IfEEEEEvT_T0_DpT1_,@function
_ZN2at6native12_GLOBAL__N_125multi_tensor_apply_kernelINS1_18TensorListMetadataILi2EEENS1_14UnaryOpFunctorIN3c104HalfELi2ELi1ELi1EEEJNS0_5Expm1IfEEEEEvT_T0_DpT1_: ; @_ZN2at6native12_GLOBAL__N_125multi_tensor_apply_kernelINS1_18TensorListMetadataILi2EEENS1_14UnaryOpFunctorIN3c104HalfELi2ELi1ELi1EEEJNS0_5Expm1IfEEEEEvT_T0_DpT1_
; %bb.0:
	v_mov_b32_e32 v1, s15
	s_add_u32 s2, s0, s15
	s_mul_hi_u32 s3, s15, 3
	s_mul_i32 s15, s15, 3
	s_addc_u32 s4, s1, 0
	global_load_u8 v1, v1, s[0:1] offset:1536
	s_add_u32 s2, s2, s15
	s_addc_u32 s3, s4, s3
	s_mov_b32 s19, 0
	s_load_b32 s2, s[2:3], 0x740
	s_mov_b32 s21, s19
	s_mov_b32 s23, s19
	s_waitcnt vmcnt(0)
	v_readfirstlane_b32 s5, v1
	s_delay_alu instid0(VALU_DEP_1)
	s_lshl_b32 s3, s5, 3
	s_clause 0x2
	s_load_b64 s[10:11], s[0:1], s3 offset:0x0
	s_load_b64 s[12:13], s[0:1], s3 offset:0x200
	;; [unrolled: 1-line block ×3, first 2 shown]
	s_waitcnt lgkmcnt(0)
	s_ashr_i32 s3, s2, 31
	s_delay_alu instid0(SALU_CYCLE_1) | instskip(NEXT) | instid1(SALU_CYCLE_1)
	s_lshl_b64 s[6:7], s[2:3], 17
	s_add_u32 s5, s10, s6
	s_addc_u32 s14, s11, s7
	s_and_b32 s18, s5, 7
	s_add_u32 s15, s12, s6
	s_addc_u32 s16, s13, s7
	s_and_b32 s20, s8, 3
	s_and_b32 s22, s15, 7
	s_or_b64 s[18:19], s[18:19], s[20:21]
	s_lshl_b64 s[2:3], s[2:3], 16
	s_or_b64 s[18:19], s[22:23], s[18:19]
	s_sub_u32 s8, s8, s2
	s_subb_u32 s9, s9, s3
	s_cmp_eq_u64 s[18:19], 0
	s_mov_b32 s2, -1
	s_cbranch_scc0 .LBB146_5
; %bb.1:
	v_dual_mov_b32 v2, 0 :: v_dual_lshlrev_b32 v1, 2, v0
	s_mov_b32 s17, exec_lo
	s_delay_alu instid0(VALU_DEP_1)
	v_cmpx_gt_i64_e64 s[8:9], v[1:2]
	s_cbranch_execz .LBB146_4
; %bb.2:
	s_load_b32 s2, s[0:1], 0xc5c
	v_lshlrev_b32_e32 v3, 3, v0
	s_mov_b32 s18, 0
	s_mov_b32 s21, 0xbf317218
	s_mov_b32 s22, 0x395133b1
	s_waitcnt lgkmcnt(0)
	s_and_b32 s2, s2, 0xffff
	s_delay_alu instid0(SALU_CYCLE_1)
	v_add_lshl_u32 v1, v0, s2, 2
	s_lshl_b32 s19, s2, 2
	s_lshl_b32 s20, s2, 3
.LBB146_3:                              ; =>This Inner Loop Header: Depth=1
	v_add_co_u32 v4, s2, s5, v3
	s_delay_alu instid0(VALU_DEP_1)
	v_add_co_ci_u32_e64 v5, null, s14, 0, s2
	v_cmp_le_i64_e32 vcc_lo, s[8:9], v[1:2]
	v_cmp_lt_u64_e64 s2, 0xffff, v[1:2]
	v_add_co_u32 v6, s3, s15, v3
	global_load_b64 v[4:5], v[4:5], off
	v_add_co_ci_u32_e64 v7, null, s16, 0, s3
	s_or_b32 s23, vcc_lo, s2
	v_add_co_u32 v1, s3, v1, s19
	s_delay_alu instid0(VALU_DEP_1)
	v_add_co_ci_u32_e64 v2, s3, 0, v2, s3
	s_add_u32 s5, s5, s20
	s_addc_u32 s14, s14, 0
	s_add_u32 s15, s15, s20
	s_addc_u32 s16, s16, 0
	s_waitcnt vmcnt(0)
	v_cvt_f32_f16_e32 v8, v4
	v_cvt_f32_f16_e32 v10, v5
	v_lshrrev_b32_e32 v11, 16, v5
	v_lshrrev_b32_e32 v9, 16, v4
	s_delay_alu instid0(VALU_DEP_3) | instskip(NEXT) | instid1(VALU_DEP_3)
	v_mul_f32_e32 v14, 0x3fb8aa3b, v10
	v_cvt_f32_f16_e32 v15, v11
	v_mul_f32_e32 v12, 0x3fb8aa3b, v8
	s_delay_alu instid0(VALU_DEP_4) | instskip(NEXT) | instid1(VALU_DEP_4)
	v_cvt_f32_f16_e32 v13, v9
	v_rndne_f32_e32 v14, v14
	s_delay_alu instid0(VALU_DEP_4) | instskip(NEXT) | instid1(VALU_DEP_4)
	v_mul_f32_e32 v17, 0x3fb8aa3b, v15
	v_rndne_f32_e32 v12, v12
	s_delay_alu instid0(VALU_DEP_3) | instskip(SKIP_1) | instid1(VALU_DEP_3)
	v_fma_mix_f32 v20, v14, s21, v5 op_sel_hi:[0,0,1]
	v_cvt_i32_f32_e32 v21, v14
	v_fma_mix_f32 v18, v12, s21, v4 op_sel_hi:[0,0,1]
	v_cmp_eq_f32_e32 vcc_lo, 0x43000000, v14
	v_rndne_f32_e32 v17, v17
	v_cvt_i32_f32_e32 v19, v12
	v_cmp_eq_f32_e64 s2, 0x43000000, v12
	v_fmac_f32_e32 v20, 0x3102e308, v14
	v_cndmask_b32_e64 v14, v21, 0x7f, vcc_lo
	v_fma_mix_f32 v21, v17, s21, v5 op_sel:[0,0,1] op_sel_hi:[0,0,1]
	v_fmac_f32_e32 v18, 0x3102e308, v12
	v_cndmask_b32_e64 v12, v19, 0x7f, s2
	v_cvt_i32_f32_e32 v23, v17
	v_cmp_eq_f32_e64 s3, 0x43000000, v17
	v_fmac_f32_e32 v21, 0x3102e308, v17
	v_fmaak_f32 v24, s22, v18, 0x3ab69700
	v_ldexp_f32 v12, 1.0, v12
	v_ldexp_f32 v14, 1.0, v14
	v_cndmask_b32_e64 v17, v23, 0x7f, s3
	v_fmaak_f32 v27, s22, v21, 0x3ab69700
	v_fmaak_f32 v23, v18, v24, 0x3c0887f9
	v_add_f32_e32 v24, -1.0, v12
	s_delay_alu instid0(VALU_DEP_4) | instskip(NEXT) | instid1(VALU_DEP_4)
	v_ldexp_f32 v17, 1.0, v17
	v_fmaak_f32 v27, v21, v27, 0x3c0887f9
	s_delay_alu instid0(VALU_DEP_4) | instskip(NEXT) | instid1(VALU_DEP_3)
	v_fmaak_f32 v23, v18, v23, 0x3d2aaa81
	v_add_f32_e32 v29, -1.0, v17
	s_delay_alu instid0(VALU_DEP_2) | instskip(NEXT) | instid1(VALU_DEP_1)
	v_fmaak_f32 v23, v18, v23, 0x3e2aaaab
	v_fma_f32 v23, v18, v23, 0.5
	s_delay_alu instid0(VALU_DEP_1) | instskip(NEXT) | instid1(VALU_DEP_1)
	v_dual_mul_f32 v16, 0x3fb8aa3b, v13 :: v_dual_mul_f32 v23, v18, v23
	v_rndne_f32_e32 v16, v16
	s_delay_alu instid0(VALU_DEP_2) | instskip(NEXT) | instid1(VALU_DEP_2)
	v_fmac_f32_e32 v18, v18, v23
	v_fma_mix_f32 v19, v16, s21, v4 op_sel:[0,0,1] op_sel_hi:[0,0,1]
	v_cvt_i32_f32_e32 v22, v16
	v_cmp_eq_f32_e64 s4, 0x43000000, v16
	s_delay_alu instid0(VALU_DEP_3) | instskip(NEXT) | instid1(VALU_DEP_2)
	v_fmac_f32_e32 v19, 0x3102e308, v16
	v_cndmask_b32_e64 v16, v22, 0x7f, s4
	s_delay_alu instid0(VALU_DEP_2) | instskip(SKIP_1) | instid1(VALU_DEP_3)
	v_dual_fmaak_f32 v22, s22, v20, 0x3ab69700 :: v_dual_fmaak_f32 v25, s22, v19, 0x3ab69700
	v_add_f32_e32 v26, -1.0, v14
	v_ldexp_f32 v16, 1.0, v16
	s_delay_alu instid0(VALU_DEP_3) | instskip(NEXT) | instid1(VALU_DEP_2)
	v_dual_fmaak_f32 v22, v20, v22, 0x3c0887f9 :: v_dual_fmaak_f32 v25, v19, v25, 0x3c0887f9
	v_add_f32_e32 v28, -1.0, v16
	s_delay_alu instid0(VALU_DEP_2) | instskip(NEXT) | instid1(VALU_DEP_1)
	v_dual_fmaak_f32 v22, v20, v22, 0x3d2aaa81 :: v_dual_fmaak_f32 v25, v19, v25, 0x3d2aaa81
	v_dual_fmaak_f32 v22, v20, v22, 0x3e2aaaab :: v_dual_fmaak_f32 v25, v19, v25, 0x3e2aaaab
	s_delay_alu instid0(VALU_DEP_1) | instskip(SKIP_1) | instid1(VALU_DEP_3)
	v_fma_f32 v22, v20, v22, 0.5
	v_fmaak_f32 v27, v21, v27, 0x3d2aaa81
	v_fma_f32 v25, v19, v25, 0.5
	s_delay_alu instid0(VALU_DEP_2) | instskip(NEXT) | instid1(VALU_DEP_1)
	v_dual_mul_f32 v22, v20, v22 :: v_dual_fmaak_f32 v27, v21, v27, 0x3e2aaaab
	v_fmac_f32_e32 v20, v20, v22
	s_delay_alu instid0(VALU_DEP_2) | instskip(NEXT) | instid1(VALU_DEP_1)
	v_fma_f32 v27, v21, v27, 0.5
	v_dual_mul_f32 v23, v19, v25 :: v_dual_mul_f32 v22, v21, v27
	s_delay_alu instid0(VALU_DEP_1) | instskip(NEXT) | instid1(VALU_DEP_2)
	v_dual_fmac_f32 v24, v12, v18 :: v_dual_fmac_f32 v19, v19, v23
	v_dual_fmac_f32 v26, v14, v20 :: v_dual_fmac_f32 v21, v21, v22
	s_delay_alu instid0(VALU_DEP_2) | instskip(NEXT) | instid1(VALU_DEP_2)
	v_add_f32_e32 v12, v24, v24
	v_dual_add_f32 v14, v26, v26 :: v_dual_fmac_f32 v29, v17, v21
	s_delay_alu instid0(VALU_DEP_2) | instskip(SKIP_1) | instid1(VALU_DEP_3)
	v_cndmask_b32_e64 v12, v24, v12, s2
	v_cmp_nlt_f32_e64 s2, 0x42b17217, v8
	v_cndmask_b32_e32 v14, v26, v14, vcc_lo
	v_cmp_nlt_f32_e32 vcc_lo, 0x42b17217, v10
	v_add_f32_e32 v10, v29, v29
	s_delay_alu instid0(VALU_DEP_4) | instskip(SKIP_2) | instid1(VALU_DEP_4)
	v_cndmask_b32_e64 v8, 0x7f800000, v12, s2
	v_cmp_nlt_f32_e64 s2, 0x42b17217, v13
	v_cndmask_b32_e32 v14, 0x7f800000, v14, vcc_lo
	v_cndmask_b32_e64 v10, v29, v10, s3
	v_cmp_nlt_f32_e32 vcc_lo, 0x42b17217, v15
	v_cvt_f16_f32_e32 v8, v8
	s_delay_alu instid0(VALU_DEP_4) | instskip(NEXT) | instid1(VALU_DEP_4)
	v_cvt_f16_f32_e32 v13, v14
	v_cndmask_b32_e32 v10, 0x7f800000, v10, vcc_lo
	v_cmp_ngt_f16_e32 vcc_lo, 0xcc40, v5
	v_fmac_f32_e32 v28, v16, v19
	s_delay_alu instid0(VALU_DEP_3) | instskip(NEXT) | instid1(VALU_DEP_2)
	v_cvt_f16_f32_e32 v5, v10
	v_add_f32_e32 v16, v28, v28
	s_delay_alu instid0(VALU_DEP_1) | instskip(NEXT) | instid1(VALU_DEP_1)
	v_cndmask_b32_e64 v12, v28, v16, s4
	v_cndmask_b32_e64 v12, 0x7f800000, v12, s2
	v_cmp_ngt_f16_e64 s2, 0xcc40, v4
	s_delay_alu instid0(VALU_DEP_1) | instskip(NEXT) | instid1(VALU_DEP_3)
	v_cndmask_b32_e64 v4, 0xbc00, v8, s2
	v_cvt_f16_f32_e32 v8, v12
	v_cmp_ngt_f16_e64 s2, 0xcc40, v9
	v_cndmask_b32_e32 v9, 0xbc00, v13, vcc_lo
	v_cmp_ngt_f16_e32 vcc_lo, 0xcc40, v11
	s_delay_alu instid0(VALU_DEP_3) | instskip(SKIP_3) | instid1(VALU_DEP_2)
	v_cndmask_b32_e64 v8, 0xbc00, v8, s2
	s_and_b32 s2, exec_lo, s23
	v_cndmask_b32_e32 v5, 0xbc00, v5, vcc_lo
	s_or_b32 s18, s2, s18
	v_pack_b32_f16 v4, v4, v8
	s_delay_alu instid0(VALU_DEP_2)
	v_pack_b32_f16 v5, v9, v5
	global_store_b64 v[6:7], v[4:5], off
	s_and_not1_b32 exec_lo, exec_lo, s18
	s_cbranch_execnz .LBB146_3
.LBB146_4:
	s_or_b32 exec_lo, exec_lo, s17
	s_mov_b32 s2, 0
.LBB146_5:
	s_delay_alu instid0(SALU_CYCLE_1)
	s_and_not1_b32 vcc_lo, exec_lo, s2
	s_cbranch_vccnz .LBB146_25
; %bb.6:
	v_cmp_lt_i64_e64 s2, s[8:9], 1
	s_delay_alu instid0(VALU_DEP_1)
	s_and_b32 vcc_lo, exec_lo, s2
	s_cbranch_vccnz .LBB146_25
; %bb.7:
	s_load_b32 s0, s[0:1], 0xc5c
	v_dual_mov_b32 v10, 0 :: v_dual_lshlrev_b32 v9, 1, v0
	v_cmp_gt_u64_e64 s1, 0x10000, s[8:9]
	s_delay_alu instid0(VALU_DEP_2) | instskip(NEXT) | instid1(VALU_DEP_1)
	v_add_co_u32 v1, s2, s10, v9
	v_add_co_ci_u32_e64 v2, null, s11, 0, s2
	v_add_co_u32 v3, s2, s12, v9
	s_delay_alu instid0(VALU_DEP_1)
	v_add_co_ci_u32_e64 v4, null, s13, 0, s2
	s_waitcnt lgkmcnt(0)
	s_and_b32 s0, s0, 0xffff
	s_and_b32 s1, s1, exec_lo
	v_mad_u64_u32 v[7:8], null, s0, 6, v[9:10]
	s_cselect_b32 s5, s9, 0
	s_cselect_b32 s4, s8, 0x10000
	s_lshl_b32 s1, s0, 1
	s_mul_i32 s2, s0, 3
	s_lshl_b32 s14, s0, 2
	s_lshl_b32 s15, s0, 3
	v_add_co_u32 v13, s0, v0, s0
	v_add_co_u32 v5, vcc_lo, s10, v7
	v_add_co_u32 v14, s3, s14, v9
	v_add_co_ci_u32_e32 v6, vcc_lo, s11, v8, vcc_lo
	s_delay_alu instid0(VALU_DEP_4)
	v_lshlrev_b32_e32 v21, 1, v13
	v_add_co_u32 v7, vcc_lo, s12, v7
	v_add_co_ci_u32_e64 v15, null, 0, 0, s3
	v_add_co_ci_u32_e32 v8, vcc_lo, s13, v8, vcc_lo
	v_add_co_ci_u32_e64 v16, null, 0, 0, s0
	v_add_co_u32 v17, s0, s1, v0
	v_add_co_u32 v11, vcc_lo, s10, v14
	v_add_co_ci_u32_e64 v18, null, 0, 0, s0
	v_add_co_u32 v19, s0, s10, v21
	v_add_co_ci_u32_e32 v12, vcc_lo, s11, v15, vcc_lo
	v_add_co_u32 v9, s2, s2, v0
	v_add_co_u32 v14, vcc_lo, s12, v14
	v_add_co_ci_u32_e64 v20, null, s11, 0, s0
	v_add_co_u32 v21, s0, s12, v21
	v_add_co_ci_u32_e64 v10, null, 0, 0, s2
	v_add_co_ci_u32_e32 v15, vcc_lo, s13, v15, vcc_lo
	v_add_co_ci_u32_e64 v22, null, s13, 0, s0
	s_mov_b64 s[10:11], 0
	s_mov_b32 s12, 0xbf317218
	s_mov_b32 s13, 0x395133b1
	s_branch .LBB146_9
.LBB146_8:                              ;   in Loop: Header=BB146_9 Depth=1
	s_or_b32 exec_lo, exec_lo, s0
	v_add_co_u32 v1, vcc_lo, v1, s15
	v_add_co_ci_u32_e32 v2, vcc_lo, 0, v2, vcc_lo
	v_add_co_u32 v3, vcc_lo, v3, s15
	v_add_co_ci_u32_e32 v4, vcc_lo, 0, v4, vcc_lo
	;; [unrolled: 2-line block ×5, first 2 shown]
	s_add_u32 s10, s10, s14
	v_add_co_u32 v14, vcc_lo, v14, s15
	s_addc_u32 s11, s11, 0
	v_add_co_ci_u32_e32 v15, vcc_lo, 0, v15, vcc_lo
	v_cmp_ge_i64_e64 s0, s[10:11], s[8:9]
	v_cmp_lt_u64_e64 s1, 0xffff, s[10:11]
	v_add_co_u32 v19, vcc_lo, v19, s15
	v_add_co_ci_u32_e32 v20, vcc_lo, 0, v20, vcc_lo
	v_add_co_u32 v21, vcc_lo, v21, s15
	v_add_co_ci_u32_e32 v22, vcc_lo, 0, v22, vcc_lo
	s_or_b32 s0, s0, s1
	s_delay_alu instid0(SALU_CYCLE_1)
	s_and_b32 vcc_lo, exec_lo, s0
	s_cbranch_vccnz .LBB146_25
.LBB146_9:                              ; =>This Inner Loop Header: Depth=1
	s_waitcnt vmcnt(0)
	v_add_co_u32 v23, s0, v0, s10
	s_delay_alu instid0(VALU_DEP_1) | instskip(SKIP_1) | instid1(VALU_DEP_2)
	v_add_co_ci_u32_e64 v24, null, 0, s11, s0
	v_mov_b32_e32 v26, 0
	v_cmp_gt_u64_e64 s2, s[4:5], v[23:24]
	s_delay_alu instid0(VALU_DEP_1)
	s_and_saveexec_b32 s0, s2
	s_cbranch_execz .LBB146_11
; %bb.10:                               ;   in Loop: Header=BB146_9 Depth=1
	v_add_co_u32 v23, vcc_lo, v1, s6
	v_add_co_ci_u32_e32 v24, vcc_lo, s7, v2, vcc_lo
	global_load_u16 v26, v[23:24], off
.LBB146_11:                             ;   in Loop: Header=BB146_9 Depth=1
	s_or_b32 exec_lo, exec_lo, s0
	v_add_co_u32 v23, vcc_lo, v13, s10
	v_add_co_ci_u32_e32 v24, vcc_lo, s11, v16, vcc_lo
	v_mov_b32_e32 v25, 0
	s_delay_alu instid0(VALU_DEP_2) | instskip(NEXT) | instid1(VALU_DEP_1)
	v_cmp_gt_u64_e64 s1, s[4:5], v[23:24]
	s_and_saveexec_b32 s0, s1
	s_cbranch_execz .LBB146_13
; %bb.12:                               ;   in Loop: Header=BB146_9 Depth=1
	v_add_co_u32 v23, vcc_lo, v19, s6
	v_add_co_ci_u32_e32 v24, vcc_lo, s7, v20, vcc_lo
	global_load_u16 v25, v[23:24], off
.LBB146_13:                             ;   in Loop: Header=BB146_9 Depth=1
	s_or_b32 exec_lo, exec_lo, s0
	v_add_co_u32 v23, vcc_lo, v17, s10
	v_add_co_ci_u32_e32 v24, vcc_lo, s11, v18, vcc_lo
	s_delay_alu instid0(VALU_DEP_1) | instskip(SKIP_1) | instid1(VALU_DEP_2)
	v_cmp_gt_u64_e64 s0, s[4:5], v[23:24]
	v_dual_mov_b32 v23, 0 :: v_dual_mov_b32 v24, 0
	s_and_saveexec_b32 s3, s0
	s_cbranch_execz .LBB146_15
; %bb.14:                               ;   in Loop: Header=BB146_9 Depth=1
	v_add_co_u32 v27, vcc_lo, v11, s6
	v_add_co_ci_u32_e32 v28, vcc_lo, s7, v12, vcc_lo
	global_load_u16 v24, v[27:28], off
.LBB146_15:                             ;   in Loop: Header=BB146_9 Depth=1
	s_or_b32 exec_lo, exec_lo, s3
	v_add_co_u32 v27, vcc_lo, v9, s10
	v_add_co_ci_u32_e32 v28, vcc_lo, s11, v10, vcc_lo
	s_delay_alu instid0(VALU_DEP_1)
	v_cmp_gt_u64_e32 vcc_lo, s[4:5], v[27:28]
	s_and_saveexec_b32 s16, vcc_lo
	s_cbranch_execnz .LBB146_20
; %bb.16:                               ;   in Loop: Header=BB146_9 Depth=1
	s_or_b32 exec_lo, exec_lo, s16
	s_and_saveexec_b32 s3, s2
	s_cbranch_execnz .LBB146_21
.LBB146_17:                             ;   in Loop: Header=BB146_9 Depth=1
	s_or_b32 exec_lo, exec_lo, s3
	s_and_saveexec_b32 s2, s1
	s_cbranch_execnz .LBB146_22
.LBB146_18:                             ;   in Loop: Header=BB146_9 Depth=1
	s_or_b32 exec_lo, exec_lo, s2
	s_and_saveexec_b32 s1, s0
	s_cbranch_execnz .LBB146_23
.LBB146_19:                             ;   in Loop: Header=BB146_9 Depth=1
	s_or_b32 exec_lo, exec_lo, s1
	s_and_saveexec_b32 s0, vcc_lo
	s_cbranch_execz .LBB146_8
	s_branch .LBB146_24
.LBB146_20:                             ;   in Loop: Header=BB146_9 Depth=1
	v_add_co_u32 v27, s3, v5, s6
	s_delay_alu instid0(VALU_DEP_1)
	v_add_co_ci_u32_e64 v28, s3, s7, v6, s3
	global_load_u16 v23, v[27:28], off
	s_or_b32 exec_lo, exec_lo, s16
	s_and_saveexec_b32 s3, s2
	s_cbranch_execz .LBB146_17
.LBB146_21:                             ;   in Loop: Header=BB146_9 Depth=1
	s_waitcnt vmcnt(0)
	v_cvt_f32_f16_e32 v27, v26
	s_delay_alu instid0(VALU_DEP_1) | instskip(NEXT) | instid1(VALU_DEP_1)
	v_mul_f32_e32 v28, 0x3fb8aa3b, v27
	v_rndne_f32_e32 v28, v28
	s_delay_alu instid0(VALU_DEP_1) | instskip(SKIP_2) | instid1(VALU_DEP_3)
	v_fma_mix_f32 v29, v28, s12, v26 op_sel_hi:[0,0,1]
	v_cvt_i32_f32_e32 v31, v28
	v_cmp_eq_f32_e64 s2, 0x43000000, v28
	v_fmac_f32_e32 v29, 0x3102e308, v28
	s_delay_alu instid0(VALU_DEP_2) | instskip(NEXT) | instid1(VALU_DEP_1)
	v_cndmask_b32_e64 v28, v31, 0x7f, s2
	v_ldexp_f32 v28, 1.0, v28
	s_delay_alu instid0(VALU_DEP_1) | instskip(NEXT) | instid1(VALU_DEP_1)
	v_dual_fmaak_f32 v30, s13, v29, 0x3ab69700 :: v_dual_add_f32 v31, -1.0, v28
	v_fmaak_f32 v30, v29, v30, 0x3c0887f9
	s_delay_alu instid0(VALU_DEP_1) | instskip(NEXT) | instid1(VALU_DEP_1)
	v_fmaak_f32 v30, v29, v30, 0x3d2aaa81
	v_fmaak_f32 v30, v29, v30, 0x3e2aaaab
	s_delay_alu instid0(VALU_DEP_1) | instskip(NEXT) | instid1(VALU_DEP_1)
	v_fma_f32 v30, v29, v30, 0.5
	v_mul_f32_e32 v30, v29, v30
	s_delay_alu instid0(VALU_DEP_1) | instskip(NEXT) | instid1(VALU_DEP_1)
	v_fmac_f32_e32 v29, v29, v30
	v_fmac_f32_e32 v31, v28, v29
	s_delay_alu instid0(VALU_DEP_1) | instskip(NEXT) | instid1(VALU_DEP_1)
	v_add_f32_e32 v28, v31, v31
	v_cndmask_b32_e64 v28, v31, v28, s2
	v_cmp_nlt_f32_e64 s2, 0x42b17217, v27
	s_delay_alu instid0(VALU_DEP_1) | instskip(SKIP_1) | instid1(VALU_DEP_2)
	v_cndmask_b32_e64 v27, 0x7f800000, v28, s2
	v_cmp_ngt_f16_e64 s2, 0xcc40, v26
	v_cvt_f16_f32_e32 v27, v27
	s_delay_alu instid0(VALU_DEP_1) | instskip(SKIP_1) | instid1(VALU_DEP_1)
	v_cndmask_b32_e64 v28, 0xbc00, v27, s2
	v_add_co_u32 v26, s2, v3, s6
	v_add_co_ci_u32_e64 v27, s2, s7, v4, s2
	global_store_b16 v[26:27], v28, off
	s_or_b32 exec_lo, exec_lo, s3
	s_and_saveexec_b32 s2, s1
	s_cbranch_execz .LBB146_18
.LBB146_22:                             ;   in Loop: Header=BB146_9 Depth=1
	s_waitcnt vmcnt(0)
	v_cvt_f32_f16_e32 v26, v25
	s_delay_alu instid0(VALU_DEP_1) | instskip(NEXT) | instid1(VALU_DEP_1)
	v_mul_f32_e32 v27, 0x3fb8aa3b, v26
	v_rndne_f32_e32 v27, v27
	s_delay_alu instid0(VALU_DEP_1) | instskip(SKIP_2) | instid1(VALU_DEP_3)
	v_fma_mix_f32 v28, v27, s12, v25 op_sel_hi:[0,0,1]
	v_cvt_i32_f32_e32 v30, v27
	v_cmp_eq_f32_e64 s1, 0x43000000, v27
	v_fmac_f32_e32 v28, 0x3102e308, v27
	s_delay_alu instid0(VALU_DEP_2) | instskip(NEXT) | instid1(VALU_DEP_1)
	v_cndmask_b32_e64 v27, v30, 0x7f, s1
	v_ldexp_f32 v27, 1.0, v27
	s_delay_alu instid0(VALU_DEP_1) | instskip(NEXT) | instid1(VALU_DEP_1)
	v_dual_fmaak_f32 v29, s13, v28, 0x3ab69700 :: v_dual_add_f32 v30, -1.0, v27
	v_fmaak_f32 v29, v28, v29, 0x3c0887f9
	s_delay_alu instid0(VALU_DEP_1) | instskip(NEXT) | instid1(VALU_DEP_1)
	v_fmaak_f32 v29, v28, v29, 0x3d2aaa81
	v_fmaak_f32 v29, v28, v29, 0x3e2aaaab
	s_delay_alu instid0(VALU_DEP_1) | instskip(NEXT) | instid1(VALU_DEP_1)
	v_fma_f32 v29, v28, v29, 0.5
	v_mul_f32_e32 v29, v28, v29
	s_delay_alu instid0(VALU_DEP_1) | instskip(NEXT) | instid1(VALU_DEP_1)
	v_fmac_f32_e32 v28, v28, v29
	v_fmac_f32_e32 v30, v27, v28
	s_delay_alu instid0(VALU_DEP_1) | instskip(NEXT) | instid1(VALU_DEP_1)
	v_add_f32_e32 v27, v30, v30
	v_cndmask_b32_e64 v27, v30, v27, s1
	v_cmp_nlt_f32_e64 s1, 0x42b17217, v26
	s_delay_alu instid0(VALU_DEP_1) | instskip(SKIP_1) | instid1(VALU_DEP_2)
	v_cndmask_b32_e64 v26, 0x7f800000, v27, s1
	v_cmp_ngt_f16_e64 s1, 0xcc40, v25
	v_cvt_f16_f32_e32 v26, v26
	s_delay_alu instid0(VALU_DEP_1) | instskip(SKIP_1) | instid1(VALU_DEP_1)
	v_cndmask_b32_e64 v27, 0xbc00, v26, s1
	v_add_co_u32 v25, s1, v21, s6
	v_add_co_ci_u32_e64 v26, s1, s7, v22, s1
	global_store_b16 v[25:26], v27, off
	s_or_b32 exec_lo, exec_lo, s2
	s_and_saveexec_b32 s1, s0
	s_cbranch_execz .LBB146_19
.LBB146_23:                             ;   in Loop: Header=BB146_9 Depth=1
	s_waitcnt vmcnt(0)
	v_cvt_f32_f16_e32 v25, v24
	s_delay_alu instid0(VALU_DEP_1) | instskip(NEXT) | instid1(VALU_DEP_1)
	v_mul_f32_e32 v26, 0x3fb8aa3b, v25
	v_rndne_f32_e32 v26, v26
	s_delay_alu instid0(VALU_DEP_1) | instskip(SKIP_2) | instid1(VALU_DEP_3)
	v_fma_mix_f32 v27, v26, s12, v24 op_sel_hi:[0,0,1]
	v_cvt_i32_f32_e32 v29, v26
	v_cmp_eq_f32_e64 s0, 0x43000000, v26
	v_fmac_f32_e32 v27, 0x3102e308, v26
	s_delay_alu instid0(VALU_DEP_2) | instskip(NEXT) | instid1(VALU_DEP_1)
	v_cndmask_b32_e64 v26, v29, 0x7f, s0
	v_ldexp_f32 v26, 1.0, v26
	s_delay_alu instid0(VALU_DEP_1) | instskip(NEXT) | instid1(VALU_DEP_1)
	v_dual_fmaak_f32 v28, s13, v27, 0x3ab69700 :: v_dual_add_f32 v29, -1.0, v26
	v_fmaak_f32 v28, v27, v28, 0x3c0887f9
	s_delay_alu instid0(VALU_DEP_1) | instskip(NEXT) | instid1(VALU_DEP_1)
	v_fmaak_f32 v28, v27, v28, 0x3d2aaa81
	v_fmaak_f32 v28, v27, v28, 0x3e2aaaab
	s_delay_alu instid0(VALU_DEP_1) | instskip(NEXT) | instid1(VALU_DEP_1)
	v_fma_f32 v28, v27, v28, 0.5
	v_mul_f32_e32 v28, v27, v28
	s_delay_alu instid0(VALU_DEP_1) | instskip(NEXT) | instid1(VALU_DEP_1)
	v_fmac_f32_e32 v27, v27, v28
	v_fmac_f32_e32 v29, v26, v27
	s_delay_alu instid0(VALU_DEP_1) | instskip(NEXT) | instid1(VALU_DEP_1)
	v_add_f32_e32 v26, v29, v29
	v_cndmask_b32_e64 v26, v29, v26, s0
	v_cmp_nlt_f32_e64 s0, 0x42b17217, v25
	s_delay_alu instid0(VALU_DEP_1) | instskip(SKIP_1) | instid1(VALU_DEP_2)
	v_cndmask_b32_e64 v25, 0x7f800000, v26, s0
	v_cmp_ngt_f16_e64 s0, 0xcc40, v24
	v_cvt_f16_f32_e32 v25, v25
	s_delay_alu instid0(VALU_DEP_1) | instskip(SKIP_1) | instid1(VALU_DEP_1)
	v_cndmask_b32_e64 v26, 0xbc00, v25, s0
	v_add_co_u32 v24, s0, v14, s6
	v_add_co_ci_u32_e64 v25, s0, s7, v15, s0
	global_store_b16 v[24:25], v26, off
	s_or_b32 exec_lo, exec_lo, s1
	s_and_saveexec_b32 s0, vcc_lo
	s_cbranch_execz .LBB146_8
.LBB146_24:                             ;   in Loop: Header=BB146_9 Depth=1
	s_waitcnt vmcnt(0)
	v_cvt_f32_f16_e32 v24, v23
	s_delay_alu instid0(VALU_DEP_1) | instskip(NEXT) | instid1(VALU_DEP_1)
	v_mul_f32_e32 v25, 0x3fb8aa3b, v24
	v_rndne_f32_e32 v25, v25
	s_delay_alu instid0(VALU_DEP_1) | instskip(SKIP_2) | instid1(VALU_DEP_3)
	v_fma_mix_f32 v26, v25, s12, v23 op_sel_hi:[0,0,1]
	v_cvt_i32_f32_e32 v28, v25
	v_cmp_eq_f32_e32 vcc_lo, 0x43000000, v25
	v_fmac_f32_e32 v26, 0x3102e308, v25
	s_delay_alu instid0(VALU_DEP_3) | instskip(NEXT) | instid1(VALU_DEP_1)
	v_cndmask_b32_e64 v25, v28, 0x7f, vcc_lo
	v_ldexp_f32 v25, 1.0, v25
	s_delay_alu instid0(VALU_DEP_1) | instskip(NEXT) | instid1(VALU_DEP_1)
	v_dual_fmaak_f32 v27, s13, v26, 0x3ab69700 :: v_dual_add_f32 v28, -1.0, v25
	v_fmaak_f32 v27, v26, v27, 0x3c0887f9
	s_delay_alu instid0(VALU_DEP_1) | instskip(NEXT) | instid1(VALU_DEP_1)
	v_fmaak_f32 v27, v26, v27, 0x3d2aaa81
	v_fmaak_f32 v27, v26, v27, 0x3e2aaaab
	s_delay_alu instid0(VALU_DEP_1) | instskip(NEXT) | instid1(VALU_DEP_1)
	v_fma_f32 v27, v26, v27, 0.5
	v_mul_f32_e32 v27, v26, v27
	s_delay_alu instid0(VALU_DEP_1) | instskip(NEXT) | instid1(VALU_DEP_1)
	v_fmac_f32_e32 v26, v26, v27
	v_fmac_f32_e32 v28, v25, v26
	s_delay_alu instid0(VALU_DEP_1) | instskip(NEXT) | instid1(VALU_DEP_1)
	v_add_f32_e32 v25, v28, v28
	v_cndmask_b32_e32 v25, v28, v25, vcc_lo
	v_cmp_nlt_f32_e32 vcc_lo, 0x42b17217, v24
	s_delay_alu instid0(VALU_DEP_2) | instskip(SKIP_1) | instid1(VALU_DEP_2)
	v_cndmask_b32_e32 v24, 0x7f800000, v25, vcc_lo
	v_cmp_ngt_f16_e32 vcc_lo, 0xcc40, v23
	v_cvt_f16_f32_e32 v24, v24
	s_delay_alu instid0(VALU_DEP_1)
	v_cndmask_b32_e32 v25, 0xbc00, v24, vcc_lo
	v_add_co_u32 v23, vcc_lo, v7, s6
	v_add_co_ci_u32_e32 v24, vcc_lo, s7, v8, vcc_lo
	global_store_b16 v[23:24], v25, off
	s_branch .LBB146_8
.LBB146_25:
	s_nop 0
	s_sendmsg sendmsg(MSG_DEALLOC_VGPRS)
	s_endpgm
	.section	.rodata,"a",@progbits
	.p2align	6, 0x0
	.amdhsa_kernel _ZN2at6native12_GLOBAL__N_125multi_tensor_apply_kernelINS1_18TensorListMetadataILi2EEENS1_14UnaryOpFunctorIN3c104HalfELi2ELi1ELi1EEEJNS0_5Expm1IfEEEEEvT_T0_DpT1_
		.amdhsa_group_segment_fixed_size 0
		.amdhsa_private_segment_fixed_size 0
		.amdhsa_kernarg_size 3408
		.amdhsa_user_sgpr_count 15
		.amdhsa_user_sgpr_dispatch_ptr 0
		.amdhsa_user_sgpr_queue_ptr 0
		.amdhsa_user_sgpr_kernarg_segment_ptr 1
		.amdhsa_user_sgpr_dispatch_id 0
		.amdhsa_user_sgpr_private_segment_size 0
		.amdhsa_wavefront_size32 1
		.amdhsa_uses_dynamic_stack 0
		.amdhsa_enable_private_segment 0
		.amdhsa_system_sgpr_workgroup_id_x 1
		.amdhsa_system_sgpr_workgroup_id_y 0
		.amdhsa_system_sgpr_workgroup_id_z 0
		.amdhsa_system_sgpr_workgroup_info 0
		.amdhsa_system_vgpr_workitem_id 0
		.amdhsa_next_free_vgpr 32
		.amdhsa_next_free_sgpr 24
		.amdhsa_reserve_vcc 1
		.amdhsa_float_round_mode_32 0
		.amdhsa_float_round_mode_16_64 0
		.amdhsa_float_denorm_mode_32 3
		.amdhsa_float_denorm_mode_16_64 3
		.amdhsa_dx10_clamp 1
		.amdhsa_ieee_mode 1
		.amdhsa_fp16_overflow 0
		.amdhsa_workgroup_processor_mode 1
		.amdhsa_memory_ordered 1
		.amdhsa_forward_progress 0
		.amdhsa_shared_vgpr_count 0
		.amdhsa_exception_fp_ieee_invalid_op 0
		.amdhsa_exception_fp_denorm_src 0
		.amdhsa_exception_fp_ieee_div_zero 0
		.amdhsa_exception_fp_ieee_overflow 0
		.amdhsa_exception_fp_ieee_underflow 0
		.amdhsa_exception_fp_ieee_inexact 0
		.amdhsa_exception_int_div_zero 0
	.end_amdhsa_kernel
	.section	.text._ZN2at6native12_GLOBAL__N_125multi_tensor_apply_kernelINS1_18TensorListMetadataILi2EEENS1_14UnaryOpFunctorIN3c104HalfELi2ELi1ELi1EEEJNS0_5Expm1IfEEEEEvT_T0_DpT1_,"axG",@progbits,_ZN2at6native12_GLOBAL__N_125multi_tensor_apply_kernelINS1_18TensorListMetadataILi2EEENS1_14UnaryOpFunctorIN3c104HalfELi2ELi1ELi1EEEJNS0_5Expm1IfEEEEEvT_T0_DpT1_,comdat
.Lfunc_end146:
	.size	_ZN2at6native12_GLOBAL__N_125multi_tensor_apply_kernelINS1_18TensorListMetadataILi2EEENS1_14UnaryOpFunctorIN3c104HalfELi2ELi1ELi1EEEJNS0_5Expm1IfEEEEEvT_T0_DpT1_, .Lfunc_end146-_ZN2at6native12_GLOBAL__N_125multi_tensor_apply_kernelINS1_18TensorListMetadataILi2EEENS1_14UnaryOpFunctorIN3c104HalfELi2ELi1ELi1EEEJNS0_5Expm1IfEEEEEvT_T0_DpT1_
                                        ; -- End function
	.section	.AMDGPU.csdata,"",@progbits
; Kernel info:
; codeLenInByte = 3064
; NumSgprs: 26
; NumVgprs: 32
; ScratchSize: 0
; MemoryBound: 0
; FloatMode: 240
; IeeeMode: 1
; LDSByteSize: 0 bytes/workgroup (compile time only)
; SGPRBlocks: 3
; VGPRBlocks: 3
; NumSGPRsForWavesPerEU: 26
; NumVGPRsForWavesPerEU: 32
; Occupancy: 16
; WaveLimiterHint : 0
; COMPUTE_PGM_RSRC2:SCRATCH_EN: 0
; COMPUTE_PGM_RSRC2:USER_SGPR: 15
; COMPUTE_PGM_RSRC2:TRAP_HANDLER: 0
; COMPUTE_PGM_RSRC2:TGID_X_EN: 1
; COMPUTE_PGM_RSRC2:TGID_Y_EN: 0
; COMPUTE_PGM_RSRC2:TGID_Z_EN: 0
; COMPUTE_PGM_RSRC2:TIDIG_COMP_CNT: 0
	.section	.text._ZN2at6native12_GLOBAL__N_125multi_tensor_apply_kernelINS1_18TensorListMetadataILi2EEENS1_14UnaryOpFunctorIN3c108BFloat16ELi2ELi1ELi1EEEJNS0_5Expm1IfEEEEEvT_T0_DpT1_,"axG",@progbits,_ZN2at6native12_GLOBAL__N_125multi_tensor_apply_kernelINS1_18TensorListMetadataILi2EEENS1_14UnaryOpFunctorIN3c108BFloat16ELi2ELi1ELi1EEEJNS0_5Expm1IfEEEEEvT_T0_DpT1_,comdat
	.globl	_ZN2at6native12_GLOBAL__N_125multi_tensor_apply_kernelINS1_18TensorListMetadataILi2EEENS1_14UnaryOpFunctorIN3c108BFloat16ELi2ELi1ELi1EEEJNS0_5Expm1IfEEEEEvT_T0_DpT1_ ; -- Begin function _ZN2at6native12_GLOBAL__N_125multi_tensor_apply_kernelINS1_18TensorListMetadataILi2EEENS1_14UnaryOpFunctorIN3c108BFloat16ELi2ELi1ELi1EEEJNS0_5Expm1IfEEEEEvT_T0_DpT1_
	.p2align	8
	.type	_ZN2at6native12_GLOBAL__N_125multi_tensor_apply_kernelINS1_18TensorListMetadataILi2EEENS1_14UnaryOpFunctorIN3c108BFloat16ELi2ELi1ELi1EEEJNS0_5Expm1IfEEEEEvT_T0_DpT1_,@function
_ZN2at6native12_GLOBAL__N_125multi_tensor_apply_kernelINS1_18TensorListMetadataILi2EEENS1_14UnaryOpFunctorIN3c108BFloat16ELi2ELi1ELi1EEEJNS0_5Expm1IfEEEEEvT_T0_DpT1_: ; @_ZN2at6native12_GLOBAL__N_125multi_tensor_apply_kernelINS1_18TensorListMetadataILi2EEENS1_14UnaryOpFunctorIN3c108BFloat16ELi2ELi1ELi1EEEJNS0_5Expm1IfEEEEEvT_T0_DpT1_
; %bb.0:
	v_mov_b32_e32 v1, s15
	s_add_u32 s2, s0, s15
	s_mul_hi_u32 s3, s15, 3
	s_mul_i32 s15, s15, 3
	s_addc_u32 s4, s1, 0
	global_load_u8 v1, v1, s[0:1] offset:1536
	s_add_u32 s2, s2, s15
	s_addc_u32 s3, s4, s3
	s_mov_b32 s7, 0
	s_load_b32 s2, s[2:3], 0x740
	s_mov_b32 s17, s7
	s_mov_b32 s11, s7
	s_waitcnt vmcnt(0)
	v_readfirstlane_b32 s5, v1
	s_delay_alu instid0(VALU_DEP_1)
	s_lshl_b32 s3, s5, 3
	s_clause 0x2
	s_load_b64 s[12:13], s[0:1], s3 offset:0x0
	s_load_b64 s[14:15], s[0:1], s3 offset:0x200
	;; [unrolled: 1-line block ×3, first 2 shown]
	s_waitcnt lgkmcnt(0)
	s_ashr_i32 s3, s2, 31
	s_delay_alu instid0(SALU_CYCLE_1) | instskip(SKIP_4) | instid1(SALU_CYCLE_1)
	s_lshl_b64 s[8:9], s[2:3], 17
	s_lshl_b64 s[2:3], s[2:3], 16
	s_and_b32 s6, s12, 7
	s_and_b32 s10, s14, 7
	;; [unrolled: 1-line block ×3, first 2 shown]
	s_or_b64 s[6:7], s[6:7], s[16:17]
	s_delay_alu instid0(SALU_CYCLE_1)
	s_or_b64 s[6:7], s[10:11], s[6:7]
	s_sub_u32 s10, s4, s2
	s_subb_u32 s11, s5, s3
	s_cmp_eq_u64 s[6:7], 0
	s_mov_b32 s2, -1
	s_cbranch_scc0 .LBB147_5
; %bb.1:
	v_dual_mov_b32 v2, 0 :: v_dual_lshlrev_b32 v1, 2, v0
	s_mov_b32 s16, exec_lo
	s_delay_alu instid0(VALU_DEP_1)
	v_cmpx_gt_i64_e64 s[10:11], v[1:2]
	s_cbranch_execz .LBB147_4
; %bb.2:
	s_load_b32 s2, s[0:1], 0xc5c
	v_lshlrev_b32_e32 v1, 3, v0
	s_mov_b32 s17, 0
	s_mov_b32 s20, 0x395133b1
	s_delay_alu instid0(VALU_DEP_1) | instskip(NEXT) | instid1(VALU_DEP_1)
	v_add_co_u32 v3, s3, s8, v1
	v_add_co_ci_u32_e64 v4, null, s9, 0, s3
	s_waitcnt lgkmcnt(0)
	s_and_b32 s2, s2, 0xffff
	s_delay_alu instid0(SALU_CYCLE_1)
	v_add_lshl_u32 v1, v0, s2, 2
	s_lshl_b32 s18, s2, 3
	s_lshl_b32 s19, s2, 2
.LBB147_3:                              ; =>This Inner Loop Header: Depth=1
	v_add_co_u32 v5, vcc_lo, s12, v3
	v_add_co_ci_u32_e32 v6, vcc_lo, s13, v4, vcc_lo
	v_add_co_u32 v7, vcc_lo, s14, v3
	v_add_co_ci_u32_e32 v8, vcc_lo, s15, v4, vcc_lo
	global_load_b64 v[5:6], v[5:6], off
	v_cmp_le_i64_e32 vcc_lo, s[10:11], v[1:2]
	v_cmp_lt_u64_e64 s2, 0xffff, v[1:2]
	v_add_co_u32 v3, s3, v3, s18
	s_delay_alu instid0(VALU_DEP_1) | instskip(SKIP_1) | instid1(VALU_DEP_4)
	v_add_co_ci_u32_e64 v4, s3, 0, v4, s3
	v_add_co_u32 v1, s3, v1, s19
	s_or_b32 s2, vcc_lo, s2
	v_add_co_ci_u32_e64 v2, s3, 0, v2, s3
	s_and_b32 s2, exec_lo, s2
	s_delay_alu instid0(SALU_CYCLE_1)
	s_or_b32 s17, s2, s17
	s_waitcnt vmcnt(0)
	v_and_b32_e32 v10, 0xffff0000, v5
	v_lshlrev_b32_e32 v9, 16, v5
	v_alignbit_b32 v5, v6, v5, 16
	v_and_b32_e32 v6, 0xffff0000, v6
	s_delay_alu instid0(VALU_DEP_3) | instskip(NEXT) | instid1(VALU_DEP_1)
	v_dual_mul_f32 v12, 0x3fb8aa3b, v10 :: v_dual_mul_f32 v11, 0x3fb8aa3b, v9
	v_rndne_f32_e32 v12, v12
	s_delay_alu instid0(VALU_DEP_2) | instskip(NEXT) | instid1(VALU_DEP_2)
	v_rndne_f32_e32 v11, v11
	v_cvt_i32_f32_e32 v18, v12
	s_delay_alu instid0(VALU_DEP_2) | instskip(SKIP_3) | instid1(VALU_DEP_4)
	v_fmamk_f32 v15, v11, 0xbf317218, v9
	v_cvt_i32_f32_e32 v16, v11
	v_cmp_eq_f32_e64 s6, 0x43000000, v11
	v_cmp_eq_f32_e64 s4, 0x43000000, v12
	v_fmac_f32_e32 v15, 0x3102e308, v11
	s_delay_alu instid0(VALU_DEP_3) | instskip(NEXT) | instid1(VALU_DEP_1)
	v_cndmask_b32_e64 v11, v16, 0x7f, s6
	v_ldexp_f32 v11, 1.0, v11
	s_delay_alu instid0(VALU_DEP_1) | instskip(NEXT) | instid1(VALU_DEP_1)
	v_dual_add_f32 v22, -1.0, v11 :: v_dual_and_b32 v5, 0xffff0000, v5
	v_dual_mul_f32 v13, 0x3fb8aa3b, v6 :: v_dual_mul_f32 v14, 0x3fb8aa3b, v5
	s_delay_alu instid0(VALU_DEP_1) | instskip(NEXT) | instid1(VALU_DEP_2)
	v_rndne_f32_e32 v13, v13
	v_rndne_f32_e32 v14, v14
	v_fmamk_f32 v17, v12, 0xbf317218, v10
	s_delay_alu instid0(VALU_DEP_3) | instskip(NEXT) | instid1(VALU_DEP_3)
	v_cvt_i32_f32_e32 v20, v13
	v_fmamk_f32 v16, v14, 0xbf317218, v5
	v_cmp_eq_f32_e64 s5, 0x43000000, v13
	v_cmp_eq_f32_e64 s7, 0x43000000, v14
	s_delay_alu instid0(VALU_DEP_3) | instskip(SKIP_1) | instid1(VALU_DEP_1)
	v_fmac_f32_e32 v16, 0x3102e308, v14
	v_fmamk_f32 v19, v13, 0xbf317218, v6
	v_fmac_f32_e32 v19, 0x3102e308, v13
	v_cndmask_b32_e64 v13, v20, 0x7f, s5
	v_fmaak_f32 v20, s20, v15, 0x3ab69700
	s_delay_alu instid0(VALU_DEP_2) | instskip(NEXT) | instid1(VALU_DEP_1)
	v_ldexp_f32 v13, 1.0, v13
	v_dual_fmaak_f32 v20, v15, v20, 0x3c0887f9 :: v_dual_add_f32 v25, -1.0, v13
	s_delay_alu instid0(VALU_DEP_1) | instskip(NEXT) | instid1(VALU_DEP_1)
	v_fmaak_f32 v20, v15, v20, 0x3d2aaa81
	v_fmaak_f32 v20, v15, v20, 0x3e2aaaab
	s_delay_alu instid0(VALU_DEP_1) | instskip(NEXT) | instid1(VALU_DEP_1)
	v_fma_f32 v20, v15, v20, 0.5
	v_mul_f32_e32 v20, v15, v20
	s_delay_alu instid0(VALU_DEP_1) | instskip(NEXT) | instid1(VALU_DEP_1)
	v_fmac_f32_e32 v15, v15, v20
	v_dual_fmac_f32 v22, v11, v15 :: v_dual_fmac_f32 v17, 0x3102e308, v12
	v_cndmask_b32_e64 v12, v18, 0x7f, s4
	v_cvt_i32_f32_e32 v18, v14
	s_delay_alu instid0(VALU_DEP_3) | instskip(NEXT) | instid1(VALU_DEP_3)
	v_add_f32_e32 v11, v22, v22
	v_ldexp_f32 v12, 1.0, v12
	s_delay_alu instid0(VALU_DEP_3) | instskip(SKIP_1) | instid1(VALU_DEP_4)
	v_cndmask_b32_e64 v14, v18, 0x7f, s7
	v_fmaak_f32 v18, s20, v19, 0x3ab69700
	v_cndmask_b32_e64 v11, v22, v11, s6
	v_cmp_nlt_f32_e64 s6, 0x42b17217, v9
	v_add_f32_e32 v23, -1.0, v12
	v_ldexp_f32 v14, 1.0, v14
	v_fmaak_f32 v18, v19, v18, 0x3c0887f9
	s_delay_alu instid0(VALU_DEP_4) | instskip(SKIP_1) | instid1(VALU_DEP_4)
	v_cndmask_b32_e64 v11, 0x7f800000, v11, s6
	v_cmp_nlt_f32_e64 s6, 0x42b17217, v5
	v_add_f32_e32 v26, -1.0, v14
	s_delay_alu instid0(VALU_DEP_4) | instskip(NEXT) | instid1(VALU_DEP_1)
	v_fmaak_f32 v18, v19, v18, 0x3d2aaa81
	v_fmaak_f32 v18, v19, v18, 0x3e2aaaab
	s_delay_alu instid0(VALU_DEP_1) | instskip(NEXT) | instid1(VALU_DEP_1)
	v_fma_f32 v18, v19, v18, 0.5
	v_dual_mul_f32 v18, v19, v18 :: v_dual_fmaak_f32 v21, s20, v17, 0x3ab69700
	s_delay_alu instid0(VALU_DEP_1) | instskip(NEXT) | instid1(VALU_DEP_2)
	v_fmac_f32_e32 v19, v19, v18
	v_fmaak_f32 v21, v17, v21, 0x3c0887f9
	s_delay_alu instid0(VALU_DEP_2) | instskip(NEXT) | instid1(VALU_DEP_2)
	v_fmac_f32_e32 v25, v13, v19
	v_fmaak_f32 v21, v17, v21, 0x3d2aaa81
	s_delay_alu instid0(VALU_DEP_2) | instskip(NEXT) | instid1(VALU_DEP_2)
	v_add_f32_e32 v13, v25, v25
	v_fmaak_f32 v21, v17, v21, 0x3e2aaaab
	s_delay_alu instid0(VALU_DEP_2) | instskip(NEXT) | instid1(VALU_DEP_2)
	v_cndmask_b32_e64 v13, v25, v13, s5
	v_fma_f32 v21, v17, v21, 0.5
	v_cmp_nlt_f32_e64 s5, 0x42b17217, v6
	s_delay_alu instid0(VALU_DEP_2) | instskip(NEXT) | instid1(VALU_DEP_2)
	v_dual_mul_f32 v21, v17, v21 :: v_dual_fmaak_f32 v24, s20, v16, 0x3ab69700
	v_cndmask_b32_e64 v13, 0x7f800000, v13, s5
	v_cmp_ngt_f32_e64 s5, 0xc1880000, v6
	s_delay_alu instid0(VALU_DEP_3) | instskip(NEXT) | instid1(VALU_DEP_1)
	v_dual_fmac_f32 v17, v17, v21 :: v_dual_fmaak_f32 v24, v16, v24, 0x3c0887f9
	v_fmac_f32_e32 v23, v12, v17
	s_delay_alu instid0(VALU_DEP_2) | instskip(NEXT) | instid1(VALU_DEP_2)
	v_fmaak_f32 v24, v16, v24, 0x3d2aaa81
	v_add_f32_e32 v12, v23, v23
	s_delay_alu instid0(VALU_DEP_2) | instskip(NEXT) | instid1(VALU_DEP_2)
	v_fmaak_f32 v24, v16, v24, 0x3e2aaaab
	v_cndmask_b32_e64 v12, v23, v12, s4
	s_delay_alu instid0(VALU_DEP_2) | instskip(SKIP_1) | instid1(VALU_DEP_2)
	v_fma_f32 v24, v16, v24, 0.5
	v_cmp_nlt_f32_e64 s4, 0x42b17217, v10
	v_mul_f32_e32 v20, v16, v24
	s_delay_alu instid0(VALU_DEP_2) | instskip(SKIP_1) | instid1(VALU_DEP_3)
	v_cndmask_b32_e64 v12, 0x7f800000, v12, s4
	v_cmp_ngt_f32_e64 s4, 0xc1880000, v10
	v_fmac_f32_e32 v16, v16, v20
	s_delay_alu instid0(VALU_DEP_1) | instskip(NEXT) | instid1(VALU_DEP_1)
	v_fmac_f32_e32 v26, v14, v16
	v_add_f32_e32 v14, v26, v26
	s_delay_alu instid0(VALU_DEP_1) | instskip(SKIP_1) | instid1(VALU_DEP_2)
	v_cndmask_b32_e64 v10, v26, v14, s7
	v_cmp_ngt_f32_e64 s7, 0xc1880000, v9
	v_cndmask_b32_e64 v9, 0x7f800000, v10, s6
	s_delay_alu instid0(VALU_DEP_2) | instskip(SKIP_3) | instid1(VALU_DEP_4)
	v_cndmask_b32_e64 v6, -1.0, v11, s7
	v_cndmask_b32_e64 v10, -1.0, v12, s4
	;; [unrolled: 1-line block ×3, first 2 shown]
	v_cmp_ngt_f32_e64 s4, 0xc1880000, v5
	v_bfe_u32 v5, v6, 16, 1
	s_delay_alu instid0(VALU_DEP_4) | instskip(NEXT) | instid1(VALU_DEP_4)
	v_bfe_u32 v12, v10, 16, 1
	v_bfe_u32 v13, v11, 16, 1
	s_delay_alu instid0(VALU_DEP_4)
	v_cndmask_b32_e64 v9, -1.0, v9, s4
	v_cmp_o_f32_e64 s4, v6, v6
	v_add3_u32 v5, v6, v5, 0x7fff
	v_add3_u32 v12, v10, v12, 0x7fff
	;; [unrolled: 1-line block ×3, first 2 shown]
	v_bfe_u32 v14, v9, 16, 1
	v_cmp_o_f32_e64 s5, v10, v10
	v_lshrrev_b32_e32 v5, 16, v5
	v_and_b32_e32 v12, 0xffff0000, v12
	v_and_b32_e32 v13, 0xffff0000, v13
	v_add3_u32 v14, v9, v14, 0x7fff
	s_delay_alu instid0(VALU_DEP_4) | instskip(SKIP_2) | instid1(VALU_DEP_4)
	v_cndmask_b32_e64 v5, 0x7fc0, v5, s4
	v_cmp_o_f32_e64 s4, v11, v11
	v_cndmask_b32_e64 v10, 0x7fc00000, v12, s5
	v_lshrrev_b32_e32 v6, 16, v14
	s_delay_alu instid0(VALU_DEP_3) | instskip(SKIP_1) | instid1(VALU_DEP_4)
	v_cndmask_b32_e64 v11, 0x7fc00000, v13, s4
	v_cmp_o_f32_e64 s4, v9, v9
	v_or_b32_e32 v5, v5, v10
	s_delay_alu instid0(VALU_DEP_2) | instskip(NEXT) | instid1(VALU_DEP_2)
	v_cndmask_b32_e64 v6, 0x7fc0, v6, s4
	v_or3_b32 v5, v5, 0, 0
	s_delay_alu instid0(VALU_DEP_2)
	v_or3_b32 v6, 0, v6, v11
	global_store_b64 v[7:8], v[5:6], off
	s_and_not1_b32 exec_lo, exec_lo, s17
	s_cbranch_execnz .LBB147_3
.LBB147_4:
	s_or_b32 exec_lo, exec_lo, s16
	s_mov_b32 s2, 0
.LBB147_5:
	s_delay_alu instid0(SALU_CYCLE_1)
	s_and_not1_b32 vcc_lo, exec_lo, s2
	s_cbranch_vccnz .LBB147_25
; %bb.6:
	v_cmp_lt_i64_e64 s2, s[10:11], 1
	s_delay_alu instid0(VALU_DEP_1)
	s_and_b32 vcc_lo, exec_lo, s2
	s_cbranch_vccnz .LBB147_25
; %bb.7:
	s_load_b32 s0, s[0:1], 0xc5c
	v_dual_mov_b32 v10, 0 :: v_dual_lshlrev_b32 v9, 1, v0
	v_cmp_gt_u64_e64 s1, 0x10000, s[10:11]
	s_mov_b64 s[6:7], 0
	s_delay_alu instid0(VALU_DEP_2) | instskip(NEXT) | instid1(VALU_DEP_1)
	v_add_co_u32 v1, s2, s12, v9
	v_add_co_ci_u32_e64 v2, null, s13, 0, s2
	v_add_co_u32 v3, s2, s14, v9
	s_delay_alu instid0(VALU_DEP_1)
	v_add_co_ci_u32_e64 v4, null, s15, 0, s2
	s_waitcnt lgkmcnt(0)
	s_and_b32 s0, s0, 0xffff
	s_and_b32 s1, s1, exec_lo
	v_mad_u64_u32 v[7:8], null, s0, 6, v[9:10]
	s_cselect_b32 s5, s11, 0
	s_cselect_b32 s4, s10, 0x10000
	s_mul_i32 s2, s0, 3
	s_lshl_b32 s16, s0, 2
	s_lshl_b32 s1, s0, 1
	v_add_co_u32 v14, s3, s16, v9
	v_add_co_u32 v9, s2, s2, v0
	s_delay_alu instid0(VALU_DEP_1) | instskip(SKIP_3) | instid1(VALU_DEP_3)
	v_add_co_ci_u32_e64 v10, null, 0, 0, s2
	v_add_co_u32 v13, s2, v0, s0
	v_add_co_u32 v5, vcc_lo, s12, v7
	v_add_co_ci_u32_e32 v6, vcc_lo, s13, v8, vcc_lo
	v_lshlrev_b32_e32 v21, 1, v13
	v_add_co_u32 v7, vcc_lo, s14, v7
	v_add_co_ci_u32_e64 v15, null, 0, 0, s3
	v_add_co_ci_u32_e32 v8, vcc_lo, s15, v8, vcc_lo
	v_add_co_u32 v17, s1, s1, v0
	v_add_co_u32 v11, vcc_lo, s12, v14
	v_add_co_ci_u32_e64 v18, null, 0, 0, s1
	v_add_co_u32 v19, s1, s12, v21
	v_add_co_ci_u32_e32 v12, vcc_lo, s13, v15, vcc_lo
	v_add_co_u32 v14, vcc_lo, s14, v14
	v_add_co_ci_u32_e64 v20, null, s13, 0, s1
	v_add_co_u32 v21, s1, s14, v21
	v_add_co_ci_u32_e32 v15, vcc_lo, s15, v15, vcc_lo
	v_add_co_ci_u32_e64 v16, null, 0, 0, s2
	v_add_co_ci_u32_e64 v22, null, s15, 0, s1
	s_lshl_b32 s12, s0, 3
	s_mov_b32 s13, 0x395133b1
	s_branch .LBB147_9
.LBB147_8:                              ;   in Loop: Header=BB147_9 Depth=1
	s_or_b32 exec_lo, exec_lo, s0
	v_add_co_u32 v1, vcc_lo, v1, s12
	v_add_co_ci_u32_e32 v2, vcc_lo, 0, v2, vcc_lo
	v_add_co_u32 v3, vcc_lo, v3, s12
	v_add_co_ci_u32_e32 v4, vcc_lo, 0, v4, vcc_lo
	;; [unrolled: 2-line block ×5, first 2 shown]
	s_add_u32 s6, s6, s16
	v_add_co_u32 v14, vcc_lo, v14, s12
	s_addc_u32 s7, s7, 0
	v_add_co_ci_u32_e32 v15, vcc_lo, 0, v15, vcc_lo
	v_cmp_ge_i64_e64 s0, s[6:7], s[10:11]
	v_cmp_lt_u64_e64 s1, 0xffff, s[6:7]
	v_add_co_u32 v19, vcc_lo, v19, s12
	v_add_co_ci_u32_e32 v20, vcc_lo, 0, v20, vcc_lo
	v_add_co_u32 v21, vcc_lo, v21, s12
	v_add_co_ci_u32_e32 v22, vcc_lo, 0, v22, vcc_lo
	s_or_b32 s0, s0, s1
	s_delay_alu instid0(SALU_CYCLE_1)
	s_and_b32 vcc_lo, exec_lo, s0
	s_cbranch_vccnz .LBB147_25
.LBB147_9:                              ; =>This Inner Loop Header: Depth=1
	s_waitcnt vmcnt(0)
	v_add_co_u32 v23, s0, v0, s6
	s_delay_alu instid0(VALU_DEP_1) | instskip(SKIP_1) | instid1(VALU_DEP_2)
	v_add_co_ci_u32_e64 v24, null, 0, s7, s0
	v_mov_b32_e32 v26, 0
	v_cmp_gt_u64_e64 s2, s[4:5], v[23:24]
	s_delay_alu instid0(VALU_DEP_1)
	s_and_saveexec_b32 s0, s2
	s_cbranch_execz .LBB147_11
; %bb.10:                               ;   in Loop: Header=BB147_9 Depth=1
	v_add_co_u32 v23, vcc_lo, v1, s8
	v_add_co_ci_u32_e32 v24, vcc_lo, s9, v2, vcc_lo
	global_load_u16 v26, v[23:24], off
.LBB147_11:                             ;   in Loop: Header=BB147_9 Depth=1
	s_or_b32 exec_lo, exec_lo, s0
	v_add_co_u32 v23, vcc_lo, v13, s6
	v_add_co_ci_u32_e32 v24, vcc_lo, s7, v16, vcc_lo
	v_mov_b32_e32 v25, 0
	s_delay_alu instid0(VALU_DEP_2) | instskip(NEXT) | instid1(VALU_DEP_1)
	v_cmp_gt_u64_e64 s1, s[4:5], v[23:24]
	s_and_saveexec_b32 s0, s1
	s_cbranch_execz .LBB147_13
; %bb.12:                               ;   in Loop: Header=BB147_9 Depth=1
	v_add_co_u32 v23, vcc_lo, v19, s8
	v_add_co_ci_u32_e32 v24, vcc_lo, s9, v20, vcc_lo
	global_load_u16 v25, v[23:24], off
.LBB147_13:                             ;   in Loop: Header=BB147_9 Depth=1
	s_or_b32 exec_lo, exec_lo, s0
	v_add_co_u32 v23, vcc_lo, v17, s6
	v_add_co_ci_u32_e32 v24, vcc_lo, s7, v18, vcc_lo
	s_delay_alu instid0(VALU_DEP_1) | instskip(SKIP_1) | instid1(VALU_DEP_2)
	v_cmp_gt_u64_e64 s0, s[4:5], v[23:24]
	v_dual_mov_b32 v23, 0 :: v_dual_mov_b32 v24, 0
	s_and_saveexec_b32 s3, s0
	s_cbranch_execz .LBB147_15
; %bb.14:                               ;   in Loop: Header=BB147_9 Depth=1
	v_add_co_u32 v27, vcc_lo, v11, s8
	v_add_co_ci_u32_e32 v28, vcc_lo, s9, v12, vcc_lo
	global_load_u16 v24, v[27:28], off
.LBB147_15:                             ;   in Loop: Header=BB147_9 Depth=1
	s_or_b32 exec_lo, exec_lo, s3
	v_add_co_u32 v27, vcc_lo, v9, s6
	v_add_co_ci_u32_e32 v28, vcc_lo, s7, v10, vcc_lo
	s_delay_alu instid0(VALU_DEP_1)
	v_cmp_gt_u64_e32 vcc_lo, s[4:5], v[27:28]
	s_and_saveexec_b32 s14, vcc_lo
	s_cbranch_execnz .LBB147_20
; %bb.16:                               ;   in Loop: Header=BB147_9 Depth=1
	s_or_b32 exec_lo, exec_lo, s14
	s_and_saveexec_b32 s3, s2
	s_cbranch_execnz .LBB147_21
.LBB147_17:                             ;   in Loop: Header=BB147_9 Depth=1
	s_or_b32 exec_lo, exec_lo, s3
	s_and_saveexec_b32 s2, s1
	s_cbranch_execnz .LBB147_22
.LBB147_18:                             ;   in Loop: Header=BB147_9 Depth=1
	s_or_b32 exec_lo, exec_lo, s2
	s_and_saveexec_b32 s1, s0
	s_cbranch_execnz .LBB147_23
.LBB147_19:                             ;   in Loop: Header=BB147_9 Depth=1
	s_or_b32 exec_lo, exec_lo, s1
	s_and_saveexec_b32 s0, vcc_lo
	s_cbranch_execz .LBB147_8
	s_branch .LBB147_24
.LBB147_20:                             ;   in Loop: Header=BB147_9 Depth=1
	v_add_co_u32 v27, s3, v5, s8
	s_delay_alu instid0(VALU_DEP_1)
	v_add_co_ci_u32_e64 v28, s3, s9, v6, s3
	global_load_u16 v23, v[27:28], off
	s_or_b32 exec_lo, exec_lo, s14
	s_and_saveexec_b32 s3, s2
	s_cbranch_execz .LBB147_17
.LBB147_21:                             ;   in Loop: Header=BB147_9 Depth=1
	s_waitcnt vmcnt(0)
	v_lshlrev_b32_e32 v26, 16, v26
	s_delay_alu instid0(VALU_DEP_1) | instskip(NEXT) | instid1(VALU_DEP_1)
	v_mul_f32_e32 v27, 0x3fb8aa3b, v26
	v_rndne_f32_e32 v27, v27
	s_delay_alu instid0(VALU_DEP_1) | instskip(SKIP_2) | instid1(VALU_DEP_3)
	v_fmamk_f32 v28, v27, 0xbf317218, v26
	v_cvt_i32_f32_e32 v30, v27
	v_cmp_eq_f32_e64 s2, 0x43000000, v27
	v_fmac_f32_e32 v28, 0x3102e308, v27
	s_delay_alu instid0(VALU_DEP_2) | instskip(NEXT) | instid1(VALU_DEP_2)
	v_cndmask_b32_e64 v27, v30, 0x7f, s2
	v_fmaak_f32 v29, s13, v28, 0x3ab69700
	s_delay_alu instid0(VALU_DEP_2) | instskip(NEXT) | instid1(VALU_DEP_1)
	v_ldexp_f32 v27, 1.0, v27
	v_dual_fmaak_f32 v29, v28, v29, 0x3c0887f9 :: v_dual_add_f32 v30, -1.0, v27
	s_delay_alu instid0(VALU_DEP_1) | instskip(NEXT) | instid1(VALU_DEP_1)
	v_fmaak_f32 v29, v28, v29, 0x3d2aaa81
	v_fmaak_f32 v29, v28, v29, 0x3e2aaaab
	s_delay_alu instid0(VALU_DEP_1) | instskip(NEXT) | instid1(VALU_DEP_1)
	v_fma_f32 v29, v28, v29, 0.5
	v_mul_f32_e32 v29, v28, v29
	s_delay_alu instid0(VALU_DEP_1) | instskip(NEXT) | instid1(VALU_DEP_1)
	v_fmac_f32_e32 v28, v28, v29
	v_fmac_f32_e32 v30, v27, v28
	s_delay_alu instid0(VALU_DEP_1) | instskip(NEXT) | instid1(VALU_DEP_1)
	v_add_f32_e32 v27, v30, v30
	v_cndmask_b32_e64 v27, v30, v27, s2
	v_cmp_nlt_f32_e64 s2, 0x42b17217, v26
	s_delay_alu instid0(VALU_DEP_1) | instskip(SKIP_1) | instid1(VALU_DEP_1)
	v_cndmask_b32_e64 v27, 0x7f800000, v27, s2
	v_cmp_ngt_f32_e64 s2, 0xc1880000, v26
	v_cndmask_b32_e64 v26, -1.0, v27, s2
	s_delay_alu instid0(VALU_DEP_1) | instskip(SKIP_1) | instid1(VALU_DEP_2)
	v_bfe_u32 v27, v26, 16, 1
	v_cmp_o_f32_e64 s2, v26, v26
	v_add3_u32 v27, v26, v27, 0x7fff
	s_delay_alu instid0(VALU_DEP_1) | instskip(NEXT) | instid1(VALU_DEP_1)
	v_lshrrev_b32_e32 v27, 16, v27
	v_cndmask_b32_e64 v28, 0x7fc0, v27, s2
	v_add_co_u32 v26, s2, v3, s8
	s_delay_alu instid0(VALU_DEP_1)
	v_add_co_ci_u32_e64 v27, s2, s9, v4, s2
	global_store_b16 v[26:27], v28, off
	s_or_b32 exec_lo, exec_lo, s3
	s_and_saveexec_b32 s2, s1
	s_cbranch_execz .LBB147_18
.LBB147_22:                             ;   in Loop: Header=BB147_9 Depth=1
	s_waitcnt vmcnt(0)
	v_lshlrev_b32_e32 v25, 16, v25
	s_delay_alu instid0(VALU_DEP_1) | instskip(NEXT) | instid1(VALU_DEP_1)
	v_mul_f32_e32 v26, 0x3fb8aa3b, v25
	v_rndne_f32_e32 v26, v26
	s_delay_alu instid0(VALU_DEP_1) | instskip(SKIP_2) | instid1(VALU_DEP_3)
	v_fmamk_f32 v27, v26, 0xbf317218, v25
	v_cvt_i32_f32_e32 v29, v26
	v_cmp_eq_f32_e64 s1, 0x43000000, v26
	v_fmac_f32_e32 v27, 0x3102e308, v26
	s_delay_alu instid0(VALU_DEP_2) | instskip(NEXT) | instid1(VALU_DEP_2)
	v_cndmask_b32_e64 v26, v29, 0x7f, s1
	v_fmaak_f32 v28, s13, v27, 0x3ab69700
	s_delay_alu instid0(VALU_DEP_2) | instskip(NEXT) | instid1(VALU_DEP_1)
	v_ldexp_f32 v26, 1.0, v26
	v_dual_fmaak_f32 v28, v27, v28, 0x3c0887f9 :: v_dual_add_f32 v29, -1.0, v26
	s_delay_alu instid0(VALU_DEP_1) | instskip(NEXT) | instid1(VALU_DEP_1)
	v_fmaak_f32 v28, v27, v28, 0x3d2aaa81
	v_fmaak_f32 v28, v27, v28, 0x3e2aaaab
	s_delay_alu instid0(VALU_DEP_1) | instskip(NEXT) | instid1(VALU_DEP_1)
	v_fma_f32 v28, v27, v28, 0.5
	v_mul_f32_e32 v28, v27, v28
	s_delay_alu instid0(VALU_DEP_1) | instskip(NEXT) | instid1(VALU_DEP_1)
	v_fmac_f32_e32 v27, v27, v28
	v_fmac_f32_e32 v29, v26, v27
	s_delay_alu instid0(VALU_DEP_1) | instskip(NEXT) | instid1(VALU_DEP_1)
	v_add_f32_e32 v26, v29, v29
	v_cndmask_b32_e64 v26, v29, v26, s1
	v_cmp_nlt_f32_e64 s1, 0x42b17217, v25
	s_delay_alu instid0(VALU_DEP_1) | instskip(SKIP_1) | instid1(VALU_DEP_1)
	v_cndmask_b32_e64 v26, 0x7f800000, v26, s1
	v_cmp_ngt_f32_e64 s1, 0xc1880000, v25
	v_cndmask_b32_e64 v25, -1.0, v26, s1
	s_delay_alu instid0(VALU_DEP_1) | instskip(SKIP_1) | instid1(VALU_DEP_2)
	v_bfe_u32 v26, v25, 16, 1
	v_cmp_o_f32_e64 s1, v25, v25
	v_add3_u32 v26, v25, v26, 0x7fff
	s_delay_alu instid0(VALU_DEP_1) | instskip(NEXT) | instid1(VALU_DEP_1)
	v_lshrrev_b32_e32 v26, 16, v26
	v_cndmask_b32_e64 v27, 0x7fc0, v26, s1
	v_add_co_u32 v25, s1, v21, s8
	s_delay_alu instid0(VALU_DEP_1)
	v_add_co_ci_u32_e64 v26, s1, s9, v22, s1
	global_store_b16 v[25:26], v27, off
	s_or_b32 exec_lo, exec_lo, s2
	s_and_saveexec_b32 s1, s0
	s_cbranch_execz .LBB147_19
.LBB147_23:                             ;   in Loop: Header=BB147_9 Depth=1
	s_waitcnt vmcnt(0)
	v_lshlrev_b32_e32 v24, 16, v24
	s_delay_alu instid0(VALU_DEP_1) | instskip(NEXT) | instid1(VALU_DEP_1)
	v_mul_f32_e32 v25, 0x3fb8aa3b, v24
	v_rndne_f32_e32 v25, v25
	s_delay_alu instid0(VALU_DEP_1) | instskip(SKIP_2) | instid1(VALU_DEP_3)
	v_fmamk_f32 v26, v25, 0xbf317218, v24
	v_cvt_i32_f32_e32 v28, v25
	v_cmp_eq_f32_e64 s0, 0x43000000, v25
	v_fmac_f32_e32 v26, 0x3102e308, v25
	s_delay_alu instid0(VALU_DEP_2) | instskip(NEXT) | instid1(VALU_DEP_2)
	v_cndmask_b32_e64 v25, v28, 0x7f, s0
	v_fmaak_f32 v27, s13, v26, 0x3ab69700
	s_delay_alu instid0(VALU_DEP_2) | instskip(NEXT) | instid1(VALU_DEP_1)
	v_ldexp_f32 v25, 1.0, v25
	v_dual_fmaak_f32 v27, v26, v27, 0x3c0887f9 :: v_dual_add_f32 v28, -1.0, v25
	s_delay_alu instid0(VALU_DEP_1) | instskip(NEXT) | instid1(VALU_DEP_1)
	v_fmaak_f32 v27, v26, v27, 0x3d2aaa81
	v_fmaak_f32 v27, v26, v27, 0x3e2aaaab
	s_delay_alu instid0(VALU_DEP_1) | instskip(NEXT) | instid1(VALU_DEP_1)
	v_fma_f32 v27, v26, v27, 0.5
	v_mul_f32_e32 v27, v26, v27
	s_delay_alu instid0(VALU_DEP_1) | instskip(NEXT) | instid1(VALU_DEP_1)
	v_fmac_f32_e32 v26, v26, v27
	v_fmac_f32_e32 v28, v25, v26
	s_delay_alu instid0(VALU_DEP_1) | instskip(NEXT) | instid1(VALU_DEP_1)
	v_add_f32_e32 v25, v28, v28
	v_cndmask_b32_e64 v25, v28, v25, s0
	v_cmp_nlt_f32_e64 s0, 0x42b17217, v24
	s_delay_alu instid0(VALU_DEP_1) | instskip(SKIP_1) | instid1(VALU_DEP_1)
	v_cndmask_b32_e64 v25, 0x7f800000, v25, s0
	v_cmp_ngt_f32_e64 s0, 0xc1880000, v24
	v_cndmask_b32_e64 v24, -1.0, v25, s0
	s_delay_alu instid0(VALU_DEP_1) | instskip(SKIP_1) | instid1(VALU_DEP_2)
	v_bfe_u32 v25, v24, 16, 1
	v_cmp_o_f32_e64 s0, v24, v24
	v_add3_u32 v25, v24, v25, 0x7fff
	s_delay_alu instid0(VALU_DEP_1) | instskip(NEXT) | instid1(VALU_DEP_1)
	v_lshrrev_b32_e32 v25, 16, v25
	v_cndmask_b32_e64 v26, 0x7fc0, v25, s0
	v_add_co_u32 v24, s0, v14, s8
	s_delay_alu instid0(VALU_DEP_1)
	v_add_co_ci_u32_e64 v25, s0, s9, v15, s0
	global_store_b16 v[24:25], v26, off
	s_or_b32 exec_lo, exec_lo, s1
	s_and_saveexec_b32 s0, vcc_lo
	s_cbranch_execz .LBB147_8
.LBB147_24:                             ;   in Loop: Header=BB147_9 Depth=1
	s_waitcnt vmcnt(0)
	v_lshlrev_b32_e32 v23, 16, v23
	s_delay_alu instid0(VALU_DEP_1) | instskip(NEXT) | instid1(VALU_DEP_1)
	v_mul_f32_e32 v24, 0x3fb8aa3b, v23
	v_rndne_f32_e32 v24, v24
	s_delay_alu instid0(VALU_DEP_1) | instskip(SKIP_2) | instid1(VALU_DEP_3)
	v_fmamk_f32 v25, v24, 0xbf317218, v23
	v_cvt_i32_f32_e32 v27, v24
	v_cmp_eq_f32_e32 vcc_lo, 0x43000000, v24
	v_fmac_f32_e32 v25, 0x3102e308, v24
	s_delay_alu instid0(VALU_DEP_3) | instskip(NEXT) | instid1(VALU_DEP_2)
	v_cndmask_b32_e64 v24, v27, 0x7f, vcc_lo
	v_fmaak_f32 v26, s13, v25, 0x3ab69700
	s_delay_alu instid0(VALU_DEP_2) | instskip(NEXT) | instid1(VALU_DEP_1)
	v_ldexp_f32 v24, 1.0, v24
	v_dual_fmaak_f32 v26, v25, v26, 0x3c0887f9 :: v_dual_add_f32 v27, -1.0, v24
	s_delay_alu instid0(VALU_DEP_1) | instskip(NEXT) | instid1(VALU_DEP_1)
	v_fmaak_f32 v26, v25, v26, 0x3d2aaa81
	v_fmaak_f32 v26, v25, v26, 0x3e2aaaab
	s_delay_alu instid0(VALU_DEP_1) | instskip(NEXT) | instid1(VALU_DEP_1)
	v_fma_f32 v26, v25, v26, 0.5
	v_mul_f32_e32 v26, v25, v26
	s_delay_alu instid0(VALU_DEP_1) | instskip(NEXT) | instid1(VALU_DEP_1)
	v_fmac_f32_e32 v25, v25, v26
	v_fmac_f32_e32 v27, v24, v25
	s_delay_alu instid0(VALU_DEP_1) | instskip(NEXT) | instid1(VALU_DEP_1)
	v_add_f32_e32 v24, v27, v27
	v_cndmask_b32_e32 v24, v27, v24, vcc_lo
	v_cmp_nlt_f32_e32 vcc_lo, 0x42b17217, v23
	s_delay_alu instid0(VALU_DEP_2) | instskip(SKIP_1) | instid1(VALU_DEP_2)
	v_cndmask_b32_e32 v24, 0x7f800000, v24, vcc_lo
	v_cmp_ngt_f32_e32 vcc_lo, 0xc1880000, v23
	v_cndmask_b32_e32 v23, -1.0, v24, vcc_lo
	s_delay_alu instid0(VALU_DEP_1) | instskip(SKIP_1) | instid1(VALU_DEP_2)
	v_bfe_u32 v24, v23, 16, 1
	v_cmp_o_f32_e32 vcc_lo, v23, v23
	v_add3_u32 v24, v23, v24, 0x7fff
	s_delay_alu instid0(VALU_DEP_1) | instskip(NEXT) | instid1(VALU_DEP_1)
	v_lshrrev_b32_e32 v24, 16, v24
	v_cndmask_b32_e32 v25, 0x7fc0, v24, vcc_lo
	v_add_co_u32 v23, vcc_lo, v7, s8
	v_add_co_ci_u32_e32 v24, vcc_lo, s9, v8, vcc_lo
	global_store_b16 v[23:24], v25, off
	s_branch .LBB147_8
.LBB147_25:
	s_nop 0
	s_sendmsg sendmsg(MSG_DEALLOC_VGPRS)
	s_endpgm
	.section	.rodata,"a",@progbits
	.p2align	6, 0x0
	.amdhsa_kernel _ZN2at6native12_GLOBAL__N_125multi_tensor_apply_kernelINS1_18TensorListMetadataILi2EEENS1_14UnaryOpFunctorIN3c108BFloat16ELi2ELi1ELi1EEEJNS0_5Expm1IfEEEEEvT_T0_DpT1_
		.amdhsa_group_segment_fixed_size 0
		.amdhsa_private_segment_fixed_size 0
		.amdhsa_kernarg_size 3408
		.amdhsa_user_sgpr_count 15
		.amdhsa_user_sgpr_dispatch_ptr 0
		.amdhsa_user_sgpr_queue_ptr 0
		.amdhsa_user_sgpr_kernarg_segment_ptr 1
		.amdhsa_user_sgpr_dispatch_id 0
		.amdhsa_user_sgpr_private_segment_size 0
		.amdhsa_wavefront_size32 1
		.amdhsa_uses_dynamic_stack 0
		.amdhsa_enable_private_segment 0
		.amdhsa_system_sgpr_workgroup_id_x 1
		.amdhsa_system_sgpr_workgroup_id_y 0
		.amdhsa_system_sgpr_workgroup_id_z 0
		.amdhsa_system_sgpr_workgroup_info 0
		.amdhsa_system_vgpr_workitem_id 0
		.amdhsa_next_free_vgpr 31
		.amdhsa_next_free_sgpr 21
		.amdhsa_reserve_vcc 1
		.amdhsa_float_round_mode_32 0
		.amdhsa_float_round_mode_16_64 0
		.amdhsa_float_denorm_mode_32 3
		.amdhsa_float_denorm_mode_16_64 3
		.amdhsa_dx10_clamp 1
		.amdhsa_ieee_mode 1
		.amdhsa_fp16_overflow 0
		.amdhsa_workgroup_processor_mode 1
		.amdhsa_memory_ordered 1
		.amdhsa_forward_progress 0
		.amdhsa_shared_vgpr_count 0
		.amdhsa_exception_fp_ieee_invalid_op 0
		.amdhsa_exception_fp_denorm_src 0
		.amdhsa_exception_fp_ieee_div_zero 0
		.amdhsa_exception_fp_ieee_overflow 0
		.amdhsa_exception_fp_ieee_underflow 0
		.amdhsa_exception_fp_ieee_inexact 0
		.amdhsa_exception_int_div_zero 0
	.end_amdhsa_kernel
	.section	.text._ZN2at6native12_GLOBAL__N_125multi_tensor_apply_kernelINS1_18TensorListMetadataILi2EEENS1_14UnaryOpFunctorIN3c108BFloat16ELi2ELi1ELi1EEEJNS0_5Expm1IfEEEEEvT_T0_DpT1_,"axG",@progbits,_ZN2at6native12_GLOBAL__N_125multi_tensor_apply_kernelINS1_18TensorListMetadataILi2EEENS1_14UnaryOpFunctorIN3c108BFloat16ELi2ELi1ELi1EEEJNS0_5Expm1IfEEEEEvT_T0_DpT1_,comdat
.Lfunc_end147:
	.size	_ZN2at6native12_GLOBAL__N_125multi_tensor_apply_kernelINS1_18TensorListMetadataILi2EEENS1_14UnaryOpFunctorIN3c108BFloat16ELi2ELi1ELi1EEEJNS0_5Expm1IfEEEEEvT_T0_DpT1_, .Lfunc_end147-_ZN2at6native12_GLOBAL__N_125multi_tensor_apply_kernelINS1_18TensorListMetadataILi2EEENS1_14UnaryOpFunctorIN3c108BFloat16ELi2ELi1ELi1EEEJNS0_5Expm1IfEEEEEvT_T0_DpT1_
                                        ; -- End function
	.section	.AMDGPU.csdata,"",@progbits
; Kernel info:
; codeLenInByte = 3468
; NumSgprs: 23
; NumVgprs: 31
; ScratchSize: 0
; MemoryBound: 0
; FloatMode: 240
; IeeeMode: 1
; LDSByteSize: 0 bytes/workgroup (compile time only)
; SGPRBlocks: 2
; VGPRBlocks: 3
; NumSGPRsForWavesPerEU: 23
; NumVGPRsForWavesPerEU: 31
; Occupancy: 16
; WaveLimiterHint : 0
; COMPUTE_PGM_RSRC2:SCRATCH_EN: 0
; COMPUTE_PGM_RSRC2:USER_SGPR: 15
; COMPUTE_PGM_RSRC2:TRAP_HANDLER: 0
; COMPUTE_PGM_RSRC2:TGID_X_EN: 1
; COMPUTE_PGM_RSRC2:TGID_Y_EN: 0
; COMPUTE_PGM_RSRC2:TGID_Z_EN: 0
; COMPUTE_PGM_RSRC2:TIDIG_COMP_CNT: 0
	.section	.text._ZN2at6native12_GLOBAL__N_125multi_tensor_apply_kernelINS1_18TensorListMetadataILi1EEENS1_14UnaryOpFunctorIdLi1ELi1ELi0EEEJNS0_5Expm1IdEEEEEvT_T0_DpT1_,"axG",@progbits,_ZN2at6native12_GLOBAL__N_125multi_tensor_apply_kernelINS1_18TensorListMetadataILi1EEENS1_14UnaryOpFunctorIdLi1ELi1ELi0EEEJNS0_5Expm1IdEEEEEvT_T0_DpT1_,comdat
	.globl	_ZN2at6native12_GLOBAL__N_125multi_tensor_apply_kernelINS1_18TensorListMetadataILi1EEENS1_14UnaryOpFunctorIdLi1ELi1ELi0EEEJNS0_5Expm1IdEEEEEvT_T0_DpT1_ ; -- Begin function _ZN2at6native12_GLOBAL__N_125multi_tensor_apply_kernelINS1_18TensorListMetadataILi1EEENS1_14UnaryOpFunctorIdLi1ELi1ELi0EEEJNS0_5Expm1IdEEEEEvT_T0_DpT1_
	.p2align	8
	.type	_ZN2at6native12_GLOBAL__N_125multi_tensor_apply_kernelINS1_18TensorListMetadataILi1EEENS1_14UnaryOpFunctorIdLi1ELi1ELi0EEEJNS0_5Expm1IdEEEEEvT_T0_DpT1_,@function
_ZN2at6native12_GLOBAL__N_125multi_tensor_apply_kernelINS1_18TensorListMetadataILi1EEENS1_14UnaryOpFunctorIdLi1ELi1ELi0EEEJNS0_5Expm1IdEEEEEvT_T0_DpT1_: ; @_ZN2at6native12_GLOBAL__N_125multi_tensor_apply_kernelINS1_18TensorListMetadataILi1EEENS1_14UnaryOpFunctorIdLi1ELi1ELi0EEEJNS0_5Expm1IdEEEEEvT_T0_DpT1_
; %bb.0:
	v_mov_b32_e32 v1, s15
	s_add_u32 s2, s0, s15
	s_mul_hi_u32 s3, s15, 3
	s_mul_i32 s15, s15, 3
	s_addc_u32 s4, s1, 0
	global_load_u8 v1, v1, s[0:1] offset:1760
	s_add_u32 s2, s2, s15
	s_addc_u32 s3, s4, s3
	s_mov_b32 s7, 0
	s_load_b32 s2, s[2:3], 0x820
	s_waitcnt vmcnt(0)
	v_readfirstlane_b32 s5, v1
	s_delay_alu instid0(VALU_DEP_1)
	s_lshl_b32 s3, s5, 3
	s_clause 0x1
	s_load_b64 s[8:9], s[0:1], s3 offset:0x0
	s_load_b64 s[4:5], s[0:1], s3 offset:0x370
	s_waitcnt lgkmcnt(0)
	s_ashr_i32 s3, s2, 31
	s_delay_alu instid0(SALU_CYCLE_1)
	s_lshl_b64 s[10:11], s[2:3], 19
	s_lshl_b64 s[2:3], s[2:3], 16
	s_and_b32 s6, s8, 31
	s_sub_u32 s14, s4, s2
	s_subb_u32 s15, s5, s3
	s_and_b32 s2, s4, 3
	s_mov_b32 s3, s7
	s_delay_alu instid0(SALU_CYCLE_1) | instskip(NEXT) | instid1(SALU_CYCLE_1)
	s_or_b64 s[2:3], s[6:7], s[2:3]
	s_cmp_eq_u64 s[2:3], 0
	s_cbranch_scc1 .LBB148_21
; %bb.1:
	v_cmp_lt_i64_e64 s2, s[14:15], 1
	s_delay_alu instid0(VALU_DEP_1)
	s_and_b32 vcc_lo, exec_lo, s2
	s_cbranch_vccnz .LBB148_20
; %bb.2:
	s_load_b32 s2, s[0:1], 0xd3c
	v_cmp_gt_u64_e64 s3, 0x10000, s[14:15]
	v_lshlrev_b32_e32 v1, 3, v0
	s_mov_b32 s16, 0x652b82fe
	s_mov_b32 s18, 0xfefa39ef
	;; [unrolled: 1-line block ×17, first 2 shown]
	s_waitcnt lgkmcnt(0)
	s_and_b32 s2, s2, 0xffff
	s_and_b32 s3, s3, exec_lo
	v_add_co_u32 v13, s5, v0, s2
	s_cselect_b32 s13, s15, 0
	s_cselect_b32 s12, s14, 0x10000
	s_lshl_b32 s3, s2, 1
	s_delay_alu instid0(VALU_DEP_1)
	v_lshlrev_b32_e32 v3, 3, v13
	s_mul_i32 s4, s2, 3
	s_lshl_b32 s33, s2, 2
	s_add_u32 s6, s8, s10
	v_add_co_u32 v14, s4, s4, v0
	v_add_co_u32 v16, s3, s3, v0
	s_addc_u32 s7, s9, s11
	v_add_co_ci_u32_e64 v15, null, 0, 0, s4
	v_add_co_u32 v1, s4, s6, v1
	v_add_co_ci_u32_e64 v17, null, 0, 0, s3
	v_add_co_u32 v3, s3, s6, v3
	v_add_co_ci_u32_e64 v2, null, s7, 0, s4
	v_add_co_ci_u32_e64 v18, null, 0, 0, s5
	;; [unrolled: 1-line block ×3, first 2 shown]
	s_mul_i32 s46, s2, 24
	s_lshl_b32 s47, s2, 5
	s_mov_b32 s25, 0x3e21f32e
	s_mov_b32 s27, 0x3e927e50
	;; [unrolled: 1-line block ×9, first 2 shown]
	s_lshl_b32 s48, s2, 4
	s_mov_b64 s[44:45], 0
	s_mov_b32 s7, 0x40862e42
	s_branch .LBB148_4
.LBB148_3:                              ;   in Loop: Header=BB148_4 Depth=1
	s_or_b32 exec_lo, exec_lo, s4
	s_add_u32 s44, s44, s33
	s_addc_u32 s45, s45, 0
	v_add_co_u32 v1, vcc_lo, v1, s47
	v_cmp_lt_i64_e64 s2, s[44:45], s[14:15]
	v_cmp_gt_u64_e64 s3, 0x10000, s[44:45]
	v_add_co_ci_u32_e32 v2, vcc_lo, 0, v2, vcc_lo
	v_add_co_u32 v3, vcc_lo, v3, s47
	v_add_co_ci_u32_e32 v4, vcc_lo, 0, v4, vcc_lo
	s_delay_alu instid0(VALU_DEP_4) | instskip(NEXT) | instid1(SALU_CYCLE_1)
	s_and_b32 s2, s2, s3
	s_and_b32 vcc_lo, exec_lo, s2
	s_cbranch_vccz .LBB148_20
.LBB148_4:                              ; =>This Inner Loop Header: Depth=1
	s_waitcnt vmcnt(0)
	v_add_co_u32 v5, s2, v0, s44
	s_delay_alu instid0(VALU_DEP_1) | instskip(SKIP_2) | instid1(VALU_DEP_3)
	v_add_co_ci_u32_e64 v6, null, 0, s45, s2
	v_mov_b32_e32 v9, 0
	v_mov_b32_e32 v10, 0
	v_cmp_gt_u64_e64 s4, s[12:13], v[5:6]
	s_delay_alu instid0(VALU_DEP_2) | instskip(NEXT) | instid1(VALU_DEP_2)
	v_dual_mov_b32 v12, v10 :: v_dual_mov_b32 v11, v9
	s_and_saveexec_b32 s2, s4
	s_cbranch_execz .LBB148_6
; %bb.5:                                ;   in Loop: Header=BB148_4 Depth=1
	global_load_b64 v[11:12], v[1:2], off
.LBB148_6:                              ;   in Loop: Header=BB148_4 Depth=1
	s_or_b32 exec_lo, exec_lo, s2
	v_add_co_u32 v5, vcc_lo, v13, s44
	v_add_co_ci_u32_e32 v6, vcc_lo, s45, v18, vcc_lo
	s_delay_alu instid0(VALU_DEP_1) | instskip(NEXT) | instid1(VALU_DEP_1)
	v_cmp_gt_u64_e64 s3, s[12:13], v[5:6]
	s_and_saveexec_b32 s2, s3
	s_cbranch_execz .LBB148_8
; %bb.7:                                ;   in Loop: Header=BB148_4 Depth=1
	global_load_b64 v[9:10], v[3:4], off
.LBB148_8:                              ;   in Loop: Header=BB148_4 Depth=1
	s_or_b32 exec_lo, exec_lo, s2
	v_add_co_u32 v7, vcc_lo, v16, s44
	v_add_co_ci_u32_e32 v8, vcc_lo, s45, v17, vcc_lo
	v_mov_b32_e32 v5, 0
	v_mov_b32_e32 v6, 0
	s_delay_alu instid0(VALU_DEP_3) | instskip(NEXT) | instid1(VALU_DEP_2)
	v_cmp_gt_u64_e64 s2, s[12:13], v[7:8]
	v_dual_mov_b32 v8, v6 :: v_dual_mov_b32 v7, v5
	s_delay_alu instid0(VALU_DEP_2)
	s_and_saveexec_b32 s5, s2
	s_cbranch_execz .LBB148_10
; %bb.9:                                ;   in Loop: Header=BB148_4 Depth=1
	v_add_co_u32 v7, vcc_lo, v1, s48
	v_add_co_ci_u32_e32 v8, vcc_lo, 0, v2, vcc_lo
	global_load_b64 v[7:8], v[7:8], off
.LBB148_10:                             ;   in Loop: Header=BB148_4 Depth=1
	s_or_b32 exec_lo, exec_lo, s5
	v_add_co_u32 v19, vcc_lo, v14, s44
	v_add_co_ci_u32_e32 v20, vcc_lo, s45, v15, vcc_lo
	s_delay_alu instid0(VALU_DEP_1)
	v_cmp_gt_u64_e32 vcc_lo, s[12:13], v[19:20]
	s_and_saveexec_b32 s6, vcc_lo
	s_cbranch_execnz .LBB148_15
; %bb.11:                               ;   in Loop: Header=BB148_4 Depth=1
	s_or_b32 exec_lo, exec_lo, s6
	s_and_saveexec_b32 s49, s4
	s_cbranch_execnz .LBB148_16
.LBB148_12:                             ;   in Loop: Header=BB148_4 Depth=1
	s_or_b32 exec_lo, exec_lo, s49
	s_and_saveexec_b32 s49, s3
	s_cbranch_execnz .LBB148_17
.LBB148_13:                             ;   in Loop: Header=BB148_4 Depth=1
	s_or_b32 exec_lo, exec_lo, s49
	s_and_saveexec_b32 s5, s2
	s_cbranch_execnz .LBB148_18
.LBB148_14:                             ;   in Loop: Header=BB148_4 Depth=1
	s_or_b32 exec_lo, exec_lo, s5
	s_and_saveexec_b32 s4, vcc_lo
	s_cbranch_execz .LBB148_3
	s_branch .LBB148_19
.LBB148_15:                             ;   in Loop: Header=BB148_4 Depth=1
	v_add_co_u32 v5, s5, v1, s46
	s_delay_alu instid0(VALU_DEP_1)
	v_add_co_ci_u32_e64 v6, s5, 0, v2, s5
	global_load_b64 v[5:6], v[5:6], off
	s_or_b32 exec_lo, exec_lo, s6
	s_and_saveexec_b32 s49, s4
	s_cbranch_execz .LBB148_12
.LBB148_16:                             ;   in Loop: Header=BB148_4 Depth=1
	s_waitcnt vmcnt(0)
	v_mul_f64 v[19:20], v[11:12], s[16:17]
	s_mov_b32 s6, s18
	s_delay_alu instid0(SALU_CYCLE_1) | instskip(SKIP_1) | instid1(VALU_DEP_3)
	v_cmp_nlt_f64_e64 s5, s[6:7], v[11:12]
	v_cmp_ngt_f64_e64 s6, 0xc0428000, v[11:12]
	v_rndne_f64_e32 v[19:20], v[19:20]
	s_delay_alu instid0(VALU_DEP_1) | instskip(SKIP_2) | instid1(VALU_DEP_3)
	v_fma_f64 v[21:22], v[19:20], s[18:19], v[11:12]
	v_cvt_i32_f64_e32 v25, v[19:20]
	v_cmp_eq_f64_e64 s4, 0x40900000, v[19:20]
	v_fma_f64 v[21:22], v[19:20], s[20:21], v[21:22]
	s_delay_alu instid0(VALU_DEP_2) | instskip(NEXT) | instid1(VALU_DEP_1)
	v_cndmask_b32_e64 v19, v25, 0x3ff, s4
	v_ldexp_f64 v[19:20], 1.0, v19
	s_delay_alu instid0(VALU_DEP_3) | instskip(NEXT) | instid1(VALU_DEP_2)
	v_fma_f64 v[23:24], v[21:22], s[24:25], s[22:23]
	v_add_f64 v[25:26], v[19:20], -1.0
	s_delay_alu instid0(VALU_DEP_2) | instskip(NEXT) | instid1(VALU_DEP_1)
	v_fma_f64 v[23:24], v[21:22], v[23:24], s[26:27]
	v_fma_f64 v[23:24], v[21:22], v[23:24], s[28:29]
	s_delay_alu instid0(VALU_DEP_1) | instskip(NEXT) | instid1(VALU_DEP_1)
	v_fma_f64 v[23:24], v[21:22], v[23:24], s[30:31]
	v_fma_f64 v[23:24], v[21:22], v[23:24], s[34:35]
	s_delay_alu instid0(VALU_DEP_1) | instskip(NEXT) | instid1(VALU_DEP_1)
	;; [unrolled: 3-line block ×4, first 2 shown]
	v_fma_f64 v[23:24], v[21:22], v[23:24], 0.5
	v_mul_f64 v[23:24], v[21:22], v[23:24]
	s_delay_alu instid0(VALU_DEP_1) | instskip(NEXT) | instid1(VALU_DEP_1)
	v_fma_f64 v[21:22], v[21:22], v[23:24], v[21:22]
	v_fma_f64 v[19:20], v[19:20], v[21:22], v[25:26]
	s_delay_alu instid0(VALU_DEP_1) | instskip(NEXT) | instid1(VALU_DEP_1)
	v_add_f64 v[21:22], v[19:20], v[19:20]
	v_cndmask_b32_e64 v20, v20, v22, s4
	s_delay_alu instid0(VALU_DEP_2) | instskip(SKIP_1) | instid1(VALU_DEP_2)
	v_cndmask_b32_e64 v11, v19, v21, s4
	s_and_b32 s4, s6, s5
	v_cndmask_b32_e64 v20, 0x7ff00000, v20, s5
	s_delay_alu instid0(VALU_DEP_2) | instskip(NEXT) | instid1(VALU_DEP_2)
	v_cndmask_b32_e64 v11, 0, v11, s4
	v_cndmask_b32_e64 v12, 0xbff00000, v20, s6
	global_store_b64 v[1:2], v[11:12], off
	s_or_b32 exec_lo, exec_lo, s49
	s_and_saveexec_b32 s49, s3
	s_cbranch_execz .LBB148_13
.LBB148_17:                             ;   in Loop: Header=BB148_4 Depth=1
	s_waitcnt vmcnt(0)
	v_mul_f64 v[11:12], v[9:10], s[16:17]
	s_mov_b32 s6, s18
	v_cmp_ngt_f64_e64 s5, 0xc0428000, v[9:10]
	v_cmp_nlt_f64_e64 s4, s[6:7], v[9:10]
	s_delay_alu instid0(VALU_DEP_3) | instskip(NEXT) | instid1(VALU_DEP_1)
	v_rndne_f64_e32 v[11:12], v[11:12]
	v_fma_f64 v[19:20], v[11:12], s[18:19], v[9:10]
	v_cvt_i32_f64_e32 v23, v[11:12]
	v_cmp_eq_f64_e64 s3, 0x40900000, v[11:12]
	s_delay_alu instid0(VALU_DEP_3) | instskip(NEXT) | instid1(VALU_DEP_2)
	v_fma_f64 v[19:20], v[11:12], s[20:21], v[19:20]
	v_cndmask_b32_e64 v11, v23, 0x3ff, s3
	s_delay_alu instid0(VALU_DEP_1) | instskip(NEXT) | instid1(VALU_DEP_3)
	v_ldexp_f64 v[11:12], 1.0, v11
	v_fma_f64 v[21:22], v[19:20], s[24:25], s[22:23]
	s_delay_alu instid0(VALU_DEP_2) | instskip(NEXT) | instid1(VALU_DEP_2)
	v_add_f64 v[23:24], v[11:12], -1.0
	v_fma_f64 v[21:22], v[19:20], v[21:22], s[26:27]
	s_delay_alu instid0(VALU_DEP_1) | instskip(NEXT) | instid1(VALU_DEP_1)
	v_fma_f64 v[21:22], v[19:20], v[21:22], s[28:29]
	v_fma_f64 v[21:22], v[19:20], v[21:22], s[30:31]
	s_delay_alu instid0(VALU_DEP_1) | instskip(NEXT) | instid1(VALU_DEP_1)
	v_fma_f64 v[21:22], v[19:20], v[21:22], s[34:35]
	;; [unrolled: 3-line block ×4, first 2 shown]
	v_fma_f64 v[21:22], v[19:20], v[21:22], 0.5
	s_delay_alu instid0(VALU_DEP_1) | instskip(NEXT) | instid1(VALU_DEP_1)
	v_mul_f64 v[21:22], v[19:20], v[21:22]
	v_fma_f64 v[19:20], v[19:20], v[21:22], v[19:20]
	s_delay_alu instid0(VALU_DEP_1) | instskip(NEXT) | instid1(VALU_DEP_1)
	v_fma_f64 v[11:12], v[11:12], v[19:20], v[23:24]
	v_add_f64 v[19:20], v[11:12], v[11:12]
	s_delay_alu instid0(VALU_DEP_1) | instskip(NEXT) | instid1(VALU_DEP_2)
	v_cndmask_b32_e64 v12, v12, v20, s3
	v_cndmask_b32_e64 v9, v11, v19, s3
	s_and_b32 s3, s5, s4
	s_delay_alu instid0(VALU_DEP_2) | instskip(NEXT) | instid1(VALU_DEP_2)
	v_cndmask_b32_e64 v12, 0x7ff00000, v12, s4
	v_cndmask_b32_e64 v9, 0, v9, s3
	s_delay_alu instid0(VALU_DEP_2)
	v_cndmask_b32_e64 v10, 0xbff00000, v12, s5
	global_store_b64 v[3:4], v[9:10], off
	s_or_b32 exec_lo, exec_lo, s49
	s_and_saveexec_b32 s5, s2
	s_cbranch_execz .LBB148_14
.LBB148_18:                             ;   in Loop: Header=BB148_4 Depth=1
	s_waitcnt vmcnt(0)
	v_mul_f64 v[9:10], v[7:8], s[16:17]
	s_mov_b32 s6, s18
	v_cmp_ngt_f64_e64 s4, 0xc0428000, v[7:8]
	v_cmp_nlt_f64_e64 s3, s[6:7], v[7:8]
	s_delay_alu instid0(VALU_DEP_3) | instskip(NEXT) | instid1(VALU_DEP_1)
	v_rndne_f64_e32 v[9:10], v[9:10]
	v_fma_f64 v[11:12], v[9:10], s[18:19], v[7:8]
	v_cvt_i32_f64_e32 v21, v[9:10]
	v_cmp_eq_f64_e64 s2, 0x40900000, v[9:10]
	s_delay_alu instid0(VALU_DEP_3) | instskip(NEXT) | instid1(VALU_DEP_2)
	v_fma_f64 v[11:12], v[9:10], s[20:21], v[11:12]
	v_cndmask_b32_e64 v9, v21, 0x3ff, s2
	s_delay_alu instid0(VALU_DEP_1) | instskip(NEXT) | instid1(VALU_DEP_3)
	v_ldexp_f64 v[9:10], 1.0, v9
	v_fma_f64 v[19:20], v[11:12], s[24:25], s[22:23]
	s_delay_alu instid0(VALU_DEP_2) | instskip(NEXT) | instid1(VALU_DEP_2)
	v_add_f64 v[21:22], v[9:10], -1.0
	v_fma_f64 v[19:20], v[11:12], v[19:20], s[26:27]
	s_delay_alu instid0(VALU_DEP_1) | instskip(NEXT) | instid1(VALU_DEP_1)
	v_fma_f64 v[19:20], v[11:12], v[19:20], s[28:29]
	v_fma_f64 v[19:20], v[11:12], v[19:20], s[30:31]
	s_delay_alu instid0(VALU_DEP_1) | instskip(NEXT) | instid1(VALU_DEP_1)
	v_fma_f64 v[19:20], v[11:12], v[19:20], s[34:35]
	;; [unrolled: 3-line block ×4, first 2 shown]
	v_fma_f64 v[19:20], v[11:12], v[19:20], 0.5
	s_delay_alu instid0(VALU_DEP_1) | instskip(NEXT) | instid1(VALU_DEP_1)
	v_mul_f64 v[19:20], v[11:12], v[19:20]
	v_fma_f64 v[11:12], v[11:12], v[19:20], v[11:12]
	s_delay_alu instid0(VALU_DEP_1) | instskip(NEXT) | instid1(VALU_DEP_1)
	v_fma_f64 v[9:10], v[9:10], v[11:12], v[21:22]
	v_add_f64 v[11:12], v[9:10], v[9:10]
	s_delay_alu instid0(VALU_DEP_1) | instskip(NEXT) | instid1(VALU_DEP_2)
	v_cndmask_b32_e64 v10, v10, v12, s2
	v_cndmask_b32_e64 v7, v9, v11, s2
	s_and_b32 s2, s4, s3
	s_delay_alu instid0(VALU_DEP_2) | instskip(NEXT) | instid1(VALU_DEP_2)
	v_cndmask_b32_e64 v10, 0x7ff00000, v10, s3
	v_cndmask_b32_e64 v7, 0, v7, s2
	v_add_co_u32 v9, s2, v1, s48
	s_delay_alu instid0(VALU_DEP_3)
	v_cndmask_b32_e64 v8, 0xbff00000, v10, s4
	v_add_co_ci_u32_e64 v10, s2, 0, v2, s2
	global_store_b64 v[9:10], v[7:8], off
	s_or_b32 exec_lo, exec_lo, s5
	s_and_saveexec_b32 s4, vcc_lo
	s_cbranch_execz .LBB148_3
.LBB148_19:                             ;   in Loop: Header=BB148_4 Depth=1
	s_waitcnt vmcnt(0)
	v_mul_f64 v[7:8], v[5:6], s[16:17]
	s_mov_b32 s6, s18
	v_cmp_ngt_f64_e64 s3, 0xc0428000, v[5:6]
	v_cmp_nlt_f64_e64 s2, s[6:7], v[5:6]
	s_delay_alu instid0(VALU_DEP_3) | instskip(NEXT) | instid1(VALU_DEP_1)
	v_rndne_f64_e32 v[7:8], v[7:8]
	v_fma_f64 v[9:10], v[7:8], s[18:19], v[5:6]
	v_cvt_i32_f64_e32 v19, v[7:8]
	v_cmp_eq_f64_e32 vcc_lo, 0x40900000, v[7:8]
	s_delay_alu instid0(VALU_DEP_3) | instskip(NEXT) | instid1(VALU_DEP_3)
	v_fma_f64 v[9:10], v[7:8], s[20:21], v[9:10]
	v_cndmask_b32_e64 v7, v19, 0x3ff, vcc_lo
	s_delay_alu instid0(VALU_DEP_1) | instskip(NEXT) | instid1(VALU_DEP_3)
	v_ldexp_f64 v[7:8], 1.0, v7
	v_fma_f64 v[11:12], v[9:10], s[24:25], s[22:23]
	s_delay_alu instid0(VALU_DEP_2) | instskip(NEXT) | instid1(VALU_DEP_2)
	v_add_f64 v[19:20], v[7:8], -1.0
	v_fma_f64 v[11:12], v[9:10], v[11:12], s[26:27]
	s_delay_alu instid0(VALU_DEP_1) | instskip(NEXT) | instid1(VALU_DEP_1)
	v_fma_f64 v[11:12], v[9:10], v[11:12], s[28:29]
	v_fma_f64 v[11:12], v[9:10], v[11:12], s[30:31]
	s_delay_alu instid0(VALU_DEP_1) | instskip(NEXT) | instid1(VALU_DEP_1)
	v_fma_f64 v[11:12], v[9:10], v[11:12], s[34:35]
	v_fma_f64 v[11:12], v[9:10], v[11:12], s[36:37]
	s_delay_alu instid0(VALU_DEP_1) | instskip(NEXT) | instid1(VALU_DEP_1)
	v_fma_f64 v[11:12], v[9:10], v[11:12], s[38:39]
	v_fma_f64 v[11:12], v[9:10], v[11:12], s[40:41]
	s_delay_alu instid0(VALU_DEP_1) | instskip(NEXT) | instid1(VALU_DEP_1)
	v_fma_f64 v[11:12], v[9:10], v[11:12], s[42:43]
	v_fma_f64 v[11:12], v[9:10], v[11:12], 0.5
	s_delay_alu instid0(VALU_DEP_1) | instskip(NEXT) | instid1(VALU_DEP_1)
	v_mul_f64 v[11:12], v[9:10], v[11:12]
	v_fma_f64 v[9:10], v[9:10], v[11:12], v[9:10]
	s_delay_alu instid0(VALU_DEP_1) | instskip(NEXT) | instid1(VALU_DEP_1)
	v_fma_f64 v[7:8], v[7:8], v[9:10], v[19:20]
	v_add_f64 v[9:10], v[7:8], v[7:8]
	s_delay_alu instid0(VALU_DEP_1) | instskip(SKIP_1) | instid1(VALU_DEP_1)
	v_dual_cndmask_b32 v8, v8, v10 :: v_dual_cndmask_b32 v5, v7, v9
	s_and_b32 vcc_lo, s3, s2
	v_cndmask_b32_e64 v8, 0x7ff00000, v8, s2
	s_delay_alu instid0(VALU_DEP_2) | instskip(SKIP_1) | instid1(VALU_DEP_3)
	v_cndmask_b32_e32 v5, 0, v5, vcc_lo
	v_add_co_u32 v7, vcc_lo, v1, s46
	v_cndmask_b32_e64 v6, 0xbff00000, v8, s3
	v_add_co_ci_u32_e32 v8, vcc_lo, 0, v2, vcc_lo
	global_store_b64 v[7:8], v[5:6], off
	s_branch .LBB148_3
.LBB148_20:
	s_cbranch_execz .LBB148_22
	s_branch .LBB148_25
.LBB148_21:
.LBB148_22:
	v_dual_mov_b32 v2, 0 :: v_dual_lshlrev_b32 v1, 2, v0
	s_mov_b32 s13, 0
	s_mov_b32 s2, exec_lo
	s_delay_alu instid0(VALU_DEP_1)
	v_cmpx_gt_i64_e64 s[14:15], v[1:2]
	s_cbranch_execz .LBB148_25
; %bb.23:
	s_load_b32 s0, s[0:1], 0xd3c
	v_lshlrev_b32_e32 v3, 5, v0
	s_mov_b32 s16, 0x652b82fe
	s_mov_b32 s18, 0x3b39803f
	;; [unrolled: 1-line block ×18, first 2 shown]
	s_waitcnt lgkmcnt(0)
	s_and_b32 s0, s0, 0xffff
	s_mov_b32 s27, 0x3ec71de0
	s_lshl_b32 s33, s0, 2
	s_add_u32 s1, s8, s10
	v_add_lshl_u32 v1, v0, s0, 2
	s_addc_u32 s2, s9, s11
	v_add_co_u32 v0, s1, s1, v3
	s_delay_alu instid0(VALU_DEP_1) | instskip(SKIP_1) | instid1(VALU_DEP_2)
	v_add_co_ci_u32_e64 v4, null, s2, 0, s1
	s_mov_b32 s29, 0x3efa01a0
	v_add_co_u32 v3, vcc_lo, v0, 16
	s_delay_alu instid0(VALU_DEP_2)
	v_add_co_ci_u32_e32 v4, vcc_lo, 0, v4, vcc_lo
	s_mov_b32 s31, 0x3f2a01a0
	s_lshl_b32 s46, s0, 5
	s_mov_b32 s35, 0x3f56c16c
	s_mov_b32 s37, 0x3f811111
	;; [unrolled: 1-line block ×7, first 2 shown]
.LBB148_24:                             ; =>This Inner Loop Header: Depth=1
	s_clause 0x1
	global_load_b128 v[5:8], v[3:4], off offset:-16
	global_load_b128 v[9:12], v[3:4], off
	v_cmp_le_i64_e64 s11, s[14:15], v[1:2]
	v_cmp_lt_u64_e64 s12, 0xffff, v[1:2]
	s_waitcnt vmcnt(1)
	v_mul_f64 v[13:14], v[5:6], s[16:17]
	v_mul_f64 v[15:16], v[7:8], s[16:17]
	s_waitcnt vmcnt(0)
	v_mul_f64 v[17:18], v[9:10], s[16:17]
	v_mul_f64 v[19:20], v[11:12], s[16:17]
	v_cmp_nlt_f64_e64 s5, s[44:45], v[7:8]
	v_cmp_nlt_f64_e64 s7, s[44:45], v[9:10]
	v_cmp_nlt_f64_e64 s3, s[44:45], v[5:6]
	v_cmp_ngt_f64_e64 s4, 0xc0428000, v[5:6]
	v_cmp_nlt_f64_e64 s9, s[44:45], v[11:12]
	v_cmp_ngt_f64_e64 s6, 0xc0428000, v[7:8]
	v_cmp_ngt_f64_e64 s8, 0xc0428000, v[9:10]
	;; [unrolled: 1-line block ×3, first 2 shown]
	v_rndne_f64_e32 v[13:14], v[13:14]
	v_rndne_f64_e32 v[15:16], v[15:16]
	;; [unrolled: 1-line block ×4, first 2 shown]
	s_delay_alu instid0(VALU_DEP_4) | instskip(NEXT) | instid1(VALU_DEP_4)
	v_fma_f64 v[21:22], v[13:14], s[42:43], v[5:6]
	v_fma_f64 v[23:24], v[15:16], s[42:43], v[7:8]
	s_delay_alu instid0(VALU_DEP_4) | instskip(NEXT) | instid1(VALU_DEP_4)
	v_fma_f64 v[25:26], v[17:18], s[42:43], v[9:10]
	v_fma_f64 v[27:28], v[19:20], s[42:43], v[11:12]
	v_cvt_i32_f64_e32 v0, v[13:14]
	v_cvt_i32_f64_e32 v37, v[15:16]
	v_cmp_eq_f64_e32 vcc_lo, 0x40900000, v[13:14]
	v_cmp_eq_f64_e64 s0, 0x40900000, v[15:16]
	v_cvt_i32_f64_e32 v38, v[17:18]
	v_cmp_eq_f64_e64 s1, 0x40900000, v[17:18]
	v_cvt_i32_f64_e32 v39, v[19:20]
	v_cmp_eq_f64_e64 s2, 0x40900000, v[19:20]
	v_fma_f64 v[21:22], v[13:14], s[18:19], v[21:22]
	v_fma_f64 v[23:24], v[15:16], s[18:19], v[23:24]
	v_fma_f64 v[25:26], v[17:18], s[18:19], v[25:26]
	v_fma_f64 v[27:28], v[19:20], s[18:19], v[27:28]
	v_cndmask_b32_e64 v0, v0, 0x3ff, vcc_lo
	v_cndmask_b32_e64 v15, v37, 0x3ff, s0
	v_cndmask_b32_e64 v17, v38, 0x3ff, s1
	v_cndmask_b32_e64 v19, v39, 0x3ff, s2
	s_delay_alu instid0(VALU_DEP_4) | instskip(NEXT) | instid1(VALU_DEP_4)
	v_ldexp_f64 v[13:14], 1.0, v0
	v_ldexp_f64 v[15:16], 1.0, v15
	s_delay_alu instid0(VALU_DEP_4) | instskip(NEXT) | instid1(VALU_DEP_4)
	v_ldexp_f64 v[17:18], 1.0, v17
	v_ldexp_f64 v[19:20], 1.0, v19
	v_fma_f64 v[29:30], v[21:22], s[22:23], s[20:21]
	v_fma_f64 v[31:32], v[23:24], s[22:23], s[20:21]
	;; [unrolled: 1-line block ×4, first 2 shown]
	v_add_f64 v[37:38], v[13:14], -1.0
	v_add_f64 v[39:40], v[15:16], -1.0
	;; [unrolled: 1-line block ×4, first 2 shown]
	v_fma_f64 v[29:30], v[21:22], v[29:30], s[24:25]
	v_fma_f64 v[31:32], v[23:24], v[31:32], s[24:25]
	;; [unrolled: 1-line block ×4, first 2 shown]
	s_delay_alu instid0(VALU_DEP_4) | instskip(NEXT) | instid1(VALU_DEP_4)
	v_fma_f64 v[29:30], v[21:22], v[29:30], s[26:27]
	v_fma_f64 v[31:32], v[23:24], v[31:32], s[26:27]
	s_delay_alu instid0(VALU_DEP_4) | instskip(NEXT) | instid1(VALU_DEP_4)
	v_fma_f64 v[33:34], v[25:26], v[33:34], s[26:27]
	v_fma_f64 v[35:36], v[27:28], v[35:36], s[26:27]
	;; [unrolled: 3-line block ×14, first 2 shown]
	s_delay_alu instid0(VALU_DEP_4) | instskip(NEXT) | instid1(VALU_DEP_4)
	v_fma_f64 v[29:30], v[21:22], v[29:30], 0.5
	v_fma_f64 v[31:32], v[23:24], v[31:32], 0.5
	s_delay_alu instid0(VALU_DEP_4) | instskip(NEXT) | instid1(VALU_DEP_4)
	v_fma_f64 v[33:34], v[25:26], v[33:34], 0.5
	v_fma_f64 v[35:36], v[27:28], v[35:36], 0.5
	s_delay_alu instid0(VALU_DEP_4) | instskip(NEXT) | instid1(VALU_DEP_4)
	v_mul_f64 v[29:30], v[21:22], v[29:30]
	v_mul_f64 v[31:32], v[23:24], v[31:32]
	s_delay_alu instid0(VALU_DEP_4) | instskip(NEXT) | instid1(VALU_DEP_4)
	v_mul_f64 v[33:34], v[25:26], v[33:34]
	v_mul_f64 v[35:36], v[27:28], v[35:36]
	s_delay_alu instid0(VALU_DEP_4) | instskip(NEXT) | instid1(VALU_DEP_4)
	v_fma_f64 v[21:22], v[21:22], v[29:30], v[21:22]
	v_fma_f64 v[23:24], v[23:24], v[31:32], v[23:24]
	s_delay_alu instid0(VALU_DEP_4) | instskip(NEXT) | instid1(VALU_DEP_4)
	v_fma_f64 v[25:26], v[25:26], v[33:34], v[25:26]
	v_fma_f64 v[27:28], v[27:28], v[35:36], v[27:28]
	;; [unrolled: 3-line block ×4, first 2 shown]
	s_delay_alu instid0(VALU_DEP_4) | instskip(NEXT) | instid1(VALU_DEP_4)
	v_add_f64 v[21:22], v[13:14], v[13:14]
	v_add_f64 v[23:24], v[15:16], v[15:16]
	s_delay_alu instid0(VALU_DEP_4) | instskip(NEXT) | instid1(VALU_DEP_4)
	v_add_f64 v[25:26], v[17:18], v[17:18]
	v_add_f64 v[27:28], v[19:20], v[19:20]
	s_delay_alu instid0(VALU_DEP_4) | instskip(NEXT) | instid1(VALU_DEP_4)
	v_dual_cndmask_b32 v0, v14, v22 :: v_dual_cndmask_b32 v11, v13, v21
	v_cndmask_b32_e64 v14, v16, v24, s0
	s_delay_alu instid0(VALU_DEP_4) | instskip(NEXT) | instid1(VALU_DEP_4)
	v_cndmask_b32_e64 v16, v18, v26, s1
	v_cndmask_b32_e64 v18, v20, v28, s2
	;; [unrolled: 1-line block ×3, first 2 shown]
	s_and_b32 vcc_lo, s4, s3
	v_cndmask_b32_e64 v5, 0x7ff00000, v14, s5
	v_cndmask_b32_e64 v7, 0x7ff00000, v16, s7
	;; [unrolled: 1-line block ×6, first 2 shown]
	v_cndmask_b32_e32 v5, 0, v11, vcc_lo
	s_and_b32 vcc_lo, s6, s5
	v_cndmask_b32_e64 v15, v19, v27, s2
	v_cndmask_b32_e64 v10, 0xbff00000, v7, s8
	v_cndmask_b32_e32 v7, 0, v13, vcc_lo
	s_and_b32 vcc_lo, s8, s7
	v_cndmask_b32_e64 v12, 0xbff00000, v9, s10
	v_cndmask_b32_e32 v9, 0, v14, vcc_lo
	s_and_b32 vcc_lo, s10, s9
	v_cndmask_b32_e64 v6, 0xbff00000, v0, s4
	v_cndmask_b32_e32 v11, 0, v15, vcc_lo
	v_add_co_u32 v1, vcc_lo, v1, s33
	v_add_co_ci_u32_e32 v2, vcc_lo, 0, v2, vcc_lo
	s_clause 0x1
	global_store_b128 v[3:4], v[5:8], off offset:-16
	global_store_b128 v[3:4], v[9:12], off
	v_add_co_u32 v3, vcc_lo, v3, s46
	s_or_b32 s0, s11, s12
	v_add_co_ci_u32_e32 v4, vcc_lo, 0, v4, vcc_lo
	s_and_b32 s0, exec_lo, s0
	s_delay_alu instid0(SALU_CYCLE_1) | instskip(NEXT) | instid1(SALU_CYCLE_1)
	s_or_b32 s13, s0, s13
	s_and_not1_b32 exec_lo, exec_lo, s13
	s_cbranch_execnz .LBB148_24
.LBB148_25:
	s_nop 0
	s_sendmsg sendmsg(MSG_DEALLOC_VGPRS)
	s_endpgm
	.section	.rodata,"a",@progbits
	.p2align	6, 0x0
	.amdhsa_kernel _ZN2at6native12_GLOBAL__N_125multi_tensor_apply_kernelINS1_18TensorListMetadataILi1EEENS1_14UnaryOpFunctorIdLi1ELi1ELi0EEEJNS0_5Expm1IdEEEEEvT_T0_DpT1_
		.amdhsa_group_segment_fixed_size 0
		.amdhsa_private_segment_fixed_size 0
		.amdhsa_kernarg_size 3632
		.amdhsa_user_sgpr_count 15
		.amdhsa_user_sgpr_dispatch_ptr 0
		.amdhsa_user_sgpr_queue_ptr 0
		.amdhsa_user_sgpr_kernarg_segment_ptr 1
		.amdhsa_user_sgpr_dispatch_id 0
		.amdhsa_user_sgpr_private_segment_size 0
		.amdhsa_wavefront_size32 1
		.amdhsa_uses_dynamic_stack 0
		.amdhsa_enable_private_segment 0
		.amdhsa_system_sgpr_workgroup_id_x 1
		.amdhsa_system_sgpr_workgroup_id_y 0
		.amdhsa_system_sgpr_workgroup_id_z 0
		.amdhsa_system_sgpr_workgroup_info 0
		.amdhsa_system_vgpr_workitem_id 0
		.amdhsa_next_free_vgpr 45
		.amdhsa_next_free_sgpr 50
		.amdhsa_reserve_vcc 1
		.amdhsa_float_round_mode_32 0
		.amdhsa_float_round_mode_16_64 0
		.amdhsa_float_denorm_mode_32 3
		.amdhsa_float_denorm_mode_16_64 3
		.amdhsa_dx10_clamp 1
		.amdhsa_ieee_mode 1
		.amdhsa_fp16_overflow 0
		.amdhsa_workgroup_processor_mode 1
		.amdhsa_memory_ordered 1
		.amdhsa_forward_progress 0
		.amdhsa_shared_vgpr_count 0
		.amdhsa_exception_fp_ieee_invalid_op 0
		.amdhsa_exception_fp_denorm_src 0
		.amdhsa_exception_fp_ieee_div_zero 0
		.amdhsa_exception_fp_ieee_overflow 0
		.amdhsa_exception_fp_ieee_underflow 0
		.amdhsa_exception_fp_ieee_inexact 0
		.amdhsa_exception_int_div_zero 0
	.end_amdhsa_kernel
	.section	.text._ZN2at6native12_GLOBAL__N_125multi_tensor_apply_kernelINS1_18TensorListMetadataILi1EEENS1_14UnaryOpFunctorIdLi1ELi1ELi0EEEJNS0_5Expm1IdEEEEEvT_T0_DpT1_,"axG",@progbits,_ZN2at6native12_GLOBAL__N_125multi_tensor_apply_kernelINS1_18TensorListMetadataILi1EEENS1_14UnaryOpFunctorIdLi1ELi1ELi0EEEJNS0_5Expm1IdEEEEEvT_T0_DpT1_,comdat
.Lfunc_end148:
	.size	_ZN2at6native12_GLOBAL__N_125multi_tensor_apply_kernelINS1_18TensorListMetadataILi1EEENS1_14UnaryOpFunctorIdLi1ELi1ELi0EEEJNS0_5Expm1IdEEEEEvT_T0_DpT1_, .Lfunc_end148-_ZN2at6native12_GLOBAL__N_125multi_tensor_apply_kernelINS1_18TensorListMetadataILi1EEENS1_14UnaryOpFunctorIdLi1ELi1ELi0EEEJNS0_5Expm1IdEEEEEvT_T0_DpT1_
                                        ; -- End function
	.section	.AMDGPU.csdata,"",@progbits
; Kernel info:
; codeLenInByte = 3872
; NumSgprs: 52
; NumVgprs: 45
; ScratchSize: 0
; MemoryBound: 0
; FloatMode: 240
; IeeeMode: 1
; LDSByteSize: 0 bytes/workgroup (compile time only)
; SGPRBlocks: 6
; VGPRBlocks: 5
; NumSGPRsForWavesPerEU: 52
; NumVGPRsForWavesPerEU: 45
; Occupancy: 16
; WaveLimiterHint : 0
; COMPUTE_PGM_RSRC2:SCRATCH_EN: 0
; COMPUTE_PGM_RSRC2:USER_SGPR: 15
; COMPUTE_PGM_RSRC2:TRAP_HANDLER: 0
; COMPUTE_PGM_RSRC2:TGID_X_EN: 1
; COMPUTE_PGM_RSRC2:TGID_Y_EN: 0
; COMPUTE_PGM_RSRC2:TGID_Z_EN: 0
; COMPUTE_PGM_RSRC2:TIDIG_COMP_CNT: 0
	.section	.text._ZN2at6native12_GLOBAL__N_125multi_tensor_apply_kernelINS1_18TensorListMetadataILi1EEENS1_14UnaryOpFunctorIfLi1ELi1ELi0EEEJNS0_5Expm1IfEEEEEvT_T0_DpT1_,"axG",@progbits,_ZN2at6native12_GLOBAL__N_125multi_tensor_apply_kernelINS1_18TensorListMetadataILi1EEENS1_14UnaryOpFunctorIfLi1ELi1ELi0EEEJNS0_5Expm1IfEEEEEvT_T0_DpT1_,comdat
	.globl	_ZN2at6native12_GLOBAL__N_125multi_tensor_apply_kernelINS1_18TensorListMetadataILi1EEENS1_14UnaryOpFunctorIfLi1ELi1ELi0EEEJNS0_5Expm1IfEEEEEvT_T0_DpT1_ ; -- Begin function _ZN2at6native12_GLOBAL__N_125multi_tensor_apply_kernelINS1_18TensorListMetadataILi1EEENS1_14UnaryOpFunctorIfLi1ELi1ELi0EEEJNS0_5Expm1IfEEEEEvT_T0_DpT1_
	.p2align	8
	.type	_ZN2at6native12_GLOBAL__N_125multi_tensor_apply_kernelINS1_18TensorListMetadataILi1EEENS1_14UnaryOpFunctorIfLi1ELi1ELi0EEEJNS0_5Expm1IfEEEEEvT_T0_DpT1_,@function
_ZN2at6native12_GLOBAL__N_125multi_tensor_apply_kernelINS1_18TensorListMetadataILi1EEENS1_14UnaryOpFunctorIfLi1ELi1ELi0EEEJNS0_5Expm1IfEEEEEvT_T0_DpT1_: ; @_ZN2at6native12_GLOBAL__N_125multi_tensor_apply_kernelINS1_18TensorListMetadataILi1EEENS1_14UnaryOpFunctorIfLi1ELi1ELi0EEEJNS0_5Expm1IfEEEEEvT_T0_DpT1_
; %bb.0:
	v_mov_b32_e32 v1, s15
	s_add_u32 s2, s0, s15
	s_mul_hi_u32 s3, s15, 3
	s_mul_i32 s15, s15, 3
	s_addc_u32 s4, s1, 0
	global_load_u8 v1, v1, s[0:1] offset:1760
	s_add_u32 s2, s2, s15
	s_addc_u32 s3, s4, s3
	s_mov_b32 s13, 0
	s_load_b32 s2, s[2:3], 0x820
	s_waitcnt vmcnt(0)
	v_readfirstlane_b32 s5, v1
	s_delay_alu instid0(VALU_DEP_1)
	s_lshl_b32 s3, s5, 3
	s_clause 0x1
	s_load_b64 s[8:9], s[0:1], s3 offset:0x0
	s_load_b64 s[4:5], s[0:1], s3 offset:0x370
	s_waitcnt lgkmcnt(0)
	s_ashr_i32 s3, s2, 31
	s_delay_alu instid0(SALU_CYCLE_1)
	s_lshl_b64 s[10:11], s[2:3], 18
	s_lshl_b64 s[2:3], s[2:3], 16
	s_and_b32 s12, s8, 15
	s_sub_u32 s6, s4, s2
	s_subb_u32 s7, s5, s3
	s_and_b32 s2, s4, 3
	s_mov_b32 s3, s13
	s_delay_alu instid0(SALU_CYCLE_1) | instskip(NEXT) | instid1(SALU_CYCLE_1)
	s_or_b64 s[2:3], s[12:13], s[2:3]
	s_cmp_eq_u64 s[2:3], 0
	s_cbranch_scc1 .LBB149_21
; %bb.1:
	v_cmp_lt_i64_e64 s2, s[6:7], 1
	s_delay_alu instid0(VALU_DEP_1)
	s_and_b32 vcc_lo, exec_lo, s2
	s_cbranch_vccnz .LBB149_20
; %bb.2:
	s_load_b32 s2, s[0:1], 0xd3c
	v_cmp_gt_u64_e64 s3, 0x10000, s[6:7]
	v_lshlrev_b32_e32 v1, 2, v0
	s_mov_b32 s20, 0x395133b1
	s_waitcnt lgkmcnt(0)
	s_and_b32 s2, s2, 0xffff
	s_delay_alu instid0(VALU_DEP_2)
	s_and_b32 s3, s3, exec_lo
	v_add_co_u32 v5, s5, v0, s2
	s_cselect_b32 s13, s7, 0
	s_cselect_b32 s12, s6, 0x10000
	s_lshl_b32 s3, s2, 1
	s_lshl_b32 s16, s2, 2
	v_lshlrev_b32_e32 v3, 2, v5
	v_add_co_ci_u32_e64 v6, null, 0, 0, s5
	s_add_u32 s5, s8, s10
	v_add_co_u32 v9, s3, s3, v0
	s_mul_i32 s4, s2, 3
	s_addc_u32 s14, s9, s11
	v_add_co_ci_u32_e64 v10, null, 0, 0, s3
	v_add_co_u32 v1, s3, s5, v1
	v_add_co_u32 v7, s4, s4, v0
	v_add_co_ci_u32_e64 v2, null, s14, 0, s3
	v_add_co_u32 v3, s3, s5, v3
	v_add_co_ci_u32_e64 v8, null, 0, 0, s4
	v_add_co_ci_u32_e64 v4, null, s14, 0, s3
	s_mul_i32 s17, s2, 12
	s_lshl_b32 s18, s2, 4
	s_lshl_b32 s19, s2, 3
	s_mov_b64 s[14:15], 0
	s_branch .LBB149_4
.LBB149_3:                              ;   in Loop: Header=BB149_4 Depth=1
	s_or_b32 exec_lo, exec_lo, s2
	s_add_u32 s14, s14, s16
	s_addc_u32 s15, s15, 0
	v_add_co_u32 v1, vcc_lo, v1, s18
	v_cmp_lt_i64_e64 s2, s[14:15], s[6:7]
	v_cmp_gt_u64_e64 s3, 0x10000, s[14:15]
	v_add_co_ci_u32_e32 v2, vcc_lo, 0, v2, vcc_lo
	v_add_co_u32 v3, vcc_lo, v3, s18
	v_add_co_ci_u32_e32 v4, vcc_lo, 0, v4, vcc_lo
	s_delay_alu instid0(VALU_DEP_4) | instskip(NEXT) | instid1(SALU_CYCLE_1)
	s_and_b32 s2, s2, s3
	s_and_b32 vcc_lo, exec_lo, s2
	s_cbranch_vccz .LBB149_20
.LBB149_4:                              ; =>This Inner Loop Header: Depth=1
	s_waitcnt vmcnt(0)
	v_add_co_u32 v11, s2, v0, s14
	s_delay_alu instid0(VALU_DEP_1) | instskip(SKIP_1) | instid1(VALU_DEP_2)
	v_add_co_ci_u32_e64 v12, null, 0, s15, s2
	v_mov_b32_e32 v14, 0
	v_cmp_gt_u64_e64 s4, s[12:13], v[11:12]
	s_delay_alu instid0(VALU_DEP_1)
	s_and_saveexec_b32 s2, s4
	s_cbranch_execz .LBB149_6
; %bb.5:                                ;   in Loop: Header=BB149_4 Depth=1
	global_load_b32 v14, v[1:2], off
.LBB149_6:                              ;   in Loop: Header=BB149_4 Depth=1
	s_or_b32 exec_lo, exec_lo, s2
	v_add_co_u32 v11, vcc_lo, v5, s14
	v_add_co_ci_u32_e32 v12, vcc_lo, s15, v6, vcc_lo
	v_mov_b32_e32 v13, 0
	s_delay_alu instid0(VALU_DEP_2) | instskip(NEXT) | instid1(VALU_DEP_1)
	v_cmp_gt_u64_e64 s3, s[12:13], v[11:12]
	s_and_saveexec_b32 s2, s3
	s_cbranch_execz .LBB149_8
; %bb.7:                                ;   in Loop: Header=BB149_4 Depth=1
	global_load_b32 v13, v[3:4], off
.LBB149_8:                              ;   in Loop: Header=BB149_4 Depth=1
	s_or_b32 exec_lo, exec_lo, s2
	v_add_co_u32 v11, vcc_lo, v9, s14
	v_add_co_ci_u32_e32 v12, vcc_lo, s15, v10, vcc_lo
	s_delay_alu instid0(VALU_DEP_1) | instskip(SKIP_1) | instid1(VALU_DEP_2)
	v_cmp_gt_u64_e64 s2, s[12:13], v[11:12]
	v_dual_mov_b32 v11, 0 :: v_dual_mov_b32 v12, 0
	s_and_saveexec_b32 s5, s2
	s_cbranch_execz .LBB149_10
; %bb.9:                                ;   in Loop: Header=BB149_4 Depth=1
	v_add_co_u32 v15, vcc_lo, v1, s19
	v_add_co_ci_u32_e32 v16, vcc_lo, 0, v2, vcc_lo
	global_load_b32 v12, v[15:16], off
.LBB149_10:                             ;   in Loop: Header=BB149_4 Depth=1
	s_or_b32 exec_lo, exec_lo, s5
	v_add_co_u32 v15, vcc_lo, v7, s14
	v_add_co_ci_u32_e32 v16, vcc_lo, s15, v8, vcc_lo
	s_delay_alu instid0(VALU_DEP_1)
	v_cmp_gt_u64_e32 vcc_lo, s[12:13], v[15:16]
	s_and_saveexec_b32 s21, vcc_lo
	s_cbranch_execnz .LBB149_15
; %bb.11:                               ;   in Loop: Header=BB149_4 Depth=1
	s_or_b32 exec_lo, exec_lo, s21
	s_and_saveexec_b32 s5, s4
	s_cbranch_execnz .LBB149_16
.LBB149_12:                             ;   in Loop: Header=BB149_4 Depth=1
	s_or_b32 exec_lo, exec_lo, s5
	s_and_saveexec_b32 s4, s3
	s_cbranch_execnz .LBB149_17
.LBB149_13:                             ;   in Loop: Header=BB149_4 Depth=1
	s_or_b32 exec_lo, exec_lo, s4
	s_and_saveexec_b32 s3, s2
	s_cbranch_execnz .LBB149_18
.LBB149_14:                             ;   in Loop: Header=BB149_4 Depth=1
	s_or_b32 exec_lo, exec_lo, s3
	s_and_saveexec_b32 s2, vcc_lo
	s_cbranch_execz .LBB149_3
	s_branch .LBB149_19
.LBB149_15:                             ;   in Loop: Header=BB149_4 Depth=1
	v_add_co_u32 v15, s5, v1, s17
	s_delay_alu instid0(VALU_DEP_1)
	v_add_co_ci_u32_e64 v16, s5, 0, v2, s5
	global_load_b32 v11, v[15:16], off
	s_or_b32 exec_lo, exec_lo, s21
	s_and_saveexec_b32 s5, s4
	s_cbranch_execz .LBB149_12
.LBB149_16:                             ;   in Loop: Header=BB149_4 Depth=1
	s_waitcnt vmcnt(0)
	v_mul_f32_e32 v15, 0x3fb8aa3b, v14
	s_delay_alu instid0(VALU_DEP_1) | instskip(NEXT) | instid1(VALU_DEP_1)
	v_rndne_f32_e32 v15, v15
	v_fmamk_f32 v16, v15, 0xbf317218, v14
	v_cvt_i32_f32_e32 v18, v15
	v_cmp_eq_f32_e64 s4, 0x43000000, v15
	s_delay_alu instid0(VALU_DEP_3) | instskip(NEXT) | instid1(VALU_DEP_2)
	v_fmac_f32_e32 v16, 0x3102e308, v15
	v_cndmask_b32_e64 v15, v18, 0x7f, s4
	s_delay_alu instid0(VALU_DEP_2) | instskip(NEXT) | instid1(VALU_DEP_2)
	v_fmaak_f32 v17, s20, v16, 0x3ab69700
	v_ldexp_f32 v15, 1.0, v15
	s_delay_alu instid0(VALU_DEP_2) | instskip(NEXT) | instid1(VALU_DEP_1)
	v_fmaak_f32 v17, v16, v17, 0x3c0887f9
	v_fmaak_f32 v17, v16, v17, 0x3d2aaa81
	s_delay_alu instid0(VALU_DEP_1) | instskip(NEXT) | instid1(VALU_DEP_1)
	v_fmaak_f32 v17, v16, v17, 0x3e2aaaab
	v_fma_f32 v17, v16, v17, 0.5
	s_delay_alu instid0(VALU_DEP_1) | instskip(NEXT) | instid1(VALU_DEP_1)
	v_mul_f32_e32 v17, v16, v17
	v_dual_fmac_f32 v16, v16, v17 :: v_dual_add_f32 v17, -1.0, v15
	s_delay_alu instid0(VALU_DEP_1) | instskip(NEXT) | instid1(VALU_DEP_1)
	v_fmac_f32_e32 v17, v15, v16
	v_add_f32_e32 v15, v17, v17
	s_delay_alu instid0(VALU_DEP_1) | instskip(SKIP_1) | instid1(VALU_DEP_1)
	v_cndmask_b32_e64 v15, v17, v15, s4
	v_cmp_nlt_f32_e64 s4, 0x42b17217, v14
	v_cndmask_b32_e64 v15, 0x7f800000, v15, s4
	v_cmp_ngt_f32_e64 s4, 0xc1880000, v14
	s_delay_alu instid0(VALU_DEP_1)
	v_cndmask_b32_e64 v14, -1.0, v15, s4
	global_store_b32 v[1:2], v14, off
	s_or_b32 exec_lo, exec_lo, s5
	s_and_saveexec_b32 s4, s3
	s_cbranch_execz .LBB149_13
.LBB149_17:                             ;   in Loop: Header=BB149_4 Depth=1
	s_waitcnt vmcnt(0)
	v_mul_f32_e32 v14, 0x3fb8aa3b, v13
	s_delay_alu instid0(VALU_DEP_1) | instskip(NEXT) | instid1(VALU_DEP_1)
	v_rndne_f32_e32 v14, v14
	v_fmamk_f32 v15, v14, 0xbf317218, v13
	v_cvt_i32_f32_e32 v17, v14
	v_cmp_eq_f32_e64 s3, 0x43000000, v14
	s_delay_alu instid0(VALU_DEP_3) | instskip(NEXT) | instid1(VALU_DEP_2)
	v_fmac_f32_e32 v15, 0x3102e308, v14
	v_cndmask_b32_e64 v14, v17, 0x7f, s3
	s_delay_alu instid0(VALU_DEP_2) | instskip(NEXT) | instid1(VALU_DEP_2)
	v_fmaak_f32 v16, s20, v15, 0x3ab69700
	v_ldexp_f32 v14, 1.0, v14
	s_delay_alu instid0(VALU_DEP_2) | instskip(NEXT) | instid1(VALU_DEP_1)
	v_fmaak_f32 v16, v15, v16, 0x3c0887f9
	v_fmaak_f32 v16, v15, v16, 0x3d2aaa81
	s_delay_alu instid0(VALU_DEP_1) | instskip(NEXT) | instid1(VALU_DEP_1)
	v_fmaak_f32 v16, v15, v16, 0x3e2aaaab
	v_fma_f32 v16, v15, v16, 0.5
	s_delay_alu instid0(VALU_DEP_1) | instskip(NEXT) | instid1(VALU_DEP_1)
	v_mul_f32_e32 v16, v15, v16
	v_dual_fmac_f32 v15, v15, v16 :: v_dual_add_f32 v16, -1.0, v14
	s_delay_alu instid0(VALU_DEP_1) | instskip(NEXT) | instid1(VALU_DEP_1)
	v_fmac_f32_e32 v16, v14, v15
	v_add_f32_e32 v14, v16, v16
	s_delay_alu instid0(VALU_DEP_1) | instskip(SKIP_1) | instid1(VALU_DEP_1)
	v_cndmask_b32_e64 v14, v16, v14, s3
	v_cmp_nlt_f32_e64 s3, 0x42b17217, v13
	v_cndmask_b32_e64 v14, 0x7f800000, v14, s3
	v_cmp_ngt_f32_e64 s3, 0xc1880000, v13
	s_delay_alu instid0(VALU_DEP_1)
	v_cndmask_b32_e64 v13, -1.0, v14, s3
	global_store_b32 v[3:4], v13, off
	s_or_b32 exec_lo, exec_lo, s4
	s_and_saveexec_b32 s3, s2
	s_cbranch_execz .LBB149_14
.LBB149_18:                             ;   in Loop: Header=BB149_4 Depth=1
	s_waitcnt vmcnt(0)
	v_mul_f32_e32 v13, 0x3fb8aa3b, v12
	s_delay_alu instid0(VALU_DEP_1) | instskip(NEXT) | instid1(VALU_DEP_1)
	v_rndne_f32_e32 v13, v13
	v_fmamk_f32 v14, v13, 0xbf317218, v12
	v_cvt_i32_f32_e32 v16, v13
	v_cmp_eq_f32_e64 s2, 0x43000000, v13
	s_delay_alu instid0(VALU_DEP_3) | instskip(NEXT) | instid1(VALU_DEP_2)
	v_fmac_f32_e32 v14, 0x3102e308, v13
	v_cndmask_b32_e64 v13, v16, 0x7f, s2
	s_delay_alu instid0(VALU_DEP_1) | instskip(NEXT) | instid1(VALU_DEP_1)
	v_ldexp_f32 v13, 1.0, v13
	v_dual_fmaak_f32 v15, s20, v14, 0x3ab69700 :: v_dual_add_f32 v16, -1.0, v13
	s_delay_alu instid0(VALU_DEP_1) | instskip(NEXT) | instid1(VALU_DEP_1)
	v_fmaak_f32 v15, v14, v15, 0x3c0887f9
	v_fmaak_f32 v15, v14, v15, 0x3d2aaa81
	s_delay_alu instid0(VALU_DEP_1) | instskip(NEXT) | instid1(VALU_DEP_1)
	v_fmaak_f32 v15, v14, v15, 0x3e2aaaab
	v_fma_f32 v15, v14, v15, 0.5
	s_delay_alu instid0(VALU_DEP_1) | instskip(NEXT) | instid1(VALU_DEP_1)
	v_mul_f32_e32 v15, v14, v15
	v_fmac_f32_e32 v14, v14, v15
	s_delay_alu instid0(VALU_DEP_1) | instskip(NEXT) | instid1(VALU_DEP_1)
	v_fmac_f32_e32 v16, v13, v14
	v_add_f32_e32 v13, v16, v16
	s_delay_alu instid0(VALU_DEP_1) | instskip(SKIP_1) | instid1(VALU_DEP_1)
	v_cndmask_b32_e64 v13, v16, v13, s2
	v_cmp_nlt_f32_e64 s2, 0x42b17217, v12
	v_cndmask_b32_e64 v13, 0x7f800000, v13, s2
	v_cmp_ngt_f32_e64 s2, 0xc1880000, v12
	s_delay_alu instid0(VALU_DEP_1) | instskip(SKIP_1) | instid1(VALU_DEP_1)
	v_cndmask_b32_e64 v14, -1.0, v13, s2
	v_add_co_u32 v12, s2, v1, s19
	v_add_co_ci_u32_e64 v13, s2, 0, v2, s2
	global_store_b32 v[12:13], v14, off
	s_or_b32 exec_lo, exec_lo, s3
	s_and_saveexec_b32 s2, vcc_lo
	s_cbranch_execz .LBB149_3
.LBB149_19:                             ;   in Loop: Header=BB149_4 Depth=1
	s_waitcnt vmcnt(0)
	v_mul_f32_e32 v12, 0x3fb8aa3b, v11
	s_delay_alu instid0(VALU_DEP_1) | instskip(NEXT) | instid1(VALU_DEP_1)
	v_rndne_f32_e32 v12, v12
	v_fmamk_f32 v13, v12, 0xbf317218, v11
	v_cvt_i32_f32_e32 v15, v12
	v_cmp_eq_f32_e32 vcc_lo, 0x43000000, v12
	s_delay_alu instid0(VALU_DEP_3) | instskip(NEXT) | instid1(VALU_DEP_3)
	v_fmac_f32_e32 v13, 0x3102e308, v12
	v_cndmask_b32_e64 v12, v15, 0x7f, vcc_lo
	s_delay_alu instid0(VALU_DEP_1) | instskip(NEXT) | instid1(VALU_DEP_1)
	v_ldexp_f32 v12, 1.0, v12
	v_dual_fmaak_f32 v14, s20, v13, 0x3ab69700 :: v_dual_add_f32 v15, -1.0, v12
	s_delay_alu instid0(VALU_DEP_1) | instskip(NEXT) | instid1(VALU_DEP_1)
	v_fmaak_f32 v14, v13, v14, 0x3c0887f9
	v_fmaak_f32 v14, v13, v14, 0x3d2aaa81
	s_delay_alu instid0(VALU_DEP_1) | instskip(NEXT) | instid1(VALU_DEP_1)
	v_fmaak_f32 v14, v13, v14, 0x3e2aaaab
	v_fma_f32 v14, v13, v14, 0.5
	s_delay_alu instid0(VALU_DEP_1) | instskip(NEXT) | instid1(VALU_DEP_1)
	v_mul_f32_e32 v14, v13, v14
	v_fmac_f32_e32 v13, v13, v14
	s_delay_alu instid0(VALU_DEP_1) | instskip(NEXT) | instid1(VALU_DEP_1)
	v_fmac_f32_e32 v15, v12, v13
	v_add_f32_e32 v12, v15, v15
	s_delay_alu instid0(VALU_DEP_1) | instskip(SKIP_1) | instid1(VALU_DEP_2)
	v_cndmask_b32_e32 v12, v15, v12, vcc_lo
	v_cmp_nlt_f32_e32 vcc_lo, 0x42b17217, v11
	v_cndmask_b32_e32 v12, 0x7f800000, v12, vcc_lo
	v_cmp_ngt_f32_e32 vcc_lo, 0xc1880000, v11
	s_delay_alu instid0(VALU_DEP_2)
	v_cndmask_b32_e32 v13, -1.0, v12, vcc_lo
	v_add_co_u32 v11, vcc_lo, v1, s17
	v_add_co_ci_u32_e32 v12, vcc_lo, 0, v2, vcc_lo
	global_store_b32 v[11:12], v13, off
	s_branch .LBB149_3
.LBB149_20:
	s_cbranch_execz .LBB149_22
	s_branch .LBB149_25
.LBB149_21:
.LBB149_22:
	v_dual_mov_b32 v2, 0 :: v_dual_lshlrev_b32 v1, 2, v0
	s_mov_b32 s5, 0
	s_mov_b32 s2, exec_lo
	s_delay_alu instid0(VALU_DEP_1)
	v_cmpx_gt_i64_e64 s[6:7], v[1:2]
	s_cbranch_execz .LBB149_25
; %bb.23:
	s_load_b32 s0, s[0:1], 0xd3c
	v_lshlrev_b32_e32 v1, 4, v0
	s_waitcnt lgkmcnt(0)
	s_and_b32 s0, s0, 0xffff
	s_delay_alu instid0(SALU_CYCLE_1) | instskip(SKIP_3) | instid1(VALU_DEP_1)
	s_lshl_b32 s12, s0, 2
	s_add_u32 s1, s8, s10
	s_addc_u32 s2, s9, s11
	v_add_co_u32 v3, s1, s1, v1
	v_add_co_ci_u32_e64 v4, null, s2, 0, s1
	v_add_lshl_u32 v1, v0, s0, 2
	s_delay_alu instid0(VALU_DEP_3) | instskip(NEXT) | instid1(VALU_DEP_3)
	v_add_co_u32 v3, vcc_lo, v3, 8
	v_add_co_ci_u32_e32 v4, vcc_lo, 0, v4, vcc_lo
	s_lshl_b32 s8, s0, 4
	s_mov_b32 s9, 0x395133b1
.LBB149_24:                             ; =>This Inner Loop Header: Depth=1
	global_load_b128 v[5:8], v[3:4], off offset:-8
	v_cmp_le_i64_e64 s3, s[6:7], v[1:2]
	v_cmp_lt_u64_e64 s4, 0xffff, v[1:2]
	s_waitcnt vmcnt(0)
	v_dual_mul_f32 v0, 0x3fb8aa3b, v5 :: v_dual_mul_f32 v9, 0x3fb8aa3b, v6
	v_dual_mul_f32 v10, 0x3fb8aa3b, v7 :: v_dual_mul_f32 v11, 0x3fb8aa3b, v8
	s_delay_alu instid0(VALU_DEP_2) | instskip(NEXT) | instid1(VALU_DEP_3)
	v_rndne_f32_e32 v0, v0
	v_rndne_f32_e32 v9, v9
	s_delay_alu instid0(VALU_DEP_3) | instskip(NEXT) | instid1(VALU_DEP_4)
	v_rndne_f32_e32 v10, v10
	v_rndne_f32_e32 v11, v11
	s_delay_alu instid0(VALU_DEP_4) | instskip(NEXT) | instid1(VALU_DEP_4)
	v_cmp_eq_f32_e32 vcc_lo, 0x43000000, v0
	v_fmamk_f32 v14, v9, 0xbf317218, v6
	v_cvt_i32_f32_e32 v15, v9
	v_cmp_eq_f32_e64 s0, 0x43000000, v9
	v_cvt_i32_f32_e32 v19, v11
	v_cmp_eq_f32_e64 s2, 0x43000000, v11
	v_fmac_f32_e32 v14, 0x3102e308, v9
	v_cvt_i32_f32_e32 v17, v10
	v_cndmask_b32_e64 v9, v15, 0x7f, s0
	v_cmp_eq_f32_e64 s1, 0x43000000, v10
	v_cvt_i32_f32_e32 v13, v0
	v_fmaak_f32 v15, s9, v14, 0x3ab69700
	s_delay_alu instid0(VALU_DEP_4) | instskip(SKIP_1) | instid1(VALU_DEP_3)
	v_ldexp_f32 v9, 1.0, v9
	v_fmamk_f32 v12, v0, 0xbf317218, v5
	v_fmaak_f32 v15, v14, v15, 0x3c0887f9
	s_delay_alu instid0(VALU_DEP_3) | instskip(NEXT) | instid1(VALU_DEP_2)
	v_add_f32_e32 v21, -1.0, v9
	v_fmaak_f32 v15, v14, v15, 0x3d2aaa81
	s_delay_alu instid0(VALU_DEP_1) | instskip(NEXT) | instid1(VALU_DEP_1)
	v_fmaak_f32 v15, v14, v15, 0x3e2aaaab
	v_fma_f32 v15, v14, v15, 0.5
	s_delay_alu instid0(VALU_DEP_1) | instskip(NEXT) | instid1(VALU_DEP_1)
	v_dual_fmamk_f32 v18, v11, 0xbf317218, v8 :: v_dual_mul_f32 v15, v14, v15
	v_fmac_f32_e32 v18, 0x3102e308, v11
	v_cndmask_b32_e64 v11, v19, 0x7f, s2
	s_delay_alu instid0(VALU_DEP_2) | instskip(NEXT) | instid1(VALU_DEP_2)
	v_fmaak_f32 v19, s9, v18, 0x3ab69700
	v_ldexp_f32 v11, 1.0, v11
	v_fmamk_f32 v16, v10, 0xbf317218, v7
	s_delay_alu instid0(VALU_DEP_3) | instskip(NEXT) | instid1(VALU_DEP_3)
	v_fmaak_f32 v19, v18, v19, 0x3c0887f9
	v_add_f32_e32 v23, -1.0, v11
	s_delay_alu instid0(VALU_DEP_2) | instskip(NEXT) | instid1(VALU_DEP_1)
	v_fmaak_f32 v19, v18, v19, 0x3d2aaa81
	v_fmaak_f32 v19, v18, v19, 0x3e2aaaab
	s_delay_alu instid0(VALU_DEP_1) | instskip(NEXT) | instid1(VALU_DEP_1)
	v_fma_f32 v19, v18, v19, 0.5
	v_mul_f32_e32 v19, v18, v19
	v_fmac_f32_e32 v14, v14, v15
	s_delay_alu instid0(VALU_DEP_1) | instskip(SKIP_2) | instid1(VALU_DEP_3)
	v_fmac_f32_e32 v21, v9, v14
	v_fmac_f32_e32 v16, 0x3102e308, v10
	v_cndmask_b32_e64 v10, v17, 0x7f, s1
	v_dual_fmac_f32 v18, v18, v19 :: v_dual_add_f32 v9, v21, v21
	s_delay_alu instid0(VALU_DEP_3) | instskip(NEXT) | instid1(VALU_DEP_3)
	v_fmaak_f32 v17, s9, v16, 0x3ab69700
	v_ldexp_f32 v10, 1.0, v10
	s_delay_alu instid0(VALU_DEP_3) | instskip(NEXT) | instid1(VALU_DEP_2)
	v_cndmask_b32_e64 v9, v21, v9, s0
	v_dual_fmaak_f32 v17, v16, v17, 0x3c0887f9 :: v_dual_add_f32 v22, -1.0, v10
	s_or_b32 s0, s3, s4
	s_delay_alu instid0(SALU_CYCLE_1) | instskip(NEXT) | instid1(VALU_DEP_1)
	s_and_b32 s0, exec_lo, s0
	v_fmaak_f32 v17, v16, v17, 0x3d2aaa81
	s_or_b32 s5, s0, s5
	s_delay_alu instid0(VALU_DEP_1) | instskip(NEXT) | instid1(VALU_DEP_1)
	v_fmaak_f32 v17, v16, v17, 0x3e2aaaab
	v_fma_f32 v17, v16, v17, 0.5
	v_fmac_f32_e32 v12, 0x3102e308, v0
	v_cndmask_b32_e64 v0, v13, 0x7f, vcc_lo
	s_delay_alu instid0(VALU_DEP_3) | instskip(NEXT) | instid1(VALU_DEP_3)
	v_mul_f32_e32 v17, v16, v17
	v_fmaak_f32 v13, s9, v12, 0x3ab69700
	s_delay_alu instid0(VALU_DEP_3) | instskip(NEXT) | instid1(VALU_DEP_3)
	v_ldexp_f32 v0, 1.0, v0
	v_fmac_f32_e32 v16, v16, v17
	s_delay_alu instid0(VALU_DEP_2) | instskip(NEXT) | instid1(VALU_DEP_1)
	v_dual_fmaak_f32 v13, v12, v13, 0x3c0887f9 :: v_dual_add_f32 v20, -1.0, v0
	v_dual_fmac_f32 v22, v10, v16 :: v_dual_fmaak_f32 v13, v12, v13, 0x3d2aaa81
	s_delay_alu instid0(VALU_DEP_1) | instskip(NEXT) | instid1(VALU_DEP_1)
	v_dual_add_f32 v10, v22, v22 :: v_dual_fmaak_f32 v13, v12, v13, 0x3e2aaaab
	v_cndmask_b32_e64 v10, v22, v10, s1
	s_delay_alu instid0(VALU_DEP_2) | instskip(NEXT) | instid1(VALU_DEP_1)
	v_fma_f32 v13, v12, v13, 0.5
	v_mul_f32_e32 v13, v12, v13
	s_delay_alu instid0(VALU_DEP_1) | instskip(NEXT) | instid1(VALU_DEP_1)
	v_fmac_f32_e32 v12, v12, v13
	v_fmac_f32_e32 v20, v0, v12
	s_delay_alu instid0(VALU_DEP_1) | instskip(NEXT) | instid1(VALU_DEP_1)
	v_add_f32_e32 v0, v20, v20
	v_cndmask_b32_e32 v0, v20, v0, vcc_lo
	v_cmp_nlt_f32_e32 vcc_lo, 0x42b17217, v5
	s_delay_alu instid0(VALU_DEP_2) | instskip(SKIP_3) | instid1(VALU_DEP_4)
	v_dual_fmac_f32 v23, v11, v18 :: v_dual_cndmask_b32 v0, 0x7f800000, v0
	v_cmp_nlt_f32_e32 vcc_lo, 0x42b17217, v6
	v_cndmask_b32_e32 v9, 0x7f800000, v9, vcc_lo
	v_cmp_nlt_f32_e32 vcc_lo, 0x42b17217, v7
	v_dual_add_f32 v11, v23, v23 :: v_dual_cndmask_b32 v10, 0x7f800000, v10
	s_delay_alu instid0(VALU_DEP_1) | instskip(SKIP_1) | instid1(VALU_DEP_2)
	v_cndmask_b32_e64 v11, v23, v11, s2
	v_cmp_nlt_f32_e32 vcc_lo, 0x42b17217, v8
	v_cndmask_b32_e32 v11, 0x7f800000, v11, vcc_lo
	v_cmp_ngt_f32_e32 vcc_lo, 0xc1880000, v5
	v_cndmask_b32_e32 v5, -1.0, v0, vcc_lo
	v_cmp_ngt_f32_e32 vcc_lo, 0xc1880000, v6
	v_cndmask_b32_e32 v6, -1.0, v9, vcc_lo
	;; [unrolled: 2-line block ×4, first 2 shown]
	v_add_co_u32 v1, vcc_lo, v1, s12
	v_add_co_ci_u32_e32 v2, vcc_lo, 0, v2, vcc_lo
	global_store_b128 v[3:4], v[5:8], off offset:-8
	v_add_co_u32 v3, vcc_lo, v3, s8
	v_add_co_ci_u32_e32 v4, vcc_lo, 0, v4, vcc_lo
	s_and_not1_b32 exec_lo, exec_lo, s5
	s_cbranch_execnz .LBB149_24
.LBB149_25:
	s_nop 0
	s_sendmsg sendmsg(MSG_DEALLOC_VGPRS)
	s_endpgm
	.section	.rodata,"a",@progbits
	.p2align	6, 0x0
	.amdhsa_kernel _ZN2at6native12_GLOBAL__N_125multi_tensor_apply_kernelINS1_18TensorListMetadataILi1EEENS1_14UnaryOpFunctorIfLi1ELi1ELi0EEEJNS0_5Expm1IfEEEEEvT_T0_DpT1_
		.amdhsa_group_segment_fixed_size 0
		.amdhsa_private_segment_fixed_size 0
		.amdhsa_kernarg_size 3632
		.amdhsa_user_sgpr_count 15
		.amdhsa_user_sgpr_dispatch_ptr 0
		.amdhsa_user_sgpr_queue_ptr 0
		.amdhsa_user_sgpr_kernarg_segment_ptr 1
		.amdhsa_user_sgpr_dispatch_id 0
		.amdhsa_user_sgpr_private_segment_size 0
		.amdhsa_wavefront_size32 1
		.amdhsa_uses_dynamic_stack 0
		.amdhsa_enable_private_segment 0
		.amdhsa_system_sgpr_workgroup_id_x 1
		.amdhsa_system_sgpr_workgroup_id_y 0
		.amdhsa_system_sgpr_workgroup_id_z 0
		.amdhsa_system_sgpr_workgroup_info 0
		.amdhsa_system_vgpr_workitem_id 0
		.amdhsa_next_free_vgpr 24
		.amdhsa_next_free_sgpr 22
		.amdhsa_reserve_vcc 1
		.amdhsa_float_round_mode_32 0
		.amdhsa_float_round_mode_16_64 0
		.amdhsa_float_denorm_mode_32 3
		.amdhsa_float_denorm_mode_16_64 3
		.amdhsa_dx10_clamp 1
		.amdhsa_ieee_mode 1
		.amdhsa_fp16_overflow 0
		.amdhsa_workgroup_processor_mode 1
		.amdhsa_memory_ordered 1
		.amdhsa_forward_progress 0
		.amdhsa_shared_vgpr_count 0
		.amdhsa_exception_fp_ieee_invalid_op 0
		.amdhsa_exception_fp_denorm_src 0
		.amdhsa_exception_fp_ieee_div_zero 0
		.amdhsa_exception_fp_ieee_overflow 0
		.amdhsa_exception_fp_ieee_underflow 0
		.amdhsa_exception_fp_ieee_inexact 0
		.amdhsa_exception_int_div_zero 0
	.end_amdhsa_kernel
	.section	.text._ZN2at6native12_GLOBAL__N_125multi_tensor_apply_kernelINS1_18TensorListMetadataILi1EEENS1_14UnaryOpFunctorIfLi1ELi1ELi0EEEJNS0_5Expm1IfEEEEEvT_T0_DpT1_,"axG",@progbits,_ZN2at6native12_GLOBAL__N_125multi_tensor_apply_kernelINS1_18TensorListMetadataILi1EEENS1_14UnaryOpFunctorIfLi1ELi1ELi0EEEJNS0_5Expm1IfEEEEEvT_T0_DpT1_,comdat
.Lfunc_end149:
	.size	_ZN2at6native12_GLOBAL__N_125multi_tensor_apply_kernelINS1_18TensorListMetadataILi1EEENS1_14UnaryOpFunctorIfLi1ELi1ELi0EEEJNS0_5Expm1IfEEEEEvT_T0_DpT1_, .Lfunc_end149-_ZN2at6native12_GLOBAL__N_125multi_tensor_apply_kernelINS1_18TensorListMetadataILi1EEENS1_14UnaryOpFunctorIfLi1ELi1ELi0EEEJNS0_5Expm1IfEEEEEvT_T0_DpT1_
                                        ; -- End function
	.section	.AMDGPU.csdata,"",@progbits
; Kernel info:
; codeLenInByte = 2604
; NumSgprs: 24
; NumVgprs: 24
; ScratchSize: 0
; MemoryBound: 0
; FloatMode: 240
; IeeeMode: 1
; LDSByteSize: 0 bytes/workgroup (compile time only)
; SGPRBlocks: 2
; VGPRBlocks: 2
; NumSGPRsForWavesPerEU: 24
; NumVGPRsForWavesPerEU: 24
; Occupancy: 16
; WaveLimiterHint : 0
; COMPUTE_PGM_RSRC2:SCRATCH_EN: 0
; COMPUTE_PGM_RSRC2:USER_SGPR: 15
; COMPUTE_PGM_RSRC2:TRAP_HANDLER: 0
; COMPUTE_PGM_RSRC2:TGID_X_EN: 1
; COMPUTE_PGM_RSRC2:TGID_Y_EN: 0
; COMPUTE_PGM_RSRC2:TGID_Z_EN: 0
; COMPUTE_PGM_RSRC2:TIDIG_COMP_CNT: 0
	.section	.text._ZN2at6native12_GLOBAL__N_125multi_tensor_apply_kernelINS1_18TensorListMetadataILi1EEENS1_14UnaryOpFunctorIN3c107complexIdEELi1ELi1ELi0EEEJNS0_5Expm1IS8_EEEEEvT_T0_DpT1_,"axG",@progbits,_ZN2at6native12_GLOBAL__N_125multi_tensor_apply_kernelINS1_18TensorListMetadataILi1EEENS1_14UnaryOpFunctorIN3c107complexIdEELi1ELi1ELi0EEEJNS0_5Expm1IS8_EEEEEvT_T0_DpT1_,comdat
	.globl	_ZN2at6native12_GLOBAL__N_125multi_tensor_apply_kernelINS1_18TensorListMetadataILi1EEENS1_14UnaryOpFunctorIN3c107complexIdEELi1ELi1ELi0EEEJNS0_5Expm1IS8_EEEEEvT_T0_DpT1_ ; -- Begin function _ZN2at6native12_GLOBAL__N_125multi_tensor_apply_kernelINS1_18TensorListMetadataILi1EEENS1_14UnaryOpFunctorIN3c107complexIdEELi1ELi1ELi0EEEJNS0_5Expm1IS8_EEEEEvT_T0_DpT1_
	.p2align	8
	.type	_ZN2at6native12_GLOBAL__N_125multi_tensor_apply_kernelINS1_18TensorListMetadataILi1EEENS1_14UnaryOpFunctorIN3c107complexIdEELi1ELi1ELi0EEEJNS0_5Expm1IS8_EEEEEvT_T0_DpT1_,@function
_ZN2at6native12_GLOBAL__N_125multi_tensor_apply_kernelINS1_18TensorListMetadataILi1EEENS1_14UnaryOpFunctorIN3c107complexIdEELi1ELi1ELi0EEEJNS0_5Expm1IS8_EEEEEvT_T0_DpT1_: ; @_ZN2at6native12_GLOBAL__N_125multi_tensor_apply_kernelINS1_18TensorListMetadataILi1EEENS1_14UnaryOpFunctorIN3c107complexIdEELi1ELi1ELi0EEEJNS0_5Expm1IS8_EEEEEvT_T0_DpT1_
; %bb.0:
	v_mov_b32_e32 v1, s15
	s_add_u32 s3, s0, s15
	s_mul_hi_u32 s5, s15, 3
	s_mul_i32 s15, s15, 3
	s_addc_u32 s2, s1, 0
	global_load_u8 v1, v1, s[0:1] offset:1760
	s_add_u32 s4, s3, s15
	s_addc_u32 s5, s2, s5
                                        ; implicit-def: $vgpr200 : SGPR spill to VGPR lane
	s_load_b32 s10, s[4:5], 0x820
	s_mov_b32 s5, 0
	s_waitcnt lgkmcnt(0)
	s_ashr_i32 s11, s10, 31
	s_delay_alu instid0(SALU_CYCLE_1) | instskip(SKIP_2) | instid1(VALU_DEP_1)
	s_lshl_b64 s[8:9], s[10:11], 20
	s_waitcnt vmcnt(0)
	v_readfirstlane_b32 s3, v1
	s_lshl_b32 s2, s3, 3
	s_load_b64 s[6:7], s[0:1], s2 offset:0x0
	v_writelane_b32 v200, s0, 0
	s_load_b64 s[2:3], s[0:1], s2 offset:0x370
	v_writelane_b32 v200, s1, 1
	s_waitcnt lgkmcnt(0)
	s_add_u32 s33, s6, s8
	v_writelane_b32 v200, s6, 2
	v_writelane_b32 v200, s7, 3
	;; [unrolled: 1-line block ×3, first 2 shown]
	s_addc_u32 s104, s7, s9
	s_lshl_b64 s[0:1], s[10:11], 16
	s_and_b32 s4, s33, 63
	s_sub_u32 s6, s2, s0
	v_writelane_b32 v200, s9, 5
	s_subb_u32 s7, s3, s1
	s_and_b32 s0, s2, 3
	s_mov_b32 s1, s5
	v_writelane_b32 v200, s6, 6
	s_or_b64 s[0:1], s[4:5], s[0:1]
	s_delay_alu instid0(SALU_CYCLE_1)
	s_cmp_eq_u64 s[0:1], 0
	v_writelane_b32 v200, s7, 7
	s_cbranch_scc1 .LBB150_69
; %bb.1:
	v_cmp_lt_i64_e64 s0, s[6:7], 1
	s_delay_alu instid0(VALU_DEP_1)
	s_and_b32 vcc_lo, exec_lo, s0
	s_cbranch_vccnz .LBB150_68
; %bb.2:
	v_readlane_b32 s0, v200, 0
	v_readlane_b32 s1, v200, 1
	v_readlane_b32 s2, v200, 6
	v_readlane_b32 s3, v200, 7
	v_mov_b32_e32 v17, 0
	v_lshlrev_b32_e32 v19, 4, v0
	s_load_b32 s0, s[0:1], 0xd3c
	s_mov_b32 s22, 0x54442d18
	v_cmp_gt_u64_e64 s1, 0x10000, s[2:3]
	v_mov_b32_e32 v20, v17
	s_mov_b32 s28, 0x6dc9c883
	s_mov_b32 s30, 0x33145c00
	;; [unrolled: 1-line block ×16, first 2 shown]
	s_waitcnt lgkmcnt(0)
	s_and_b32 s0, s0, 0xffff
	s_and_b32 s1, s1, exec_lo
	v_mad_u64_u32 v[21:22], null, s0, 48, v[19:20]
	s_cselect_b32 s17, s3, 0
	s_cselect_b32 s16, s2, 0x10000
	s_lshl_b32 s1, s0, 1
	s_mul_i32 s2, s0, 3
	s_lshl_b32 vcc_hi, s0, 2
	s_lshl_b32 s36, s0, 6
	v_add_co_u32 v87, s3, v0, s0
	s_lshl_b32 s0, s0, 5
	v_add_co_u32 v20, s2, s2, v0
	v_add_co_u32 v1, s0, s0, v19
	s_delay_alu instid0(VALU_DEP_1)
	v_add_co_ci_u32_e64 v90, null, 0, 0, s0
	v_add_co_u32 v93, s0, s1, v0
	v_add_co_ci_u32_e64 v88, null, 0, 0, s3
	v_add_co_ci_u32_e64 v89, null, 0, 0, s2
	v_lshlrev_b32_e32 v91, 4, v87
	v_or_b32_e32 v92, 8, v1
	v_or_b32_e32 v21, 8, v21
	v_add_co_ci_u32_e64 v94, null, 0, 0, s0
	s_mov_b32 s0, 0x652b82fe
	s_mov_b32 s64, 0xa9d67f34
	;; [unrolled: 1-line block ×13, first 2 shown]
	s_mov_b64 s[18:19], 0
	s_mov_b32 s21, 0x3ff921fb
	s_mov_b32 s23, 0xbff921fb
	;; [unrolled: 1-line block ×43, first 2 shown]
	s_branch .LBB150_4
.LBB150_3:                              ;   in Loop: Header=BB150_4 Depth=1
	s_or_b32 exec_lo, exec_lo, s9
	v_readlane_b32 s2, v200, 6
	v_readlane_b32 s3, v200, 7
	s_add_u32 s18, s18, vcc_hi
	s_addc_u32 s19, s19, 0
	s_delay_alu instid0(VALU_DEP_1) | instid1(SALU_CYCLE_1)
	v_cmp_ge_i64_e64 s2, s[18:19], s[2:3]
	v_cmp_lt_u64_e64 s3, 0xffff, s[18:19]
	s_delay_alu instid0(VALU_DEP_1)
	s_or_b32 s2, s2, s3
	s_add_u32 s33, s33, s36
	s_addc_u32 s104, s104, 0
	s_and_b32 vcc_lo, exec_lo, s2
	s_cbranch_vccnz .LBB150_68
.LBB150_4:                              ; =>This Inner Loop Header: Depth=1
	v_add_co_u32 v1, s2, v0, s18
	s_delay_alu instid0(VALU_DEP_1) | instskip(SKIP_2) | instid1(VALU_DEP_3)
	v_add_co_ci_u32_e64 v2, null, 0, s19, s2
	v_mov_b32_e32 v11, 0
	v_mov_b32_e32 v12, 0
	v_cmp_gt_u64_e64 s4, s[16:17], v[1:2]
	s_delay_alu instid0(VALU_DEP_2) | instskip(SKIP_1) | instid1(VALU_DEP_3)
	v_dual_mov_b32 v16, v12 :: v_dual_mov_b32 v15, v11
	v_dual_mov_b32 v14, v12 :: v_dual_mov_b32 v13, v11
	s_and_saveexec_b32 s2, s4
	s_cbranch_execz .LBB150_6
; %bb.5:                                ;   in Loop: Header=BB150_4 Depth=1
	v_add_co_u32 v1, s3, s33, v19
	s_delay_alu instid0(VALU_DEP_1)
	v_add_co_ci_u32_e64 v2, null, s104, 0, s3
	global_load_b128 v[13:16], v[1:2], off
.LBB150_6:                              ;   in Loop: Header=BB150_4 Depth=1
	s_or_b32 exec_lo, exec_lo, s2
	v_add_co_u32 v1, vcc_lo, v87, s18
	v_add_co_ci_u32_e32 v2, vcc_lo, s19, v88, vcc_lo
	v_dual_mov_b32 v9, v11 :: v_dual_mov_b32 v10, v12
	s_delay_alu instid0(VALU_DEP_2) | instskip(NEXT) | instid1(VALU_DEP_1)
	v_cmp_gt_u64_e64 s3, s[16:17], v[1:2]
	s_and_saveexec_b32 s2, s3
	s_cbranch_execz .LBB150_8
; %bb.7:                                ;   in Loop: Header=BB150_4 Depth=1
	v_add_co_u32 v1, s5, s33, v91
	s_delay_alu instid0(VALU_DEP_1)
	v_add_co_ci_u32_e64 v2, null, s104, 0, s5
	global_load_b128 v[9:12], v[1:2], off
.LBB150_8:                              ;   in Loop: Header=BB150_4 Depth=1
	s_or_b32 exec_lo, exec_lo, s2
	v_add_co_u32 v1, vcc_lo, v93, s18
	v_add_co_ci_u32_e32 v2, vcc_lo, s19, v94, vcc_lo
	v_mov_b32_e32 v3, 0
	v_mov_b32_e32 v4, 0
	s_delay_alu instid0(VALU_DEP_3) | instskip(NEXT) | instid1(VALU_DEP_2)
	v_cmp_gt_u64_e64 s2, s[16:17], v[1:2]
	v_dual_mov_b32 v8, v4 :: v_dual_mov_b32 v7, v3
	v_dual_mov_b32 v6, v4 :: v_dual_mov_b32 v5, v3
	s_delay_alu instid0(VALU_DEP_3)
	s_and_saveexec_b32 s5, s2
	s_cbranch_execz .LBB150_10
; %bb.9:                                ;   in Loop: Header=BB150_4 Depth=1
	v_add_co_u32 v1, vcc_lo, s33, v92
	v_add_co_ci_u32_e32 v2, vcc_lo, s104, v90, vcc_lo
	global_load_b128 v[5:8], v[1:2], off offset:-8
.LBB150_10:                             ;   in Loop: Header=BB150_4 Depth=1
	s_or_b32 exec_lo, exec_lo, s5
	v_add_co_u32 v1, vcc_lo, v20, s18
	v_add_co_ci_u32_e32 v2, vcc_lo, s19, v89, vcc_lo
	s_delay_alu instid0(VALU_DEP_1)
	v_cmp_gt_u64_e32 vcc_lo, s[16:17], v[1:2]
	v_dual_mov_b32 v1, v3 :: v_dual_mov_b32 v2, v4
	s_and_saveexec_b32 s6, vcc_lo
	s_cbranch_execz .LBB150_12
; %bb.11:                               ;   in Loop: Header=BB150_4 Depth=1
	v_add_co_u32 v1, s5, s33, v21
	s_delay_alu instid0(VALU_DEP_1)
	v_add_co_ci_u32_e64 v2, s5, s104, v22, s5
	global_load_b128 v[1:4], v[1:2], off offset:-8
.LBB150_12:                             ;   in Loop: Header=BB150_4 Depth=1
	s_or_b32 exec_lo, exec_lo, s6
	s_waitcnt vmcnt(0)
	v_mul_f64 v[23:24], v[15:16], 0.5
                                        ; implicit-def: $vgpr95
                                        ; implicit-def: $vgpr27_vgpr28
                                        ; implicit-def: $vgpr29_vgpr30
	s_mov_b32 s6, exec_lo
	s_delay_alu instid0(VALU_DEP_1)
	v_cmpx_ngt_f64_e64 0x41d00000, |v[23:24]|
	s_xor_b32 s7, exec_lo, s6
	s_cbranch_execz .LBB150_14
; %bb.13:                               ;   in Loop: Header=BB150_4 Depth=1
	v_ldexp_f64 v[25:26], |v[23:24]|, 0xffffff80
	v_cmp_le_f64_e64 s5, 0x7b000000, |v[23:24]|
	v_trig_preop_f64 v[27:28], |v[23:24]|, 0
	v_and_b32_e32 v18, 0x7fffffff, v24
	v_trig_preop_f64 v[29:30], |v[23:24]|, 1
	v_trig_preop_f64 v[39:40], |v[23:24]|, 2
	s_mov_b32 s20, s22
	s_mov_b32 s27, s25
	v_cndmask_b32_e64 v26, v18, v26, s5
	v_cndmask_b32_e64 v25, v23, v25, s5
	s_delay_alu instid0(VALU_DEP_1) | instskip(SKIP_2) | instid1(VALU_DEP_3)
	v_mul_f64 v[31:32], v[27:28], v[25:26]
	v_mul_f64 v[33:34], v[29:30], v[25:26]
	;; [unrolled: 1-line block ×3, first 2 shown]
	v_fma_f64 v[27:28], v[27:28], v[25:26], -v[31:32]
	s_delay_alu instid0(VALU_DEP_3) | instskip(NEXT) | instid1(VALU_DEP_3)
	v_fma_f64 v[29:30], v[29:30], v[25:26], -v[33:34]
	v_fma_f64 v[25:26], v[39:40], v[25:26], -v[45:46]
	s_delay_alu instid0(VALU_DEP_3) | instskip(NEXT) | instid1(VALU_DEP_1)
	v_add_f64 v[35:36], v[33:34], v[27:28]
	v_add_f64 v[37:38], v[35:36], -v[33:34]
	v_add_f64 v[43:44], v[31:32], v[35:36]
	s_delay_alu instid0(VALU_DEP_2) | instskip(SKIP_1) | instid1(VALU_DEP_3)
	v_add_f64 v[41:42], v[35:36], -v[37:38]
	v_add_f64 v[27:28], v[27:28], -v[37:38]
	v_ldexp_f64 v[37:38], v[43:44], -2
	v_add_f64 v[31:32], v[43:44], -v[31:32]
	s_delay_alu instid0(VALU_DEP_4) | instskip(SKIP_1) | instid1(VALU_DEP_4)
	v_add_f64 v[33:34], v[33:34], -v[41:42]
	v_add_f64 v[41:42], v[45:46], v[29:30]
	v_cmp_neq_f64_e64 s5, 0x7ff00000, |v[37:38]|
	s_delay_alu instid0(VALU_DEP_4) | instskip(NEXT) | instid1(VALU_DEP_4)
	v_add_f64 v[31:32], v[35:36], -v[31:32]
	v_add_f64 v[27:28], v[27:28], v[33:34]
	v_fract_f64_e32 v[33:34], v[37:38]
	s_delay_alu instid0(VALU_DEP_2) | instskip(NEXT) | instid1(VALU_DEP_2)
	v_add_f64 v[35:36], v[41:42], v[27:28]
	v_cndmask_b32_e64 v34, 0, v34, s5
	s_delay_alu instid0(VALU_DEP_3) | instskip(NEXT) | instid1(VALU_DEP_1)
	v_cndmask_b32_e64 v33, 0, v33, s5
	v_ldexp_f64 v[33:34], v[33:34], 2
	s_delay_alu instid0(VALU_DEP_4) | instskip(SKIP_1) | instid1(VALU_DEP_2)
	v_add_f64 v[37:38], v[31:32], v[35:36]
	v_add_f64 v[47:48], v[35:36], -v[41:42]
	v_add_f64 v[43:44], v[37:38], v[33:34]
	s_delay_alu instid0(VALU_DEP_2) | instskip(SKIP_2) | instid1(VALU_DEP_4)
	v_add_f64 v[53:54], v[35:36], -v[47:48]
	v_add_f64 v[27:28], v[27:28], -v[47:48]
	;; [unrolled: 1-line block ×3, first 2 shown]
	v_cmp_gt_f64_e64 s5, 0, v[43:44]
	v_add_f64 v[43:44], v[41:42], -v[45:46]
	s_delay_alu instid0(VALU_DEP_3) | instskip(NEXT) | instid1(VALU_DEP_3)
	v_add_f64 v[31:32], v[35:36], -v[31:32]
	v_cndmask_b32_e64 v18, 0, 0x40100000, s5
	s_delay_alu instid0(VALU_DEP_3) | instskip(SKIP_2) | instid1(VALU_DEP_4)
	v_add_f64 v[51:52], v[41:42], -v[43:44]
	v_add_f64 v[29:30], v[29:30], -v[43:44]
	;; [unrolled: 1-line block ×3, first 2 shown]
	v_add_f64 v[33:34], v[33:34], v[17:18]
	s_delay_alu instid0(VALU_DEP_4) | instskip(NEXT) | instid1(VALU_DEP_3)
	v_add_f64 v[43:44], v[45:46], -v[51:52]
	v_add_f64 v[27:28], v[27:28], v[41:42]
	s_delay_alu instid0(VALU_DEP_3) | instskip(NEXT) | instid1(VALU_DEP_3)
	v_add_f64 v[49:50], v[37:38], v[33:34]
	v_add_f64 v[29:30], v[29:30], v[43:44]
	s_delay_alu instid0(VALU_DEP_2) | instskip(NEXT) | instid1(VALU_DEP_2)
	v_cvt_i32_f64_e32 v18, v[49:50]
	v_add_f64 v[27:28], v[29:30], v[27:28]
	s_delay_alu instid0(VALU_DEP_2) | instskip(NEXT) | instid1(VALU_DEP_2)
	v_cvt_f64_i32_e32 v[47:48], v18
	v_add_f64 v[25:26], v[25:26], v[27:28]
	s_delay_alu instid0(VALU_DEP_2) | instskip(NEXT) | instid1(VALU_DEP_2)
	v_add_f64 v[33:34], v[33:34], -v[47:48]
	v_add_f64 v[25:26], v[31:32], v[25:26]
	s_delay_alu instid0(VALU_DEP_2) | instskip(NEXT) | instid1(VALU_DEP_1)
	v_add_f64 v[29:30], v[37:38], v[33:34]
	v_add_f64 v[27:28], v[29:30], -v[33:34]
	v_cmp_le_f64_e64 s5, 0.5, v[29:30]
	s_delay_alu instid0(VALU_DEP_2) | instskip(NEXT) | instid1(VALU_DEP_2)
	v_add_f64 v[27:28], v[37:38], -v[27:28]
	v_add_co_ci_u32_e64 v95, s6, 0, v18, s5
	v_cndmask_b32_e64 v18, 0, 0x3ff00000, s5
	s_delay_alu instid0(VALU_DEP_3) | instskip(NEXT) | instid1(VALU_DEP_2)
	v_add_f64 v[25:26], v[25:26], v[27:28]
	v_add_f64 v[27:28], v[29:30], -v[17:18]
	s_delay_alu instid0(VALU_DEP_1) | instskip(NEXT) | instid1(VALU_DEP_1)
	v_add_f64 v[29:30], v[27:28], v[25:26]
	v_mul_f64 v[31:32], v[29:30], s[20:21]
	v_add_f64 v[27:28], v[29:30], -v[27:28]
	s_delay_alu instid0(VALU_DEP_2) | instskip(NEXT) | instid1(VALU_DEP_2)
	v_fma_f64 v[33:34], v[29:30], s[20:21], -v[31:32]
	v_add_f64 v[25:26], v[25:26], -v[27:28]
	s_delay_alu instid0(VALU_DEP_2) | instskip(NEXT) | instid1(VALU_DEP_1)
	v_fma_f64 v[27:28], v[29:30], s[26:27], v[33:34]
	v_fma_f64 v[25:26], v[25:26], s[20:21], v[27:28]
	s_delay_alu instid0(VALU_DEP_1) | instskip(NEXT) | instid1(VALU_DEP_1)
	v_add_f64 v[27:28], v[31:32], v[25:26]
	v_add_f64 v[29:30], v[27:28], -v[31:32]
	s_delay_alu instid0(VALU_DEP_1)
	v_add_f64 v[29:30], v[25:26], -v[29:30]
.LBB150_14:                             ;   in Loop: Header=BB150_4 Depth=1
	s_and_not1_saveexec_b32 s5, s7
	s_cbranch_execz .LBB150_16
; %bb.15:                               ;   in Loop: Header=BB150_4 Depth=1
	v_mul_f64 v[25:26], |v[23:24]|, s[28:29]
	s_mov_b32 s24, s30
	s_delay_alu instid0(VALU_DEP_1) | instskip(NEXT) | instid1(VALU_DEP_1)
	v_rndne_f64_e32 v[25:26], v[25:26]
	v_fma_f64 v[27:28], v[25:26], s[22:23], |v[23:24]|
	v_mul_f64 v[29:30], v[25:26], s[30:31]
	v_cvt_i32_f64_e32 v95, v[25:26]
	s_delay_alu instid0(VALU_DEP_3) | instskip(NEXT) | instid1(VALU_DEP_3)
	v_fma_f64 v[33:34], v[25:26], s[30:31], v[27:28]
	v_add_f64 v[31:32], v[27:28], v[29:30]
	s_delay_alu instid0(VALU_DEP_1) | instskip(NEXT) | instid1(VALU_DEP_3)
	v_add_f64 v[27:28], v[27:28], -v[31:32]
	v_add_f64 v[31:32], v[31:32], -v[33:34]
	s_delay_alu instid0(VALU_DEP_2) | instskip(SKIP_1) | instid1(VALU_DEP_2)
	v_add_f64 v[27:28], v[27:28], v[29:30]
	v_fma_f64 v[29:30], v[25:26], s[24:25], v[29:30]
	v_add_f64 v[27:28], v[31:32], v[27:28]
	s_delay_alu instid0(VALU_DEP_1) | instskip(NEXT) | instid1(VALU_DEP_1)
	v_add_f64 v[27:28], v[27:28], -v[29:30]
	v_fma_f64 v[29:30], v[25:26], s[34:35], v[27:28]
	s_delay_alu instid0(VALU_DEP_1) | instskip(NEXT) | instid1(VALU_DEP_1)
	v_add_f64 v[27:28], v[33:34], v[29:30]
	v_add_f64 v[31:32], v[27:28], -v[33:34]
	s_delay_alu instid0(VALU_DEP_1)
	v_add_f64 v[29:30], v[29:30], -v[31:32]
.LBB150_16:                             ;   in Loop: Header=BB150_4 Depth=1
	s_or_b32 exec_lo, exec_lo, s5
	v_cmp_ngt_f64_e64 s7, 0x41d00000, |v[15:16]|
	v_trig_preop_f64 v[33:34], |v[15:16]|, 0
	v_trig_preop_f64 v[31:32], |v[15:16]|, 1
	v_ldexp_f64 v[37:38], |v[15:16]|, 0xffffff80
	v_trig_preop_f64 v[25:26], |v[15:16]|, 2
	v_and_b32_e32 v41, 0x7fffffff, v16
                                        ; implicit-def: $vgpr96
                                        ; implicit-def: $vgpr35_vgpr36
                                        ; implicit-def: $vgpr39_vgpr40
	s_and_saveexec_b32 s5, s7
	s_delay_alu instid0(SALU_CYCLE_1)
	s_xor_b32 s8, exec_lo, s5
	s_cbranch_execz .LBB150_18
; %bb.17:                               ;   in Loop: Header=BB150_4 Depth=1
	v_cmp_le_f64_e64 s5, 0x7b000000, |v[15:16]|
	s_mov_b32 s20, s22
	s_mov_b32 s27, s25
	s_delay_alu instid0(VALU_DEP_1) | instskip(SKIP_1) | instid1(VALU_DEP_1)
	v_cndmask_b32_e64 v36, v41, v38, s5
	v_cndmask_b32_e64 v35, v15, v37, s5
	v_mul_f64 v[39:40], v[33:34], v[35:36]
	v_mul_f64 v[42:43], v[31:32], v[35:36]
	v_mul_f64 v[54:55], v[25:26], v[35:36]
	s_delay_alu instid0(VALU_DEP_3) | instskip(NEXT) | instid1(VALU_DEP_3)
	v_fma_f64 v[44:45], v[33:34], v[35:36], -v[39:40]
	v_fma_f64 v[56:57], v[31:32], v[35:36], -v[42:43]
	s_delay_alu instid0(VALU_DEP_3) | instskip(NEXT) | instid1(VALU_DEP_3)
	v_fma_f64 v[35:36], v[25:26], v[35:36], -v[54:55]
	v_add_f64 v[46:47], v[42:43], v[44:45]
	s_delay_alu instid0(VALU_DEP_1) | instskip(SKIP_1) | instid1(VALU_DEP_2)
	v_add_f64 v[48:49], v[46:47], -v[42:43]
	v_add_f64 v[52:53], v[39:40], v[46:47]
	v_add_f64 v[50:51], v[46:47], -v[48:49]
	v_add_f64 v[44:45], v[44:45], -v[48:49]
	s_delay_alu instid0(VALU_DEP_3) | instskip(SKIP_1) | instid1(VALU_DEP_4)
	v_ldexp_f64 v[48:49], v[52:53], -2
	v_add_f64 v[39:40], v[52:53], -v[39:40]
	v_add_f64 v[42:43], v[42:43], -v[50:51]
	v_add_f64 v[50:51], v[54:55], v[56:57]
	s_delay_alu instid0(VALU_DEP_4) | instskip(NEXT) | instid1(VALU_DEP_4)
	v_cmp_neq_f64_e64 s5, 0x7ff00000, |v[48:49]|
	v_add_f64 v[39:40], v[46:47], -v[39:40]
	s_delay_alu instid0(VALU_DEP_4) | instskip(SKIP_1) | instid1(VALU_DEP_2)
	v_add_f64 v[42:43], v[44:45], v[42:43]
	v_fract_f64_e32 v[44:45], v[48:49]
	v_add_f64 v[46:47], v[50:51], v[42:43]
	s_delay_alu instid0(VALU_DEP_2) | instskip(NEXT) | instid1(VALU_DEP_3)
	v_cndmask_b32_e64 v45, 0, v45, s5
	v_cndmask_b32_e64 v44, 0, v44, s5
	s_delay_alu instid0(VALU_DEP_1) | instskip(NEXT) | instid1(VALU_DEP_4)
	v_ldexp_f64 v[44:45], v[44:45], 2
	v_add_f64 v[48:49], v[39:40], v[46:47]
	v_add_f64 v[58:59], v[46:47], -v[50:51]
	s_delay_alu instid0(VALU_DEP_2) | instskip(NEXT) | instid1(VALU_DEP_2)
	v_add_f64 v[52:53], v[48:49], v[44:45]
	v_add_f64 v[64:65], v[46:47], -v[58:59]
	v_add_f64 v[42:43], v[42:43], -v[58:59]
	;; [unrolled: 1-line block ×3, first 2 shown]
	s_delay_alu instid0(VALU_DEP_4) | instskip(SKIP_1) | instid1(VALU_DEP_3)
	v_cmp_gt_f64_e64 s5, 0, v[52:53]
	v_add_f64 v[52:53], v[50:51], -v[54:55]
	v_add_f64 v[39:40], v[46:47], -v[39:40]
	s_delay_alu instid0(VALU_DEP_3) | instskip(NEXT) | instid1(VALU_DEP_3)
	v_cndmask_b32_e64 v18, 0, 0x40100000, s5
	v_add_f64 v[62:63], v[50:51], -v[52:53]
	v_add_f64 v[52:53], v[56:57], -v[52:53]
	;; [unrolled: 1-line block ×3, first 2 shown]
	s_delay_alu instid0(VALU_DEP_4) | instskip(NEXT) | instid1(VALU_DEP_4)
	v_add_f64 v[44:45], v[44:45], v[17:18]
	v_add_f64 v[56:57], v[54:55], -v[62:63]
	s_delay_alu instid0(VALU_DEP_3) | instskip(NEXT) | instid1(VALU_DEP_3)
	v_add_f64 v[42:43], v[42:43], v[50:51]
	v_add_f64 v[60:61], v[48:49], v[44:45]
	s_delay_alu instid0(VALU_DEP_3) | instskip(NEXT) | instid1(VALU_DEP_2)
	v_add_f64 v[52:53], v[52:53], v[56:57]
	v_cvt_i32_f64_e32 v18, v[60:61]
	s_delay_alu instid0(VALU_DEP_2) | instskip(NEXT) | instid1(VALU_DEP_2)
	v_add_f64 v[42:43], v[52:53], v[42:43]
	v_cvt_f64_i32_e32 v[58:59], v18
	s_delay_alu instid0(VALU_DEP_2) | instskip(NEXT) | instid1(VALU_DEP_2)
	v_add_f64 v[35:36], v[35:36], v[42:43]
	v_add_f64 v[44:45], v[44:45], -v[58:59]
	s_delay_alu instid0(VALU_DEP_2) | instskip(NEXT) | instid1(VALU_DEP_2)
	v_add_f64 v[35:36], v[39:40], v[35:36]
	v_add_f64 v[50:51], v[48:49], v[44:45]
	s_delay_alu instid0(VALU_DEP_1) | instskip(SKIP_1) | instid1(VALU_DEP_2)
	v_add_f64 v[42:43], v[50:51], -v[44:45]
	v_cmp_le_f64_e64 s5, 0.5, v[50:51]
	v_add_f64 v[39:40], v[48:49], -v[42:43]
	s_delay_alu instid0(VALU_DEP_2) | instskip(SKIP_1) | instid1(VALU_DEP_3)
	v_add_co_ci_u32_e64 v96, s6, 0, v18, s5
	v_cndmask_b32_e64 v18, 0, 0x3ff00000, s5
	v_add_f64 v[35:36], v[35:36], v[39:40]
	s_delay_alu instid0(VALU_DEP_2) | instskip(NEXT) | instid1(VALU_DEP_1)
	v_add_f64 v[39:40], v[50:51], -v[17:18]
	v_add_f64 v[42:43], v[39:40], v[35:36]
	s_delay_alu instid0(VALU_DEP_1) | instskip(SKIP_1) | instid1(VALU_DEP_2)
	v_mul_f64 v[44:45], v[42:43], s[20:21]
	v_add_f64 v[39:40], v[42:43], -v[39:40]
	v_fma_f64 v[46:47], v[42:43], s[20:21], -v[44:45]
	s_delay_alu instid0(VALU_DEP_2) | instskip(NEXT) | instid1(VALU_DEP_2)
	v_add_f64 v[35:36], v[35:36], -v[39:40]
	v_fma_f64 v[39:40], v[42:43], s[26:27], v[46:47]
	s_delay_alu instid0(VALU_DEP_1) | instskip(NEXT) | instid1(VALU_DEP_1)
	v_fma_f64 v[39:40], v[35:36], s[20:21], v[39:40]
	v_add_f64 v[35:36], v[44:45], v[39:40]
	s_delay_alu instid0(VALU_DEP_1) | instskip(NEXT) | instid1(VALU_DEP_1)
	v_add_f64 v[42:43], v[35:36], -v[44:45]
	v_add_f64 v[39:40], v[39:40], -v[42:43]
	s_and_not1_saveexec_b32 s5, s8
	s_cbranch_execz .LBB150_20
	s_branch .LBB150_19
.LBB150_18:                             ;   in Loop: Header=BB150_4 Depth=1
	s_and_not1_saveexec_b32 s5, s8
	s_cbranch_execz .LBB150_20
.LBB150_19:                             ;   in Loop: Header=BB150_4 Depth=1
	v_mul_f64 v[35:36], |v[15:16]|, s[28:29]
	s_mov_b32 s24, s30
	s_delay_alu instid0(VALU_DEP_1) | instskip(NEXT) | instid1(VALU_DEP_1)
	v_rndne_f64_e32 v[42:43], v[35:36]
	v_fma_f64 v[35:36], v[42:43], s[22:23], |v[15:16]|
	v_mul_f64 v[39:40], v[42:43], s[30:31]
	v_cvt_i32_f64_e32 v96, v[42:43]
	s_delay_alu instid0(VALU_DEP_3) | instskip(NEXT) | instid1(VALU_DEP_3)
	v_fma_f64 v[46:47], v[42:43], s[30:31], v[35:36]
	v_add_f64 v[44:45], v[35:36], v[39:40]
	s_delay_alu instid0(VALU_DEP_1) | instskip(NEXT) | instid1(VALU_DEP_3)
	v_add_f64 v[35:36], v[35:36], -v[44:45]
	v_add_f64 v[44:45], v[44:45], -v[46:47]
	s_delay_alu instid0(VALU_DEP_2) | instskip(SKIP_1) | instid1(VALU_DEP_2)
	v_add_f64 v[35:36], v[35:36], v[39:40]
	v_fma_f64 v[39:40], v[42:43], s[24:25], v[39:40]
	v_add_f64 v[35:36], v[44:45], v[35:36]
	s_delay_alu instid0(VALU_DEP_1) | instskip(NEXT) | instid1(VALU_DEP_1)
	v_add_f64 v[35:36], v[35:36], -v[39:40]
	v_fma_f64 v[39:40], v[42:43], s[34:35], v[35:36]
	s_delay_alu instid0(VALU_DEP_1) | instskip(NEXT) | instid1(VALU_DEP_1)
	v_add_f64 v[35:36], v[46:47], v[39:40]
	v_add_f64 v[44:45], v[35:36], -v[46:47]
	s_delay_alu instid0(VALU_DEP_1)
	v_add_f64 v[39:40], v[39:40], -v[44:45]
.LBB150_20:                             ;   in Loop: Header=BB150_4 Depth=1
	s_or_b32 exec_lo, exec_lo, s5
                                        ; implicit-def: $vgpr100
                                        ; implicit-def: $vgpr47_vgpr48
                                        ; implicit-def: $vgpr53_vgpr54
	s_and_saveexec_b32 s5, s7
	s_delay_alu instid0(SALU_CYCLE_1)
	s_xor_b32 s7, exec_lo, s5
	s_cbranch_execz .LBB150_22
; %bb.21:                               ;   in Loop: Header=BB150_4 Depth=1
	v_cmp_le_f64_e64 s5, 0x7b000000, |v[15:16]|
	s_mov_b32 s20, s22
	s_mov_b32 s27, s25
	s_delay_alu instid0(VALU_DEP_1) | instskip(SKIP_1) | instid1(VALU_DEP_1)
	v_cndmask_b32_e64 v38, v41, v38, s5
	v_cndmask_b32_e64 v37, v15, v37, s5
	v_mul_f64 v[41:42], v[33:34], v[37:38]
	v_mul_f64 v[43:44], v[31:32], v[37:38]
	;; [unrolled: 1-line block ×3, first 2 shown]
	s_delay_alu instid0(VALU_DEP_3) | instskip(NEXT) | instid1(VALU_DEP_3)
	v_fma_f64 v[33:34], v[33:34], v[37:38], -v[41:42]
	v_fma_f64 v[31:32], v[31:32], v[37:38], -v[43:44]
	s_delay_alu instid0(VALU_DEP_3) | instskip(NEXT) | instid1(VALU_DEP_3)
	v_fma_f64 v[25:26], v[25:26], v[37:38], -v[53:54]
	v_add_f64 v[45:46], v[43:44], v[33:34]
	s_delay_alu instid0(VALU_DEP_1) | instskip(SKIP_1) | instid1(VALU_DEP_2)
	v_add_f64 v[47:48], v[45:46], -v[43:44]
	v_add_f64 v[51:52], v[41:42], v[45:46]
	v_add_f64 v[49:50], v[45:46], -v[47:48]
	v_add_f64 v[33:34], v[33:34], -v[47:48]
	s_delay_alu instid0(VALU_DEP_3) | instskip(SKIP_1) | instid1(VALU_DEP_4)
	v_ldexp_f64 v[47:48], v[51:52], -2
	v_add_f64 v[41:42], v[51:52], -v[41:42]
	v_add_f64 v[43:44], v[43:44], -v[49:50]
	v_add_f64 v[49:50], v[53:54], v[31:32]
	s_delay_alu instid0(VALU_DEP_4) | instskip(NEXT) | instid1(VALU_DEP_4)
	v_cmp_neq_f64_e64 s5, 0x7ff00000, |v[47:48]|
	v_add_f64 v[41:42], v[45:46], -v[41:42]
	s_delay_alu instid0(VALU_DEP_4) | instskip(SKIP_1) | instid1(VALU_DEP_2)
	v_add_f64 v[33:34], v[33:34], v[43:44]
	v_fract_f64_e32 v[43:44], v[47:48]
	v_add_f64 v[45:46], v[49:50], v[33:34]
	s_delay_alu instid0(VALU_DEP_2) | instskip(NEXT) | instid1(VALU_DEP_3)
	v_cndmask_b32_e64 v44, 0, v44, s5
	v_cndmask_b32_e64 v43, 0, v43, s5
	s_delay_alu instid0(VALU_DEP_1) | instskip(NEXT) | instid1(VALU_DEP_4)
	v_ldexp_f64 v[43:44], v[43:44], 2
	v_add_f64 v[47:48], v[41:42], v[45:46]
	v_add_f64 v[55:56], v[45:46], -v[49:50]
	s_delay_alu instid0(VALU_DEP_2) | instskip(NEXT) | instid1(VALU_DEP_2)
	v_add_f64 v[51:52], v[47:48], v[43:44]
	v_add_f64 v[61:62], v[45:46], -v[55:56]
	v_add_f64 v[33:34], v[33:34], -v[55:56]
	v_add_f64 v[37:38], v[47:48], -v[41:42]
	s_delay_alu instid0(VALU_DEP_4) | instskip(SKIP_1) | instid1(VALU_DEP_3)
	v_cmp_gt_f64_e64 s5, 0, v[51:52]
	v_add_f64 v[51:52], v[49:50], -v[53:54]
	v_add_f64 v[37:38], v[45:46], -v[37:38]
	s_delay_alu instid0(VALU_DEP_3) | instskip(NEXT) | instid1(VALU_DEP_3)
	v_cndmask_b32_e64 v18, 0, 0x40100000, s5
	v_add_f64 v[59:60], v[49:50], -v[51:52]
	v_add_f64 v[31:32], v[31:32], -v[51:52]
	;; [unrolled: 1-line block ×3, first 2 shown]
	s_delay_alu instid0(VALU_DEP_4) | instskip(NEXT) | instid1(VALU_DEP_4)
	v_add_f64 v[43:44], v[43:44], v[17:18]
	v_add_f64 v[51:52], v[53:54], -v[59:60]
	s_delay_alu instid0(VALU_DEP_3) | instskip(NEXT) | instid1(VALU_DEP_3)
	v_add_f64 v[33:34], v[33:34], v[49:50]
	v_add_f64 v[57:58], v[47:48], v[43:44]
	s_delay_alu instid0(VALU_DEP_3) | instskip(NEXT) | instid1(VALU_DEP_2)
	v_add_f64 v[31:32], v[31:32], v[51:52]
	v_cvt_i32_f64_e32 v18, v[57:58]
	s_delay_alu instid0(VALU_DEP_2) | instskip(NEXT) | instid1(VALU_DEP_2)
	v_add_f64 v[31:32], v[31:32], v[33:34]
	v_cvt_f64_i32_e32 v[55:56], v18
	s_delay_alu instid0(VALU_DEP_2) | instskip(NEXT) | instid1(VALU_DEP_2)
	v_add_f64 v[25:26], v[25:26], v[31:32]
	v_add_f64 v[43:44], v[43:44], -v[55:56]
	s_delay_alu instid0(VALU_DEP_2) | instskip(NEXT) | instid1(VALU_DEP_2)
	v_add_f64 v[25:26], v[37:38], v[25:26]
	v_add_f64 v[33:34], v[47:48], v[43:44]
	s_delay_alu instid0(VALU_DEP_1) | instskip(SKIP_1) | instid1(VALU_DEP_2)
	v_add_f64 v[31:32], v[33:34], -v[43:44]
	v_cmp_le_f64_e64 s5, 0.5, v[33:34]
	v_add_f64 v[31:32], v[47:48], -v[31:32]
	s_delay_alu instid0(VALU_DEP_2) | instskip(SKIP_1) | instid1(VALU_DEP_3)
	v_add_co_ci_u32_e64 v100, s6, 0, v18, s5
	v_cndmask_b32_e64 v18, 0, 0x3ff00000, s5
	v_add_f64 v[25:26], v[25:26], v[31:32]
	s_delay_alu instid0(VALU_DEP_2) | instskip(NEXT) | instid1(VALU_DEP_1)
	v_add_f64 v[31:32], v[33:34], -v[17:18]
	v_add_f64 v[33:34], v[31:32], v[25:26]
	s_delay_alu instid0(VALU_DEP_1) | instskip(SKIP_1) | instid1(VALU_DEP_2)
	v_mul_f64 v[37:38], v[33:34], s[20:21]
	v_add_f64 v[31:32], v[33:34], -v[31:32]
	v_fma_f64 v[41:42], v[33:34], s[20:21], -v[37:38]
	s_delay_alu instid0(VALU_DEP_2) | instskip(NEXT) | instid1(VALU_DEP_2)
	v_add_f64 v[25:26], v[25:26], -v[31:32]
	v_fma_f64 v[31:32], v[33:34], s[26:27], v[41:42]
	s_delay_alu instid0(VALU_DEP_1) | instskip(NEXT) | instid1(VALU_DEP_1)
	v_fma_f64 v[25:26], v[25:26], s[20:21], v[31:32]
	v_add_f64 v[47:48], v[37:38], v[25:26]
	s_delay_alu instid0(VALU_DEP_1) | instskip(NEXT) | instid1(VALU_DEP_1)
	v_add_f64 v[31:32], v[47:48], -v[37:38]
	v_add_f64 v[53:54], v[25:26], -v[31:32]
	s_and_not1_saveexec_b32 s5, s7
	s_cbranch_execnz .LBB150_23
	s_branch .LBB150_24
.LBB150_22:                             ;   in Loop: Header=BB150_4 Depth=1
	s_and_not1_saveexec_b32 s5, s7
	s_cbranch_execz .LBB150_24
.LBB150_23:                             ;   in Loop: Header=BB150_4 Depth=1
	v_mul_f64 v[25:26], |v[15:16]|, s[28:29]
	s_mov_b32 s24, s30
	s_delay_alu instid0(VALU_DEP_1) | instskip(NEXT) | instid1(VALU_DEP_1)
	v_rndne_f64_e32 v[25:26], v[25:26]
	v_fma_f64 v[31:32], v[25:26], s[22:23], |v[15:16]|
	v_mul_f64 v[33:34], v[25:26], s[30:31]
	v_cvt_i32_f64_e32 v100, v[25:26]
	s_delay_alu instid0(VALU_DEP_3) | instskip(NEXT) | instid1(VALU_DEP_3)
	v_fma_f64 v[41:42], v[25:26], s[30:31], v[31:32]
	v_add_f64 v[37:38], v[31:32], v[33:34]
	s_delay_alu instid0(VALU_DEP_1) | instskip(NEXT) | instid1(VALU_DEP_3)
	v_add_f64 v[31:32], v[31:32], -v[37:38]
	v_add_f64 v[37:38], v[37:38], -v[41:42]
	s_delay_alu instid0(VALU_DEP_2) | instskip(SKIP_1) | instid1(VALU_DEP_2)
	v_add_f64 v[31:32], v[31:32], v[33:34]
	v_fma_f64 v[33:34], v[25:26], s[24:25], v[33:34]
	v_add_f64 v[31:32], v[37:38], v[31:32]
	s_delay_alu instid0(VALU_DEP_1) | instskip(NEXT) | instid1(VALU_DEP_1)
	v_add_f64 v[31:32], v[31:32], -v[33:34]
	v_fma_f64 v[31:32], v[25:26], s[34:35], v[31:32]
	s_delay_alu instid0(VALU_DEP_1) | instskip(NEXT) | instid1(VALU_DEP_1)
	v_add_f64 v[47:48], v[41:42], v[31:32]
	v_add_f64 v[33:34], v[47:48], -v[41:42]
	s_delay_alu instid0(VALU_DEP_1)
	v_add_f64 v[53:54], v[31:32], -v[33:34]
.LBB150_24:                             ;   in Loop: Header=BB150_4 Depth=1
	s_or_b32 exec_lo, exec_lo, s5
	v_mul_f64 v[25:26], v[11:12], 0.5
                                        ; implicit-def: $vgpr97
                                        ; implicit-def: $vgpr33_vgpr34
                                        ; implicit-def: $vgpr37_vgpr38
	s_mov_b32 s6, exec_lo
	s_delay_alu instid0(VALU_DEP_1)
	v_cmpx_ngt_f64_e64 0x41d00000, |v[25:26]|
	s_xor_b32 s7, exec_lo, s6
	s_cbranch_execz .LBB150_26
; %bb.25:                               ;   in Loop: Header=BB150_4 Depth=1
	v_ldexp_f64 v[31:32], |v[25:26]|, 0xffffff80
	v_cmp_le_f64_e64 s5, 0x7b000000, |v[25:26]|
	v_trig_preop_f64 v[33:34], |v[25:26]|, 0
	v_and_b32_e32 v18, 0x7fffffff, v26
	v_trig_preop_f64 v[37:38], |v[25:26]|, 1
	v_trig_preop_f64 v[51:52], |v[25:26]|, 2
	s_mov_b32 s20, s22
	s_mov_b32 s27, s25
	v_cndmask_b32_e64 v32, v18, v32, s5
	v_cndmask_b32_e64 v31, v25, v31, s5
	s_delay_alu instid0(VALU_DEP_1) | instskip(SKIP_2) | instid1(VALU_DEP_3)
	v_mul_f64 v[41:42], v[33:34], v[31:32]
	v_mul_f64 v[43:44], v[37:38], v[31:32]
	;; [unrolled: 1-line block ×3, first 2 shown]
	v_fma_f64 v[33:34], v[33:34], v[31:32], -v[41:42]
	s_delay_alu instid0(VALU_DEP_3) | instskip(NEXT) | instid1(VALU_DEP_3)
	v_fma_f64 v[37:38], v[37:38], v[31:32], -v[43:44]
	v_fma_f64 v[31:32], v[51:52], v[31:32], -v[59:60]
	s_delay_alu instid0(VALU_DEP_3) | instskip(NEXT) | instid1(VALU_DEP_1)
	v_add_f64 v[45:46], v[43:44], v[33:34]
	v_add_f64 v[49:50], v[45:46], -v[43:44]
	v_add_f64 v[57:58], v[41:42], v[45:46]
	s_delay_alu instid0(VALU_DEP_2) | instskip(SKIP_1) | instid1(VALU_DEP_3)
	v_add_f64 v[55:56], v[45:46], -v[49:50]
	v_add_f64 v[33:34], v[33:34], -v[49:50]
	v_ldexp_f64 v[49:50], v[57:58], -2
	v_add_f64 v[41:42], v[57:58], -v[41:42]
	s_delay_alu instid0(VALU_DEP_4) | instskip(SKIP_1) | instid1(VALU_DEP_4)
	v_add_f64 v[43:44], v[43:44], -v[55:56]
	v_add_f64 v[55:56], v[59:60], v[37:38]
	v_cmp_neq_f64_e64 s5, 0x7ff00000, |v[49:50]|
	s_delay_alu instid0(VALU_DEP_4) | instskip(NEXT) | instid1(VALU_DEP_4)
	v_add_f64 v[41:42], v[45:46], -v[41:42]
	v_add_f64 v[33:34], v[33:34], v[43:44]
	v_fract_f64_e32 v[43:44], v[49:50]
	s_delay_alu instid0(VALU_DEP_2) | instskip(NEXT) | instid1(VALU_DEP_2)
	v_add_f64 v[45:46], v[55:56], v[33:34]
	v_cndmask_b32_e64 v44, 0, v44, s5
	s_delay_alu instid0(VALU_DEP_3) | instskip(NEXT) | instid1(VALU_DEP_1)
	v_cndmask_b32_e64 v43, 0, v43, s5
	v_ldexp_f64 v[43:44], v[43:44], 2
	s_delay_alu instid0(VALU_DEP_4) | instskip(SKIP_1) | instid1(VALU_DEP_2)
	v_add_f64 v[49:50], v[41:42], v[45:46]
	v_add_f64 v[61:62], v[45:46], -v[55:56]
	v_add_f64 v[57:58], v[49:50], v[43:44]
	s_delay_alu instid0(VALU_DEP_2) | instskip(SKIP_2) | instid1(VALU_DEP_4)
	v_add_f64 v[67:68], v[45:46], -v[61:62]
	v_add_f64 v[33:34], v[33:34], -v[61:62]
	;; [unrolled: 1-line block ×3, first 2 shown]
	v_cmp_gt_f64_e64 s5, 0, v[57:58]
	v_add_f64 v[57:58], v[55:56], -v[59:60]
	s_delay_alu instid0(VALU_DEP_3) | instskip(NEXT) | instid1(VALU_DEP_3)
	v_add_f64 v[41:42], v[45:46], -v[41:42]
	v_cndmask_b32_e64 v18, 0, 0x40100000, s5
	s_delay_alu instid0(VALU_DEP_3) | instskip(SKIP_2) | instid1(VALU_DEP_4)
	v_add_f64 v[65:66], v[55:56], -v[57:58]
	v_add_f64 v[37:38], v[37:38], -v[57:58]
	;; [unrolled: 1-line block ×3, first 2 shown]
	v_add_f64 v[43:44], v[43:44], v[17:18]
	s_delay_alu instid0(VALU_DEP_4) | instskip(NEXT) | instid1(VALU_DEP_3)
	v_add_f64 v[57:58], v[59:60], -v[65:66]
	v_add_f64 v[33:34], v[33:34], v[55:56]
	s_delay_alu instid0(VALU_DEP_3) | instskip(NEXT) | instid1(VALU_DEP_3)
	v_add_f64 v[63:64], v[49:50], v[43:44]
	v_add_f64 v[37:38], v[37:38], v[57:58]
	s_delay_alu instid0(VALU_DEP_2) | instskip(NEXT) | instid1(VALU_DEP_2)
	v_cvt_i32_f64_e32 v18, v[63:64]
	v_add_f64 v[33:34], v[37:38], v[33:34]
	s_delay_alu instid0(VALU_DEP_2) | instskip(NEXT) | instid1(VALU_DEP_2)
	v_cvt_f64_i32_e32 v[61:62], v18
	v_add_f64 v[31:32], v[31:32], v[33:34]
	s_delay_alu instid0(VALU_DEP_2) | instskip(NEXT) | instid1(VALU_DEP_2)
	v_add_f64 v[43:44], v[43:44], -v[61:62]
	v_add_f64 v[31:32], v[41:42], v[31:32]
	s_delay_alu instid0(VALU_DEP_2) | instskip(NEXT) | instid1(VALU_DEP_1)
	v_add_f64 v[37:38], v[49:50], v[43:44]
	v_add_f64 v[33:34], v[37:38], -v[43:44]
	v_cmp_le_f64_e64 s5, 0.5, v[37:38]
	s_delay_alu instid0(VALU_DEP_2) | instskip(NEXT) | instid1(VALU_DEP_2)
	v_add_f64 v[33:34], v[49:50], -v[33:34]
	v_add_co_ci_u32_e64 v97, s6, 0, v18, s5
	v_cndmask_b32_e64 v18, 0, 0x3ff00000, s5
	s_delay_alu instid0(VALU_DEP_3) | instskip(NEXT) | instid1(VALU_DEP_2)
	v_add_f64 v[31:32], v[31:32], v[33:34]
	v_add_f64 v[33:34], v[37:38], -v[17:18]
	s_delay_alu instid0(VALU_DEP_1) | instskip(NEXT) | instid1(VALU_DEP_1)
	v_add_f64 v[37:38], v[33:34], v[31:32]
	v_mul_f64 v[41:42], v[37:38], s[20:21]
	v_add_f64 v[33:34], v[37:38], -v[33:34]
	s_delay_alu instid0(VALU_DEP_2) | instskip(NEXT) | instid1(VALU_DEP_2)
	v_fma_f64 v[43:44], v[37:38], s[20:21], -v[41:42]
	v_add_f64 v[31:32], v[31:32], -v[33:34]
	s_delay_alu instid0(VALU_DEP_2) | instskip(NEXT) | instid1(VALU_DEP_1)
	v_fma_f64 v[33:34], v[37:38], s[26:27], v[43:44]
	v_fma_f64 v[31:32], v[31:32], s[20:21], v[33:34]
	s_delay_alu instid0(VALU_DEP_1) | instskip(NEXT) | instid1(VALU_DEP_1)
	v_add_f64 v[33:34], v[41:42], v[31:32]
	v_add_f64 v[37:38], v[33:34], -v[41:42]
	s_delay_alu instid0(VALU_DEP_1)
	v_add_f64 v[37:38], v[31:32], -v[37:38]
.LBB150_26:                             ;   in Loop: Header=BB150_4 Depth=1
	s_and_not1_saveexec_b32 s5, s7
	s_cbranch_execz .LBB150_28
; %bb.27:                               ;   in Loop: Header=BB150_4 Depth=1
	v_mul_f64 v[31:32], |v[25:26]|, s[28:29]
	s_mov_b32 s24, s30
	s_delay_alu instid0(VALU_DEP_1) | instskip(NEXT) | instid1(VALU_DEP_1)
	v_rndne_f64_e32 v[31:32], v[31:32]
	v_fma_f64 v[33:34], v[31:32], s[22:23], |v[25:26]|
	v_mul_f64 v[37:38], v[31:32], s[30:31]
	v_cvt_i32_f64_e32 v97, v[31:32]
	s_delay_alu instid0(VALU_DEP_3) | instskip(NEXT) | instid1(VALU_DEP_3)
	v_fma_f64 v[43:44], v[31:32], s[30:31], v[33:34]
	v_add_f64 v[41:42], v[33:34], v[37:38]
	s_delay_alu instid0(VALU_DEP_1) | instskip(NEXT) | instid1(VALU_DEP_3)
	v_add_f64 v[33:34], v[33:34], -v[41:42]
	v_add_f64 v[41:42], v[41:42], -v[43:44]
	s_delay_alu instid0(VALU_DEP_2) | instskip(SKIP_1) | instid1(VALU_DEP_2)
	v_add_f64 v[33:34], v[33:34], v[37:38]
	v_fma_f64 v[37:38], v[31:32], s[24:25], v[37:38]
	v_add_f64 v[33:34], v[41:42], v[33:34]
	s_delay_alu instid0(VALU_DEP_1) | instskip(NEXT) | instid1(VALU_DEP_1)
	v_add_f64 v[33:34], v[33:34], -v[37:38]
	v_fma_f64 v[37:38], v[31:32], s[34:35], v[33:34]
	s_delay_alu instid0(VALU_DEP_1) | instskip(NEXT) | instid1(VALU_DEP_1)
	v_add_f64 v[33:34], v[43:44], v[37:38]
	v_add_f64 v[41:42], v[33:34], -v[43:44]
	s_delay_alu instid0(VALU_DEP_1)
	v_add_f64 v[37:38], v[37:38], -v[41:42]
.LBB150_28:                             ;   in Loop: Header=BB150_4 Depth=1
	s_or_b32 exec_lo, exec_lo, s5
	v_cmp_ngt_f64_e64 s7, 0x41d00000, |v[11:12]|
	v_trig_preop_f64 v[43:44], |v[11:12]|, 0
	v_trig_preop_f64 v[41:42], |v[11:12]|, 1
	v_ldexp_f64 v[49:50], |v[11:12]|, 0xffffff80
	v_trig_preop_f64 v[31:32], |v[11:12]|, 2
	v_and_b32_e32 v55, 0x7fffffff, v12
                                        ; implicit-def: $vgpr98
                                        ; implicit-def: $vgpr45_vgpr46
                                        ; implicit-def: $vgpr51_vgpr52
	s_and_saveexec_b32 s5, s7
	s_delay_alu instid0(SALU_CYCLE_1)
	s_xor_b32 s8, exec_lo, s5
	s_cbranch_execz .LBB150_30
; %bb.29:                               ;   in Loop: Header=BB150_4 Depth=1
	v_cmp_le_f64_e64 s5, 0x7b000000, |v[11:12]|
	s_mov_b32 s20, s22
	s_mov_b32 s27, s25
	s_delay_alu instid0(VALU_DEP_1) | instskip(SKIP_1) | instid1(VALU_DEP_1)
	v_cndmask_b32_e64 v46, v55, v50, s5
	v_cndmask_b32_e64 v45, v11, v49, s5
	v_mul_f64 v[51:52], v[43:44], v[45:46]
	v_mul_f64 v[56:57], v[41:42], v[45:46]
	;; [unrolled: 1-line block ×3, first 2 shown]
	s_delay_alu instid0(VALU_DEP_3) | instskip(NEXT) | instid1(VALU_DEP_3)
	v_fma_f64 v[58:59], v[43:44], v[45:46], -v[51:52]
	v_fma_f64 v[70:71], v[41:42], v[45:46], -v[56:57]
	s_delay_alu instid0(VALU_DEP_3) | instskip(NEXT) | instid1(VALU_DEP_3)
	v_fma_f64 v[45:46], v[31:32], v[45:46], -v[68:69]
	v_add_f64 v[60:61], v[56:57], v[58:59]
	s_delay_alu instid0(VALU_DEP_1) | instskip(SKIP_1) | instid1(VALU_DEP_2)
	v_add_f64 v[62:63], v[60:61], -v[56:57]
	v_add_f64 v[66:67], v[51:52], v[60:61]
	v_add_f64 v[64:65], v[60:61], -v[62:63]
	v_add_f64 v[58:59], v[58:59], -v[62:63]
	s_delay_alu instid0(VALU_DEP_3) | instskip(SKIP_1) | instid1(VALU_DEP_4)
	v_ldexp_f64 v[62:63], v[66:67], -2
	v_add_f64 v[51:52], v[66:67], -v[51:52]
	v_add_f64 v[56:57], v[56:57], -v[64:65]
	v_add_f64 v[64:65], v[68:69], v[70:71]
	s_delay_alu instid0(VALU_DEP_4) | instskip(NEXT) | instid1(VALU_DEP_4)
	v_cmp_neq_f64_e64 s5, 0x7ff00000, |v[62:63]|
	v_add_f64 v[51:52], v[60:61], -v[51:52]
	s_delay_alu instid0(VALU_DEP_4) | instskip(SKIP_1) | instid1(VALU_DEP_2)
	v_add_f64 v[56:57], v[58:59], v[56:57]
	v_fract_f64_e32 v[58:59], v[62:63]
	v_add_f64 v[60:61], v[64:65], v[56:57]
	s_delay_alu instid0(VALU_DEP_2) | instskip(NEXT) | instid1(VALU_DEP_3)
	v_cndmask_b32_e64 v59, 0, v59, s5
	v_cndmask_b32_e64 v58, 0, v58, s5
	s_delay_alu instid0(VALU_DEP_1) | instskip(NEXT) | instid1(VALU_DEP_4)
	v_ldexp_f64 v[58:59], v[58:59], 2
	v_add_f64 v[62:63], v[51:52], v[60:61]
	v_add_f64 v[72:73], v[60:61], -v[64:65]
	s_delay_alu instid0(VALU_DEP_2) | instskip(NEXT) | instid1(VALU_DEP_2)
	v_add_f64 v[66:67], v[62:63], v[58:59]
	v_add_f64 v[78:79], v[60:61], -v[72:73]
	v_add_f64 v[56:57], v[56:57], -v[72:73]
	;; [unrolled: 1-line block ×3, first 2 shown]
	s_delay_alu instid0(VALU_DEP_4) | instskip(SKIP_1) | instid1(VALU_DEP_3)
	v_cmp_gt_f64_e64 s5, 0, v[66:67]
	v_add_f64 v[66:67], v[64:65], -v[68:69]
	v_add_f64 v[51:52], v[60:61], -v[51:52]
	s_delay_alu instid0(VALU_DEP_3) | instskip(NEXT) | instid1(VALU_DEP_3)
	v_cndmask_b32_e64 v18, 0, 0x40100000, s5
	v_add_f64 v[76:77], v[64:65], -v[66:67]
	v_add_f64 v[66:67], v[70:71], -v[66:67]
	v_add_f64 v[64:65], v[64:65], -v[78:79]
	s_delay_alu instid0(VALU_DEP_4) | instskip(NEXT) | instid1(VALU_DEP_4)
	v_add_f64 v[58:59], v[58:59], v[17:18]
	v_add_f64 v[70:71], v[68:69], -v[76:77]
	s_delay_alu instid0(VALU_DEP_3) | instskip(NEXT) | instid1(VALU_DEP_3)
	v_add_f64 v[56:57], v[56:57], v[64:65]
	v_add_f64 v[74:75], v[62:63], v[58:59]
	s_delay_alu instid0(VALU_DEP_3) | instskip(NEXT) | instid1(VALU_DEP_2)
	v_add_f64 v[66:67], v[66:67], v[70:71]
	v_cvt_i32_f64_e32 v18, v[74:75]
	s_delay_alu instid0(VALU_DEP_2) | instskip(NEXT) | instid1(VALU_DEP_2)
	v_add_f64 v[56:57], v[66:67], v[56:57]
	v_cvt_f64_i32_e32 v[72:73], v18
	s_delay_alu instid0(VALU_DEP_2) | instskip(NEXT) | instid1(VALU_DEP_2)
	v_add_f64 v[45:46], v[45:46], v[56:57]
	v_add_f64 v[58:59], v[58:59], -v[72:73]
	s_delay_alu instid0(VALU_DEP_2) | instskip(NEXT) | instid1(VALU_DEP_2)
	v_add_f64 v[45:46], v[51:52], v[45:46]
	v_add_f64 v[64:65], v[62:63], v[58:59]
	s_delay_alu instid0(VALU_DEP_1) | instskip(SKIP_1) | instid1(VALU_DEP_2)
	v_add_f64 v[56:57], v[64:65], -v[58:59]
	v_cmp_le_f64_e64 s5, 0.5, v[64:65]
	v_add_f64 v[51:52], v[62:63], -v[56:57]
	s_delay_alu instid0(VALU_DEP_2) | instskip(SKIP_1) | instid1(VALU_DEP_3)
	v_add_co_ci_u32_e64 v98, s6, 0, v18, s5
	v_cndmask_b32_e64 v18, 0, 0x3ff00000, s5
	v_add_f64 v[45:46], v[45:46], v[51:52]
	s_delay_alu instid0(VALU_DEP_2) | instskip(NEXT) | instid1(VALU_DEP_1)
	v_add_f64 v[51:52], v[64:65], -v[17:18]
	v_add_f64 v[56:57], v[51:52], v[45:46]
	s_delay_alu instid0(VALU_DEP_1) | instskip(SKIP_1) | instid1(VALU_DEP_2)
	v_mul_f64 v[58:59], v[56:57], s[20:21]
	v_add_f64 v[51:52], v[56:57], -v[51:52]
	v_fma_f64 v[60:61], v[56:57], s[20:21], -v[58:59]
	s_delay_alu instid0(VALU_DEP_2) | instskip(NEXT) | instid1(VALU_DEP_2)
	v_add_f64 v[45:46], v[45:46], -v[51:52]
	v_fma_f64 v[51:52], v[56:57], s[26:27], v[60:61]
	s_delay_alu instid0(VALU_DEP_1) | instskip(NEXT) | instid1(VALU_DEP_1)
	v_fma_f64 v[51:52], v[45:46], s[20:21], v[51:52]
	v_add_f64 v[45:46], v[58:59], v[51:52]
	s_delay_alu instid0(VALU_DEP_1) | instskip(NEXT) | instid1(VALU_DEP_1)
	v_add_f64 v[56:57], v[45:46], -v[58:59]
	v_add_f64 v[51:52], v[51:52], -v[56:57]
	s_and_not1_saveexec_b32 s5, s8
	s_cbranch_execz .LBB150_32
	s_branch .LBB150_31
.LBB150_30:                             ;   in Loop: Header=BB150_4 Depth=1
	s_and_not1_saveexec_b32 s5, s8
	s_cbranch_execz .LBB150_32
.LBB150_31:                             ;   in Loop: Header=BB150_4 Depth=1
	v_mul_f64 v[45:46], |v[11:12]|, s[28:29]
	s_mov_b32 s24, s30
	s_delay_alu instid0(VALU_DEP_1) | instskip(NEXT) | instid1(VALU_DEP_1)
	v_rndne_f64_e32 v[56:57], v[45:46]
	v_fma_f64 v[45:46], v[56:57], s[22:23], |v[11:12]|
	v_mul_f64 v[51:52], v[56:57], s[30:31]
	v_cvt_i32_f64_e32 v98, v[56:57]
	s_delay_alu instid0(VALU_DEP_3) | instskip(NEXT) | instid1(VALU_DEP_3)
	v_fma_f64 v[60:61], v[56:57], s[30:31], v[45:46]
	v_add_f64 v[58:59], v[45:46], v[51:52]
	s_delay_alu instid0(VALU_DEP_1) | instskip(NEXT) | instid1(VALU_DEP_3)
	v_add_f64 v[45:46], v[45:46], -v[58:59]
	v_add_f64 v[58:59], v[58:59], -v[60:61]
	s_delay_alu instid0(VALU_DEP_2) | instskip(SKIP_1) | instid1(VALU_DEP_2)
	v_add_f64 v[45:46], v[45:46], v[51:52]
	v_fma_f64 v[51:52], v[56:57], s[24:25], v[51:52]
	v_add_f64 v[45:46], v[58:59], v[45:46]
	s_delay_alu instid0(VALU_DEP_1) | instskip(NEXT) | instid1(VALU_DEP_1)
	v_add_f64 v[45:46], v[45:46], -v[51:52]
	v_fma_f64 v[51:52], v[56:57], s[34:35], v[45:46]
	s_delay_alu instid0(VALU_DEP_1) | instskip(NEXT) | instid1(VALU_DEP_1)
	v_add_f64 v[45:46], v[60:61], v[51:52]
	v_add_f64 v[58:59], v[45:46], -v[60:61]
	s_delay_alu instid0(VALU_DEP_1)
	v_add_f64 v[51:52], v[51:52], -v[58:59]
.LBB150_32:                             ;   in Loop: Header=BB150_4 Depth=1
	s_or_b32 exec_lo, exec_lo, s5
                                        ; implicit-def: $vgpr103
                                        ; implicit-def: $vgpr59_vgpr60
                                        ; implicit-def: $vgpr65_vgpr66
	s_and_saveexec_b32 s5, s7
	s_delay_alu instid0(SALU_CYCLE_1)
	s_xor_b32 s7, exec_lo, s5
	s_cbranch_execz .LBB150_34
; %bb.33:                               ;   in Loop: Header=BB150_4 Depth=1
	v_cmp_le_f64_e64 s5, 0x7b000000, |v[11:12]|
	s_mov_b32 s20, s22
	s_mov_b32 s27, s25
	s_delay_alu instid0(VALU_DEP_1) | instskip(SKIP_1) | instid1(VALU_DEP_1)
	v_cndmask_b32_e64 v50, v55, v50, s5
	v_cndmask_b32_e64 v49, v11, v49, s5
	v_mul_f64 v[55:56], v[43:44], v[49:50]
	v_mul_f64 v[57:58], v[41:42], v[49:50]
	;; [unrolled: 1-line block ×3, first 2 shown]
	s_delay_alu instid0(VALU_DEP_3) | instskip(NEXT) | instid1(VALU_DEP_3)
	v_fma_f64 v[43:44], v[43:44], v[49:50], -v[55:56]
	v_fma_f64 v[41:42], v[41:42], v[49:50], -v[57:58]
	s_delay_alu instid0(VALU_DEP_3) | instskip(NEXT) | instid1(VALU_DEP_3)
	v_fma_f64 v[31:32], v[31:32], v[49:50], -v[67:68]
	v_add_f64 v[59:60], v[57:58], v[43:44]
	s_delay_alu instid0(VALU_DEP_1) | instskip(SKIP_1) | instid1(VALU_DEP_2)
	v_add_f64 v[61:62], v[59:60], -v[57:58]
	v_add_f64 v[65:66], v[55:56], v[59:60]
	v_add_f64 v[63:64], v[59:60], -v[61:62]
	v_add_f64 v[43:44], v[43:44], -v[61:62]
	s_delay_alu instid0(VALU_DEP_3) | instskip(SKIP_1) | instid1(VALU_DEP_4)
	v_ldexp_f64 v[61:62], v[65:66], -2
	v_add_f64 v[55:56], v[65:66], -v[55:56]
	v_add_f64 v[57:58], v[57:58], -v[63:64]
	v_add_f64 v[63:64], v[67:68], v[41:42]
	s_delay_alu instid0(VALU_DEP_4) | instskip(NEXT) | instid1(VALU_DEP_4)
	v_cmp_neq_f64_e64 s5, 0x7ff00000, |v[61:62]|
	v_add_f64 v[55:56], v[59:60], -v[55:56]
	s_delay_alu instid0(VALU_DEP_4) | instskip(SKIP_1) | instid1(VALU_DEP_2)
	v_add_f64 v[43:44], v[43:44], v[57:58]
	v_fract_f64_e32 v[57:58], v[61:62]
	v_add_f64 v[59:60], v[63:64], v[43:44]
	s_delay_alu instid0(VALU_DEP_2) | instskip(NEXT) | instid1(VALU_DEP_3)
	v_cndmask_b32_e64 v58, 0, v58, s5
	v_cndmask_b32_e64 v57, 0, v57, s5
	s_delay_alu instid0(VALU_DEP_1) | instskip(NEXT) | instid1(VALU_DEP_4)
	v_ldexp_f64 v[57:58], v[57:58], 2
	v_add_f64 v[61:62], v[55:56], v[59:60]
	v_add_f64 v[69:70], v[59:60], -v[63:64]
	s_delay_alu instid0(VALU_DEP_2) | instskip(NEXT) | instid1(VALU_DEP_2)
	v_add_f64 v[65:66], v[61:62], v[57:58]
	v_add_f64 v[75:76], v[59:60], -v[69:70]
	v_add_f64 v[43:44], v[43:44], -v[69:70]
	;; [unrolled: 1-line block ×3, first 2 shown]
	s_delay_alu instid0(VALU_DEP_4) | instskip(SKIP_1) | instid1(VALU_DEP_3)
	v_cmp_gt_f64_e64 s5, 0, v[65:66]
	v_add_f64 v[65:66], v[63:64], -v[67:68]
	v_add_f64 v[49:50], v[59:60], -v[49:50]
	s_delay_alu instid0(VALU_DEP_3) | instskip(NEXT) | instid1(VALU_DEP_3)
	v_cndmask_b32_e64 v18, 0, 0x40100000, s5
	v_add_f64 v[73:74], v[63:64], -v[65:66]
	v_add_f64 v[41:42], v[41:42], -v[65:66]
	;; [unrolled: 1-line block ×3, first 2 shown]
	s_delay_alu instid0(VALU_DEP_4) | instskip(NEXT) | instid1(VALU_DEP_4)
	v_add_f64 v[57:58], v[57:58], v[17:18]
	v_add_f64 v[65:66], v[67:68], -v[73:74]
	s_delay_alu instid0(VALU_DEP_3) | instskip(NEXT) | instid1(VALU_DEP_3)
	v_add_f64 v[43:44], v[43:44], v[63:64]
	v_add_f64 v[71:72], v[61:62], v[57:58]
	s_delay_alu instid0(VALU_DEP_3) | instskip(NEXT) | instid1(VALU_DEP_2)
	v_add_f64 v[41:42], v[41:42], v[65:66]
	v_cvt_i32_f64_e32 v18, v[71:72]
	s_delay_alu instid0(VALU_DEP_2) | instskip(NEXT) | instid1(VALU_DEP_2)
	v_add_f64 v[41:42], v[41:42], v[43:44]
	v_cvt_f64_i32_e32 v[69:70], v18
	s_delay_alu instid0(VALU_DEP_2) | instskip(NEXT) | instid1(VALU_DEP_2)
	v_add_f64 v[31:32], v[31:32], v[41:42]
	v_add_f64 v[57:58], v[57:58], -v[69:70]
	s_delay_alu instid0(VALU_DEP_2) | instskip(NEXT) | instid1(VALU_DEP_2)
	v_add_f64 v[31:32], v[49:50], v[31:32]
	v_add_f64 v[43:44], v[61:62], v[57:58]
	s_delay_alu instid0(VALU_DEP_1) | instskip(SKIP_1) | instid1(VALU_DEP_2)
	v_add_f64 v[41:42], v[43:44], -v[57:58]
	v_cmp_le_f64_e64 s5, 0.5, v[43:44]
	v_add_f64 v[41:42], v[61:62], -v[41:42]
	s_delay_alu instid0(VALU_DEP_2) | instskip(SKIP_1) | instid1(VALU_DEP_3)
	v_add_co_ci_u32_e64 v103, s6, 0, v18, s5
	v_cndmask_b32_e64 v18, 0, 0x3ff00000, s5
	v_add_f64 v[31:32], v[31:32], v[41:42]
	s_delay_alu instid0(VALU_DEP_2) | instskip(NEXT) | instid1(VALU_DEP_1)
	v_add_f64 v[41:42], v[43:44], -v[17:18]
	v_add_f64 v[43:44], v[41:42], v[31:32]
	s_delay_alu instid0(VALU_DEP_1) | instskip(SKIP_1) | instid1(VALU_DEP_2)
	v_mul_f64 v[49:50], v[43:44], s[20:21]
	v_add_f64 v[41:42], v[43:44], -v[41:42]
	v_fma_f64 v[55:56], v[43:44], s[20:21], -v[49:50]
	s_delay_alu instid0(VALU_DEP_2) | instskip(NEXT) | instid1(VALU_DEP_2)
	v_add_f64 v[31:32], v[31:32], -v[41:42]
	v_fma_f64 v[41:42], v[43:44], s[26:27], v[55:56]
	s_delay_alu instid0(VALU_DEP_1) | instskip(NEXT) | instid1(VALU_DEP_1)
	v_fma_f64 v[31:32], v[31:32], s[20:21], v[41:42]
	v_add_f64 v[59:60], v[49:50], v[31:32]
	s_delay_alu instid0(VALU_DEP_1) | instskip(NEXT) | instid1(VALU_DEP_1)
	v_add_f64 v[41:42], v[59:60], -v[49:50]
	v_add_f64 v[65:66], v[31:32], -v[41:42]
	s_and_not1_saveexec_b32 s5, s7
	s_cbranch_execnz .LBB150_35
	s_branch .LBB150_36
.LBB150_34:                             ;   in Loop: Header=BB150_4 Depth=1
	s_and_not1_saveexec_b32 s5, s7
	s_cbranch_execz .LBB150_36
.LBB150_35:                             ;   in Loop: Header=BB150_4 Depth=1
	v_mul_f64 v[31:32], |v[11:12]|, s[28:29]
	s_mov_b32 s24, s30
	s_delay_alu instid0(VALU_DEP_1) | instskip(NEXT) | instid1(VALU_DEP_1)
	v_rndne_f64_e32 v[31:32], v[31:32]
	v_fma_f64 v[41:42], v[31:32], s[22:23], |v[11:12]|
	v_mul_f64 v[43:44], v[31:32], s[30:31]
	v_cvt_i32_f64_e32 v103, v[31:32]
	s_delay_alu instid0(VALU_DEP_3) | instskip(NEXT) | instid1(VALU_DEP_3)
	v_fma_f64 v[55:56], v[31:32], s[30:31], v[41:42]
	v_add_f64 v[49:50], v[41:42], v[43:44]
	s_delay_alu instid0(VALU_DEP_1) | instskip(NEXT) | instid1(VALU_DEP_3)
	v_add_f64 v[41:42], v[41:42], -v[49:50]
	v_add_f64 v[49:50], v[49:50], -v[55:56]
	s_delay_alu instid0(VALU_DEP_2) | instskip(SKIP_1) | instid1(VALU_DEP_2)
	v_add_f64 v[41:42], v[41:42], v[43:44]
	v_fma_f64 v[43:44], v[31:32], s[24:25], v[43:44]
	v_add_f64 v[41:42], v[49:50], v[41:42]
	s_delay_alu instid0(VALU_DEP_1) | instskip(NEXT) | instid1(VALU_DEP_1)
	v_add_f64 v[41:42], v[41:42], -v[43:44]
	v_fma_f64 v[41:42], v[31:32], s[34:35], v[41:42]
	s_delay_alu instid0(VALU_DEP_1) | instskip(NEXT) | instid1(VALU_DEP_1)
	v_add_f64 v[59:60], v[55:56], v[41:42]
	v_add_f64 v[43:44], v[59:60], -v[55:56]
	s_delay_alu instid0(VALU_DEP_1)
	v_add_f64 v[65:66], v[41:42], -v[43:44]
.LBB150_36:                             ;   in Loop: Header=BB150_4 Depth=1
	s_or_b32 exec_lo, exec_lo, s5
	v_mul_f64 v[31:32], v[7:8], 0.5
                                        ; implicit-def: $vgpr99
                                        ; implicit-def: $vgpr43_vgpr44
                                        ; implicit-def: $vgpr49_vgpr50
	s_mov_b32 s6, exec_lo
	s_delay_alu instid0(VALU_DEP_1)
	v_cmpx_ngt_f64_e64 0x41d00000, |v[31:32]|
	s_xor_b32 s7, exec_lo, s6
	s_cbranch_execz .LBB150_38
; %bb.37:                               ;   in Loop: Header=BB150_4 Depth=1
	v_ldexp_f64 v[41:42], |v[31:32]|, 0xffffff80
	v_cmp_le_f64_e64 s5, 0x7b000000, |v[31:32]|
	v_trig_preop_f64 v[43:44], |v[31:32]|, 0
	v_and_b32_e32 v18, 0x7fffffff, v32
	v_trig_preop_f64 v[49:50], |v[31:32]|, 1
	v_trig_preop_f64 v[67:68], |v[31:32]|, 2
	s_mov_b32 s20, s22
	s_mov_b32 s27, s25
	v_cndmask_b32_e64 v42, v18, v42, s5
	v_cndmask_b32_e64 v41, v31, v41, s5
	s_delay_alu instid0(VALU_DEP_1) | instskip(SKIP_2) | instid1(VALU_DEP_3)
	v_mul_f64 v[55:56], v[43:44], v[41:42]
	v_mul_f64 v[57:58], v[49:50], v[41:42]
	;; [unrolled: 1-line block ×3, first 2 shown]
	v_fma_f64 v[43:44], v[43:44], v[41:42], -v[55:56]
	s_delay_alu instid0(VALU_DEP_3) | instskip(NEXT) | instid1(VALU_DEP_3)
	v_fma_f64 v[49:50], v[49:50], v[41:42], -v[57:58]
	v_fma_f64 v[41:42], v[67:68], v[41:42], -v[73:74]
	s_delay_alu instid0(VALU_DEP_3) | instskip(NEXT) | instid1(VALU_DEP_1)
	v_add_f64 v[61:62], v[57:58], v[43:44]
	v_add_f64 v[63:64], v[61:62], -v[57:58]
	v_add_f64 v[71:72], v[55:56], v[61:62]
	s_delay_alu instid0(VALU_DEP_2) | instskip(SKIP_1) | instid1(VALU_DEP_3)
	v_add_f64 v[69:70], v[61:62], -v[63:64]
	v_add_f64 v[43:44], v[43:44], -v[63:64]
	v_ldexp_f64 v[63:64], v[71:72], -2
	v_add_f64 v[55:56], v[71:72], -v[55:56]
	s_delay_alu instid0(VALU_DEP_4) | instskip(SKIP_1) | instid1(VALU_DEP_4)
	v_add_f64 v[57:58], v[57:58], -v[69:70]
	v_add_f64 v[69:70], v[73:74], v[49:50]
	v_cmp_neq_f64_e64 s5, 0x7ff00000, |v[63:64]|
	s_delay_alu instid0(VALU_DEP_4) | instskip(NEXT) | instid1(VALU_DEP_4)
	v_add_f64 v[55:56], v[61:62], -v[55:56]
	v_add_f64 v[43:44], v[43:44], v[57:58]
	v_fract_f64_e32 v[57:58], v[63:64]
	s_delay_alu instid0(VALU_DEP_2) | instskip(NEXT) | instid1(VALU_DEP_2)
	v_add_f64 v[61:62], v[69:70], v[43:44]
	v_cndmask_b32_e64 v58, 0, v58, s5
	s_delay_alu instid0(VALU_DEP_3) | instskip(NEXT) | instid1(VALU_DEP_1)
	v_cndmask_b32_e64 v57, 0, v57, s5
	v_ldexp_f64 v[57:58], v[57:58], 2
	s_delay_alu instid0(VALU_DEP_4) | instskip(SKIP_1) | instid1(VALU_DEP_2)
	v_add_f64 v[63:64], v[55:56], v[61:62]
	v_add_f64 v[75:76], v[61:62], -v[69:70]
	v_add_f64 v[71:72], v[63:64], v[57:58]
	s_delay_alu instid0(VALU_DEP_2) | instskip(SKIP_2) | instid1(VALU_DEP_4)
	v_add_f64 v[81:82], v[61:62], -v[75:76]
	v_add_f64 v[43:44], v[43:44], -v[75:76]
	v_add_f64 v[55:56], v[63:64], -v[55:56]
	v_cmp_gt_f64_e64 s5, 0, v[71:72]
	v_add_f64 v[71:72], v[69:70], -v[73:74]
	s_delay_alu instid0(VALU_DEP_3) | instskip(NEXT) | instid1(VALU_DEP_3)
	v_add_f64 v[55:56], v[61:62], -v[55:56]
	v_cndmask_b32_e64 v18, 0, 0x40100000, s5
	s_delay_alu instid0(VALU_DEP_3) | instskip(SKIP_2) | instid1(VALU_DEP_4)
	v_add_f64 v[79:80], v[69:70], -v[71:72]
	v_add_f64 v[49:50], v[49:50], -v[71:72]
	v_add_f64 v[69:70], v[69:70], -v[81:82]
	v_add_f64 v[57:58], v[57:58], v[17:18]
	s_delay_alu instid0(VALU_DEP_4) | instskip(NEXT) | instid1(VALU_DEP_3)
	v_add_f64 v[71:72], v[73:74], -v[79:80]
	v_add_f64 v[43:44], v[43:44], v[69:70]
	s_delay_alu instid0(VALU_DEP_3) | instskip(NEXT) | instid1(VALU_DEP_3)
	v_add_f64 v[77:78], v[63:64], v[57:58]
	v_add_f64 v[49:50], v[49:50], v[71:72]
	s_delay_alu instid0(VALU_DEP_2) | instskip(NEXT) | instid1(VALU_DEP_2)
	v_cvt_i32_f64_e32 v18, v[77:78]
	v_add_f64 v[43:44], v[49:50], v[43:44]
	s_delay_alu instid0(VALU_DEP_2) | instskip(NEXT) | instid1(VALU_DEP_2)
	v_cvt_f64_i32_e32 v[75:76], v18
	v_add_f64 v[41:42], v[41:42], v[43:44]
	s_delay_alu instid0(VALU_DEP_2) | instskip(NEXT) | instid1(VALU_DEP_2)
	v_add_f64 v[57:58], v[57:58], -v[75:76]
	v_add_f64 v[41:42], v[55:56], v[41:42]
	s_delay_alu instid0(VALU_DEP_2) | instskip(NEXT) | instid1(VALU_DEP_1)
	v_add_f64 v[49:50], v[63:64], v[57:58]
	v_add_f64 v[43:44], v[49:50], -v[57:58]
	v_cmp_le_f64_e64 s5, 0.5, v[49:50]
	s_delay_alu instid0(VALU_DEP_2) | instskip(NEXT) | instid1(VALU_DEP_2)
	v_add_f64 v[43:44], v[63:64], -v[43:44]
	v_add_co_ci_u32_e64 v99, s6, 0, v18, s5
	v_cndmask_b32_e64 v18, 0, 0x3ff00000, s5
	s_delay_alu instid0(VALU_DEP_3) | instskip(NEXT) | instid1(VALU_DEP_2)
	v_add_f64 v[41:42], v[41:42], v[43:44]
	v_add_f64 v[43:44], v[49:50], -v[17:18]
	s_delay_alu instid0(VALU_DEP_1) | instskip(NEXT) | instid1(VALU_DEP_1)
	v_add_f64 v[49:50], v[43:44], v[41:42]
	v_mul_f64 v[55:56], v[49:50], s[20:21]
	v_add_f64 v[43:44], v[49:50], -v[43:44]
	s_delay_alu instid0(VALU_DEP_2) | instskip(NEXT) | instid1(VALU_DEP_2)
	v_fma_f64 v[57:58], v[49:50], s[20:21], -v[55:56]
	v_add_f64 v[41:42], v[41:42], -v[43:44]
	s_delay_alu instid0(VALU_DEP_2) | instskip(NEXT) | instid1(VALU_DEP_1)
	v_fma_f64 v[43:44], v[49:50], s[26:27], v[57:58]
	v_fma_f64 v[41:42], v[41:42], s[20:21], v[43:44]
	s_delay_alu instid0(VALU_DEP_1) | instskip(NEXT) | instid1(VALU_DEP_1)
	v_add_f64 v[43:44], v[55:56], v[41:42]
	v_add_f64 v[49:50], v[43:44], -v[55:56]
	s_delay_alu instid0(VALU_DEP_1)
	v_add_f64 v[49:50], v[41:42], -v[49:50]
.LBB150_38:                             ;   in Loop: Header=BB150_4 Depth=1
	s_and_not1_saveexec_b32 s5, s7
	s_cbranch_execz .LBB150_40
; %bb.39:                               ;   in Loop: Header=BB150_4 Depth=1
	v_mul_f64 v[41:42], |v[31:32]|, s[28:29]
	s_mov_b32 s24, s30
	s_delay_alu instid0(VALU_DEP_1) | instskip(NEXT) | instid1(VALU_DEP_1)
	v_rndne_f64_e32 v[41:42], v[41:42]
	v_fma_f64 v[43:44], v[41:42], s[22:23], |v[31:32]|
	v_mul_f64 v[49:50], v[41:42], s[30:31]
	v_cvt_i32_f64_e32 v99, v[41:42]
	s_delay_alu instid0(VALU_DEP_3) | instskip(NEXT) | instid1(VALU_DEP_3)
	v_fma_f64 v[57:58], v[41:42], s[30:31], v[43:44]
	v_add_f64 v[55:56], v[43:44], v[49:50]
	s_delay_alu instid0(VALU_DEP_1) | instskip(NEXT) | instid1(VALU_DEP_3)
	v_add_f64 v[43:44], v[43:44], -v[55:56]
	v_add_f64 v[55:56], v[55:56], -v[57:58]
	s_delay_alu instid0(VALU_DEP_2) | instskip(SKIP_1) | instid1(VALU_DEP_2)
	v_add_f64 v[43:44], v[43:44], v[49:50]
	v_fma_f64 v[49:50], v[41:42], s[24:25], v[49:50]
	v_add_f64 v[43:44], v[55:56], v[43:44]
	s_delay_alu instid0(VALU_DEP_1) | instskip(NEXT) | instid1(VALU_DEP_1)
	v_add_f64 v[43:44], v[43:44], -v[49:50]
	v_fma_f64 v[49:50], v[41:42], s[34:35], v[43:44]
	s_delay_alu instid0(VALU_DEP_1) | instskip(NEXT) | instid1(VALU_DEP_1)
	v_add_f64 v[43:44], v[57:58], v[49:50]
	v_add_f64 v[55:56], v[43:44], -v[57:58]
	s_delay_alu instid0(VALU_DEP_1)
	v_add_f64 v[49:50], v[49:50], -v[55:56]
.LBB150_40:                             ;   in Loop: Header=BB150_4 Depth=1
	s_or_b32 exec_lo, exec_lo, s5
	v_cmp_ngt_f64_e64 s7, 0x41d00000, |v[7:8]|
	v_trig_preop_f64 v[61:62], |v[7:8]|, 0
	v_trig_preop_f64 v[55:56], |v[7:8]|, 1
	v_ldexp_f64 v[67:68], |v[7:8]|, 0xffffff80
	v_trig_preop_f64 v[41:42], |v[7:8]|, 2
	v_and_b32_e32 v71, 0x7fffffff, v8
                                        ; implicit-def: $vgpr101
                                        ; implicit-def: $vgpr57_vgpr58
                                        ; implicit-def: $vgpr63_vgpr64
	s_and_saveexec_b32 s5, s7
	s_delay_alu instid0(SALU_CYCLE_1)
	s_xor_b32 s8, exec_lo, s5
	s_cbranch_execz .LBB150_42
; %bb.41:                               ;   in Loop: Header=BB150_4 Depth=1
	v_cmp_le_f64_e64 s5, 0x7b000000, |v[7:8]|
	s_mov_b32 s20, s22
	s_mov_b32 s27, s25
	s_delay_alu instid0(VALU_DEP_1) | instskip(SKIP_1) | instid1(VALU_DEP_1)
	v_cndmask_b32_e64 v58, v71, v68, s5
	v_cndmask_b32_e64 v57, v7, v67, s5
	v_mul_f64 v[63:64], v[61:62], v[57:58]
	v_mul_f64 v[69:70], v[55:56], v[57:58]
	;; [unrolled: 1-line block ×3, first 2 shown]
	s_delay_alu instid0(VALU_DEP_3) | instskip(NEXT) | instid1(VALU_DEP_3)
	v_fma_f64 v[72:73], v[61:62], v[57:58], -v[63:64]
	v_fma_f64 v[84:85], v[55:56], v[57:58], -v[69:70]
	s_delay_alu instid0(VALU_DEP_3) | instskip(NEXT) | instid1(VALU_DEP_3)
	v_fma_f64 v[57:58], v[41:42], v[57:58], -v[82:83]
	v_add_f64 v[74:75], v[69:70], v[72:73]
	s_delay_alu instid0(VALU_DEP_1) | instskip(SKIP_1) | instid1(VALU_DEP_2)
	v_add_f64 v[76:77], v[74:75], -v[69:70]
	v_add_f64 v[80:81], v[63:64], v[74:75]
	v_add_f64 v[78:79], v[74:75], -v[76:77]
	v_add_f64 v[72:73], v[72:73], -v[76:77]
	s_delay_alu instid0(VALU_DEP_3) | instskip(SKIP_1) | instid1(VALU_DEP_4)
	v_ldexp_f64 v[76:77], v[80:81], -2
	v_add_f64 v[63:64], v[80:81], -v[63:64]
	v_add_f64 v[69:70], v[69:70], -v[78:79]
	v_add_f64 v[78:79], v[82:83], v[84:85]
	s_delay_alu instid0(VALU_DEP_4) | instskip(NEXT) | instid1(VALU_DEP_4)
	v_cmp_neq_f64_e64 s5, 0x7ff00000, |v[76:77]|
	v_add_f64 v[63:64], v[74:75], -v[63:64]
	s_delay_alu instid0(VALU_DEP_4) | instskip(SKIP_1) | instid1(VALU_DEP_2)
	v_add_f64 v[69:70], v[72:73], v[69:70]
	v_fract_f64_e32 v[72:73], v[76:77]
	v_add_f64 v[74:75], v[78:79], v[69:70]
	s_delay_alu instid0(VALU_DEP_2) | instskip(NEXT) | instid1(VALU_DEP_3)
	v_cndmask_b32_e64 v73, 0, v73, s5
	v_cndmask_b32_e64 v72, 0, v72, s5
	s_delay_alu instid0(VALU_DEP_1) | instskip(NEXT) | instid1(VALU_DEP_4)
	v_ldexp_f64 v[72:73], v[72:73], 2
	v_add_f64 v[76:77], v[63:64], v[74:75]
	v_add_f64 v[101:102], v[74:75], -v[78:79]
	s_delay_alu instid0(VALU_DEP_2) | instskip(NEXT) | instid1(VALU_DEP_2)
	v_add_f64 v[80:81], v[76:77], v[72:73]
	v_add_f64 v[108:109], v[74:75], -v[101:102]
	v_add_f64 v[69:70], v[69:70], -v[101:102]
	;; [unrolled: 1-line block ×3, first 2 shown]
	s_delay_alu instid0(VALU_DEP_4) | instskip(SKIP_1) | instid1(VALU_DEP_3)
	v_cmp_gt_f64_e64 s5, 0, v[80:81]
	v_add_f64 v[80:81], v[78:79], -v[82:83]
	v_add_f64 v[63:64], v[74:75], -v[63:64]
	s_delay_alu instid0(VALU_DEP_3) | instskip(NEXT) | instid1(VALU_DEP_3)
	v_cndmask_b32_e64 v18, 0, 0x40100000, s5
	v_add_f64 v[106:107], v[78:79], -v[80:81]
	v_add_f64 v[80:81], v[84:85], -v[80:81]
	;; [unrolled: 1-line block ×3, first 2 shown]
	s_delay_alu instid0(VALU_DEP_4) | instskip(NEXT) | instid1(VALU_DEP_4)
	v_add_f64 v[72:73], v[72:73], v[17:18]
	v_add_f64 v[84:85], v[82:83], -v[106:107]
	s_delay_alu instid0(VALU_DEP_3) | instskip(NEXT) | instid1(VALU_DEP_3)
	v_add_f64 v[69:70], v[69:70], v[78:79]
	v_add_f64 v[104:105], v[76:77], v[72:73]
	s_delay_alu instid0(VALU_DEP_3) | instskip(NEXT) | instid1(VALU_DEP_2)
	v_add_f64 v[80:81], v[80:81], v[84:85]
	v_cvt_i32_f64_e32 v18, v[104:105]
	s_delay_alu instid0(VALU_DEP_2) | instskip(NEXT) | instid1(VALU_DEP_2)
	v_add_f64 v[69:70], v[80:81], v[69:70]
	v_cvt_f64_i32_e32 v[101:102], v18
	s_delay_alu instid0(VALU_DEP_2) | instskip(NEXT) | instid1(VALU_DEP_2)
	v_add_f64 v[57:58], v[57:58], v[69:70]
	v_add_f64 v[72:73], v[72:73], -v[101:102]
	s_delay_alu instid0(VALU_DEP_2) | instskip(NEXT) | instid1(VALU_DEP_2)
	v_add_f64 v[57:58], v[63:64], v[57:58]
	v_add_f64 v[78:79], v[76:77], v[72:73]
	s_delay_alu instid0(VALU_DEP_1) | instskip(SKIP_1) | instid1(VALU_DEP_2)
	v_add_f64 v[69:70], v[78:79], -v[72:73]
	v_cmp_le_f64_e64 s5, 0.5, v[78:79]
	v_add_f64 v[63:64], v[76:77], -v[69:70]
	s_delay_alu instid0(VALU_DEP_2) | instskip(SKIP_1) | instid1(VALU_DEP_3)
	v_add_co_ci_u32_e64 v101, s6, 0, v18, s5
	v_cndmask_b32_e64 v18, 0, 0x3ff00000, s5
	v_add_f64 v[57:58], v[57:58], v[63:64]
	s_delay_alu instid0(VALU_DEP_2) | instskip(NEXT) | instid1(VALU_DEP_1)
	v_add_f64 v[63:64], v[78:79], -v[17:18]
	v_add_f64 v[69:70], v[63:64], v[57:58]
	s_delay_alu instid0(VALU_DEP_1) | instskip(SKIP_1) | instid1(VALU_DEP_2)
	v_mul_f64 v[72:73], v[69:70], s[20:21]
	v_add_f64 v[63:64], v[69:70], -v[63:64]
	v_fma_f64 v[74:75], v[69:70], s[20:21], -v[72:73]
	s_delay_alu instid0(VALU_DEP_2) | instskip(NEXT) | instid1(VALU_DEP_2)
	v_add_f64 v[57:58], v[57:58], -v[63:64]
	v_fma_f64 v[63:64], v[69:70], s[26:27], v[74:75]
	s_delay_alu instid0(VALU_DEP_1) | instskip(NEXT) | instid1(VALU_DEP_1)
	v_fma_f64 v[63:64], v[57:58], s[20:21], v[63:64]
	v_add_f64 v[57:58], v[72:73], v[63:64]
	s_delay_alu instid0(VALU_DEP_1) | instskip(NEXT) | instid1(VALU_DEP_1)
	v_add_f64 v[69:70], v[57:58], -v[72:73]
	v_add_f64 v[63:64], v[63:64], -v[69:70]
	s_and_not1_saveexec_b32 s5, s8
	s_cbranch_execz .LBB150_44
	s_branch .LBB150_43
.LBB150_42:                             ;   in Loop: Header=BB150_4 Depth=1
	s_and_not1_saveexec_b32 s5, s8
	s_cbranch_execz .LBB150_44
.LBB150_43:                             ;   in Loop: Header=BB150_4 Depth=1
	v_mul_f64 v[57:58], |v[7:8]|, s[28:29]
	s_mov_b32 s24, s30
	s_delay_alu instid0(VALU_DEP_1) | instskip(NEXT) | instid1(VALU_DEP_1)
	v_rndne_f64_e32 v[69:70], v[57:58]
	v_fma_f64 v[57:58], v[69:70], s[22:23], |v[7:8]|
	v_mul_f64 v[63:64], v[69:70], s[30:31]
	v_cvt_i32_f64_e32 v101, v[69:70]
	s_delay_alu instid0(VALU_DEP_3) | instskip(NEXT) | instid1(VALU_DEP_3)
	v_fma_f64 v[74:75], v[69:70], s[30:31], v[57:58]
	v_add_f64 v[72:73], v[57:58], v[63:64]
	s_delay_alu instid0(VALU_DEP_1) | instskip(NEXT) | instid1(VALU_DEP_3)
	v_add_f64 v[57:58], v[57:58], -v[72:73]
	v_add_f64 v[72:73], v[72:73], -v[74:75]
	s_delay_alu instid0(VALU_DEP_2) | instskip(SKIP_1) | instid1(VALU_DEP_2)
	v_add_f64 v[57:58], v[57:58], v[63:64]
	v_fma_f64 v[63:64], v[69:70], s[24:25], v[63:64]
	v_add_f64 v[57:58], v[72:73], v[57:58]
	s_delay_alu instid0(VALU_DEP_1) | instskip(NEXT) | instid1(VALU_DEP_1)
	v_add_f64 v[57:58], v[57:58], -v[63:64]
	v_fma_f64 v[63:64], v[69:70], s[34:35], v[57:58]
	s_delay_alu instid0(VALU_DEP_1) | instskip(NEXT) | instid1(VALU_DEP_1)
	v_add_f64 v[57:58], v[74:75], v[63:64]
	v_add_f64 v[72:73], v[57:58], -v[74:75]
	s_delay_alu instid0(VALU_DEP_1)
	v_add_f64 v[63:64], v[63:64], -v[72:73]
.LBB150_44:                             ;   in Loop: Header=BB150_4 Depth=1
	s_or_b32 exec_lo, exec_lo, s5
                                        ; implicit-def: $vgpr105
                                        ; implicit-def: $vgpr69_vgpr70
                                        ; implicit-def: $vgpr73_vgpr74
	s_and_saveexec_b32 s5, s7
	s_delay_alu instid0(SALU_CYCLE_1)
	s_xor_b32 s7, exec_lo, s5
	s_cbranch_execz .LBB150_46
; %bb.45:                               ;   in Loop: Header=BB150_4 Depth=1
	v_cmp_le_f64_e64 s5, 0x7b000000, |v[7:8]|
	s_mov_b32 s20, s22
	s_mov_b32 s27, s25
	s_delay_alu instid0(VALU_DEP_1) | instskip(SKIP_1) | instid1(VALU_DEP_1)
	v_cndmask_b32_e64 v68, v71, v68, s5
	v_cndmask_b32_e64 v67, v7, v67, s5
	v_mul_f64 v[69:70], v[61:62], v[67:68]
	v_mul_f64 v[71:72], v[55:56], v[67:68]
	;; [unrolled: 1-line block ×3, first 2 shown]
	s_delay_alu instid0(VALU_DEP_3) | instskip(NEXT) | instid1(VALU_DEP_3)
	v_fma_f64 v[61:62], v[61:62], v[67:68], -v[69:70]
	v_fma_f64 v[55:56], v[55:56], v[67:68], -v[71:72]
	s_delay_alu instid0(VALU_DEP_3) | instskip(NEXT) | instid1(VALU_DEP_3)
	v_fma_f64 v[41:42], v[41:42], v[67:68], -v[81:82]
	v_add_f64 v[73:74], v[71:72], v[61:62]
	s_delay_alu instid0(VALU_DEP_1) | instskip(SKIP_1) | instid1(VALU_DEP_2)
	v_add_f64 v[75:76], v[73:74], -v[71:72]
	v_add_f64 v[79:80], v[69:70], v[73:74]
	v_add_f64 v[77:78], v[73:74], -v[75:76]
	v_add_f64 v[61:62], v[61:62], -v[75:76]
	s_delay_alu instid0(VALU_DEP_3) | instskip(SKIP_1) | instid1(VALU_DEP_4)
	v_ldexp_f64 v[75:76], v[79:80], -2
	v_add_f64 v[69:70], v[79:80], -v[69:70]
	v_add_f64 v[71:72], v[71:72], -v[77:78]
	v_add_f64 v[77:78], v[81:82], v[55:56]
	s_delay_alu instid0(VALU_DEP_4) | instskip(NEXT) | instid1(VALU_DEP_4)
	v_cmp_neq_f64_e64 s5, 0x7ff00000, |v[75:76]|
	v_add_f64 v[69:70], v[73:74], -v[69:70]
	s_delay_alu instid0(VALU_DEP_4) | instskip(SKIP_1) | instid1(VALU_DEP_2)
	v_add_f64 v[61:62], v[61:62], v[71:72]
	v_fract_f64_e32 v[71:72], v[75:76]
	v_add_f64 v[73:74], v[77:78], v[61:62]
	s_delay_alu instid0(VALU_DEP_2) | instskip(NEXT) | instid1(VALU_DEP_3)
	v_cndmask_b32_e64 v72, 0, v72, s5
	v_cndmask_b32_e64 v71, 0, v71, s5
	s_delay_alu instid0(VALU_DEP_1) | instskip(NEXT) | instid1(VALU_DEP_4)
	v_ldexp_f64 v[71:72], v[71:72], 2
	v_add_f64 v[75:76], v[69:70], v[73:74]
	v_add_f64 v[83:84], v[73:74], -v[77:78]
	s_delay_alu instid0(VALU_DEP_2) | instskip(NEXT) | instid1(VALU_DEP_2)
	v_add_f64 v[79:80], v[75:76], v[71:72]
	v_add_f64 v[106:107], v[73:74], -v[83:84]
	v_add_f64 v[61:62], v[61:62], -v[83:84]
	;; [unrolled: 1-line block ×3, first 2 shown]
	s_delay_alu instid0(VALU_DEP_4) | instskip(SKIP_1) | instid1(VALU_DEP_3)
	v_cmp_gt_f64_e64 s5, 0, v[79:80]
	v_add_f64 v[79:80], v[77:78], -v[81:82]
	v_add_f64 v[67:68], v[73:74], -v[67:68]
	s_delay_alu instid0(VALU_DEP_3) | instskip(NEXT) | instid1(VALU_DEP_3)
	v_cndmask_b32_e64 v18, 0, 0x40100000, s5
	v_add_f64 v[104:105], v[77:78], -v[79:80]
	v_add_f64 v[55:56], v[55:56], -v[79:80]
	;; [unrolled: 1-line block ×3, first 2 shown]
	s_delay_alu instid0(VALU_DEP_4) | instskip(NEXT) | instid1(VALU_DEP_4)
	v_add_f64 v[71:72], v[71:72], v[17:18]
	v_add_f64 v[79:80], v[81:82], -v[104:105]
	s_delay_alu instid0(VALU_DEP_3) | instskip(NEXT) | instid1(VALU_DEP_3)
	v_add_f64 v[61:62], v[61:62], v[77:78]
	v_add_f64 v[85:86], v[75:76], v[71:72]
	s_delay_alu instid0(VALU_DEP_3) | instskip(NEXT) | instid1(VALU_DEP_2)
	v_add_f64 v[55:56], v[55:56], v[79:80]
	v_cvt_i32_f64_e32 v18, v[85:86]
	s_delay_alu instid0(VALU_DEP_2) | instskip(NEXT) | instid1(VALU_DEP_2)
	v_add_f64 v[55:56], v[55:56], v[61:62]
	v_cvt_f64_i32_e32 v[83:84], v18
	s_delay_alu instid0(VALU_DEP_2) | instskip(NEXT) | instid1(VALU_DEP_2)
	v_add_f64 v[41:42], v[41:42], v[55:56]
	v_add_f64 v[71:72], v[71:72], -v[83:84]
	s_delay_alu instid0(VALU_DEP_2) | instskip(NEXT) | instid1(VALU_DEP_2)
	v_add_f64 v[41:42], v[67:68], v[41:42]
	v_add_f64 v[61:62], v[75:76], v[71:72]
	s_delay_alu instid0(VALU_DEP_1) | instskip(SKIP_1) | instid1(VALU_DEP_2)
	v_add_f64 v[55:56], v[61:62], -v[71:72]
	v_cmp_le_f64_e64 s5, 0.5, v[61:62]
	v_add_f64 v[55:56], v[75:76], -v[55:56]
	s_delay_alu instid0(VALU_DEP_2) | instskip(SKIP_1) | instid1(VALU_DEP_3)
	v_add_co_ci_u32_e64 v105, s6, 0, v18, s5
	v_cndmask_b32_e64 v18, 0, 0x3ff00000, s5
	v_add_f64 v[41:42], v[41:42], v[55:56]
	s_delay_alu instid0(VALU_DEP_2) | instskip(NEXT) | instid1(VALU_DEP_1)
	v_add_f64 v[55:56], v[61:62], -v[17:18]
	v_add_f64 v[61:62], v[55:56], v[41:42]
	s_delay_alu instid0(VALU_DEP_1) | instskip(SKIP_1) | instid1(VALU_DEP_2)
	v_mul_f64 v[67:68], v[61:62], s[20:21]
	v_add_f64 v[55:56], v[61:62], -v[55:56]
	v_fma_f64 v[69:70], v[61:62], s[20:21], -v[67:68]
	s_delay_alu instid0(VALU_DEP_2) | instskip(NEXT) | instid1(VALU_DEP_2)
	v_add_f64 v[41:42], v[41:42], -v[55:56]
	v_fma_f64 v[55:56], v[61:62], s[26:27], v[69:70]
	s_delay_alu instid0(VALU_DEP_1) | instskip(NEXT) | instid1(VALU_DEP_1)
	v_fma_f64 v[41:42], v[41:42], s[20:21], v[55:56]
	v_add_f64 v[69:70], v[67:68], v[41:42]
	s_delay_alu instid0(VALU_DEP_1) | instskip(NEXT) | instid1(VALU_DEP_1)
	v_add_f64 v[55:56], v[69:70], -v[67:68]
	v_add_f64 v[73:74], v[41:42], -v[55:56]
	s_and_not1_saveexec_b32 s5, s7
	s_cbranch_execnz .LBB150_47
	s_branch .LBB150_48
.LBB150_46:                             ;   in Loop: Header=BB150_4 Depth=1
	s_and_not1_saveexec_b32 s5, s7
	s_cbranch_execz .LBB150_48
.LBB150_47:                             ;   in Loop: Header=BB150_4 Depth=1
	v_mul_f64 v[41:42], |v[7:8]|, s[28:29]
	s_mov_b32 s24, s30
	s_delay_alu instid0(VALU_DEP_1) | instskip(NEXT) | instid1(VALU_DEP_1)
	v_rndne_f64_e32 v[41:42], v[41:42]
	v_fma_f64 v[55:56], v[41:42], s[22:23], |v[7:8]|
	v_mul_f64 v[61:62], v[41:42], s[30:31]
	v_cvt_i32_f64_e32 v105, v[41:42]
	s_delay_alu instid0(VALU_DEP_3) | instskip(NEXT) | instid1(VALU_DEP_3)
	v_fma_f64 v[71:72], v[41:42], s[30:31], v[55:56]
	v_add_f64 v[67:68], v[55:56], v[61:62]
	s_delay_alu instid0(VALU_DEP_1) | instskip(NEXT) | instid1(VALU_DEP_3)
	v_add_f64 v[55:56], v[55:56], -v[67:68]
	v_add_f64 v[67:68], v[67:68], -v[71:72]
	s_delay_alu instid0(VALU_DEP_2) | instskip(SKIP_1) | instid1(VALU_DEP_2)
	v_add_f64 v[55:56], v[55:56], v[61:62]
	v_fma_f64 v[61:62], v[41:42], s[24:25], v[61:62]
	v_add_f64 v[55:56], v[67:68], v[55:56]
	s_delay_alu instid0(VALU_DEP_1) | instskip(NEXT) | instid1(VALU_DEP_1)
	v_add_f64 v[55:56], v[55:56], -v[61:62]
	v_fma_f64 v[55:56], v[41:42], s[34:35], v[55:56]
	s_delay_alu instid0(VALU_DEP_1) | instskip(NEXT) | instid1(VALU_DEP_1)
	v_add_f64 v[69:70], v[71:72], v[55:56]
	v_add_f64 v[61:62], v[69:70], -v[71:72]
	s_delay_alu instid0(VALU_DEP_1)
	v_add_f64 v[73:74], v[55:56], -v[61:62]
.LBB150_48:                             ;   in Loop: Header=BB150_4 Depth=1
	s_or_b32 exec_lo, exec_lo, s5
	v_mul_f64 v[41:42], v[3:4], 0.5
                                        ; implicit-def: $vgpr102
                                        ; implicit-def: $vgpr55_vgpr56
                                        ; implicit-def: $vgpr61_vgpr62
	s_mov_b32 s6, exec_lo
	s_delay_alu instid0(VALU_DEP_1)
	v_cmpx_ngt_f64_e64 0x41d00000, |v[41:42]|
	s_xor_b32 s7, exec_lo, s6
	s_cbranch_execz .LBB150_50
; %bb.49:                               ;   in Loop: Header=BB150_4 Depth=1
	v_ldexp_f64 v[55:56], |v[41:42]|, 0xffffff80
	v_cmp_le_f64_e64 s5, 0x7b000000, |v[41:42]|
	v_trig_preop_f64 v[61:62], |v[41:42]|, 0
	v_and_b32_e32 v18, 0x7fffffff, v42
	v_trig_preop_f64 v[67:68], |v[41:42]|, 1
	v_trig_preop_f64 v[81:82], |v[41:42]|, 2
	s_mov_b32 s20, s22
	s_mov_b32 s27, s25
	v_cndmask_b32_e64 v56, v18, v56, s5
	v_cndmask_b32_e64 v55, v41, v55, s5
	s_delay_alu instid0(VALU_DEP_1) | instskip(SKIP_2) | instid1(VALU_DEP_3)
	v_mul_f64 v[71:72], v[61:62], v[55:56]
	v_mul_f64 v[75:76], v[67:68], v[55:56]
	;; [unrolled: 1-line block ×3, first 2 shown]
	v_fma_f64 v[61:62], v[61:62], v[55:56], -v[71:72]
	s_delay_alu instid0(VALU_DEP_3) | instskip(NEXT) | instid1(VALU_DEP_3)
	v_fma_f64 v[67:68], v[67:68], v[55:56], -v[75:76]
	v_fma_f64 v[55:56], v[81:82], v[55:56], -v[106:107]
	s_delay_alu instid0(VALU_DEP_3) | instskip(NEXT) | instid1(VALU_DEP_1)
	v_add_f64 v[77:78], v[75:76], v[61:62]
	v_add_f64 v[79:80], v[77:78], -v[75:76]
	v_add_f64 v[85:86], v[71:72], v[77:78]
	s_delay_alu instid0(VALU_DEP_2) | instskip(SKIP_1) | instid1(VALU_DEP_3)
	v_add_f64 v[83:84], v[77:78], -v[79:80]
	v_add_f64 v[61:62], v[61:62], -v[79:80]
	v_ldexp_f64 v[79:80], v[85:86], -2
	v_add_f64 v[71:72], v[85:86], -v[71:72]
	s_delay_alu instid0(VALU_DEP_4) | instskip(SKIP_1) | instid1(VALU_DEP_4)
	v_add_f64 v[75:76], v[75:76], -v[83:84]
	v_add_f64 v[83:84], v[106:107], v[67:68]
	v_cmp_neq_f64_e64 s5, 0x7ff00000, |v[79:80]|
	s_delay_alu instid0(VALU_DEP_4) | instskip(NEXT) | instid1(VALU_DEP_4)
	v_add_f64 v[71:72], v[77:78], -v[71:72]
	v_add_f64 v[61:62], v[61:62], v[75:76]
	v_fract_f64_e32 v[75:76], v[79:80]
	s_delay_alu instid0(VALU_DEP_2) | instskip(NEXT) | instid1(VALU_DEP_2)
	v_add_f64 v[77:78], v[83:84], v[61:62]
	v_cndmask_b32_e64 v76, 0, v76, s5
	s_delay_alu instid0(VALU_DEP_3) | instskip(NEXT) | instid1(VALU_DEP_1)
	v_cndmask_b32_e64 v75, 0, v75, s5
	v_ldexp_f64 v[75:76], v[75:76], 2
	s_delay_alu instid0(VALU_DEP_4) | instskip(SKIP_1) | instid1(VALU_DEP_2)
	v_add_f64 v[79:80], v[71:72], v[77:78]
	v_add_f64 v[108:109], v[77:78], -v[83:84]
	v_add_f64 v[85:86], v[79:80], v[75:76]
	s_delay_alu instid0(VALU_DEP_2) | instskip(SKIP_2) | instid1(VALU_DEP_4)
	v_add_f64 v[114:115], v[77:78], -v[108:109]
	v_add_f64 v[61:62], v[61:62], -v[108:109]
	;; [unrolled: 1-line block ×3, first 2 shown]
	v_cmp_gt_f64_e64 s5, 0, v[85:86]
	v_add_f64 v[85:86], v[83:84], -v[106:107]
	s_delay_alu instid0(VALU_DEP_3) | instskip(NEXT) | instid1(VALU_DEP_3)
	v_add_f64 v[71:72], v[77:78], -v[71:72]
	v_cndmask_b32_e64 v18, 0, 0x40100000, s5
	s_delay_alu instid0(VALU_DEP_3) | instskip(SKIP_2) | instid1(VALU_DEP_4)
	v_add_f64 v[112:113], v[83:84], -v[85:86]
	v_add_f64 v[67:68], v[67:68], -v[85:86]
	;; [unrolled: 1-line block ×3, first 2 shown]
	v_add_f64 v[75:76], v[75:76], v[17:18]
	s_delay_alu instid0(VALU_DEP_4) | instskip(NEXT) | instid1(VALU_DEP_3)
	v_add_f64 v[85:86], v[106:107], -v[112:113]
	v_add_f64 v[61:62], v[61:62], v[83:84]
	s_delay_alu instid0(VALU_DEP_3) | instskip(NEXT) | instid1(VALU_DEP_3)
	v_add_f64 v[110:111], v[79:80], v[75:76]
	v_add_f64 v[67:68], v[67:68], v[85:86]
	s_delay_alu instid0(VALU_DEP_2) | instskip(NEXT) | instid1(VALU_DEP_2)
	v_cvt_i32_f64_e32 v18, v[110:111]
	v_add_f64 v[61:62], v[67:68], v[61:62]
	s_delay_alu instid0(VALU_DEP_2) | instskip(NEXT) | instid1(VALU_DEP_2)
	v_cvt_f64_i32_e32 v[108:109], v18
	v_add_f64 v[55:56], v[55:56], v[61:62]
	s_delay_alu instid0(VALU_DEP_2) | instskip(NEXT) | instid1(VALU_DEP_2)
	v_add_f64 v[75:76], v[75:76], -v[108:109]
	v_add_f64 v[55:56], v[71:72], v[55:56]
	s_delay_alu instid0(VALU_DEP_2) | instskip(NEXT) | instid1(VALU_DEP_1)
	v_add_f64 v[67:68], v[79:80], v[75:76]
	v_add_f64 v[61:62], v[67:68], -v[75:76]
	v_cmp_le_f64_e64 s5, 0.5, v[67:68]
	s_delay_alu instid0(VALU_DEP_2) | instskip(NEXT) | instid1(VALU_DEP_2)
	v_add_f64 v[61:62], v[79:80], -v[61:62]
	v_add_co_ci_u32_e64 v102, s6, 0, v18, s5
	v_cndmask_b32_e64 v18, 0, 0x3ff00000, s5
	s_delay_alu instid0(VALU_DEP_3) | instskip(NEXT) | instid1(VALU_DEP_2)
	v_add_f64 v[55:56], v[55:56], v[61:62]
	v_add_f64 v[61:62], v[67:68], -v[17:18]
	s_delay_alu instid0(VALU_DEP_1) | instskip(NEXT) | instid1(VALU_DEP_1)
	v_add_f64 v[67:68], v[61:62], v[55:56]
	v_mul_f64 v[71:72], v[67:68], s[20:21]
	v_add_f64 v[61:62], v[67:68], -v[61:62]
	s_delay_alu instid0(VALU_DEP_2) | instskip(NEXT) | instid1(VALU_DEP_2)
	v_fma_f64 v[75:76], v[67:68], s[20:21], -v[71:72]
	v_add_f64 v[55:56], v[55:56], -v[61:62]
	s_delay_alu instid0(VALU_DEP_2) | instskip(NEXT) | instid1(VALU_DEP_1)
	v_fma_f64 v[61:62], v[67:68], s[26:27], v[75:76]
	v_fma_f64 v[61:62], v[55:56], s[20:21], v[61:62]
	s_delay_alu instid0(VALU_DEP_1) | instskip(NEXT) | instid1(VALU_DEP_1)
	v_add_f64 v[55:56], v[71:72], v[61:62]
	v_add_f64 v[67:68], v[55:56], -v[71:72]
	s_delay_alu instid0(VALU_DEP_1)
	v_add_f64 v[61:62], v[61:62], -v[67:68]
.LBB150_50:                             ;   in Loop: Header=BB150_4 Depth=1
	s_and_not1_saveexec_b32 s5, s7
	s_cbranch_execz .LBB150_52
; %bb.51:                               ;   in Loop: Header=BB150_4 Depth=1
	v_mul_f64 v[55:56], |v[41:42]|, s[28:29]
	s_mov_b32 s24, s30
	s_delay_alu instid0(VALU_DEP_1) | instskip(NEXT) | instid1(VALU_DEP_1)
	v_rndne_f64_e32 v[67:68], v[55:56]
	v_fma_f64 v[55:56], v[67:68], s[22:23], |v[41:42]|
	v_mul_f64 v[61:62], v[67:68], s[30:31]
	v_cvt_i32_f64_e32 v102, v[67:68]
	s_delay_alu instid0(VALU_DEP_3) | instskip(NEXT) | instid1(VALU_DEP_3)
	v_fma_f64 v[75:76], v[67:68], s[30:31], v[55:56]
	v_add_f64 v[71:72], v[55:56], v[61:62]
	s_delay_alu instid0(VALU_DEP_1) | instskip(NEXT) | instid1(VALU_DEP_3)
	v_add_f64 v[55:56], v[55:56], -v[71:72]
	v_add_f64 v[71:72], v[71:72], -v[75:76]
	s_delay_alu instid0(VALU_DEP_2) | instskip(SKIP_1) | instid1(VALU_DEP_2)
	v_add_f64 v[55:56], v[55:56], v[61:62]
	v_fma_f64 v[61:62], v[67:68], s[24:25], v[61:62]
	v_add_f64 v[55:56], v[71:72], v[55:56]
	s_delay_alu instid0(VALU_DEP_1) | instskip(NEXT) | instid1(VALU_DEP_1)
	v_add_f64 v[55:56], v[55:56], -v[61:62]
	v_fma_f64 v[61:62], v[67:68], s[34:35], v[55:56]
	s_delay_alu instid0(VALU_DEP_1) | instskip(NEXT) | instid1(VALU_DEP_1)
	v_add_f64 v[55:56], v[75:76], v[61:62]
	v_add_f64 v[71:72], v[55:56], -v[75:76]
	s_delay_alu instid0(VALU_DEP_1)
	v_add_f64 v[61:62], v[61:62], -v[71:72]
.LBB150_52:                             ;   in Loop: Header=BB150_4 Depth=1
	s_or_b32 exec_lo, exec_lo, s5
	v_cmp_ngt_f64_e64 s7, 0x41d00000, |v[3:4]|
	v_trig_preop_f64 v[83:84], |v[3:4]|, 0
	v_trig_preop_f64 v[81:82], |v[3:4]|, 1
	v_ldexp_f64 v[85:86], |v[3:4]|, 0xffffff80
	v_trig_preop_f64 v[79:80], |v[3:4]|, 2
	v_and_b32_e32 v107, 0x7fffffff, v4
                                        ; implicit-def: $vgpr104
                                        ; implicit-def: $vgpr67_vgpr68
                                        ; implicit-def: $vgpr71_vgpr72
	s_and_saveexec_b32 s5, s7
	s_delay_alu instid0(SALU_CYCLE_1)
	s_xor_b32 s8, exec_lo, s5
	s_cbranch_execz .LBB150_54
; %bb.53:                               ;   in Loop: Header=BB150_4 Depth=1
	v_cmp_le_f64_e64 s5, 0x7b000000, |v[3:4]|
	s_mov_b32 s20, s22
	s_mov_b32 s27, s25
	s_delay_alu instid0(VALU_DEP_1) | instskip(SKIP_1) | instid1(VALU_DEP_1)
	v_cndmask_b32_e64 v68, v107, v86, s5
	v_cndmask_b32_e64 v67, v3, v85, s5
	v_mul_f64 v[71:72], v[83:84], v[67:68]
	v_mul_f64 v[75:76], v[81:82], v[67:68]
	;; [unrolled: 1-line block ×3, first 2 shown]
	s_delay_alu instid0(VALU_DEP_3) | instskip(NEXT) | instid1(VALU_DEP_3)
	v_fma_f64 v[77:78], v[83:84], v[67:68], -v[71:72]
	v_fma_f64 v[118:119], v[81:82], v[67:68], -v[75:76]
	s_delay_alu instid0(VALU_DEP_3) | instskip(NEXT) | instid1(VALU_DEP_3)
	v_fma_f64 v[67:68], v[79:80], v[67:68], -v[116:117]
	v_add_f64 v[108:109], v[75:76], v[77:78]
	s_delay_alu instid0(VALU_DEP_1) | instskip(SKIP_1) | instid1(VALU_DEP_2)
	v_add_f64 v[110:111], v[108:109], -v[75:76]
	v_add_f64 v[114:115], v[71:72], v[108:109]
	v_add_f64 v[112:113], v[108:109], -v[110:111]
	v_add_f64 v[77:78], v[77:78], -v[110:111]
	s_delay_alu instid0(VALU_DEP_3) | instskip(SKIP_1) | instid1(VALU_DEP_4)
	v_ldexp_f64 v[110:111], v[114:115], -2
	v_add_f64 v[71:72], v[114:115], -v[71:72]
	v_add_f64 v[75:76], v[75:76], -v[112:113]
	v_add_f64 v[112:113], v[116:117], v[118:119]
	s_delay_alu instid0(VALU_DEP_4) | instskip(NEXT) | instid1(VALU_DEP_4)
	v_cmp_neq_f64_e64 s5, 0x7ff00000, |v[110:111]|
	v_add_f64 v[71:72], v[108:109], -v[71:72]
	s_delay_alu instid0(VALU_DEP_4) | instskip(SKIP_1) | instid1(VALU_DEP_2)
	v_add_f64 v[75:76], v[77:78], v[75:76]
	v_fract_f64_e32 v[77:78], v[110:111]
	v_add_f64 v[108:109], v[112:113], v[75:76]
	s_delay_alu instid0(VALU_DEP_2) | instskip(NEXT) | instid1(VALU_DEP_3)
	v_cndmask_b32_e64 v78, 0, v78, s5
	v_cndmask_b32_e64 v77, 0, v77, s5
	s_delay_alu instid0(VALU_DEP_1) | instskip(NEXT) | instid1(VALU_DEP_4)
	v_ldexp_f64 v[77:78], v[77:78], 2
	v_add_f64 v[110:111], v[71:72], v[108:109]
	v_add_f64 v[120:121], v[108:109], -v[112:113]
	s_delay_alu instid0(VALU_DEP_2) | instskip(NEXT) | instid1(VALU_DEP_2)
	v_add_f64 v[114:115], v[110:111], v[77:78]
	v_add_f64 v[126:127], v[108:109], -v[120:121]
	v_add_f64 v[75:76], v[75:76], -v[120:121]
	;; [unrolled: 1-line block ×3, first 2 shown]
	s_delay_alu instid0(VALU_DEP_4) | instskip(SKIP_1) | instid1(VALU_DEP_3)
	v_cmp_gt_f64_e64 s5, 0, v[114:115]
	v_add_f64 v[114:115], v[112:113], -v[116:117]
	v_add_f64 v[71:72], v[108:109], -v[71:72]
	s_delay_alu instid0(VALU_DEP_3) | instskip(NEXT) | instid1(VALU_DEP_3)
	v_cndmask_b32_e64 v18, 0, 0x40100000, s5
	v_add_f64 v[124:125], v[112:113], -v[114:115]
	v_add_f64 v[114:115], v[118:119], -v[114:115]
	;; [unrolled: 1-line block ×3, first 2 shown]
	s_delay_alu instid0(VALU_DEP_4) | instskip(NEXT) | instid1(VALU_DEP_4)
	v_add_f64 v[77:78], v[77:78], v[17:18]
	v_add_f64 v[118:119], v[116:117], -v[124:125]
	s_delay_alu instid0(VALU_DEP_3) | instskip(NEXT) | instid1(VALU_DEP_3)
	v_add_f64 v[75:76], v[75:76], v[112:113]
	v_add_f64 v[122:123], v[110:111], v[77:78]
	s_delay_alu instid0(VALU_DEP_3) | instskip(NEXT) | instid1(VALU_DEP_2)
	v_add_f64 v[114:115], v[114:115], v[118:119]
	v_cvt_i32_f64_e32 v18, v[122:123]
	s_delay_alu instid0(VALU_DEP_2) | instskip(NEXT) | instid1(VALU_DEP_2)
	v_add_f64 v[75:76], v[114:115], v[75:76]
	v_cvt_f64_i32_e32 v[120:121], v18
	s_delay_alu instid0(VALU_DEP_2) | instskip(NEXT) | instid1(VALU_DEP_2)
	v_add_f64 v[67:68], v[67:68], v[75:76]
	v_add_f64 v[77:78], v[77:78], -v[120:121]
	s_delay_alu instid0(VALU_DEP_2) | instskip(NEXT) | instid1(VALU_DEP_2)
	v_add_f64 v[67:68], v[71:72], v[67:68]
	v_add_f64 v[112:113], v[110:111], v[77:78]
	s_delay_alu instid0(VALU_DEP_1) | instskip(SKIP_1) | instid1(VALU_DEP_2)
	v_add_f64 v[75:76], v[112:113], -v[77:78]
	v_cmp_le_f64_e64 s5, 0.5, v[112:113]
	v_add_f64 v[71:72], v[110:111], -v[75:76]
	s_delay_alu instid0(VALU_DEP_2) | instskip(SKIP_1) | instid1(VALU_DEP_3)
	v_add_co_ci_u32_e64 v104, s6, 0, v18, s5
	v_cndmask_b32_e64 v18, 0, 0x3ff00000, s5
	v_add_f64 v[67:68], v[67:68], v[71:72]
	s_delay_alu instid0(VALU_DEP_2) | instskip(NEXT) | instid1(VALU_DEP_1)
	v_add_f64 v[71:72], v[112:113], -v[17:18]
	v_add_f64 v[75:76], v[71:72], v[67:68]
	s_delay_alu instid0(VALU_DEP_1) | instskip(SKIP_1) | instid1(VALU_DEP_2)
	v_mul_f64 v[77:78], v[75:76], s[20:21]
	v_add_f64 v[71:72], v[75:76], -v[71:72]
	v_fma_f64 v[108:109], v[75:76], s[20:21], -v[77:78]
	s_delay_alu instid0(VALU_DEP_2) | instskip(NEXT) | instid1(VALU_DEP_2)
	v_add_f64 v[67:68], v[67:68], -v[71:72]
	v_fma_f64 v[71:72], v[75:76], s[26:27], v[108:109]
	s_delay_alu instid0(VALU_DEP_1) | instskip(NEXT) | instid1(VALU_DEP_1)
	v_fma_f64 v[71:72], v[67:68], s[20:21], v[71:72]
	v_add_f64 v[67:68], v[77:78], v[71:72]
	s_delay_alu instid0(VALU_DEP_1) | instskip(NEXT) | instid1(VALU_DEP_1)
	v_add_f64 v[75:76], v[67:68], -v[77:78]
	v_add_f64 v[71:72], v[71:72], -v[75:76]
	s_and_not1_saveexec_b32 s5, s8
	s_cbranch_execz .LBB150_56
	s_branch .LBB150_55
.LBB150_54:                             ;   in Loop: Header=BB150_4 Depth=1
	s_and_not1_saveexec_b32 s5, s8
	s_cbranch_execz .LBB150_56
.LBB150_55:                             ;   in Loop: Header=BB150_4 Depth=1
	v_mul_f64 v[67:68], |v[3:4]|, s[28:29]
	s_mov_b32 s24, s30
	s_delay_alu instid0(VALU_DEP_1) | instskip(NEXT) | instid1(VALU_DEP_1)
	v_rndne_f64_e32 v[75:76], v[67:68]
	v_fma_f64 v[67:68], v[75:76], s[22:23], |v[3:4]|
	v_mul_f64 v[71:72], v[75:76], s[30:31]
	v_cvt_i32_f64_e32 v104, v[75:76]
	s_delay_alu instid0(VALU_DEP_3) | instskip(NEXT) | instid1(VALU_DEP_3)
	v_fma_f64 v[108:109], v[75:76], s[30:31], v[67:68]
	v_add_f64 v[77:78], v[67:68], v[71:72]
	s_delay_alu instid0(VALU_DEP_1) | instskip(NEXT) | instid1(VALU_DEP_3)
	v_add_f64 v[67:68], v[67:68], -v[77:78]
	v_add_f64 v[77:78], v[77:78], -v[108:109]
	s_delay_alu instid0(VALU_DEP_2) | instskip(SKIP_1) | instid1(VALU_DEP_2)
	v_add_f64 v[67:68], v[67:68], v[71:72]
	v_fma_f64 v[71:72], v[75:76], s[24:25], v[71:72]
	v_add_f64 v[67:68], v[77:78], v[67:68]
	s_delay_alu instid0(VALU_DEP_1) | instskip(NEXT) | instid1(VALU_DEP_1)
	v_add_f64 v[67:68], v[67:68], -v[71:72]
	v_fma_f64 v[71:72], v[75:76], s[34:35], v[67:68]
	s_delay_alu instid0(VALU_DEP_1) | instskip(NEXT) | instid1(VALU_DEP_1)
	v_add_f64 v[67:68], v[108:109], v[71:72]
	v_add_f64 v[77:78], v[67:68], -v[108:109]
	s_delay_alu instid0(VALU_DEP_1)
	v_add_f64 v[71:72], v[71:72], -v[77:78]
.LBB150_56:                             ;   in Loop: Header=BB150_4 Depth=1
	s_or_b32 exec_lo, exec_lo, s5
                                        ; implicit-def: $vgpr106
                                        ; implicit-def: $vgpr75_vgpr76
                                        ; implicit-def: $vgpr77_vgpr78
	s_and_saveexec_b32 s5, s7
	s_delay_alu instid0(SALU_CYCLE_1)
	s_xor_b32 s7, exec_lo, s5
	s_cbranch_execz .LBB150_62
; %bb.57:                               ;   in Loop: Header=BB150_4 Depth=1
	v_cmp_le_f64_e64 s5, 0x7b000000, |v[3:4]|
	s_mov_b32 s20, s22
	s_mov_b32 s27, s25
	s_delay_alu instid0(VALU_DEP_1) | instskip(SKIP_1) | instid1(VALU_DEP_1)
	v_cndmask_b32_e64 v76, v107, v86, s5
	v_cndmask_b32_e64 v75, v3, v85, s5
	v_mul_f64 v[77:78], v[83:84], v[75:76]
	v_mul_f64 v[85:86], v[81:82], v[75:76]
	;; [unrolled: 1-line block ×3, first 2 shown]
	s_delay_alu instid0(VALU_DEP_3) | instskip(NEXT) | instid1(VALU_DEP_3)
	v_fma_f64 v[83:84], v[83:84], v[75:76], -v[77:78]
	v_fma_f64 v[81:82], v[81:82], v[75:76], -v[85:86]
	s_delay_alu instid0(VALU_DEP_3) | instskip(NEXT) | instid1(VALU_DEP_3)
	v_fma_f64 v[75:76], v[79:80], v[75:76], -v[114:115]
	v_add_f64 v[106:107], v[85:86], v[83:84]
	s_delay_alu instid0(VALU_DEP_1) | instskip(SKIP_1) | instid1(VALU_DEP_2)
	v_add_f64 v[108:109], v[106:107], -v[85:86]
	v_add_f64 v[112:113], v[77:78], v[106:107]
	v_add_f64 v[110:111], v[106:107], -v[108:109]
	v_add_f64 v[83:84], v[83:84], -v[108:109]
	s_delay_alu instid0(VALU_DEP_3) | instskip(SKIP_1) | instid1(VALU_DEP_4)
	v_ldexp_f64 v[108:109], v[112:113], -2
	v_add_f64 v[77:78], v[112:113], -v[77:78]
	v_add_f64 v[85:86], v[85:86], -v[110:111]
	v_add_f64 v[110:111], v[114:115], v[81:82]
	s_delay_alu instid0(VALU_DEP_4) | instskip(NEXT) | instid1(VALU_DEP_4)
	v_cmp_neq_f64_e64 s5, 0x7ff00000, |v[108:109]|
	v_add_f64 v[77:78], v[106:107], -v[77:78]
	s_delay_alu instid0(VALU_DEP_4) | instskip(SKIP_1) | instid1(VALU_DEP_2)
	v_add_f64 v[83:84], v[83:84], v[85:86]
	v_fract_f64_e32 v[85:86], v[108:109]
	v_add_f64 v[106:107], v[110:111], v[83:84]
	s_delay_alu instid0(VALU_DEP_2) | instskip(NEXT) | instid1(VALU_DEP_3)
	v_cndmask_b32_e64 v86, 0, v86, s5
	v_cndmask_b32_e64 v85, 0, v85, s5
	s_delay_alu instid0(VALU_DEP_1) | instskip(NEXT) | instid1(VALU_DEP_4)
	v_ldexp_f64 v[85:86], v[85:86], 2
	v_add_f64 v[108:109], v[77:78], v[106:107]
	v_add_f64 v[116:117], v[106:107], -v[110:111]
	s_delay_alu instid0(VALU_DEP_2) | instskip(NEXT) | instid1(VALU_DEP_2)
	v_add_f64 v[112:113], v[108:109], v[85:86]
	v_add_f64 v[122:123], v[106:107], -v[116:117]
	v_add_f64 v[83:84], v[83:84], -v[116:117]
	;; [unrolled: 1-line block ×3, first 2 shown]
	s_delay_alu instid0(VALU_DEP_4) | instskip(SKIP_1) | instid1(VALU_DEP_3)
	v_cmp_gt_f64_e64 s5, 0, v[112:113]
	v_add_f64 v[112:113], v[110:111], -v[114:115]
	v_add_f64 v[77:78], v[106:107], -v[77:78]
	s_delay_alu instid0(VALU_DEP_3) | instskip(NEXT) | instid1(VALU_DEP_3)
	v_cndmask_b32_e64 v18, 0, 0x40100000, s5
	v_add_f64 v[120:121], v[110:111], -v[112:113]
	v_add_f64 v[81:82], v[81:82], -v[112:113]
	;; [unrolled: 1-line block ×3, first 2 shown]
	s_delay_alu instid0(VALU_DEP_4) | instskip(NEXT) | instid1(VALU_DEP_4)
	v_add_f64 v[85:86], v[85:86], v[17:18]
	v_add_f64 v[112:113], v[114:115], -v[120:121]
	s_delay_alu instid0(VALU_DEP_3) | instskip(NEXT) | instid1(VALU_DEP_3)
	v_add_f64 v[83:84], v[83:84], v[110:111]
	v_add_f64 v[118:119], v[108:109], v[85:86]
	s_delay_alu instid0(VALU_DEP_3) | instskip(NEXT) | instid1(VALU_DEP_2)
	v_add_f64 v[81:82], v[81:82], v[112:113]
	v_cvt_i32_f64_e32 v18, v[118:119]
	s_delay_alu instid0(VALU_DEP_2) | instskip(NEXT) | instid1(VALU_DEP_2)
	v_add_f64 v[79:80], v[81:82], v[83:84]
	v_cvt_f64_i32_e32 v[116:117], v18
	s_delay_alu instid0(VALU_DEP_2) | instskip(NEXT) | instid1(VALU_DEP_2)
	v_add_f64 v[75:76], v[75:76], v[79:80]
	v_add_f64 v[85:86], v[85:86], -v[116:117]
	s_delay_alu instid0(VALU_DEP_2) | instskip(NEXT) | instid1(VALU_DEP_2)
	v_add_f64 v[75:76], v[77:78], v[75:76]
	v_add_f64 v[81:82], v[108:109], v[85:86]
	s_delay_alu instid0(VALU_DEP_1) | instskip(SKIP_1) | instid1(VALU_DEP_2)
	v_add_f64 v[79:80], v[81:82], -v[85:86]
	v_cmp_le_f64_e64 s5, 0.5, v[81:82]
	v_add_f64 v[77:78], v[108:109], -v[79:80]
	s_delay_alu instid0(VALU_DEP_2) | instskip(SKIP_1) | instid1(VALU_DEP_3)
	v_add_co_ci_u32_e64 v106, s6, 0, v18, s5
	v_cndmask_b32_e64 v18, 0, 0x3ff00000, s5
	v_add_f64 v[75:76], v[75:76], v[77:78]
	s_delay_alu instid0(VALU_DEP_2) | instskip(NEXT) | instid1(VALU_DEP_1)
	v_add_f64 v[77:78], v[81:82], -v[17:18]
	v_add_f64 v[79:80], v[77:78], v[75:76]
	s_delay_alu instid0(VALU_DEP_1) | instskip(SKIP_1) | instid1(VALU_DEP_2)
	v_mul_f64 v[81:82], v[79:80], s[20:21]
	v_add_f64 v[77:78], v[79:80], -v[77:78]
	v_fma_f64 v[83:84], v[79:80], s[20:21], -v[81:82]
	s_delay_alu instid0(VALU_DEP_2) | instskip(NEXT) | instid1(VALU_DEP_2)
	v_add_f64 v[75:76], v[75:76], -v[77:78]
	v_fma_f64 v[77:78], v[79:80], s[26:27], v[83:84]
	s_delay_alu instid0(VALU_DEP_1) | instskip(NEXT) | instid1(VALU_DEP_1)
	v_fma_f64 v[77:78], v[75:76], s[20:21], v[77:78]
	v_add_f64 v[75:76], v[81:82], v[77:78]
	s_delay_alu instid0(VALU_DEP_1) | instskip(NEXT) | instid1(VALU_DEP_1)
	v_add_f64 v[79:80], v[75:76], -v[81:82]
	v_add_f64 v[77:78], v[77:78], -v[79:80]
	s_and_not1_saveexec_b32 s5, s7
	s_cbranch_execnz .LBB150_63
.LBB150_58:                             ;   in Loop: Header=BB150_4 Depth=1
	s_or_b32 exec_lo, exec_lo, s5
	s_and_saveexec_b32 s5, s4
	s_delay_alu instid0(SALU_CYCLE_1)
	s_xor_b32 s20, exec_lo, s5
	s_cbranch_execz .LBB150_64
.LBB150_59:                             ;   in Loop: Header=BB150_4 Depth=1
	v_mul_f64 v[79:80], v[13:14], s[0:1]
	v_mul_f64 v[107:108], v[27:28], v[27:28]
	s_mov_b32 s73, s51
	v_mul_f64 v[111:112], v[35:36], v[35:36]
	s_mov_b32 s75, s53
	v_mul_f64 v[117:118], v[47:48], v[47:48]
	s_mov_b32 s77, s13
	s_mov_b32 s79, s57
	s_mov_b32 s55, s13
	v_mul_f64 v[129:130], v[29:30], 0.5
	s_mov_b32 s101, s71
	s_mov_b32 s81, s59
	;; [unrolled: 1-line block ×4, first 2 shown]
	v_cmp_class_f64_e64 s6, v[23:24], 0x1f8
	v_lshlrev_b32_e32 v23, 30, v95
	s_mov_b32 s82, s38
	v_cmp_nlt_f64_e64 s9, 0x40900000, v[13:14]
	v_cmp_nlt_f64_e64 s7, s[82:83], v[13:14]
	v_cmp_ngt_f64_e64 s8, 0xc0428000, v[13:14]
	v_cmp_ngt_f64_e64 s10, 0xc090cc00, v[13:14]
	v_rndne_f64_e32 v[79:80], v[79:80]
	v_fma_f64 v[109:110], v[107:108], s[94:95], s[92:93]
	v_mul_f64 v[115:116], v[107:108], 0.5
	v_fma_f64 v[113:114], v[107:108], s[86:87], s[84:85]
	v_fma_f64 v[119:120], v[111:112], s[94:95], s[92:93]
	;; [unrolled: 1-line block ×4, first 2 shown]
	v_mul_f64 v[127:128], v[111:112], 0.5
	v_mul_f64 v[131:132], v[27:28], -v[107:108]
	v_mul_f64 v[135:136], v[117:118], 0.5
	v_fma_f64 v[137:138], v[117:118], s[86:87], s[84:85]
	v_mul_f64 v[141:142], v[35:36], -v[111:112]
	v_mul_f64 v[145:146], v[107:108], v[107:108]
	v_fma_f64 v[81:82], v[79:80], s[38:39], v[13:14]
	v_fma_f64 v[109:110], v[107:108], v[109:110], s[96:97]
	v_add_f64 v[121:122], -v[115:116], 1.0
	v_fma_f64 v[113:114], v[107:108], v[113:114], s[88:89]
	v_fma_f64 v[119:120], v[111:112], v[119:120], s[96:97]
	;; [unrolled: 1-line block ×4, first 2 shown]
	v_add_f64 v[139:140], -v[127:128], 1.0
	v_cvt_i32_f64_e32 v18, v[79:80]
	v_cmp_eq_f64_e64 s4, 0x40900000, v[79:80]
	v_fma_f64 v[81:82], v[79:80], s[40:41], v[81:82]
	v_fma_f64 v[109:110], v[107:108], v[109:110], s[98:99]
	v_add_f64 v[133:134], -v[121:122], 1.0
	v_fma_f64 v[113:114], v[107:108], v[113:114], s[100:101]
	v_fma_f64 v[119:120], v[111:112], v[119:120], s[98:99]
	;; [unrolled: 1-line block ×4, first 2 shown]
	v_add_f64 v[143:144], -v[139:140], 1.0
	v_cndmask_b32_e64 v149, v18, 0x3ff, s4
	v_fma_f64 v[83:84], v[81:82], s[64:65], s[62:63]
	v_fma_f64 v[85:86], v[81:82], s[44:45], s[42:43]
	;; [unrolled: 1-line block ×3, first 2 shown]
	v_add_f64 v[115:116], v[133:134], -v[115:116]
	v_fma_f64 v[113:114], v[107:108], v[113:114], s[90:91]
	v_fma_f64 v[133:134], v[117:118], v[137:138], s[88:89]
	v_mul_f64 v[137:138], v[39:40], 0.5
	v_fma_f64 v[119:120], v[111:112], v[119:120], s[54:55]
	v_fma_f64 v[123:124], v[117:118], v[123:124], s[54:55]
	;; [unrolled: 1-line block ×3, first 2 shown]
	v_add_f64 v[125:126], v[143:144], -v[127:128]
	v_ldexp_f64 v[127:128], 1.0, v149
	v_fma_f64 v[83:84], v[81:82], v[83:84], s[66:67]
	v_fma_f64 v[85:86], v[81:82], v[85:86], s[46:47]
	;; [unrolled: 1-line block ×3, first 2 shown]
	v_add_f64 v[129:130], -v[135:136], 1.0
	v_fma_f64 v[115:116], v[27:28], -v[29:30], v[115:116]
	v_fma_f64 v[113:114], v[107:108], v[113:114], s[102:103]
	v_fma_f64 v[133:134], v[117:118], v[133:134], s[100:101]
	;; [unrolled: 1-line block ×4, first 2 shown]
	v_fma_f64 v[125:126], v[35:36], -v[39:40], v[125:126]
	v_fma_f64 v[83:84], v[81:82], v[83:84], s[68:69]
	v_fma_f64 v[85:86], v[81:82], v[85:86], s[48:49]
	v_fma_f64 v[29:30], v[107:108], v[109:110], -v[29:30]
	v_mul_f64 v[107:108], v[53:54], 0.5
	v_mul_f64 v[109:110], v[47:48], -v[117:118]
	v_add_f64 v[147:148], -v[129:130], 1.0
	v_fma_f64 v[113:114], v[145:146], v[113:114], v[115:116]
	v_fma_f64 v[115:116], v[117:118], v[133:134], s[90:91]
	v_fma_f64 v[39:40], v[111:112], v[119:120], -v[39:40]
	v_fma_f64 v[83:84], v[81:82], v[83:84], s[70:71]
	v_fma_f64 v[85:86], v[81:82], v[85:86], s[50:51]
	;; [unrolled: 1-line block ×4, first 2 shown]
	v_add_f64 v[131:132], v[147:148], -v[135:136]
	v_mul_f64 v[123:124], v[111:112], v[111:112]
	v_add_f64 v[111:112], v[127:128], -1.0
	v_add_f64 v[113:114], v[121:122], v[113:114]
	v_fma_f64 v[115:116], v[117:118], v[115:116], s[102:103]
	v_fma_f64 v[39:40], v[141:142], s[14:15], v[39:40]
	;; [unrolled: 1-line block ×4, first 2 shown]
	v_add_f64 v[27:28], v[27:28], -v[29:30]
	v_fma_f64 v[119:120], v[47:48], -v[53:54], v[131:132]
	v_fma_f64 v[53:54], v[117:118], v[107:108], -v[53:54]
	v_and_b32_e32 v107, 1, v95
	v_fma_f64 v[79:80], v[123:124], v[79:80], v[125:126]
	v_add_f64 v[35:36], v[35:36], -v[39:40]
	s_delay_alu instid0(VALU_DEP_3) | instskip(SKIP_2) | instid1(VALU_DEP_3)
	v_cmp_eq_u32_e64 s5, 0, v107
	v_fma_f64 v[83:84], v[81:82], v[83:84], s[74:75]
	v_fma_f64 v[85:86], v[81:82], v[85:86], s[12:13]
	v_cndmask_b32_e64 v107, v113, v27, s5
	v_xor_b32_e32 v27, v23, v24
	v_cndmask_b32_e64 v39, v114, v28, s5
	v_fma_f64 v[53:54], v[109:110], s[14:15], v[53:54]
	v_add_f64 v[79:80], v[139:140], v[79:80]
	v_xor_b32_e32 v36, 0x80000000, v36
	v_fma_f64 v[83:84], v[81:82], v[83:84], s[76:77]
	v_fma_f64 v[85:86], v[81:82], v[85:86], s[56:57]
	v_add_f64 v[47:48], v[47:48], -v[53:54]
	s_delay_alu instid0(VALU_DEP_3) | instskip(NEXT) | instid1(VALU_DEP_3)
	v_fma_f64 v[83:84], v[81:82], v[83:84], s[78:79]
	v_fma_f64 v[85:86], v[81:82], v[85:86], s[58:59]
	s_delay_alu instid0(VALU_DEP_2) | instskip(NEXT) | instid1(VALU_DEP_2)
	v_fma_f64 v[83:84], v[81:82], v[83:84], s[80:81]
	v_fma_f64 v[85:86], v[81:82], v[85:86], s[60:61]
	s_delay_alu instid0(VALU_DEP_2) | instskip(NEXT) | instid1(VALU_DEP_2)
	v_fma_f64 v[83:84], v[81:82], v[83:84], 0.5
	v_fma_f64 v[29:30], v[81:82], v[85:86], 1.0
	v_mul_f64 v[85:86], v[117:118], v[117:118]
	s_delay_alu instid0(VALU_DEP_3) | instskip(NEXT) | instid1(VALU_DEP_3)
	v_mul_f64 v[83:84], v[81:82], v[83:84]
	v_fma_f64 v[29:30], v[81:82], v[29:30], 1.0
	s_delay_alu instid0(VALU_DEP_3) | instskip(NEXT) | instid1(VALU_DEP_3)
	v_fma_f64 v[23:24], v[85:86], v[115:116], v[119:120]
	v_fma_f64 v[83:84], v[81:82], v[83:84], v[81:82]
	v_and_b32_e32 v81, 0x80000000, v27
	s_delay_alu instid0(VALU_DEP_4) | instskip(NEXT) | instid1(VALU_DEP_4)
	v_ldexp_f64 v[29:30], v[29:30], v18
	v_add_f64 v[23:24], v[129:130], v[23:24]
	v_and_b32_e32 v18, 1, v96
	s_delay_alu instid0(VALU_DEP_4) | instskip(SKIP_1) | instid1(VALU_DEP_3)
	v_xor_b32_e32 v40, v39, v81
	v_cndmask_b32_e64 v39, 0, v107, s6
	v_cmp_eq_u32_e64 s5, 0, v18
	s_delay_alu instid0(VALU_DEP_3) | instskip(SKIP_2) | instid1(VALU_DEP_4)
	v_cndmask_b32_e64 v40, 0x7ff80000, v40, s6
	v_cmp_class_f64_e64 s6, v[15:16], 0x1f8
	v_lshlrev_b32_e32 v15, 30, v100
	v_cndmask_b32_e64 v18, v35, v79, s5
	s_delay_alu instid0(VALU_DEP_4) | instskip(NEXT) | instid1(VALU_DEP_3)
	v_add_f64 v[81:82], v[39:40], v[39:40]
	v_xor_b32_e32 v15, v15, v16
	s_delay_alu instid0(VALU_DEP_1) | instskip(SKIP_1) | instid1(VALU_DEP_4)
	v_and_b32_e32 v15, 0x80000000, v15
	v_fma_f64 v[83:84], v[127:128], v[83:84], v[111:112]
	v_mul_f64 v[13:14], v[81:82], v[39:40]
	v_lshlrev_b32_e32 v39, 30, v96
	s_delay_alu instid0(VALU_DEP_1) | instskip(NEXT) | instid1(VALU_DEP_4)
	v_and_b32_e32 v16, 0x80000000, v39
	v_add_f64 v[27:28], v[83:84], v[83:84]
	s_delay_alu instid0(VALU_DEP_1) | instskip(NEXT) | instid1(VALU_DEP_1)
	v_cndmask_b32_e64 v28, v84, v28, s4
	v_cndmask_b32_e64 v35, 0x7ff00000, v28, s7
	;; [unrolled: 1-line block ×3, first 2 shown]
	v_and_b32_e32 v30, 1, v100
	s_delay_alu instid0(VALU_DEP_2) | instskip(NEXT) | instid1(VALU_DEP_2)
	v_cndmask_b32_e64 v28, 0, v28, s10
	v_cmp_eq_u32_e64 s11, 0, v30
	v_cndmask_b32_e64 v30, v36, v80, s5
	v_cndmask_b32_e64 v36, 0xbff00000, v35, s8
	s_delay_alu instid0(VALU_DEP_3) | instskip(SKIP_1) | instid1(VALU_DEP_4)
	v_cndmask_b32_e64 v24, v24, v48, s11
	v_cndmask_b32_e64 v23, v23, v47, s11
	v_xor_b32_e32 v16, v30, v16
	s_delay_alu instid0(VALU_DEP_3)
	v_xor_b32_e32 v24, v24, v15
	v_cndmask_b32_e64 v15, 0, v18, s6
	v_cndmask_b32_e64 v18, v83, v27, s4
	s_and_b32 s4, s8, s7
	v_cndmask_b32_e64 v16, 0x7ff80000, v16, s6
	v_cndmask_b32_e64 v23, 0, v23, s6
	;; [unrolled: 1-line block ×4, first 2 shown]
	s_and_b32 s4, s10, s9
	s_delay_alu instid0(SALU_CYCLE_1) | instskip(NEXT) | instid1(VALU_DEP_2)
	v_cndmask_b32_e64 v27, 0, v29, s4
	v_fma_f64 v[13:14], v[35:36], v[15:16], -v[13:14]
	s_delay_alu instid0(VALU_DEP_2) | instskip(SKIP_1) | instid1(VALU_DEP_1)
	v_mul_f64 v[15:16], v[27:28], v[23:24]
	v_add_co_u32 v23, s4, s33, v19
	v_add_co_ci_u32_e64 v24, null, s104, 0, s4
	global_store_b128 v[23:24], v[13:16], off
	s_or_b32 exec_lo, exec_lo, s20
	s_and_saveexec_b32 s11, s3
	s_cbranch_execnz .LBB150_65
.LBB150_60:                             ;   in Loop: Header=BB150_4 Depth=1
	s_or_b32 exec_lo, exec_lo, s11
	s_and_saveexec_b32 s10, s2
	s_cbranch_execz .LBB150_66
.LBB150_61:                             ;   in Loop: Header=BB150_4 Depth=1
	v_mul_f64 v[9:10], v[5:6], s[0:1]
	v_mul_f64 v[23:24], v[43:44], v[43:44]
	s_mov_b32 s73, s51
	s_mov_b32 s75, s53
	v_mul_f64 v[27:28], v[57:58], v[57:58]
	v_mul_f64 v[35:36], v[69:70], v[69:70]
	s_mov_b32 s77, s13
	s_mov_b32 s79, s57
	;; [unrolled: 1-line block ×4, first 2 shown]
	v_mul_f64 v[53:54], v[49:50], 0.5
	s_mov_b32 s81, s59
	s_mov_b32 s103, s57
	;; [unrolled: 1-line block ×3, first 2 shown]
	v_cmp_class_f64_e64 s4, v[31:32], 0x1f8
	s_mov_b32 s82, s38
	v_cmp_nlt_f64_e64 s7, 0x40900000, v[5:6]
	v_cmp_nlt_f64_e64 s5, s[82:83], v[5:6]
	v_cmp_ngt_f64_e64 s6, 0xc0428000, v[5:6]
	v_cmp_ngt_f64_e64 s8, 0xc090cc00, v[5:6]
	v_rndne_f64_e32 v[9:10], v[9:10]
	v_fma_f64 v[25:26], v[23:24], s[94:95], s[92:93]
	v_fma_f64 v[29:30], v[23:24], s[86:87], s[84:85]
	v_mul_f64 v[33:34], v[23:24], 0.5
	v_fma_f64 v[37:38], v[27:28], s[94:95], s[92:93]
	v_fma_f64 v[45:46], v[35:36], s[94:95], s[92:93]
	v_fma_f64 v[47:48], v[27:28], s[86:87], s[84:85]
	v_mul_f64 v[51:52], v[27:28], 0.5
	v_mul_f64 v[59:60], v[43:44], -v[23:24]
	v_mul_f64 v[79:80], v[35:36], 0.5
	v_fma_f64 v[81:82], v[35:36], s[86:87], s[84:85]
	v_mul_f64 v[85:86], v[57:58], -v[27:28]
	v_mul_f64 v[97:98], v[23:24], v[23:24]
	v_fma_f64 v[11:12], v[9:10], s[38:39], v[5:6]
	v_fma_f64 v[25:26], v[23:24], v[25:26], s[96:97]
	;; [unrolled: 1-line block ×3, first 2 shown]
	v_add_f64 v[39:40], -v[33:34], 1.0
	v_fma_f64 v[37:38], v[27:28], v[37:38], s[96:97]
	v_fma_f64 v[45:46], v[35:36], v[45:46], s[96:97]
	;; [unrolled: 1-line block ×3, first 2 shown]
	v_add_f64 v[83:84], -v[51:52], 1.0
	v_cvt_i32_f64_e32 v18, v[9:10]
	v_cmp_eq_f64_e64 s2, 0x40900000, v[9:10]
	v_fma_f64 v[11:12], v[9:10], s[40:41], v[11:12]
	v_fma_f64 v[25:26], v[23:24], v[25:26], s[98:99]
	;; [unrolled: 1-line block ×3, first 2 shown]
	v_add_f64 v[65:66], -v[39:40], 1.0
	v_fma_f64 v[37:38], v[27:28], v[37:38], s[98:99]
	v_fma_f64 v[45:46], v[35:36], v[45:46], s[98:99]
	;; [unrolled: 1-line block ×3, first 2 shown]
	v_add_f64 v[95:96], -v[83:84], 1.0
	v_cndmask_b32_e64 v100, v18, 0x3ff, s2
	v_fma_f64 v[13:14], v[11:12], s[64:65], s[62:63]
	v_fma_f64 v[15:16], v[11:12], s[44:45], s[42:43]
	;; [unrolled: 1-line block ×4, first 2 shown]
	v_add_f64 v[33:34], v[65:66], -v[33:34]
	v_fma_f64 v[65:66], v[35:36], v[81:82], s[88:89]
	v_mul_f64 v[81:82], v[63:64], 0.5
	v_fma_f64 v[37:38], v[27:28], v[37:38], s[54:55]
	v_fma_f64 v[45:46], v[35:36], v[45:46], s[54:55]
	;; [unrolled: 1-line block ×3, first 2 shown]
	v_add_f64 v[47:48], v[95:96], -v[51:52]
	v_ldexp_f64 v[51:52], 1.0, v100
	v_fma_f64 v[13:14], v[11:12], v[13:14], s[66:67]
	v_fma_f64 v[15:16], v[11:12], v[15:16], s[46:47]
	;; [unrolled: 1-line block ×3, first 2 shown]
	v_add_f64 v[53:54], -v[79:80], 1.0
	v_fma_f64 v[29:30], v[23:24], v[29:30], s[102:103]
	v_fma_f64 v[33:34], v[43:44], -v[49:50], v[33:34]
	v_fma_f64 v[65:66], v[35:36], v[65:66], s[100:101]
	v_fma_f64 v[37:38], v[85:86], v[37:38], v[81:82]
	;; [unrolled: 1-line block ×3, first 2 shown]
	v_fma_f64 v[47:48], v[57:58], -v[63:64], v[47:48]
	v_fma_f64 v[13:14], v[11:12], v[13:14], s[68:69]
	v_fma_f64 v[15:16], v[11:12], v[15:16], s[48:49]
	v_fma_f64 v[23:24], v[23:24], v[25:26], -v[49:50]
	v_mul_f64 v[25:26], v[73:74], 0.5
	v_mul_f64 v[49:50], v[69:70], -v[35:36]
	v_add_f64 v[107:108], -v[53:54], 1.0
	v_fma_f64 v[29:30], v[97:98], v[29:30], v[33:34]
	v_fma_f64 v[33:34], v[35:36], v[65:66], s[90:91]
	;; [unrolled: 1-line block ×6, first 2 shown]
	v_add_f64 v[59:60], v[107:108], -v[79:80]
	v_mul_f64 v[45:46], v[27:28], v[27:28]
	v_fma_f64 v[27:28], v[27:28], v[37:38], -v[63:64]
	v_add_f64 v[37:38], v[51:52], -1.0
	v_add_f64 v[29:30], v[39:40], v[29:30]
	v_mul_f64 v[39:40], v[35:36], v[35:36]
	v_fma_f64 v[33:34], v[35:36], v[33:34], s[102:103]
	v_fma_f64 v[13:14], v[11:12], v[13:14], s[72:73]
	;; [unrolled: 1-line block ×3, first 2 shown]
	v_add_f64 v[23:24], v[43:44], -v[23:24]
	v_fma_f64 v[25:26], v[35:36], v[25:26], -v[73:74]
	v_fma_f64 v[43:44], v[69:70], -v[73:74], v[59:60]
	v_and_b32_e32 v35, 1, v99
	v_fma_f64 v[9:10], v[45:46], v[9:10], v[47:48]
	v_fma_f64 v[27:28], v[85:86], s[14:15], v[27:28]
	s_delay_alu instid0(VALU_DEP_3) | instskip(SKIP_2) | instid1(VALU_DEP_3)
	v_cmp_eq_u32_e64 s3, 0, v35
	v_fma_f64 v[13:14], v[11:12], v[13:14], s[74:75]
	v_fma_f64 v[15:16], v[11:12], v[15:16], s[12:13]
	v_cndmask_b32_e64 v29, v29, v23, s3
	v_cndmask_b32_e64 v30, v30, v24, s3
	v_fma_f64 v[25:26], v[49:50], s[14:15], v[25:26]
	s_delay_alu instid0(VALU_DEP_3)
	v_cndmask_b32_e64 v29, 0, v29, s4
	v_add_f64 v[9:10], v[83:84], v[9:10]
	v_add_f64 v[27:28], v[57:58], -v[27:28]
	v_fma_f64 v[13:14], v[11:12], v[13:14], s[76:77]
	v_fma_f64 v[15:16], v[11:12], v[15:16], s[56:57]
	v_add_f64 v[25:26], v[69:70], -v[25:26]
	s_delay_alu instid0(VALU_DEP_3) | instskip(NEXT) | instid1(VALU_DEP_3)
	v_fma_f64 v[13:14], v[11:12], v[13:14], s[78:79]
	v_fma_f64 v[15:16], v[11:12], v[15:16], s[58:59]
	s_delay_alu instid0(VALU_DEP_2) | instskip(NEXT) | instid1(VALU_DEP_2)
	v_fma_f64 v[13:14], v[11:12], v[13:14], s[80:81]
	v_fma_f64 v[15:16], v[11:12], v[15:16], s[60:61]
	s_delay_alu instid0(VALU_DEP_2) | instskip(NEXT) | instid1(VALU_DEP_2)
	v_fma_f64 v[13:14], v[11:12], v[13:14], 0.5
	v_fma_f64 v[15:16], v[11:12], v[15:16], 1.0
	s_delay_alu instid0(VALU_DEP_2) | instskip(NEXT) | instid1(VALU_DEP_1)
	v_mul_f64 v[13:14], v[11:12], v[13:14]
	v_fma_f64 v[13:14], v[11:12], v[13:14], v[11:12]
	s_delay_alu instid0(VALU_DEP_3) | instskip(SKIP_1) | instid1(VALU_DEP_1)
	v_fma_f64 v[11:12], v[11:12], v[15:16], 1.0
	v_lshlrev_b32_e32 v15, 30, v99
	v_xor_b32_e32 v23, v15, v32
	v_fma_f64 v[15:16], v[39:40], v[33:34], v[43:44]
	s_delay_alu instid0(VALU_DEP_2) | instskip(NEXT) | instid1(VALU_DEP_1)
	v_and_b32_e32 v31, 0x80000000, v23
	v_xor_b32_e32 v30, v30, v31
	s_delay_alu instid0(VALU_DEP_1) | instskip(SKIP_2) | instid1(VALU_DEP_3)
	v_cndmask_b32_e64 v30, 0x7ff80000, v30, s4
	v_cmp_class_f64_e64 s4, v[7:8], 0x1f8
	v_lshlrev_b32_e32 v7, 30, v105
	v_add_f64 v[31:32], v[29:30], v[29:30]
	s_delay_alu instid0(VALU_DEP_2) | instskip(NEXT) | instid1(VALU_DEP_1)
	v_xor_b32_e32 v7, v7, v8
	v_and_b32_e32 v7, 0x80000000, v7
	v_fma_f64 v[13:14], v[51:52], v[13:14], v[37:38]
	v_ldexp_f64 v[11:12], v[11:12], v18
	v_and_b32_e32 v18, 1, v101
	s_delay_alu instid0(VALU_DEP_1) | instskip(SKIP_2) | instid1(VALU_DEP_3)
	v_cmp_eq_u32_e64 s3, 0, v18
	v_add_f64 v[15:16], v[53:54], v[15:16]
	v_and_b32_e32 v18, 1, v105
	v_cndmask_b32_e64 v9, v27, v9, s3
	v_xor_b32_e32 v27, 0x80000000, v28
	s_delay_alu instid0(VALU_DEP_3) | instskip(NEXT) | instid1(VALU_DEP_2)
	v_cmp_eq_u32_e64 s9, 0, v18
	v_cndmask_b32_e64 v10, v27, v10, s3
	v_mul_f64 v[5:6], v[31:32], v[29:30]
	v_add_f64 v[23:24], v[13:14], v[13:14]
	v_cndmask_b32_e64 v12, 0x7ff00000, v12, s7
	s_delay_alu instid0(VALU_DEP_1)
	v_cndmask_b32_e64 v12, 0, v12, s8
	v_cndmask_b32_e64 v16, v16, v26, s9
	;; [unrolled: 1-line block ×4, first 2 shown]
	v_lshlrev_b32_e32 v24, 30, v101
	v_cndmask_b32_e64 v13, v13, v23, s2
	s_and_b32 s2, s6, s5
	s_delay_alu instid0(VALU_DEP_3) | instskip(NEXT) | instid1(VALU_DEP_3)
	v_cndmask_b32_e64 v14, 0x7ff00000, v14, s5
	v_and_b32_e32 v8, 0x80000000, v24
	s_delay_alu instid0(VALU_DEP_3) | instskip(SKIP_1) | instid1(SALU_CYCLE_1)
	v_cndmask_b32_e64 v13, 0, v13, s2
	s_and_b32 s2, s8, s7
	v_cndmask_b32_e64 v11, 0, v11, s2
	s_delay_alu instid0(VALU_DEP_3)
	v_xor_b32_e32 v8, v10, v8
	v_xor_b32_e32 v10, v16, v7
	v_cndmask_b32_e64 v7, 0, v9, s4
	v_cndmask_b32_e64 v9, 0, v15, s4
	v_cndmask_b32_e64 v14, 0xbff00000, v14, s6
	v_cndmask_b32_e64 v8, 0x7ff80000, v8, s4
	v_cndmask_b32_e64 v10, 0x7ff80000, v10, s4
	s_delay_alu instid0(VALU_DEP_2) | instskip(NEXT) | instid1(VALU_DEP_2)
	v_fma_f64 v[5:6], v[13:14], v[7:8], -v[5:6]
	v_mul_f64 v[7:8], v[11:12], v[9:10]
	v_add_co_u32 v9, s2, s33, v92
	s_delay_alu instid0(VALU_DEP_1)
	v_add_co_ci_u32_e64 v10, s2, s104, v90, s2
	global_store_b128 v[9:10], v[5:8], off offset:-8
	s_or_b32 exec_lo, exec_lo, s10
	s_and_saveexec_b32 s9, vcc_lo
	s_cbranch_execz .LBB150_3
	s_branch .LBB150_67
.LBB150_62:                             ;   in Loop: Header=BB150_4 Depth=1
	s_and_not1_saveexec_b32 s5, s7
	s_cbranch_execz .LBB150_58
.LBB150_63:                             ;   in Loop: Header=BB150_4 Depth=1
	v_mul_f64 v[75:76], |v[3:4]|, s[28:29]
	s_mov_b32 s24, s30
	s_delay_alu instid0(VALU_DEP_1) | instskip(NEXT) | instid1(VALU_DEP_1)
	v_rndne_f64_e32 v[79:80], v[75:76]
	v_fma_f64 v[75:76], v[79:80], s[22:23], |v[3:4]|
	v_mul_f64 v[77:78], v[79:80], s[30:31]
	v_cvt_i32_f64_e32 v106, v[79:80]
	s_delay_alu instid0(VALU_DEP_3) | instskip(NEXT) | instid1(VALU_DEP_3)
	v_fma_f64 v[83:84], v[79:80], s[30:31], v[75:76]
	v_add_f64 v[81:82], v[75:76], v[77:78]
	s_delay_alu instid0(VALU_DEP_1) | instskip(NEXT) | instid1(VALU_DEP_3)
	v_add_f64 v[75:76], v[75:76], -v[81:82]
	v_add_f64 v[81:82], v[81:82], -v[83:84]
	s_delay_alu instid0(VALU_DEP_2) | instskip(SKIP_1) | instid1(VALU_DEP_2)
	v_add_f64 v[75:76], v[75:76], v[77:78]
	v_fma_f64 v[77:78], v[79:80], s[24:25], v[77:78]
	v_add_f64 v[75:76], v[81:82], v[75:76]
	s_delay_alu instid0(VALU_DEP_1) | instskip(NEXT) | instid1(VALU_DEP_1)
	v_add_f64 v[75:76], v[75:76], -v[77:78]
	v_fma_f64 v[77:78], v[79:80], s[34:35], v[75:76]
	s_delay_alu instid0(VALU_DEP_1) | instskip(NEXT) | instid1(VALU_DEP_1)
	v_add_f64 v[75:76], v[83:84], v[77:78]
	v_add_f64 v[81:82], v[75:76], -v[83:84]
	s_delay_alu instid0(VALU_DEP_1) | instskip(SKIP_2) | instid1(SALU_CYCLE_1)
	v_add_f64 v[77:78], v[77:78], -v[81:82]
	s_or_b32 exec_lo, exec_lo, s5
	s_and_saveexec_b32 s5, s4
	s_xor_b32 s20, exec_lo, s5
	s_cbranch_execnz .LBB150_59
.LBB150_64:                             ;   in Loop: Header=BB150_4 Depth=1
	s_or_b32 exec_lo, exec_lo, s20
	s_and_saveexec_b32 s11, s3
	s_cbranch_execz .LBB150_60
.LBB150_65:                             ;   in Loop: Header=BB150_4 Depth=1
	v_mul_f64 v[13:14], v[9:10], s[0:1]
	v_mul_f64 v[29:30], v[33:34], v[33:34]
	s_mov_b32 s73, s51
	s_mov_b32 s75, s53
	v_mul_f64 v[39:40], v[45:46], v[45:46]
	v_mul_f64 v[79:80], v[59:60], v[59:60]
	s_mov_b32 s77, s13
	s_mov_b32 s79, s57
	;; [unrolled: 1-line block ×4, first 2 shown]
	v_mul_f64 v[109:110], v[37:38], 0.5
	s_mov_b32 s81, s59
	s_mov_b32 s103, s57
	;; [unrolled: 1-line block ×3, first 2 shown]
	v_cmp_class_f64_e64 s5, v[25:26], 0x1f8
	v_lshlrev_b32_e32 v25, 30, v97
	s_mov_b32 s82, s38
	v_cmp_nlt_f64_e64 s8, 0x40900000, v[9:10]
	v_cmp_nlt_f64_e64 s6, s[82:83], v[9:10]
	v_cmp_ngt_f64_e64 s7, 0xc0428000, v[9:10]
	v_cmp_ngt_f64_e64 s9, 0xc090cc00, v[9:10]
	v_rndne_f64_e32 v[13:14], v[13:14]
	v_fma_f64 v[35:36], v[29:30], s[94:95], s[92:93]
	v_fma_f64 v[47:48], v[29:30], s[86:87], s[84:85]
	v_mul_f64 v[53:54], v[29:30], 0.5
	v_fma_f64 v[81:82], v[39:40], s[94:95], s[92:93]
	v_fma_f64 v[85:86], v[79:80], s[94:95], s[92:93]
	;; [unrolled: 1-line block ×3, first 2 shown]
	v_mul_f64 v[107:108], v[39:40], 0.5
	v_mul_f64 v[111:112], v[33:34], -v[29:30]
	v_mul_f64 v[115:116], v[79:80], 0.5
	v_fma_f64 v[117:118], v[79:80], s[86:87], s[84:85]
	v_mul_f64 v[121:122], v[45:46], -v[39:40]
	v_mul_f64 v[125:126], v[29:30], v[29:30]
	v_fma_f64 v[15:16], v[13:14], s[38:39], v[9:10]
	v_fma_f64 v[35:36], v[29:30], v[35:36], s[96:97]
	;; [unrolled: 1-line block ×3, first 2 shown]
	v_add_f64 v[83:84], -v[53:54], 1.0
	v_fma_f64 v[81:82], v[39:40], v[81:82], s[96:97]
	v_fma_f64 v[85:86], v[79:80], v[85:86], s[96:97]
	;; [unrolled: 1-line block ×3, first 2 shown]
	v_add_f64 v[119:120], -v[107:108], 1.0
	v_cvt_i32_f64_e32 v18, v[13:14]
	v_cmp_eq_f64_e64 s3, 0x40900000, v[13:14]
	v_fma_f64 v[15:16], v[13:14], s[40:41], v[15:16]
	v_fma_f64 v[35:36], v[29:30], v[35:36], s[98:99]
	;; [unrolled: 1-line block ×3, first 2 shown]
	v_add_f64 v[113:114], -v[83:84], 1.0
	v_fma_f64 v[81:82], v[39:40], v[81:82], s[98:99]
	v_fma_f64 v[85:86], v[79:80], v[85:86], s[98:99]
	;; [unrolled: 1-line block ×3, first 2 shown]
	v_add_f64 v[123:124], -v[119:120], 1.0
	v_cndmask_b32_e64 v100, v18, 0x3ff, s3
	v_fma_f64 v[23:24], v[15:16], s[64:65], s[62:63]
	v_fma_f64 v[27:28], v[15:16], s[44:45], s[42:43]
	v_fma_f64 v[35:36], v[29:30], v[35:36], s[54:55]
	v_fma_f64 v[47:48], v[29:30], v[47:48], s[90:91]
	v_add_f64 v[53:54], v[113:114], -v[53:54]
	v_fma_f64 v[113:114], v[79:80], v[117:118], s[88:89]
	v_mul_f64 v[117:118], v[51:52], 0.5
	v_fma_f64 v[81:82], v[39:40], v[81:82], s[54:55]
	v_fma_f64 v[85:86], v[79:80], v[85:86], s[54:55]
	;; [unrolled: 1-line block ×3, first 2 shown]
	v_add_f64 v[95:96], v[123:124], -v[107:108]
	v_ldexp_f64 v[107:108], 1.0, v100
	v_fma_f64 v[23:24], v[15:16], v[23:24], s[66:67]
	v_fma_f64 v[27:28], v[15:16], v[27:28], s[46:47]
	;; [unrolled: 1-line block ×3, first 2 shown]
	v_add_f64 v[109:110], -v[115:116], 1.0
	v_fma_f64 v[47:48], v[29:30], v[47:48], s[102:103]
	v_fma_f64 v[53:54], v[33:34], -v[37:38], v[53:54]
	v_fma_f64 v[113:114], v[79:80], v[113:114], s[100:101]
	v_fma_f64 v[81:82], v[121:122], v[81:82], v[117:118]
	;; [unrolled: 1-line block ×3, first 2 shown]
	v_fma_f64 v[95:96], v[45:46], -v[51:52], v[95:96]
	v_fma_f64 v[23:24], v[15:16], v[23:24], s[68:69]
	v_fma_f64 v[27:28], v[15:16], v[27:28], s[48:49]
	v_fma_f64 v[29:30], v[29:30], v[35:36], -v[37:38]
	v_mul_f64 v[35:36], v[65:66], 0.5
	v_mul_f64 v[37:38], v[59:60], -v[79:80]
	v_add_f64 v[127:128], -v[109:110], 1.0
	v_fma_f64 v[47:48], v[125:126], v[47:48], v[53:54]
	v_fma_f64 v[53:54], v[79:80], v[113:114], s[90:91]
	;; [unrolled: 1-line block ×6, first 2 shown]
	v_add_f64 v[111:112], v[127:128], -v[115:116]
	v_mul_f64 v[85:86], v[39:40], v[39:40]
	v_fma_f64 v[39:40], v[39:40], v[81:82], -v[51:52]
	v_add_f64 v[51:52], v[107:108], -1.0
	v_add_f64 v[47:48], v[83:84], v[47:48]
	v_fma_f64 v[53:54], v[79:80], v[53:54], s[102:103]
	v_fma_f64 v[23:24], v[15:16], v[23:24], s[72:73]
	;; [unrolled: 1-line block ×3, first 2 shown]
	v_add_f64 v[29:30], v[33:34], -v[29:30]
	v_mul_f64 v[33:34], v[79:80], v[79:80]
	v_fma_f64 v[35:36], v[79:80], v[35:36], -v[65:66]
	v_fma_f64 v[81:82], v[59:60], -v[65:66], v[111:112]
	v_fma_f64 v[13:14], v[85:86], v[13:14], v[95:96]
	v_fma_f64 v[39:40], v[121:122], s[14:15], v[39:40]
	v_fma_f64 v[23:24], v[15:16], v[23:24], s[74:75]
	v_fma_f64 v[27:28], v[15:16], v[27:28], s[12:13]
	s_delay_alu instid0(VALU_DEP_4) | instskip(NEXT) | instid1(VALU_DEP_3)
	v_add_f64 v[13:14], v[119:120], v[13:14]
	v_fma_f64 v[23:24], v[15:16], v[23:24], s[76:77]
	s_delay_alu instid0(VALU_DEP_3) | instskip(NEXT) | instid1(VALU_DEP_2)
	v_fma_f64 v[27:28], v[15:16], v[27:28], s[56:57]
	v_fma_f64 v[23:24], v[15:16], v[23:24], s[78:79]
	s_delay_alu instid0(VALU_DEP_2) | instskip(NEXT) | instid1(VALU_DEP_2)
	v_fma_f64 v[27:28], v[15:16], v[27:28], s[58:59]
	v_fma_f64 v[23:24], v[15:16], v[23:24], s[80:81]
	s_delay_alu instid0(VALU_DEP_2) | instskip(NEXT) | instid1(VALU_DEP_2)
	v_fma_f64 v[27:28], v[15:16], v[27:28], s[60:61]
	v_fma_f64 v[23:24], v[15:16], v[23:24], 0.5
	s_delay_alu instid0(VALU_DEP_2) | instskip(NEXT) | instid1(VALU_DEP_2)
	v_fma_f64 v[27:28], v[15:16], v[27:28], 1.0
	v_mul_f64 v[23:24], v[15:16], v[23:24]
	s_delay_alu instid0(VALU_DEP_1) | instskip(NEXT) | instid1(VALU_DEP_3)
	v_fma_f64 v[23:24], v[15:16], v[23:24], v[15:16]
	v_fma_f64 v[15:16], v[15:16], v[27:28], 1.0
	v_fma_f64 v[27:28], v[37:38], s[14:15], v[35:36]
	s_delay_alu instid0(VALU_DEP_3) | instskip(SKIP_1) | instid1(VALU_DEP_3)
	v_fma_f64 v[23:24], v[107:108], v[23:24], v[51:52]
	v_and_b32_e32 v51, 1, v97
	v_add_f64 v[27:28], v[59:60], -v[27:28]
	v_ldexp_f64 v[15:16], v[15:16], v18
	v_and_b32_e32 v18, 1, v98
	s_delay_alu instid0(VALU_DEP_4) | instskip(NEXT) | instid1(VALU_DEP_1)
	v_cmp_eq_u32_e64 s4, 0, v51
	v_cndmask_b32_e64 v47, v47, v29, s4
	v_xor_b32_e32 v29, v25, v26
	v_fma_f64 v[25:26], v[33:34], v[53:54], v[81:82]
	v_cndmask_b32_e64 v36, v48, v30, s4
	v_add_f64 v[33:34], v[45:46], -v[39:40]
	v_cmp_eq_u32_e64 s4, 0, v18
	v_and_b32_e32 v35, 0x80000000, v29
	s_delay_alu instid0(VALU_DEP_1) | instskip(SKIP_1) | instid1(VALU_DEP_2)
	v_xor_b32_e32 v36, v36, v35
	v_cndmask_b32_e64 v35, 0, v47, s5
	v_cndmask_b32_e64 v36, 0x7ff80000, v36, s5
	v_cmp_class_f64_e64 s5, v[11:12], 0x1f8
	v_lshlrev_b32_e32 v11, 30, v103
	s_delay_alu instid0(VALU_DEP_3) | instskip(NEXT) | instid1(VALU_DEP_2)
	v_add_f64 v[37:38], v[35:36], v[35:36]
	v_xor_b32_e32 v11, v11, v12
	v_add_f64 v[29:30], v[23:24], v[23:24]
	s_delay_alu instid0(VALU_DEP_2) | instskip(SKIP_1) | instid1(VALU_DEP_1)
	v_and_b32_e32 v11, 0x80000000, v11
	v_cndmask_b32_e64 v16, 0x7ff00000, v16, s8
	v_cndmask_b32_e64 v16, 0, v16, s9
	v_add_f64 v[25:26], v[109:110], v[25:26]
	v_cndmask_b32_e64 v13, v33, v13, s4
	v_xor_b32_e32 v33, 0x80000000, v34
	s_delay_alu instid0(VALU_DEP_1)
	v_cndmask_b32_e64 v14, v33, v14, s4
	v_mul_f64 v[9:10], v[37:38], v[35:36]
	v_cndmask_b32_e64 v18, v24, v30, s3
	v_and_b32_e32 v24, 1, v103
	v_lshlrev_b32_e32 v30, 30, v98
	v_cndmask_b32_e64 v23, v23, v29, s3
	s_and_b32 s3, s7, s6
	v_cndmask_b32_e64 v18, 0x7ff00000, v18, s6
	v_cmp_eq_u32_e64 s10, 0, v24
	v_and_b32_e32 v12, 0x80000000, v30
	v_cndmask_b32_e64 v23, 0, v23, s3
	s_and_b32 s3, s9, s8
	s_delay_alu instid0(SALU_CYCLE_1) | instskip(NEXT) | instid1(VALU_DEP_3)
	v_cndmask_b32_e64 v15, 0, v15, s3
	v_xor_b32_e32 v12, v14, v12
	v_cndmask_b32_e64 v24, v25, v27, s10
	v_cndmask_b32_e64 v25, v26, v28, s10
	s_delay_alu instid0(VALU_DEP_3) | instskip(NEXT) | instid1(VALU_DEP_2)
	v_cndmask_b32_e64 v12, 0x7ff80000, v12, s5
	v_xor_b32_e32 v14, v25, v11
	v_cndmask_b32_e64 v11, 0, v13, s5
	v_cndmask_b32_e64 v13, 0, v24, s5
	;; [unrolled: 1-line block ×3, first 2 shown]
	s_delay_alu instid0(VALU_DEP_4) | instskip(NEXT) | instid1(VALU_DEP_2)
	v_cndmask_b32_e64 v14, 0x7ff80000, v14, s5
	v_fma_f64 v[9:10], v[23:24], v[11:12], -v[9:10]
	s_delay_alu instid0(VALU_DEP_2) | instskip(SKIP_1) | instid1(VALU_DEP_1)
	v_mul_f64 v[11:12], v[15:16], v[13:14]
	v_add_co_u32 v13, s3, s33, v91
	v_add_co_ci_u32_e64 v14, null, s104, 0, s3
	global_store_b128 v[13:14], v[9:12], off
	s_or_b32 exec_lo, exec_lo, s11
	s_and_saveexec_b32 s10, s2
	s_cbranch_execnz .LBB150_61
.LBB150_66:                             ;   in Loop: Header=BB150_4 Depth=1
	s_or_b32 exec_lo, exec_lo, s10
	s_and_saveexec_b32 s9, vcc_lo
	s_cbranch_execz .LBB150_3
.LBB150_67:                             ;   in Loop: Header=BB150_4 Depth=1
	v_mul_f64 v[5:6], v[1:2], s[0:1]
	v_mul_f64 v[13:14], v[55:56], v[55:56]
	s_mov_b32 s73, s51
	s_mov_b32 s75, s53
	v_mul_f64 v[23:24], v[67:68], v[67:68]
	s_mov_b32 s77, s13
	v_mul_f64 v[29:30], v[75:76], v[75:76]
	s_mov_b32 s79, s57
	s_mov_b32 s101, s71
	;; [unrolled: 1-line block ×3, first 2 shown]
	v_mul_f64 v[43:44], v[61:62], 0.5
	s_mov_b32 s81, s59
	s_mov_b32 s103, s57
	;; [unrolled: 1-line block ×3, first 2 shown]
	v_cmp_class_f64_e64 s3, v[41:42], 0x1f8
	s_mov_b32 s82, s38
	v_cmp_ngt_f64_e64 s5, 0xc0428000, v[1:2]
	v_cmp_nlt_f64_e64 s4, s[82:83], v[1:2]
	v_cmp_nlt_f64_e64 s6, 0x40900000, v[1:2]
	v_cmp_ngt_f64_e64 s7, 0xc090cc00, v[1:2]
	v_rndne_f64_e32 v[5:6], v[5:6]
	v_fma_f64 v[15:16], v[13:14], s[94:95], s[92:93]
	v_fma_f64 v[25:26], v[13:14], s[86:87], s[84:85]
	v_mul_f64 v[27:28], v[13:14], 0.5
	v_fma_f64 v[31:32], v[23:24], s[94:95], s[92:93]
	v_fma_f64 v[37:38], v[23:24], s[86:87], s[84:85]
	;; [unrolled: 1-line block ×3, first 2 shown]
	v_mul_f64 v[39:40], v[23:24], 0.5
	v_mul_f64 v[45:46], v[55:56], -v[13:14]
	v_mul_f64 v[49:50], v[29:30], 0.5
	v_fma_f64 v[51:52], v[29:30], s[86:87], s[84:85]
	v_mul_f64 v[57:58], v[67:68], -v[23:24]
	v_mul_f64 v[63:64], v[13:14], v[13:14]
	v_fma_f64 v[7:8], v[5:6], s[38:39], v[1:2]
	v_fma_f64 v[15:16], v[13:14], v[15:16], s[96:97]
	;; [unrolled: 1-line block ×3, first 2 shown]
	v_add_f64 v[33:34], -v[27:28], 1.0
	v_fma_f64 v[31:32], v[23:24], v[31:32], s[96:97]
	v_fma_f64 v[37:38], v[23:24], v[37:38], s[88:89]
	;; [unrolled: 1-line block ×3, first 2 shown]
	v_add_f64 v[53:54], -v[39:40], 1.0
	v_cvt_i32_f64_e32 v18, v[5:6]
	v_cmp_eq_f64_e32 vcc_lo, 0x40900000, v[5:6]
	v_fma_f64 v[7:8], v[5:6], s[40:41], v[7:8]
	v_fma_f64 v[15:16], v[13:14], v[15:16], s[98:99]
	;; [unrolled: 1-line block ×3, first 2 shown]
	v_add_f64 v[47:48], -v[33:34], 1.0
	v_fma_f64 v[31:32], v[23:24], v[31:32], s[98:99]
	v_fma_f64 v[37:38], v[23:24], v[37:38], s[100:101]
	;; [unrolled: 1-line block ×3, first 2 shown]
	v_add_f64 v[59:60], -v[53:54], 1.0
	v_cndmask_b32_e64 v69, v18, 0x3ff, vcc_lo
	v_fma_f64 v[9:10], v[7:8], s[64:65], s[62:63]
	v_fma_f64 v[11:12], v[7:8], s[44:45], s[42:43]
	v_fma_f64 v[15:16], v[13:14], v[15:16], s[54:55]
	v_fma_f64 v[25:26], v[13:14], v[25:26], s[90:91]
	v_add_f64 v[27:28], v[47:48], -v[27:28]
	v_fma_f64 v[47:48], v[29:30], v[51:52], s[88:89]
	v_mul_f64 v[51:52], v[71:72], 0.5
	v_fma_f64 v[31:32], v[23:24], v[31:32], s[54:55]
	v_fma_f64 v[35:36], v[29:30], v[35:36], s[54:55]
	;; [unrolled: 1-line block ×3, first 2 shown]
	v_add_f64 v[37:38], v[59:60], -v[39:40]
	v_ldexp_f64 v[39:40], 1.0, v69
	v_fma_f64 v[9:10], v[7:8], v[9:10], s[66:67]
	v_fma_f64 v[11:12], v[7:8], v[11:12], s[46:47]
	v_fma_f64 v[15:16], v[45:46], v[15:16], v[43:44]
	v_add_f64 v[43:44], -v[49:50], 1.0
	v_fma_f64 v[25:26], v[13:14], v[25:26], s[102:103]
	v_fma_f64 v[27:28], v[55:56], -v[61:62], v[27:28]
	v_fma_f64 v[47:48], v[29:30], v[47:48], s[100:101]
	v_fma_f64 v[31:32], v[57:58], v[31:32], v[51:52]
	;; [unrolled: 1-line block ×3, first 2 shown]
	v_fma_f64 v[37:38], v[67:68], -v[71:72], v[37:38]
	v_fma_f64 v[9:10], v[7:8], v[9:10], s[68:69]
	v_fma_f64 v[11:12], v[7:8], v[11:12], s[48:49]
	v_fma_f64 v[13:14], v[13:14], v[15:16], -v[61:62]
	v_mul_f64 v[15:16], v[77:78], 0.5
	v_mul_f64 v[61:62], v[75:76], -v[29:30]
	v_add_f64 v[65:66], -v[43:44], 1.0
	v_fma_f64 v[25:26], v[63:64], v[25:26], v[27:28]
	v_fma_f64 v[27:28], v[29:30], v[47:48], s[90:91]
	;; [unrolled: 1-line block ×6, first 2 shown]
	v_add_f64 v[45:46], v[65:66], -v[49:50]
	v_mul_f64 v[35:36], v[23:24], v[23:24]
	v_fma_f64 v[23:24], v[23:24], v[31:32], -v[71:72]
	v_add_f64 v[31:32], v[39:40], -1.0
	v_add_f64 v[25:26], v[33:34], v[25:26]
	v_mul_f64 v[33:34], v[29:30], v[29:30]
	v_fma_f64 v[27:28], v[29:30], v[27:28], s[102:103]
	v_fma_f64 v[9:10], v[7:8], v[9:10], s[72:73]
	;; [unrolled: 1-line block ×3, first 2 shown]
	v_add_f64 v[13:14], v[55:56], -v[13:14]
	v_fma_f64 v[15:16], v[29:30], v[15:16], -v[77:78]
	v_fma_f64 v[45:46], v[75:76], -v[77:78], v[45:46]
	v_and_b32_e32 v29, 1, v102
	v_fma_f64 v[5:6], v[35:36], v[5:6], v[37:38]
	v_fma_f64 v[23:24], v[57:58], s[14:15], v[23:24]
	s_delay_alu instid0(VALU_DEP_3) | instskip(SKIP_2) | instid1(VALU_DEP_3)
	v_cmp_eq_u32_e64 s2, 0, v29
	v_fma_f64 v[9:10], v[7:8], v[9:10], s[74:75]
	v_fma_f64 v[11:12], v[7:8], v[11:12], s[12:13]
	v_cndmask_b32_e64 v25, v25, v13, s2
	v_cndmask_b32_e64 v26, v26, v14, s2
	v_fma_f64 v[15:16], v[61:62], s[14:15], v[15:16]
	s_delay_alu instid0(VALU_DEP_3)
	v_cndmask_b32_e64 v25, 0, v25, s3
	v_add_f64 v[5:6], v[53:54], v[5:6]
	v_add_f64 v[23:24], v[67:68], -v[23:24]
	v_fma_f64 v[9:10], v[7:8], v[9:10], s[76:77]
	v_fma_f64 v[11:12], v[7:8], v[11:12], s[56:57]
	v_add_f64 v[15:16], v[75:76], -v[15:16]
	s_delay_alu instid0(VALU_DEP_3) | instskip(NEXT) | instid1(VALU_DEP_3)
	v_fma_f64 v[9:10], v[7:8], v[9:10], s[78:79]
	v_fma_f64 v[11:12], v[7:8], v[11:12], s[58:59]
	s_delay_alu instid0(VALU_DEP_2) | instskip(NEXT) | instid1(VALU_DEP_2)
	v_fma_f64 v[9:10], v[7:8], v[9:10], s[80:81]
	v_fma_f64 v[11:12], v[7:8], v[11:12], s[60:61]
	s_delay_alu instid0(VALU_DEP_2) | instskip(NEXT) | instid1(VALU_DEP_2)
	v_fma_f64 v[9:10], v[7:8], v[9:10], 0.5
	v_fma_f64 v[11:12], v[7:8], v[11:12], 1.0
	s_delay_alu instid0(VALU_DEP_2) | instskip(NEXT) | instid1(VALU_DEP_1)
	v_mul_f64 v[9:10], v[7:8], v[9:10]
	v_fma_f64 v[9:10], v[7:8], v[9:10], v[7:8]
	s_delay_alu instid0(VALU_DEP_3) | instskip(SKIP_1) | instid1(VALU_DEP_1)
	v_fma_f64 v[7:8], v[7:8], v[11:12], 1.0
	v_lshlrev_b32_e32 v11, 30, v102
	v_xor_b32_e32 v13, v11, v42
	v_fma_f64 v[11:12], v[33:34], v[27:28], v[45:46]
	v_fma_f64 v[9:10], v[39:40], v[9:10], v[31:32]
	s_delay_alu instid0(VALU_DEP_3) | instskip(SKIP_1) | instid1(VALU_DEP_4)
	v_and_b32_e32 v27, 0x80000000, v13
	v_ldexp_f64 v[7:8], v[7:8], v18
	v_add_f64 v[11:12], v[43:44], v[11:12]
	s_delay_alu instid0(VALU_DEP_4) | instskip(SKIP_1) | instid1(VALU_DEP_4)
	v_add_f64 v[13:14], v[9:10], v[9:10]
	v_and_b32_e32 v18, 1, v104
	v_cndmask_b32_e64 v8, 0x7ff00000, v8, s6
	s_delay_alu instid0(VALU_DEP_1) | instskip(NEXT) | instid1(VALU_DEP_4)
	v_cndmask_b32_e64 v8, 0, v8, s7
	v_dual_cndmask_b32 v9, v9, v13 :: v_dual_cndmask_b32 v10, v10, v14
	v_xor_b32_e32 v26, v26, v27
	v_cmp_eq_u32_e64 s2, 0, v18
	s_and_b32 vcc_lo, s5, s4
	s_delay_alu instid0(VALU_DEP_3) | instskip(NEXT) | instid1(VALU_DEP_3)
	v_dual_cndmask_b32 v9, 0, v9 :: v_dual_and_b32 v14, 1, v106
	v_cndmask_b32_e64 v26, 0x7ff80000, v26, s3
	v_cmp_class_f64_e64 s3, v[3:4], 0x1f8
	v_lshlrev_b32_e32 v3, 30, v106
	v_cndmask_b32_e64 v5, v23, v5, s2
	v_xor_b32_e32 v23, 0x80000000, v24
	v_add_f64 v[27:28], v[25:26], v[25:26]
	v_cmp_eq_u32_e64 s8, 0, v14
	v_xor_b32_e32 v3, v3, v4
	s_and_b32 vcc_lo, s7, s6
	v_dual_cndmask_b32 v7, 0, v7 :: v_dual_lshlrev_b32 v18, 30, v104
	v_cndmask_b32_e64 v6, v23, v6, s2
	s_delay_alu instid0(VALU_DEP_3) | instskip(SKIP_1) | instid1(VALU_DEP_4)
	v_and_b32_e32 v3, 0x80000000, v3
	v_cndmask_b32_e64 v12, v12, v16, s8
	v_and_b32_e32 v4, 0x80000000, v18
	v_cndmask_b32_e64 v10, 0x7ff00000, v10, s4
	v_cndmask_b32_e64 v11, v11, v15, s8
	s_delay_alu instid0(VALU_DEP_3) | instskip(SKIP_1) | instid1(VALU_DEP_4)
	v_xor_b32_e32 v4, v6, v4
	v_xor_b32_e32 v6, v12, v3
	v_cndmask_b32_e64 v10, 0xbff00000, v10, s5
	v_cndmask_b32_e64 v3, 0, v5, s3
	s_delay_alu instid0(VALU_DEP_4) | instskip(SKIP_3) | instid1(VALU_DEP_1)
	v_cndmask_b32_e64 v4, 0x7ff80000, v4, s3
	v_cndmask_b32_e64 v5, 0, v11, s3
	v_cndmask_b32_e64 v6, 0x7ff80000, v6, s3
	v_mul_f64 v[1:2], v[27:28], v[25:26]
	v_fma_f64 v[1:2], v[9:10], v[3:4], -v[1:2]
	s_delay_alu instid0(VALU_DEP_3)
	v_mul_f64 v[3:4], v[7:8], v[5:6]
	v_add_co_u32 v5, vcc_lo, s33, v21
	v_add_co_ci_u32_e32 v6, vcc_lo, s104, v22, vcc_lo
	global_store_b128 v[5:6], v[1:4], off offset:-8
	s_branch .LBB150_3
.LBB150_68:
	v_readlane_b32 s6, v200, 6
	v_readlane_b32 s7, v200, 7
	s_cbranch_execz .LBB150_70
	s_branch .LBB150_121
.LBB150_69:
.LBB150_70:
	v_dual_mov_b32 v16, 0 :: v_dual_lshlrev_b32 v1, 2, v0
	s_mov_b32 s33, 0
	s_mov_b32 s0, exec_lo
	s_delay_alu instid0(VALU_DEP_1) | instskip(NEXT) | instid1(VALU_DEP_1)
	v_mov_b32_e32 v2, v16
	v_cmpx_gt_i64_e64 s[6:7], v[1:2]
	s_cbranch_execz .LBB150_121
; %bb.71:
	v_readlane_b32 s0, v200, 0
	v_readlane_b32 s1, v200, 1
	v_readlane_b32 s2, v200, 2
	v_readlane_b32 s4, v200, 4
	v_lshlrev_b32_e32 v1, 6, v0
	v_readlane_b32 s3, v200, 3
	s_load_b32 s0, s[0:1], 0xd3c
	v_readlane_b32 s5, v200, 5
	v_mov_b32_e32 v19, v16
	s_mov_b32 s24, 0x54442d18
	s_mov_b32 s30, 0x6dc9c883
	;; [unrolled: 1-line block ×17, first 2 shown]
	s_waitcnt lgkmcnt(0)
	s_and_b32 s0, s0, 0xffff
	s_mov_b32 s68, 0xe0ac05b
	s_lshl_b32 s104, s0, 2
	s_add_u32 s1, s2, s4
	v_add_lshl_u32 v18, v0, s0, 2
	s_addc_u32 s2, s3, s5
	s_lshl_b32 vcc_hi, s0, 6
	v_add_co_u32 v20, s0, s1, v1
	s_delay_alu instid0(VALU_DEP_1)
	v_add_co_ci_u32_e64 v21, null, s2, 0, s0
	s_mov_b32 s70, 0x1b889c29
	s_mov_b32 s72, 0x197bcfd8
	;; [unrolled: 1-line block ×51, first 2 shown]
	s_branch .LBB150_73
.LBB150_72:                             ;   in Loop: Header=BB150_73 Depth=1
	s_or_b32 exec_lo, exec_lo, s0
	v_mul_f64 v[100:101], v[48:49], v[48:49]
	v_mul_f64 v[104:105], v[46:47], v[46:47]
	;; [unrolled: 1-line block ×5, first 2 shown]
	s_mov_b32 s103, s73
	v_mul_f64 v[110:111], v[38:39], v[38:39]
	v_mul_f64 v[118:119], v[26:27], v[26:27]
	s_mov_b32 s57, s39
	v_mul_f64 v[146:147], v[68:69], 0.5
	s_mov_b32 s59, s23
	v_mul_f64 v[168:169], v[66:67], 0.5
	v_mul_f64 v[176:177], v[24:25], v[24:25]
	v_mul_f64 v[174:175], v[72:73], 0.5
	v_mul_f64 v[178:179], v[28:29], v[28:29]
	v_mul_f64 v[180:181], v[56:57], 0.5
	v_mul_f64 v[184:185], v[50:51], 0.5
	v_mul_f64 v[186:187], v[58:59], v[58:59]
	v_mul_f64 v[198:199], v[60:61], 0.5
	s_mov_b32 s0, 0x652b82fe
	s_mov_b32 s1, 0x3ff71547
	;; [unrolled: 1-line block ×8, first 2 shown]
	v_cmp_class_f64_e64 s7, v[30:31], 0x1f8
	v_cmp_class_f64_e64 s13, v[54:55], 0x1f8
	;; [unrolled: 1-line block ×6, first 2 shown]
	s_mov_b32 s84, s40
	v_cmp_ngt_f64_e64 s16, 0xc0428000, v[8:9]
	v_cmp_nlt_f64_e64 s19, s[84:85], v[0:1]
	v_cmp_nlt_f64_e64 s17, s[84:85], v[4:5]
	v_cmp_ngt_f64_e64 s18, 0xc0428000, v[4:5]
	v_fma_f64 v[76:77], v[100:101], s[88:89], s[86:87]
	v_mul_f64 v[86:87], v[100:101], 0.5
	v_fma_f64 v[78:79], v[100:101], s[96:97], s[94:95]
	v_fma_f64 v[80:81], v[104:105], s[96:97], s[94:95]
	;; [unrolled: 1-line block ×3, first 2 shown]
	v_mul_f64 v[88:89], v[104:105], 0.5
	v_fma_f64 v[90:91], v[102:103], s[88:89], s[86:87]
	v_mul_f64 v[98:99], v[102:103], 0.5
	v_fma_f64 v[96:97], v[102:103], s[96:97], s[94:95]
	v_fma_f64 v[116:117], v[106:107], s[88:89], s[86:87]
	v_mul_f64 v[94:95], v[106:107], 0.5
	v_fma_f64 v[120:121], v[106:107], s[96:97], s[94:95]
	v_fma_f64 v[124:125], v[108:109], s[96:97], s[94:95]
	v_mul_f64 v[130:131], v[108:109], 0.5
	v_mul_f64 v[132:133], v[110:111], 0.5
	v_fma_f64 v[134:135], v[108:109], s[88:89], s[86:87]
	v_fma_f64 v[136:137], v[110:111], s[88:89], s[86:87]
	;; [unrolled: 1-line block ×3, first 2 shown]
	v_mul_f64 v[148:149], v[118:119], 0.5
	v_fma_f64 v[150:151], v[118:119], s[88:89], s[86:87]
	v_fma_f64 v[152:153], v[118:119], s[96:97], s[94:95]
	v_mul_f64 v[172:173], v[100:101], v[100:101]
	v_mul_f64 v[182:183], v[104:105], v[104:105]
	;; [unrolled: 1-line block ×3, first 2 shown]
	v_cmp_ngt_f64_e64 s20, 0xc0428000, v[0:1]
	v_fma_f64 v[92:93], v[100:101], v[76:77], s[90:91]
	v_add_f64 v[76:77], -v[86:87], 1.0
	v_fma_f64 v[112:113], v[100:101], v[78:79], s[98:99]
	v_fma_f64 v[114:115], v[104:105], v[80:81], s[98:99]
	;; [unrolled: 1-line block ×3, first 2 shown]
	v_add_f64 v[78:79], -v[88:89], 1.0
	v_fma_f64 v[90:91], v[102:103], v[90:91], s[90:91]
	v_add_f64 v[80:81], -v[98:99], 1.0
	v_fma_f64 v[96:97], v[102:103], v[96:97], s[98:99]
	v_fma_f64 v[116:117], v[106:107], v[116:117], s[90:91]
	;; [unrolled: 1-line block ×10, first 2 shown]
	v_add_f64 v[122:123], -v[76:77], 1.0
	v_fma_f64 v[112:113], v[100:101], v[112:113], s[100:101]
	v_fma_f64 v[114:115], v[104:105], v[114:115], s[100:101]
	;; [unrolled: 1-line block ×3, first 2 shown]
	v_add_f64 v[128:129], -v[78:79], 1.0
	v_add_f64 v[84:85], -v[94:95], 1.0
	v_fma_f64 v[138:139], v[102:103], v[90:91], s[102:103]
	v_add_f64 v[140:141], -v[80:81], 1.0
	v_fma_f64 v[166:167], v[102:103], v[96:97], s[100:101]
	v_mul_f64 v[96:97], v[46:47], -v[104:105]
	v_fma_f64 v[116:117], v[106:107], v[116:117], s[102:103]
	v_add_f64 v[90:91], -v[130:131], 1.0
	v_fma_f64 v[120:121], v[106:107], v[120:121], s[100:101]
	v_fma_f64 v[124:125], v[108:109], v[124:125], s[100:101]
	;; [unrolled: 1-line block ×7, first 2 shown]
	v_add_f64 v[122:123], v[122:123], -v[86:87]
	v_mul_f64 v[92:93], v[48:49], -v[100:101]
	v_fma_f64 v[112:113], v[100:101], v[112:113], s[56:57]
	v_fma_f64 v[114:115], v[104:105], v[114:115], s[56:57]
	;; [unrolled: 1-line block ×3, first 2 shown]
	v_add_f64 v[128:129], v[128:129], -v[88:89]
	v_add_f64 v[170:171], -v[84:85], 1.0
	v_add_f64 v[86:87], -v[132:133], 1.0
	v_fma_f64 v[138:139], v[102:103], v[138:139], s[92:93]
	v_add_f64 v[140:141], v[140:141], -v[98:99]
	v_add_f64 v[88:89], -v[148:149], 1.0
	v_mul_f64 v[98:99], v[52:53], -v[102:103]
	v_fma_f64 v[166:167], v[102:103], v[166:167], s[56:57]
	v_fma_f64 v[188:189], v[106:107], v[116:117], s[92:93]
	v_add_f64 v[190:191], -v[90:91], 1.0
	v_fma_f64 v[196:197], v[106:107], v[120:121], s[56:57]
	v_mul_f64 v[116:117], v[32:33], -v[108:109]
	v_fma_f64 v[124:125], v[108:109], v[124:125], s[56:57]
	v_fma_f64 v[134:135], v[108:109], v[134:135], s[92:93]
	;; [unrolled: 1-line block ×5, first 2 shown]
	v_fma_f64 v[122:123], v[48:49], -v[68:69], v[122:123]
	v_fma_f64 v[146:147], v[92:93], v[112:113], v[146:147]
	v_fma_f64 v[168:169], v[96:97], v[114:115], v[168:169]
	;; [unrolled: 1-line block ×3, first 2 shown]
	v_fma_f64 v[128:129], v[46:47], -v[66:67], v[128:129]
	v_add_f64 v[170:171], v[170:171], -v[94:95]
	v_add_f64 v[194:195], -v[86:87], 1.0
	v_mul_f64 v[112:113], v[34:35], -v[106:107]
	v_fma_f64 v[138:139], v[102:103], v[138:139], s[58:59]
	v_fma_f64 v[140:141], v[52:53], -v[72:73], v[140:141]
	v_fma_f64 v[166:167], v[98:99], v[166:167], v[174:175]
	v_fma_f64 v[174:175], v[178:179], s[96:97], s[94:95]
	v_add_f64 v[130:131], v[190:191], -v[130:131]
	v_mul_f64 v[190:191], v[178:179], 0.5
	v_fma_f64 v[134:135], v[108:109], v[134:135], s[58:59]
	v_fma_f64 v[136:137], v[110:111], v[136:137], s[58:59]
	;; [unrolled: 1-line block ×4, first 2 shown]
	v_add_f64 v[144:145], -v[88:89], 1.0
	v_mul_f64 v[172:173], v[176:177], 0.5
	v_fma_f64 v[114:115], v[100:101], v[146:147], -v[68:69]
	v_fma_f64 v[146:147], v[176:177], s[96:97], s[94:95]
	v_fma_f64 v[120:121], v[104:105], v[168:169], -v[66:67]
	v_fma_f64 v[168:169], v[176:177], s[88:89], s[86:87]
	v_fma_f64 v[66:67], v[182:183], v[126:127], v[128:129]
	v_mul_f64 v[126:127], v[106:107], v[106:107]
	v_fma_f64 v[128:129], v[178:179], s[88:89], s[86:87]
	v_fma_f64 v[182:183], v[106:107], v[188:189], s[58:59]
	v_fma_f64 v[170:171], v[34:35], -v[56:57], v[170:171]
	v_fma_f64 v[188:189], v[186:187], s[96:97], s[94:95]
	v_add_f64 v[132:133], v[194:195], -v[132:133]
	v_fma_f64 v[180:181], v[112:113], v[196:197], v[180:181]
	v_mul_f64 v[194:195], v[42:43], 0.5
	v_fma_f64 v[68:69], v[192:193], v[138:139], v[140:141]
	v_mul_f64 v[192:193], v[64:65], v[64:65]
	v_mul_f64 v[122:123], v[38:39], -v[110:111]
	v_fma_f64 v[140:141], v[116:117], v[124:125], v[184:185]
	v_mul_f64 v[104:105], v[26:27], -v[118:119]
	v_fma_f64 v[184:185], v[186:187], s[88:89], s[86:87]
	v_mul_f64 v[196:197], v[62:63], v[62:63]
	v_add_f64 v[76:77], v[76:77], v[94:95]
	v_fma_f64 v[138:139], v[110:111], v[142:143], s[56:57]
	v_add_f64 v[144:145], v[144:145], -v[148:149]
	v_fma_f64 v[148:149], v[118:119], v[150:151], s[92:93]
	v_mul_f64 v[150:151], v[186:187], 0.5
	v_add_f64 v[100:101], -v[172:173], 1.0
	v_fma_f64 v[146:147], v[176:177], v[146:147], s[98:99]
	v_fma_f64 v[142:143], v[102:103], v[166:167], -v[72:73]
	v_fma_f64 v[166:167], v[178:179], v[174:175], s[98:99]
	v_fma_f64 v[168:169], v[176:177], v[168:169], s[90:91]
	v_mul_f64 v[174:175], v[108:109], v[108:109]
	v_fma_f64 v[128:129], v[178:179], v[128:129], s[90:91]
	v_fma_f64 v[72:73], v[126:127], v[182:183], v[170:171]
	v_mul_f64 v[126:127], v[110:111], v[110:111]
	v_fma_f64 v[170:171], v[186:187], v[188:189], s[98:99]
	v_fma_f64 v[182:183], v[32:33], -v[50:51], v[130:131]
	v_add_f64 v[102:103], -v[190:191], 1.0
	v_fma_f64 v[132:133], v[38:39], -v[60:61], v[132:133]
	v_fma_f64 v[124:125], v[106:107], v[180:181], -v[56:57]
	v_mul_f64 v[180:181], v[118:119], v[118:119]
	v_mul_f64 v[188:189], v[192:193], 0.5
	v_fma_f64 v[130:131], v[108:109], v[140:141], -v[50:51]
	v_fma_f64 v[108:109], v[192:193], s[88:89], s[86:87]
	v_fma_f64 v[96:97], v[96:97], s[42:43], v[120:121]
	v_fma_f64 v[92:93], v[92:93], s[42:43], v[114:115]
	v_add_f64 v[66:67], v[78:79], v[66:67]
	v_add_f64 v[68:69], v[80:81], v[68:69]
	v_fma_f64 v[138:139], v[122:123], v[138:139], v[198:199]
	v_fma_f64 v[144:145], v[26:27], -v[42:43], v[144:145]
	v_fma_f64 v[140:141], v[118:119], v[148:149], s[58:59]
	v_add_f64 v[50:51], -v[150:151], 1.0
	v_fma_f64 v[148:149], v[104:105], v[152:153], v[194:195]
	v_add_f64 v[152:153], -v[100:101], 1.0
	v_fma_f64 v[194:195], v[176:177], v[146:147], s[100:101]
	v_fma_f64 v[166:167], v[178:179], v[166:167], s[100:101]
	;; [unrolled: 1-line block ×5, first 2 shown]
	v_add_f64 v[72:73], v[84:85], v[72:73]
	v_fma_f64 v[170:171], v[186:187], v[170:171], s[100:101]
	v_fma_f64 v[106:107], v[174:175], v[134:135], v[182:183]
	v_mul_f64 v[174:175], v[36:37], 0.5
	v_add_f64 v[182:183], -v[102:103], 1.0
	v_fma_f64 v[56:57], v[126:127], v[136:137], v[132:133]
	v_mul_f64 v[134:135], v[24:25], -v[176:177]
	v_fma_f64 v[132:133], v[186:187], v[184:185], s[90:91]
	v_mul_f64 v[126:127], v[44:45], 0.5
	v_fma_f64 v[184:185], v[192:193], v[108:109], s[90:91]
	v_add_f64 v[108:109], -v[188:189], 1.0
	v_mul_f64 v[136:137], v[28:29], -v[178:179]
	v_fma_f64 v[116:117], v[116:117], s[42:43], v[130:131]
	v_add_f64 v[48:49], v[48:49], -v[92:93]
	v_fma_f64 v[112:113], v[112:113], s[42:43], v[124:125]
	v_add_f64 v[46:47], v[46:47], -v[96:97]
	v_fma_f64 v[146:147], v[110:111], v[138:139], -v[60:61]
	v_mul_f64 v[138:139], v[58:59], -v[186:187]
	v_fma_f64 v[60:61], v[180:181], v[140:141], v[144:145]
	v_add_f64 v[144:145], -v[50:51], 1.0
	v_fma_f64 v[140:141], v[192:193], s[96:97], s[94:95]
	v_add_f64 v[152:153], v[152:153], -v[172:173]
	v_fma_f64 v[172:173], v[176:177], v[194:195], s[56:57]
	v_fma_f64 v[166:167], v[178:179], v[166:167], s[56:57]
	;; [unrolled: 1-line block ×3, first 2 shown]
	v_fma_f64 v[110:111], v[118:119], v[148:149], -v[42:43]
	v_mul_f64 v[42:43], v[70:71], 0.5
	v_fma_f64 v[128:129], v[178:179], v[128:129], s[92:93]
	v_and_b32_e32 v194, 1, v158
	v_fma_f64 v[118:119], v[186:187], v[170:171], s[56:57]
	v_lshlrev_b32_e32 v195, 30, v158
	v_add_f64 v[52:53], v[52:53], -v[98:99]
	v_add_f64 v[148:149], v[182:183], -v[190:191]
	v_mul_f64 v[182:183], v[196:197], 0.5
	v_add_f64 v[56:57], v[86:87], v[56:57]
	v_fma_f64 v[132:133], v[186:187], v[132:133], s[102:103]
	v_add_f64 v[78:79], v[90:91], v[106:107]
	v_fma_f64 v[170:171], v[192:193], v[184:185], s[102:103]
	v_add_f64 v[180:181], -v[108:109], 1.0
	v_mul_f64 v[184:185], v[178:179], v[178:179]
	v_add_f64 v[32:33], v[32:33], -v[116:117]
	v_cmp_eq_u32_e64 s14, 0, v194
	v_add_f64 v[34:35], v[34:35], -v[112:113]
	v_xor_b32_e32 v49, 0x80000000, v49
	v_fma_f64 v[122:123], v[122:123], s[42:43], v[146:147]
	v_add_f64 v[60:61], v[88:89], v[60:61]
	v_add_f64 v[144:145], v[144:145], -v[150:151]
	v_fma_f64 v[140:141], v[192:193], v[140:141], s[98:99]
	v_fma_f64 v[152:153], v[24:25], -v[36:37], v[152:153]
	v_fma_f64 v[150:151], v[134:135], v[172:173], v[174:175]
	v_fma_f64 v[172:173], v[196:197], s[96:97], s[94:95]
	;; [unrolled: 1-line block ×3, first 2 shown]
	v_mul_f64 v[166:167], v[176:177], v[176:177]
	v_fma_f64 v[168:169], v[176:177], v[168:169], s[58:59]
	v_fma_f64 v[128:129], v[178:179], v[128:129], s[58:59]
	;; [unrolled: 1-line block ×4, first 2 shown]
	v_fma_f64 v[190:191], v[28:29], -v[44:45], v[148:149]
	v_add_f64 v[42:43], -v[182:183], 1.0
	v_fma_f64 v[132:133], v[186:187], v[132:133], s[92:93]
	v_fma_f64 v[170:171], v[192:193], v[170:171], s[92:93]
	v_add_f64 v[180:181], v[180:181], -v[188:189]
	v_mul_f64 v[188:189], v[12:13], s[0:1]
	v_cndmask_b32_e64 v54, v34, v72, s14
	v_xor_b32_e32 v35, 0x80000000, v35
	s_delay_alu instid0(VALU_DEP_1)
	v_cndmask_b32_e64 v35, v35, v73, s14
	v_cmp_ngt_f64_e64 s14, 0xc0428000, v[12:13]
	v_add_f64 v[38:39], v[38:39], -v[122:123]
	v_fma_f64 v[140:141], v[192:193], v[140:141], s[100:101]
	v_fma_f64 v[148:149], v[176:177], v[150:151], -v[36:37]
	v_fma_f64 v[172:173], v[196:197], v[172:173], s[98:99]
	v_mul_f64 v[176:177], v[4:5], s[0:1]
	v_mul_f64 v[150:151], v[64:65], -v[192:193]
	v_fma_f64 v[118:119], v[166:167], v[168:169], v[152:153]
	v_mul_f64 v[152:153], v[8:9], s[0:1]
	v_fma_f64 v[168:169], v[178:179], v[126:127], -v[44:45]
	v_fma_f64 v[44:45], v[58:59], -v[70:71], v[144:145]
	v_fma_f64 v[126:127], v[196:197], s[88:89], s[86:87]
	v_fma_f64 v[174:175], v[186:187], v[174:175], -v[70:71]
	v_fma_f64 v[36:37], v[184:185], v[128:129], v[190:191]
	v_mul_f64 v[70:71], v[186:187], v[186:187]
	v_mul_f64 v[166:167], v[0:1], s[0:1]
	v_fma_f64 v[128:129], v[186:187], v[132:133], s[58:59]
	v_add_f64 v[184:185], -v[42:43], 1.0
	v_fma_f64 v[132:133], v[192:193], v[170:171], s[58:59]
	v_fma_f64 v[144:145], v[64:65], -v[82:83], v[180:181]
	v_rndne_f64_e32 v[186:187], v[188:189]
	v_mul_f64 v[170:171], v[192:193], v[192:193]
	v_mul_f64 v[180:181], v[82:83], 0.5
	s_mov_b32 s0, 0x3b39803f
	s_mov_b32 s1, 0xbc7abc9e
	v_and_b32_e32 v190, 1, v165
	v_add_f64 v[26:27], v[26:27], -v[104:105]
	v_and_b32_e32 v191, 1, v161
	v_lshlrev_b32_e32 v161, 30, v161
	s_delay_alu instid0(VALU_DEP_2) | instskip(NEXT) | instid1(VALU_DEP_2)
	v_cmp_eq_u32_e64 s8, 0, v191
	v_and_b32_e32 v161, 0x80000000, v161
	v_fma_f64 v[178:179], v[192:193], v[140:141], s[56:57]
	v_fma_f64 v[114:115], v[134:135], s[42:43], v[148:149]
	;; [unrolled: 1-line block ×3, first 2 shown]
	v_rndne_f64_e32 v[176:177], v[176:177]
	v_lshlrev_b32_e32 v148, 30, v157
	v_add_f64 v[94:95], v[100:101], v[118:119]
	v_rndne_f64_e32 v[188:189], v[152:153]
	v_fma_f64 v[124:125], v[136:137], s[42:43], v[168:169]
	v_and_b32_e32 v168, 1, v155
	v_fma_f64 v[126:127], v[196:197], v[126:127], s[90:91]
	v_fma_f64 v[134:135], v[138:139], s[42:43], v[174:175]
	v_lshlrev_b32_e32 v169, 30, v155
	v_add_f64 v[36:37], v[102:103], v[36:37]
	v_rndne_f64_e32 v[152:153], v[166:167]
	v_fma_f64 v[140:141], v[70:71], v[128:129], v[44:45]
	v_mul_f64 v[70:71], v[74:75], 0.5
	v_and_b32_e32 v174, 1, v164
	v_lshlrev_b32_e32 v164, 30, v164
	v_fma_f64 v[128:129], v[186:187], s[40:41], v[12:13]
	v_fma_f64 v[132:133], v[170:171], v[132:133], v[144:145]
	v_add_f64 v[170:171], v[184:185], -v[182:183]
	v_mul_f64 v[144:145], v[62:63], -v[196:197]
	v_and_b32_e32 v169, 0x80000000, v169
	v_and_b32_e32 v164, 0x80000000, v164
	v_xor_b32_e32 v27, 0x80000000, v27
	v_fma_f64 v[166:167], v[150:151], v[178:179], v[180:181]
	v_add_f64 v[24:25], v[24:25], -v[114:115]
	v_fma_f64 v[44:45], v[196:197], v[172:173], s[56:57]
	v_fma_f64 v[172:173], v[176:177], s[40:41], v[4:5]
	v_cvt_i32_f64_e32 v17, v[176:177]
	v_cmp_eq_f64_e32 vcc_lo, 0x40900000, v[176:177]
	v_fma_f64 v[178:179], v[188:189], s[40:41], v[8:9]
	v_add_f64 v[28:29], v[28:29], -v[124:125]
	v_fma_f64 v[182:183], v[196:197], v[126:127], s[102:103]
	v_add_f64 v[58:59], v[58:59], -v[134:135]
	v_fma_f64 v[180:181], v[152:153], s[40:41], v[0:1]
	v_cmp_eq_f64_e64 s2, 0x40900000, v[152:153]
	v_add_f64 v[50:51], v[50:51], v[140:141]
	v_fma_f64 v[128:129], v[186:187], s[0:1], v[128:129]
	v_add_f64 v[84:85], v[108:109], v[132:133]
	v_fma_f64 v[82:83], v[192:193], v[166:167], -v[82:83]
	v_fma_f64 v[166:167], v[62:63], -v[74:75], v[170:171]
	v_cvt_i32_f64_e32 v193, v[152:153]
	v_fma_f64 v[184:185], v[144:145], v[44:45], v[70:71]
	v_fma_f64 v[126:127], v[176:177], s[0:1], v[172:173]
	v_cvt_i32_f64_e32 v192, v[188:189]
	v_fma_f64 v[70:71], v[188:189], s[0:1], v[178:179]
	v_fma_f64 v[172:173], v[196:197], v[182:183], s[92:93]
	;; [unrolled: 1-line block ×3, first 2 shown]
	v_cmp_eq_f64_e64 s0, 0x40900000, v[186:187]
	v_cmp_eq_f64_e64 s1, 0x40900000, v[188:189]
	v_fma_f64 v[170:171], v[128:129], s[66:67], s[64:65]
	v_fma_f64 v[82:83], v[150:151], s[42:43], v[82:83]
	v_fma_f64 v[74:75], v[196:197], v[184:185], -v[74:75]
	v_fma_f64 v[178:179], v[126:127], s[66:67], s[64:65]
	v_mul_f64 v[184:185], v[196:197], v[196:197]
	v_fma_f64 v[180:181], v[70:71], s[66:67], s[64:65]
	v_fma_f64 v[120:121], v[70:71], s[46:47], s[44:45]
	;; [unrolled: 1-line block ×3, first 2 shown]
	v_lshlrev_b32_e32 v196, 30, v159
	v_and_b32_e32 v197, 1, v154
	v_fma_f64 v[142:143], v[44:45], s[46:47], s[44:45]
	v_fma_f64 v[182:183], v[44:45], s[66:67], s[64:65]
	s_delay_alu instid0(VALU_DEP_4) | instskip(NEXT) | instid1(VALU_DEP_4)
	v_xor_b32_e32 v175, v196, v7
	v_cmp_eq_u32_e64 s10, 0, v197
	v_fma_f64 v[170:171], v[128:129], v[170:171], s[68:69]
	s_delay_alu instid0(VALU_DEP_3)
	v_and_b32_e32 v175, 0x80000000, v175
	v_add_f64 v[64:65], v[64:65], -v[82:83]
	v_fma_f64 v[74:75], v[144:145], s[42:43], v[74:75]
	v_fma_f64 v[178:179], v[126:127], v[178:179], s[68:69]
	;; [unrolled: 1-line block ×10, first 2 shown]
	v_add_f64 v[62:63], v[62:63], -v[74:75]
	v_fma_f64 v[176:177], v[126:127], v[178:179], s[70:71]
	v_fma_f64 v[178:179], v[70:71], v[180:181], s[70:71]
	v_fma_f64 v[120:121], v[70:71], v[120:121], s[50:51]
	v_add_f64 v[42:43], v[42:43], v[166:167]
	v_fma_f64 v[172:173], v[128:129], v[172:173], s[48:49]
	v_fma_f64 v[142:143], v[44:45], v[142:143], s[50:51]
	;; [unrolled: 1-line block ×4, first 2 shown]
	v_and_b32_e32 v185, 1, v159
	v_cndmask_b32_e64 v159, v17, 0x3ff, vcc_lo
	v_fma_f64 v[170:171], v[128:129], v[170:171], s[72:73]
	s_delay_alu instid0(VALU_DEP_2)
	v_ldexp_f64 v[152:153], 1.0, v159
	v_cndmask_b32_e64 v159, v193, 0x3ff, s2
	v_fma_f64 v[176:177], v[126:127], v[176:177], s[72:73]
	v_fma_f64 v[178:179], v[70:71], v[178:179], s[72:73]
	;; [unrolled: 1-line block ×8, first 2 shown]
	v_add_f64 v[92:93], v[152:153], -1.0
	v_fma_f64 v[176:177], v[126:127], v[176:177], s[74:75]
	v_fma_f64 v[178:179], v[70:71], v[178:179], s[74:75]
	;; [unrolled: 1-line block ×31, first 2 shown]
	v_and_b32_e32 v182, 1, v162
	v_lshlrev_b32_e32 v162, 30, v162
	v_fma_f64 v[146:147], v[128:129], v[170:171], s[82:83]
	s_delay_alu instid0(VALU_DEP_3) | instskip(NEXT) | instid1(VALU_DEP_3)
	v_cmp_eq_u32_e64 s3, 0, v182
	v_xor_b32_e32 v162, v162, v15
	s_delay_alu instid0(VALU_DEP_1)
	v_and_b32_e32 v162, 0x80000000, v162
	v_fma_f64 v[170:171], v[126:127], v[176:177], s[82:83]
	v_fma_f64 v[176:177], v[70:71], v[178:179], s[82:83]
	v_fma_f64 v[120:121], v[70:71], v[120:121], s[62:63]
	v_fma_f64 v[136:137], v[128:129], v[172:173], s[60:61]
	v_and_b32_e32 v172, 1, v156
	v_lshlrev_b32_e32 v173, 30, v156
	v_fma_f64 v[178:179], v[44:45], v[180:181], s[82:83]
	v_cvt_i32_f64_e32 v180, v[186:187]
	v_fma_f64 v[130:131], v[126:127], v[130:131], s[60:61]
	v_and_b32_e32 v181, 1, v163
	v_fma_f64 v[142:143], v[128:129], v[146:147], 0.5
	v_lshlrev_b32_e32 v156, 30, v163
	v_lshlrev_b32_e32 v163, 30, v165
	v_xor_b32_e32 v165, v148, v31
	v_fma_f64 v[138:139], v[44:45], v[138:139], s[62:63]
	v_cmp_eq_u32_e64 s12, 0, v181
	v_xor_b32_e32 v173, v173, v11
	v_xor_b32_e32 v163, v163, v3
	v_and_b32_e32 v165, 0x80000000, v165
	s_delay_alu instid0(VALU_DEP_4) | instskip(NEXT) | instid1(VALU_DEP_4)
	v_cndmask_b32_e64 v50, v50, v58, s12
	v_and_b32_e32 v173, 0x80000000, v173
	v_fma_f64 v[146:147], v[126:127], v[170:171], 0.5
	v_xor_b32_e32 v171, v156, v55
	v_fma_f64 v[148:149], v[70:71], v[176:177], 0.5
	v_fma_f64 v[88:89], v[70:71], v[120:121], 1.0
	v_and_b32_e32 v176, 0x80000000, v195
	s_delay_alu instid0(VALU_DEP_4)
	v_and_b32_e32 v171, 0x80000000, v171
	v_fma_f64 v[136:137], v[128:129], v[136:137], s[62:63]
	v_cndmask_b32_e64 v158, v180, 0x3ff, s0
	v_fma_f64 v[130:131], v[126:127], v[130:131], s[62:63]
	v_mul_f64 v[110:111], v[128:129], v[142:143]
	v_fma_f64 v[98:99], v[44:45], v[138:139], 1.0
	v_mul_f64 v[142:143], v[126:127], v[146:147]
	v_mul_f64 v[144:145], v[70:71], v[148:149]
	v_and_b32_e32 v148, 0x80000000, v163
	v_fma_f64 v[80:81], v[128:129], v[136:137], 1.0
	v_fma_f64 v[86:87], v[126:127], v[130:131], 1.0
	v_fma_f64 v[74:75], v[128:129], v[110:111], v[128:129]
	v_fma_f64 v[82:83], v[126:127], v[142:143], v[126:127]
	v_fma_f64 v[102:103], v[70:71], v[144:145], v[70:71]
	v_fma_f64 v[6:7], v[128:129], v[80:81], 1.0
	v_fma_f64 v[14:15], v[126:127], v[86:87], 1.0
	s_delay_alu instid0(VALU_DEP_4)
	v_fma_f64 v[30:31], v[152:153], v[82:83], v[92:93]
	v_and_b32_e32 v183, 1, v157
	v_lshlrev_b32_e32 v157, 30, v154
	v_fma_f64 v[154:155], v[44:45], v[178:179], 0.5
	v_and_b32_e32 v184, 1, v160
	v_lshlrev_b32_e32 v160, 30, v160
	v_cmp_eq_u32_e64 s6, 0, v183
	v_xor_b32_e32 v170, v157, v23
	v_ldexp_f64 v[156:157], 1.0, v158
	v_cndmask_b32_e64 v158, v192, 0x3ff, s1
	v_cmp_eq_u32_e64 s4, 0, v184
	v_xor_b32_e32 v160, v160, v41
	v_cndmask_b32_e64 v41, v48, v76, s8
	v_cndmask_b32_e64 v48, v94, v24, s10
	v_ldexp_f64 v[150:151], 1.0, v158
	v_ldexp_f64 v[158:159], 1.0, v159
	v_cndmask_b32_e64 v34, v67, v47, s4
	v_cndmask_b32_e64 v47, v68, v52, s3
	;; [unrolled: 1-line block ×3, first 2 shown]
	v_cmp_eq_u32_e64 s3, 0, v185
	v_cndmask_b32_e64 v46, v66, v46, s4
	v_cmp_eq_u32_e64 s4, 0, v172
	v_fma_f64 v[22:23], v[70:71], v[88:89], 1.0
	v_cndmask_b32_e64 v40, v78, v32, s6
	v_cndmask_b32_e64 v58, v56, v38, s3
	;; [unrolled: 1-line block ×3, first 2 shown]
	v_cmp_eq_u32_e64 s3, 0, v190
	v_cndmask_b32_e64 v38, v95, v25, s10
	v_fma_f64 v[24:25], v[44:45], v[98:99], 1.0
	v_cndmask_b32_e64 v66, v36, v28, s4
	v_cndmask_b32_e64 v53, v79, v33, s6
	;; [unrolled: 1-line block ×3, first 2 shown]
	v_and_b32_e32 v170, 0x80000000, v170
	v_and_b32_e32 v160, 0x80000000, v160
	v_cndmask_b32_e64 v57, v49, v77, s8
	v_ldexp_f64 v[14:15], v[14:15], v17
	v_xor_b32_e32 v17, v52, v162
	v_ldexp_f64 v[6:7], v[6:7], v180
	v_cmp_ngt_f64_e64 s6, 0xc090cc00, v[12:13]
	v_cmp_ngt_f64_e64 s8, 0xc090cc00, v[4:5]
	;; [unrolled: 1-line block ×3, first 2 shown]
	v_mul_f64 v[146:147], v[44:45], v[154:155]
	v_add_f64 v[90:91], v[156:157], -1.0
	v_add_f64 v[96:97], v[150:151], -1.0
	;; [unrolled: 1-line block ×3, first 2 shown]
	v_ldexp_f64 v[22:23], v[22:23], v192
	v_ldexp_f64 v[24:25], v[24:25], v193
	v_fma_f64 v[104:105], v[44:45], v[146:147], v[44:45]
	v_cndmask_b32_e64 v44, v51, v59, s12
	v_cndmask_b32_e64 v51, v85, v65, s3
	v_cmp_eq_u32_e64 s3, 0, v168
	v_cndmask_b32_e64 v45, v37, v29, s4
	v_fma_f64 v[28:29], v[156:157], v[74:75], v[90:91]
	v_cmp_eq_u32_e64 s4, 0, v174
	v_xor_b32_e32 v59, v34, v160
	v_cndmask_b32_e64 v55, v26, v60, s3
	v_cndmask_b32_e64 v27, v27, v61, s3
	v_cmp_class_f64_e64 s3, v[10:11], 0x1f8
	v_fma_f64 v[32:33], v[150:151], v[102:103], v[96:97]
	v_xor_b32_e32 v26, 0x80000000, v63
	v_xor_b32_e32 v60, v38, v170
	;; [unrolled: 1-line block ×4, first 2 shown]
	v_cndmask_b32_e64 v56, v62, v42, s4
	v_cndmask_b32_e64 v43, v26, v43, s4
	v_xor_b32_e32 v62, v44, v171
	v_cndmask_b32_e64 v34, 0, v48, s11
	v_xor_b32_e32 v68, v45, v173
	v_xor_b32_e32 v45, v35, v176
	v_cndmask_b32_e64 v35, 0x7ff80000, v60, s11
	v_cndmask_b32_e64 v38, 0, v40, s7
	v_xor_b32_e32 v65, v39, v175
	v_cndmask_b32_e64 v39, 0x7ff80000, v61, s7
	v_cndmask_b32_e64 v26, 0, v46, s5
	;; [unrolled: 1-line block ×3, first 2 shown]
	v_cmp_class_f64_e64 s4, v[2:3], 0x1f8
	v_xor_b32_e32 v70, v27, v169
	v_xor_b32_e32 v71, v43, v164
	v_cndmask_b32_e64 v27, 0x7ff80000, v59, s5
	v_cndmask_b32_e64 v2, 0, v47, s9
	;; [unrolled: 1-line block ×4, first 2 shown]
	v_cmp_nlt_f64_e64 s9, 0x40900000, v[8:9]
	v_cmp_nlt_f64_e64 s11, 0x40900000, v[0:1]
	v_cndmask_b32_e64 v40, 0, v50, s13
	v_fma_f64 v[36:37], v[158:159], v[104:105], v[100:101]
	v_cndmask_b32_e64 v44, 0, v54, s15
	v_xor_b32_e32 v69, v51, v148
	v_add_f64 v[50:51], v[30:31], v[30:31]
	v_cndmask_b32_e64 v41, 0x7ff80000, v62, s13
	v_add_f64 v[48:49], v[28:29], v[28:29]
	v_cndmask_b32_e64 v10, 0, v58, s15
	v_add_f64 v[57:58], v[34:35], v[34:35]
	v_add_f64 v[59:60], v[38:39], v[38:39]
	;; [unrolled: 1-line block ×3, first 2 shown]
	v_cndmask_b32_e64 v46, 0, v55, s3
	v_add_f64 v[52:53], v[32:33], v[32:33]
	v_cmp_nlt_f64_e64 s13, s[84:85], v[12:13]
	v_add_f64 v[63:64], v[40:41], v[40:41]
	v_cmp_nlt_f64_e64 s5, 0x40900000, v[12:13]
	v_cmp_nlt_f64_e64 s7, 0x40900000, v[4:5]
	v_cndmask_b32_e64 v11, 0x7ff80000, v65, s15
	v_cndmask_b32_e64 v45, 0x7ff80000, v45, s15
	v_cmp_nlt_f64_e64 s15, s[84:85], v[8:9]
	v_cmp_ngt_f64_e64 s12, 0xc090cc00, v[0:1]
	v_cndmask_b32_e64 v65, 0, v66, s3
	v_cndmask_b32_e64 v66, 0x7ff80000, v68, s3
	;; [unrolled: 1-line block ×8, first 2 shown]
	v_add_f64 v[54:55], v[36:37], v[36:37]
	v_cndmask_b32_e64 v25, v29, v49, s0
	v_cndmask_b32_e32 v29, v31, v51, vcc_lo
	v_mul_f64 v[4:5], v[57:58], v[34:35]
	v_mul_f64 v[12:13], v[59:60], v[38:39]
	v_cndmask_b32_e64 v57, 0x7ff80000, v71, s4
	v_cndmask_b32_e64 v31, v33, v53, s1
	;; [unrolled: 1-line block ×5, first 2 shown]
	s_and_b32 s3, s6, s5
	s_delay_alu instid0(SALU_CYCLE_1)
	v_cndmask_b32_e64 v6, 0, v6, s3
	s_and_b32 s3, s8, s7
	v_cndmask_b32_e64 v7, 0, v7, s6
	v_cndmask_b32_e64 v9, 0, v15, s8
	v_cndmask_b32_e64 v8, 0, v14, s3
	s_and_b32 s3, s10, s9
	v_cndmask_b32_e64 v15, 0, v17, s10
	v_cndmask_b32_e64 v14, 0, v22, s3
	v_mul_f64 v[2:3], v[6:7], v[2:3]
	v_mul_f64 v[6:7], v[8:9], v[10:11]
	v_cndmask_b32_e64 v8, v28, v48, s0
	v_cndmask_b32_e64 v31, 0x7ff00000, v31, s15
	v_mul_f64 v[10:11], v[14:15], v[65:66]
	v_cndmask_b32_e64 v15, v32, v52, s1
	v_cndmask_b32_e32 v14, v30, v50, vcc_lo
	s_and_b32 vcc_lo, s14, s13
	v_cndmask_b32_e64 v28, 0xbff00000, v29, s18
	v_cndmask_b32_e32 v29, 0, v8, vcc_lo
	s_and_b32 vcc_lo, s16, s15
	s_and_b32 s3, s12, s11
	v_cndmask_b32_e64 v33, v37, v55, s2
	v_cndmask_b32_e64 v37, 0x7ff00000, v25, s13
	v_mul_f64 v[25:26], v[61:62], v[26:27]
	v_cndmask_b32_e64 v17, v36, v54, s2
	v_cndmask_b32_e32 v8, 0, v15, vcc_lo
	v_cndmask_b32_e64 v49, 0x7ff00000, v33, s19
	v_mul_f64 v[33:34], v[63:64], v[40:41]
	s_and_b32 vcc_lo, s18, s17
	v_cndmask_b32_e64 v9, 0xbff00000, v31, s16
	v_cndmask_b32_e32 v27, 0, v14, vcc_lo
	s_and_b32 vcc_lo, s20, s19
	v_cndmask_b32_e64 v23, 0, v23, s12
	v_cndmask_b32_e64 v22, 0, v24, s3
	;; [unrolled: 1-line block ×4, first 2 shown]
	v_cndmask_b32_e32 v31, 0, v17, vcc_lo
	v_fma_f64 v[8:9], v[8:9], v[46:47], -v[4:5]
	v_fma_f64 v[4:5], v[27:28], v[44:45], -v[12:13]
	v_mul_f64 v[14:15], v[22:23], v[0:1]
	v_readlane_b32 s0, v200, 6
	v_readlane_b32 s1, v200, 7
	s_delay_alu instid0(VALU_DEP_1) | instskip(SKIP_2) | instid1(VALU_DEP_1)
	v_cmp_le_i64_e32 vcc_lo, s[0:1], v[18:19]
	v_cmp_lt_u64_e64 s0, 0xffff, v[18:19]
	v_add_co_u32 v18, s1, v18, s104
	v_add_co_ci_u32_e64 v19, s1, 0, v19, s1
	s_delay_alu instid0(VALU_DEP_3) | instskip(NEXT) | instid1(SALU_CYCLE_1)
	s_or_b32 s0, vcc_lo, s0
	s_and_b32 s0, exec_lo, s0
	s_delay_alu instid0(SALU_CYCLE_1)
	s_or_b32 s33, s0, s33
	v_fma_f64 v[0:1], v[29:30], v[42:43], -v[25:26]
	v_fma_f64 v[12:13], v[31:32], v[56:57], -v[33:34]
	s_clause 0x3
	global_store_b128 v[20:21], v[8:11], off
	global_store_b128 v[20:21], v[4:7], off offset:16
	global_store_b128 v[20:21], v[0:3], off offset:32
	;; [unrolled: 1-line block ×3, first 2 shown]
	v_add_co_u32 v20, vcc_lo, v20, vcc_hi
	v_add_co_ci_u32_e32 v21, vcc_lo, 0, v21, vcc_lo
	s_and_not1_b32 exec_lo, exec_lo, s33
	s_cbranch_execz .LBB150_121
.LBB150_73:                             ; =>This Inner Loop Header: Depth=1
	s_clause 0x3
	global_load_b128 v[8:11], v[20:21], off
	global_load_b128 v[4:7], v[20:21], off offset:16
	global_load_b128 v[0:3], v[20:21], off offset:48
	;; [unrolled: 1-line block ×3, first 2 shown]
	s_mov_b32 s1, exec_lo
                                        ; implicit-def: $vgpr154
                                        ; implicit-def: $vgpr24_vgpr25
                                        ; implicit-def: $vgpr36_vgpr37
	s_waitcnt vmcnt(3)
	v_mul_f64 v[22:23], v[10:11], 0.5
	s_delay_alu instid0(VALU_DEP_1)
	v_cmpx_ngt_f64_e64 0x41d00000, |v[22:23]|
	s_xor_b32 s1, exec_lo, s1
	s_cbranch_execz .LBB150_75
; %bb.74:                               ;   in Loop: Header=BB150_73 Depth=1
	v_ldexp_f64 v[24:25], |v[22:23]|, 0xffffff80
	v_cmp_le_f64_e64 vcc_lo, 0x7b000000, |v[22:23]|
	v_trig_preop_f64 v[26:27], |v[22:23]|, 0
	v_and_b32_e32 v17, 0x7fffffff, v23
	v_trig_preop_f64 v[28:29], |v[22:23]|, 1
	v_trig_preop_f64 v[38:39], |v[22:23]|, 2
	s_mov_b32 s20, s24
	s_mov_b32 s29, s27
	v_dual_cndmask_b32 v24, v22, v24 :: v_dual_cndmask_b32 v25, v17, v25
	s_delay_alu instid0(VALU_DEP_1) | instskip(NEXT) | instid1(VALU_DEP_4)
	v_mul_f64 v[30:31], v[26:27], v[24:25]
	v_mul_f64 v[32:33], v[28:29], v[24:25]
	s_delay_alu instid0(VALU_DEP_2) | instskip(NEXT) | instid1(VALU_DEP_2)
	v_fma_f64 v[26:27], v[26:27], v[24:25], -v[30:31]
	v_fma_f64 v[28:29], v[28:29], v[24:25], -v[32:33]
	s_delay_alu instid0(VALU_DEP_2) | instskip(NEXT) | instid1(VALU_DEP_1)
	v_add_f64 v[34:35], v[32:33], v[26:27]
	v_add_f64 v[36:37], v[34:35], -v[32:33]
	v_add_f64 v[42:43], v[30:31], v[34:35]
	s_delay_alu instid0(VALU_DEP_2) | instskip(SKIP_1) | instid1(VALU_DEP_3)
	v_add_f64 v[40:41], v[34:35], -v[36:37]
	v_add_f64 v[26:27], v[26:27], -v[36:37]
	v_ldexp_f64 v[36:37], v[42:43], -2
	v_add_f64 v[30:31], v[42:43], -v[30:31]
	s_delay_alu instid0(VALU_DEP_4) | instskip(NEXT) | instid1(VALU_DEP_3)
	v_add_f64 v[32:33], v[32:33], -v[40:41]
	v_cmp_neq_f64_e64 vcc_lo, 0x7ff00000, |v[36:37]|
	s_delay_alu instid0(VALU_DEP_3) | instskip(NEXT) | instid1(VALU_DEP_3)
	v_add_f64 v[30:31], v[34:35], -v[30:31]
	v_add_f64 v[26:27], v[26:27], v[32:33]
	v_fract_f64_e32 v[32:33], v[36:37]
	s_delay_alu instid0(VALU_DEP_1) | instskip(SKIP_1) | instid1(VALU_DEP_3)
	v_cndmask_b32_e32 v32, 0, v32, vcc_lo
	v_mul_f64 v[44:45], v[38:39], v[24:25]
	v_cndmask_b32_e32 v33, 0, v33, vcc_lo
	s_delay_alu instid0(VALU_DEP_1) | instskip(NEXT) | instid1(VALU_DEP_3)
	v_ldexp_f64 v[32:33], v[32:33], 2
	v_add_f64 v[40:41], v[44:45], v[28:29]
	v_fma_f64 v[24:25], v[38:39], v[24:25], -v[44:45]
	s_delay_alu instid0(VALU_DEP_2) | instskip(NEXT) | instid1(VALU_DEP_1)
	v_add_f64 v[34:35], v[40:41], v[26:27]
	v_add_f64 v[36:37], v[30:31], v[34:35]
	v_add_f64 v[46:47], v[34:35], -v[40:41]
	s_delay_alu instid0(VALU_DEP_2) | instskip(NEXT) | instid1(VALU_DEP_2)
	v_add_f64 v[42:43], v[36:37], v[32:33]
	v_add_f64 v[52:53], v[34:35], -v[46:47]
	v_add_f64 v[26:27], v[26:27], -v[46:47]
	;; [unrolled: 1-line block ×3, first 2 shown]
	s_delay_alu instid0(VALU_DEP_4) | instskip(SKIP_1) | instid1(VALU_DEP_3)
	v_cmp_gt_f64_e32 vcc_lo, 0, v[42:43]
	v_add_f64 v[42:43], v[40:41], -v[44:45]
	v_add_f64 v[30:31], v[34:35], -v[30:31]
	v_cndmask_b32_e64 v17, 0, 0x40100000, vcc_lo
	s_delay_alu instid0(VALU_DEP_3) | instskip(SKIP_2) | instid1(VALU_DEP_4)
	v_add_f64 v[50:51], v[40:41], -v[42:43]
	v_add_f64 v[28:29], v[28:29], -v[42:43]
	;; [unrolled: 1-line block ×3, first 2 shown]
	v_add_f64 v[32:33], v[32:33], v[16:17]
	s_delay_alu instid0(VALU_DEP_4) | instskip(NEXT) | instid1(VALU_DEP_3)
	v_add_f64 v[42:43], v[44:45], -v[50:51]
	v_add_f64 v[26:27], v[26:27], v[40:41]
	s_delay_alu instid0(VALU_DEP_3) | instskip(NEXT) | instid1(VALU_DEP_3)
	v_add_f64 v[48:49], v[36:37], v[32:33]
	v_add_f64 v[28:29], v[28:29], v[42:43]
	s_delay_alu instid0(VALU_DEP_2) | instskip(NEXT) | instid1(VALU_DEP_2)
	v_cvt_i32_f64_e32 v17, v[48:49]
	v_add_f64 v[26:27], v[28:29], v[26:27]
	s_delay_alu instid0(VALU_DEP_2) | instskip(NEXT) | instid1(VALU_DEP_2)
	v_cvt_f64_i32_e32 v[46:47], v17
	v_add_f64 v[24:25], v[24:25], v[26:27]
	s_delay_alu instid0(VALU_DEP_2) | instskip(NEXT) | instid1(VALU_DEP_2)
	v_add_f64 v[32:33], v[32:33], -v[46:47]
	v_add_f64 v[24:25], v[30:31], v[24:25]
	s_delay_alu instid0(VALU_DEP_2) | instskip(NEXT) | instid1(VALU_DEP_1)
	v_add_f64 v[28:29], v[36:37], v[32:33]
	v_add_f64 v[26:27], v[28:29], -v[32:33]
	v_cmp_le_f64_e32 vcc_lo, 0.5, v[28:29]
	s_delay_alu instid0(VALU_DEP_2) | instskip(SKIP_2) | instid1(VALU_DEP_3)
	v_add_f64 v[26:27], v[36:37], -v[26:27]
	v_add_co_ci_u32_e64 v154, s0, 0, v17, vcc_lo
	v_cndmask_b32_e64 v17, 0, 0x3ff00000, vcc_lo
	v_add_f64 v[24:25], v[24:25], v[26:27]
	s_delay_alu instid0(VALU_DEP_2) | instskip(NEXT) | instid1(VALU_DEP_1)
	v_add_f64 v[26:27], v[28:29], -v[16:17]
	v_add_f64 v[28:29], v[26:27], v[24:25]
	s_delay_alu instid0(VALU_DEP_1) | instskip(SKIP_1) | instid1(VALU_DEP_2)
	v_mul_f64 v[30:31], v[28:29], s[20:21]
	v_add_f64 v[26:27], v[28:29], -v[26:27]
	v_fma_f64 v[32:33], v[28:29], s[20:21], -v[30:31]
	s_delay_alu instid0(VALU_DEP_2) | instskip(NEXT) | instid1(VALU_DEP_2)
	v_add_f64 v[24:25], v[24:25], -v[26:27]
	v_fma_f64 v[26:27], v[28:29], s[28:29], v[32:33]
	s_delay_alu instid0(VALU_DEP_1) | instskip(NEXT) | instid1(VALU_DEP_1)
	v_fma_f64 v[26:27], v[24:25], s[20:21], v[26:27]
	v_add_f64 v[24:25], v[30:31], v[26:27]
	s_delay_alu instid0(VALU_DEP_1) | instskip(NEXT) | instid1(VALU_DEP_1)
	v_add_f64 v[28:29], v[24:25], -v[30:31]
	v_add_f64 v[36:37], v[26:27], -v[28:29]
.LBB150_75:                             ;   in Loop: Header=BB150_73 Depth=1
	s_and_not1_saveexec_b32 s0, s1
	s_cbranch_execz .LBB150_77
; %bb.76:                               ;   in Loop: Header=BB150_73 Depth=1
	v_mul_f64 v[24:25], |v[22:23]|, s[30:31]
	s_mov_b32 s26, s34
	s_delay_alu instid0(VALU_DEP_1) | instskip(NEXT) | instid1(VALU_DEP_1)
	v_rndne_f64_e32 v[26:27], v[24:25]
	v_fma_f64 v[24:25], v[26:27], s[24:25], |v[22:23]|
	v_mul_f64 v[28:29], v[26:27], s[34:35]
	v_cvt_i32_f64_e32 v154, v[26:27]
	s_delay_alu instid0(VALU_DEP_3) | instskip(NEXT) | instid1(VALU_DEP_3)
	v_fma_f64 v[32:33], v[26:27], s[34:35], v[24:25]
	v_add_f64 v[30:31], v[24:25], v[28:29]
	s_delay_alu instid0(VALU_DEP_1) | instskip(NEXT) | instid1(VALU_DEP_3)
	v_add_f64 v[24:25], v[24:25], -v[30:31]
	v_add_f64 v[30:31], v[30:31], -v[32:33]
	s_delay_alu instid0(VALU_DEP_2) | instskip(SKIP_1) | instid1(VALU_DEP_2)
	v_add_f64 v[24:25], v[24:25], v[28:29]
	v_fma_f64 v[28:29], v[26:27], s[26:27], v[28:29]
	v_add_f64 v[24:25], v[30:31], v[24:25]
	s_delay_alu instid0(VALU_DEP_1) | instskip(NEXT) | instid1(VALU_DEP_1)
	v_add_f64 v[24:25], v[24:25], -v[28:29]
	v_fma_f64 v[28:29], v[26:27], s[36:37], v[24:25]
	s_delay_alu instid0(VALU_DEP_1) | instskip(NEXT) | instid1(VALU_DEP_1)
	v_add_f64 v[24:25], v[32:33], v[28:29]
	v_add_f64 v[30:31], v[24:25], -v[32:33]
	s_delay_alu instid0(VALU_DEP_1)
	v_add_f64 v[36:37], v[28:29], -v[30:31]
.LBB150_77:                             ;   in Loop: Header=BB150_73 Depth=1
	s_or_b32 exec_lo, exec_lo, s0
	v_cmp_ngt_f64_e64 s1, 0x41d00000, |v[10:11]|
                                        ; implicit-def: $vgpr155
                                        ; implicit-def: $vgpr26_vgpr27
                                        ; implicit-def: $vgpr42_vgpr43
	s_delay_alu instid0(VALU_DEP_1) | instskip(NEXT) | instid1(SALU_CYCLE_1)
	s_and_saveexec_b32 s0, s1
	s_xor_b32 s2, exec_lo, s0
	s_cbranch_execz .LBB150_79
; %bb.78:                               ;   in Loop: Header=BB150_73 Depth=1
	v_ldexp_f64 v[26:27], |v[10:11]|, 0xffffff80
	v_cmp_le_f64_e64 vcc_lo, 0x7b000000, |v[10:11]|
	v_trig_preop_f64 v[28:29], |v[10:11]|, 0
	v_and_b32_e32 v17, 0x7fffffff, v11
	v_trig_preop_f64 v[30:31], |v[10:11]|, 1
	v_trig_preop_f64 v[42:43], |v[10:11]|, 2
	s_mov_b32 s20, s24
	s_mov_b32 s29, s27
	v_dual_cndmask_b32 v26, v10, v26 :: v_dual_cndmask_b32 v27, v17, v27
	s_delay_alu instid0(VALU_DEP_1) | instskip(NEXT) | instid1(VALU_DEP_4)
	v_mul_f64 v[32:33], v[28:29], v[26:27]
	v_mul_f64 v[34:35], v[30:31], v[26:27]
	s_delay_alu instid0(VALU_DEP_2) | instskip(NEXT) | instid1(VALU_DEP_2)
	v_fma_f64 v[28:29], v[28:29], v[26:27], -v[32:33]
	v_fma_f64 v[30:31], v[30:31], v[26:27], -v[34:35]
	s_delay_alu instid0(VALU_DEP_2) | instskip(NEXT) | instid1(VALU_DEP_1)
	v_add_f64 v[38:39], v[34:35], v[28:29]
	v_add_f64 v[40:41], v[38:39], -v[34:35]
	v_add_f64 v[46:47], v[32:33], v[38:39]
	s_delay_alu instid0(VALU_DEP_2) | instskip(SKIP_1) | instid1(VALU_DEP_3)
	v_add_f64 v[44:45], v[38:39], -v[40:41]
	v_add_f64 v[28:29], v[28:29], -v[40:41]
	v_ldexp_f64 v[40:41], v[46:47], -2
	v_add_f64 v[32:33], v[46:47], -v[32:33]
	s_delay_alu instid0(VALU_DEP_4) | instskip(NEXT) | instid1(VALU_DEP_3)
	v_add_f64 v[34:35], v[34:35], -v[44:45]
	v_cmp_neq_f64_e64 vcc_lo, 0x7ff00000, |v[40:41]|
	s_delay_alu instid0(VALU_DEP_3) | instskip(NEXT) | instid1(VALU_DEP_3)
	v_add_f64 v[32:33], v[38:39], -v[32:33]
	v_add_f64 v[28:29], v[28:29], v[34:35]
	v_fract_f64_e32 v[34:35], v[40:41]
	s_delay_alu instid0(VALU_DEP_1) | instskip(SKIP_1) | instid1(VALU_DEP_3)
	v_cndmask_b32_e32 v34, 0, v34, vcc_lo
	v_mul_f64 v[48:49], v[42:43], v[26:27]
	v_cndmask_b32_e32 v35, 0, v35, vcc_lo
	s_delay_alu instid0(VALU_DEP_1) | instskip(NEXT) | instid1(VALU_DEP_3)
	v_ldexp_f64 v[34:35], v[34:35], 2
	v_add_f64 v[44:45], v[48:49], v[30:31]
	v_fma_f64 v[26:27], v[42:43], v[26:27], -v[48:49]
	s_delay_alu instid0(VALU_DEP_2) | instskip(NEXT) | instid1(VALU_DEP_1)
	v_add_f64 v[38:39], v[44:45], v[28:29]
	v_add_f64 v[40:41], v[32:33], v[38:39]
	v_add_f64 v[50:51], v[38:39], -v[44:45]
	s_delay_alu instid0(VALU_DEP_2) | instskip(NEXT) | instid1(VALU_DEP_2)
	v_add_f64 v[46:47], v[40:41], v[34:35]
	v_add_f64 v[56:57], v[38:39], -v[50:51]
	v_add_f64 v[28:29], v[28:29], -v[50:51]
	;; [unrolled: 1-line block ×3, first 2 shown]
	s_delay_alu instid0(VALU_DEP_4) | instskip(SKIP_1) | instid1(VALU_DEP_3)
	v_cmp_gt_f64_e32 vcc_lo, 0, v[46:47]
	v_add_f64 v[46:47], v[44:45], -v[48:49]
	v_add_f64 v[32:33], v[38:39], -v[32:33]
	v_cndmask_b32_e64 v17, 0, 0x40100000, vcc_lo
	s_delay_alu instid0(VALU_DEP_3) | instskip(SKIP_2) | instid1(VALU_DEP_4)
	v_add_f64 v[54:55], v[44:45], -v[46:47]
	v_add_f64 v[30:31], v[30:31], -v[46:47]
	;; [unrolled: 1-line block ×3, first 2 shown]
	v_add_f64 v[34:35], v[34:35], v[16:17]
	s_delay_alu instid0(VALU_DEP_4) | instskip(NEXT) | instid1(VALU_DEP_3)
	v_add_f64 v[46:47], v[48:49], -v[54:55]
	v_add_f64 v[28:29], v[28:29], v[44:45]
	s_delay_alu instid0(VALU_DEP_3) | instskip(NEXT) | instid1(VALU_DEP_3)
	v_add_f64 v[52:53], v[40:41], v[34:35]
	v_add_f64 v[30:31], v[30:31], v[46:47]
	s_delay_alu instid0(VALU_DEP_2) | instskip(NEXT) | instid1(VALU_DEP_2)
	v_cvt_i32_f64_e32 v17, v[52:53]
	v_add_f64 v[28:29], v[30:31], v[28:29]
	s_delay_alu instid0(VALU_DEP_2) | instskip(NEXT) | instid1(VALU_DEP_2)
	v_cvt_f64_i32_e32 v[50:51], v17
	v_add_f64 v[26:27], v[26:27], v[28:29]
	s_delay_alu instid0(VALU_DEP_2) | instskip(NEXT) | instid1(VALU_DEP_2)
	v_add_f64 v[34:35], v[34:35], -v[50:51]
	v_add_f64 v[26:27], v[32:33], v[26:27]
	s_delay_alu instid0(VALU_DEP_2) | instskip(NEXT) | instid1(VALU_DEP_1)
	v_add_f64 v[30:31], v[40:41], v[34:35]
	v_add_f64 v[28:29], v[30:31], -v[34:35]
	v_cmp_le_f64_e32 vcc_lo, 0.5, v[30:31]
	s_delay_alu instid0(VALU_DEP_2) | instskip(SKIP_2) | instid1(VALU_DEP_3)
	v_add_f64 v[28:29], v[40:41], -v[28:29]
	v_add_co_ci_u32_e64 v155, s0, 0, v17, vcc_lo
	v_cndmask_b32_e64 v17, 0, 0x3ff00000, vcc_lo
	v_add_f64 v[26:27], v[26:27], v[28:29]
	s_delay_alu instid0(VALU_DEP_2) | instskip(NEXT) | instid1(VALU_DEP_1)
	v_add_f64 v[28:29], v[30:31], -v[16:17]
	v_add_f64 v[30:31], v[28:29], v[26:27]
	s_delay_alu instid0(VALU_DEP_1) | instskip(SKIP_1) | instid1(VALU_DEP_2)
	v_mul_f64 v[32:33], v[30:31], s[20:21]
	v_add_f64 v[28:29], v[30:31], -v[28:29]
	v_fma_f64 v[34:35], v[30:31], s[20:21], -v[32:33]
	s_delay_alu instid0(VALU_DEP_2) | instskip(NEXT) | instid1(VALU_DEP_2)
	v_add_f64 v[26:27], v[26:27], -v[28:29]
	v_fma_f64 v[28:29], v[30:31], s[28:29], v[34:35]
	s_delay_alu instid0(VALU_DEP_1) | instskip(NEXT) | instid1(VALU_DEP_1)
	v_fma_f64 v[28:29], v[26:27], s[20:21], v[28:29]
	v_add_f64 v[26:27], v[32:33], v[28:29]
	s_delay_alu instid0(VALU_DEP_1) | instskip(NEXT) | instid1(VALU_DEP_1)
	v_add_f64 v[30:31], v[26:27], -v[32:33]
	v_add_f64 v[42:43], v[28:29], -v[30:31]
	s_and_not1_saveexec_b32 s0, s2
	s_cbranch_execz .LBB150_81
	s_branch .LBB150_80
.LBB150_79:                             ;   in Loop: Header=BB150_73 Depth=1
	s_and_not1_saveexec_b32 s0, s2
	s_cbranch_execz .LBB150_81
.LBB150_80:                             ;   in Loop: Header=BB150_73 Depth=1
	v_mul_f64 v[26:27], |v[10:11]|, s[30:31]
	s_mov_b32 s26, s34
	s_delay_alu instid0(VALU_DEP_1) | instskip(NEXT) | instid1(VALU_DEP_1)
	v_rndne_f64_e32 v[28:29], v[26:27]
	v_fma_f64 v[26:27], v[28:29], s[24:25], |v[10:11]|
	v_mul_f64 v[30:31], v[28:29], s[34:35]
	v_cvt_i32_f64_e32 v155, v[28:29]
	s_delay_alu instid0(VALU_DEP_3) | instskip(NEXT) | instid1(VALU_DEP_3)
	v_fma_f64 v[34:35], v[28:29], s[34:35], v[26:27]
	v_add_f64 v[32:33], v[26:27], v[30:31]
	s_delay_alu instid0(VALU_DEP_1) | instskip(NEXT) | instid1(VALU_DEP_3)
	v_add_f64 v[26:27], v[26:27], -v[32:33]
	v_add_f64 v[32:33], v[32:33], -v[34:35]
	s_delay_alu instid0(VALU_DEP_2) | instskip(SKIP_1) | instid1(VALU_DEP_2)
	v_add_f64 v[26:27], v[26:27], v[30:31]
	v_fma_f64 v[30:31], v[28:29], s[26:27], v[30:31]
	v_add_f64 v[26:27], v[32:33], v[26:27]
	s_delay_alu instid0(VALU_DEP_1) | instskip(NEXT) | instid1(VALU_DEP_1)
	v_add_f64 v[26:27], v[26:27], -v[30:31]
	v_fma_f64 v[30:31], v[28:29], s[36:37], v[26:27]
	s_delay_alu instid0(VALU_DEP_1) | instskip(NEXT) | instid1(VALU_DEP_1)
	v_add_f64 v[26:27], v[34:35], v[30:31]
	v_add_f64 v[32:33], v[26:27], -v[34:35]
	s_delay_alu instid0(VALU_DEP_1)
	v_add_f64 v[42:43], v[30:31], -v[32:33]
.LBB150_81:                             ;   in Loop: Header=BB150_73 Depth=1
	s_or_b32 exec_lo, exec_lo, s0
                                        ; implicit-def: $vgpr156
                                        ; implicit-def: $vgpr28_vgpr29
                                        ; implicit-def: $vgpr44_vgpr45
	s_and_saveexec_b32 s0, s1
	s_delay_alu instid0(SALU_CYCLE_1)
	s_xor_b32 s1, exec_lo, s0
	s_cbranch_execz .LBB150_83
; %bb.82:                               ;   in Loop: Header=BB150_73 Depth=1
	v_ldexp_f64 v[28:29], |v[10:11]|, 0xffffff80
	v_cmp_le_f64_e64 vcc_lo, 0x7b000000, |v[10:11]|
	v_trig_preop_f64 v[30:31], |v[10:11]|, 0
	v_and_b32_e32 v17, 0x7fffffff, v11
	v_trig_preop_f64 v[32:33], |v[10:11]|, 1
	v_trig_preop_f64 v[46:47], |v[10:11]|, 2
	s_mov_b32 s20, s24
	s_mov_b32 s29, s27
	v_dual_cndmask_b32 v28, v10, v28 :: v_dual_cndmask_b32 v29, v17, v29
	s_delay_alu instid0(VALU_DEP_1) | instskip(NEXT) | instid1(VALU_DEP_4)
	v_mul_f64 v[34:35], v[30:31], v[28:29]
	v_mul_f64 v[38:39], v[32:33], v[28:29]
	s_delay_alu instid0(VALU_DEP_2) | instskip(NEXT) | instid1(VALU_DEP_2)
	v_fma_f64 v[30:31], v[30:31], v[28:29], -v[34:35]
	v_fma_f64 v[32:33], v[32:33], v[28:29], -v[38:39]
	s_delay_alu instid0(VALU_DEP_2) | instskip(NEXT) | instid1(VALU_DEP_1)
	v_add_f64 v[40:41], v[38:39], v[30:31]
	v_add_f64 v[44:45], v[40:41], -v[38:39]
	v_add_f64 v[50:51], v[34:35], v[40:41]
	s_delay_alu instid0(VALU_DEP_2) | instskip(SKIP_1) | instid1(VALU_DEP_3)
	v_add_f64 v[48:49], v[40:41], -v[44:45]
	v_add_f64 v[30:31], v[30:31], -v[44:45]
	v_ldexp_f64 v[44:45], v[50:51], -2
	v_add_f64 v[34:35], v[50:51], -v[34:35]
	s_delay_alu instid0(VALU_DEP_4) | instskip(NEXT) | instid1(VALU_DEP_3)
	v_add_f64 v[38:39], v[38:39], -v[48:49]
	v_cmp_neq_f64_e64 vcc_lo, 0x7ff00000, |v[44:45]|
	s_delay_alu instid0(VALU_DEP_3) | instskip(NEXT) | instid1(VALU_DEP_3)
	v_add_f64 v[34:35], v[40:41], -v[34:35]
	v_add_f64 v[30:31], v[30:31], v[38:39]
	v_fract_f64_e32 v[38:39], v[44:45]
	s_delay_alu instid0(VALU_DEP_1) | instskip(SKIP_1) | instid1(VALU_DEP_3)
	v_cndmask_b32_e32 v38, 0, v38, vcc_lo
	v_mul_f64 v[52:53], v[46:47], v[28:29]
	v_cndmask_b32_e32 v39, 0, v39, vcc_lo
	s_delay_alu instid0(VALU_DEP_1) | instskip(NEXT) | instid1(VALU_DEP_3)
	v_ldexp_f64 v[38:39], v[38:39], 2
	v_add_f64 v[48:49], v[52:53], v[32:33]
	v_fma_f64 v[28:29], v[46:47], v[28:29], -v[52:53]
	s_delay_alu instid0(VALU_DEP_2) | instskip(NEXT) | instid1(VALU_DEP_1)
	v_add_f64 v[40:41], v[48:49], v[30:31]
	v_add_f64 v[44:45], v[34:35], v[40:41]
	v_add_f64 v[54:55], v[40:41], -v[48:49]
	s_delay_alu instid0(VALU_DEP_2) | instskip(NEXT) | instid1(VALU_DEP_2)
	v_add_f64 v[50:51], v[44:45], v[38:39]
	v_add_f64 v[60:61], v[40:41], -v[54:55]
	v_add_f64 v[30:31], v[30:31], -v[54:55]
	;; [unrolled: 1-line block ×3, first 2 shown]
	s_delay_alu instid0(VALU_DEP_4) | instskip(SKIP_1) | instid1(VALU_DEP_3)
	v_cmp_gt_f64_e32 vcc_lo, 0, v[50:51]
	v_add_f64 v[50:51], v[48:49], -v[52:53]
	v_add_f64 v[34:35], v[40:41], -v[34:35]
	v_cndmask_b32_e64 v17, 0, 0x40100000, vcc_lo
	s_delay_alu instid0(VALU_DEP_3) | instskip(SKIP_2) | instid1(VALU_DEP_4)
	v_add_f64 v[58:59], v[48:49], -v[50:51]
	v_add_f64 v[32:33], v[32:33], -v[50:51]
	;; [unrolled: 1-line block ×3, first 2 shown]
	v_add_f64 v[38:39], v[38:39], v[16:17]
	s_delay_alu instid0(VALU_DEP_4) | instskip(NEXT) | instid1(VALU_DEP_3)
	v_add_f64 v[50:51], v[52:53], -v[58:59]
	v_add_f64 v[30:31], v[30:31], v[48:49]
	s_delay_alu instid0(VALU_DEP_3) | instskip(NEXT) | instid1(VALU_DEP_3)
	v_add_f64 v[56:57], v[44:45], v[38:39]
	v_add_f64 v[32:33], v[32:33], v[50:51]
	s_delay_alu instid0(VALU_DEP_2) | instskip(NEXT) | instid1(VALU_DEP_2)
	v_cvt_i32_f64_e32 v17, v[56:57]
	v_add_f64 v[30:31], v[32:33], v[30:31]
	s_delay_alu instid0(VALU_DEP_2) | instskip(NEXT) | instid1(VALU_DEP_2)
	v_cvt_f64_i32_e32 v[54:55], v17
	v_add_f64 v[28:29], v[28:29], v[30:31]
	s_delay_alu instid0(VALU_DEP_2) | instskip(NEXT) | instid1(VALU_DEP_2)
	v_add_f64 v[38:39], v[38:39], -v[54:55]
	v_add_f64 v[28:29], v[34:35], v[28:29]
	s_delay_alu instid0(VALU_DEP_2) | instskip(NEXT) | instid1(VALU_DEP_1)
	v_add_f64 v[32:33], v[44:45], v[38:39]
	v_add_f64 v[30:31], v[32:33], -v[38:39]
	v_cmp_le_f64_e32 vcc_lo, 0.5, v[32:33]
	s_delay_alu instid0(VALU_DEP_2) | instskip(SKIP_2) | instid1(VALU_DEP_3)
	v_add_f64 v[30:31], v[44:45], -v[30:31]
	v_add_co_ci_u32_e64 v156, s0, 0, v17, vcc_lo
	v_cndmask_b32_e64 v17, 0, 0x3ff00000, vcc_lo
	v_add_f64 v[28:29], v[28:29], v[30:31]
	s_delay_alu instid0(VALU_DEP_2) | instskip(NEXT) | instid1(VALU_DEP_1)
	v_add_f64 v[30:31], v[32:33], -v[16:17]
	v_add_f64 v[32:33], v[30:31], v[28:29]
	s_delay_alu instid0(VALU_DEP_1) | instskip(SKIP_1) | instid1(VALU_DEP_2)
	v_mul_f64 v[34:35], v[32:33], s[20:21]
	v_add_f64 v[30:31], v[32:33], -v[30:31]
	v_fma_f64 v[38:39], v[32:33], s[20:21], -v[34:35]
	s_delay_alu instid0(VALU_DEP_2) | instskip(NEXT) | instid1(VALU_DEP_2)
	v_add_f64 v[28:29], v[28:29], -v[30:31]
	v_fma_f64 v[30:31], v[32:33], s[28:29], v[38:39]
	s_delay_alu instid0(VALU_DEP_1) | instskip(NEXT) | instid1(VALU_DEP_1)
	v_fma_f64 v[30:31], v[28:29], s[20:21], v[30:31]
	v_add_f64 v[28:29], v[34:35], v[30:31]
	s_delay_alu instid0(VALU_DEP_1) | instskip(NEXT) | instid1(VALU_DEP_1)
	v_add_f64 v[32:33], v[28:29], -v[34:35]
	v_add_f64 v[44:45], v[30:31], -v[32:33]
	s_and_not1_saveexec_b32 s0, s1
	s_cbranch_execnz .LBB150_84
	s_branch .LBB150_85
.LBB150_83:                             ;   in Loop: Header=BB150_73 Depth=1
	s_and_not1_saveexec_b32 s0, s1
	s_cbranch_execz .LBB150_85
.LBB150_84:                             ;   in Loop: Header=BB150_73 Depth=1
	v_mul_f64 v[28:29], |v[10:11]|, s[30:31]
	s_mov_b32 s26, s34
	s_delay_alu instid0(VALU_DEP_1) | instskip(NEXT) | instid1(VALU_DEP_1)
	v_rndne_f64_e32 v[30:31], v[28:29]
	v_fma_f64 v[28:29], v[30:31], s[24:25], |v[10:11]|
	v_mul_f64 v[32:33], v[30:31], s[34:35]
	v_cvt_i32_f64_e32 v156, v[30:31]
	s_delay_alu instid0(VALU_DEP_3) | instskip(NEXT) | instid1(VALU_DEP_3)
	v_fma_f64 v[38:39], v[30:31], s[34:35], v[28:29]
	v_add_f64 v[34:35], v[28:29], v[32:33]
	s_delay_alu instid0(VALU_DEP_1) | instskip(NEXT) | instid1(VALU_DEP_3)
	v_add_f64 v[28:29], v[28:29], -v[34:35]
	v_add_f64 v[34:35], v[34:35], -v[38:39]
	s_delay_alu instid0(VALU_DEP_2) | instskip(SKIP_1) | instid1(VALU_DEP_2)
	v_add_f64 v[28:29], v[28:29], v[32:33]
	v_fma_f64 v[32:33], v[30:31], s[26:27], v[32:33]
	v_add_f64 v[28:29], v[34:35], v[28:29]
	s_delay_alu instid0(VALU_DEP_1) | instskip(NEXT) | instid1(VALU_DEP_1)
	v_add_f64 v[28:29], v[28:29], -v[32:33]
	v_fma_f64 v[32:33], v[30:31], s[36:37], v[28:29]
	s_delay_alu instid0(VALU_DEP_1) | instskip(NEXT) | instid1(VALU_DEP_1)
	v_add_f64 v[28:29], v[38:39], v[32:33]
	v_add_f64 v[34:35], v[28:29], -v[38:39]
	s_delay_alu instid0(VALU_DEP_1)
	v_add_f64 v[44:45], v[32:33], -v[34:35]
.LBB150_85:                             ;   in Loop: Header=BB150_73 Depth=1
	s_or_b32 exec_lo, exec_lo, s0
	s_waitcnt vmcnt(2)
	v_mul_f64 v[30:31], v[6:7], 0.5
	s_mov_b32 s1, exec_lo
                                        ; implicit-def: $vgpr157
                                        ; implicit-def: $vgpr32_vgpr33
                                        ; implicit-def: $vgpr50_vgpr51
	s_delay_alu instid0(VALU_DEP_1)
	v_cmpx_ngt_f64_e64 0x41d00000, |v[30:31]|
	s_xor_b32 s1, exec_lo, s1
	s_cbranch_execz .LBB150_87
; %bb.86:                               ;   in Loop: Header=BB150_73 Depth=1
	v_ldexp_f64 v[32:33], |v[30:31]|, 0xffffff80
	v_cmp_le_f64_e64 vcc_lo, 0x7b000000, |v[30:31]|
	v_trig_preop_f64 v[34:35], |v[30:31]|, 0
	v_and_b32_e32 v17, 0x7fffffff, v31
	v_trig_preop_f64 v[38:39], |v[30:31]|, 1
	v_trig_preop_f64 v[52:53], |v[30:31]|, 2
	s_mov_b32 s20, s24
	s_mov_b32 s29, s27
	v_dual_cndmask_b32 v32, v30, v32 :: v_dual_cndmask_b32 v33, v17, v33
	s_delay_alu instid0(VALU_DEP_1) | instskip(NEXT) | instid1(VALU_DEP_4)
	v_mul_f64 v[40:41], v[34:35], v[32:33]
	v_mul_f64 v[46:47], v[38:39], v[32:33]
	s_delay_alu instid0(VALU_DEP_2) | instskip(NEXT) | instid1(VALU_DEP_2)
	v_fma_f64 v[34:35], v[34:35], v[32:33], -v[40:41]
	v_fma_f64 v[38:39], v[38:39], v[32:33], -v[46:47]
	s_delay_alu instid0(VALU_DEP_2) | instskip(NEXT) | instid1(VALU_DEP_1)
	v_add_f64 v[48:49], v[46:47], v[34:35]
	v_add_f64 v[50:51], v[48:49], -v[46:47]
	v_add_f64 v[56:57], v[40:41], v[48:49]
	s_delay_alu instid0(VALU_DEP_2) | instskip(SKIP_1) | instid1(VALU_DEP_3)
	v_add_f64 v[54:55], v[48:49], -v[50:51]
	v_add_f64 v[34:35], v[34:35], -v[50:51]
	v_ldexp_f64 v[50:51], v[56:57], -2
	v_add_f64 v[40:41], v[56:57], -v[40:41]
	s_delay_alu instid0(VALU_DEP_4) | instskip(NEXT) | instid1(VALU_DEP_3)
	v_add_f64 v[46:47], v[46:47], -v[54:55]
	v_cmp_neq_f64_e64 vcc_lo, 0x7ff00000, |v[50:51]|
	s_delay_alu instid0(VALU_DEP_3) | instskip(NEXT) | instid1(VALU_DEP_3)
	v_add_f64 v[40:41], v[48:49], -v[40:41]
	v_add_f64 v[34:35], v[34:35], v[46:47]
	v_fract_f64_e32 v[46:47], v[50:51]
	s_delay_alu instid0(VALU_DEP_1) | instskip(SKIP_1) | instid1(VALU_DEP_3)
	v_cndmask_b32_e32 v46, 0, v46, vcc_lo
	v_mul_f64 v[58:59], v[52:53], v[32:33]
	v_cndmask_b32_e32 v47, 0, v47, vcc_lo
	s_delay_alu instid0(VALU_DEP_1) | instskip(NEXT) | instid1(VALU_DEP_3)
	v_ldexp_f64 v[46:47], v[46:47], 2
	v_add_f64 v[54:55], v[58:59], v[38:39]
	v_fma_f64 v[32:33], v[52:53], v[32:33], -v[58:59]
	s_delay_alu instid0(VALU_DEP_2) | instskip(NEXT) | instid1(VALU_DEP_1)
	v_add_f64 v[48:49], v[54:55], v[34:35]
	v_add_f64 v[50:51], v[40:41], v[48:49]
	v_add_f64 v[60:61], v[48:49], -v[54:55]
	s_delay_alu instid0(VALU_DEP_2) | instskip(NEXT) | instid1(VALU_DEP_2)
	v_add_f64 v[56:57], v[50:51], v[46:47]
	v_add_f64 v[66:67], v[48:49], -v[60:61]
	v_add_f64 v[34:35], v[34:35], -v[60:61]
	;; [unrolled: 1-line block ×3, first 2 shown]
	s_delay_alu instid0(VALU_DEP_4) | instskip(SKIP_1) | instid1(VALU_DEP_3)
	v_cmp_gt_f64_e32 vcc_lo, 0, v[56:57]
	v_add_f64 v[56:57], v[54:55], -v[58:59]
	v_add_f64 v[40:41], v[48:49], -v[40:41]
	v_cndmask_b32_e64 v17, 0, 0x40100000, vcc_lo
	s_delay_alu instid0(VALU_DEP_3) | instskip(SKIP_2) | instid1(VALU_DEP_4)
	v_add_f64 v[64:65], v[54:55], -v[56:57]
	v_add_f64 v[38:39], v[38:39], -v[56:57]
	;; [unrolled: 1-line block ×3, first 2 shown]
	v_add_f64 v[46:47], v[46:47], v[16:17]
	s_delay_alu instid0(VALU_DEP_4) | instskip(NEXT) | instid1(VALU_DEP_3)
	v_add_f64 v[56:57], v[58:59], -v[64:65]
	v_add_f64 v[34:35], v[34:35], v[54:55]
	s_delay_alu instid0(VALU_DEP_3) | instskip(NEXT) | instid1(VALU_DEP_3)
	v_add_f64 v[62:63], v[50:51], v[46:47]
	v_add_f64 v[38:39], v[38:39], v[56:57]
	s_delay_alu instid0(VALU_DEP_2) | instskip(NEXT) | instid1(VALU_DEP_2)
	v_cvt_i32_f64_e32 v17, v[62:63]
	v_add_f64 v[34:35], v[38:39], v[34:35]
	s_delay_alu instid0(VALU_DEP_2) | instskip(NEXT) | instid1(VALU_DEP_2)
	v_cvt_f64_i32_e32 v[60:61], v17
	v_add_f64 v[32:33], v[32:33], v[34:35]
	s_delay_alu instid0(VALU_DEP_2) | instskip(NEXT) | instid1(VALU_DEP_2)
	v_add_f64 v[46:47], v[46:47], -v[60:61]
	v_add_f64 v[32:33], v[40:41], v[32:33]
	s_delay_alu instid0(VALU_DEP_2) | instskip(NEXT) | instid1(VALU_DEP_1)
	v_add_f64 v[38:39], v[50:51], v[46:47]
	v_add_f64 v[34:35], v[38:39], -v[46:47]
	v_cmp_le_f64_e32 vcc_lo, 0.5, v[38:39]
	s_delay_alu instid0(VALU_DEP_2) | instskip(SKIP_2) | instid1(VALU_DEP_3)
	v_add_f64 v[34:35], v[50:51], -v[34:35]
	v_add_co_ci_u32_e64 v157, s0, 0, v17, vcc_lo
	v_cndmask_b32_e64 v17, 0, 0x3ff00000, vcc_lo
	v_add_f64 v[32:33], v[32:33], v[34:35]
	s_delay_alu instid0(VALU_DEP_2) | instskip(NEXT) | instid1(VALU_DEP_1)
	v_add_f64 v[34:35], v[38:39], -v[16:17]
	v_add_f64 v[38:39], v[34:35], v[32:33]
	s_delay_alu instid0(VALU_DEP_1) | instskip(SKIP_1) | instid1(VALU_DEP_2)
	v_mul_f64 v[40:41], v[38:39], s[20:21]
	v_add_f64 v[34:35], v[38:39], -v[34:35]
	v_fma_f64 v[46:47], v[38:39], s[20:21], -v[40:41]
	s_delay_alu instid0(VALU_DEP_2) | instskip(NEXT) | instid1(VALU_DEP_2)
	v_add_f64 v[32:33], v[32:33], -v[34:35]
	v_fma_f64 v[34:35], v[38:39], s[28:29], v[46:47]
	s_delay_alu instid0(VALU_DEP_1) | instskip(NEXT) | instid1(VALU_DEP_1)
	v_fma_f64 v[34:35], v[32:33], s[20:21], v[34:35]
	v_add_f64 v[32:33], v[40:41], v[34:35]
	s_delay_alu instid0(VALU_DEP_1) | instskip(NEXT) | instid1(VALU_DEP_1)
	v_add_f64 v[38:39], v[32:33], -v[40:41]
	v_add_f64 v[50:51], v[34:35], -v[38:39]
.LBB150_87:                             ;   in Loop: Header=BB150_73 Depth=1
	s_and_not1_saveexec_b32 s0, s1
	s_cbranch_execz .LBB150_89
; %bb.88:                               ;   in Loop: Header=BB150_73 Depth=1
	v_mul_f64 v[32:33], |v[30:31]|, s[30:31]
	s_mov_b32 s26, s34
	s_delay_alu instid0(VALU_DEP_1) | instskip(NEXT) | instid1(VALU_DEP_1)
	v_rndne_f64_e32 v[34:35], v[32:33]
	v_fma_f64 v[32:33], v[34:35], s[24:25], |v[30:31]|
	v_mul_f64 v[38:39], v[34:35], s[34:35]
	v_cvt_i32_f64_e32 v157, v[34:35]
	s_delay_alu instid0(VALU_DEP_3) | instskip(NEXT) | instid1(VALU_DEP_3)
	v_fma_f64 v[46:47], v[34:35], s[34:35], v[32:33]
	v_add_f64 v[40:41], v[32:33], v[38:39]
	s_delay_alu instid0(VALU_DEP_1) | instskip(NEXT) | instid1(VALU_DEP_3)
	v_add_f64 v[32:33], v[32:33], -v[40:41]
	v_add_f64 v[40:41], v[40:41], -v[46:47]
	s_delay_alu instid0(VALU_DEP_2) | instskip(SKIP_1) | instid1(VALU_DEP_2)
	v_add_f64 v[32:33], v[32:33], v[38:39]
	v_fma_f64 v[38:39], v[34:35], s[26:27], v[38:39]
	v_add_f64 v[32:33], v[40:41], v[32:33]
	s_delay_alu instid0(VALU_DEP_1) | instskip(NEXT) | instid1(VALU_DEP_1)
	v_add_f64 v[32:33], v[32:33], -v[38:39]
	v_fma_f64 v[38:39], v[34:35], s[36:37], v[32:33]
	s_delay_alu instid0(VALU_DEP_1) | instskip(NEXT) | instid1(VALU_DEP_1)
	v_add_f64 v[32:33], v[46:47], v[38:39]
	v_add_f64 v[40:41], v[32:33], -v[46:47]
	s_delay_alu instid0(VALU_DEP_1)
	v_add_f64 v[50:51], v[38:39], -v[40:41]
.LBB150_89:                             ;   in Loop: Header=BB150_73 Depth=1
	s_or_b32 exec_lo, exec_lo, s0
	v_cmp_ngt_f64_e64 s1, 0x41d00000, |v[6:7]|
                                        ; implicit-def: $vgpr158
                                        ; implicit-def: $vgpr34_vgpr35
                                        ; implicit-def: $vgpr56_vgpr57
	s_delay_alu instid0(VALU_DEP_1) | instskip(NEXT) | instid1(SALU_CYCLE_1)
	s_and_saveexec_b32 s0, s1
	s_xor_b32 s2, exec_lo, s0
	s_cbranch_execz .LBB150_91
; %bb.90:                               ;   in Loop: Header=BB150_73 Depth=1
	v_ldexp_f64 v[34:35], |v[6:7]|, 0xffffff80
	v_cmp_le_f64_e64 vcc_lo, 0x7b000000, |v[6:7]|
	v_trig_preop_f64 v[38:39], |v[6:7]|, 0
	v_and_b32_e32 v17, 0x7fffffff, v7
	v_trig_preop_f64 v[40:41], |v[6:7]|, 1
	v_trig_preop_f64 v[56:57], |v[6:7]|, 2
	s_mov_b32 s20, s24
	s_mov_b32 s29, s27
	v_dual_cndmask_b32 v34, v6, v34 :: v_dual_cndmask_b32 v35, v17, v35
	s_delay_alu instid0(VALU_DEP_1) | instskip(NEXT) | instid1(VALU_DEP_4)
	v_mul_f64 v[46:47], v[38:39], v[34:35]
	v_mul_f64 v[48:49], v[40:41], v[34:35]
	s_delay_alu instid0(VALU_DEP_2) | instskip(NEXT) | instid1(VALU_DEP_2)
	v_fma_f64 v[38:39], v[38:39], v[34:35], -v[46:47]
	v_fma_f64 v[40:41], v[40:41], v[34:35], -v[48:49]
	s_delay_alu instid0(VALU_DEP_2) | instskip(NEXT) | instid1(VALU_DEP_1)
	v_add_f64 v[52:53], v[48:49], v[38:39]
	v_add_f64 v[54:55], v[52:53], -v[48:49]
	v_add_f64 v[60:61], v[46:47], v[52:53]
	s_delay_alu instid0(VALU_DEP_2) | instskip(SKIP_1) | instid1(VALU_DEP_3)
	v_add_f64 v[58:59], v[52:53], -v[54:55]
	v_add_f64 v[38:39], v[38:39], -v[54:55]
	v_ldexp_f64 v[54:55], v[60:61], -2
	v_add_f64 v[46:47], v[60:61], -v[46:47]
	s_delay_alu instid0(VALU_DEP_4) | instskip(NEXT) | instid1(VALU_DEP_3)
	v_add_f64 v[48:49], v[48:49], -v[58:59]
	v_cmp_neq_f64_e64 vcc_lo, 0x7ff00000, |v[54:55]|
	s_delay_alu instid0(VALU_DEP_3) | instskip(NEXT) | instid1(VALU_DEP_3)
	v_add_f64 v[46:47], v[52:53], -v[46:47]
	v_add_f64 v[38:39], v[38:39], v[48:49]
	v_fract_f64_e32 v[48:49], v[54:55]
	s_delay_alu instid0(VALU_DEP_1) | instskip(SKIP_1) | instid1(VALU_DEP_3)
	v_cndmask_b32_e32 v48, 0, v48, vcc_lo
	v_mul_f64 v[62:63], v[56:57], v[34:35]
	v_cndmask_b32_e32 v49, 0, v49, vcc_lo
	s_delay_alu instid0(VALU_DEP_1) | instskip(NEXT) | instid1(VALU_DEP_3)
	v_ldexp_f64 v[48:49], v[48:49], 2
	v_add_f64 v[58:59], v[62:63], v[40:41]
	v_fma_f64 v[34:35], v[56:57], v[34:35], -v[62:63]
	s_delay_alu instid0(VALU_DEP_2) | instskip(NEXT) | instid1(VALU_DEP_1)
	v_add_f64 v[52:53], v[58:59], v[38:39]
	v_add_f64 v[54:55], v[46:47], v[52:53]
	v_add_f64 v[64:65], v[52:53], -v[58:59]
	s_delay_alu instid0(VALU_DEP_2) | instskip(NEXT) | instid1(VALU_DEP_2)
	v_add_f64 v[60:61], v[54:55], v[48:49]
	v_add_f64 v[70:71], v[52:53], -v[64:65]
	v_add_f64 v[38:39], v[38:39], -v[64:65]
	;; [unrolled: 1-line block ×3, first 2 shown]
	s_delay_alu instid0(VALU_DEP_4) | instskip(SKIP_1) | instid1(VALU_DEP_3)
	v_cmp_gt_f64_e32 vcc_lo, 0, v[60:61]
	v_add_f64 v[60:61], v[58:59], -v[62:63]
	v_add_f64 v[46:47], v[52:53], -v[46:47]
	v_cndmask_b32_e64 v17, 0, 0x40100000, vcc_lo
	s_delay_alu instid0(VALU_DEP_3) | instskip(SKIP_2) | instid1(VALU_DEP_4)
	v_add_f64 v[68:69], v[58:59], -v[60:61]
	v_add_f64 v[40:41], v[40:41], -v[60:61]
	;; [unrolled: 1-line block ×3, first 2 shown]
	v_add_f64 v[48:49], v[48:49], v[16:17]
	s_delay_alu instid0(VALU_DEP_4) | instskip(NEXT) | instid1(VALU_DEP_3)
	v_add_f64 v[60:61], v[62:63], -v[68:69]
	v_add_f64 v[38:39], v[38:39], v[58:59]
	s_delay_alu instid0(VALU_DEP_3) | instskip(NEXT) | instid1(VALU_DEP_3)
	v_add_f64 v[66:67], v[54:55], v[48:49]
	v_add_f64 v[40:41], v[40:41], v[60:61]
	s_delay_alu instid0(VALU_DEP_2) | instskip(NEXT) | instid1(VALU_DEP_2)
	v_cvt_i32_f64_e32 v17, v[66:67]
	v_add_f64 v[38:39], v[40:41], v[38:39]
	s_delay_alu instid0(VALU_DEP_2) | instskip(NEXT) | instid1(VALU_DEP_2)
	v_cvt_f64_i32_e32 v[64:65], v17
	v_add_f64 v[34:35], v[34:35], v[38:39]
	s_delay_alu instid0(VALU_DEP_2) | instskip(NEXT) | instid1(VALU_DEP_2)
	v_add_f64 v[48:49], v[48:49], -v[64:65]
	v_add_f64 v[34:35], v[46:47], v[34:35]
	s_delay_alu instid0(VALU_DEP_2) | instskip(NEXT) | instid1(VALU_DEP_1)
	v_add_f64 v[40:41], v[54:55], v[48:49]
	v_add_f64 v[38:39], v[40:41], -v[48:49]
	v_cmp_le_f64_e32 vcc_lo, 0.5, v[40:41]
	s_delay_alu instid0(VALU_DEP_2) | instskip(SKIP_2) | instid1(VALU_DEP_3)
	v_add_f64 v[38:39], v[54:55], -v[38:39]
	v_add_co_ci_u32_e64 v158, s0, 0, v17, vcc_lo
	v_cndmask_b32_e64 v17, 0, 0x3ff00000, vcc_lo
	v_add_f64 v[34:35], v[34:35], v[38:39]
	s_delay_alu instid0(VALU_DEP_2) | instskip(NEXT) | instid1(VALU_DEP_1)
	v_add_f64 v[38:39], v[40:41], -v[16:17]
	v_add_f64 v[40:41], v[38:39], v[34:35]
	s_delay_alu instid0(VALU_DEP_1) | instskip(SKIP_1) | instid1(VALU_DEP_2)
	v_mul_f64 v[46:47], v[40:41], s[20:21]
	v_add_f64 v[38:39], v[40:41], -v[38:39]
	v_fma_f64 v[48:49], v[40:41], s[20:21], -v[46:47]
	s_delay_alu instid0(VALU_DEP_2) | instskip(NEXT) | instid1(VALU_DEP_2)
	v_add_f64 v[34:35], v[34:35], -v[38:39]
	v_fma_f64 v[38:39], v[40:41], s[28:29], v[48:49]
	s_delay_alu instid0(VALU_DEP_1) | instskip(NEXT) | instid1(VALU_DEP_1)
	v_fma_f64 v[38:39], v[34:35], s[20:21], v[38:39]
	v_add_f64 v[34:35], v[46:47], v[38:39]
	s_delay_alu instid0(VALU_DEP_1) | instskip(NEXT) | instid1(VALU_DEP_1)
	v_add_f64 v[40:41], v[34:35], -v[46:47]
	v_add_f64 v[56:57], v[38:39], -v[40:41]
	s_and_not1_saveexec_b32 s0, s2
	s_cbranch_execz .LBB150_93
	s_branch .LBB150_92
.LBB150_91:                             ;   in Loop: Header=BB150_73 Depth=1
	s_and_not1_saveexec_b32 s0, s2
	s_cbranch_execz .LBB150_93
.LBB150_92:                             ;   in Loop: Header=BB150_73 Depth=1
	v_mul_f64 v[34:35], |v[6:7]|, s[30:31]
	s_mov_b32 s26, s34
	s_delay_alu instid0(VALU_DEP_1) | instskip(NEXT) | instid1(VALU_DEP_1)
	v_rndne_f64_e32 v[38:39], v[34:35]
	v_fma_f64 v[34:35], v[38:39], s[24:25], |v[6:7]|
	v_mul_f64 v[40:41], v[38:39], s[34:35]
	v_cvt_i32_f64_e32 v158, v[38:39]
	s_delay_alu instid0(VALU_DEP_3) | instskip(NEXT) | instid1(VALU_DEP_3)
	v_fma_f64 v[48:49], v[38:39], s[34:35], v[34:35]
	v_add_f64 v[46:47], v[34:35], v[40:41]
	s_delay_alu instid0(VALU_DEP_1) | instskip(NEXT) | instid1(VALU_DEP_3)
	v_add_f64 v[34:35], v[34:35], -v[46:47]
	v_add_f64 v[46:47], v[46:47], -v[48:49]
	s_delay_alu instid0(VALU_DEP_2) | instskip(SKIP_1) | instid1(VALU_DEP_2)
	v_add_f64 v[34:35], v[34:35], v[40:41]
	v_fma_f64 v[40:41], v[38:39], s[26:27], v[40:41]
	v_add_f64 v[34:35], v[46:47], v[34:35]
	s_delay_alu instid0(VALU_DEP_1) | instskip(NEXT) | instid1(VALU_DEP_1)
	v_add_f64 v[34:35], v[34:35], -v[40:41]
	v_fma_f64 v[40:41], v[38:39], s[36:37], v[34:35]
	s_delay_alu instid0(VALU_DEP_1) | instskip(NEXT) | instid1(VALU_DEP_1)
	v_add_f64 v[34:35], v[48:49], v[40:41]
	v_add_f64 v[46:47], v[34:35], -v[48:49]
	s_delay_alu instid0(VALU_DEP_1)
	v_add_f64 v[56:57], v[40:41], -v[46:47]
.LBB150_93:                             ;   in Loop: Header=BB150_73 Depth=1
	s_or_b32 exec_lo, exec_lo, s0
                                        ; implicit-def: $vgpr159
                                        ; implicit-def: $vgpr38_vgpr39
                                        ; implicit-def: $vgpr60_vgpr61
	s_and_saveexec_b32 s0, s1
	s_delay_alu instid0(SALU_CYCLE_1)
	s_xor_b32 s1, exec_lo, s0
	s_cbranch_execz .LBB150_95
; %bb.94:                               ;   in Loop: Header=BB150_73 Depth=1
	v_ldexp_f64 v[38:39], |v[6:7]|, 0xffffff80
	v_cmp_le_f64_e64 vcc_lo, 0x7b000000, |v[6:7]|
	v_trig_preop_f64 v[40:41], |v[6:7]|, 0
	v_and_b32_e32 v17, 0x7fffffff, v7
	v_trig_preop_f64 v[46:47], |v[6:7]|, 1
	v_trig_preop_f64 v[60:61], |v[6:7]|, 2
	s_mov_b32 s20, s24
	s_mov_b32 s29, s27
	v_dual_cndmask_b32 v38, v6, v38 :: v_dual_cndmask_b32 v39, v17, v39
	s_delay_alu instid0(VALU_DEP_1) | instskip(NEXT) | instid1(VALU_DEP_4)
	v_mul_f64 v[48:49], v[40:41], v[38:39]
	v_mul_f64 v[52:53], v[46:47], v[38:39]
	s_delay_alu instid0(VALU_DEP_2) | instskip(NEXT) | instid1(VALU_DEP_2)
	v_fma_f64 v[40:41], v[40:41], v[38:39], -v[48:49]
	v_fma_f64 v[46:47], v[46:47], v[38:39], -v[52:53]
	s_delay_alu instid0(VALU_DEP_2) | instskip(NEXT) | instid1(VALU_DEP_1)
	v_add_f64 v[54:55], v[52:53], v[40:41]
	v_add_f64 v[58:59], v[54:55], -v[52:53]
	v_add_f64 v[64:65], v[48:49], v[54:55]
	s_delay_alu instid0(VALU_DEP_2) | instskip(SKIP_1) | instid1(VALU_DEP_3)
	v_add_f64 v[62:63], v[54:55], -v[58:59]
	v_add_f64 v[40:41], v[40:41], -v[58:59]
	v_ldexp_f64 v[58:59], v[64:65], -2
	v_add_f64 v[48:49], v[64:65], -v[48:49]
	s_delay_alu instid0(VALU_DEP_4) | instskip(NEXT) | instid1(VALU_DEP_3)
	v_add_f64 v[52:53], v[52:53], -v[62:63]
	v_cmp_neq_f64_e64 vcc_lo, 0x7ff00000, |v[58:59]|
	s_delay_alu instid0(VALU_DEP_3) | instskip(NEXT) | instid1(VALU_DEP_3)
	v_add_f64 v[48:49], v[54:55], -v[48:49]
	v_add_f64 v[40:41], v[40:41], v[52:53]
	v_fract_f64_e32 v[52:53], v[58:59]
	s_delay_alu instid0(VALU_DEP_1) | instskip(SKIP_1) | instid1(VALU_DEP_3)
	v_cndmask_b32_e32 v52, 0, v52, vcc_lo
	v_mul_f64 v[66:67], v[60:61], v[38:39]
	v_cndmask_b32_e32 v53, 0, v53, vcc_lo
	s_delay_alu instid0(VALU_DEP_1) | instskip(NEXT) | instid1(VALU_DEP_3)
	v_ldexp_f64 v[52:53], v[52:53], 2
	v_add_f64 v[62:63], v[66:67], v[46:47]
	v_fma_f64 v[38:39], v[60:61], v[38:39], -v[66:67]
	s_delay_alu instid0(VALU_DEP_2) | instskip(NEXT) | instid1(VALU_DEP_1)
	v_add_f64 v[54:55], v[62:63], v[40:41]
	v_add_f64 v[58:59], v[48:49], v[54:55]
	v_add_f64 v[68:69], v[54:55], -v[62:63]
	s_delay_alu instid0(VALU_DEP_2) | instskip(NEXT) | instid1(VALU_DEP_2)
	v_add_f64 v[64:65], v[58:59], v[52:53]
	v_add_f64 v[74:75], v[54:55], -v[68:69]
	v_add_f64 v[40:41], v[40:41], -v[68:69]
	;; [unrolled: 1-line block ×3, first 2 shown]
	s_delay_alu instid0(VALU_DEP_4) | instskip(SKIP_1) | instid1(VALU_DEP_3)
	v_cmp_gt_f64_e32 vcc_lo, 0, v[64:65]
	v_add_f64 v[64:65], v[62:63], -v[66:67]
	v_add_f64 v[48:49], v[54:55], -v[48:49]
	v_cndmask_b32_e64 v17, 0, 0x40100000, vcc_lo
	s_delay_alu instid0(VALU_DEP_3) | instskip(SKIP_2) | instid1(VALU_DEP_4)
	v_add_f64 v[72:73], v[62:63], -v[64:65]
	v_add_f64 v[46:47], v[46:47], -v[64:65]
	;; [unrolled: 1-line block ×3, first 2 shown]
	v_add_f64 v[52:53], v[52:53], v[16:17]
	s_delay_alu instid0(VALU_DEP_4) | instskip(NEXT) | instid1(VALU_DEP_3)
	v_add_f64 v[64:65], v[66:67], -v[72:73]
	v_add_f64 v[40:41], v[40:41], v[62:63]
	s_delay_alu instid0(VALU_DEP_3) | instskip(NEXT) | instid1(VALU_DEP_3)
	v_add_f64 v[70:71], v[58:59], v[52:53]
	v_add_f64 v[46:47], v[46:47], v[64:65]
	s_delay_alu instid0(VALU_DEP_2) | instskip(NEXT) | instid1(VALU_DEP_2)
	v_cvt_i32_f64_e32 v17, v[70:71]
	v_add_f64 v[40:41], v[46:47], v[40:41]
	s_delay_alu instid0(VALU_DEP_2) | instskip(NEXT) | instid1(VALU_DEP_2)
	v_cvt_f64_i32_e32 v[68:69], v17
	v_add_f64 v[38:39], v[38:39], v[40:41]
	s_delay_alu instid0(VALU_DEP_2) | instskip(NEXT) | instid1(VALU_DEP_2)
	v_add_f64 v[52:53], v[52:53], -v[68:69]
	v_add_f64 v[38:39], v[48:49], v[38:39]
	s_delay_alu instid0(VALU_DEP_2) | instskip(NEXT) | instid1(VALU_DEP_1)
	v_add_f64 v[46:47], v[58:59], v[52:53]
	v_add_f64 v[40:41], v[46:47], -v[52:53]
	v_cmp_le_f64_e32 vcc_lo, 0.5, v[46:47]
	s_delay_alu instid0(VALU_DEP_2) | instskip(SKIP_2) | instid1(VALU_DEP_3)
	v_add_f64 v[40:41], v[58:59], -v[40:41]
	v_add_co_ci_u32_e64 v159, s0, 0, v17, vcc_lo
	v_cndmask_b32_e64 v17, 0, 0x3ff00000, vcc_lo
	v_add_f64 v[38:39], v[38:39], v[40:41]
	s_delay_alu instid0(VALU_DEP_2) | instskip(NEXT) | instid1(VALU_DEP_1)
	v_add_f64 v[40:41], v[46:47], -v[16:17]
	v_add_f64 v[46:47], v[40:41], v[38:39]
	s_delay_alu instid0(VALU_DEP_1) | instskip(SKIP_1) | instid1(VALU_DEP_2)
	v_mul_f64 v[48:49], v[46:47], s[20:21]
	v_add_f64 v[40:41], v[46:47], -v[40:41]
	v_fma_f64 v[52:53], v[46:47], s[20:21], -v[48:49]
	s_delay_alu instid0(VALU_DEP_2) | instskip(NEXT) | instid1(VALU_DEP_2)
	v_add_f64 v[38:39], v[38:39], -v[40:41]
	v_fma_f64 v[40:41], v[46:47], s[28:29], v[52:53]
	s_delay_alu instid0(VALU_DEP_1) | instskip(NEXT) | instid1(VALU_DEP_1)
	v_fma_f64 v[40:41], v[38:39], s[20:21], v[40:41]
	v_add_f64 v[38:39], v[48:49], v[40:41]
	s_delay_alu instid0(VALU_DEP_1) | instskip(NEXT) | instid1(VALU_DEP_1)
	v_add_f64 v[46:47], v[38:39], -v[48:49]
	v_add_f64 v[60:61], v[40:41], -v[46:47]
	s_and_not1_saveexec_b32 s0, s1
	s_cbranch_execnz .LBB150_96
	s_branch .LBB150_97
.LBB150_95:                             ;   in Loop: Header=BB150_73 Depth=1
	s_and_not1_saveexec_b32 s0, s1
	s_cbranch_execz .LBB150_97
.LBB150_96:                             ;   in Loop: Header=BB150_73 Depth=1
	v_mul_f64 v[38:39], |v[6:7]|, s[30:31]
	s_mov_b32 s26, s34
	s_delay_alu instid0(VALU_DEP_1) | instskip(NEXT) | instid1(VALU_DEP_1)
	v_rndne_f64_e32 v[40:41], v[38:39]
	v_fma_f64 v[38:39], v[40:41], s[24:25], |v[6:7]|
	v_mul_f64 v[46:47], v[40:41], s[34:35]
	v_cvt_i32_f64_e32 v159, v[40:41]
	s_delay_alu instid0(VALU_DEP_3) | instskip(NEXT) | instid1(VALU_DEP_3)
	v_fma_f64 v[52:53], v[40:41], s[34:35], v[38:39]
	v_add_f64 v[48:49], v[38:39], v[46:47]
	s_delay_alu instid0(VALU_DEP_1) | instskip(NEXT) | instid1(VALU_DEP_3)
	v_add_f64 v[38:39], v[38:39], -v[48:49]
	v_add_f64 v[48:49], v[48:49], -v[52:53]
	s_delay_alu instid0(VALU_DEP_2) | instskip(SKIP_1) | instid1(VALU_DEP_2)
	v_add_f64 v[38:39], v[38:39], v[46:47]
	v_fma_f64 v[46:47], v[40:41], s[26:27], v[46:47]
	v_add_f64 v[38:39], v[48:49], v[38:39]
	s_delay_alu instid0(VALU_DEP_1) | instskip(NEXT) | instid1(VALU_DEP_1)
	v_add_f64 v[38:39], v[38:39], -v[46:47]
	v_fma_f64 v[46:47], v[40:41], s[36:37], v[38:39]
	s_delay_alu instid0(VALU_DEP_1) | instskip(NEXT) | instid1(VALU_DEP_1)
	v_add_f64 v[38:39], v[52:53], v[46:47]
	v_add_f64 v[48:49], v[38:39], -v[52:53]
	s_delay_alu instid0(VALU_DEP_1)
	v_add_f64 v[60:61], v[46:47], -v[48:49]
.LBB150_97:                             ;   in Loop: Header=BB150_73 Depth=1
	s_or_b32 exec_lo, exec_lo, s0
	s_waitcnt vmcnt(0)
	v_mul_f64 v[40:41], v[14:15], 0.5
	s_mov_b32 s1, exec_lo
                                        ; implicit-def: $vgpr160
                                        ; implicit-def: $vgpr46_vgpr47
                                        ; implicit-def: $vgpr66_vgpr67
	s_delay_alu instid0(VALU_DEP_1)
	v_cmpx_ngt_f64_e64 0x41d00000, |v[40:41]|
	s_xor_b32 s1, exec_lo, s1
	s_cbranch_execz .LBB150_99
; %bb.98:                               ;   in Loop: Header=BB150_73 Depth=1
	v_ldexp_f64 v[46:47], |v[40:41]|, 0xffffff80
	v_cmp_le_f64_e64 vcc_lo, 0x7b000000, |v[40:41]|
	v_trig_preop_f64 v[48:49], |v[40:41]|, 0
	v_and_b32_e32 v17, 0x7fffffff, v41
	v_trig_preop_f64 v[52:53], |v[40:41]|, 1
	v_trig_preop_f64 v[66:67], |v[40:41]|, 2
	s_mov_b32 s20, s24
	s_mov_b32 s29, s27
	v_dual_cndmask_b32 v46, v40, v46 :: v_dual_cndmask_b32 v47, v17, v47
	s_delay_alu instid0(VALU_DEP_1) | instskip(NEXT) | instid1(VALU_DEP_4)
	v_mul_f64 v[54:55], v[48:49], v[46:47]
	v_mul_f64 v[58:59], v[52:53], v[46:47]
	s_delay_alu instid0(VALU_DEP_2) | instskip(NEXT) | instid1(VALU_DEP_2)
	v_fma_f64 v[48:49], v[48:49], v[46:47], -v[54:55]
	v_fma_f64 v[52:53], v[52:53], v[46:47], -v[58:59]
	s_delay_alu instid0(VALU_DEP_2) | instskip(NEXT) | instid1(VALU_DEP_1)
	v_add_f64 v[62:63], v[58:59], v[48:49]
	v_add_f64 v[64:65], v[62:63], -v[58:59]
	v_add_f64 v[70:71], v[54:55], v[62:63]
	s_delay_alu instid0(VALU_DEP_2) | instskip(SKIP_1) | instid1(VALU_DEP_3)
	v_add_f64 v[68:69], v[62:63], -v[64:65]
	v_add_f64 v[48:49], v[48:49], -v[64:65]
	v_ldexp_f64 v[64:65], v[70:71], -2
	v_add_f64 v[54:55], v[70:71], -v[54:55]
	s_delay_alu instid0(VALU_DEP_4) | instskip(NEXT) | instid1(VALU_DEP_3)
	v_add_f64 v[58:59], v[58:59], -v[68:69]
	v_cmp_neq_f64_e64 vcc_lo, 0x7ff00000, |v[64:65]|
	s_delay_alu instid0(VALU_DEP_3) | instskip(NEXT) | instid1(VALU_DEP_3)
	v_add_f64 v[54:55], v[62:63], -v[54:55]
	v_add_f64 v[48:49], v[48:49], v[58:59]
	v_fract_f64_e32 v[58:59], v[64:65]
	s_delay_alu instid0(VALU_DEP_1) | instskip(SKIP_1) | instid1(VALU_DEP_3)
	v_cndmask_b32_e32 v58, 0, v58, vcc_lo
	v_mul_f64 v[72:73], v[66:67], v[46:47]
	v_cndmask_b32_e32 v59, 0, v59, vcc_lo
	s_delay_alu instid0(VALU_DEP_1) | instskip(NEXT) | instid1(VALU_DEP_3)
	v_ldexp_f64 v[58:59], v[58:59], 2
	v_add_f64 v[68:69], v[72:73], v[52:53]
	v_fma_f64 v[46:47], v[66:67], v[46:47], -v[72:73]
	s_delay_alu instid0(VALU_DEP_2) | instskip(NEXT) | instid1(VALU_DEP_1)
	v_add_f64 v[62:63], v[68:69], v[48:49]
	v_add_f64 v[64:65], v[54:55], v[62:63]
	v_add_f64 v[74:75], v[62:63], -v[68:69]
	s_delay_alu instid0(VALU_DEP_2) | instskip(NEXT) | instid1(VALU_DEP_2)
	v_add_f64 v[70:71], v[64:65], v[58:59]
	v_add_f64 v[80:81], v[62:63], -v[74:75]
	v_add_f64 v[48:49], v[48:49], -v[74:75]
	;; [unrolled: 1-line block ×3, first 2 shown]
	s_delay_alu instid0(VALU_DEP_4) | instskip(SKIP_1) | instid1(VALU_DEP_3)
	v_cmp_gt_f64_e32 vcc_lo, 0, v[70:71]
	v_add_f64 v[70:71], v[68:69], -v[72:73]
	v_add_f64 v[54:55], v[62:63], -v[54:55]
	v_cndmask_b32_e64 v17, 0, 0x40100000, vcc_lo
	s_delay_alu instid0(VALU_DEP_3) | instskip(SKIP_2) | instid1(VALU_DEP_4)
	v_add_f64 v[78:79], v[68:69], -v[70:71]
	v_add_f64 v[52:53], v[52:53], -v[70:71]
	;; [unrolled: 1-line block ×3, first 2 shown]
	v_add_f64 v[58:59], v[58:59], v[16:17]
	s_delay_alu instid0(VALU_DEP_4) | instskip(NEXT) | instid1(VALU_DEP_3)
	v_add_f64 v[70:71], v[72:73], -v[78:79]
	v_add_f64 v[48:49], v[48:49], v[68:69]
	s_delay_alu instid0(VALU_DEP_3) | instskip(NEXT) | instid1(VALU_DEP_3)
	v_add_f64 v[76:77], v[64:65], v[58:59]
	v_add_f64 v[52:53], v[52:53], v[70:71]
	s_delay_alu instid0(VALU_DEP_2) | instskip(NEXT) | instid1(VALU_DEP_2)
	v_cvt_i32_f64_e32 v17, v[76:77]
	v_add_f64 v[48:49], v[52:53], v[48:49]
	s_delay_alu instid0(VALU_DEP_2) | instskip(NEXT) | instid1(VALU_DEP_2)
	v_cvt_f64_i32_e32 v[74:75], v17
	v_add_f64 v[46:47], v[46:47], v[48:49]
	s_delay_alu instid0(VALU_DEP_2) | instskip(NEXT) | instid1(VALU_DEP_2)
	v_add_f64 v[58:59], v[58:59], -v[74:75]
	v_add_f64 v[46:47], v[54:55], v[46:47]
	s_delay_alu instid0(VALU_DEP_2) | instskip(NEXT) | instid1(VALU_DEP_1)
	v_add_f64 v[52:53], v[64:65], v[58:59]
	v_add_f64 v[48:49], v[52:53], -v[58:59]
	v_cmp_le_f64_e32 vcc_lo, 0.5, v[52:53]
	s_delay_alu instid0(VALU_DEP_2) | instskip(SKIP_2) | instid1(VALU_DEP_3)
	v_add_f64 v[48:49], v[64:65], -v[48:49]
	v_add_co_ci_u32_e64 v160, s0, 0, v17, vcc_lo
	v_cndmask_b32_e64 v17, 0, 0x3ff00000, vcc_lo
	v_add_f64 v[46:47], v[46:47], v[48:49]
	s_delay_alu instid0(VALU_DEP_2) | instskip(NEXT) | instid1(VALU_DEP_1)
	v_add_f64 v[48:49], v[52:53], -v[16:17]
	v_add_f64 v[52:53], v[48:49], v[46:47]
	s_delay_alu instid0(VALU_DEP_1) | instskip(SKIP_1) | instid1(VALU_DEP_2)
	v_mul_f64 v[54:55], v[52:53], s[20:21]
	v_add_f64 v[48:49], v[52:53], -v[48:49]
	v_fma_f64 v[58:59], v[52:53], s[20:21], -v[54:55]
	s_delay_alu instid0(VALU_DEP_2) | instskip(NEXT) | instid1(VALU_DEP_2)
	v_add_f64 v[46:47], v[46:47], -v[48:49]
	v_fma_f64 v[48:49], v[52:53], s[28:29], v[58:59]
	s_delay_alu instid0(VALU_DEP_1) | instskip(NEXT) | instid1(VALU_DEP_1)
	v_fma_f64 v[48:49], v[46:47], s[20:21], v[48:49]
	v_add_f64 v[46:47], v[54:55], v[48:49]
	s_delay_alu instid0(VALU_DEP_1) | instskip(NEXT) | instid1(VALU_DEP_1)
	v_add_f64 v[52:53], v[46:47], -v[54:55]
	v_add_f64 v[66:67], v[48:49], -v[52:53]
.LBB150_99:                             ;   in Loop: Header=BB150_73 Depth=1
	s_and_not1_saveexec_b32 s0, s1
	s_cbranch_execz .LBB150_101
; %bb.100:                              ;   in Loop: Header=BB150_73 Depth=1
	v_mul_f64 v[46:47], |v[40:41]|, s[30:31]
	s_mov_b32 s26, s34
	s_delay_alu instid0(VALU_DEP_1) | instskip(NEXT) | instid1(VALU_DEP_1)
	v_rndne_f64_e32 v[48:49], v[46:47]
	v_fma_f64 v[46:47], v[48:49], s[24:25], |v[40:41]|
	v_mul_f64 v[52:53], v[48:49], s[34:35]
	v_cvt_i32_f64_e32 v160, v[48:49]
	s_delay_alu instid0(VALU_DEP_3) | instskip(NEXT) | instid1(VALU_DEP_3)
	v_fma_f64 v[58:59], v[48:49], s[34:35], v[46:47]
	v_add_f64 v[54:55], v[46:47], v[52:53]
	s_delay_alu instid0(VALU_DEP_1) | instskip(NEXT) | instid1(VALU_DEP_3)
	v_add_f64 v[46:47], v[46:47], -v[54:55]
	v_add_f64 v[54:55], v[54:55], -v[58:59]
	s_delay_alu instid0(VALU_DEP_2) | instskip(SKIP_1) | instid1(VALU_DEP_2)
	v_add_f64 v[46:47], v[46:47], v[52:53]
	v_fma_f64 v[52:53], v[48:49], s[26:27], v[52:53]
	v_add_f64 v[46:47], v[54:55], v[46:47]
	s_delay_alu instid0(VALU_DEP_1) | instskip(NEXT) | instid1(VALU_DEP_1)
	v_add_f64 v[46:47], v[46:47], -v[52:53]
	v_fma_f64 v[52:53], v[48:49], s[36:37], v[46:47]
	s_delay_alu instid0(VALU_DEP_1) | instskip(NEXT) | instid1(VALU_DEP_1)
	v_add_f64 v[46:47], v[58:59], v[52:53]
	v_add_f64 v[54:55], v[46:47], -v[58:59]
	s_delay_alu instid0(VALU_DEP_1)
	v_add_f64 v[66:67], v[52:53], -v[54:55]
.LBB150_101:                            ;   in Loop: Header=BB150_73 Depth=1
	s_or_b32 exec_lo, exec_lo, s0
	v_cmp_ngt_f64_e64 s1, 0x41d00000, |v[14:15]|
                                        ; implicit-def: $vgpr161
                                        ; implicit-def: $vgpr48_vgpr49
                                        ; implicit-def: $vgpr68_vgpr69
	s_delay_alu instid0(VALU_DEP_1) | instskip(NEXT) | instid1(SALU_CYCLE_1)
	s_and_saveexec_b32 s0, s1
	s_xor_b32 s2, exec_lo, s0
	s_cbranch_execz .LBB150_103
; %bb.102:                              ;   in Loop: Header=BB150_73 Depth=1
	v_ldexp_f64 v[48:49], |v[14:15]|, 0xffffff80
	v_cmp_le_f64_e64 vcc_lo, 0x7b000000, |v[14:15]|
	v_trig_preop_f64 v[52:53], |v[14:15]|, 0
	v_and_b32_e32 v17, 0x7fffffff, v15
	v_trig_preop_f64 v[54:55], |v[14:15]|, 1
	v_trig_preop_f64 v[70:71], |v[14:15]|, 2
	s_mov_b32 s20, s24
	s_mov_b32 s29, s27
	v_dual_cndmask_b32 v48, v14, v48 :: v_dual_cndmask_b32 v49, v17, v49
	s_delay_alu instid0(VALU_DEP_1) | instskip(NEXT) | instid1(VALU_DEP_4)
	v_mul_f64 v[58:59], v[52:53], v[48:49]
	v_mul_f64 v[62:63], v[54:55], v[48:49]
	s_delay_alu instid0(VALU_DEP_2) | instskip(NEXT) | instid1(VALU_DEP_2)
	v_fma_f64 v[52:53], v[52:53], v[48:49], -v[58:59]
	v_fma_f64 v[54:55], v[54:55], v[48:49], -v[62:63]
	s_delay_alu instid0(VALU_DEP_2) | instskip(NEXT) | instid1(VALU_DEP_1)
	v_add_f64 v[64:65], v[62:63], v[52:53]
	v_add_f64 v[68:69], v[64:65], -v[62:63]
	v_add_f64 v[74:75], v[58:59], v[64:65]
	s_delay_alu instid0(VALU_DEP_2) | instskip(SKIP_1) | instid1(VALU_DEP_3)
	v_add_f64 v[72:73], v[64:65], -v[68:69]
	v_add_f64 v[52:53], v[52:53], -v[68:69]
	v_ldexp_f64 v[68:69], v[74:75], -2
	v_add_f64 v[58:59], v[74:75], -v[58:59]
	s_delay_alu instid0(VALU_DEP_4) | instskip(NEXT) | instid1(VALU_DEP_3)
	v_add_f64 v[62:63], v[62:63], -v[72:73]
	v_cmp_neq_f64_e64 vcc_lo, 0x7ff00000, |v[68:69]|
	s_delay_alu instid0(VALU_DEP_3) | instskip(NEXT) | instid1(VALU_DEP_3)
	v_add_f64 v[58:59], v[64:65], -v[58:59]
	v_add_f64 v[52:53], v[52:53], v[62:63]
	v_fract_f64_e32 v[62:63], v[68:69]
	s_delay_alu instid0(VALU_DEP_1) | instskip(SKIP_1) | instid1(VALU_DEP_3)
	v_cndmask_b32_e32 v62, 0, v62, vcc_lo
	v_mul_f64 v[76:77], v[70:71], v[48:49]
	v_cndmask_b32_e32 v63, 0, v63, vcc_lo
	s_delay_alu instid0(VALU_DEP_1) | instskip(NEXT) | instid1(VALU_DEP_3)
	v_ldexp_f64 v[62:63], v[62:63], 2
	v_add_f64 v[72:73], v[76:77], v[54:55]
	v_fma_f64 v[48:49], v[70:71], v[48:49], -v[76:77]
	s_delay_alu instid0(VALU_DEP_2) | instskip(NEXT) | instid1(VALU_DEP_1)
	v_add_f64 v[64:65], v[72:73], v[52:53]
	v_add_f64 v[68:69], v[58:59], v[64:65]
	v_add_f64 v[78:79], v[64:65], -v[72:73]
	s_delay_alu instid0(VALU_DEP_2) | instskip(NEXT) | instid1(VALU_DEP_2)
	v_add_f64 v[74:75], v[68:69], v[62:63]
	v_add_f64 v[84:85], v[64:65], -v[78:79]
	v_add_f64 v[52:53], v[52:53], -v[78:79]
	;; [unrolled: 1-line block ×3, first 2 shown]
	s_delay_alu instid0(VALU_DEP_4) | instskip(SKIP_1) | instid1(VALU_DEP_3)
	v_cmp_gt_f64_e32 vcc_lo, 0, v[74:75]
	v_add_f64 v[74:75], v[72:73], -v[76:77]
	v_add_f64 v[58:59], v[64:65], -v[58:59]
	v_cndmask_b32_e64 v17, 0, 0x40100000, vcc_lo
	s_delay_alu instid0(VALU_DEP_3) | instskip(SKIP_2) | instid1(VALU_DEP_4)
	v_add_f64 v[82:83], v[72:73], -v[74:75]
	v_add_f64 v[54:55], v[54:55], -v[74:75]
	;; [unrolled: 1-line block ×3, first 2 shown]
	v_add_f64 v[62:63], v[62:63], v[16:17]
	s_delay_alu instid0(VALU_DEP_4) | instskip(NEXT) | instid1(VALU_DEP_3)
	v_add_f64 v[74:75], v[76:77], -v[82:83]
	v_add_f64 v[52:53], v[52:53], v[72:73]
	s_delay_alu instid0(VALU_DEP_3) | instskip(NEXT) | instid1(VALU_DEP_3)
	v_add_f64 v[80:81], v[68:69], v[62:63]
	v_add_f64 v[54:55], v[54:55], v[74:75]
	s_delay_alu instid0(VALU_DEP_2) | instskip(NEXT) | instid1(VALU_DEP_2)
	v_cvt_i32_f64_e32 v17, v[80:81]
	v_add_f64 v[52:53], v[54:55], v[52:53]
	s_delay_alu instid0(VALU_DEP_2) | instskip(NEXT) | instid1(VALU_DEP_2)
	v_cvt_f64_i32_e32 v[78:79], v17
	v_add_f64 v[48:49], v[48:49], v[52:53]
	s_delay_alu instid0(VALU_DEP_2) | instskip(NEXT) | instid1(VALU_DEP_2)
	v_add_f64 v[62:63], v[62:63], -v[78:79]
	v_add_f64 v[48:49], v[58:59], v[48:49]
	s_delay_alu instid0(VALU_DEP_2) | instskip(NEXT) | instid1(VALU_DEP_1)
	v_add_f64 v[54:55], v[68:69], v[62:63]
	v_add_f64 v[52:53], v[54:55], -v[62:63]
	v_cmp_le_f64_e32 vcc_lo, 0.5, v[54:55]
	s_delay_alu instid0(VALU_DEP_2) | instskip(SKIP_2) | instid1(VALU_DEP_3)
	v_add_f64 v[52:53], v[68:69], -v[52:53]
	v_add_co_ci_u32_e64 v161, s0, 0, v17, vcc_lo
	v_cndmask_b32_e64 v17, 0, 0x3ff00000, vcc_lo
	v_add_f64 v[48:49], v[48:49], v[52:53]
	s_delay_alu instid0(VALU_DEP_2) | instskip(NEXT) | instid1(VALU_DEP_1)
	v_add_f64 v[52:53], v[54:55], -v[16:17]
	v_add_f64 v[54:55], v[52:53], v[48:49]
	s_delay_alu instid0(VALU_DEP_1) | instskip(SKIP_1) | instid1(VALU_DEP_2)
	v_mul_f64 v[58:59], v[54:55], s[20:21]
	v_add_f64 v[52:53], v[54:55], -v[52:53]
	v_fma_f64 v[62:63], v[54:55], s[20:21], -v[58:59]
	s_delay_alu instid0(VALU_DEP_2) | instskip(NEXT) | instid1(VALU_DEP_2)
	v_add_f64 v[48:49], v[48:49], -v[52:53]
	v_fma_f64 v[52:53], v[54:55], s[28:29], v[62:63]
	s_delay_alu instid0(VALU_DEP_1) | instskip(NEXT) | instid1(VALU_DEP_1)
	v_fma_f64 v[52:53], v[48:49], s[20:21], v[52:53]
	v_add_f64 v[48:49], v[58:59], v[52:53]
	s_delay_alu instid0(VALU_DEP_1) | instskip(NEXT) | instid1(VALU_DEP_1)
	v_add_f64 v[54:55], v[48:49], -v[58:59]
	v_add_f64 v[68:69], v[52:53], -v[54:55]
	s_and_not1_saveexec_b32 s0, s2
	s_cbranch_execz .LBB150_105
	s_branch .LBB150_104
.LBB150_103:                            ;   in Loop: Header=BB150_73 Depth=1
	s_and_not1_saveexec_b32 s0, s2
	s_cbranch_execz .LBB150_105
.LBB150_104:                            ;   in Loop: Header=BB150_73 Depth=1
	v_mul_f64 v[48:49], |v[14:15]|, s[30:31]
	s_mov_b32 s26, s34
	s_delay_alu instid0(VALU_DEP_1) | instskip(NEXT) | instid1(VALU_DEP_1)
	v_rndne_f64_e32 v[52:53], v[48:49]
	v_fma_f64 v[48:49], v[52:53], s[24:25], |v[14:15]|
	v_mul_f64 v[54:55], v[52:53], s[34:35]
	v_cvt_i32_f64_e32 v161, v[52:53]
	s_delay_alu instid0(VALU_DEP_3) | instskip(NEXT) | instid1(VALU_DEP_3)
	v_fma_f64 v[62:63], v[52:53], s[34:35], v[48:49]
	v_add_f64 v[58:59], v[48:49], v[54:55]
	s_delay_alu instid0(VALU_DEP_1) | instskip(NEXT) | instid1(VALU_DEP_3)
	v_add_f64 v[48:49], v[48:49], -v[58:59]
	v_add_f64 v[58:59], v[58:59], -v[62:63]
	s_delay_alu instid0(VALU_DEP_2) | instskip(SKIP_1) | instid1(VALU_DEP_2)
	v_add_f64 v[48:49], v[48:49], v[54:55]
	v_fma_f64 v[54:55], v[52:53], s[26:27], v[54:55]
	v_add_f64 v[48:49], v[58:59], v[48:49]
	s_delay_alu instid0(VALU_DEP_1) | instskip(NEXT) | instid1(VALU_DEP_1)
	v_add_f64 v[48:49], v[48:49], -v[54:55]
	v_fma_f64 v[54:55], v[52:53], s[36:37], v[48:49]
	s_delay_alu instid0(VALU_DEP_1) | instskip(NEXT) | instid1(VALU_DEP_1)
	v_add_f64 v[48:49], v[62:63], v[54:55]
	v_add_f64 v[58:59], v[48:49], -v[62:63]
	s_delay_alu instid0(VALU_DEP_1)
	v_add_f64 v[68:69], v[54:55], -v[58:59]
.LBB150_105:                            ;   in Loop: Header=BB150_73 Depth=1
	s_or_b32 exec_lo, exec_lo, s0
                                        ; implicit-def: $vgpr162
                                        ; implicit-def: $vgpr52_vgpr53
                                        ; implicit-def: $vgpr72_vgpr73
	s_and_saveexec_b32 s0, s1
	s_delay_alu instid0(SALU_CYCLE_1)
	s_xor_b32 s1, exec_lo, s0
	s_cbranch_execz .LBB150_107
; %bb.106:                              ;   in Loop: Header=BB150_73 Depth=1
	v_ldexp_f64 v[52:53], |v[14:15]|, 0xffffff80
	v_cmp_le_f64_e64 vcc_lo, 0x7b000000, |v[14:15]|
	v_trig_preop_f64 v[54:55], |v[14:15]|, 0
	v_and_b32_e32 v17, 0x7fffffff, v15
	v_trig_preop_f64 v[58:59], |v[14:15]|, 1
	v_trig_preop_f64 v[74:75], |v[14:15]|, 2
	s_mov_b32 s20, s24
	s_mov_b32 s29, s27
	v_dual_cndmask_b32 v52, v14, v52 :: v_dual_cndmask_b32 v53, v17, v53
	s_delay_alu instid0(VALU_DEP_1) | instskip(NEXT) | instid1(VALU_DEP_4)
	v_mul_f64 v[62:63], v[54:55], v[52:53]
	v_mul_f64 v[64:65], v[58:59], v[52:53]
	s_delay_alu instid0(VALU_DEP_2) | instskip(NEXT) | instid1(VALU_DEP_2)
	v_fma_f64 v[54:55], v[54:55], v[52:53], -v[62:63]
	v_fma_f64 v[58:59], v[58:59], v[52:53], -v[64:65]
	s_delay_alu instid0(VALU_DEP_2) | instskip(NEXT) | instid1(VALU_DEP_1)
	v_add_f64 v[70:71], v[64:65], v[54:55]
	v_add_f64 v[72:73], v[70:71], -v[64:65]
	v_add_f64 v[78:79], v[62:63], v[70:71]
	s_delay_alu instid0(VALU_DEP_2) | instskip(SKIP_1) | instid1(VALU_DEP_3)
	v_add_f64 v[76:77], v[70:71], -v[72:73]
	v_add_f64 v[54:55], v[54:55], -v[72:73]
	v_ldexp_f64 v[72:73], v[78:79], -2
	v_add_f64 v[62:63], v[78:79], -v[62:63]
	s_delay_alu instid0(VALU_DEP_4) | instskip(NEXT) | instid1(VALU_DEP_3)
	v_add_f64 v[64:65], v[64:65], -v[76:77]
	v_cmp_neq_f64_e64 vcc_lo, 0x7ff00000, |v[72:73]|
	s_delay_alu instid0(VALU_DEP_3) | instskip(NEXT) | instid1(VALU_DEP_3)
	v_add_f64 v[62:63], v[70:71], -v[62:63]
	v_add_f64 v[54:55], v[54:55], v[64:65]
	v_fract_f64_e32 v[64:65], v[72:73]
	s_delay_alu instid0(VALU_DEP_1) | instskip(SKIP_1) | instid1(VALU_DEP_3)
	v_cndmask_b32_e32 v64, 0, v64, vcc_lo
	v_mul_f64 v[80:81], v[74:75], v[52:53]
	v_cndmask_b32_e32 v65, 0, v65, vcc_lo
	s_delay_alu instid0(VALU_DEP_1) | instskip(NEXT) | instid1(VALU_DEP_3)
	v_ldexp_f64 v[64:65], v[64:65], 2
	v_add_f64 v[76:77], v[80:81], v[58:59]
	v_fma_f64 v[52:53], v[74:75], v[52:53], -v[80:81]
	s_delay_alu instid0(VALU_DEP_2) | instskip(NEXT) | instid1(VALU_DEP_1)
	v_add_f64 v[70:71], v[76:77], v[54:55]
	v_add_f64 v[72:73], v[62:63], v[70:71]
	v_add_f64 v[82:83], v[70:71], -v[76:77]
	s_delay_alu instid0(VALU_DEP_2) | instskip(NEXT) | instid1(VALU_DEP_2)
	v_add_f64 v[78:79], v[72:73], v[64:65]
	v_add_f64 v[88:89], v[70:71], -v[82:83]
	v_add_f64 v[54:55], v[54:55], -v[82:83]
	;; [unrolled: 1-line block ×3, first 2 shown]
	s_delay_alu instid0(VALU_DEP_4) | instskip(SKIP_1) | instid1(VALU_DEP_3)
	v_cmp_gt_f64_e32 vcc_lo, 0, v[78:79]
	v_add_f64 v[78:79], v[76:77], -v[80:81]
	v_add_f64 v[62:63], v[70:71], -v[62:63]
	v_cndmask_b32_e64 v17, 0, 0x40100000, vcc_lo
	s_delay_alu instid0(VALU_DEP_3) | instskip(SKIP_2) | instid1(VALU_DEP_4)
	v_add_f64 v[86:87], v[76:77], -v[78:79]
	v_add_f64 v[58:59], v[58:59], -v[78:79]
	;; [unrolled: 1-line block ×3, first 2 shown]
	v_add_f64 v[64:65], v[64:65], v[16:17]
	s_delay_alu instid0(VALU_DEP_4) | instskip(NEXT) | instid1(VALU_DEP_3)
	v_add_f64 v[78:79], v[80:81], -v[86:87]
	v_add_f64 v[54:55], v[54:55], v[76:77]
	s_delay_alu instid0(VALU_DEP_3) | instskip(NEXT) | instid1(VALU_DEP_3)
	v_add_f64 v[84:85], v[72:73], v[64:65]
	v_add_f64 v[58:59], v[58:59], v[78:79]
	s_delay_alu instid0(VALU_DEP_2) | instskip(NEXT) | instid1(VALU_DEP_2)
	v_cvt_i32_f64_e32 v17, v[84:85]
	v_add_f64 v[54:55], v[58:59], v[54:55]
	s_delay_alu instid0(VALU_DEP_2) | instskip(NEXT) | instid1(VALU_DEP_2)
	v_cvt_f64_i32_e32 v[82:83], v17
	v_add_f64 v[52:53], v[52:53], v[54:55]
	s_delay_alu instid0(VALU_DEP_2) | instskip(NEXT) | instid1(VALU_DEP_2)
	v_add_f64 v[64:65], v[64:65], -v[82:83]
	v_add_f64 v[52:53], v[62:63], v[52:53]
	s_delay_alu instid0(VALU_DEP_2) | instskip(NEXT) | instid1(VALU_DEP_1)
	v_add_f64 v[58:59], v[72:73], v[64:65]
	v_add_f64 v[54:55], v[58:59], -v[64:65]
	v_cmp_le_f64_e32 vcc_lo, 0.5, v[58:59]
	s_delay_alu instid0(VALU_DEP_2) | instskip(SKIP_2) | instid1(VALU_DEP_3)
	v_add_f64 v[54:55], v[72:73], -v[54:55]
	v_add_co_ci_u32_e64 v162, s0, 0, v17, vcc_lo
	v_cndmask_b32_e64 v17, 0, 0x3ff00000, vcc_lo
	v_add_f64 v[52:53], v[52:53], v[54:55]
	s_delay_alu instid0(VALU_DEP_2) | instskip(NEXT) | instid1(VALU_DEP_1)
	v_add_f64 v[54:55], v[58:59], -v[16:17]
	v_add_f64 v[58:59], v[54:55], v[52:53]
	s_delay_alu instid0(VALU_DEP_1) | instskip(SKIP_1) | instid1(VALU_DEP_2)
	v_mul_f64 v[62:63], v[58:59], s[20:21]
	v_add_f64 v[54:55], v[58:59], -v[54:55]
	v_fma_f64 v[64:65], v[58:59], s[20:21], -v[62:63]
	s_delay_alu instid0(VALU_DEP_2) | instskip(NEXT) | instid1(VALU_DEP_2)
	v_add_f64 v[52:53], v[52:53], -v[54:55]
	v_fma_f64 v[54:55], v[58:59], s[28:29], v[64:65]
	s_delay_alu instid0(VALU_DEP_1) | instskip(NEXT) | instid1(VALU_DEP_1)
	v_fma_f64 v[54:55], v[52:53], s[20:21], v[54:55]
	v_add_f64 v[52:53], v[62:63], v[54:55]
	s_delay_alu instid0(VALU_DEP_1) | instskip(NEXT) | instid1(VALU_DEP_1)
	v_add_f64 v[58:59], v[52:53], -v[62:63]
	v_add_f64 v[72:73], v[54:55], -v[58:59]
	s_and_not1_saveexec_b32 s0, s1
	s_cbranch_execnz .LBB150_108
	s_branch .LBB150_109
.LBB150_107:                            ;   in Loop: Header=BB150_73 Depth=1
	s_and_not1_saveexec_b32 s0, s1
	s_cbranch_execz .LBB150_109
.LBB150_108:                            ;   in Loop: Header=BB150_73 Depth=1
	v_mul_f64 v[52:53], |v[14:15]|, s[30:31]
	s_mov_b32 s26, s34
	s_delay_alu instid0(VALU_DEP_1) | instskip(NEXT) | instid1(VALU_DEP_1)
	v_rndne_f64_e32 v[54:55], v[52:53]
	v_fma_f64 v[52:53], v[54:55], s[24:25], |v[14:15]|
	v_mul_f64 v[58:59], v[54:55], s[34:35]
	v_cvt_i32_f64_e32 v162, v[54:55]
	s_delay_alu instid0(VALU_DEP_3) | instskip(NEXT) | instid1(VALU_DEP_3)
	v_fma_f64 v[64:65], v[54:55], s[34:35], v[52:53]
	v_add_f64 v[62:63], v[52:53], v[58:59]
	s_delay_alu instid0(VALU_DEP_1) | instskip(NEXT) | instid1(VALU_DEP_3)
	v_add_f64 v[52:53], v[52:53], -v[62:63]
	v_add_f64 v[62:63], v[62:63], -v[64:65]
	s_delay_alu instid0(VALU_DEP_2) | instskip(SKIP_1) | instid1(VALU_DEP_2)
	v_add_f64 v[52:53], v[52:53], v[58:59]
	v_fma_f64 v[58:59], v[54:55], s[26:27], v[58:59]
	v_add_f64 v[52:53], v[62:63], v[52:53]
	s_delay_alu instid0(VALU_DEP_1) | instskip(NEXT) | instid1(VALU_DEP_1)
	v_add_f64 v[52:53], v[52:53], -v[58:59]
	v_fma_f64 v[58:59], v[54:55], s[36:37], v[52:53]
	s_delay_alu instid0(VALU_DEP_1) | instskip(NEXT) | instid1(VALU_DEP_1)
	v_add_f64 v[52:53], v[64:65], v[58:59]
	v_add_f64 v[62:63], v[52:53], -v[64:65]
	s_delay_alu instid0(VALU_DEP_1)
	v_add_f64 v[72:73], v[58:59], -v[62:63]
.LBB150_109:                            ;   in Loop: Header=BB150_73 Depth=1
	s_or_b32 exec_lo, exec_lo, s0
	v_mul_f64 v[54:55], v[2:3], 0.5
	s_mov_b32 s1, exec_lo
                                        ; implicit-def: $vgpr163
                                        ; implicit-def: $vgpr58_vgpr59
                                        ; implicit-def: $vgpr70_vgpr71
	s_delay_alu instid0(VALU_DEP_1)
	v_cmpx_ngt_f64_e64 0x41d00000, |v[54:55]|
	s_xor_b32 s1, exec_lo, s1
	s_cbranch_execz .LBB150_111
; %bb.110:                              ;   in Loop: Header=BB150_73 Depth=1
	v_ldexp_f64 v[58:59], |v[54:55]|, 0xffffff80
	v_cmp_le_f64_e64 vcc_lo, 0x7b000000, |v[54:55]|
	v_trig_preop_f64 v[62:63], |v[54:55]|, 0
	v_and_b32_e32 v17, 0x7fffffff, v55
	v_trig_preop_f64 v[64:65], |v[54:55]|, 1
	v_trig_preop_f64 v[80:81], |v[54:55]|, 2
	s_mov_b32 s20, s24
	s_mov_b32 s29, s27
	v_dual_cndmask_b32 v58, v54, v58 :: v_dual_cndmask_b32 v59, v17, v59
	s_delay_alu instid0(VALU_DEP_1) | instskip(NEXT) | instid1(VALU_DEP_4)
	v_mul_f64 v[70:71], v[62:63], v[58:59]
	v_mul_f64 v[74:75], v[64:65], v[58:59]
	s_delay_alu instid0(VALU_DEP_2) | instskip(NEXT) | instid1(VALU_DEP_2)
	v_fma_f64 v[62:63], v[62:63], v[58:59], -v[70:71]
	v_fma_f64 v[64:65], v[64:65], v[58:59], -v[74:75]
	s_delay_alu instid0(VALU_DEP_2) | instskip(NEXT) | instid1(VALU_DEP_1)
	v_add_f64 v[76:77], v[74:75], v[62:63]
	v_add_f64 v[78:79], v[76:77], -v[74:75]
	v_add_f64 v[84:85], v[70:71], v[76:77]
	s_delay_alu instid0(VALU_DEP_2) | instskip(SKIP_1) | instid1(VALU_DEP_3)
	v_add_f64 v[82:83], v[76:77], -v[78:79]
	v_add_f64 v[62:63], v[62:63], -v[78:79]
	v_ldexp_f64 v[78:79], v[84:85], -2
	v_add_f64 v[70:71], v[84:85], -v[70:71]
	s_delay_alu instid0(VALU_DEP_4) | instskip(NEXT) | instid1(VALU_DEP_3)
	v_add_f64 v[74:75], v[74:75], -v[82:83]
	v_cmp_neq_f64_e64 vcc_lo, 0x7ff00000, |v[78:79]|
	s_delay_alu instid0(VALU_DEP_3) | instskip(NEXT) | instid1(VALU_DEP_3)
	v_add_f64 v[70:71], v[76:77], -v[70:71]
	v_add_f64 v[62:63], v[62:63], v[74:75]
	v_fract_f64_e32 v[74:75], v[78:79]
	s_delay_alu instid0(VALU_DEP_1) | instskip(SKIP_1) | instid1(VALU_DEP_3)
	v_cndmask_b32_e32 v74, 0, v74, vcc_lo
	v_mul_f64 v[86:87], v[80:81], v[58:59]
	v_cndmask_b32_e32 v75, 0, v75, vcc_lo
	s_delay_alu instid0(VALU_DEP_1) | instskip(NEXT) | instid1(VALU_DEP_3)
	v_ldexp_f64 v[74:75], v[74:75], 2
	v_add_f64 v[82:83], v[86:87], v[64:65]
	v_fma_f64 v[58:59], v[80:81], v[58:59], -v[86:87]
	s_delay_alu instid0(VALU_DEP_2) | instskip(NEXT) | instid1(VALU_DEP_1)
	v_add_f64 v[76:77], v[82:83], v[62:63]
	v_add_f64 v[78:79], v[70:71], v[76:77]
	v_add_f64 v[88:89], v[76:77], -v[82:83]
	s_delay_alu instid0(VALU_DEP_2) | instskip(NEXT) | instid1(VALU_DEP_2)
	v_add_f64 v[84:85], v[78:79], v[74:75]
	v_add_f64 v[94:95], v[76:77], -v[88:89]
	v_add_f64 v[62:63], v[62:63], -v[88:89]
	;; [unrolled: 1-line block ×3, first 2 shown]
	s_delay_alu instid0(VALU_DEP_4) | instskip(SKIP_1) | instid1(VALU_DEP_3)
	v_cmp_gt_f64_e32 vcc_lo, 0, v[84:85]
	v_add_f64 v[84:85], v[82:83], -v[86:87]
	v_add_f64 v[70:71], v[76:77], -v[70:71]
	v_cndmask_b32_e64 v17, 0, 0x40100000, vcc_lo
	s_delay_alu instid0(VALU_DEP_3) | instskip(SKIP_2) | instid1(VALU_DEP_4)
	v_add_f64 v[92:93], v[82:83], -v[84:85]
	v_add_f64 v[64:65], v[64:65], -v[84:85]
	;; [unrolled: 1-line block ×3, first 2 shown]
	v_add_f64 v[74:75], v[74:75], v[16:17]
	s_delay_alu instid0(VALU_DEP_4) | instskip(NEXT) | instid1(VALU_DEP_3)
	v_add_f64 v[84:85], v[86:87], -v[92:93]
	v_add_f64 v[62:63], v[62:63], v[82:83]
	s_delay_alu instid0(VALU_DEP_3) | instskip(NEXT) | instid1(VALU_DEP_3)
	v_add_f64 v[90:91], v[78:79], v[74:75]
	v_add_f64 v[64:65], v[64:65], v[84:85]
	s_delay_alu instid0(VALU_DEP_2) | instskip(NEXT) | instid1(VALU_DEP_2)
	v_cvt_i32_f64_e32 v17, v[90:91]
	v_add_f64 v[62:63], v[64:65], v[62:63]
	s_delay_alu instid0(VALU_DEP_2) | instskip(NEXT) | instid1(VALU_DEP_2)
	v_cvt_f64_i32_e32 v[88:89], v17
	v_add_f64 v[58:59], v[58:59], v[62:63]
	s_delay_alu instid0(VALU_DEP_2) | instskip(NEXT) | instid1(VALU_DEP_2)
	v_add_f64 v[74:75], v[74:75], -v[88:89]
	v_add_f64 v[58:59], v[70:71], v[58:59]
	s_delay_alu instid0(VALU_DEP_2) | instskip(NEXT) | instid1(VALU_DEP_1)
	v_add_f64 v[64:65], v[78:79], v[74:75]
	v_add_f64 v[62:63], v[64:65], -v[74:75]
	v_cmp_le_f64_e32 vcc_lo, 0.5, v[64:65]
	s_delay_alu instid0(VALU_DEP_2) | instskip(SKIP_2) | instid1(VALU_DEP_3)
	v_add_f64 v[62:63], v[78:79], -v[62:63]
	v_add_co_ci_u32_e64 v163, s0, 0, v17, vcc_lo
	v_cndmask_b32_e64 v17, 0, 0x3ff00000, vcc_lo
	v_add_f64 v[58:59], v[58:59], v[62:63]
	s_delay_alu instid0(VALU_DEP_2) | instskip(NEXT) | instid1(VALU_DEP_1)
	v_add_f64 v[62:63], v[64:65], -v[16:17]
	v_add_f64 v[64:65], v[62:63], v[58:59]
	s_delay_alu instid0(VALU_DEP_1) | instskip(SKIP_1) | instid1(VALU_DEP_2)
	v_mul_f64 v[70:71], v[64:65], s[20:21]
	v_add_f64 v[62:63], v[64:65], -v[62:63]
	v_fma_f64 v[74:75], v[64:65], s[20:21], -v[70:71]
	s_delay_alu instid0(VALU_DEP_2) | instskip(NEXT) | instid1(VALU_DEP_2)
	v_add_f64 v[58:59], v[58:59], -v[62:63]
	v_fma_f64 v[62:63], v[64:65], s[28:29], v[74:75]
	s_delay_alu instid0(VALU_DEP_1) | instskip(NEXT) | instid1(VALU_DEP_1)
	v_fma_f64 v[62:63], v[58:59], s[20:21], v[62:63]
	v_add_f64 v[58:59], v[70:71], v[62:63]
	s_delay_alu instid0(VALU_DEP_1) | instskip(NEXT) | instid1(VALU_DEP_1)
	v_add_f64 v[64:65], v[58:59], -v[70:71]
	v_add_f64 v[70:71], v[62:63], -v[64:65]
.LBB150_111:                            ;   in Loop: Header=BB150_73 Depth=1
	s_and_not1_saveexec_b32 s0, s1
	s_cbranch_execz .LBB150_113
; %bb.112:                              ;   in Loop: Header=BB150_73 Depth=1
	v_mul_f64 v[58:59], |v[54:55]|, s[30:31]
	s_mov_b32 s26, s34
	s_delay_alu instid0(VALU_DEP_1) | instskip(NEXT) | instid1(VALU_DEP_1)
	v_rndne_f64_e32 v[62:63], v[58:59]
	v_fma_f64 v[58:59], v[62:63], s[24:25], |v[54:55]|
	v_mul_f64 v[64:65], v[62:63], s[34:35]
	v_cvt_i32_f64_e32 v163, v[62:63]
	s_delay_alu instid0(VALU_DEP_3) | instskip(NEXT) | instid1(VALU_DEP_3)
	v_fma_f64 v[74:75], v[62:63], s[34:35], v[58:59]
	v_add_f64 v[70:71], v[58:59], v[64:65]
	s_delay_alu instid0(VALU_DEP_1) | instskip(NEXT) | instid1(VALU_DEP_3)
	v_add_f64 v[58:59], v[58:59], -v[70:71]
	v_add_f64 v[70:71], v[70:71], -v[74:75]
	s_delay_alu instid0(VALU_DEP_2) | instskip(SKIP_1) | instid1(VALU_DEP_2)
	v_add_f64 v[58:59], v[58:59], v[64:65]
	v_fma_f64 v[64:65], v[62:63], s[26:27], v[64:65]
	v_add_f64 v[58:59], v[70:71], v[58:59]
	s_delay_alu instid0(VALU_DEP_1) | instskip(NEXT) | instid1(VALU_DEP_1)
	v_add_f64 v[58:59], v[58:59], -v[64:65]
	v_fma_f64 v[64:65], v[62:63], s[36:37], v[58:59]
	s_delay_alu instid0(VALU_DEP_1) | instskip(NEXT) | instid1(VALU_DEP_1)
	v_add_f64 v[58:59], v[74:75], v[64:65]
	v_add_f64 v[70:71], v[58:59], -v[74:75]
	s_delay_alu instid0(VALU_DEP_1)
	v_add_f64 v[70:71], v[64:65], -v[70:71]
.LBB150_113:                            ;   in Loop: Header=BB150_73 Depth=1
	s_or_b32 exec_lo, exec_lo, s0
	v_cmp_ngt_f64_e64 s1, 0x41d00000, |v[2:3]|
                                        ; implicit-def: $vgpr164
                                        ; implicit-def: $vgpr62_vgpr63
                                        ; implicit-def: $vgpr74_vgpr75
	s_delay_alu instid0(VALU_DEP_1) | instskip(NEXT) | instid1(SALU_CYCLE_1)
	s_and_saveexec_b32 s0, s1
	s_xor_b32 s2, exec_lo, s0
	s_cbranch_execz .LBB150_115
; %bb.114:                              ;   in Loop: Header=BB150_73 Depth=1
	v_ldexp_f64 v[62:63], |v[2:3]|, 0xffffff80
	v_cmp_le_f64_e64 vcc_lo, 0x7b000000, |v[2:3]|
	v_trig_preop_f64 v[64:65], |v[2:3]|, 0
	v_and_b32_e32 v17, 0x7fffffff, v3
	v_trig_preop_f64 v[74:75], |v[2:3]|, 1
	v_trig_preop_f64 v[84:85], |v[2:3]|, 2
	s_mov_b32 s20, s24
	s_mov_b32 s29, s27
	v_dual_cndmask_b32 v62, v2, v62 :: v_dual_cndmask_b32 v63, v17, v63
	s_delay_alu instid0(VALU_DEP_1) | instskip(NEXT) | instid1(VALU_DEP_4)
	v_mul_f64 v[76:77], v[64:65], v[62:63]
	v_mul_f64 v[78:79], v[74:75], v[62:63]
	s_delay_alu instid0(VALU_DEP_2) | instskip(NEXT) | instid1(VALU_DEP_2)
	v_fma_f64 v[64:65], v[64:65], v[62:63], -v[76:77]
	v_fma_f64 v[74:75], v[74:75], v[62:63], -v[78:79]
	s_delay_alu instid0(VALU_DEP_2) | instskip(NEXT) | instid1(VALU_DEP_1)
	v_add_f64 v[80:81], v[78:79], v[64:65]
	v_add_f64 v[82:83], v[80:81], -v[78:79]
	v_add_f64 v[88:89], v[76:77], v[80:81]
	s_delay_alu instid0(VALU_DEP_2) | instskip(SKIP_1) | instid1(VALU_DEP_3)
	v_add_f64 v[86:87], v[80:81], -v[82:83]
	v_add_f64 v[64:65], v[64:65], -v[82:83]
	v_ldexp_f64 v[82:83], v[88:89], -2
	v_add_f64 v[76:77], v[88:89], -v[76:77]
	s_delay_alu instid0(VALU_DEP_4) | instskip(NEXT) | instid1(VALU_DEP_3)
	v_add_f64 v[78:79], v[78:79], -v[86:87]
	v_cmp_neq_f64_e64 vcc_lo, 0x7ff00000, |v[82:83]|
	s_delay_alu instid0(VALU_DEP_3) | instskip(NEXT) | instid1(VALU_DEP_3)
	v_add_f64 v[76:77], v[80:81], -v[76:77]
	v_add_f64 v[64:65], v[64:65], v[78:79]
	v_fract_f64_e32 v[78:79], v[82:83]
	s_delay_alu instid0(VALU_DEP_1) | instskip(SKIP_1) | instid1(VALU_DEP_3)
	v_cndmask_b32_e32 v78, 0, v78, vcc_lo
	v_mul_f64 v[90:91], v[84:85], v[62:63]
	v_cndmask_b32_e32 v79, 0, v79, vcc_lo
	s_delay_alu instid0(VALU_DEP_1) | instskip(NEXT) | instid1(VALU_DEP_3)
	v_ldexp_f64 v[78:79], v[78:79], 2
	v_add_f64 v[86:87], v[90:91], v[74:75]
	v_fma_f64 v[62:63], v[84:85], v[62:63], -v[90:91]
	s_delay_alu instid0(VALU_DEP_2) | instskip(NEXT) | instid1(VALU_DEP_1)
	v_add_f64 v[80:81], v[86:87], v[64:65]
	v_add_f64 v[82:83], v[76:77], v[80:81]
	v_add_f64 v[92:93], v[80:81], -v[86:87]
	s_delay_alu instid0(VALU_DEP_2) | instskip(NEXT) | instid1(VALU_DEP_2)
	v_add_f64 v[88:89], v[82:83], v[78:79]
	v_add_f64 v[98:99], v[80:81], -v[92:93]
	v_add_f64 v[64:65], v[64:65], -v[92:93]
	;; [unrolled: 1-line block ×3, first 2 shown]
	s_delay_alu instid0(VALU_DEP_4) | instskip(SKIP_1) | instid1(VALU_DEP_3)
	v_cmp_gt_f64_e32 vcc_lo, 0, v[88:89]
	v_add_f64 v[88:89], v[86:87], -v[90:91]
	v_add_f64 v[76:77], v[80:81], -v[76:77]
	v_cndmask_b32_e64 v17, 0, 0x40100000, vcc_lo
	s_delay_alu instid0(VALU_DEP_3) | instskip(SKIP_2) | instid1(VALU_DEP_4)
	v_add_f64 v[96:97], v[86:87], -v[88:89]
	v_add_f64 v[74:75], v[74:75], -v[88:89]
	;; [unrolled: 1-line block ×3, first 2 shown]
	v_add_f64 v[78:79], v[78:79], v[16:17]
	s_delay_alu instid0(VALU_DEP_4) | instskip(NEXT) | instid1(VALU_DEP_3)
	v_add_f64 v[88:89], v[90:91], -v[96:97]
	v_add_f64 v[64:65], v[64:65], v[86:87]
	s_delay_alu instid0(VALU_DEP_3) | instskip(NEXT) | instid1(VALU_DEP_3)
	v_add_f64 v[94:95], v[82:83], v[78:79]
	v_add_f64 v[74:75], v[74:75], v[88:89]
	s_delay_alu instid0(VALU_DEP_2) | instskip(NEXT) | instid1(VALU_DEP_2)
	v_cvt_i32_f64_e32 v17, v[94:95]
	v_add_f64 v[64:65], v[74:75], v[64:65]
	s_delay_alu instid0(VALU_DEP_2) | instskip(NEXT) | instid1(VALU_DEP_2)
	v_cvt_f64_i32_e32 v[92:93], v17
	v_add_f64 v[62:63], v[62:63], v[64:65]
	s_delay_alu instid0(VALU_DEP_2) | instskip(NEXT) | instid1(VALU_DEP_2)
	v_add_f64 v[78:79], v[78:79], -v[92:93]
	v_add_f64 v[62:63], v[76:77], v[62:63]
	s_delay_alu instid0(VALU_DEP_2) | instskip(NEXT) | instid1(VALU_DEP_1)
	v_add_f64 v[74:75], v[82:83], v[78:79]
	v_add_f64 v[64:65], v[74:75], -v[78:79]
	v_cmp_le_f64_e32 vcc_lo, 0.5, v[74:75]
	s_delay_alu instid0(VALU_DEP_2) | instskip(SKIP_2) | instid1(VALU_DEP_3)
	v_add_f64 v[64:65], v[82:83], -v[64:65]
	v_add_co_ci_u32_e64 v164, s0, 0, v17, vcc_lo
	v_cndmask_b32_e64 v17, 0, 0x3ff00000, vcc_lo
	v_add_f64 v[62:63], v[62:63], v[64:65]
	s_delay_alu instid0(VALU_DEP_2) | instskip(NEXT) | instid1(VALU_DEP_1)
	v_add_f64 v[64:65], v[74:75], -v[16:17]
	v_add_f64 v[74:75], v[64:65], v[62:63]
	s_delay_alu instid0(VALU_DEP_1) | instskip(SKIP_1) | instid1(VALU_DEP_2)
	v_mul_f64 v[76:77], v[74:75], s[20:21]
	v_add_f64 v[64:65], v[74:75], -v[64:65]
	v_fma_f64 v[78:79], v[74:75], s[20:21], -v[76:77]
	s_delay_alu instid0(VALU_DEP_2) | instskip(NEXT) | instid1(VALU_DEP_2)
	v_add_f64 v[62:63], v[62:63], -v[64:65]
	v_fma_f64 v[64:65], v[74:75], s[28:29], v[78:79]
	s_delay_alu instid0(VALU_DEP_1) | instskip(NEXT) | instid1(VALU_DEP_1)
	v_fma_f64 v[64:65], v[62:63], s[20:21], v[64:65]
	v_add_f64 v[62:63], v[76:77], v[64:65]
	s_delay_alu instid0(VALU_DEP_1) | instskip(NEXT) | instid1(VALU_DEP_1)
	v_add_f64 v[74:75], v[62:63], -v[76:77]
	v_add_f64 v[74:75], v[64:65], -v[74:75]
	s_and_not1_saveexec_b32 s0, s2
	s_cbranch_execz .LBB150_117
	s_branch .LBB150_116
.LBB150_115:                            ;   in Loop: Header=BB150_73 Depth=1
	s_and_not1_saveexec_b32 s0, s2
	s_cbranch_execz .LBB150_117
.LBB150_116:                            ;   in Loop: Header=BB150_73 Depth=1
	v_mul_f64 v[62:63], |v[2:3]|, s[30:31]
	s_mov_b32 s26, s34
	s_delay_alu instid0(VALU_DEP_1) | instskip(NEXT) | instid1(VALU_DEP_1)
	v_rndne_f64_e32 v[64:65], v[62:63]
	v_fma_f64 v[62:63], v[64:65], s[24:25], |v[2:3]|
	v_mul_f64 v[74:75], v[64:65], s[34:35]
	v_cvt_i32_f64_e32 v164, v[64:65]
	s_delay_alu instid0(VALU_DEP_3) | instskip(NEXT) | instid1(VALU_DEP_3)
	v_fma_f64 v[78:79], v[64:65], s[34:35], v[62:63]
	v_add_f64 v[76:77], v[62:63], v[74:75]
	s_delay_alu instid0(VALU_DEP_1) | instskip(NEXT) | instid1(VALU_DEP_3)
	v_add_f64 v[62:63], v[62:63], -v[76:77]
	v_add_f64 v[76:77], v[76:77], -v[78:79]
	s_delay_alu instid0(VALU_DEP_2) | instskip(SKIP_1) | instid1(VALU_DEP_2)
	v_add_f64 v[62:63], v[62:63], v[74:75]
	v_fma_f64 v[74:75], v[64:65], s[26:27], v[74:75]
	v_add_f64 v[62:63], v[76:77], v[62:63]
	s_delay_alu instid0(VALU_DEP_1) | instskip(NEXT) | instid1(VALU_DEP_1)
	v_add_f64 v[62:63], v[62:63], -v[74:75]
	v_fma_f64 v[74:75], v[64:65], s[36:37], v[62:63]
	s_delay_alu instid0(VALU_DEP_1) | instskip(NEXT) | instid1(VALU_DEP_1)
	v_add_f64 v[62:63], v[78:79], v[74:75]
	v_add_f64 v[76:77], v[62:63], -v[78:79]
	s_delay_alu instid0(VALU_DEP_1)
	v_add_f64 v[74:75], v[74:75], -v[76:77]
.LBB150_117:                            ;   in Loop: Header=BB150_73 Depth=1
	s_or_b32 exec_lo, exec_lo, s0
                                        ; implicit-def: $vgpr165
                                        ; implicit-def: $vgpr64_vgpr65
                                        ; implicit-def: $vgpr82_vgpr83
	s_and_saveexec_b32 s0, s1
	s_delay_alu instid0(SALU_CYCLE_1)
	s_xor_b32 s1, exec_lo, s0
	s_cbranch_execz .LBB150_119
; %bb.118:                              ;   in Loop: Header=BB150_73 Depth=1
	v_ldexp_f64 v[64:65], |v[2:3]|, 0xffffff80
	v_cmp_le_f64_e64 vcc_lo, 0x7b000000, |v[2:3]|
	v_trig_preop_f64 v[76:77], |v[2:3]|, 0
	v_and_b32_e32 v17, 0x7fffffff, v3
	v_trig_preop_f64 v[78:79], |v[2:3]|, 1
	v_trig_preop_f64 v[88:89], |v[2:3]|, 2
	s_mov_b32 s20, s24
	s_mov_b32 s29, s27
	v_dual_cndmask_b32 v64, v2, v64 :: v_dual_cndmask_b32 v65, v17, v65
	s_delay_alu instid0(VALU_DEP_1) | instskip(NEXT) | instid1(VALU_DEP_4)
	v_mul_f64 v[80:81], v[76:77], v[64:65]
	v_mul_f64 v[82:83], v[78:79], v[64:65]
	s_delay_alu instid0(VALU_DEP_2) | instskip(NEXT) | instid1(VALU_DEP_2)
	v_fma_f64 v[76:77], v[76:77], v[64:65], -v[80:81]
	v_fma_f64 v[78:79], v[78:79], v[64:65], -v[82:83]
	s_delay_alu instid0(VALU_DEP_2) | instskip(NEXT) | instid1(VALU_DEP_1)
	v_add_f64 v[84:85], v[82:83], v[76:77]
	v_add_f64 v[86:87], v[84:85], -v[82:83]
	v_add_f64 v[92:93], v[80:81], v[84:85]
	s_delay_alu instid0(VALU_DEP_2) | instskip(SKIP_1) | instid1(VALU_DEP_3)
	v_add_f64 v[90:91], v[84:85], -v[86:87]
	v_add_f64 v[76:77], v[76:77], -v[86:87]
	v_ldexp_f64 v[86:87], v[92:93], -2
	v_add_f64 v[80:81], v[92:93], -v[80:81]
	s_delay_alu instid0(VALU_DEP_4) | instskip(NEXT) | instid1(VALU_DEP_3)
	v_add_f64 v[82:83], v[82:83], -v[90:91]
	v_cmp_neq_f64_e64 vcc_lo, 0x7ff00000, |v[86:87]|
	s_delay_alu instid0(VALU_DEP_3) | instskip(NEXT) | instid1(VALU_DEP_3)
	v_add_f64 v[80:81], v[84:85], -v[80:81]
	v_add_f64 v[76:77], v[76:77], v[82:83]
	v_fract_f64_e32 v[82:83], v[86:87]
	s_delay_alu instid0(VALU_DEP_1) | instskip(SKIP_1) | instid1(VALU_DEP_3)
	v_cndmask_b32_e32 v82, 0, v82, vcc_lo
	v_mul_f64 v[94:95], v[88:89], v[64:65]
	v_cndmask_b32_e32 v83, 0, v83, vcc_lo
	s_delay_alu instid0(VALU_DEP_1) | instskip(NEXT) | instid1(VALU_DEP_3)
	v_ldexp_f64 v[82:83], v[82:83], 2
	v_add_f64 v[90:91], v[94:95], v[78:79]
	v_fma_f64 v[64:65], v[88:89], v[64:65], -v[94:95]
	s_delay_alu instid0(VALU_DEP_2) | instskip(NEXT) | instid1(VALU_DEP_1)
	v_add_f64 v[84:85], v[90:91], v[76:77]
	v_add_f64 v[86:87], v[80:81], v[84:85]
	v_add_f64 v[96:97], v[84:85], -v[90:91]
	s_delay_alu instid0(VALU_DEP_2) | instskip(NEXT) | instid1(VALU_DEP_2)
	v_add_f64 v[92:93], v[86:87], v[82:83]
	v_add_f64 v[102:103], v[84:85], -v[96:97]
	v_add_f64 v[76:77], v[76:77], -v[96:97]
	;; [unrolled: 1-line block ×3, first 2 shown]
	s_delay_alu instid0(VALU_DEP_4) | instskip(SKIP_1) | instid1(VALU_DEP_3)
	v_cmp_gt_f64_e32 vcc_lo, 0, v[92:93]
	v_add_f64 v[92:93], v[90:91], -v[94:95]
	v_add_f64 v[80:81], v[84:85], -v[80:81]
	v_cndmask_b32_e64 v17, 0, 0x40100000, vcc_lo
	s_delay_alu instid0(VALU_DEP_3) | instskip(SKIP_2) | instid1(VALU_DEP_4)
	v_add_f64 v[100:101], v[90:91], -v[92:93]
	v_add_f64 v[78:79], v[78:79], -v[92:93]
	;; [unrolled: 1-line block ×3, first 2 shown]
	v_add_f64 v[82:83], v[82:83], v[16:17]
	s_delay_alu instid0(VALU_DEP_4) | instskip(NEXT) | instid1(VALU_DEP_3)
	v_add_f64 v[92:93], v[94:95], -v[100:101]
	v_add_f64 v[76:77], v[76:77], v[90:91]
	s_delay_alu instid0(VALU_DEP_3) | instskip(NEXT) | instid1(VALU_DEP_3)
	v_add_f64 v[98:99], v[86:87], v[82:83]
	v_add_f64 v[78:79], v[78:79], v[92:93]
	s_delay_alu instid0(VALU_DEP_2) | instskip(NEXT) | instid1(VALU_DEP_2)
	v_cvt_i32_f64_e32 v17, v[98:99]
	v_add_f64 v[76:77], v[78:79], v[76:77]
	s_delay_alu instid0(VALU_DEP_2) | instskip(NEXT) | instid1(VALU_DEP_2)
	v_cvt_f64_i32_e32 v[96:97], v17
	v_add_f64 v[64:65], v[64:65], v[76:77]
	s_delay_alu instid0(VALU_DEP_2) | instskip(NEXT) | instid1(VALU_DEP_2)
	v_add_f64 v[82:83], v[82:83], -v[96:97]
	v_add_f64 v[64:65], v[80:81], v[64:65]
	s_delay_alu instid0(VALU_DEP_2) | instskip(NEXT) | instid1(VALU_DEP_1)
	v_add_f64 v[78:79], v[86:87], v[82:83]
	v_add_f64 v[76:77], v[78:79], -v[82:83]
	v_cmp_le_f64_e32 vcc_lo, 0.5, v[78:79]
	s_delay_alu instid0(VALU_DEP_2) | instskip(SKIP_2) | instid1(VALU_DEP_3)
	v_add_f64 v[76:77], v[86:87], -v[76:77]
	v_add_co_ci_u32_e64 v165, s0, 0, v17, vcc_lo
	v_cndmask_b32_e64 v17, 0, 0x3ff00000, vcc_lo
	v_add_f64 v[64:65], v[64:65], v[76:77]
	s_delay_alu instid0(VALU_DEP_2) | instskip(NEXT) | instid1(VALU_DEP_1)
	v_add_f64 v[76:77], v[78:79], -v[16:17]
	v_add_f64 v[78:79], v[76:77], v[64:65]
	s_delay_alu instid0(VALU_DEP_1) | instskip(SKIP_1) | instid1(VALU_DEP_2)
	v_mul_f64 v[80:81], v[78:79], s[20:21]
	v_add_f64 v[76:77], v[78:79], -v[76:77]
	v_fma_f64 v[82:83], v[78:79], s[20:21], -v[80:81]
	s_delay_alu instid0(VALU_DEP_2) | instskip(NEXT) | instid1(VALU_DEP_2)
	v_add_f64 v[64:65], v[64:65], -v[76:77]
	v_fma_f64 v[76:77], v[78:79], s[28:29], v[82:83]
	s_delay_alu instid0(VALU_DEP_1) | instskip(NEXT) | instid1(VALU_DEP_1)
	v_fma_f64 v[76:77], v[64:65], s[20:21], v[76:77]
	v_add_f64 v[64:65], v[80:81], v[76:77]
	s_delay_alu instid0(VALU_DEP_1) | instskip(NEXT) | instid1(VALU_DEP_1)
	v_add_f64 v[78:79], v[64:65], -v[80:81]
	v_add_f64 v[82:83], v[76:77], -v[78:79]
	s_and_not1_saveexec_b32 s0, s1
	s_cbranch_execz .LBB150_72
	s_branch .LBB150_120
.LBB150_119:                            ;   in Loop: Header=BB150_73 Depth=1
	s_and_not1_saveexec_b32 s0, s1
	s_cbranch_execz .LBB150_72
.LBB150_120:                            ;   in Loop: Header=BB150_73 Depth=1
	v_mul_f64 v[64:65], |v[2:3]|, s[30:31]
	s_mov_b32 s26, s34
	s_delay_alu instid0(VALU_DEP_1) | instskip(NEXT) | instid1(VALU_DEP_1)
	v_rndne_f64_e32 v[76:77], v[64:65]
	v_fma_f64 v[64:65], v[76:77], s[24:25], |v[2:3]|
	v_mul_f64 v[78:79], v[76:77], s[34:35]
	v_cvt_i32_f64_e32 v165, v[76:77]
	s_delay_alu instid0(VALU_DEP_3) | instskip(NEXT) | instid1(VALU_DEP_3)
	v_fma_f64 v[82:83], v[76:77], s[34:35], v[64:65]
	v_add_f64 v[80:81], v[64:65], v[78:79]
	s_delay_alu instid0(VALU_DEP_1) | instskip(NEXT) | instid1(VALU_DEP_3)
	v_add_f64 v[64:65], v[64:65], -v[80:81]
	v_add_f64 v[80:81], v[80:81], -v[82:83]
	s_delay_alu instid0(VALU_DEP_2) | instskip(SKIP_1) | instid1(VALU_DEP_2)
	v_add_f64 v[64:65], v[64:65], v[78:79]
	v_fma_f64 v[78:79], v[76:77], s[26:27], v[78:79]
	v_add_f64 v[64:65], v[80:81], v[64:65]
	s_delay_alu instid0(VALU_DEP_1) | instskip(NEXT) | instid1(VALU_DEP_1)
	v_add_f64 v[64:65], v[64:65], -v[78:79]
	v_fma_f64 v[78:79], v[76:77], s[36:37], v[64:65]
	s_delay_alu instid0(VALU_DEP_1) | instskip(NEXT) | instid1(VALU_DEP_1)
	v_add_f64 v[64:65], v[82:83], v[78:79]
	v_add_f64 v[80:81], v[64:65], -v[82:83]
	s_delay_alu instid0(VALU_DEP_1)
	v_add_f64 v[82:83], v[78:79], -v[80:81]
	s_branch .LBB150_72
.LBB150_121:
	s_nop 0
	s_sendmsg sendmsg(MSG_DEALLOC_VGPRS)
	s_endpgm
	.section	.rodata,"a",@progbits
	.p2align	6, 0x0
	.amdhsa_kernel _ZN2at6native12_GLOBAL__N_125multi_tensor_apply_kernelINS1_18TensorListMetadataILi1EEENS1_14UnaryOpFunctorIN3c107complexIdEELi1ELi1ELi0EEEJNS0_5Expm1IS8_EEEEEvT_T0_DpT1_
		.amdhsa_group_segment_fixed_size 0
		.amdhsa_private_segment_fixed_size 0
		.amdhsa_kernarg_size 3632
		.amdhsa_user_sgpr_count 15
		.amdhsa_user_sgpr_dispatch_ptr 0
		.amdhsa_user_sgpr_queue_ptr 0
		.amdhsa_user_sgpr_kernarg_segment_ptr 1
		.amdhsa_user_sgpr_dispatch_id 0
		.amdhsa_user_sgpr_private_segment_size 0
		.amdhsa_wavefront_size32 1
		.amdhsa_uses_dynamic_stack 0
		.amdhsa_enable_private_segment 0
		.amdhsa_system_sgpr_workgroup_id_x 1
		.amdhsa_system_sgpr_workgroup_id_y 0
		.amdhsa_system_sgpr_workgroup_id_z 0
		.amdhsa_system_sgpr_workgroup_info 0
		.amdhsa_system_vgpr_workitem_id 0
		.amdhsa_next_free_vgpr 201
		.amdhsa_next_free_sgpr 105
		.amdhsa_reserve_vcc 1
		.amdhsa_float_round_mode_32 0
		.amdhsa_float_round_mode_16_64 0
		.amdhsa_float_denorm_mode_32 3
		.amdhsa_float_denorm_mode_16_64 3
		.amdhsa_dx10_clamp 1
		.amdhsa_ieee_mode 1
		.amdhsa_fp16_overflow 0
		.amdhsa_workgroup_processor_mode 1
		.amdhsa_memory_ordered 1
		.amdhsa_forward_progress 0
		.amdhsa_shared_vgpr_count 0
		.amdhsa_exception_fp_ieee_invalid_op 0
		.amdhsa_exception_fp_denorm_src 0
		.amdhsa_exception_fp_ieee_div_zero 0
		.amdhsa_exception_fp_ieee_overflow 0
		.amdhsa_exception_fp_ieee_underflow 0
		.amdhsa_exception_fp_ieee_inexact 0
		.amdhsa_exception_int_div_zero 0
	.end_amdhsa_kernel
	.section	.text._ZN2at6native12_GLOBAL__N_125multi_tensor_apply_kernelINS1_18TensorListMetadataILi1EEENS1_14UnaryOpFunctorIN3c107complexIdEELi1ELi1ELi0EEEJNS0_5Expm1IS8_EEEEEvT_T0_DpT1_,"axG",@progbits,_ZN2at6native12_GLOBAL__N_125multi_tensor_apply_kernelINS1_18TensorListMetadataILi1EEENS1_14UnaryOpFunctorIN3c107complexIdEELi1ELi1ELi0EEEJNS0_5Expm1IS8_EEEEEvT_T0_DpT1_,comdat
.Lfunc_end150:
	.size	_ZN2at6native12_GLOBAL__N_125multi_tensor_apply_kernelINS1_18TensorListMetadataILi1EEENS1_14UnaryOpFunctorIN3c107complexIdEELi1ELi1ELi0EEEJNS0_5Expm1IS8_EEEEEvT_T0_DpT1_, .Lfunc_end150-_ZN2at6native12_GLOBAL__N_125multi_tensor_apply_kernelINS1_18TensorListMetadataILi1EEENS1_14UnaryOpFunctorIN3c107complexIdEELi1ELi1ELi0EEEJNS0_5Expm1IS8_EEEEEvT_T0_DpT1_
                                        ; -- End function
	.section	.AMDGPU.csdata,"",@progbits
; Kernel info:
; codeLenInByte = 34268
; NumSgprs: 107
; NumVgprs: 201
; ScratchSize: 0
; MemoryBound: 1
; FloatMode: 240
; IeeeMode: 1
; LDSByteSize: 0 bytes/workgroup (compile time only)
; SGPRBlocks: 13
; VGPRBlocks: 25
; NumSGPRsForWavesPerEU: 107
; NumVGPRsForWavesPerEU: 201
; Occupancy: 7
; WaveLimiterHint : 0
; COMPUTE_PGM_RSRC2:SCRATCH_EN: 0
; COMPUTE_PGM_RSRC2:USER_SGPR: 15
; COMPUTE_PGM_RSRC2:TRAP_HANDLER: 0
; COMPUTE_PGM_RSRC2:TGID_X_EN: 1
; COMPUTE_PGM_RSRC2:TGID_Y_EN: 0
; COMPUTE_PGM_RSRC2:TGID_Z_EN: 0
; COMPUTE_PGM_RSRC2:TIDIG_COMP_CNT: 0
	.section	.text._ZN2at6native12_GLOBAL__N_125multi_tensor_apply_kernelINS1_18TensorListMetadataILi1EEENS1_14UnaryOpFunctorIN3c107complexIfEELi1ELi1ELi0EEEJNS0_5Expm1IS8_EEEEEvT_T0_DpT1_,"axG",@progbits,_ZN2at6native12_GLOBAL__N_125multi_tensor_apply_kernelINS1_18TensorListMetadataILi1EEENS1_14UnaryOpFunctorIN3c107complexIfEELi1ELi1ELi0EEEJNS0_5Expm1IS8_EEEEEvT_T0_DpT1_,comdat
	.globl	_ZN2at6native12_GLOBAL__N_125multi_tensor_apply_kernelINS1_18TensorListMetadataILi1EEENS1_14UnaryOpFunctorIN3c107complexIfEELi1ELi1ELi0EEEJNS0_5Expm1IS8_EEEEEvT_T0_DpT1_ ; -- Begin function _ZN2at6native12_GLOBAL__N_125multi_tensor_apply_kernelINS1_18TensorListMetadataILi1EEENS1_14UnaryOpFunctorIN3c107complexIfEELi1ELi1ELi0EEEJNS0_5Expm1IS8_EEEEEvT_T0_DpT1_
	.p2align	8
	.type	_ZN2at6native12_GLOBAL__N_125multi_tensor_apply_kernelINS1_18TensorListMetadataILi1EEENS1_14UnaryOpFunctorIN3c107complexIfEELi1ELi1ELi0EEEJNS0_5Expm1IS8_EEEEEvT_T0_DpT1_,@function
_ZN2at6native12_GLOBAL__N_125multi_tensor_apply_kernelINS1_18TensorListMetadataILi1EEENS1_14UnaryOpFunctorIN3c107complexIfEELi1ELi1ELi0EEEJNS0_5Expm1IS8_EEEEEvT_T0_DpT1_: ; @_ZN2at6native12_GLOBAL__N_125multi_tensor_apply_kernelINS1_18TensorListMetadataILi1EEENS1_14UnaryOpFunctorIN3c107complexIfEELi1ELi1ELi0EEEJNS0_5Expm1IS8_EEEEEvT_T0_DpT1_
; %bb.0:
	v_mov_b32_e32 v1, s15
	s_add_u32 s2, s0, s15
	s_mul_hi_u32 s3, s15, 3
	s_mul_i32 s15, s15, 3
	s_addc_u32 s4, s1, 0
	global_load_u8 v1, v1, s[0:1] offset:1760
	s_add_u32 s2, s2, s15
	s_addc_u32 s3, s4, s3
	s_mov_b32 s7, 0
	s_load_b32 s2, s[2:3], 0x820
	s_waitcnt vmcnt(0)
	v_readfirstlane_b32 s5, v1
	s_delay_alu instid0(VALU_DEP_1)
	s_lshl_b32 s3, s5, 3
	s_clause 0x1
	s_load_b64 s[12:13], s[0:1], s3 offset:0x0
	s_load_b64 s[4:5], s[0:1], s3 offset:0x370
	s_waitcnt lgkmcnt(0)
	s_ashr_i32 s3, s2, 31
	s_delay_alu instid0(SALU_CYCLE_1) | instskip(NEXT) | instid1(SALU_CYCLE_1)
	s_lshl_b64 s[14:15], s[2:3], 19
	s_add_u32 s9, s12, s14
	s_addc_u32 s20, s13, s15
	s_lshl_b64 s[2:3], s[2:3], 16
	s_and_b32 s6, s9, 31
	s_sub_u32 s10, s4, s2
	s_subb_u32 s11, s5, s3
	s_and_b32 s2, s4, 3
	s_mov_b32 s3, s7
	s_delay_alu instid0(SALU_CYCLE_1) | instskip(NEXT) | instid1(SALU_CYCLE_1)
	s_or_b64 s[2:3], s[6:7], s[2:3]
	s_cmp_eq_u64 s[2:3], 0
	s_cbranch_scc1 .LBB151_69
; %bb.1:
	v_cmp_lt_i64_e64 s2, s[10:11], 1
	s_delay_alu instid0(VALU_DEP_1)
	s_and_b32 vcc_lo, exec_lo, s2
	s_cbranch_vccnz .LBB151_68
; %bb.2:
	s_load_b32 s2, s[0:1], 0xd3c
	v_dual_mov_b32 v2, 0 :: v_dual_lshlrev_b32 v3, 3, v0
	v_cmp_gt_u64_e64 s3, 0x10000, s[10:11]
	s_mov_b64 s[18:19], 0
	s_mov_b32 s23, 0x7fffff
	s_mov_b32 s24, 0x395133b1
	;; [unrolled: 1-line block ×4, first 2 shown]
	s_waitcnt lgkmcnt(0)
	s_and_b32 s2, s2, 0xffff
	s_and_b32 s3, s3, exec_lo
	v_add_co_u32 v15, s5, v0, s2
	v_mov_b32_e32 v4, v2
	s_cselect_b32 s17, s11, 0
	s_cselect_b32 s16, s10, 0x10000
	s_delay_alu instid0(VALU_DEP_2)
	v_lshlrev_b32_e32 v19, 3, v15
	s_lshl_b32 s3, s2, 1
	v_mad_u64_u32 v[5:6], null, s2, 24, v[3:4]
	s_mul_i32 s4, s2, 3
	s_lshl_b32 s21, s2, 2
	s_lshl_b32 s22, s2, 5
	s_lshl_b32 s2, s2, 4
	v_add_co_u32 v4, s4, s4, v0
	v_add_co_u32 v1, s2, s2, v3
	s_delay_alu instid0(VALU_DEP_1)
	v_add_co_ci_u32_e64 v18, null, 0, 0, s2
	v_add_co_u32 v21, s2, s3, v0
	v_add_co_ci_u32_e64 v16, null, 0, 0, s5
	v_add_co_ci_u32_e64 v17, null, 0, 0, s4
	v_or_b32_e32 v20, 4, v1
	v_or_b32_e32 v5, 4, v5
	v_add_co_ci_u32_e64 v22, null, 0, 0, s2
	s_branch .LBB151_4
.LBB151_3:                              ;   in Loop: Header=BB151_4 Depth=1
	s_or_b32 exec_lo, exec_lo, s3
	s_add_u32 s18, s18, s21
	s_addc_u32 s19, s19, 0
	s_delay_alu instid0(SALU_CYCLE_1) | instskip(SKIP_1) | instid1(VALU_DEP_1)
	v_cmp_ge_i64_e64 s2, s[18:19], s[10:11]
	v_cmp_lt_u64_e64 s3, 0xffff, s[18:19]
	s_or_b32 s2, s2, s3
	s_add_u32 s9, s9, s22
	s_addc_u32 s20, s20, 0
	s_and_b32 vcc_lo, exec_lo, s2
	s_cbranch_vccnz .LBB151_68
.LBB151_4:                              ; =>This Inner Loop Header: Depth=1
	v_add_co_u32 v7, s2, v0, s18
	s_delay_alu instid0(VALU_DEP_1) | instskip(SKIP_1) | instid1(VALU_DEP_2)
	v_add_co_ci_u32_e64 v8, null, 0, s19, s2
	v_dual_mov_b32 v14, 0 :: v_dual_mov_b32 v13, 0
	v_cmp_gt_u64_e64 s4, s[16:17], v[7:8]
	s_delay_alu instid0(VALU_DEP_1)
	s_and_saveexec_b32 s2, s4
	s_cbranch_execz .LBB151_6
; %bb.5:                                ;   in Loop: Header=BB151_4 Depth=1
	v_add_co_u32 v7, s3, s9, v3
	s_delay_alu instid0(VALU_DEP_1)
	v_add_co_ci_u32_e64 v8, null, s20, 0, s3
	global_load_b64 v[13:14], v[7:8], off
.LBB151_6:                              ;   in Loop: Header=BB151_4 Depth=1
	s_or_b32 exec_lo, exec_lo, s2
	v_add_co_u32 v7, vcc_lo, v15, s18
	v_add_co_ci_u32_e32 v8, vcc_lo, s19, v16, vcc_lo
	v_dual_mov_b32 v10, 0 :: v_dual_mov_b32 v11, 0
	v_mov_b32_e32 v12, 0
	s_delay_alu instid0(VALU_DEP_3) | instskip(NEXT) | instid1(VALU_DEP_1)
	v_cmp_gt_u64_e64 s3, s[16:17], v[7:8]
	s_and_saveexec_b32 s2, s3
	s_cbranch_execz .LBB151_8
; %bb.7:                                ;   in Loop: Header=BB151_4 Depth=1
	v_add_co_u32 v7, s5, s9, v19
	s_delay_alu instid0(VALU_DEP_1)
	v_add_co_ci_u32_e64 v8, null, s20, 0, s5
	global_load_b64 v[11:12], v[7:8], off
.LBB151_8:                              ;   in Loop: Header=BB151_4 Depth=1
	s_or_b32 exec_lo, exec_lo, s2
	v_add_co_u32 v7, vcc_lo, v21, s18
	v_add_co_ci_u32_e32 v8, vcc_lo, s19, v22, vcc_lo
	v_mov_b32_e32 v9, 0
	s_delay_alu instid0(VALU_DEP_2) | instskip(NEXT) | instid1(VALU_DEP_1)
	v_cmp_gt_u64_e64 s2, s[16:17], v[7:8]
	s_and_saveexec_b32 s5, s2
	s_cbranch_execz .LBB151_10
; %bb.9:                                ;   in Loop: Header=BB151_4 Depth=1
	v_add_co_u32 v7, vcc_lo, s9, v20
	v_add_co_ci_u32_e32 v8, vcc_lo, s20, v18, vcc_lo
	global_load_b64 v[9:10], v[7:8], off offset:-4
.LBB151_10:                             ;   in Loop: Header=BB151_4 Depth=1
	s_or_b32 exec_lo, exec_lo, s5
	v_add_co_u32 v7, vcc_lo, v4, s18
	v_add_co_ci_u32_e32 v8, vcc_lo, s19, v17, vcc_lo
	s_delay_alu instid0(VALU_DEP_1)
	v_cmp_gt_u64_e32 vcc_lo, s[16:17], v[7:8]
	v_dual_mov_b32 v8, 0 :: v_dual_mov_b32 v7, 0
	s_and_saveexec_b32 s6, vcc_lo
	s_cbranch_execz .LBB151_12
; %bb.11:                               ;   in Loop: Header=BB151_4 Depth=1
	v_add_co_u32 v7, s5, s9, v5
	s_delay_alu instid0(VALU_DEP_1)
	v_add_co_ci_u32_e64 v8, s5, s20, v6, s5
	global_load_b64 v[7:8], v[7:8], off offset:-4
.LBB151_12:                             ;   in Loop: Header=BB151_4 Depth=1
	s_or_b32 exec_lo, exec_lo, s6
	s_waitcnt vmcnt(0)
	v_mul_f32_e32 v23, 0.5, v14
                                        ; implicit-def: $vgpr27
                                        ; implicit-def: $vgpr25
	s_mov_b32 s6, exec_lo
	s_delay_alu instid0(VALU_DEP_1)
	v_and_b32_e32 v24, 0x7fffffff, v23
	v_cmpx_ngt_f32_e64 0x48000000, |v23|
	s_xor_b32 s27, exec_lo, s6
	s_cbranch_execz .LBB151_14
; %bb.13:                               ;   in Loop: Header=BB151_4 Depth=1
	s_delay_alu instid0(VALU_DEP_2) | instskip(SKIP_1) | instid1(VALU_DEP_2)
	v_lshrrev_b32_e32 v30, 23, v24
	v_and_or_b32 v33, v24, s23, 0x800000
	v_add_nc_u32_e32 v31, 0xffffff88, v30
	s_delay_alu instid0(VALU_DEP_2) | instskip(NEXT) | instid1(VALU_DEP_2)
	v_mad_u64_u32 v[25:26], null, 0xfe5163ab, v33, 0
	v_cmp_lt_u32_e64 s5, 63, v31
	s_delay_alu instid0(VALU_DEP_1) | instskip(NEXT) | instid1(VALU_DEP_1)
	v_cndmask_b32_e64 v32, 0, 0xffffffc0, s5
	v_dual_mov_b32 v1, v26 :: v_dual_add_nc_u32 v32, v32, v31
	s_delay_alu instid0(VALU_DEP_1) | instskip(NEXT) | instid1(VALU_DEP_2)
	v_mad_u64_u32 v[26:27], null, 0x3c439041, v33, v[1:2]
	v_cmp_lt_u32_e64 s6, 31, v32
	s_delay_alu instid0(VALU_DEP_1) | instskip(NEXT) | instid1(VALU_DEP_1)
	v_cndmask_b32_e64 v34, 0, 0xffffffe0, s6
	v_dual_mov_b32 v1, v27 :: v_dual_add_nc_u32 v34, v34, v32
	s_delay_alu instid0(VALU_DEP_1) | instskip(NEXT) | instid1(VALU_DEP_2)
	v_mad_u64_u32 v[27:28], null, 0xdb629599, v33, v[1:2]
	v_cmp_lt_u32_e64 s7, 31, v34
	s_delay_alu instid0(VALU_DEP_2) | instskip(NEXT) | instid1(VALU_DEP_3)
	v_mov_b32_e32 v1, v28
	v_cndmask_b32_e64 v25, v27, v25, s5
	s_delay_alu instid0(VALU_DEP_2) | instskip(NEXT) | instid1(VALU_DEP_1)
	v_mad_u64_u32 v[28:29], null, 0xf534ddc0, v33, v[1:2]
	v_mov_b32_e32 v1, v29
	s_delay_alu instid0(VALU_DEP_2) | instskip(NEXT) | instid1(VALU_DEP_2)
	v_cndmask_b32_e64 v26, v28, v26, s5
	v_mad_u64_u32 v[29:30], null, 0xfc2757d1, v33, v[1:2]
	s_delay_alu instid0(VALU_DEP_2) | instskip(NEXT) | instid1(VALU_DEP_2)
	v_cndmask_b32_e64 v25, v26, v25, s6
	v_mov_b32_e32 v1, v30
	s_delay_alu instid0(VALU_DEP_1) | instskip(NEXT) | instid1(VALU_DEP_1)
	v_mad_u64_u32 v[30:31], null, 0x4e441529, v33, v[1:2]
	v_mov_b32_e32 v1, v31
	s_delay_alu instid0(VALU_DEP_1) | instskip(SKIP_1) | instid1(VALU_DEP_4)
	v_mad_u64_u32 v[31:32], null, 0xa2f9836e, v33, v[1:2]
	v_cndmask_b32_e64 v1, 0, 0xffffffe0, s7
	v_cndmask_b32_e64 v33, v30, v28, s5
	s_delay_alu instid0(VALU_DEP_2) | instskip(NEXT) | instid1(VALU_DEP_4)
	v_add_nc_u32_e32 v1, v1, v34
	v_cndmask_b32_e64 v31, v31, v29, s5
	v_cndmask_b32_e64 v30, v32, v30, s5
	;; [unrolled: 1-line block ×3, first 2 shown]
	s_delay_alu instid0(VALU_DEP_4) | instskip(NEXT) | instid1(VALU_DEP_4)
	v_sub_nc_u32_e32 v32, 32, v1
	v_cndmask_b32_e64 v28, v31, v33, s6
	s_delay_alu instid0(VALU_DEP_4) | instskip(NEXT) | instid1(VALU_DEP_4)
	v_cndmask_b32_e64 v30, v30, v31, s6
	v_cndmask_b32_e64 v31, v33, v29, s6
	;; [unrolled: 1-line block ×3, first 2 shown]
	v_cmp_eq_u32_e64 s8, 0, v1
	s_delay_alu instid0(VALU_DEP_4) | instskip(NEXT) | instid1(VALU_DEP_4)
	v_cndmask_b32_e64 v30, v30, v28, s7
	v_cndmask_b32_e64 v28, v28, v31, s7
	s_delay_alu instid0(VALU_DEP_4) | instskip(SKIP_1) | instid1(VALU_DEP_3)
	v_cndmask_b32_e64 v31, v31, v29, s7
	v_cndmask_b32_e64 v25, v29, v25, s7
	v_alignbit_b32 v33, v30, v28, v32
	s_delay_alu instid0(VALU_DEP_3) | instskip(NEXT) | instid1(VALU_DEP_3)
	v_alignbit_b32 v34, v28, v31, v32
	v_alignbit_b32 v32, v31, v25, v32
	s_delay_alu instid0(VALU_DEP_3) | instskip(NEXT) | instid1(VALU_DEP_3)
	v_cndmask_b32_e64 v1, v33, v30, s8
	v_cndmask_b32_e64 v27, v34, v28, s8
	s_delay_alu instid0(VALU_DEP_3) | instskip(NEXT) | instid1(VALU_DEP_3)
	v_cndmask_b32_e64 v31, v32, v31, s8
	v_bfe_u32 v28, v1, 29, 1
	s_delay_alu instid0(VALU_DEP_3) | instskip(NEXT) | instid1(VALU_DEP_3)
	v_alignbit_b32 v26, v1, v27, 30
	v_alignbit_b32 v27, v27, v31, 30
	;; [unrolled: 1-line block ×3, first 2 shown]
	s_delay_alu instid0(VALU_DEP_4) | instskip(NEXT) | instid1(VALU_DEP_1)
	v_sub_nc_u32_e32 v30, 0, v28
	v_xor_b32_e32 v29, v26, v30
	v_cmp_ne_u32_e64 s5, v26, v30
	v_xor_b32_e32 v27, v27, v30
	v_xor_b32_e32 v25, v25, v30
	s_delay_alu instid0(VALU_DEP_4) | instskip(NEXT) | instid1(VALU_DEP_1)
	v_clz_i32_u32_e32 v33, v29
	v_add_nc_u32_e32 v32, 1, v33
	s_delay_alu instid0(VALU_DEP_1) | instskip(NEXT) | instid1(VALU_DEP_1)
	v_cndmask_b32_e64 v26, 33, v32, s5
	v_sub_nc_u32_e32 v31, 32, v26
	s_delay_alu instid0(VALU_DEP_1) | instskip(SKIP_3) | instid1(VALU_DEP_3)
	v_alignbit_b32 v29, v29, v27, v31
	v_alignbit_b32 v25, v27, v25, v31
	v_lshrrev_b32_e32 v27, 29, v1
	v_lshrrev_b32_e32 v1, 30, v1
	v_alignbit_b32 v30, v29, v25, 9
	s_delay_alu instid0(VALU_DEP_3) | instskip(SKIP_1) | instid1(VALU_DEP_3)
	v_lshlrev_b32_e32 v27, 31, v27
	v_alignbit_b32 v29, v26, v29, 9
	v_clz_i32_u32_e32 v31, v30
	s_delay_alu instid0(VALU_DEP_2) | instskip(SKIP_1) | instid1(VALU_DEP_3)
	v_or_b32_e32 v29, v29, v27
	v_or_b32_e32 v27, 0x33800000, v27
	v_min_u32_e32 v31, 32, v31
	s_delay_alu instid0(VALU_DEP_3) | instskip(NEXT) | instid1(VALU_DEP_2)
	v_xor_b32_e32 v29, 1.0, v29
	v_sub_nc_u32_e32 v32, 31, v31
	v_add_lshl_u32 v26, v31, v26, 23
	s_delay_alu instid0(VALU_DEP_3) | instskip(NEXT) | instid1(VALU_DEP_3)
	v_mul_f32_e32 v31, 0x3fc90fda, v29
	v_alignbit_b32 v25, v30, v25, v32
	s_delay_alu instid0(VALU_DEP_3) | instskip(NEXT) | instid1(VALU_DEP_3)
	v_sub_nc_u32_e32 v26, v27, v26
	v_fma_f32 v27, 0x3fc90fda, v29, -v31
	s_delay_alu instid0(VALU_DEP_3) | instskip(NEXT) | instid1(VALU_DEP_2)
	v_lshrrev_b32_e32 v25, 9, v25
	v_fmac_f32_e32 v27, 0x33a22168, v29
	s_delay_alu instid0(VALU_DEP_2) | instskip(NEXT) | instid1(VALU_DEP_1)
	v_or_b32_e32 v25, v26, v25
	v_fmac_f32_e32 v27, 0x3fc90fda, v25
	s_delay_alu instid0(VALU_DEP_1)
	v_add_f32_e32 v25, v31, v27
	v_add_nc_u32_e32 v27, v28, v1
.LBB151_14:                             ;   in Loop: Header=BB151_4 Depth=1
	s_and_not1_saveexec_b32 s5, s27
; %bb.15:                               ;   in Loop: Header=BB151_4 Depth=1
	v_mul_f32_e64 v1, 0x3f22f983, |v23|
	s_delay_alu instid0(VALU_DEP_1) | instskip(NEXT) | instid1(VALU_DEP_1)
	v_rndne_f32_e32 v1, v1
	v_fma_f32 v25, 0xbfc90fda, v1, |v23|
	v_cvt_i32_f32_e32 v27, v1
	s_delay_alu instid0(VALU_DEP_2) | instskip(NEXT) | instid1(VALU_DEP_1)
	v_fmac_f32_e32 v25, 0xb3a22168, v1
	v_fmac_f32_e32 v25, 0xa7c234c4, v1
; %bb.16:                               ;   in Loop: Header=BB151_4 Depth=1
	s_or_b32 exec_lo, exec_lo, s5
	v_and_b32_e32 v26, 0x7fffffff, v14
	v_cmp_ngt_f32_e64 s27, 0x48000000, |v14|
                                        ; implicit-def: $vgpr30
                                        ; implicit-def: $vgpr28
	s_delay_alu instid0(VALU_DEP_2) | instskip(SKIP_1) | instid1(VALU_DEP_2)
	v_lshrrev_b32_e32 v1, 23, v26
	v_and_or_b32 v29, v26, s23, 0x800000
	v_add_nc_u32_e32 v31, 0xffffff88, v1
	s_delay_alu instid0(VALU_DEP_4) | instskip(NEXT) | instid1(SALU_CYCLE_1)
	s_and_saveexec_b32 s5, s27
	s_xor_b32 s28, exec_lo, s5
	s_cbranch_execz .LBB151_18
; %bb.17:                               ;   in Loop: Header=BB151_4 Depth=1
	v_mad_u64_u32 v[32:33], null, 0xfe5163ab, v29, 0
	v_cmp_lt_u32_e64 s5, 63, v31
	s_delay_alu instid0(VALU_DEP_1) | instskip(NEXT) | instid1(VALU_DEP_1)
	v_cndmask_b32_e64 v28, 0, 0xffffffc0, s5
	v_dual_mov_b32 v1, v33 :: v_dual_add_nc_u32 v28, v28, v31
	s_delay_alu instid0(VALU_DEP_1) | instskip(NEXT) | instid1(VALU_DEP_2)
	v_mad_u64_u32 v[33:34], null, 0x3c439041, v29, v[1:2]
	v_cmp_lt_u32_e64 s6, 31, v28
	s_delay_alu instid0(VALU_DEP_2) | instskip(NEXT) | instid1(VALU_DEP_2)
	v_mov_b32_e32 v1, v34
	v_cndmask_b32_e64 v30, 0, 0xffffffe0, s6
	s_delay_alu instid0(VALU_DEP_2) | instskip(NEXT) | instid1(VALU_DEP_2)
	v_mad_u64_u32 v[34:35], null, 0xdb629599, v29, v[1:2]
	v_add_nc_u32_e32 v28, v30, v28
	s_delay_alu instid0(VALU_DEP_1) | instskip(NEXT) | instid1(VALU_DEP_3)
	v_cmp_lt_u32_e64 s7, 31, v28
	v_mov_b32_e32 v1, v35
	s_delay_alu instid0(VALU_DEP_4) | instskip(NEXT) | instid1(VALU_DEP_2)
	v_cndmask_b32_e64 v32, v34, v32, s5
	v_mad_u64_u32 v[35:36], null, 0xf534ddc0, v29, v[1:2]
	s_delay_alu instid0(VALU_DEP_1) | instskip(NEXT) | instid1(VALU_DEP_1)
	v_mov_b32_e32 v1, v36
	v_mad_u64_u32 v[36:37], null, 0xfc2757d1, v29, v[1:2]
	s_delay_alu instid0(VALU_DEP_1) | instskip(NEXT) | instid1(VALU_DEP_1)
	v_mov_b32_e32 v1, v37
	v_mad_u64_u32 v[37:38], null, 0x4e441529, v29, v[1:2]
	s_delay_alu instid0(VALU_DEP_1) | instskip(NEXT) | instid1(VALU_DEP_2)
	v_mov_b32_e32 v1, v38
	v_cndmask_b32_e64 v30, v37, v35, s5
	s_delay_alu instid0(VALU_DEP_2) | instskip(SKIP_1) | instid1(VALU_DEP_1)
	v_mad_u64_u32 v[38:39], null, 0xa2f9836e, v29, v[1:2]
	v_cndmask_b32_e64 v1, 0, 0xffffffe0, s7
	v_add_nc_u32_e32 v1, v1, v28
	s_delay_alu instid0(VALU_DEP_3) | instskip(NEXT) | instid1(VALU_DEP_4)
	v_cndmask_b32_e64 v38, v38, v36, s5
	v_cndmask_b32_e64 v37, v39, v37, s5
	;; [unrolled: 1-line block ×4, first 2 shown]
	v_cmp_eq_u32_e64 s8, 0, v1
	v_cndmask_b32_e64 v33, v38, v30, s6
	v_cndmask_b32_e64 v35, v37, v38, s6
	;; [unrolled: 1-line block ×3, first 2 shown]
	v_sub_nc_u32_e32 v37, 32, v1
	v_cndmask_b32_e64 v36, v36, v28, s6
	v_cndmask_b32_e64 v28, v28, v32, s6
	;; [unrolled: 1-line block ×4, first 2 shown]
	s_delay_alu instid0(VALU_DEP_4) | instskip(NEXT) | instid1(VALU_DEP_4)
	v_cndmask_b32_e64 v30, v30, v36, s7
	v_cndmask_b32_e64 v28, v36, v28, s7
	s_delay_alu instid0(VALU_DEP_3) | instskip(NEXT) | instid1(VALU_DEP_3)
	v_alignbit_b32 v38, v35, v33, v37
	v_alignbit_b32 v39, v33, v30, v37
	s_delay_alu instid0(VALU_DEP_3) | instskip(NEXT) | instid1(VALU_DEP_3)
	v_alignbit_b32 v37, v30, v28, v37
	v_cndmask_b32_e64 v1, v38, v35, s8
	s_delay_alu instid0(VALU_DEP_3) | instskip(NEXT) | instid1(VALU_DEP_3)
	v_cndmask_b32_e64 v33, v39, v33, s8
	v_cndmask_b32_e64 v30, v37, v30, s8
	s_delay_alu instid0(VALU_DEP_3) | instskip(NEXT) | instid1(VALU_DEP_3)
	v_bfe_u32 v34, v1, 29, 1
	v_alignbit_b32 v32, v1, v33, 30
	s_delay_alu instid0(VALU_DEP_3) | instskip(SKIP_1) | instid1(VALU_DEP_4)
	v_alignbit_b32 v33, v33, v30, 30
	v_alignbit_b32 v28, v30, v28, 30
	v_sub_nc_u32_e32 v35, 0, v34
	s_delay_alu instid0(VALU_DEP_1) | instskip(SKIP_3) | instid1(VALU_DEP_4)
	v_xor_b32_e32 v36, v32, v35
	v_cmp_ne_u32_e64 s5, v32, v35
	v_xor_b32_e32 v30, v33, v35
	v_xor_b32_e32 v28, v28, v35
	v_clz_i32_u32_e32 v38, v36
	s_delay_alu instid0(VALU_DEP_1) | instskip(NEXT) | instid1(VALU_DEP_1)
	v_add_nc_u32_e32 v37, 1, v38
	v_cndmask_b32_e64 v32, 33, v37, s5
	s_delay_alu instid0(VALU_DEP_1) | instskip(NEXT) | instid1(VALU_DEP_1)
	v_sub_nc_u32_e32 v33, 32, v32
	v_alignbit_b32 v35, v36, v30, v33
	v_alignbit_b32 v28, v30, v28, v33
	v_lshrrev_b32_e32 v30, 29, v1
	v_lshrrev_b32_e32 v1, 30, v1
	s_delay_alu instid0(VALU_DEP_3) | instskip(NEXT) | instid1(VALU_DEP_3)
	v_alignbit_b32 v33, v35, v28, 9
	v_lshlrev_b32_e32 v30, 31, v30
	v_alignbit_b32 v35, v32, v35, 9
	s_delay_alu instid0(VALU_DEP_3) | instskip(NEXT) | instid1(VALU_DEP_2)
	v_clz_i32_u32_e32 v36, v33
	v_or_b32_e32 v35, v35, v30
	v_or_b32_e32 v30, 0x33800000, v30
	s_delay_alu instid0(VALU_DEP_3) | instskip(NEXT) | instid1(VALU_DEP_3)
	v_min_u32_e32 v36, 32, v36
	v_xor_b32_e32 v35, 1.0, v35
	s_delay_alu instid0(VALU_DEP_2) | instskip(SKIP_1) | instid1(VALU_DEP_3)
	v_sub_nc_u32_e32 v37, 31, v36
	v_add_lshl_u32 v32, v36, v32, 23
	v_mul_f32_e32 v36, 0x3fc90fda, v35
	s_delay_alu instid0(VALU_DEP_3) | instskip(NEXT) | instid1(VALU_DEP_3)
	v_alignbit_b32 v28, v33, v28, v37
	v_sub_nc_u32_e32 v30, v30, v32
	s_delay_alu instid0(VALU_DEP_3) | instskip(NEXT) | instid1(VALU_DEP_3)
	v_fma_f32 v32, 0x3fc90fda, v35, -v36
	v_lshrrev_b32_e32 v28, 9, v28
	s_delay_alu instid0(VALU_DEP_2) | instskip(NEXT) | instid1(VALU_DEP_2)
	v_fmac_f32_e32 v32, 0x33a22168, v35
	v_or_b32_e32 v28, v30, v28
	v_add_nc_u32_e32 v30, v34, v1
	s_delay_alu instid0(VALU_DEP_2) | instskip(NEXT) | instid1(VALU_DEP_1)
	v_fmac_f32_e32 v32, 0x3fc90fda, v28
	v_add_f32_e32 v28, v36, v32
.LBB151_18:                             ;   in Loop: Header=BB151_4 Depth=1
	s_or_saveexec_b32 s5, s28
	v_mul_f32_e64 v1, 0x3f22f983, |v14|
	s_delay_alu instid0(VALU_DEP_1)
	v_rndne_f32_e32 v1, v1
	s_xor_b32 exec_lo, exec_lo, s5
; %bb.19:                               ;   in Loop: Header=BB151_4 Depth=1
	s_delay_alu instid0(VALU_DEP_1) | instskip(SKIP_1) | instid1(VALU_DEP_2)
	v_fma_f32 v28, 0xbfc90fda, v1, |v14|
	v_cvt_i32_f32_e32 v30, v1
	v_fmac_f32_e32 v28, 0xb3a22168, v1
	s_delay_alu instid0(VALU_DEP_1)
	v_fmac_f32_e32 v28, 0xa7c234c4, v1
; %bb.20:                               ;   in Loop: Header=BB151_4 Depth=1
	s_or_b32 exec_lo, exec_lo, s5
                                        ; implicit-def: $vgpr33
                                        ; implicit-def: $vgpr32
	s_and_saveexec_b32 s5, s27
	s_delay_alu instid0(SALU_CYCLE_1)
	s_xor_b32 s27, exec_lo, s5
	s_cbranch_execz .LBB151_22
; %bb.21:                               ;   in Loop: Header=BB151_4 Depth=1
	v_mad_u64_u32 v[32:33], null, 0xfe5163ab, v29, 0
	v_cmp_lt_u32_e64 s5, 63, v31
	s_delay_alu instid0(VALU_DEP_1) | instskip(NEXT) | instid1(VALU_DEP_3)
	v_cndmask_b32_e64 v38, 0, 0xffffffc0, s5
	v_mov_b32_e32 v1, v33
	s_delay_alu instid0(VALU_DEP_2) | instskip(NEXT) | instid1(VALU_DEP_2)
	v_add_nc_u32_e32 v31, v38, v31
	v_mad_u64_u32 v[33:34], null, 0x3c439041, v29, v[1:2]
	s_delay_alu instid0(VALU_DEP_2) | instskip(NEXT) | instid1(VALU_DEP_2)
	v_cmp_lt_u32_e64 s6, 31, v31
	v_mov_b32_e32 v1, v34
	s_delay_alu instid0(VALU_DEP_2) | instskip(NEXT) | instid1(VALU_DEP_2)
	v_cndmask_b32_e64 v39, 0, 0xffffffe0, s6
	v_mad_u64_u32 v[34:35], null, 0xdb629599, v29, v[1:2]
	s_delay_alu instid0(VALU_DEP_2) | instskip(NEXT) | instid1(VALU_DEP_1)
	v_add_nc_u32_e32 v31, v39, v31
	v_cmp_lt_u32_e64 s7, 31, v31
	s_delay_alu instid0(VALU_DEP_3) | instskip(NEXT) | instid1(VALU_DEP_4)
	v_mov_b32_e32 v1, v35
	v_cndmask_b32_e64 v32, v34, v32, s5
	s_delay_alu instid0(VALU_DEP_2) | instskip(NEXT) | instid1(VALU_DEP_1)
	v_mad_u64_u32 v[35:36], null, 0xf534ddc0, v29, v[1:2]
	v_mov_b32_e32 v1, v36
	s_delay_alu instid0(VALU_DEP_1) | instskip(NEXT) | instid1(VALU_DEP_1)
	v_mad_u64_u32 v[36:37], null, 0xfc2757d1, v29, v[1:2]
	v_mov_b32_e32 v1, v37
	s_delay_alu instid0(VALU_DEP_1) | instskip(NEXT) | instid1(VALU_DEP_1)
	v_mad_u64_u32 v[37:38], null, 0x4e441529, v29, v[1:2]
	v_mov_b32_e32 v1, v38
	s_delay_alu instid0(VALU_DEP_1) | instskip(SKIP_1) | instid1(VALU_DEP_4)
	v_mad_u64_u32 v[38:39], null, 0xa2f9836e, v29, v[1:2]
	v_cndmask_b32_e64 v1, 0, 0xffffffe0, s7
	v_cndmask_b32_e64 v29, v37, v35, s5
	s_delay_alu instid0(VALU_DEP_2) | instskip(NEXT) | instid1(VALU_DEP_4)
	v_add_nc_u32_e32 v1, v1, v31
	v_cndmask_b32_e64 v38, v38, v36, s5
	v_cndmask_b32_e64 v37, v39, v37, s5
	;; [unrolled: 1-line block ×4, first 2 shown]
	v_cmp_eq_u32_e64 s8, 0, v1
	v_cndmask_b32_e64 v33, v38, v29, s6
	v_cndmask_b32_e64 v35, v37, v38, s6
	v_cndmask_b32_e64 v29, v29, v36, s6
	v_sub_nc_u32_e32 v37, 32, v1
	v_cndmask_b32_e64 v36, v36, v31, s6
	v_cndmask_b32_e64 v31, v31, v32, s6
	v_cndmask_b32_e64 v35, v35, v33, s7
	v_cndmask_b32_e64 v33, v33, v29, s7
	s_delay_alu instid0(VALU_DEP_4) | instskip(NEXT) | instid1(VALU_DEP_4)
	v_cndmask_b32_e64 v29, v29, v36, s7
	v_cndmask_b32_e64 v31, v36, v31, s7
	s_delay_alu instid0(VALU_DEP_3) | instskip(NEXT) | instid1(VALU_DEP_3)
	v_alignbit_b32 v38, v35, v33, v37
	v_alignbit_b32 v39, v33, v29, v37
	s_delay_alu instid0(VALU_DEP_3) | instskip(NEXT) | instid1(VALU_DEP_3)
	v_alignbit_b32 v37, v29, v31, v37
	v_cndmask_b32_e64 v1, v38, v35, s8
	s_delay_alu instid0(VALU_DEP_3) | instskip(NEXT) | instid1(VALU_DEP_3)
	v_cndmask_b32_e64 v33, v39, v33, s8
	v_cndmask_b32_e64 v29, v37, v29, s8
	s_delay_alu instid0(VALU_DEP_3) | instskip(NEXT) | instid1(VALU_DEP_3)
	v_bfe_u32 v34, v1, 29, 1
	v_alignbit_b32 v32, v1, v33, 30
	s_delay_alu instid0(VALU_DEP_3) | instskip(SKIP_1) | instid1(VALU_DEP_4)
	v_alignbit_b32 v33, v33, v29, 30
	v_alignbit_b32 v29, v29, v31, 30
	v_sub_nc_u32_e32 v35, 0, v34
	s_delay_alu instid0(VALU_DEP_1) | instskip(SKIP_3) | instid1(VALU_DEP_4)
	v_xor_b32_e32 v36, v32, v35
	v_cmp_ne_u32_e64 s5, v32, v35
	v_xor_b32_e32 v31, v33, v35
	v_xor_b32_e32 v29, v29, v35
	v_clz_i32_u32_e32 v38, v36
	s_delay_alu instid0(VALU_DEP_1) | instskip(NEXT) | instid1(VALU_DEP_1)
	v_add_nc_u32_e32 v37, 1, v38
	v_cndmask_b32_e64 v32, 33, v37, s5
	s_delay_alu instid0(VALU_DEP_1) | instskip(NEXT) | instid1(VALU_DEP_1)
	v_sub_nc_u32_e32 v33, 32, v32
	v_alignbit_b32 v35, v36, v31, v33
	v_alignbit_b32 v29, v31, v29, v33
	v_lshrrev_b32_e32 v31, 29, v1
	v_lshrrev_b32_e32 v1, 30, v1
	s_delay_alu instid0(VALU_DEP_3) | instskip(NEXT) | instid1(VALU_DEP_3)
	v_alignbit_b32 v33, v35, v29, 9
	v_lshlrev_b32_e32 v31, 31, v31
	v_alignbit_b32 v35, v32, v35, 9
	s_delay_alu instid0(VALU_DEP_3) | instskip(NEXT) | instid1(VALU_DEP_2)
	v_clz_i32_u32_e32 v36, v33
	v_or_b32_e32 v35, v35, v31
	v_or_b32_e32 v31, 0x33800000, v31
	s_delay_alu instid0(VALU_DEP_3) | instskip(NEXT) | instid1(VALU_DEP_3)
	v_min_u32_e32 v36, 32, v36
	v_xor_b32_e32 v35, 1.0, v35
	s_delay_alu instid0(VALU_DEP_2) | instskip(SKIP_1) | instid1(VALU_DEP_3)
	v_sub_nc_u32_e32 v37, 31, v36
	v_add_lshl_u32 v32, v36, v32, 23
	v_mul_f32_e32 v36, 0x3fc90fda, v35
	s_delay_alu instid0(VALU_DEP_3) | instskip(NEXT) | instid1(VALU_DEP_3)
	v_alignbit_b32 v29, v33, v29, v37
	v_sub_nc_u32_e32 v31, v31, v32
	s_delay_alu instid0(VALU_DEP_3) | instskip(SKIP_1) | instid1(VALU_DEP_4)
	v_fma_f32 v32, 0x3fc90fda, v35, -v36
	v_add_nc_u32_e32 v33, v34, v1
                                        ; implicit-def: $vgpr1
	v_lshrrev_b32_e32 v29, 9, v29
	s_delay_alu instid0(VALU_DEP_3) | instskip(NEXT) | instid1(VALU_DEP_2)
	v_fmac_f32_e32 v32, 0x33a22168, v35
	v_or_b32_e32 v29, v31, v29
	s_delay_alu instid0(VALU_DEP_1) | instskip(NEXT) | instid1(VALU_DEP_1)
	v_fmac_f32_e32 v32, 0x3fc90fda, v29
	v_add_f32_e32 v32, v36, v32
	s_and_not1_saveexec_b32 s5, s27
	s_cbranch_execnz .LBB151_23
	s_branch .LBB151_24
.LBB151_22:                             ;   in Loop: Header=BB151_4 Depth=1
	s_and_not1_saveexec_b32 s5, s27
.LBB151_23:                             ;   in Loop: Header=BB151_4 Depth=1
	v_fma_f32 v32, 0xbfc90fda, v1, |v14|
	v_cvt_i32_f32_e32 v33, v1
	s_delay_alu instid0(VALU_DEP_2) | instskip(NEXT) | instid1(VALU_DEP_1)
	v_fmac_f32_e32 v32, 0xb3a22168, v1
	v_fmac_f32_e32 v32, 0xa7c234c4, v1
.LBB151_24:                             ;   in Loop: Header=BB151_4 Depth=1
	s_or_b32 exec_lo, exec_lo, s5
	v_mul_f32_e32 v29, 0.5, v12
                                        ; implicit-def: $vgpr36
                                        ; implicit-def: $vgpr34
	s_mov_b32 s6, exec_lo
	s_delay_alu instid0(VALU_DEP_1)
	v_and_b32_e32 v31, 0x7fffffff, v29
	v_cmpx_ngt_f32_e64 0x48000000, |v29|
	s_xor_b32 s27, exec_lo, s6
	s_cbranch_execz .LBB151_26
; %bb.25:                               ;   in Loop: Header=BB151_4 Depth=1
	s_delay_alu instid0(VALU_DEP_2) | instskip(SKIP_1) | instid1(VALU_DEP_2)
	v_and_or_b32 v42, v31, s23, 0x800000
	v_lshrrev_b32_e32 v39, 23, v31
	v_mad_u64_u32 v[34:35], null, 0xfe5163ab, v42, 0
	s_delay_alu instid0(VALU_DEP_2) | instskip(NEXT) | instid1(VALU_DEP_1)
	v_add_nc_u32_e32 v40, 0xffffff88, v39
	v_cmp_lt_u32_e64 s5, 63, v40
	s_delay_alu instid0(VALU_DEP_3) | instskip(NEXT) | instid1(VALU_DEP_2)
	v_mov_b32_e32 v1, v35
	v_cndmask_b32_e64 v41, 0, 0xffffffc0, s5
	s_delay_alu instid0(VALU_DEP_2) | instskip(NEXT) | instid1(VALU_DEP_2)
	v_mad_u64_u32 v[35:36], null, 0x3c439041, v42, v[1:2]
	v_add_nc_u32_e32 v41, v41, v40
	s_delay_alu instid0(VALU_DEP_2) | instskip(NEXT) | instid1(VALU_DEP_2)
	v_mov_b32_e32 v1, v36
	v_cmp_lt_u32_e64 s6, 31, v41
	s_delay_alu instid0(VALU_DEP_2) | instskip(NEXT) | instid1(VALU_DEP_2)
	v_mad_u64_u32 v[36:37], null, 0xdb629599, v42, v[1:2]
	v_cndmask_b32_e64 v43, 0, 0xffffffe0, s6
	s_delay_alu instid0(VALU_DEP_1) | instskip(NEXT) | instid1(VALU_DEP_3)
	v_add_nc_u32_e32 v43, v43, v41
	v_mov_b32_e32 v1, v37
	s_delay_alu instid0(VALU_DEP_4) | instskip(NEXT) | instid1(VALU_DEP_3)
	v_cndmask_b32_e64 v34, v36, v34, s5
	v_cmp_lt_u32_e64 s7, 31, v43
	s_delay_alu instid0(VALU_DEP_3) | instskip(NEXT) | instid1(VALU_DEP_1)
	v_mad_u64_u32 v[37:38], null, 0xf534ddc0, v42, v[1:2]
	v_mov_b32_e32 v1, v38
	s_delay_alu instid0(VALU_DEP_2) | instskip(NEXT) | instid1(VALU_DEP_2)
	v_cndmask_b32_e64 v35, v37, v35, s5
	v_mad_u64_u32 v[38:39], null, 0xfc2757d1, v42, v[1:2]
	s_delay_alu instid0(VALU_DEP_2) | instskip(NEXT) | instid1(VALU_DEP_2)
	v_cndmask_b32_e64 v34, v35, v34, s6
	v_mov_b32_e32 v1, v39
	s_delay_alu instid0(VALU_DEP_1) | instskip(NEXT) | instid1(VALU_DEP_1)
	v_mad_u64_u32 v[39:40], null, 0x4e441529, v42, v[1:2]
	v_mov_b32_e32 v1, v40
	s_delay_alu instid0(VALU_DEP_1) | instskip(SKIP_1) | instid1(VALU_DEP_4)
	v_mad_u64_u32 v[40:41], null, 0xa2f9836e, v42, v[1:2]
	v_cndmask_b32_e64 v1, 0, 0xffffffe0, s7
	v_cndmask_b32_e64 v42, v39, v37, s5
	s_delay_alu instid0(VALU_DEP_2) | instskip(NEXT) | instid1(VALU_DEP_4)
	v_add_nc_u32_e32 v1, v1, v43
	v_cndmask_b32_e64 v40, v40, v38, s5
	v_cndmask_b32_e64 v39, v41, v39, s5
	;; [unrolled: 1-line block ×3, first 2 shown]
	s_delay_alu instid0(VALU_DEP_4) | instskip(NEXT) | instid1(VALU_DEP_4)
	v_sub_nc_u32_e32 v41, 32, v1
	v_cndmask_b32_e64 v37, v40, v42, s6
	s_delay_alu instid0(VALU_DEP_4) | instskip(NEXT) | instid1(VALU_DEP_4)
	v_cndmask_b32_e64 v39, v39, v40, s6
	v_cndmask_b32_e64 v40, v42, v38, s6
	;; [unrolled: 1-line block ×3, first 2 shown]
	v_cmp_eq_u32_e64 s8, 0, v1
	s_delay_alu instid0(VALU_DEP_4) | instskip(NEXT) | instid1(VALU_DEP_4)
	v_cndmask_b32_e64 v39, v39, v37, s7
	v_cndmask_b32_e64 v37, v37, v40, s7
	s_delay_alu instid0(VALU_DEP_4) | instskip(SKIP_1) | instid1(VALU_DEP_3)
	v_cndmask_b32_e64 v40, v40, v38, s7
	v_cndmask_b32_e64 v34, v38, v34, s7
	v_alignbit_b32 v42, v39, v37, v41
	s_delay_alu instid0(VALU_DEP_3) | instskip(NEXT) | instid1(VALU_DEP_3)
	v_alignbit_b32 v43, v37, v40, v41
	v_alignbit_b32 v41, v40, v34, v41
	s_delay_alu instid0(VALU_DEP_3) | instskip(NEXT) | instid1(VALU_DEP_3)
	v_cndmask_b32_e64 v1, v42, v39, s8
	v_cndmask_b32_e64 v36, v43, v37, s8
	s_delay_alu instid0(VALU_DEP_3) | instskip(NEXT) | instid1(VALU_DEP_3)
	v_cndmask_b32_e64 v40, v41, v40, s8
	v_bfe_u32 v37, v1, 29, 1
	s_delay_alu instid0(VALU_DEP_3) | instskip(NEXT) | instid1(VALU_DEP_3)
	v_alignbit_b32 v35, v1, v36, 30
	v_alignbit_b32 v36, v36, v40, 30
	;; [unrolled: 1-line block ×3, first 2 shown]
	s_delay_alu instid0(VALU_DEP_4) | instskip(NEXT) | instid1(VALU_DEP_1)
	v_sub_nc_u32_e32 v39, 0, v37
	v_xor_b32_e32 v38, v35, v39
	v_cmp_ne_u32_e64 s5, v35, v39
	v_xor_b32_e32 v36, v36, v39
	v_xor_b32_e32 v34, v34, v39
	s_delay_alu instid0(VALU_DEP_4) | instskip(NEXT) | instid1(VALU_DEP_1)
	v_clz_i32_u32_e32 v42, v38
	v_add_nc_u32_e32 v41, 1, v42
	s_delay_alu instid0(VALU_DEP_1) | instskip(NEXT) | instid1(VALU_DEP_1)
	v_cndmask_b32_e64 v35, 33, v41, s5
	v_sub_nc_u32_e32 v40, 32, v35
	s_delay_alu instid0(VALU_DEP_1) | instskip(SKIP_3) | instid1(VALU_DEP_3)
	v_alignbit_b32 v38, v38, v36, v40
	v_alignbit_b32 v34, v36, v34, v40
	v_lshrrev_b32_e32 v36, 29, v1
	v_lshrrev_b32_e32 v1, 30, v1
	v_alignbit_b32 v39, v38, v34, 9
	s_delay_alu instid0(VALU_DEP_3) | instskip(SKIP_1) | instid1(VALU_DEP_3)
	v_lshlrev_b32_e32 v36, 31, v36
	v_alignbit_b32 v38, v35, v38, 9
	v_clz_i32_u32_e32 v40, v39
	s_delay_alu instid0(VALU_DEP_2) | instskip(SKIP_1) | instid1(VALU_DEP_3)
	v_or_b32_e32 v38, v38, v36
	v_or_b32_e32 v36, 0x33800000, v36
	v_min_u32_e32 v40, 32, v40
	s_delay_alu instid0(VALU_DEP_3) | instskip(NEXT) | instid1(VALU_DEP_2)
	v_xor_b32_e32 v38, 1.0, v38
	v_sub_nc_u32_e32 v41, 31, v40
	v_add_lshl_u32 v35, v40, v35, 23
	s_delay_alu instid0(VALU_DEP_3) | instskip(NEXT) | instid1(VALU_DEP_3)
	v_mul_f32_e32 v40, 0x3fc90fda, v38
	v_alignbit_b32 v34, v39, v34, v41
	s_delay_alu instid0(VALU_DEP_3) | instskip(NEXT) | instid1(VALU_DEP_3)
	v_sub_nc_u32_e32 v35, v36, v35
	v_fma_f32 v36, 0x3fc90fda, v38, -v40
	s_delay_alu instid0(VALU_DEP_3) | instskip(NEXT) | instid1(VALU_DEP_2)
	v_lshrrev_b32_e32 v34, 9, v34
	v_fmac_f32_e32 v36, 0x33a22168, v38
	s_delay_alu instid0(VALU_DEP_2) | instskip(NEXT) | instid1(VALU_DEP_1)
	v_or_b32_e32 v34, v35, v34
	v_fmac_f32_e32 v36, 0x3fc90fda, v34
	s_delay_alu instid0(VALU_DEP_1)
	v_add_f32_e32 v34, v40, v36
	v_add_nc_u32_e32 v36, v37, v1
.LBB151_26:                             ;   in Loop: Header=BB151_4 Depth=1
	s_and_not1_saveexec_b32 s5, s27
; %bb.27:                               ;   in Loop: Header=BB151_4 Depth=1
	v_mul_f32_e64 v1, 0x3f22f983, |v29|
	s_delay_alu instid0(VALU_DEP_1) | instskip(NEXT) | instid1(VALU_DEP_1)
	v_rndne_f32_e32 v1, v1
	v_fma_f32 v34, 0xbfc90fda, v1, |v29|
	v_cvt_i32_f32_e32 v36, v1
	s_delay_alu instid0(VALU_DEP_2) | instskip(NEXT) | instid1(VALU_DEP_1)
	v_fmac_f32_e32 v34, 0xb3a22168, v1
	v_fmac_f32_e32 v34, 0xa7c234c4, v1
; %bb.28:                               ;   in Loop: Header=BB151_4 Depth=1
	s_or_b32 exec_lo, exec_lo, s5
	v_and_b32_e32 v35, 0x7fffffff, v12
	v_cmp_ngt_f32_e64 s27, 0x48000000, |v12|
                                        ; implicit-def: $vgpr39
                                        ; implicit-def: $vgpr37
	s_delay_alu instid0(VALU_DEP_2) | instskip(SKIP_1) | instid1(VALU_DEP_2)
	v_lshrrev_b32_e32 v1, 23, v35
	v_and_or_b32 v38, v35, s23, 0x800000
	v_add_nc_u32_e32 v40, 0xffffff88, v1
	s_delay_alu instid0(VALU_DEP_4) | instskip(NEXT) | instid1(SALU_CYCLE_1)
	s_and_saveexec_b32 s5, s27
	s_xor_b32 s28, exec_lo, s5
	s_cbranch_execz .LBB151_30
; %bb.29:                               ;   in Loop: Header=BB151_4 Depth=1
	v_mad_u64_u32 v[41:42], null, 0xfe5163ab, v38, 0
	v_cmp_lt_u32_e64 s5, 63, v40
	s_delay_alu instid0(VALU_DEP_1) | instskip(NEXT) | instid1(VALU_DEP_3)
	v_cndmask_b32_e64 v37, 0, 0xffffffc0, s5
	v_mov_b32_e32 v1, v42
	s_delay_alu instid0(VALU_DEP_2) | instskip(NEXT) | instid1(VALU_DEP_2)
	v_add_nc_u32_e32 v37, v37, v40
	v_mad_u64_u32 v[42:43], null, 0x3c439041, v38, v[1:2]
	s_delay_alu instid0(VALU_DEP_2) | instskip(NEXT) | instid1(VALU_DEP_2)
	v_cmp_lt_u32_e64 s6, 31, v37
	v_mov_b32_e32 v1, v43
	s_delay_alu instid0(VALU_DEP_2) | instskip(NEXT) | instid1(VALU_DEP_2)
	v_cndmask_b32_e64 v39, 0, 0xffffffe0, s6
	v_mad_u64_u32 v[43:44], null, 0xdb629599, v38, v[1:2]
	s_delay_alu instid0(VALU_DEP_2) | instskip(NEXT) | instid1(VALU_DEP_1)
	v_add_nc_u32_e32 v37, v39, v37
	v_cmp_lt_u32_e64 s7, 31, v37
	s_delay_alu instid0(VALU_DEP_3) | instskip(NEXT) | instid1(VALU_DEP_4)
	v_mov_b32_e32 v1, v44
	v_cndmask_b32_e64 v41, v43, v41, s5
	s_delay_alu instid0(VALU_DEP_2) | instskip(NEXT) | instid1(VALU_DEP_1)
	v_mad_u64_u32 v[44:45], null, 0xf534ddc0, v38, v[1:2]
	v_mov_b32_e32 v1, v45
	s_delay_alu instid0(VALU_DEP_1) | instskip(NEXT) | instid1(VALU_DEP_1)
	v_mad_u64_u32 v[45:46], null, 0xfc2757d1, v38, v[1:2]
	v_mov_b32_e32 v1, v46
	s_delay_alu instid0(VALU_DEP_1) | instskip(NEXT) | instid1(VALU_DEP_1)
	v_mad_u64_u32 v[46:47], null, 0x4e441529, v38, v[1:2]
	v_mov_b32_e32 v1, v47
	s_delay_alu instid0(VALU_DEP_2) | instskip(NEXT) | instid1(VALU_DEP_2)
	v_cndmask_b32_e64 v39, v46, v44, s5
	v_mad_u64_u32 v[47:48], null, 0xa2f9836e, v38, v[1:2]
	v_cndmask_b32_e64 v1, 0, 0xffffffe0, s7
	s_delay_alu instid0(VALU_DEP_1) | instskip(NEXT) | instid1(VALU_DEP_3)
	v_add_nc_u32_e32 v1, v1, v37
	v_cndmask_b32_e64 v47, v47, v45, s5
	s_delay_alu instid0(VALU_DEP_4)
	v_cndmask_b32_e64 v46, v48, v46, s5
	v_cndmask_b32_e64 v45, v45, v43, s5
	;; [unrolled: 1-line block ×3, first 2 shown]
	v_cmp_eq_u32_e64 s8, 0, v1
	v_cndmask_b32_e64 v42, v47, v39, s6
	v_cndmask_b32_e64 v44, v46, v47, s6
	;; [unrolled: 1-line block ×3, first 2 shown]
	v_sub_nc_u32_e32 v46, 32, v1
	v_cndmask_b32_e64 v45, v45, v37, s6
	v_cndmask_b32_e64 v37, v37, v41, s6
	;; [unrolled: 1-line block ×4, first 2 shown]
	s_delay_alu instid0(VALU_DEP_4) | instskip(NEXT) | instid1(VALU_DEP_4)
	v_cndmask_b32_e64 v39, v39, v45, s7
	v_cndmask_b32_e64 v37, v45, v37, s7
	s_delay_alu instid0(VALU_DEP_3) | instskip(NEXT) | instid1(VALU_DEP_3)
	v_alignbit_b32 v47, v44, v42, v46
	v_alignbit_b32 v48, v42, v39, v46
	s_delay_alu instid0(VALU_DEP_3) | instskip(NEXT) | instid1(VALU_DEP_3)
	v_alignbit_b32 v46, v39, v37, v46
	v_cndmask_b32_e64 v1, v47, v44, s8
	s_delay_alu instid0(VALU_DEP_3) | instskip(NEXT) | instid1(VALU_DEP_3)
	v_cndmask_b32_e64 v42, v48, v42, s8
	v_cndmask_b32_e64 v39, v46, v39, s8
	s_delay_alu instid0(VALU_DEP_3) | instskip(NEXT) | instid1(VALU_DEP_3)
	v_bfe_u32 v43, v1, 29, 1
	v_alignbit_b32 v41, v1, v42, 30
	s_delay_alu instid0(VALU_DEP_3) | instskip(SKIP_1) | instid1(VALU_DEP_4)
	v_alignbit_b32 v42, v42, v39, 30
	v_alignbit_b32 v37, v39, v37, 30
	v_sub_nc_u32_e32 v44, 0, v43
	s_delay_alu instid0(VALU_DEP_1) | instskip(SKIP_3) | instid1(VALU_DEP_4)
	v_xor_b32_e32 v45, v41, v44
	v_cmp_ne_u32_e64 s5, v41, v44
	v_xor_b32_e32 v39, v42, v44
	v_xor_b32_e32 v37, v37, v44
	v_clz_i32_u32_e32 v47, v45
	s_delay_alu instid0(VALU_DEP_1) | instskip(NEXT) | instid1(VALU_DEP_1)
	v_add_nc_u32_e32 v46, 1, v47
	v_cndmask_b32_e64 v41, 33, v46, s5
	s_delay_alu instid0(VALU_DEP_1) | instskip(NEXT) | instid1(VALU_DEP_1)
	v_sub_nc_u32_e32 v42, 32, v41
	v_alignbit_b32 v44, v45, v39, v42
	v_alignbit_b32 v37, v39, v37, v42
	v_lshrrev_b32_e32 v39, 29, v1
	v_lshrrev_b32_e32 v1, 30, v1
	s_delay_alu instid0(VALU_DEP_3) | instskip(NEXT) | instid1(VALU_DEP_3)
	v_alignbit_b32 v42, v44, v37, 9
	v_lshlrev_b32_e32 v39, 31, v39
	v_alignbit_b32 v44, v41, v44, 9
	s_delay_alu instid0(VALU_DEP_3) | instskip(NEXT) | instid1(VALU_DEP_2)
	v_clz_i32_u32_e32 v45, v42
	v_or_b32_e32 v44, v44, v39
	v_or_b32_e32 v39, 0x33800000, v39
	s_delay_alu instid0(VALU_DEP_3) | instskip(NEXT) | instid1(VALU_DEP_3)
	v_min_u32_e32 v45, 32, v45
	v_xor_b32_e32 v44, 1.0, v44
	s_delay_alu instid0(VALU_DEP_2) | instskip(SKIP_1) | instid1(VALU_DEP_3)
	v_sub_nc_u32_e32 v46, 31, v45
	v_add_lshl_u32 v41, v45, v41, 23
	v_mul_f32_e32 v45, 0x3fc90fda, v44
	s_delay_alu instid0(VALU_DEP_3) | instskip(NEXT) | instid1(VALU_DEP_3)
	v_alignbit_b32 v37, v42, v37, v46
	v_sub_nc_u32_e32 v39, v39, v41
	s_delay_alu instid0(VALU_DEP_3) | instskip(NEXT) | instid1(VALU_DEP_3)
	v_fma_f32 v41, 0x3fc90fda, v44, -v45
	v_lshrrev_b32_e32 v37, 9, v37
	s_delay_alu instid0(VALU_DEP_2) | instskip(NEXT) | instid1(VALU_DEP_2)
	v_fmac_f32_e32 v41, 0x33a22168, v44
	v_or_b32_e32 v37, v39, v37
	v_add_nc_u32_e32 v39, v43, v1
	s_delay_alu instid0(VALU_DEP_2) | instskip(NEXT) | instid1(VALU_DEP_1)
	v_fmac_f32_e32 v41, 0x3fc90fda, v37
	v_add_f32_e32 v37, v45, v41
.LBB151_30:                             ;   in Loop: Header=BB151_4 Depth=1
	s_or_saveexec_b32 s5, s28
	v_mul_f32_e64 v1, 0x3f22f983, |v12|
	s_delay_alu instid0(VALU_DEP_1)
	v_rndne_f32_e32 v1, v1
	s_xor_b32 exec_lo, exec_lo, s5
; %bb.31:                               ;   in Loop: Header=BB151_4 Depth=1
	s_delay_alu instid0(VALU_DEP_1) | instskip(SKIP_1) | instid1(VALU_DEP_2)
	v_fma_f32 v37, 0xbfc90fda, v1, |v12|
	v_cvt_i32_f32_e32 v39, v1
	v_fmac_f32_e32 v37, 0xb3a22168, v1
	s_delay_alu instid0(VALU_DEP_1)
	v_fmac_f32_e32 v37, 0xa7c234c4, v1
; %bb.32:                               ;   in Loop: Header=BB151_4 Depth=1
	s_or_b32 exec_lo, exec_lo, s5
                                        ; implicit-def: $vgpr42
                                        ; implicit-def: $vgpr41
	s_and_saveexec_b32 s5, s27
	s_delay_alu instid0(SALU_CYCLE_1)
	s_xor_b32 s27, exec_lo, s5
	s_cbranch_execz .LBB151_34
; %bb.33:                               ;   in Loop: Header=BB151_4 Depth=1
	v_mad_u64_u32 v[41:42], null, 0xfe5163ab, v38, 0
	v_cmp_lt_u32_e64 s5, 63, v40
	s_delay_alu instid0(VALU_DEP_1) | instskip(NEXT) | instid1(VALU_DEP_1)
	v_cndmask_b32_e64 v47, 0, 0xffffffc0, s5
	v_dual_mov_b32 v1, v42 :: v_dual_add_nc_u32 v40, v47, v40
	s_delay_alu instid0(VALU_DEP_1) | instskip(NEXT) | instid1(VALU_DEP_2)
	v_mad_u64_u32 v[42:43], null, 0x3c439041, v38, v[1:2]
	v_cmp_lt_u32_e64 s6, 31, v40
	s_delay_alu instid0(VALU_DEP_1) | instskip(NEXT) | instid1(VALU_DEP_1)
	v_cndmask_b32_e64 v48, 0, 0xffffffe0, s6
	v_dual_mov_b32 v1, v43 :: v_dual_add_nc_u32 v40, v48, v40
	s_delay_alu instid0(VALU_DEP_1) | instskip(NEXT) | instid1(VALU_DEP_2)
	v_mad_u64_u32 v[43:44], null, 0xdb629599, v38, v[1:2]
	v_cmp_lt_u32_e64 s7, 31, v40
	s_delay_alu instid0(VALU_DEP_2) | instskip(NEXT) | instid1(VALU_DEP_3)
	v_mov_b32_e32 v1, v44
	v_cndmask_b32_e64 v41, v43, v41, s5
	s_delay_alu instid0(VALU_DEP_2) | instskip(NEXT) | instid1(VALU_DEP_1)
	v_mad_u64_u32 v[44:45], null, 0xf534ddc0, v38, v[1:2]
	v_mov_b32_e32 v1, v45
	s_delay_alu instid0(VALU_DEP_1) | instskip(NEXT) | instid1(VALU_DEP_1)
	v_mad_u64_u32 v[45:46], null, 0xfc2757d1, v38, v[1:2]
	v_mov_b32_e32 v1, v46
	s_delay_alu instid0(VALU_DEP_1) | instskip(NEXT) | instid1(VALU_DEP_1)
	v_mad_u64_u32 v[46:47], null, 0x4e441529, v38, v[1:2]
	v_mov_b32_e32 v1, v47
	s_delay_alu instid0(VALU_DEP_1) | instskip(SKIP_1) | instid1(VALU_DEP_4)
	v_mad_u64_u32 v[47:48], null, 0xa2f9836e, v38, v[1:2]
	v_cndmask_b32_e64 v1, 0, 0xffffffe0, s7
	v_cndmask_b32_e64 v38, v46, v44, s5
	s_delay_alu instid0(VALU_DEP_2) | instskip(NEXT) | instid1(VALU_DEP_4)
	v_add_nc_u32_e32 v1, v1, v40
	v_cndmask_b32_e64 v47, v47, v45, s5
	v_cndmask_b32_e64 v46, v48, v46, s5
	;; [unrolled: 1-line block ×4, first 2 shown]
	v_cmp_eq_u32_e64 s8, 0, v1
	v_cndmask_b32_e64 v42, v47, v38, s6
	v_cndmask_b32_e64 v44, v46, v47, s6
	;; [unrolled: 1-line block ×3, first 2 shown]
	v_sub_nc_u32_e32 v46, 32, v1
	v_cndmask_b32_e64 v45, v45, v40, s6
	v_cndmask_b32_e64 v40, v40, v41, s6
	;; [unrolled: 1-line block ×4, first 2 shown]
	s_delay_alu instid0(VALU_DEP_4) | instskip(NEXT) | instid1(VALU_DEP_4)
	v_cndmask_b32_e64 v38, v38, v45, s7
	v_cndmask_b32_e64 v40, v45, v40, s7
	s_delay_alu instid0(VALU_DEP_3) | instskip(NEXT) | instid1(VALU_DEP_3)
	v_alignbit_b32 v47, v44, v42, v46
	v_alignbit_b32 v48, v42, v38, v46
	s_delay_alu instid0(VALU_DEP_3) | instskip(NEXT) | instid1(VALU_DEP_3)
	v_alignbit_b32 v46, v38, v40, v46
	v_cndmask_b32_e64 v1, v47, v44, s8
	s_delay_alu instid0(VALU_DEP_3) | instskip(NEXT) | instid1(VALU_DEP_3)
	v_cndmask_b32_e64 v42, v48, v42, s8
	v_cndmask_b32_e64 v38, v46, v38, s8
	s_delay_alu instid0(VALU_DEP_3) | instskip(NEXT) | instid1(VALU_DEP_3)
	v_bfe_u32 v43, v1, 29, 1
	v_alignbit_b32 v41, v1, v42, 30
	s_delay_alu instid0(VALU_DEP_3) | instskip(SKIP_1) | instid1(VALU_DEP_4)
	v_alignbit_b32 v42, v42, v38, 30
	v_alignbit_b32 v38, v38, v40, 30
	v_sub_nc_u32_e32 v44, 0, v43
	s_delay_alu instid0(VALU_DEP_1) | instskip(SKIP_3) | instid1(VALU_DEP_4)
	v_xor_b32_e32 v45, v41, v44
	v_cmp_ne_u32_e64 s5, v41, v44
	v_xor_b32_e32 v40, v42, v44
	v_xor_b32_e32 v38, v38, v44
	v_clz_i32_u32_e32 v47, v45
	s_delay_alu instid0(VALU_DEP_1) | instskip(NEXT) | instid1(VALU_DEP_1)
	v_add_nc_u32_e32 v46, 1, v47
	v_cndmask_b32_e64 v41, 33, v46, s5
	s_delay_alu instid0(VALU_DEP_1) | instskip(NEXT) | instid1(VALU_DEP_1)
	v_sub_nc_u32_e32 v42, 32, v41
	v_alignbit_b32 v44, v45, v40, v42
	v_alignbit_b32 v38, v40, v38, v42
	v_lshrrev_b32_e32 v40, 29, v1
	v_lshrrev_b32_e32 v1, 30, v1
	s_delay_alu instid0(VALU_DEP_3) | instskip(NEXT) | instid1(VALU_DEP_3)
	v_alignbit_b32 v42, v44, v38, 9
	v_lshlrev_b32_e32 v40, 31, v40
	v_alignbit_b32 v44, v41, v44, 9
	s_delay_alu instid0(VALU_DEP_3) | instskip(NEXT) | instid1(VALU_DEP_2)
	v_clz_i32_u32_e32 v45, v42
	v_or_b32_e32 v44, v44, v40
	v_or_b32_e32 v40, 0x33800000, v40
	s_delay_alu instid0(VALU_DEP_3) | instskip(NEXT) | instid1(VALU_DEP_3)
	v_min_u32_e32 v45, 32, v45
	v_xor_b32_e32 v44, 1.0, v44
	s_delay_alu instid0(VALU_DEP_2) | instskip(SKIP_1) | instid1(VALU_DEP_3)
	v_sub_nc_u32_e32 v46, 31, v45
	v_add_lshl_u32 v41, v45, v41, 23
	v_mul_f32_e32 v45, 0x3fc90fda, v44
	s_delay_alu instid0(VALU_DEP_3) | instskip(SKIP_1) | instid1(VALU_DEP_4)
	v_alignbit_b32 v38, v42, v38, v46
	v_add_nc_u32_e32 v42, v43, v1
	v_sub_nc_u32_e32 v40, v40, v41
	s_delay_alu instid0(VALU_DEP_4) | instskip(NEXT) | instid1(VALU_DEP_4)
	v_fma_f32 v41, 0x3fc90fda, v44, -v45
                                        ; implicit-def: $vgpr1
	v_lshrrev_b32_e32 v38, 9, v38
	s_delay_alu instid0(VALU_DEP_2) | instskip(NEXT) | instid1(VALU_DEP_2)
	v_fmac_f32_e32 v41, 0x33a22168, v44
	v_or_b32_e32 v38, v40, v38
	s_delay_alu instid0(VALU_DEP_1) | instskip(NEXT) | instid1(VALU_DEP_1)
	v_fmac_f32_e32 v41, 0x3fc90fda, v38
	v_add_f32_e32 v41, v45, v41
	s_and_not1_saveexec_b32 s5, s27
	s_cbranch_execnz .LBB151_35
	s_branch .LBB151_36
.LBB151_34:                             ;   in Loop: Header=BB151_4 Depth=1
	s_and_not1_saveexec_b32 s5, s27
.LBB151_35:                             ;   in Loop: Header=BB151_4 Depth=1
	v_fma_f32 v41, 0xbfc90fda, v1, |v12|
	v_cvt_i32_f32_e32 v42, v1
	s_delay_alu instid0(VALU_DEP_2) | instskip(NEXT) | instid1(VALU_DEP_1)
	v_fmac_f32_e32 v41, 0xb3a22168, v1
	v_fmac_f32_e32 v41, 0xa7c234c4, v1
.LBB151_36:                             ;   in Loop: Header=BB151_4 Depth=1
	s_or_b32 exec_lo, exec_lo, s5
	v_mul_f32_e32 v38, 0.5, v10
                                        ; implicit-def: $vgpr45
                                        ; implicit-def: $vgpr43
	s_mov_b32 s6, exec_lo
	s_delay_alu instid0(VALU_DEP_1)
	v_and_b32_e32 v40, 0x7fffffff, v38
	v_cmpx_ngt_f32_e64 0x48000000, |v38|
	s_xor_b32 s27, exec_lo, s6
	s_cbranch_execz .LBB151_38
; %bb.37:                               ;   in Loop: Header=BB151_4 Depth=1
	s_delay_alu instid0(VALU_DEP_2) | instskip(SKIP_1) | instid1(VALU_DEP_2)
	v_lshrrev_b32_e32 v48, 23, v40
	v_and_or_b32 v51, v40, s23, 0x800000
	v_add_nc_u32_e32 v49, 0xffffff88, v48
	s_delay_alu instid0(VALU_DEP_2) | instskip(NEXT) | instid1(VALU_DEP_2)
	v_mad_u64_u32 v[43:44], null, 0xfe5163ab, v51, 0
	v_cmp_lt_u32_e64 s5, 63, v49
	s_delay_alu instid0(VALU_DEP_1) | instskip(NEXT) | instid1(VALU_DEP_1)
	v_cndmask_b32_e64 v50, 0, 0xffffffc0, s5
	v_dual_mov_b32 v1, v44 :: v_dual_add_nc_u32 v50, v50, v49
	s_delay_alu instid0(VALU_DEP_1) | instskip(NEXT) | instid1(VALU_DEP_2)
	v_mad_u64_u32 v[44:45], null, 0x3c439041, v51, v[1:2]
	v_cmp_lt_u32_e64 s6, 31, v50
	s_delay_alu instid0(VALU_DEP_1) | instskip(NEXT) | instid1(VALU_DEP_1)
	v_cndmask_b32_e64 v52, 0, 0xffffffe0, s6
	v_dual_mov_b32 v1, v45 :: v_dual_add_nc_u32 v52, v52, v50
	s_delay_alu instid0(VALU_DEP_1) | instskip(NEXT) | instid1(VALU_DEP_2)
	v_mad_u64_u32 v[45:46], null, 0xdb629599, v51, v[1:2]
	v_cmp_lt_u32_e64 s7, 31, v52
	s_delay_alu instid0(VALU_DEP_2) | instskip(NEXT) | instid1(VALU_DEP_3)
	v_mov_b32_e32 v1, v46
	v_cndmask_b32_e64 v43, v45, v43, s5
	s_delay_alu instid0(VALU_DEP_2) | instskip(NEXT) | instid1(VALU_DEP_1)
	v_mad_u64_u32 v[46:47], null, 0xf534ddc0, v51, v[1:2]
	v_mov_b32_e32 v1, v47
	s_delay_alu instid0(VALU_DEP_2) | instskip(NEXT) | instid1(VALU_DEP_2)
	v_cndmask_b32_e64 v44, v46, v44, s5
	v_mad_u64_u32 v[47:48], null, 0xfc2757d1, v51, v[1:2]
	s_delay_alu instid0(VALU_DEP_2) | instskip(NEXT) | instid1(VALU_DEP_2)
	v_cndmask_b32_e64 v43, v44, v43, s6
	v_mov_b32_e32 v1, v48
	s_delay_alu instid0(VALU_DEP_1) | instskip(NEXT) | instid1(VALU_DEP_1)
	v_mad_u64_u32 v[48:49], null, 0x4e441529, v51, v[1:2]
	v_mov_b32_e32 v1, v49
	s_delay_alu instid0(VALU_DEP_1) | instskip(SKIP_1) | instid1(VALU_DEP_4)
	v_mad_u64_u32 v[49:50], null, 0xa2f9836e, v51, v[1:2]
	v_cndmask_b32_e64 v1, 0, 0xffffffe0, s7
	v_cndmask_b32_e64 v51, v48, v46, s5
	s_delay_alu instid0(VALU_DEP_2) | instskip(NEXT) | instid1(VALU_DEP_4)
	v_add_nc_u32_e32 v1, v1, v52
	v_cndmask_b32_e64 v49, v49, v47, s5
	v_cndmask_b32_e64 v48, v50, v48, s5
	;; [unrolled: 1-line block ×3, first 2 shown]
	s_delay_alu instid0(VALU_DEP_4) | instskip(NEXT) | instid1(VALU_DEP_4)
	v_sub_nc_u32_e32 v50, 32, v1
	v_cndmask_b32_e64 v46, v49, v51, s6
	s_delay_alu instid0(VALU_DEP_4) | instskip(NEXT) | instid1(VALU_DEP_4)
	v_cndmask_b32_e64 v48, v48, v49, s6
	v_cndmask_b32_e64 v49, v51, v47, s6
	;; [unrolled: 1-line block ×3, first 2 shown]
	v_cmp_eq_u32_e64 s8, 0, v1
	s_delay_alu instid0(VALU_DEP_4) | instskip(NEXT) | instid1(VALU_DEP_4)
	v_cndmask_b32_e64 v48, v48, v46, s7
	v_cndmask_b32_e64 v46, v46, v49, s7
	s_delay_alu instid0(VALU_DEP_4) | instskip(SKIP_1) | instid1(VALU_DEP_3)
	v_cndmask_b32_e64 v49, v49, v47, s7
	v_cndmask_b32_e64 v43, v47, v43, s7
	v_alignbit_b32 v51, v48, v46, v50
	s_delay_alu instid0(VALU_DEP_3) | instskip(NEXT) | instid1(VALU_DEP_3)
	v_alignbit_b32 v52, v46, v49, v50
	v_alignbit_b32 v50, v49, v43, v50
	s_delay_alu instid0(VALU_DEP_3) | instskip(NEXT) | instid1(VALU_DEP_3)
	v_cndmask_b32_e64 v1, v51, v48, s8
	v_cndmask_b32_e64 v45, v52, v46, s8
	s_delay_alu instid0(VALU_DEP_3) | instskip(NEXT) | instid1(VALU_DEP_3)
	v_cndmask_b32_e64 v49, v50, v49, s8
	v_bfe_u32 v46, v1, 29, 1
	s_delay_alu instid0(VALU_DEP_3) | instskip(NEXT) | instid1(VALU_DEP_3)
	v_alignbit_b32 v44, v1, v45, 30
	v_alignbit_b32 v45, v45, v49, 30
	;; [unrolled: 1-line block ×3, first 2 shown]
	s_delay_alu instid0(VALU_DEP_4) | instskip(NEXT) | instid1(VALU_DEP_1)
	v_sub_nc_u32_e32 v48, 0, v46
	v_xor_b32_e32 v47, v44, v48
	v_cmp_ne_u32_e64 s5, v44, v48
	v_xor_b32_e32 v45, v45, v48
	v_xor_b32_e32 v43, v43, v48
	s_delay_alu instid0(VALU_DEP_4) | instskip(NEXT) | instid1(VALU_DEP_1)
	v_clz_i32_u32_e32 v51, v47
	v_add_nc_u32_e32 v50, 1, v51
	s_delay_alu instid0(VALU_DEP_1) | instskip(NEXT) | instid1(VALU_DEP_1)
	v_cndmask_b32_e64 v44, 33, v50, s5
	v_sub_nc_u32_e32 v49, 32, v44
	s_delay_alu instid0(VALU_DEP_1) | instskip(SKIP_3) | instid1(VALU_DEP_3)
	v_alignbit_b32 v47, v47, v45, v49
	v_alignbit_b32 v43, v45, v43, v49
	v_lshrrev_b32_e32 v45, 29, v1
	v_lshrrev_b32_e32 v1, 30, v1
	v_alignbit_b32 v48, v47, v43, 9
	s_delay_alu instid0(VALU_DEP_3) | instskip(SKIP_1) | instid1(VALU_DEP_3)
	v_lshlrev_b32_e32 v45, 31, v45
	v_alignbit_b32 v47, v44, v47, 9
	v_clz_i32_u32_e32 v49, v48
	s_delay_alu instid0(VALU_DEP_2) | instskip(SKIP_1) | instid1(VALU_DEP_3)
	v_or_b32_e32 v47, v47, v45
	v_or_b32_e32 v45, 0x33800000, v45
	v_min_u32_e32 v49, 32, v49
	s_delay_alu instid0(VALU_DEP_3) | instskip(NEXT) | instid1(VALU_DEP_2)
	v_xor_b32_e32 v47, 1.0, v47
	v_sub_nc_u32_e32 v50, 31, v49
	v_add_lshl_u32 v44, v49, v44, 23
	s_delay_alu instid0(VALU_DEP_3) | instskip(NEXT) | instid1(VALU_DEP_3)
	v_mul_f32_e32 v49, 0x3fc90fda, v47
	v_alignbit_b32 v43, v48, v43, v50
	s_delay_alu instid0(VALU_DEP_3) | instskip(NEXT) | instid1(VALU_DEP_3)
	v_sub_nc_u32_e32 v44, v45, v44
	v_fma_f32 v45, 0x3fc90fda, v47, -v49
	s_delay_alu instid0(VALU_DEP_3) | instskip(NEXT) | instid1(VALU_DEP_2)
	v_lshrrev_b32_e32 v43, 9, v43
	v_fmac_f32_e32 v45, 0x33a22168, v47
	s_delay_alu instid0(VALU_DEP_2) | instskip(NEXT) | instid1(VALU_DEP_1)
	v_or_b32_e32 v43, v44, v43
	v_fmac_f32_e32 v45, 0x3fc90fda, v43
	s_delay_alu instid0(VALU_DEP_1)
	v_add_f32_e32 v43, v49, v45
	v_add_nc_u32_e32 v45, v46, v1
.LBB151_38:                             ;   in Loop: Header=BB151_4 Depth=1
	s_and_not1_saveexec_b32 s5, s27
; %bb.39:                               ;   in Loop: Header=BB151_4 Depth=1
	v_mul_f32_e64 v1, 0x3f22f983, |v38|
	s_delay_alu instid0(VALU_DEP_1) | instskip(NEXT) | instid1(VALU_DEP_1)
	v_rndne_f32_e32 v1, v1
	v_fma_f32 v43, 0xbfc90fda, v1, |v38|
	v_cvt_i32_f32_e32 v45, v1
	s_delay_alu instid0(VALU_DEP_2) | instskip(NEXT) | instid1(VALU_DEP_1)
	v_fmac_f32_e32 v43, 0xb3a22168, v1
	v_fmac_f32_e32 v43, 0xa7c234c4, v1
; %bb.40:                               ;   in Loop: Header=BB151_4 Depth=1
	s_or_b32 exec_lo, exec_lo, s5
	v_and_b32_e32 v44, 0x7fffffff, v10
	v_cmp_ngt_f32_e64 s27, 0x48000000, |v10|
                                        ; implicit-def: $vgpr48
                                        ; implicit-def: $vgpr46
	s_delay_alu instid0(VALU_DEP_2) | instskip(SKIP_1) | instid1(VALU_DEP_2)
	v_lshrrev_b32_e32 v1, 23, v44
	v_and_or_b32 v47, v44, s23, 0x800000
	v_add_nc_u32_e32 v49, 0xffffff88, v1
	s_delay_alu instid0(VALU_DEP_4) | instskip(NEXT) | instid1(SALU_CYCLE_1)
	s_and_saveexec_b32 s5, s27
	s_xor_b32 s28, exec_lo, s5
	s_cbranch_execz .LBB151_42
; %bb.41:                               ;   in Loop: Header=BB151_4 Depth=1
	v_mad_u64_u32 v[50:51], null, 0xfe5163ab, v47, 0
	v_cmp_lt_u32_e64 s5, 63, v49
	s_delay_alu instid0(VALU_DEP_1) | instskip(NEXT) | instid1(VALU_DEP_1)
	v_cndmask_b32_e64 v46, 0, 0xffffffc0, s5
	v_dual_mov_b32 v1, v51 :: v_dual_add_nc_u32 v46, v46, v49
	s_delay_alu instid0(VALU_DEP_1) | instskip(NEXT) | instid1(VALU_DEP_2)
	v_mad_u64_u32 v[51:52], null, 0x3c439041, v47, v[1:2]
	v_cmp_lt_u32_e64 s6, 31, v46
	s_delay_alu instid0(VALU_DEP_2) | instskip(NEXT) | instid1(VALU_DEP_2)
	v_mov_b32_e32 v1, v52
	v_cndmask_b32_e64 v48, 0, 0xffffffe0, s6
	s_delay_alu instid0(VALU_DEP_2) | instskip(NEXT) | instid1(VALU_DEP_2)
	v_mad_u64_u32 v[52:53], null, 0xdb629599, v47, v[1:2]
	v_add_nc_u32_e32 v46, v48, v46
	s_delay_alu instid0(VALU_DEP_1) | instskip(NEXT) | instid1(VALU_DEP_3)
	v_cmp_lt_u32_e64 s7, 31, v46
	v_mov_b32_e32 v1, v53
	s_delay_alu instid0(VALU_DEP_4) | instskip(NEXT) | instid1(VALU_DEP_2)
	v_cndmask_b32_e64 v50, v52, v50, s5
	v_mad_u64_u32 v[53:54], null, 0xf534ddc0, v47, v[1:2]
	s_delay_alu instid0(VALU_DEP_1) | instskip(NEXT) | instid1(VALU_DEP_1)
	v_mov_b32_e32 v1, v54
	v_mad_u64_u32 v[54:55], null, 0xfc2757d1, v47, v[1:2]
	s_delay_alu instid0(VALU_DEP_1) | instskip(NEXT) | instid1(VALU_DEP_1)
	v_mov_b32_e32 v1, v55
	v_mad_u64_u32 v[55:56], null, 0x4e441529, v47, v[1:2]
	s_delay_alu instid0(VALU_DEP_1) | instskip(NEXT) | instid1(VALU_DEP_2)
	v_mov_b32_e32 v1, v56
	v_cndmask_b32_e64 v48, v55, v53, s5
	s_delay_alu instid0(VALU_DEP_2) | instskip(SKIP_1) | instid1(VALU_DEP_1)
	v_mad_u64_u32 v[56:57], null, 0xa2f9836e, v47, v[1:2]
	v_cndmask_b32_e64 v1, 0, 0xffffffe0, s7
	v_add_nc_u32_e32 v1, v1, v46
	s_delay_alu instid0(VALU_DEP_3) | instskip(NEXT) | instid1(VALU_DEP_4)
	v_cndmask_b32_e64 v56, v56, v54, s5
	v_cndmask_b32_e64 v55, v57, v55, s5
	v_cndmask_b32_e64 v54, v54, v52, s5
	v_cndmask_b32_e64 v46, v53, v51, s5
	v_cmp_eq_u32_e64 s8, 0, v1
	v_cndmask_b32_e64 v51, v56, v48, s6
	v_cndmask_b32_e64 v53, v55, v56, s6
	;; [unrolled: 1-line block ×3, first 2 shown]
	v_sub_nc_u32_e32 v55, 32, v1
	v_cndmask_b32_e64 v54, v54, v46, s6
	v_cndmask_b32_e64 v46, v46, v50, s6
	;; [unrolled: 1-line block ×4, first 2 shown]
	s_delay_alu instid0(VALU_DEP_4) | instskip(NEXT) | instid1(VALU_DEP_4)
	v_cndmask_b32_e64 v48, v48, v54, s7
	v_cndmask_b32_e64 v46, v54, v46, s7
	s_delay_alu instid0(VALU_DEP_3) | instskip(NEXT) | instid1(VALU_DEP_3)
	v_alignbit_b32 v56, v53, v51, v55
	v_alignbit_b32 v57, v51, v48, v55
	s_delay_alu instid0(VALU_DEP_3) | instskip(NEXT) | instid1(VALU_DEP_3)
	v_alignbit_b32 v55, v48, v46, v55
	v_cndmask_b32_e64 v1, v56, v53, s8
	s_delay_alu instid0(VALU_DEP_3) | instskip(NEXT) | instid1(VALU_DEP_3)
	v_cndmask_b32_e64 v51, v57, v51, s8
	v_cndmask_b32_e64 v48, v55, v48, s8
	s_delay_alu instid0(VALU_DEP_3) | instskip(NEXT) | instid1(VALU_DEP_3)
	v_bfe_u32 v52, v1, 29, 1
	v_alignbit_b32 v50, v1, v51, 30
	s_delay_alu instid0(VALU_DEP_3) | instskip(SKIP_1) | instid1(VALU_DEP_4)
	v_alignbit_b32 v51, v51, v48, 30
	v_alignbit_b32 v46, v48, v46, 30
	v_sub_nc_u32_e32 v53, 0, v52
	s_delay_alu instid0(VALU_DEP_1) | instskip(SKIP_3) | instid1(VALU_DEP_4)
	v_xor_b32_e32 v54, v50, v53
	v_cmp_ne_u32_e64 s5, v50, v53
	v_xor_b32_e32 v48, v51, v53
	v_xor_b32_e32 v46, v46, v53
	v_clz_i32_u32_e32 v56, v54
	s_delay_alu instid0(VALU_DEP_1) | instskip(NEXT) | instid1(VALU_DEP_1)
	v_add_nc_u32_e32 v55, 1, v56
	v_cndmask_b32_e64 v50, 33, v55, s5
	s_delay_alu instid0(VALU_DEP_1) | instskip(NEXT) | instid1(VALU_DEP_1)
	v_sub_nc_u32_e32 v51, 32, v50
	v_alignbit_b32 v53, v54, v48, v51
	v_alignbit_b32 v46, v48, v46, v51
	v_lshrrev_b32_e32 v48, 29, v1
	v_lshrrev_b32_e32 v1, 30, v1
	s_delay_alu instid0(VALU_DEP_3) | instskip(NEXT) | instid1(VALU_DEP_3)
	v_alignbit_b32 v51, v53, v46, 9
	v_lshlrev_b32_e32 v48, 31, v48
	v_alignbit_b32 v53, v50, v53, 9
	s_delay_alu instid0(VALU_DEP_3) | instskip(NEXT) | instid1(VALU_DEP_2)
	v_clz_i32_u32_e32 v54, v51
	v_or_b32_e32 v53, v53, v48
	v_or_b32_e32 v48, 0x33800000, v48
	s_delay_alu instid0(VALU_DEP_3) | instskip(NEXT) | instid1(VALU_DEP_3)
	v_min_u32_e32 v54, 32, v54
	v_xor_b32_e32 v53, 1.0, v53
	s_delay_alu instid0(VALU_DEP_2) | instskip(SKIP_1) | instid1(VALU_DEP_3)
	v_sub_nc_u32_e32 v55, 31, v54
	v_add_lshl_u32 v50, v54, v50, 23
	v_mul_f32_e32 v54, 0x3fc90fda, v53
	s_delay_alu instid0(VALU_DEP_3) | instskip(NEXT) | instid1(VALU_DEP_3)
	v_alignbit_b32 v46, v51, v46, v55
	v_sub_nc_u32_e32 v48, v48, v50
	s_delay_alu instid0(VALU_DEP_3) | instskip(NEXT) | instid1(VALU_DEP_3)
	v_fma_f32 v50, 0x3fc90fda, v53, -v54
	v_lshrrev_b32_e32 v46, 9, v46
	s_delay_alu instid0(VALU_DEP_2) | instskip(NEXT) | instid1(VALU_DEP_2)
	v_fmac_f32_e32 v50, 0x33a22168, v53
	v_or_b32_e32 v46, v48, v46
	v_add_nc_u32_e32 v48, v52, v1
	s_delay_alu instid0(VALU_DEP_2) | instskip(NEXT) | instid1(VALU_DEP_1)
	v_fmac_f32_e32 v50, 0x3fc90fda, v46
	v_add_f32_e32 v46, v54, v50
.LBB151_42:                             ;   in Loop: Header=BB151_4 Depth=1
	s_or_saveexec_b32 s5, s28
	v_mul_f32_e64 v1, 0x3f22f983, |v10|
	s_delay_alu instid0(VALU_DEP_1)
	v_rndne_f32_e32 v1, v1
	s_xor_b32 exec_lo, exec_lo, s5
; %bb.43:                               ;   in Loop: Header=BB151_4 Depth=1
	s_delay_alu instid0(VALU_DEP_1) | instskip(SKIP_1) | instid1(VALU_DEP_2)
	v_fma_f32 v46, 0xbfc90fda, v1, |v10|
	v_cvt_i32_f32_e32 v48, v1
	v_fmac_f32_e32 v46, 0xb3a22168, v1
	s_delay_alu instid0(VALU_DEP_1)
	v_fmac_f32_e32 v46, 0xa7c234c4, v1
; %bb.44:                               ;   in Loop: Header=BB151_4 Depth=1
	s_or_b32 exec_lo, exec_lo, s5
                                        ; implicit-def: $vgpr51
                                        ; implicit-def: $vgpr50
	s_and_saveexec_b32 s5, s27
	s_delay_alu instid0(SALU_CYCLE_1)
	s_xor_b32 s27, exec_lo, s5
	s_cbranch_execz .LBB151_46
; %bb.45:                               ;   in Loop: Header=BB151_4 Depth=1
	v_mad_u64_u32 v[50:51], null, 0xfe5163ab, v47, 0
	v_cmp_lt_u32_e64 s5, 63, v49
	s_delay_alu instid0(VALU_DEP_1) | instskip(NEXT) | instid1(VALU_DEP_3)
	v_cndmask_b32_e64 v56, 0, 0xffffffc0, s5
	v_mov_b32_e32 v1, v51
	s_delay_alu instid0(VALU_DEP_2) | instskip(NEXT) | instid1(VALU_DEP_2)
	v_add_nc_u32_e32 v49, v56, v49
	v_mad_u64_u32 v[51:52], null, 0x3c439041, v47, v[1:2]
	s_delay_alu instid0(VALU_DEP_2) | instskip(NEXT) | instid1(VALU_DEP_2)
	v_cmp_lt_u32_e64 s6, 31, v49
	v_mov_b32_e32 v1, v52
	s_delay_alu instid0(VALU_DEP_2) | instskip(NEXT) | instid1(VALU_DEP_2)
	v_cndmask_b32_e64 v57, 0, 0xffffffe0, s6
	v_mad_u64_u32 v[52:53], null, 0xdb629599, v47, v[1:2]
	s_delay_alu instid0(VALU_DEP_2) | instskip(NEXT) | instid1(VALU_DEP_1)
	v_add_nc_u32_e32 v49, v57, v49
	v_cmp_lt_u32_e64 s7, 31, v49
	s_delay_alu instid0(VALU_DEP_3) | instskip(NEXT) | instid1(VALU_DEP_4)
	v_mov_b32_e32 v1, v53
	v_cndmask_b32_e64 v50, v52, v50, s5
	s_delay_alu instid0(VALU_DEP_2) | instskip(NEXT) | instid1(VALU_DEP_1)
	v_mad_u64_u32 v[53:54], null, 0xf534ddc0, v47, v[1:2]
	v_mov_b32_e32 v1, v54
	s_delay_alu instid0(VALU_DEP_1) | instskip(NEXT) | instid1(VALU_DEP_1)
	v_mad_u64_u32 v[54:55], null, 0xfc2757d1, v47, v[1:2]
	v_mov_b32_e32 v1, v55
	s_delay_alu instid0(VALU_DEP_1) | instskip(NEXT) | instid1(VALU_DEP_1)
	v_mad_u64_u32 v[55:56], null, 0x4e441529, v47, v[1:2]
	v_mov_b32_e32 v1, v56
	s_delay_alu instid0(VALU_DEP_1) | instskip(SKIP_1) | instid1(VALU_DEP_4)
	v_mad_u64_u32 v[56:57], null, 0xa2f9836e, v47, v[1:2]
	v_cndmask_b32_e64 v1, 0, 0xffffffe0, s7
	v_cndmask_b32_e64 v47, v55, v53, s5
	s_delay_alu instid0(VALU_DEP_2) | instskip(NEXT) | instid1(VALU_DEP_4)
	v_add_nc_u32_e32 v1, v1, v49
	v_cndmask_b32_e64 v56, v56, v54, s5
	v_cndmask_b32_e64 v55, v57, v55, s5
	;; [unrolled: 1-line block ×4, first 2 shown]
	v_cmp_eq_u32_e64 s8, 0, v1
	v_cndmask_b32_e64 v51, v56, v47, s6
	v_cndmask_b32_e64 v53, v55, v56, s6
	;; [unrolled: 1-line block ×3, first 2 shown]
	v_sub_nc_u32_e32 v55, 32, v1
	v_cndmask_b32_e64 v54, v54, v49, s6
	v_cndmask_b32_e64 v49, v49, v50, s6
	;; [unrolled: 1-line block ×4, first 2 shown]
	s_delay_alu instid0(VALU_DEP_4) | instskip(NEXT) | instid1(VALU_DEP_4)
	v_cndmask_b32_e64 v47, v47, v54, s7
	v_cndmask_b32_e64 v49, v54, v49, s7
	s_delay_alu instid0(VALU_DEP_3) | instskip(NEXT) | instid1(VALU_DEP_3)
	v_alignbit_b32 v56, v53, v51, v55
	v_alignbit_b32 v57, v51, v47, v55
	s_delay_alu instid0(VALU_DEP_3) | instskip(NEXT) | instid1(VALU_DEP_3)
	v_alignbit_b32 v55, v47, v49, v55
	v_cndmask_b32_e64 v1, v56, v53, s8
	s_delay_alu instid0(VALU_DEP_3) | instskip(NEXT) | instid1(VALU_DEP_3)
	v_cndmask_b32_e64 v51, v57, v51, s8
	v_cndmask_b32_e64 v47, v55, v47, s8
	s_delay_alu instid0(VALU_DEP_3) | instskip(NEXT) | instid1(VALU_DEP_3)
	v_bfe_u32 v52, v1, 29, 1
	v_alignbit_b32 v50, v1, v51, 30
	s_delay_alu instid0(VALU_DEP_3) | instskip(SKIP_1) | instid1(VALU_DEP_4)
	v_alignbit_b32 v51, v51, v47, 30
	v_alignbit_b32 v47, v47, v49, 30
	v_sub_nc_u32_e32 v53, 0, v52
	s_delay_alu instid0(VALU_DEP_1) | instskip(SKIP_3) | instid1(VALU_DEP_4)
	v_xor_b32_e32 v54, v50, v53
	v_cmp_ne_u32_e64 s5, v50, v53
	v_xor_b32_e32 v49, v51, v53
	v_xor_b32_e32 v47, v47, v53
	v_clz_i32_u32_e32 v56, v54
	s_delay_alu instid0(VALU_DEP_1) | instskip(NEXT) | instid1(VALU_DEP_1)
	v_add_nc_u32_e32 v55, 1, v56
	v_cndmask_b32_e64 v50, 33, v55, s5
	s_delay_alu instid0(VALU_DEP_1) | instskip(NEXT) | instid1(VALU_DEP_1)
	v_sub_nc_u32_e32 v51, 32, v50
	v_alignbit_b32 v53, v54, v49, v51
	v_alignbit_b32 v47, v49, v47, v51
	v_lshrrev_b32_e32 v49, 29, v1
	v_lshrrev_b32_e32 v1, 30, v1
	s_delay_alu instid0(VALU_DEP_3) | instskip(NEXT) | instid1(VALU_DEP_3)
	v_alignbit_b32 v51, v53, v47, 9
	v_lshlrev_b32_e32 v49, 31, v49
	v_alignbit_b32 v53, v50, v53, 9
	s_delay_alu instid0(VALU_DEP_3) | instskip(NEXT) | instid1(VALU_DEP_2)
	v_clz_i32_u32_e32 v54, v51
	v_or_b32_e32 v53, v53, v49
	v_or_b32_e32 v49, 0x33800000, v49
	s_delay_alu instid0(VALU_DEP_3) | instskip(NEXT) | instid1(VALU_DEP_3)
	v_min_u32_e32 v54, 32, v54
	v_xor_b32_e32 v53, 1.0, v53
	s_delay_alu instid0(VALU_DEP_2) | instskip(SKIP_1) | instid1(VALU_DEP_3)
	v_sub_nc_u32_e32 v55, 31, v54
	v_add_lshl_u32 v50, v54, v50, 23
	v_mul_f32_e32 v54, 0x3fc90fda, v53
	s_delay_alu instid0(VALU_DEP_3) | instskip(NEXT) | instid1(VALU_DEP_3)
	v_alignbit_b32 v47, v51, v47, v55
	v_sub_nc_u32_e32 v49, v49, v50
	s_delay_alu instid0(VALU_DEP_3) | instskip(SKIP_1) | instid1(VALU_DEP_4)
	v_fma_f32 v50, 0x3fc90fda, v53, -v54
	v_add_nc_u32_e32 v51, v52, v1
                                        ; implicit-def: $vgpr1
	v_lshrrev_b32_e32 v47, 9, v47
	s_delay_alu instid0(VALU_DEP_3) | instskip(NEXT) | instid1(VALU_DEP_2)
	v_fmac_f32_e32 v50, 0x33a22168, v53
	v_or_b32_e32 v47, v49, v47
	s_delay_alu instid0(VALU_DEP_1) | instskip(NEXT) | instid1(VALU_DEP_1)
	v_fmac_f32_e32 v50, 0x3fc90fda, v47
	v_add_f32_e32 v50, v54, v50
	s_and_not1_saveexec_b32 s5, s27
	s_cbranch_execnz .LBB151_47
	s_branch .LBB151_48
.LBB151_46:                             ;   in Loop: Header=BB151_4 Depth=1
	s_and_not1_saveexec_b32 s5, s27
.LBB151_47:                             ;   in Loop: Header=BB151_4 Depth=1
	v_fma_f32 v50, 0xbfc90fda, v1, |v10|
	v_cvt_i32_f32_e32 v51, v1
	s_delay_alu instid0(VALU_DEP_2) | instskip(NEXT) | instid1(VALU_DEP_1)
	v_fmac_f32_e32 v50, 0xb3a22168, v1
	v_fmac_f32_e32 v50, 0xa7c234c4, v1
.LBB151_48:                             ;   in Loop: Header=BB151_4 Depth=1
	s_or_b32 exec_lo, exec_lo, s5
	v_mul_f32_e32 v47, 0.5, v8
                                        ; implicit-def: $vgpr54
                                        ; implicit-def: $vgpr52
	s_mov_b32 s6, exec_lo
	s_delay_alu instid0(VALU_DEP_1)
	v_and_b32_e32 v49, 0x7fffffff, v47
	v_cmpx_ngt_f32_e64 0x48000000, |v47|
	s_xor_b32 s27, exec_lo, s6
	s_cbranch_execz .LBB151_50
; %bb.49:                               ;   in Loop: Header=BB151_4 Depth=1
	s_delay_alu instid0(VALU_DEP_2) | instskip(SKIP_1) | instid1(VALU_DEP_2)
	v_and_or_b32 v60, v49, s23, 0x800000
	v_lshrrev_b32_e32 v57, 23, v49
	v_mad_u64_u32 v[52:53], null, 0xfe5163ab, v60, 0
	s_delay_alu instid0(VALU_DEP_2) | instskip(NEXT) | instid1(VALU_DEP_1)
	v_add_nc_u32_e32 v58, 0xffffff88, v57
	v_cmp_lt_u32_e64 s5, 63, v58
	s_delay_alu instid0(VALU_DEP_3) | instskip(NEXT) | instid1(VALU_DEP_2)
	v_mov_b32_e32 v1, v53
	v_cndmask_b32_e64 v59, 0, 0xffffffc0, s5
	s_delay_alu instid0(VALU_DEP_2) | instskip(NEXT) | instid1(VALU_DEP_2)
	v_mad_u64_u32 v[53:54], null, 0x3c439041, v60, v[1:2]
	v_add_nc_u32_e32 v59, v59, v58
	s_delay_alu instid0(VALU_DEP_2) | instskip(NEXT) | instid1(VALU_DEP_2)
	v_mov_b32_e32 v1, v54
	v_cmp_lt_u32_e64 s6, 31, v59
	s_delay_alu instid0(VALU_DEP_2) | instskip(NEXT) | instid1(VALU_DEP_2)
	v_mad_u64_u32 v[54:55], null, 0xdb629599, v60, v[1:2]
	v_cndmask_b32_e64 v61, 0, 0xffffffe0, s6
	s_delay_alu instid0(VALU_DEP_1) | instskip(NEXT) | instid1(VALU_DEP_3)
	v_add_nc_u32_e32 v61, v61, v59
	v_mov_b32_e32 v1, v55
	s_delay_alu instid0(VALU_DEP_4) | instskip(NEXT) | instid1(VALU_DEP_3)
	v_cndmask_b32_e64 v52, v54, v52, s5
	v_cmp_lt_u32_e64 s7, 31, v61
	s_delay_alu instid0(VALU_DEP_3) | instskip(NEXT) | instid1(VALU_DEP_1)
	v_mad_u64_u32 v[55:56], null, 0xf534ddc0, v60, v[1:2]
	v_mov_b32_e32 v1, v56
	s_delay_alu instid0(VALU_DEP_2) | instskip(NEXT) | instid1(VALU_DEP_2)
	v_cndmask_b32_e64 v53, v55, v53, s5
	v_mad_u64_u32 v[56:57], null, 0xfc2757d1, v60, v[1:2]
	s_delay_alu instid0(VALU_DEP_2) | instskip(NEXT) | instid1(VALU_DEP_2)
	v_cndmask_b32_e64 v52, v53, v52, s6
	v_mov_b32_e32 v1, v57
	s_delay_alu instid0(VALU_DEP_1) | instskip(NEXT) | instid1(VALU_DEP_1)
	v_mad_u64_u32 v[57:58], null, 0x4e441529, v60, v[1:2]
	v_mov_b32_e32 v1, v58
	s_delay_alu instid0(VALU_DEP_1) | instskip(SKIP_1) | instid1(VALU_DEP_4)
	v_mad_u64_u32 v[58:59], null, 0xa2f9836e, v60, v[1:2]
	v_cndmask_b32_e64 v1, 0, 0xffffffe0, s7
	v_cndmask_b32_e64 v60, v57, v55, s5
	s_delay_alu instid0(VALU_DEP_2) | instskip(NEXT) | instid1(VALU_DEP_4)
	v_add_nc_u32_e32 v1, v1, v61
	v_cndmask_b32_e64 v58, v58, v56, s5
	v_cndmask_b32_e64 v57, v59, v57, s5
	;; [unrolled: 1-line block ×3, first 2 shown]
	s_delay_alu instid0(VALU_DEP_4) | instskip(NEXT) | instid1(VALU_DEP_4)
	v_sub_nc_u32_e32 v59, 32, v1
	v_cndmask_b32_e64 v55, v58, v60, s6
	s_delay_alu instid0(VALU_DEP_4) | instskip(NEXT) | instid1(VALU_DEP_4)
	v_cndmask_b32_e64 v57, v57, v58, s6
	v_cndmask_b32_e64 v58, v60, v56, s6
	;; [unrolled: 1-line block ×3, first 2 shown]
	v_cmp_eq_u32_e64 s8, 0, v1
	s_delay_alu instid0(VALU_DEP_4) | instskip(NEXT) | instid1(VALU_DEP_4)
	v_cndmask_b32_e64 v57, v57, v55, s7
	v_cndmask_b32_e64 v55, v55, v58, s7
	s_delay_alu instid0(VALU_DEP_4) | instskip(SKIP_1) | instid1(VALU_DEP_3)
	v_cndmask_b32_e64 v58, v58, v56, s7
	v_cndmask_b32_e64 v52, v56, v52, s7
	v_alignbit_b32 v60, v57, v55, v59
	s_delay_alu instid0(VALU_DEP_3) | instskip(NEXT) | instid1(VALU_DEP_3)
	v_alignbit_b32 v61, v55, v58, v59
	v_alignbit_b32 v59, v58, v52, v59
	s_delay_alu instid0(VALU_DEP_3) | instskip(NEXT) | instid1(VALU_DEP_3)
	v_cndmask_b32_e64 v1, v60, v57, s8
	v_cndmask_b32_e64 v54, v61, v55, s8
	s_delay_alu instid0(VALU_DEP_3) | instskip(NEXT) | instid1(VALU_DEP_3)
	v_cndmask_b32_e64 v58, v59, v58, s8
	v_bfe_u32 v55, v1, 29, 1
	s_delay_alu instid0(VALU_DEP_3) | instskip(NEXT) | instid1(VALU_DEP_3)
	v_alignbit_b32 v53, v1, v54, 30
	v_alignbit_b32 v54, v54, v58, 30
	;; [unrolled: 1-line block ×3, first 2 shown]
	s_delay_alu instid0(VALU_DEP_4) | instskip(NEXT) | instid1(VALU_DEP_1)
	v_sub_nc_u32_e32 v57, 0, v55
	v_xor_b32_e32 v56, v53, v57
	v_cmp_ne_u32_e64 s5, v53, v57
	v_xor_b32_e32 v54, v54, v57
	v_xor_b32_e32 v52, v52, v57
	s_delay_alu instid0(VALU_DEP_4) | instskip(NEXT) | instid1(VALU_DEP_1)
	v_clz_i32_u32_e32 v60, v56
	v_add_nc_u32_e32 v59, 1, v60
	s_delay_alu instid0(VALU_DEP_1) | instskip(NEXT) | instid1(VALU_DEP_1)
	v_cndmask_b32_e64 v53, 33, v59, s5
	v_sub_nc_u32_e32 v58, 32, v53
	s_delay_alu instid0(VALU_DEP_1) | instskip(SKIP_3) | instid1(VALU_DEP_3)
	v_alignbit_b32 v56, v56, v54, v58
	v_alignbit_b32 v52, v54, v52, v58
	v_lshrrev_b32_e32 v54, 29, v1
	v_lshrrev_b32_e32 v1, 30, v1
	v_alignbit_b32 v57, v56, v52, 9
	s_delay_alu instid0(VALU_DEP_3) | instskip(SKIP_1) | instid1(VALU_DEP_3)
	v_lshlrev_b32_e32 v54, 31, v54
	v_alignbit_b32 v56, v53, v56, 9
	v_clz_i32_u32_e32 v58, v57
	s_delay_alu instid0(VALU_DEP_2) | instskip(SKIP_1) | instid1(VALU_DEP_3)
	v_or_b32_e32 v56, v56, v54
	v_or_b32_e32 v54, 0x33800000, v54
	v_min_u32_e32 v58, 32, v58
	s_delay_alu instid0(VALU_DEP_3) | instskip(NEXT) | instid1(VALU_DEP_2)
	v_xor_b32_e32 v56, 1.0, v56
	v_sub_nc_u32_e32 v59, 31, v58
	v_add_lshl_u32 v53, v58, v53, 23
	s_delay_alu instid0(VALU_DEP_3) | instskip(NEXT) | instid1(VALU_DEP_3)
	v_mul_f32_e32 v58, 0x3fc90fda, v56
	v_alignbit_b32 v52, v57, v52, v59
	s_delay_alu instid0(VALU_DEP_3) | instskip(NEXT) | instid1(VALU_DEP_3)
	v_sub_nc_u32_e32 v53, v54, v53
	v_fma_f32 v54, 0x3fc90fda, v56, -v58
	s_delay_alu instid0(VALU_DEP_3) | instskip(NEXT) | instid1(VALU_DEP_2)
	v_lshrrev_b32_e32 v52, 9, v52
	v_fmac_f32_e32 v54, 0x33a22168, v56
	s_delay_alu instid0(VALU_DEP_2) | instskip(NEXT) | instid1(VALU_DEP_1)
	v_or_b32_e32 v52, v53, v52
	v_fmac_f32_e32 v54, 0x3fc90fda, v52
	s_delay_alu instid0(VALU_DEP_1)
	v_add_f32_e32 v52, v58, v54
	v_add_nc_u32_e32 v54, v55, v1
.LBB151_50:                             ;   in Loop: Header=BB151_4 Depth=1
	s_and_not1_saveexec_b32 s5, s27
; %bb.51:                               ;   in Loop: Header=BB151_4 Depth=1
	v_mul_f32_e64 v1, 0x3f22f983, |v47|
	s_delay_alu instid0(VALU_DEP_1) | instskip(NEXT) | instid1(VALU_DEP_1)
	v_rndne_f32_e32 v1, v1
	v_fma_f32 v52, 0xbfc90fda, v1, |v47|
	v_cvt_i32_f32_e32 v54, v1
	s_delay_alu instid0(VALU_DEP_2) | instskip(NEXT) | instid1(VALU_DEP_1)
	v_fmac_f32_e32 v52, 0xb3a22168, v1
	v_fmac_f32_e32 v52, 0xa7c234c4, v1
; %bb.52:                               ;   in Loop: Header=BB151_4 Depth=1
	s_or_b32 exec_lo, exec_lo, s5
	v_and_b32_e32 v53, 0x7fffffff, v8
	v_cmp_ngt_f32_e64 s27, 0x48000000, |v8|
                                        ; implicit-def: $vgpr56
                                        ; implicit-def: $vgpr55
	s_delay_alu instid0(VALU_DEP_2) | instskip(SKIP_1) | instid1(VALU_DEP_2)
	v_lshrrev_b32_e32 v1, 23, v53
	v_and_or_b32 v58, v53, s23, 0x800000
	v_add_nc_u32_e32 v59, 0xffffff88, v1
	s_delay_alu instid0(VALU_DEP_4) | instskip(NEXT) | instid1(SALU_CYCLE_1)
	s_and_saveexec_b32 s5, s27
	s_xor_b32 s28, exec_lo, s5
	s_cbranch_execz .LBB151_54
; %bb.53:                               ;   in Loop: Header=BB151_4 Depth=1
	v_mad_u64_u32 v[55:56], null, 0xfe5163ab, v58, 0
	v_cmp_lt_u32_e64 s5, 63, v59
	s_delay_alu instid0(VALU_DEP_2) | instskip(NEXT) | instid1(VALU_DEP_1)
	v_mov_b32_e32 v1, v56
	v_mad_u64_u32 v[56:57], null, 0x3c439041, v58, v[1:2]
	s_delay_alu instid0(VALU_DEP_1) | instskip(NEXT) | instid1(VALU_DEP_4)
	v_mov_b32_e32 v1, v57
	v_cndmask_b32_e64 v57, 0, 0xffffffc0, s5
	s_delay_alu instid0(VALU_DEP_2) | instskip(NEXT) | instid1(VALU_DEP_2)
	v_mad_u64_u32 v[60:61], null, 0xdb629599, v58, v[1:2]
	v_add_nc_u32_e32 v57, v57, v59
	s_delay_alu instid0(VALU_DEP_1) | instskip(NEXT) | instid1(VALU_DEP_3)
	v_cmp_lt_u32_e64 s6, 31, v57
	v_mov_b32_e32 v1, v61
	s_delay_alu instid0(VALU_DEP_4) | instskip(NEXT) | instid1(VALU_DEP_3)
	v_cndmask_b32_e64 v55, v60, v55, s5
	v_cndmask_b32_e64 v65, 0, 0xffffffe0, s6
	s_delay_alu instid0(VALU_DEP_3) | instskip(NEXT) | instid1(VALU_DEP_2)
	v_mad_u64_u32 v[61:62], null, 0xf534ddc0, v58, v[1:2]
	v_add_nc_u32_e32 v57, v65, v57
	s_delay_alu instid0(VALU_DEP_2) | instskip(NEXT) | instid1(VALU_DEP_2)
	v_mov_b32_e32 v1, v62
	v_cmp_lt_u32_e64 s7, 31, v57
	s_delay_alu instid0(VALU_DEP_4) | instskip(NEXT) | instid1(VALU_DEP_3)
	v_cndmask_b32_e64 v56, v61, v56, s5
	v_mad_u64_u32 v[62:63], null, 0xfc2757d1, v58, v[1:2]
	s_delay_alu instid0(VALU_DEP_2) | instskip(NEXT) | instid1(VALU_DEP_2)
	v_cndmask_b32_e64 v55, v56, v55, s6
	v_mov_b32_e32 v1, v63
	s_delay_alu instid0(VALU_DEP_1) | instskip(NEXT) | instid1(VALU_DEP_1)
	v_mad_u64_u32 v[63:64], null, 0x4e441529, v58, v[1:2]
	v_mov_b32_e32 v1, v64
	s_delay_alu instid0(VALU_DEP_2) | instskip(NEXT) | instid1(VALU_DEP_2)
	v_cndmask_b32_e64 v66, v63, v61, s5
	v_mad_u64_u32 v[64:65], null, 0xa2f9836e, v58, v[1:2]
	v_cndmask_b32_e64 v1, 0, 0xffffffe0, s7
	s_delay_alu instid0(VALU_DEP_1) | instskip(NEXT) | instid1(VALU_DEP_3)
	v_add_nc_u32_e32 v1, v1, v57
	v_cndmask_b32_e64 v64, v64, v62, s5
	s_delay_alu instid0(VALU_DEP_4) | instskip(SKIP_1) | instid1(VALU_DEP_4)
	v_cndmask_b32_e64 v63, v65, v63, s5
	v_cndmask_b32_e64 v62, v62, v60, s5
	v_cmp_eq_u32_e64 s8, 0, v1
	s_delay_alu instid0(VALU_DEP_4) | instskip(NEXT) | instid1(VALU_DEP_4)
	v_cndmask_b32_e64 v57, v64, v66, s6
	v_cndmask_b32_e64 v61, v63, v64, s6
	s_delay_alu instid0(VALU_DEP_4) | instskip(SKIP_2) | instid1(VALU_DEP_4)
	v_cndmask_b32_e64 v63, v66, v62, s6
	v_sub_nc_u32_e32 v64, 32, v1
	v_cndmask_b32_e64 v62, v62, v56, s6
	v_cndmask_b32_e64 v61, v61, v57, s7
	s_delay_alu instid0(VALU_DEP_4) | instskip(NEXT) | instid1(VALU_DEP_3)
	v_cndmask_b32_e64 v57, v57, v63, s7
	v_cndmask_b32_e64 v63, v63, v62, s7
	;; [unrolled: 1-line block ×3, first 2 shown]
	s_delay_alu instid0(VALU_DEP_3) | instskip(NEXT) | instid1(VALU_DEP_3)
	v_alignbit_b32 v65, v61, v57, v64
	v_alignbit_b32 v66, v57, v63, v64
	s_delay_alu instid0(VALU_DEP_3) | instskip(NEXT) | instid1(VALU_DEP_3)
	v_alignbit_b32 v64, v63, v55, v64
	v_cndmask_b32_e64 v1, v65, v61, s8
	s_delay_alu instid0(VALU_DEP_3) | instskip(NEXT) | instid1(VALU_DEP_3)
	v_cndmask_b32_e64 v57, v66, v57, s8
	v_cndmask_b32_e64 v63, v64, v63, s8
	s_delay_alu instid0(VALU_DEP_3) | instskip(NEXT) | instid1(VALU_DEP_3)
	v_bfe_u32 v60, v1, 29, 1
	v_alignbit_b32 v56, v1, v57, 30
	s_delay_alu instid0(VALU_DEP_3) | instskip(SKIP_1) | instid1(VALU_DEP_4)
	v_alignbit_b32 v57, v57, v63, 30
	v_alignbit_b32 v55, v63, v55, 30
	v_sub_nc_u32_e32 v61, 0, v60
	s_delay_alu instid0(VALU_DEP_1) | instskip(SKIP_3) | instid1(VALU_DEP_4)
	v_xor_b32_e32 v62, v56, v61
	v_cmp_ne_u32_e64 s5, v56, v61
	v_xor_b32_e32 v57, v57, v61
	v_xor_b32_e32 v55, v55, v61
	v_clz_i32_u32_e32 v65, v62
	s_delay_alu instid0(VALU_DEP_1) | instskip(NEXT) | instid1(VALU_DEP_1)
	v_add_nc_u32_e32 v64, 1, v65
	v_cndmask_b32_e64 v56, 33, v64, s5
	s_delay_alu instid0(VALU_DEP_1) | instskip(NEXT) | instid1(VALU_DEP_1)
	v_sub_nc_u32_e32 v63, 32, v56
	v_alignbit_b32 v61, v62, v57, v63
	v_alignbit_b32 v55, v57, v55, v63
	v_lshrrev_b32_e32 v57, 29, v1
	v_lshrrev_b32_e32 v1, 30, v1
	s_delay_alu instid0(VALU_DEP_3) | instskip(NEXT) | instid1(VALU_DEP_3)
	v_alignbit_b32 v62, v61, v55, 9
	v_lshlrev_b32_e32 v57, 31, v57
	v_alignbit_b32 v61, v56, v61, 9
	s_delay_alu instid0(VALU_DEP_3) | instskip(NEXT) | instid1(VALU_DEP_2)
	v_clz_i32_u32_e32 v63, v62
	v_or_b32_e32 v61, v61, v57
	v_or_b32_e32 v57, 0x33800000, v57
	s_delay_alu instid0(VALU_DEP_3) | instskip(NEXT) | instid1(VALU_DEP_3)
	v_min_u32_e32 v63, 32, v63
	v_xor_b32_e32 v61, 1.0, v61
	s_delay_alu instid0(VALU_DEP_2) | instskip(SKIP_1) | instid1(VALU_DEP_3)
	v_sub_nc_u32_e32 v64, 31, v63
	v_add_lshl_u32 v56, v63, v56, 23
	v_mul_f32_e32 v63, 0x3fc90fda, v61
	s_delay_alu instid0(VALU_DEP_3) | instskip(NEXT) | instid1(VALU_DEP_3)
	v_alignbit_b32 v55, v62, v55, v64
	v_sub_nc_u32_e32 v56, v57, v56
	s_delay_alu instid0(VALU_DEP_3) | instskip(NEXT) | instid1(VALU_DEP_3)
	v_fma_f32 v57, 0x3fc90fda, v61, -v63
	v_lshrrev_b32_e32 v55, 9, v55
	s_delay_alu instid0(VALU_DEP_2) | instskip(NEXT) | instid1(VALU_DEP_2)
	v_fmac_f32_e32 v57, 0x33a22168, v61
	v_or_b32_e32 v55, v56, v55
	s_delay_alu instid0(VALU_DEP_1) | instskip(NEXT) | instid1(VALU_DEP_1)
	v_dual_fmac_f32 v57, 0x3fc90fda, v55 :: v_dual_add_nc_u32 v56, v60, v1
	v_add_f32_e32 v55, v63, v57
.LBB151_54:                             ;   in Loop: Header=BB151_4 Depth=1
	s_or_saveexec_b32 s5, s28
	v_mul_f32_e64 v1, 0x3f22f983, |v8|
	s_delay_alu instid0(VALU_DEP_1)
	v_rndne_f32_e32 v60, v1
	s_xor_b32 exec_lo, exec_lo, s5
; %bb.55:                               ;   in Loop: Header=BB151_4 Depth=1
	s_delay_alu instid0(VALU_DEP_1) | instskip(SKIP_1) | instid1(VALU_DEP_2)
	v_fma_f32 v55, 0xbfc90fda, v60, |v8|
	v_cvt_i32_f32_e32 v56, v60
	v_fmac_f32_e32 v55, 0xb3a22168, v60
	s_delay_alu instid0(VALU_DEP_1)
	v_fmac_f32_e32 v55, 0xa7c234c4, v60
; %bb.56:                               ;   in Loop: Header=BB151_4 Depth=1
	s_or_b32 exec_lo, exec_lo, s5
                                        ; implicit-def: $vgpr57
                                        ; implicit-def: $vgpr1
	s_and_saveexec_b32 s5, s27
	s_delay_alu instid0(SALU_CYCLE_1)
	s_xor_b32 s27, exec_lo, s5
	s_cbranch_execz .LBB151_62
; %bb.57:                               ;   in Loop: Header=BB151_4 Depth=1
	v_mad_u64_u32 v[60:61], null, 0xfe5163ab, v58, 0
	v_cmp_lt_u32_e64 s5, 63, v59
	s_delay_alu instid0(VALU_DEP_1) | instskip(NEXT) | instid1(VALU_DEP_3)
	v_cndmask_b32_e64 v57, 0, 0xffffffc0, s5
	v_mov_b32_e32 v1, v61
	s_delay_alu instid0(VALU_DEP_2) | instskip(NEXT) | instid1(VALU_DEP_2)
	v_add_nc_u32_e32 v57, v57, v59
	v_mad_u64_u32 v[61:62], null, 0x3c439041, v58, v[1:2]
	s_delay_alu instid0(VALU_DEP_2) | instskip(NEXT) | instid1(VALU_DEP_2)
	v_cmp_lt_u32_e64 s6, 31, v57
	v_mov_b32_e32 v1, v62
	s_delay_alu instid0(VALU_DEP_2) | instskip(NEXT) | instid1(VALU_DEP_2)
	v_cndmask_b32_e64 v59, 0, 0xffffffe0, s6
	v_mad_u64_u32 v[62:63], null, 0xdb629599, v58, v[1:2]
	s_delay_alu instid0(VALU_DEP_2) | instskip(NEXT) | instid1(VALU_DEP_1)
	v_add_nc_u32_e32 v57, v59, v57
	v_cmp_lt_u32_e64 s7, 31, v57
	s_delay_alu instid0(VALU_DEP_3) | instskip(NEXT) | instid1(VALU_DEP_1)
	v_mov_b32_e32 v1, v63
	v_mad_u64_u32 v[63:64], null, 0xf534ddc0, v58, v[1:2]
	s_delay_alu instid0(VALU_DEP_1) | instskip(NEXT) | instid1(VALU_DEP_1)
	v_mov_b32_e32 v1, v64
	v_mad_u64_u32 v[64:65], null, 0xfc2757d1, v58, v[1:2]
	s_delay_alu instid0(VALU_DEP_1) | instskip(NEXT) | instid1(VALU_DEP_1)
	;; [unrolled: 3-line block ×3, first 2 shown]
	v_mov_b32_e32 v1, v66
	v_mad_u64_u32 v[66:67], null, 0xa2f9836e, v58, v[1:2]
	v_cndmask_b32_e64 v1, 0, 0xffffffe0, s7
	s_delay_alu instid0(VALU_DEP_4) | instskip(NEXT) | instid1(VALU_DEP_2)
	v_cndmask_b32_e64 v58, v65, v63, s5
	v_add_nc_u32_e32 v1, v1, v57
	s_delay_alu instid0(VALU_DEP_4)
	v_cndmask_b32_e64 v59, v66, v64, s5
	v_cndmask_b32_e64 v65, v67, v65, s5
	v_cndmask_b32_e64 v64, v64, v62, s5
	v_cndmask_b32_e64 v57, v63, v61, s5
	v_sub_nc_u32_e32 v63, 32, v1
	v_cndmask_b32_e64 v61, v59, v58, s6
	v_cndmask_b32_e64 v59, v65, v59, s6
	;; [unrolled: 1-line block ×4, first 2 shown]
	v_cmp_eq_u32_e64 s8, 0, v1
	s_delay_alu instid0(VALU_DEP_4) | instskip(NEXT) | instid1(VALU_DEP_4)
	v_cndmask_b32_e64 v59, v59, v61, s7
	v_cndmask_b32_e64 v61, v61, v58, s7
	s_delay_alu instid0(VALU_DEP_4) | instskip(NEXT) | instid1(VALU_DEP_2)
	v_cndmask_b32_e64 v58, v58, v64, s7
	v_alignbit_b32 v65, v59, v61, v63
	s_delay_alu instid0(VALU_DEP_2) | instskip(NEXT) | instid1(VALU_DEP_2)
	v_alignbit_b32 v66, v61, v58, v63
	v_cndmask_b32_e64 v1, v65, v59, s8
	v_cndmask_b32_e64 v59, v62, v60, s5
	s_delay_alu instid0(VALU_DEP_3) | instskip(NEXT) | instid1(VALU_DEP_3)
	v_cndmask_b32_e64 v60, v66, v61, s8
	v_bfe_u32 v61, v1, 29, 1
	s_delay_alu instid0(VALU_DEP_3) | instskip(NEXT) | instid1(VALU_DEP_3)
	v_cndmask_b32_e64 v57, v57, v59, s6
	v_alignbit_b32 v59, v1, v60, 30
	s_delay_alu instid0(VALU_DEP_3) | instskip(NEXT) | instid1(VALU_DEP_3)
	v_sub_nc_u32_e32 v62, 0, v61
	v_cndmask_b32_e64 v57, v64, v57, s7
	s_delay_alu instid0(VALU_DEP_2) | instskip(NEXT) | instid1(VALU_DEP_2)
	v_xor_b32_e32 v64, v59, v62
	v_alignbit_b32 v63, v58, v57, v63
	v_cmp_ne_u32_e64 s5, v59, v62
	s_delay_alu instid0(VALU_DEP_3) | instskip(NEXT) | instid1(VALU_DEP_3)
	v_clz_i32_u32_e32 v65, v64
	v_cndmask_b32_e64 v58, v63, v58, s8
	s_delay_alu instid0(VALU_DEP_2) | instskip(NEXT) | instid1(VALU_DEP_2)
	v_add_nc_u32_e32 v63, 1, v65
	v_alignbit_b32 v60, v60, v58, 30
	v_alignbit_b32 v57, v58, v57, 30
	s_delay_alu instid0(VALU_DEP_3) | instskip(NEXT) | instid1(VALU_DEP_3)
	v_cndmask_b32_e64 v59, 33, v63, s5
	v_xor_b32_e32 v58, v60, v62
	s_delay_alu instid0(VALU_DEP_3) | instskip(NEXT) | instid1(VALU_DEP_3)
	v_xor_b32_e32 v57, v57, v62
	v_sub_nc_u32_e32 v60, 32, v59
	s_delay_alu instid0(VALU_DEP_1) | instskip(NEXT) | instid1(VALU_DEP_3)
	v_alignbit_b32 v62, v64, v58, v60
	v_alignbit_b32 v57, v58, v57, v60
	v_lshrrev_b32_e32 v58, 29, v1
	s_delay_alu instid0(VALU_DEP_2) | instskip(NEXT) | instid1(VALU_DEP_2)
	v_alignbit_b32 v60, v62, v57, 9
	v_lshlrev_b32_e32 v58, 31, v58
	v_alignbit_b32 v62, v59, v62, 9
	s_delay_alu instid0(VALU_DEP_3) | instskip(NEXT) | instid1(VALU_DEP_2)
	v_clz_i32_u32_e32 v63, v60
	v_or_b32_e32 v62, v62, v58
	v_or_b32_e32 v58, 0x33800000, v58
	s_delay_alu instid0(VALU_DEP_3) | instskip(NEXT) | instid1(VALU_DEP_3)
	v_min_u32_e32 v63, 32, v63
	v_xor_b32_e32 v62, 1.0, v62
	s_delay_alu instid0(VALU_DEP_2) | instskip(SKIP_1) | instid1(VALU_DEP_3)
	v_sub_nc_u32_e32 v64, 31, v63
	v_add_lshl_u32 v59, v63, v59, 23
	v_mul_f32_e32 v63, 0x3fc90fda, v62
	s_delay_alu instid0(VALU_DEP_3) | instskip(NEXT) | instid1(VALU_DEP_3)
	v_alignbit_b32 v57, v60, v57, v64
	v_sub_nc_u32_e32 v58, v58, v59
	s_delay_alu instid0(VALU_DEP_3) | instskip(NEXT) | instid1(VALU_DEP_3)
	v_fma_f32 v59, 0x3fc90fda, v62, -v63
                                        ; implicit-def: $vgpr60
	v_lshrrev_b32_e32 v57, 9, v57
	s_delay_alu instid0(VALU_DEP_2) | instskip(NEXT) | instid1(VALU_DEP_2)
	v_fmac_f32_e32 v59, 0x33a22168, v62
	v_or_b32_e32 v57, v58, v57
	s_delay_alu instid0(VALU_DEP_1) | instskip(SKIP_1) | instid1(VALU_DEP_2)
	v_fmac_f32_e32 v59, 0x3fc90fda, v57
	v_lshrrev_b32_e32 v57, 30, v1
	v_add_f32_e32 v1, v63, v59
	s_delay_alu instid0(VALU_DEP_2)
	v_add_nc_u32_e32 v57, v61, v57
	s_and_not1_saveexec_b32 s5, s27
	s_cbranch_execnz .LBB151_63
.LBB151_58:                             ;   in Loop: Header=BB151_4 Depth=1
	s_or_b32 exec_lo, exec_lo, s5
	s_and_saveexec_b32 s5, s4
	s_delay_alu instid0(SALU_CYCLE_1)
	s_xor_b32 s6, exec_lo, s5
	s_cbranch_execz .LBB151_64
.LBB151_59:                             ;   in Loop: Header=BB151_4 Depth=1
	v_dual_mul_f32 v58, 0x3fb8aa3b, v13 :: v_dual_lshlrev_b32 v59, 30, v30
	v_dual_mul_f32 v63, v25, v25 :: v_dual_and_b32 v30, 1, v30
	v_mul_f32_e32 v60, v28, v28
	s_delay_alu instid0(VALU_DEP_3) | instskip(SKIP_1) | instid1(VALU_DEP_3)
	v_rndne_f32_e32 v61, v58
	v_dual_mul_f32 v65, v32, v32 :: v_dual_lshlrev_b32 v62, 30, v27
	v_dual_fmaak_f32 v68, s26, v60, 0x3c0881c4 :: v_dual_and_b32 v27, 1, v27
	v_fmaak_f32 v69, s26, v63, 0x3c0881c4
	v_fma_f32 v66, 0x3fb8aa3b, v13, -v58
	s_delay_alu instid0(VALU_DEP_4) | instskip(SKIP_1) | instid1(VALU_DEP_4)
	v_fmaak_f32 v72, s26, v65, 0x3c0881c4
	v_dual_sub_f32 v58, v58, v61 :: v_dual_and_b32 v59, 0x80000000, v59
	v_dual_fmaak_f32 v68, v60, v68, 0xbe2aaa9d :: v_dual_fmaak_f32 v69, v63, v69, 0xbe2aaa9d
	v_fmamk_f32 v64, v61, 0xbf317218, v13
	v_dual_fmaak_f32 v67, s25, v60, 0xbab64f3b :: v_dual_fmaak_f32 v70, s25, v63, 0xbab64f3b
	v_fmac_f32_e32 v66, 0x32a5705f, v13
	s_delay_alu instid0(VALU_DEP_4) | instskip(NEXT) | instid1(VALU_DEP_4)
	v_dual_fmaak_f32 v72, v65, v72, 0xbe2aaa9d :: v_dual_mul_f32 v69, v63, v69
	v_fmac_f32_e32 v64, 0x3102e308, v61
	s_delay_alu instid0(VALU_DEP_4) | instskip(NEXT) | instid1(VALU_DEP_4)
	v_dual_fmaak_f32 v67, v60, v67, 0x3d2aabf7 :: v_dual_fmaak_f32 v70, v63, v70, 0x3d2aabf7
	v_dual_add_f32 v58, v58, v66 :: v_dual_fmaak_f32 v73, s25, v65, 0xbab64f3b
	v_mul_f32_e32 v68, v60, v68
	s_delay_alu instid0(VALU_DEP_4) | instskip(NEXT) | instid1(VALU_DEP_4)
	v_fmaak_f32 v71, s24, v64, 0x3ab69700
	v_dual_fmaak_f32 v67, v60, v67, 0xbf000004 :: v_dual_fmaak_f32 v70, v63, v70, 0xbf000004
	s_delay_alu instid0(VALU_DEP_4) | instskip(SKIP_2) | instid1(VALU_DEP_3)
	v_exp_f32_e32 v58, v58
	v_cvt_i32_f32_e32 v74, v61
	v_dual_fmac_f32 v25, v25, v69 :: v_dual_fmac_f32 v28, v28, v68
	v_fma_f32 v63, v63, v70, 1.0
	v_cmp_eq_u32_e64 s5, 0, v27
	v_fmaak_f32 v71, v64, v71, 0x3c0887f9
	v_cmp_eq_f32_e64 s4, 0x43000000, v61
	v_fma_f32 v60, v60, v67, 1.0
	v_xor_b32_e32 v24, v24, v23
	s_delay_alu instid0(TRANS32_DEP_1) | instskip(SKIP_4) | instid1(VALU_DEP_3)
	v_ldexp_f32 v58, v58, v74
	v_cndmask_b32_e64 v25, v63, v25, s5
	v_cmp_ngt_f32_e64 s5, 0xc2ce8ed0, v13
	v_cndmask_b32_e64 v61, v74, 0x7f, s4
	v_xor_b32_e32 v26, v26, v14
	v_cndmask_b32_e64 v27, 0, v58, s5
	v_cmp_eq_u32_e64 s5, 0, v30
	v_dual_fmaak_f32 v71, v64, v71, 0x3d2aaa81 :: v_dual_and_b32 v30, 1, v33
	v_lshlrev_b32_e32 v33, 30, v33
	v_ldexp_f32 v61, 1.0, v61
	v_and_b32_e32 v62, 0x80000000, v62
	v_cndmask_b32_e64 v28, -v28, v60, s5
	v_dual_fmaak_f32 v66, v64, v71, 0x3e2aaaab :: v_dual_mul_f32 v71, v65, v72
	s_delay_alu instid0(VALU_DEP_4) | instskip(SKIP_2) | instid1(VALU_DEP_4)
	v_add_f32_e32 v67, -1.0, v61
	v_cmp_nlt_f32_e64 s5, 0x42b17218, v13
	v_xor3_b32 v24, v24, v62, v25
	v_fma_f32 v66, v64, v66, 0.5
	v_dual_fmaak_f32 v73, v65, v73, 0x3d2aabf7 :: v_dual_fmac_f32 v32, v32, v71
	s_delay_alu instid0(VALU_DEP_4) | instskip(SKIP_1) | instid1(VALU_DEP_4)
	v_cndmask_b32_e64 v25, 0x7f800000, v27, s5
	v_xor_b32_e32 v28, v59, v28
	v_mul_f32_e32 v66, v64, v66
	s_delay_alu instid0(VALU_DEP_4) | instskip(SKIP_1) | instid1(VALU_DEP_3)
	v_fmaak_f32 v72, v65, v73, 0xbf000004
	v_cmp_ngt_f32_e64 s5, 0xc1880000, v13
	v_fmac_f32_e32 v64, v64, v66
	s_delay_alu instid0(VALU_DEP_1) | instskip(NEXT) | instid1(VALU_DEP_1)
	v_fmac_f32_e32 v67, v61, v64
	v_add_f32_e32 v58, v67, v67
	s_delay_alu instid0(VALU_DEP_1) | instskip(SKIP_2) | instid1(VALU_DEP_2)
	v_cndmask_b32_e64 v27, v67, v58, s4
	v_cmp_class_f32_e64 s4, v23, 0x1f8
	v_fma_f32 v58, v65, v72, 1.0
	v_cndmask_b32_e64 v23, 0x7fc00000, v24, s4
	v_cmp_eq_u32_e64 s4, 0, v30
	v_and_b32_e32 v30, 0x80000000, v33
	s_delay_alu instid0(VALU_DEP_2) | instskip(SKIP_1) | instid1(VALU_DEP_2)
	v_cndmask_b32_e64 v24, v58, v32, s4
	v_cmp_nlt_f32_e64 s4, 0x42b17217, v13
	v_xor3_b32 v24, v26, v30, v24
	s_delay_alu instid0(VALU_DEP_2) | instskip(SKIP_2) | instid1(VALU_DEP_3)
	v_cndmask_b32_e64 v27, 0x7f800000, v27, s4
	v_cmp_class_f32_e64 s4, v14, 0x1f8
	v_add_f32_e32 v14, v23, v23
	v_cndmask_b32_e64 v13, -1.0, v27, s5
	s_delay_alu instid0(VALU_DEP_3) | instskip(NEXT) | instid1(VALU_DEP_3)
	v_cndmask_b32_e64 v26, 0x7fc00000, v28, s4
	v_mul_f32_e32 v14, v23, v14
	v_cndmask_b32_e64 v23, 0x7fc00000, v24, s4
	s_delay_alu instid0(VALU_DEP_2) | instskip(NEXT) | instid1(VALU_DEP_2)
	v_fma_f32 v13, v13, v26, -v14
	v_mul_f32_e32 v14, v25, v23
	v_add_co_u32 v23, s4, s9, v3
	s_delay_alu instid0(VALU_DEP_1)
	v_add_co_ci_u32_e64 v24, null, s20, 0, s4
	global_store_b64 v[23:24], v[13:14], off
	s_or_b32 exec_lo, exec_lo, s6
	s_and_saveexec_b32 s5, s3
	s_cbranch_execnz .LBB151_65
.LBB151_60:                             ;   in Loop: Header=BB151_4 Depth=1
	s_or_b32 exec_lo, exec_lo, s5
	s_and_saveexec_b32 s4, s2
	s_cbranch_execz .LBB151_66
.LBB151_61:                             ;   in Loop: Header=BB151_4 Depth=1
	v_dual_mul_f32 v11, 0x3fb8aa3b, v9 :: v_dual_lshlrev_b32 v12, 30, v48
	v_dual_mul_f32 v14, v46, v46 :: v_dual_and_b32 v13, 1, v48
	v_dual_mul_f32 v27, v43, v43 :: v_dual_and_b32 v26, 1, v45
	s_delay_alu instid0(VALU_DEP_3) | instskip(NEXT) | instid1(VALU_DEP_4)
	v_rndne_f32_e32 v23, v11
	v_dual_mul_f32 v29, v50, v50 :: v_dual_and_b32 v12, 0x80000000, v12
	s_delay_alu instid0(VALU_DEP_3) | instskip(NEXT) | instid1(VALU_DEP_3)
	v_dual_fmaak_f32 v32, s26, v14, 0x3c0881c4 :: v_dual_fmaak_f32 v33, s26, v27, 0x3c0881c4
	v_dual_fmamk_f32 v28, v23, 0xbf317218, v9 :: v_dual_lshlrev_b32 v25, 30, v45
	v_fma_f32 v30, 0x3fb8aa3b, v9, -v11
	s_delay_alu instid0(VALU_DEP_4) | instskip(NEXT) | instid1(VALU_DEP_4)
	v_dual_fmaak_f32 v36, s26, v29, 0x3c0881c4 :: v_dual_sub_f32 v11, v11, v23
	v_dual_fmaak_f32 v32, v14, v32, 0xbe2aaa9d :: v_dual_fmaak_f32 v33, v27, v33, 0xbe2aaa9d
	s_delay_alu instid0(VALU_DEP_4) | instskip(NEXT) | instid1(VALU_DEP_3)
	v_and_b32_e32 v25, 0x80000000, v25
	v_fmaak_f32 v36, v29, v36, 0xbe2aaa9d
	v_dual_fmaak_f32 v31, s25, v14, 0xbab64f3b :: v_dual_fmaak_f32 v34, s25, v27, 0xbab64f3b
	s_delay_alu instid0(VALU_DEP_4)
	v_mul_f32_e32 v33, v27, v33
	v_fmac_f32_e32 v30, 0x32a5705f, v9
	v_fmac_f32_e32 v28, 0x3102e308, v23
	v_mul_f32_e32 v32, v14, v32
	v_cvt_i32_f32_e32 v39, v23
	v_cmp_eq_f32_e64 s2, 0x43000000, v23
	v_add_f32_e32 v11, v11, v30
	v_fmaak_f32 v35, s24, v28, 0x3ab69700
	v_fmac_f32_e32 v46, v46, v32
	v_dual_fmaak_f32 v31, v14, v31, 0x3d2aabf7 :: v_dual_fmaak_f32 v34, v27, v34, 0x3d2aabf7
	v_cndmask_b32_e64 v23, v39, 0x7f, s2
	s_delay_alu instid0(VALU_DEP_4) | instskip(SKIP_1) | instid1(VALU_DEP_4)
	v_fmaak_f32 v35, v28, v35, 0x3c0887f9
	v_fmac_f32_e32 v43, v43, v33
	v_dual_fmaak_f32 v31, v14, v31, 0xbf000004 :: v_dual_fmaak_f32 v34, v27, v34, 0xbf000004
	v_exp_f32_e32 v11, v11
	s_delay_alu instid0(VALU_DEP_3) | instskip(SKIP_1) | instid1(VALU_DEP_3)
	v_fmaak_f32 v35, v28, v35, 0x3d2aaa81
	v_ldexp_f32 v23, 1.0, v23
	v_fma_f32 v14, v14, v31, 1.0
	v_fma_f32 v27, v27, v34, 1.0
	v_cmp_eq_u32_e64 s3, 0, v26
	v_fmaak_f32 v30, v28, v35, 0x3e2aaaab
	v_add_f32_e32 v31, -1.0, v23
	v_mul_f32_e32 v35, v29, v36
	v_xor_b32_e32 v24, v40, v38
	v_ldexp_f32 v11, v11, v39
	v_fma_f32 v30, v28, v30, 0.5
	s_delay_alu instid0(VALU_DEP_4) | instskip(NEXT) | instid1(VALU_DEP_2)
	v_fmac_f32_e32 v50, v50, v35
	v_dual_mul_f32 v30, v28, v30 :: v_dual_fmaak_f32 v37, s25, v29, 0xbab64f3b
	s_delay_alu instid0(VALU_DEP_1) | instskip(NEXT) | instid1(VALU_DEP_1)
	v_fmac_f32_e32 v28, v28, v30
	v_fmac_f32_e32 v31, v23, v28
	v_cndmask_b32_e64 v23, v27, v43, s3
	v_cmp_ngt_f32_e64 s3, 0xc2ce8ed0, v9
	s_delay_alu instid0(VALU_DEP_3) | instskip(NEXT) | instid1(VALU_DEP_2)
	v_dual_fmaak_f32 v37, v29, v37, 0x3d2aabf7 :: v_dual_add_f32 v26, v31, v31
	v_cndmask_b32_e64 v11, 0, v11, s3
	v_cmp_eq_u32_e64 s3, 0, v13
	s_delay_alu instid0(VALU_DEP_3) | instskip(NEXT) | instid1(VALU_DEP_2)
	v_fmaak_f32 v36, v29, v37, 0xbf000004
	v_cndmask_b32_e64 v13, -v46, v14, s3
	v_xor3_b32 v14, v24, v25, v23
	v_cndmask_b32_e64 v23, v31, v26, s2
	v_and_b32_e32 v24, 1, v51
	v_cmp_class_f32_e64 s2, v38, 0x1f8
	v_cmp_nlt_f32_e64 s3, 0x42b17218, v9
	v_fma_f32 v25, v29, v36, 1.0
	v_lshlrev_b32_e32 v26, 30, v51
	v_xor_b32_e32 v12, v12, v13
	v_cndmask_b32_e64 v14, 0x7fc00000, v14, s2
	v_cmp_eq_u32_e64 s2, 0, v24
	v_cndmask_b32_e64 v11, 0x7f800000, v11, s3
	v_cmp_ngt_f32_e64 s3, 0xc1880000, v9
	s_delay_alu instid0(VALU_DEP_3) | instskip(SKIP_3) | instid1(VALU_DEP_2)
	v_cndmask_b32_e64 v24, v25, v50, s2
	v_and_b32_e32 v25, 0x80000000, v26
	v_xor_b32_e32 v26, v44, v10
	v_cmp_nlt_f32_e64 s2, 0x42b17217, v9
	v_xor3_b32 v13, v26, v25, v24
	s_delay_alu instid0(VALU_DEP_2) | instskip(SKIP_2) | instid1(VALU_DEP_3)
	v_cndmask_b32_e64 v23, 0x7f800000, v23, s2
	v_cmp_class_f32_e64 s2, v10, 0x1f8
	v_add_f32_e32 v10, v14, v14
	v_cndmask_b32_e64 v9, -1.0, v23, s3
	s_delay_alu instid0(VALU_DEP_3) | instskip(NEXT) | instid1(VALU_DEP_3)
	v_cndmask_b32_e64 v12, 0x7fc00000, v12, s2
	v_mul_f32_e32 v10, v14, v10
	v_cndmask_b32_e64 v13, 0x7fc00000, v13, s2
	s_delay_alu instid0(VALU_DEP_2) | instskip(NEXT) | instid1(VALU_DEP_2)
	v_fma_f32 v9, v9, v12, -v10
	v_mul_f32_e32 v10, v11, v13
	v_add_co_u32 v11, s2, s9, v20
	s_delay_alu instid0(VALU_DEP_1)
	v_add_co_ci_u32_e64 v12, s2, s20, v18, s2
	global_store_b64 v[11:12], v[9:10], off offset:-4
	s_or_b32 exec_lo, exec_lo, s4
	s_and_saveexec_b32 s3, vcc_lo
	s_cbranch_execz .LBB151_3
	s_branch .LBB151_67
.LBB151_62:                             ;   in Loop: Header=BB151_4 Depth=1
	s_and_not1_saveexec_b32 s5, s27
	s_cbranch_execz .LBB151_58
.LBB151_63:                             ;   in Loop: Header=BB151_4 Depth=1
	v_fma_f32 v1, 0xbfc90fda, v60, |v8|
	v_cvt_i32_f32_e32 v57, v60
	s_delay_alu instid0(VALU_DEP_2) | instskip(NEXT) | instid1(VALU_DEP_1)
	v_fmac_f32_e32 v1, 0xb3a22168, v60
	v_fmac_f32_e32 v1, 0xa7c234c4, v60
	s_or_b32 exec_lo, exec_lo, s5
	s_and_saveexec_b32 s5, s4
	s_delay_alu instid0(SALU_CYCLE_1)
	s_xor_b32 s6, exec_lo, s5
	s_cbranch_execnz .LBB151_59
.LBB151_64:                             ;   in Loop: Header=BB151_4 Depth=1
	s_or_b32 exec_lo, exec_lo, s6
	s_and_saveexec_b32 s5, s3
	s_cbranch_execz .LBB151_60
.LBB151_65:                             ;   in Loop: Header=BB151_4 Depth=1
	v_dual_mul_f32 v13, 0x3fb8aa3b, v11 :: v_dual_mul_f32 v24, v37, v37
	v_dual_mul_f32 v30, v34, v34 :: v_dual_and_b32 v23, 1, v39
	v_xor_b32_e32 v26, v31, v29
	s_delay_alu instid0(VALU_DEP_3) | instskip(SKIP_3) | instid1(VALU_DEP_4)
	v_rndne_f32_e32 v25, v13
	v_lshlrev_b32_e32 v14, 30, v39
	v_dual_mul_f32 v32, v41, v41 :: v_dual_lshlrev_b32 v27, 30, v36
	v_dual_fmaak_f32 v39, s26, v24, 0x3c0881c4 :: v_dual_fmaak_f32 v58, s26, v30, 0x3c0881c4
	v_dual_fmamk_f32 v31, v25, 0xbf317218, v11 :: v_dual_and_b32 v28, 1, v36
	v_dual_fmaak_f32 v36, s25, v24, 0xbab64f3b :: v_dual_fmaak_f32 v59, s25, v30, 0xbab64f3b
	v_cvt_i32_f32_e32 v63, v25
	v_cmp_eq_f32_e64 s3, 0x43000000, v25
	v_fma_f32 v33, 0x3fb8aa3b, v11, -v13
	v_dual_sub_f32 v13, v13, v25 :: v_dual_and_b32 v14, 0x80000000, v14
	v_fmac_f32_e32 v31, 0x3102e308, v25
	v_dual_fmaak_f32 v36, v24, v36, 0x3d2aabf7 :: v_dual_fmaak_f32 v59, v30, v59, 0x3d2aabf7
	v_dual_fmaak_f32 v39, v24, v39, 0xbe2aaa9d :: v_dual_fmaak_f32 v58, v30, v58, 0xbe2aaa9d
	v_cndmask_b32_e64 v25, v63, 0x7f, s3
	v_and_b32_e32 v27, 0x80000000, v27
	s_delay_alu instid0(VALU_DEP_4) | instskip(NEXT) | instid1(VALU_DEP_4)
	v_dual_fmaak_f32 v36, v24, v36, 0xbf000004 :: v_dual_fmaak_f32 v59, v30, v59, 0xbf000004
	v_mul_f32_e32 v58, v30, v58
	s_delay_alu instid0(VALU_DEP_4) | instskip(SKIP_3) | instid1(VALU_DEP_4)
	v_ldexp_f32 v25, 1.0, v25
	v_fmaak_f32 v61, s26, v32, 0x3c0881c4
	v_dual_fmaak_f32 v62, s25, v32, 0xbab64f3b :: v_dual_mul_f32 v39, v24, v39
	v_fma_f32 v24, v24, v36, 1.0
	v_add_f32_e32 v36, -1.0, v25
	s_delay_alu instid0(VALU_DEP_4)
	v_dual_fmaak_f32 v61, v32, v61, 0xbe2aaa9d :: v_dual_fmac_f32 v34, v34, v58
	v_fmac_f32_e32 v33, 0x32a5705f, v11
	v_fmaak_f32 v60, s24, v31, 0x3ab69700
	v_fmac_f32_e32 v37, v37, v39
	v_fma_f32 v30, v30, v59, 1.0
	v_cmp_eq_u32_e64 s4, 0, v28
	s_delay_alu instid0(VALU_DEP_4) | instskip(NEXT) | instid1(VALU_DEP_1)
	v_dual_add_f32 v13, v13, v33 :: v_dual_fmaak_f32 v60, v31, v60, 0x3c0887f9
	v_exp_f32_e32 v13, v13
	s_delay_alu instid0(VALU_DEP_1) | instskip(NEXT) | instid1(VALU_DEP_1)
	v_fmaak_f32 v60, v31, v60, 0x3d2aaa81
	v_dual_fmaak_f32 v33, v31, v60, 0x3e2aaaab :: v_dual_mul_f32 v60, v32, v61
	s_waitcnt_depctr 0xfff
	v_ldexp_f32 v13, v13, v63
	v_fma_f32 v33, v31, v33, 0.5
	v_dual_fmaak_f32 v62, v32, v62, 0x3d2aabf7 :: v_dual_fmac_f32 v41, v41, v60
	s_delay_alu instid0(VALU_DEP_2) | instskip(NEXT) | instid1(VALU_DEP_1)
	v_mul_f32_e32 v33, v31, v33
	v_fmac_f32_e32 v31, v31, v33
	s_delay_alu instid0(VALU_DEP_1) | instskip(SKIP_2) | instid1(VALU_DEP_3)
	v_fmac_f32_e32 v36, v25, v31
	v_cndmask_b32_e64 v25, v30, v34, s4
	v_cmp_ngt_f32_e64 s4, 0xc2ce8ed0, v11
	v_add_f32_e32 v28, v36, v36
	s_delay_alu instid0(VALU_DEP_2) | instskip(SKIP_1) | instid1(VALU_DEP_1)
	v_cndmask_b32_e64 v13, 0, v13, s4
	v_cmp_eq_u32_e64 s4, 0, v23
	v_cndmask_b32_e64 v23, -v37, v24, s4
	v_cmp_nlt_f32_e64 s4, 0x42b17218, v11
	v_xor3_b32 v24, v26, v27, v25
	v_cndmask_b32_e64 v25, v36, v28, s3
	v_and_b32_e32 v26, 1, v42
	v_cmp_class_f32_e64 s3, v29, 0x1f8
	v_cndmask_b32_e64 v13, 0x7f800000, v13, s4
	v_fmaak_f32 v61, v32, v62, 0xbf000004
	v_lshlrev_b32_e32 v28, 30, v42
	v_xor_b32_e32 v14, v14, v23
	v_cndmask_b32_e64 v24, 0x7fc00000, v24, s3
	v_cmp_eq_u32_e64 s3, 0, v26
	v_fma_f32 v27, v32, v61, 1.0
	v_cmp_ngt_f32_e64 s4, 0xc1880000, v11
	s_delay_alu instid0(VALU_DEP_2) | instskip(SKIP_3) | instid1(VALU_DEP_2)
	v_cndmask_b32_e64 v26, v27, v41, s3
	v_and_b32_e32 v27, 0x80000000, v28
	v_xor_b32_e32 v28, v35, v12
	v_cmp_nlt_f32_e64 s3, 0x42b17217, v11
	v_xor3_b32 v23, v28, v27, v26
	s_delay_alu instid0(VALU_DEP_2) | instskip(SKIP_2) | instid1(VALU_DEP_3)
	v_cndmask_b32_e64 v25, 0x7f800000, v25, s3
	v_cmp_class_f32_e64 s3, v12, 0x1f8
	v_add_f32_e32 v12, v24, v24
	v_cndmask_b32_e64 v11, -1.0, v25, s4
	s_delay_alu instid0(VALU_DEP_3) | instskip(NEXT) | instid1(VALU_DEP_3)
	v_cndmask_b32_e64 v14, 0x7fc00000, v14, s3
	v_mul_f32_e32 v12, v24, v12
	v_cndmask_b32_e64 v23, 0x7fc00000, v23, s3
	s_delay_alu instid0(VALU_DEP_2) | instskip(NEXT) | instid1(VALU_DEP_2)
	v_fma_f32 v11, v11, v14, -v12
	v_mul_f32_e32 v12, v13, v23
	v_add_co_u32 v13, s3, s9, v19
	s_delay_alu instid0(VALU_DEP_1)
	v_add_co_ci_u32_e64 v14, null, s20, 0, s3
	global_store_b64 v[13:14], v[11:12], off
	s_or_b32 exec_lo, exec_lo, s5
	s_and_saveexec_b32 s4, s2
	s_cbranch_execnz .LBB151_61
.LBB151_66:                             ;   in Loop: Header=BB151_4 Depth=1
	s_or_b32 exec_lo, exec_lo, s4
	s_and_saveexec_b32 s3, vcc_lo
	s_cbranch_execz .LBB151_3
.LBB151_67:                             ;   in Loop: Header=BB151_4 Depth=1
	v_dual_mul_f32 v9, 0x3fb8aa3b, v7 :: v_dual_lshlrev_b32 v10, 30, v56
	v_dual_mul_f32 v12, v55, v55 :: v_dual_and_b32 v11, 1, v56
	v_dual_mul_f32 v25, v52, v52 :: v_dual_and_b32 v24, 1, v54
	s_delay_alu instid0(VALU_DEP_3) | instskip(NEXT) | instid1(VALU_DEP_4)
	v_rndne_f32_e32 v13, v9
	v_dual_mul_f32 v27, v1, v1 :: v_dual_and_b32 v10, 0x80000000, v10
	s_delay_alu instid0(VALU_DEP_3) | instskip(NEXT) | instid1(VALU_DEP_3)
	v_dual_fmaak_f32 v30, s26, v12, 0x3c0881c4 :: v_dual_fmaak_f32 v31, s26, v25, 0x3c0881c4
	v_dual_fmamk_f32 v26, v13, 0xbf317218, v7 :: v_dual_lshlrev_b32 v23, 30, v54
	v_fma_f32 v28, 0x3fb8aa3b, v7, -v9
	s_delay_alu instid0(VALU_DEP_4) | instskip(NEXT) | instid1(VALU_DEP_4)
	v_dual_fmaak_f32 v34, s26, v27, 0x3c0881c4 :: v_dual_sub_f32 v9, v9, v13
	v_dual_fmaak_f32 v30, v12, v30, 0xbe2aaa9d :: v_dual_fmaak_f32 v31, v25, v31, 0xbe2aaa9d
	v_dual_fmaak_f32 v29, s25, v12, 0xbab64f3b :: v_dual_fmaak_f32 v32, s25, v25, 0xbab64f3b
	s_delay_alu instid0(VALU_DEP_3) | instskip(NEXT) | instid1(VALU_DEP_3)
	v_fmaak_f32 v34, v27, v34, 0xbe2aaa9d
	v_dual_mul_f32 v30, v12, v30 :: v_dual_and_b32 v23, 0x80000000, v23
	s_delay_alu instid0(VALU_DEP_4) | instskip(SKIP_4) | instid1(VALU_DEP_4)
	v_mul_f32_e32 v31, v25, v31
	v_fmac_f32_e32 v28, 0x32a5705f, v7
	v_fmac_f32_e32 v26, 0x3102e308, v13
	v_cvt_i32_f32_e32 v36, v13
	v_cmp_eq_f32_e32 vcc_lo, 0x43000000, v13
	v_dual_fmac_f32 v52, v52, v31 :: v_dual_add_f32 v9, v9, v28
	s_delay_alu instid0(VALU_DEP_4) | instskip(SKIP_2) | instid1(VALU_DEP_4)
	v_fmaak_f32 v33, s24, v26, 0x3ab69700
	v_dual_fmaak_f32 v29, v12, v29, 0x3d2aabf7 :: v_dual_fmaak_f32 v32, v25, v32, 0x3d2aabf7
	v_cndmask_b32_e64 v13, v36, 0x7f, vcc_lo
	v_exp_f32_e32 v9, v9
	s_delay_alu instid0(VALU_DEP_3) | instskip(SKIP_3) | instid1(VALU_DEP_4)
	v_fmaak_f32 v33, v26, v33, 0x3c0887f9
	v_fmac_f32_e32 v55, v55, v30
	v_dual_fmaak_f32 v29, v12, v29, 0xbf000004 :: v_dual_fmaak_f32 v32, v25, v32, 0xbf000004
	v_ldexp_f32 v13, 1.0, v13
	v_fmaak_f32 v33, v26, v33, 0x3d2aaa81
	v_cmp_eq_u32_e64 s2, 0, v24
	s_delay_alu instid0(VALU_DEP_4)
	v_fma_f32 v12, v12, v29, 1.0
	v_fma_f32 v25, v25, v32, 1.0
	v_add_f32_e32 v29, -1.0, v13
	v_fmaak_f32 v28, v26, v33, 0x3e2aaaab
	v_ldexp_f32 v9, v9, v36
	v_xor_b32_e32 v14, v49, v47
	v_mul_f32_e32 v33, v27, v34
	s_delay_alu instid0(VALU_DEP_4) | instskip(NEXT) | instid1(VALU_DEP_1)
	v_fma_f32 v28, v26, v28, 0.5
	v_dual_mul_f32 v28, v26, v28 :: v_dual_fmaak_f32 v35, s25, v27, 0xbab64f3b
	s_delay_alu instid0(VALU_DEP_1) | instskip(NEXT) | instid1(VALU_DEP_1)
	v_fmac_f32_e32 v26, v26, v28
	v_fmac_f32_e32 v29, v13, v26
	v_cndmask_b32_e64 v13, v25, v52, s2
	v_cmp_ngt_f32_e64 s2, 0xc2ce8ed0, v7
	s_delay_alu instid0(VALU_DEP_1) | instskip(SKIP_1) | instid1(VALU_DEP_1)
	v_cndmask_b32_e64 v9, 0, v9, s2
	v_cmp_eq_u32_e64 s2, 0, v11
	v_cndmask_b32_e64 v11, -v55, v12, s2
	v_xor3_b32 v12, v14, v23, v13
	v_dual_fmaak_f32 v35, v27, v35, 0x3d2aabf7 :: v_dual_and_b32 v14, 1, v57
	v_add_f32_e32 v24, v29, v29
	v_cmp_nlt_f32_e64 s2, 0x42b17218, v7
	v_xor_b32_e32 v10, v10, v11
	s_delay_alu instid0(VALU_DEP_3) | instskip(SKIP_3) | instid1(VALU_DEP_4)
	v_dual_fmaak_f32 v34, v27, v35, 0xbf000004 :: v_dual_cndmask_b32 v13, v29, v24
	v_cmp_class_f32_e64 vcc_lo, v47, 0x1f8
	v_lshlrev_b32_e32 v24, 30, v57
	v_fmac_f32_e32 v1, v1, v33
	v_fma_f32 v23, v27, v34, 1.0
	v_cndmask_b32_e64 v9, 0x7f800000, v9, s2
	v_cndmask_b32_e32 v12, 0x7fc00000, v12, vcc_lo
	v_cmp_eq_u32_e32 vcc_lo, 0, v14
	v_and_b32_e32 v14, 0x80000000, v24
	v_cmp_ngt_f32_e64 s2, 0xc1880000, v7
	v_cndmask_b32_e32 v1, v23, v1, vcc_lo
	v_cmp_nlt_f32_e32 vcc_lo, 0x42b17217, v7
	v_xor_b32_e32 v23, v53, v8
	v_cndmask_b32_e32 v13, 0x7f800000, v13, vcc_lo
	v_cmp_class_f32_e64 vcc_lo, v8, 0x1f8
	v_add_f32_e32 v8, v12, v12
	s_delay_alu instid0(VALU_DEP_3) | instskip(SKIP_1) | instid1(VALU_DEP_3)
	v_cndmask_b32_e64 v7, -1.0, v13, s2
	v_cndmask_b32_e32 v10, 0x7fc00000, v10, vcc_lo
	v_mul_f32_e32 v8, v12, v8
	v_xor3_b32 v1, v23, v14, v1
	s_delay_alu instid0(VALU_DEP_2) | instskip(NEXT) | instid1(VALU_DEP_2)
	v_fma_f32 v7, v7, v10, -v8
	v_cndmask_b32_e32 v1, 0x7fc00000, v1, vcc_lo
	s_delay_alu instid0(VALU_DEP_1)
	v_mul_f32_e32 v8, v9, v1
	v_add_co_u32 v9, vcc_lo, s9, v5
	v_add_co_ci_u32_e32 v10, vcc_lo, s20, v6, vcc_lo
	global_store_b64 v[9:10], v[7:8], off offset:-4
	s_branch .LBB151_3
.LBB151_68:
	s_cbranch_execz .LBB151_70
	s_branch .LBB151_121
.LBB151_69:
.LBB151_70:
	v_dual_mov_b32 v9, 0 :: v_dual_lshlrev_b32 v8, 2, v0
	s_mov_b32 s3, 0
	s_mov_b32 s2, exec_lo
	s_delay_alu instid0(VALU_DEP_1)
	v_cmpx_gt_i64_e64 s[10:11], v[8:9]
	s_cbranch_execz .LBB151_121
; %bb.71:
	s_load_b32 s0, s[0:1], 0xd3c
	s_mov_b32 s6, 0x7fffff
	s_mov_b32 s7, 0x395133b1
	;; [unrolled: 1-line block ×4, first 2 shown]
	s_waitcnt lgkmcnt(0)
	s_and_b32 s0, s0, 0xffff
	s_delay_alu instid0(SALU_CYCLE_1) | instskip(SKIP_3) | instid1(VALU_DEP_2)
	v_add_lshl_u32 v8, v0, s0, 2
	v_lshlrev_b32_e32 v1, 5, v0
	s_lshl_b32 s4, s0, 2
	s_add_u32 s1, s12, s14
	v_dual_mov_b32 v13, v9 :: v_dual_mov_b32 v12, v8
	s_addc_u32 s2, s13, s15
	s_lshl_b32 s5, s0, 5
	v_add_co_u32 v10, s0, s1, v1
	s_delay_alu instid0(VALU_DEP_1)
	v_add_co_ci_u32_e64 v11, null, s2, 0, s0
	s_branch .LBB151_73
.LBB151_72:                             ;   in Loop: Header=BB151_73 Depth=1
	s_or_b32 exec_lo, exec_lo, s0
	v_dual_mul_f32 v49, 0x3fb8aa3b, v0 :: v_dual_lshlrev_b32 v50, 30, v45
	v_dual_mul_f32 v54, v36, v36 :: v_dual_and_b32 v45, 1, v45
	v_dual_mul_f32 v56, v46, v46 :: v_dual_lshlrev_b32 v53, 30, v41
	s_delay_alu instid0(VALU_DEP_3) | instskip(SKIP_1) | instid1(VALU_DEP_4)
	v_rndne_f32_e32 v52, v49
	v_fma_f32 v58, 0x3fb8aa3b, v0, -v49
	v_fmaak_f32 v61, s9, v54, 0x3c0881c4
	v_and_b32_e32 v50, 0x80000000, v50
	v_fmaak_f32 v64, s9, v56, 0x3c0881c4
	v_sub_f32_e32 v49, v49, v52
	v_fmamk_f32 v55, v52, 0xbf317218, v0
	v_cmp_eq_f32_e32 vcc_lo, 0x43000000, v52
	v_fmac_f32_e32 v58, 0x32a5705f, v0
	v_fmaak_f32 v64, v56, v64, 0xbe2aaa9d
	v_cvt_i32_f32_e32 v67, v52
	v_fmac_f32_e32 v55, 0x3102e308, v52
	v_mul_f32_e32 v51, v42, v42
	v_add_f32_e32 v49, v49, v58
	v_cmp_eq_u32_e64 s0, 0, v45
	v_cndmask_b32_e64 v52, v67, 0x7f, vcc_lo
	v_dual_fmaak_f32 v62, s7, v55, 0x3ab69700 :: v_dual_and_b32 v41, 1, v41
	v_fmaak_f32 v60, s9, v51, 0x3c0881c4
	v_fmaak_f32 v61, v54, v61, 0xbe2aaa9d
	v_exp_f32_e32 v49, v49
	s_delay_alu instid0(VALU_DEP_3) | instskip(SKIP_1) | instid1(VALU_DEP_3)
	v_fmaak_f32 v62, v55, v62, 0x3c0887f9
	v_ldexp_f32 v52, 1.0, v52
	v_dual_fmaak_f32 v60, v51, v60, 0xbe2aaa9d :: v_dual_mul_f32 v61, v54, v61
	v_fmaak_f32 v63, s8, v54, 0xbab64f3b
	s_delay_alu instid0(VALU_DEP_4) | instskip(SKIP_3) | instid1(TRANS32_DEP_1)
	v_fmaak_f32 v62, v55, v62, 0x3d2aaa81
	v_xor_b32_e32 v35, v35, v32
	v_xor_b32_e32 v37, v37, v1
	v_fmac_f32_e32 v36, v36, v61
	v_ldexp_f32 v49, v49, v67
	v_fmaak_f32 v62, v55, v62, 0x3e2aaaab
	v_fmaak_f32 v63, v54, v63, 0x3d2aabf7
	v_cmp_nlt_f32_e64 s1, 0x42b17218, v0
	v_xor_b32_e32 v24, v24, v23
	v_xor_b32_e32 v15, v15, v14
	v_fma_f32 v62, v55, v62, 0.5
	v_fmaak_f32 v59, s8, v51, 0xbab64f3b
	v_xor_b32_e32 v16, v16, v5
	s_delay_alu instid0(VALU_DEP_2) | instskip(NEXT) | instid1(VALU_DEP_1)
	v_fmaak_f32 v59, v51, v59, 0x3d2aabf7
	v_fmaak_f32 v58, v51, v59, 0xbf000004
	v_mul_f32_e32 v59, v51, v60
	v_mul_f32_e32 v60, v55, v62
	v_dual_fmaak_f32 v62, v54, v63, 0xbf000004 :: v_dual_mul_f32 v63, v56, v64
	v_dual_add_f32 v64, -1.0, v52 :: v_dual_and_b32 v53, 0x80000000, v53
	s_delay_alu instid0(VALU_DEP_3) | instskip(SKIP_3) | instid1(VALU_DEP_4)
	v_dual_fmac_f32 v42, v42, v59 :: v_dual_fmac_f32 v55, v55, v60
	v_mul_f32_e32 v57, 0x3fb8aa3b, v6
	v_fma_f32 v51, v51, v58, 1.0
	v_dual_fmaak_f32 v65, s8, v56, 0xbab64f3b :: v_dual_fmac_f32 v46, v46, v63
	v_fmac_f32_e32 v64, v52, v55
	s_delay_alu instid0(VALU_DEP_4)
	v_rndne_f32_e32 v66, v57
	v_fma_f32 v52, v54, v62, 1.0
	v_cndmask_b32_e64 v42, -v42, v51, s0
	v_cmp_eq_u32_e64 s0, 0, v41
	v_add_f32_e32 v55, v64, v64
	v_fmaak_f32 v65, v56, v65, 0x3d2aabf7
	v_cvt_i32_f32_e32 v51, v66
	v_xor_b32_e32 v42, v50, v42
	v_cndmask_b32_e64 v36, v52, v36, s0
	v_dual_sub_f32 v52, v57, v66 :: v_dual_cndmask_b32 v41, v64, v55
	v_cmp_nlt_f32_e32 vcc_lo, 0x42b17217, v0
	v_fmaak_f32 v60, v56, v65, 0xbf000004
	s_delay_alu instid0(VALU_DEP_4) | instskip(SKIP_3) | instid1(VALU_DEP_3)
	v_xor3_b32 v35, v35, v53, v36
	v_cmp_class_f32_e64 s0, v1, 0x1f8
	v_cndmask_b32_e32 v41, 0x7f800000, v41, vcc_lo
	v_cmp_ngt_f32_e32 vcc_lo, 0xc2ce8ed0, v0
	v_cndmask_b32_e64 v1, 0x7fc00000, v42, s0
	v_cndmask_b32_e32 v36, 0, v49, vcc_lo
	v_cmp_ngt_f32_e32 vcc_lo, 0xc1880000, v0
	v_fmamk_f32 v68, v66, 0xbf317218, v6
	v_fma_f32 v49, v56, v60, 1.0
	s_delay_alu instid0(VALU_DEP_4) | instskip(NEXT) | instid1(VALU_DEP_3)
	v_cndmask_b32_e64 v36, 0x7f800000, v36, s1
	v_dual_cndmask_b32 v41, -1.0, v41 :: v_dual_fmac_f32 v68, 0x3102e308, v66
	v_cmp_class_f32_e64 vcc_lo, v32, 0x1f8
	s_delay_alu instid0(VALU_DEP_2) | instskip(SKIP_1) | instid1(VALU_DEP_2)
	v_fmaak_f32 v54, s7, v68, 0x3ab69700
	v_cndmask_b32_e32 v32, 0x7fc00000, v35, vcc_lo
	v_fmaak_f32 v45, v68, v54, 0x3c0887f9
	s_delay_alu instid0(VALU_DEP_1) | instskip(SKIP_1) | instid1(VALU_DEP_2)
	v_fmaak_f32 v35, v68, v45, 0x3d2aaa81
	v_and_b32_e32 v45, 1, v47
	v_fmaak_f32 v35, v68, v35, 0x3e2aaaab
	s_delay_alu instid0(VALU_DEP_2) | instskip(NEXT) | instid1(VALU_DEP_2)
	v_cmp_eq_u32_e32 vcc_lo, 0, v45
	v_fma_f32 v35, v68, v35, 0.5
	v_cndmask_b32_e32 v45, v49, v46, vcc_lo
	v_cmp_eq_f32_e32 vcc_lo, 0x43000000, v66
	v_fma_f32 v46, 0x3fb8aa3b, v6, -v57
	v_lshlrev_b32_e32 v47, 30, v47
	v_mul_f32_e32 v35, v68, v35
	v_cndmask_b32_e64 v49, v51, 0x7f, vcc_lo
	s_delay_alu instid0(VALU_DEP_4) | instskip(NEXT) | instid1(VALU_DEP_3)
	v_fmac_f32_e32 v46, 0x32a5705f, v6
	v_fmac_f32_e32 v68, v68, v35
	s_delay_alu instid0(VALU_DEP_3) | instskip(NEXT) | instid1(VALU_DEP_1)
	v_ldexp_f32 v49, 1.0, v49
	v_dual_add_f32 v46, v52, v46 :: v_dual_add_f32 v35, -1.0, v49
	v_dual_add_f32 v50, v32, v32 :: v_dual_and_b32 v47, 0x80000000, v47
	s_delay_alu instid0(VALU_DEP_2) | instskip(NEXT) | instid1(VALU_DEP_1)
	v_exp_f32_e32 v42, v46
	v_mul_f32_e32 v32, v32, v50
	s_delay_alu instid0(VALU_DEP_2) | instskip(SKIP_2) | instid1(VALU_DEP_4)
	v_xor3_b32 v37, v37, v47, v45
	v_lshlrev_b32_e32 v50, 30, v27
	v_and_b32_e32 v27, 1, v27
	v_fma_f32 v0, v41, v1, -v32
	s_delay_alu instid0(VALU_DEP_4) | instskip(NEXT) | instid1(TRANS32_DEP_1)
	v_cndmask_b32_e64 v37, 0x7fc00000, v37, s0
	v_ldexp_f32 v32, v42, v51
	s_delay_alu instid0(VALU_DEP_2) | instskip(SKIP_4) | instid1(VALU_DEP_3)
	v_mul_f32_e32 v1, v36, v37
	v_mul_f32_e32 v37, v26, v26
	v_fmac_f32_e32 v35, v49, v68
	v_mul_f32_e32 v36, v28, v28
	v_mul_f32_e32 v49, 0x3fb8aa3b, v4
	v_dual_fmaak_f32 v46, s8, v37, 0xbab64f3b :: v_dual_add_f32 v45, v35, v35
	s_delay_alu instid0(VALU_DEP_3) | instskip(NEXT) | instid1(VALU_DEP_2)
	v_dual_fmaak_f32 v42, s9, v36, 0x3c0881c4 :: v_dual_lshlrev_b32 v47, 30, v29
	v_dual_fmaak_f32 v46, v37, v46, 0x3d2aabf7 :: v_dual_cndmask_b32 v35, v35, v45
	s_delay_alu instid0(VALU_DEP_2) | instskip(SKIP_2) | instid1(VALU_DEP_4)
	v_fmaak_f32 v42, v36, v42, 0xbe2aaa9d
	v_cmp_ngt_f32_e32 vcc_lo, 0xc2ce8ed0, v6
	v_fmaak_f32 v45, s9, v37, 0x3c0881c4
	v_dual_fmaak_f32 v46, v37, v46, 0xbf000004 :: v_dual_and_b32 v29, 1, v29
	s_delay_alu instid0(VALU_DEP_4) | instskip(SKIP_3) | instid1(VALU_DEP_4)
	v_mul_f32_e32 v42, v36, v42
	v_cndmask_b32_e32 v32, 0, v32, vcc_lo
	v_cmp_nlt_f32_e32 vcc_lo, 0x42b17217, v6
	v_fmaak_f32 v45, v37, v45, 0xbe2aaa9d
	v_dual_fmaak_f32 v41, s8, v36, 0xbab64f3b :: v_dual_fmac_f32 v28, v28, v42
	v_cndmask_b32_e32 v35, 0x7f800000, v35, vcc_lo
	s_delay_alu instid0(VALU_DEP_3) | instskip(SKIP_3) | instid1(VALU_DEP_4)
	v_mul_f32_e32 v45, v37, v45
	v_fma_f32 v37, v37, v46, 1.0
	v_and_b32_e32 v46, 0x80000000, v50
	v_cmp_eq_u32_e32 vcc_lo, 0, v27
	v_fmac_f32_e32 v26, v26, v45
	v_fmaak_f32 v41, v36, v41, 0x3d2aabf7
	v_rndne_f32_e32 v45, v49
	s_delay_alu instid0(VALU_DEP_2) | instskip(NEXT) | instid1(VALU_DEP_2)
	v_dual_cndmask_b32 v26, v37, v26 :: v_dual_fmaak_f32 v41, v36, v41, 0xbf000004
	v_fmamk_f32 v27, v45, 0xbf317218, v4
	v_cmp_eq_u32_e32 vcc_lo, 0, v29
	v_dual_sub_f32 v42, v49, v45 :: v_dual_and_b32 v37, 0x80000000, v47
	s_delay_alu instid0(VALU_DEP_4)
	v_fma_f32 v36, v36, v41, 1.0
	v_xor3_b32 v24, v24, v46, v26
	v_fmac_f32_e32 v27, 0x3102e308, v45
	v_cvt_i32_f32_e32 v41, v45
	v_cmp_eq_f32_e64 s0, 0x43000000, v45
	v_cndmask_b32_e64 v26, -v28, v36, vcc_lo
	v_cmp_class_f32_e64 vcc_lo, v23, 0x1f8
	v_mul_f32_e32 v28, v30, v30
	s_delay_alu instid0(VALU_DEP_4) | instskip(NEXT) | instid1(VALU_DEP_4)
	v_cndmask_b32_e64 v45, v41, 0x7f, s0
	v_xor_b32_e32 v26, v37, v26
	v_cndmask_b32_e32 v23, 0x7fc00000, v24, vcc_lo
	v_fmaak_f32 v24, s7, v27, 0x3ab69700
	v_cmp_ngt_f32_e32 vcc_lo, 0xc1880000, v6
	s_delay_alu instid0(VALU_DEP_3) | instskip(NEXT) | instid1(VALU_DEP_3)
	v_dual_fmaak_f32 v37, s8, v28, 0xbab64f3b :: v_dual_add_f32 v36, v23, v23
	v_dual_fmaak_f32 v24, v27, v24, 0x3c0887f9 :: v_dual_cndmask_b32 v29, -1.0, v35
	v_fmaak_f32 v35, s9, v28, 0x3c0881c4
	s_delay_alu instid0(VALU_DEP_3) | instskip(SKIP_1) | instid1(VALU_DEP_4)
	v_fmaak_f32 v37, v28, v37, 0x3d2aabf7
	v_cmp_class_f32_e64 vcc_lo, v7, 0x1f8
	v_fmaak_f32 v24, v27, v24, 0x3d2aaa81
	v_xor_b32_e32 v7, v25, v7
	s_delay_alu instid0(VALU_DEP_4) | instskip(SKIP_1) | instid1(VALU_DEP_4)
	v_fmaak_f32 v37, v28, v37, 0xbf000004
	v_cndmask_b32_e32 v26, 0x7fc00000, v26, vcc_lo
	v_fmaak_f32 v24, v27, v24, 0x3e2aaaab
	s_delay_alu instid0(VALU_DEP_1) | instskip(NEXT) | instid1(VALU_DEP_1)
	v_fma_f32 v24, v27, v24, 0.5
	v_dual_fmaak_f32 v35, v28, v35, 0xbe2aaa9d :: v_dual_mul_f32 v24, v27, v24
	s_delay_alu instid0(VALU_DEP_1)
	v_mul_f32_e32 v35, v28, v35
	v_fma_f32 v28, v28, v37, 1.0
	v_and_b32_e32 v37, 1, v31
	v_lshlrev_b32_e32 v31, 30, v31
	v_mul_f32_e32 v23, v23, v36
	v_fma_f32 v36, 0x3fb8aa3b, v4, -v49
	v_fmac_f32_e32 v30, v30, v35
	v_cmp_eq_u32_e64 s1, 0, v37
	s_delay_alu instid0(VALU_DEP_3) | instskip(NEXT) | instid1(VALU_DEP_2)
	v_fmac_f32_e32 v36, 0x32a5705f, v4
	v_cndmask_b32_e64 v28, v28, v30, s1
	v_and_b32_e32 v30, 0x80000000, v31
	v_cmp_nlt_f32_e64 s1, 0x42b17218, v6
	s_delay_alu instid0(VALU_DEP_4)
	v_add_f32_e32 v35, v42, v36
	v_ldexp_f32 v36, 1.0, v45
	v_fma_f32 v6, v29, v26, -v23
	v_mul_f32_e32 v26, v19, v19
	v_cndmask_b32_e64 v25, 0x7f800000, v32, s1
	v_exp_f32_e32 v35, v35
	v_xor3_b32 v7, v7, v30, v28
	v_cmp_ngt_f32_e64 s1, 0xc2ce8ed0, v4
	v_fmaak_f32 v29, s9, v26, 0x3c0881c4
	v_fmac_f32_e32 v27, v27, v24
	s_delay_alu instid0(VALU_DEP_4) | instskip(SKIP_2) | instid1(VALU_DEP_3)
	v_dual_add_f32 v24, -1.0, v36 :: v_dual_cndmask_b32 v7, 0x7fc00000, v7
	v_cmp_nlt_f32_e32 vcc_lo, 0x42b17218, v4
	v_mul_f32_e32 v30, v17, v17
	v_fmac_f32_e32 v24, v36, v27
	s_delay_alu instid0(TRANS32_DEP_1) | instskip(NEXT) | instid1(VALU_DEP_2)
	v_ldexp_f32 v27, v35, v41
	v_dual_fmaak_f32 v31, s8, v30, 0xbab64f3b :: v_dual_add_f32 v28, v24, v24
	s_delay_alu instid0(VALU_DEP_2) | instskip(NEXT) | instid1(VALU_DEP_2)
	v_cndmask_b32_e64 v23, 0, v27, s1
	v_fmaak_f32 v31, v30, v31, 0x3d2aabf7
	s_delay_alu instid0(VALU_DEP_3) | instskip(NEXT) | instid1(VALU_DEP_3)
	v_cndmask_b32_e64 v24, v24, v28, s0
	v_cndmask_b32_e32 v23, 0x7f800000, v23, vcc_lo
	v_cmp_nlt_f32_e32 vcc_lo, 0x42b17217, v4
	v_fmaak_f32 v28, s8, v26, 0xbab64f3b
	v_cmp_class_f32_e64 s0, v5, 0x1f8
	v_cndmask_b32_e32 v24, 0x7f800000, v24, vcc_lo
	v_cmp_ngt_f32_e32 vcc_lo, 0xc1880000, v4
	s_delay_alu instid0(VALU_DEP_2) | instskip(SKIP_3) | instid1(VALU_DEP_3)
	v_cndmask_b32_e32 v4, -1.0, v24, vcc_lo
	v_fmaak_f32 v24, v26, v28, 0x3d2aabf7
	v_fmaak_f32 v28, v26, v29, 0xbe2aaa9d
	;; [unrolled: 1-line block ×4, first 2 shown]
	s_delay_alu instid0(VALU_DEP_3) | instskip(NEXT) | instid1(VALU_DEP_2)
	v_dual_mul_f32 v28, v26, v28 :: v_dual_mul_f32 v7, v25, v7
	v_fma_f32 v24, v26, v24, 1.0
	s_delay_alu instid0(VALU_DEP_2) | instskip(SKIP_4) | instid1(VALU_DEP_3)
	v_dual_fmac_f32 v19, v19, v28 :: v_dual_fmaak_f32 v28, v30, v31, 0xbf000004
	v_mul_f32_e32 v31, 0x3fb8aa3b, v2
	v_fmaak_f32 v29, v30, v29, 0xbe2aaa9d
	v_lshlrev_b32_e32 v27, 30, v20
	v_and_b32_e32 v20, 1, v20
	v_dual_mul_f32 v26, v30, v29 :: v_dual_lshlrev_b32 v29, 30, v18
	v_and_b32_e32 v18, 1, v18
	s_delay_alu instid0(VALU_DEP_2) | instskip(SKIP_2) | instid1(VALU_DEP_4)
	v_fmac_f32_e32 v17, v17, v26
	v_fma_f32 v26, v30, v28, 1.0
	v_rndne_f32_e32 v30, v31
	v_cmp_eq_u32_e32 vcc_lo, 0, v18
	v_mul_f32_e32 v28, v21, v21
	v_and_b32_e32 v29, 0x80000000, v29
	v_cndmask_b32_e32 v17, v26, v17, vcc_lo
	v_fmamk_f32 v26, v30, 0xbf317218, v2
	v_cmp_eq_u32_e32 vcc_lo, 0, v20
	v_fmaak_f32 v18, s9, v28, 0x3c0881c4
	s_delay_alu instid0(VALU_DEP_3) | instskip(SKIP_4) | instid1(VALU_DEP_3)
	v_fmac_f32_e32 v26, 0x3102e308, v30
	v_cndmask_b32_e64 v19, -v19, v24, vcc_lo
	v_xor3_b32 v15, v15, v29, v17
	v_cmp_class_f32_e64 vcc_lo, v14, 0x1f8
	v_fma_f32 v24, 0x3fb8aa3b, v2, -v31
	v_cndmask_b32_e32 v14, 0x7fc00000, v15, vcc_lo
	s_delay_alu instid0(VALU_DEP_1) | instskip(NEXT) | instid1(VALU_DEP_1)
	v_dual_add_f32 v20, v14, v14 :: v_dual_and_b32 v27, 0x80000000, v27
	v_xor_b32_e32 v15, v27, v19
	v_fmaak_f32 v19, s7, v26, 0x3ab69700
	v_and_b32_e32 v27, 1, v22
	v_lshlrev_b32_e32 v22, 30, v22
	s_delay_alu instid0(VALU_DEP_4) | instskip(NEXT) | instid1(VALU_DEP_4)
	v_cndmask_b32_e64 v5, 0x7fc00000, v15, s0
	v_fmaak_f32 v19, v26, v19, 0x3c0887f9
	s_delay_alu instid0(VALU_DEP_4) | instskip(NEXT) | instid1(VALU_DEP_2)
	v_cmp_eq_u32_e32 vcc_lo, 0, v27
	v_fmaak_f32 v19, v26, v19, 0x3d2aaa81
	s_delay_alu instid0(VALU_DEP_1) | instskip(NEXT) | instid1(VALU_DEP_1)
	v_fmaak_f32 v19, v26, v19, 0x3e2aaaab
	v_fma_f32 v19, v26, v19, 0.5
	s_delay_alu instid0(VALU_DEP_1) | instskip(SKIP_2) | instid1(VALU_DEP_2)
	v_dual_mul_f32 v15, v26, v19 :: v_dual_and_b32 v22, 0x80000000, v22
	v_fmaak_f32 v17, v28, v18, 0xbe2aaa9d
	v_fmaak_f32 v18, s8, v28, 0xbab64f3b
	v_dual_fmac_f32 v26, v26, v15 :: v_dual_mul_f32 v17, v28, v17
	s_delay_alu instid0(VALU_DEP_1) | instskip(NEXT) | instid1(VALU_DEP_1)
	v_dual_fmaak_f32 v18, v28, v18, 0x3d2aabf7 :: v_dual_fmac_f32 v21, v21, v17
	v_fmaak_f32 v17, v28, v18, 0xbf000004
	v_sub_f32_e32 v18, v31, v30
	v_mul_f32_e32 v14, v14, v20
	s_delay_alu instid0(VALU_DEP_3) | instskip(SKIP_2) | instid1(VALU_DEP_4)
	v_fma_f32 v17, v28, v17, 1.0
	v_fmac_f32_e32 v24, 0x32a5705f, v2
	v_lshlrev_b32_e32 v28, 30, v39
	v_fma_f32 v4, v4, v5, -v14
	s_delay_alu instid0(VALU_DEP_3) | instskip(SKIP_2) | instid1(VALU_DEP_3)
	v_dual_cndmask_b32 v17, v17, v21 :: v_dual_add_f32 v18, v18, v24
	v_cvt_i32_f32_e32 v21, v30
	v_cmp_eq_f32_e32 vcc_lo, 0x43000000, v30
	v_xor3_b32 v16, v16, v22, v17
	s_delay_alu instid0(VALU_DEP_4) | instskip(SKIP_2) | instid1(VALU_DEP_3)
	v_exp_f32_e32 v18, v18
	v_lshlrev_b32_e32 v22, 30, v44
	v_cndmask_b32_e64 v24, v21, 0x7f, vcc_lo
	v_cndmask_b32_e64 v16, 0x7fc00000, v16, s0
	v_cmp_ngt_f32_e64 s0, 0xc2ce8ed0, v2
	s_delay_alu instid0(VALU_DEP_3) | instskip(NEXT) | instid1(VALU_DEP_3)
	v_ldexp_f32 v19, 1.0, v24
	v_dual_mul_f32 v24, v38, v38 :: v_dual_mul_f32 v5, v23, v16
	s_delay_alu instid0(TRANS32_DEP_1) | instskip(SKIP_1) | instid1(VALU_DEP_4)
	v_ldexp_f32 v17, v18, v21
	v_mul_f32_e32 v18, v43, v43
	v_add_f32_e32 v15, -1.0, v19
	s_delay_alu instid0(VALU_DEP_3) | instskip(NEXT) | instid1(VALU_DEP_3)
	v_cndmask_b32_e64 v17, 0, v17, s0
	v_fmaak_f32 v20, s9, v18, 0x3c0881c4
	v_cmp_nlt_f32_e64 s0, 0x42b17218, v2
	s_delay_alu instid0(VALU_DEP_2) | instskip(SKIP_1) | instid1(VALU_DEP_3)
	v_dual_fmaak_f32 v20, v18, v20, 0xbe2aaa9d :: v_dual_fmac_f32 v15, v19, v26
	v_dual_fmaak_f32 v19, s8, v18, 0xbab64f3b :: v_dual_fmaak_f32 v26, s8, v24, 0xbab64f3b
	v_cndmask_b32_e64 v17, 0x7f800000, v17, s0
	s_delay_alu instid0(VALU_DEP_3) | instskip(NEXT) | instid1(VALU_DEP_3)
	v_dual_mul_f32 v20, v18, v20 :: v_dual_add_f32 v21, v15, v15
	v_fmaak_f32 v19, v18, v19, 0x3d2aabf7
	v_cmp_ngt_f32_e64 s0, 0xc1880000, v2
	s_delay_alu instid0(VALU_DEP_3) | instskip(NEXT) | instid1(VALU_DEP_4)
	v_fmac_f32_e32 v43, v43, v20
	v_cndmask_b32_e32 v15, v15, v21, vcc_lo
	v_and_b32_e32 v21, 0x80000000, v22
	v_fmaak_f32 v22, s9, v24, 0x3c0881c4
	v_fmaak_f32 v20, v24, v26, 0x3d2aabf7
	;; [unrolled: 1-line block ×3, first 2 shown]
	v_xor_b32_e32 v26, v34, v33
	s_delay_alu instid0(VALU_DEP_3) | instskip(NEXT) | instid1(VALU_DEP_3)
	v_fmaak_f32 v20, v24, v20, 0xbf000004
	v_fma_f32 v18, v18, v19, 1.0
	v_fmaak_f32 v19, v24, v22, 0xbe2aaa9d
	v_mul_f32_e32 v22, v8, v8
	v_and_b32_e32 v27, 1, v44
	s_delay_alu instid0(VALU_DEP_2) | instskip(SKIP_1) | instid1(VALU_DEP_2)
	v_dual_mul_f32 v19, v24, v19 :: v_dual_fmaak_f32 v30, s8, v22, 0xbab64f3b
	v_and_b32_e32 v31, 1, v39
	v_dual_fmaak_f32 v29, s9, v22, 0x3c0881c4 :: v_dual_fmac_f32 v38, v38, v19
	v_fma_f32 v19, v24, v20, 1.0
	s_delay_alu instid0(VALU_DEP_4) | instskip(NEXT) | instid1(VALU_DEP_4)
	v_fmaak_f32 v24, v22, v30, 0x3d2aabf7
	v_cmp_eq_u32_e32 vcc_lo, 0, v31
	s_delay_alu instid0(VALU_DEP_4) | instskip(NEXT) | instid1(VALU_DEP_4)
	v_fmaak_f32 v20, v22, v29, 0xbe2aaa9d
	v_dual_cndmask_b32 v19, v19, v38 :: v_dual_and_b32 v28, 0x80000000, v28
	v_cmp_eq_u32_e32 vcc_lo, 0, v27
	s_delay_alu instid0(VALU_DEP_3) | instskip(NEXT) | instid1(VALU_DEP_3)
	v_mul_f32_e32 v20, v22, v20
	v_xor3_b32 v19, v26, v28, v19
	v_cndmask_b32_e64 v18, -v43, v18, vcc_lo
	v_cmp_class_f32_e64 vcc_lo, v33, 0x1f8
	s_delay_alu instid0(VALU_DEP_4) | instskip(SKIP_1) | instid1(VALU_DEP_4)
	v_fmac_f32_e32 v8, v8, v20
	v_and_b32_e32 v20, 1, v48
	v_xor_b32_e32 v18, v21, v18
	v_cndmask_b32_e32 v19, 0x7fc00000, v19, vcc_lo
	v_fmaak_f32 v24, v22, v24, 0xbf000004
	s_delay_alu instid0(VALU_DEP_4) | instskip(NEXT) | instid1(VALU_DEP_2)
	v_cmp_eq_u32_e32 vcc_lo, 0, v20
	v_fma_f32 v22, v22, v24, 1.0
	s_delay_alu instid0(VALU_DEP_1) | instskip(SKIP_4) | instid1(VALU_DEP_3)
	v_cndmask_b32_e32 v8, v22, v8, vcc_lo
	v_cmp_nlt_f32_e32 vcc_lo, 0x42b17217, v2
	v_lshlrev_b32_e32 v24, 30, v48
	v_xor_b32_e32 v22, v40, v3
	v_cndmask_b32_e32 v15, 0x7f800000, v15, vcc_lo
	v_and_b32_e32 v20, 0x80000000, v24
	v_cmp_class_f32_e64 vcc_lo, v3, 0x1f8
	v_add_f32_e32 v3, v19, v19
	s_delay_alu instid0(VALU_DEP_4) | instskip(SKIP_2) | instid1(VALU_DEP_4)
	v_cndmask_b32_e64 v2, -1.0, v15, s0
	v_cmp_lt_u64_e64 s0, 0xffff, v[12:13]
	v_cndmask_b32_e32 v15, 0x7fc00000, v18, vcc_lo
	v_mul_f32_e32 v3, v19, v3
	v_xor3_b32 v8, v22, v20, v8
	s_delay_alu instid0(VALU_DEP_2) | instskip(NEXT) | instid1(VALU_DEP_2)
	v_fma_f32 v2, v2, v15, -v3
	v_cndmask_b32_e32 v8, 0x7fc00000, v8, vcc_lo
	v_cmp_le_i64_e32 vcc_lo, s[10:11], v[12:13]
	s_delay_alu instid0(VALU_DEP_2)
	v_mul_f32_e32 v3, v17, v8
	s_clause 0x1
	global_store_b128 v[10:11], v[4:7], off
	global_store_b128 v[10:11], v[0:3], off offset:16
	s_or_b32 s0, vcc_lo, s0
	v_add_co_u32 v12, vcc_lo, v12, s4
	v_add_co_ci_u32_e32 v13, vcc_lo, 0, v13, vcc_lo
	v_add_co_u32 v10, vcc_lo, v10, s5
	v_add_co_ci_u32_e32 v11, vcc_lo, 0, v11, vcc_lo
	s_and_b32 s0, exec_lo, s0
	s_delay_alu instid0(SALU_CYCLE_1) | instskip(NEXT) | instid1(SALU_CYCLE_1)
	s_or_b32 s3, s0, s3
	s_and_not1_b32 exec_lo, exec_lo, s3
	s_cbranch_execz .LBB151_121
.LBB151_73:                             ; =>This Inner Loop Header: Depth=1
	s_clause 0x1
	global_load_b128 v[4:7], v[10:11], off
	global_load_b128 v[0:3], v[10:11], off offset:16
                                        ; implicit-def: $vgpr18
                                        ; implicit-def: $vgpr17
	s_mov_b32 s1, exec_lo
	s_waitcnt vmcnt(1)
	v_mul_f32_e32 v14, 0.5, v5
	s_delay_alu instid0(VALU_DEP_1)
	v_and_b32_e32 v15, 0x7fffffff, v14
	v_cmpx_ngt_f32_e64 0x48000000, |v14|
	s_xor_b32 s12, exec_lo, s1
	s_cbranch_execz .LBB151_75
; %bb.74:                               ;   in Loop: Header=BB151_73 Depth=1
	s_delay_alu instid0(VALU_DEP_2) | instskip(SKIP_1) | instid1(VALU_DEP_2)
	v_lshrrev_b32_e32 v21, 23, v15
	v_and_or_b32 v24, v15, s6, 0x800000
	v_add_nc_u32_e32 v22, 0xffffff88, v21
	s_delay_alu instid0(VALU_DEP_2) | instskip(NEXT) | instid1(VALU_DEP_2)
	v_mad_u64_u32 v[16:17], null, 0xfe5163ab, v24, 0
	v_cmp_lt_u32_e32 vcc_lo, 63, v22
	v_cndmask_b32_e64 v23, 0, 0xffffffc0, vcc_lo
	s_delay_alu instid0(VALU_DEP_1) | instskip(NEXT) | instid1(VALU_DEP_1)
	v_dual_mov_b32 v8, v17 :: v_dual_add_nc_u32 v23, v23, v22
	v_mad_u64_u32 v[17:18], null, 0x3c439041, v24, v[8:9]
	s_delay_alu instid0(VALU_DEP_2) | instskip(NEXT) | instid1(VALU_DEP_1)
	v_cmp_lt_u32_e64 s0, 31, v23
	v_cndmask_b32_e64 v25, 0, 0xffffffe0, s0
	s_delay_alu instid0(VALU_DEP_1) | instskip(NEXT) | instid1(VALU_DEP_1)
	v_dual_mov_b32 v8, v18 :: v_dual_add_nc_u32 v25, v25, v23
	v_mad_u64_u32 v[18:19], null, 0xdb629599, v24, v[8:9]
	s_delay_alu instid0(VALU_DEP_2) | instskip(NEXT) | instid1(VALU_DEP_2)
	v_cmp_lt_u32_e64 s1, 31, v25
	v_mov_b32_e32 v8, v19
	s_delay_alu instid0(VALU_DEP_3) | instskip(NEXT) | instid1(VALU_DEP_2)
	v_cndmask_b32_e32 v16, v18, v16, vcc_lo
	v_mad_u64_u32 v[19:20], null, 0xf534ddc0, v24, v[8:9]
	s_delay_alu instid0(VALU_DEP_1) | instskip(NEXT) | instid1(VALU_DEP_1)
	v_dual_mov_b32 v8, v20 :: v_dual_cndmask_b32 v17, v19, v17
	v_mad_u64_u32 v[20:21], null, 0xfc2757d1, v24, v[8:9]
	s_delay_alu instid0(VALU_DEP_2) | instskip(NEXT) | instid1(VALU_DEP_2)
	v_cndmask_b32_e64 v16, v17, v16, s0
	v_mov_b32_e32 v8, v21
	s_delay_alu instid0(VALU_DEP_1) | instskip(NEXT) | instid1(VALU_DEP_1)
	v_mad_u64_u32 v[21:22], null, 0x4e441529, v24, v[8:9]
	v_mov_b32_e32 v8, v22
	s_delay_alu instid0(VALU_DEP_1) | instskip(SKIP_1) | instid1(VALU_DEP_4)
	v_mad_u64_u32 v[22:23], null, 0xa2f9836e, v24, v[8:9]
	v_cndmask_b32_e64 v8, 0, 0xffffffe0, s1
	v_cndmask_b32_e32 v24, v21, v19, vcc_lo
	s_delay_alu instid0(VALU_DEP_2) | instskip(NEXT) | instid1(VALU_DEP_4)
	v_add_nc_u32_e32 v8, v8, v25
	v_dual_cndmask_b32 v22, v22, v20 :: v_dual_cndmask_b32 v21, v23, v21
	v_cndmask_b32_e32 v20, v20, v18, vcc_lo
	s_delay_alu instid0(VALU_DEP_3) | instskip(NEXT) | instid1(VALU_DEP_3)
	v_sub_nc_u32_e32 v23, 32, v8
	v_cndmask_b32_e64 v19, v22, v24, s0
	s_delay_alu instid0(VALU_DEP_4) | instskip(NEXT) | instid1(VALU_DEP_4)
	v_cndmask_b32_e64 v21, v21, v22, s0
	v_cndmask_b32_e64 v22, v24, v20, s0
	;; [unrolled: 1-line block ×3, first 2 shown]
	v_cmp_eq_u32_e64 s2, 0, v8
	s_delay_alu instid0(VALU_DEP_4) | instskip(NEXT) | instid1(VALU_DEP_4)
	v_cndmask_b32_e64 v21, v21, v19, s1
	v_cndmask_b32_e64 v19, v19, v22, s1
	s_delay_alu instid0(VALU_DEP_4) | instskip(SKIP_1) | instid1(VALU_DEP_3)
	v_cndmask_b32_e64 v22, v22, v20, s1
	v_cndmask_b32_e64 v16, v20, v16, s1
	v_alignbit_b32 v24, v21, v19, v23
	s_delay_alu instid0(VALU_DEP_3) | instskip(NEXT) | instid1(VALU_DEP_3)
	v_alignbit_b32 v25, v19, v22, v23
	v_alignbit_b32 v23, v22, v16, v23
	s_delay_alu instid0(VALU_DEP_3) | instskip(NEXT) | instid1(VALU_DEP_3)
	v_cndmask_b32_e64 v8, v24, v21, s2
	v_cndmask_b32_e64 v18, v25, v19, s2
	s_delay_alu instid0(VALU_DEP_3) | instskip(NEXT) | instid1(VALU_DEP_3)
	v_cndmask_b32_e64 v22, v23, v22, s2
	v_bfe_u32 v19, v8, 29, 1
	s_delay_alu instid0(VALU_DEP_3) | instskip(NEXT) | instid1(VALU_DEP_3)
	v_alignbit_b32 v17, v8, v18, 30
	v_alignbit_b32 v18, v18, v22, 30
	;; [unrolled: 1-line block ×3, first 2 shown]
	s_delay_alu instid0(VALU_DEP_4) | instskip(NEXT) | instid1(VALU_DEP_1)
	v_sub_nc_u32_e32 v21, 0, v19
	v_xor_b32_e32 v20, v17, v21
	v_cmp_ne_u32_e32 vcc_lo, v17, v21
	v_xor_b32_e32 v18, v18, v21
	v_xor_b32_e32 v16, v16, v21
	s_delay_alu instid0(VALU_DEP_4) | instskip(NEXT) | instid1(VALU_DEP_1)
	v_clz_i32_u32_e32 v24, v20
	v_add_nc_u32_e32 v23, 1, v24
	s_delay_alu instid0(VALU_DEP_1) | instskip(NEXT) | instid1(VALU_DEP_1)
	v_cndmask_b32_e32 v17, 33, v23, vcc_lo
	v_sub_nc_u32_e32 v22, 32, v17
	s_delay_alu instid0(VALU_DEP_1) | instskip(SKIP_3) | instid1(VALU_DEP_3)
	v_alignbit_b32 v20, v20, v18, v22
	v_alignbit_b32 v16, v18, v16, v22
	v_lshrrev_b32_e32 v18, 29, v8
	v_lshrrev_b32_e32 v8, 30, v8
	v_alignbit_b32 v21, v20, v16, 9
	s_delay_alu instid0(VALU_DEP_3) | instskip(SKIP_1) | instid1(VALU_DEP_3)
	v_lshlrev_b32_e32 v18, 31, v18
	v_alignbit_b32 v20, v17, v20, 9
	v_clz_i32_u32_e32 v22, v21
	s_delay_alu instid0(VALU_DEP_2) | instskip(SKIP_1) | instid1(VALU_DEP_3)
	v_or_b32_e32 v20, v20, v18
	v_or_b32_e32 v18, 0x33800000, v18
	v_min_u32_e32 v22, 32, v22
	s_delay_alu instid0(VALU_DEP_3) | instskip(NEXT) | instid1(VALU_DEP_2)
	v_xor_b32_e32 v20, 1.0, v20
	v_sub_nc_u32_e32 v23, 31, v22
	v_add_lshl_u32 v17, v22, v17, 23
	s_delay_alu instid0(VALU_DEP_3) | instskip(NEXT) | instid1(VALU_DEP_3)
	v_mul_f32_e32 v22, 0x3fc90fda, v20
	v_alignbit_b32 v16, v21, v16, v23
	s_delay_alu instid0(VALU_DEP_3) | instskip(NEXT) | instid1(VALU_DEP_3)
	v_sub_nc_u32_e32 v17, v18, v17
	v_fma_f32 v18, 0x3fc90fda, v20, -v22
	s_delay_alu instid0(VALU_DEP_3) | instskip(NEXT) | instid1(VALU_DEP_2)
	v_lshrrev_b32_e32 v16, 9, v16
	v_fmac_f32_e32 v18, 0x33a22168, v20
	s_delay_alu instid0(VALU_DEP_2) | instskip(NEXT) | instid1(VALU_DEP_1)
	v_or_b32_e32 v16, v17, v16
	v_fmac_f32_e32 v18, 0x3fc90fda, v16
	s_delay_alu instid0(VALU_DEP_1)
	v_dual_add_f32 v17, v22, v18 :: v_dual_add_nc_u32 v18, v19, v8
.LBB151_75:                             ;   in Loop: Header=BB151_73 Depth=1
	s_and_not1_saveexec_b32 s0, s12
; %bb.76:                               ;   in Loop: Header=BB151_73 Depth=1
	v_mul_f32_e64 v8, 0x3f22f983, |v14|
	s_delay_alu instid0(VALU_DEP_1) | instskip(NEXT) | instid1(VALU_DEP_1)
	v_rndne_f32_e32 v8, v8
	v_fma_f32 v17, 0xbfc90fda, v8, |v14|
	v_cvt_i32_f32_e32 v18, v8
	s_delay_alu instid0(VALU_DEP_2) | instskip(NEXT) | instid1(VALU_DEP_1)
	v_fmac_f32_e32 v17, 0xb3a22168, v8
	v_fmac_f32_e32 v17, 0xa7c234c4, v8
; %bb.77:                               ;   in Loop: Header=BB151_73 Depth=1
	s_or_b32 exec_lo, exec_lo, s0
	v_and_b32_e32 v16, 0x7fffffff, v5
	v_cmp_ngt_f32_e64 s12, 0x48000000, |v5|
                                        ; implicit-def: $vgpr20
                                        ; implicit-def: $vgpr19
	s_delay_alu instid0(VALU_DEP_1) | instskip(NEXT) | instid1(SALU_CYCLE_1)
	s_and_saveexec_b32 s0, s12
	s_xor_b32 s13, exec_lo, s0
	s_cbranch_execz .LBB151_79
; %bb.78:                               ;   in Loop: Header=BB151_73 Depth=1
	v_and_or_b32 v27, v16, s6, 0x800000
	v_lshrrev_b32_e32 v24, 23, v16
	s_delay_alu instid0(VALU_DEP_2) | instskip(NEXT) | instid1(VALU_DEP_2)
	v_mad_u64_u32 v[19:20], null, 0xfe5163ab, v27, 0
	v_add_nc_u32_e32 v25, 0xffffff88, v24
	s_delay_alu instid0(VALU_DEP_1) | instskip(NEXT) | instid1(VALU_DEP_3)
	v_cmp_lt_u32_e32 vcc_lo, 63, v25
	v_mov_b32_e32 v8, v20
	v_cndmask_b32_e64 v26, 0, 0xffffffc0, vcc_lo
	s_delay_alu instid0(VALU_DEP_2) | instskip(NEXT) | instid1(VALU_DEP_2)
	v_mad_u64_u32 v[20:21], null, 0x3c439041, v27, v[8:9]
	v_add_nc_u32_e32 v26, v26, v25
	s_delay_alu instid0(VALU_DEP_2) | instskip(NEXT) | instid1(VALU_DEP_2)
	v_mov_b32_e32 v8, v21
	v_cmp_lt_u32_e64 s0, 31, v26
	s_delay_alu instid0(VALU_DEP_2) | instskip(NEXT) | instid1(VALU_DEP_2)
	v_mad_u64_u32 v[21:22], null, 0xdb629599, v27, v[8:9]
	v_cndmask_b32_e64 v28, 0, 0xffffffe0, s0
	s_delay_alu instid0(VALU_DEP_1) | instskip(NEXT) | instid1(VALU_DEP_3)
	v_add_nc_u32_e32 v28, v28, v26
	v_dual_mov_b32 v8, v22 :: v_dual_cndmask_b32 v19, v21, v19
	s_delay_alu instid0(VALU_DEP_2) | instskip(NEXT) | instid1(VALU_DEP_2)
	v_cmp_lt_u32_e64 s1, 31, v28
	v_mad_u64_u32 v[22:23], null, 0xf534ddc0, v27, v[8:9]
	s_delay_alu instid0(VALU_DEP_1) | instskip(NEXT) | instid1(VALU_DEP_2)
	v_mov_b32_e32 v8, v23
	v_cndmask_b32_e32 v20, v22, v20, vcc_lo
	s_delay_alu instid0(VALU_DEP_2) | instskip(NEXT) | instid1(VALU_DEP_2)
	v_mad_u64_u32 v[23:24], null, 0xfc2757d1, v27, v[8:9]
	v_cndmask_b32_e64 v19, v20, v19, s0
	s_delay_alu instid0(VALU_DEP_2) | instskip(NEXT) | instid1(VALU_DEP_1)
	v_mov_b32_e32 v8, v24
	v_mad_u64_u32 v[24:25], null, 0x4e441529, v27, v[8:9]
	s_delay_alu instid0(VALU_DEP_1) | instskip(NEXT) | instid1(VALU_DEP_1)
	v_mov_b32_e32 v8, v25
	v_mad_u64_u32 v[25:26], null, 0xa2f9836e, v27, v[8:9]
	v_cndmask_b32_e64 v8, 0, 0xffffffe0, s1
	s_delay_alu instid0(VALU_DEP_4) | instskip(NEXT) | instid1(VALU_DEP_2)
	v_cndmask_b32_e32 v27, v24, v22, vcc_lo
	v_dual_cndmask_b32 v25, v25, v23 :: v_dual_add_nc_u32 v8, v8, v28
	s_delay_alu instid0(VALU_DEP_4) | instskip(NEXT) | instid1(VALU_DEP_2)
	v_dual_cndmask_b32 v24, v26, v24 :: v_dual_cndmask_b32 v23, v23, v21
	v_sub_nc_u32_e32 v26, 32, v8
	s_delay_alu instid0(VALU_DEP_3) | instskip(NEXT) | instid1(VALU_DEP_3)
	v_cndmask_b32_e64 v22, v25, v27, s0
	v_cndmask_b32_e64 v24, v24, v25, s0
	s_delay_alu instid0(VALU_DEP_4) | instskip(SKIP_2) | instid1(VALU_DEP_4)
	v_cndmask_b32_e64 v25, v27, v23, s0
	v_cndmask_b32_e64 v23, v23, v20, s0
	v_cmp_eq_u32_e64 s2, 0, v8
	v_cndmask_b32_e64 v24, v24, v22, s1
	s_delay_alu instid0(VALU_DEP_4) | instskip(NEXT) | instid1(VALU_DEP_4)
	v_cndmask_b32_e64 v22, v22, v25, s1
	v_cndmask_b32_e64 v25, v25, v23, s1
	;; [unrolled: 1-line block ×3, first 2 shown]
	s_delay_alu instid0(VALU_DEP_3) | instskip(NEXT) | instid1(VALU_DEP_3)
	v_alignbit_b32 v27, v24, v22, v26
	v_alignbit_b32 v28, v22, v25, v26
	s_delay_alu instid0(VALU_DEP_3) | instskip(NEXT) | instid1(VALU_DEP_3)
	v_alignbit_b32 v26, v25, v19, v26
	v_cndmask_b32_e64 v8, v27, v24, s2
	s_delay_alu instid0(VALU_DEP_3) | instskip(NEXT) | instid1(VALU_DEP_3)
	v_cndmask_b32_e64 v21, v28, v22, s2
	v_cndmask_b32_e64 v25, v26, v25, s2
	s_delay_alu instid0(VALU_DEP_3) | instskip(NEXT) | instid1(VALU_DEP_3)
	v_bfe_u32 v22, v8, 29, 1
	v_alignbit_b32 v20, v8, v21, 30
	s_delay_alu instid0(VALU_DEP_3) | instskip(SKIP_1) | instid1(VALU_DEP_4)
	v_alignbit_b32 v21, v21, v25, 30
	v_alignbit_b32 v19, v25, v19, 30
	v_sub_nc_u32_e32 v24, 0, v22
	s_delay_alu instid0(VALU_DEP_1) | instskip(SKIP_3) | instid1(VALU_DEP_4)
	v_xor_b32_e32 v23, v20, v24
	v_cmp_ne_u32_e32 vcc_lo, v20, v24
	v_xor_b32_e32 v21, v21, v24
	v_xor_b32_e32 v19, v19, v24
	v_clz_i32_u32_e32 v27, v23
	s_delay_alu instid0(VALU_DEP_1) | instskip(NEXT) | instid1(VALU_DEP_1)
	v_add_nc_u32_e32 v26, 1, v27
	v_cndmask_b32_e32 v20, 33, v26, vcc_lo
	s_delay_alu instid0(VALU_DEP_1) | instskip(NEXT) | instid1(VALU_DEP_1)
	v_sub_nc_u32_e32 v25, 32, v20
	v_alignbit_b32 v23, v23, v21, v25
	v_alignbit_b32 v19, v21, v19, v25
	v_lshrrev_b32_e32 v21, 29, v8
	v_lshrrev_b32_e32 v8, 30, v8
	s_delay_alu instid0(VALU_DEP_3) | instskip(NEXT) | instid1(VALU_DEP_3)
	v_alignbit_b32 v24, v23, v19, 9
	v_lshlrev_b32_e32 v21, 31, v21
	v_alignbit_b32 v23, v20, v23, 9
	s_delay_alu instid0(VALU_DEP_3) | instskip(NEXT) | instid1(VALU_DEP_2)
	v_clz_i32_u32_e32 v25, v24
	v_or_b32_e32 v23, v23, v21
	v_or_b32_e32 v21, 0x33800000, v21
	s_delay_alu instid0(VALU_DEP_3) | instskip(NEXT) | instid1(VALU_DEP_3)
	v_min_u32_e32 v25, 32, v25
	v_xor_b32_e32 v23, 1.0, v23
	s_delay_alu instid0(VALU_DEP_2) | instskip(SKIP_1) | instid1(VALU_DEP_3)
	v_sub_nc_u32_e32 v26, 31, v25
	v_add_lshl_u32 v20, v25, v20, 23
	v_mul_f32_e32 v25, 0x3fc90fda, v23
	s_delay_alu instid0(VALU_DEP_3) | instskip(NEXT) | instid1(VALU_DEP_3)
	v_alignbit_b32 v19, v24, v19, v26
	v_sub_nc_u32_e32 v20, v21, v20
	s_delay_alu instid0(VALU_DEP_3) | instskip(NEXT) | instid1(VALU_DEP_3)
	v_fma_f32 v21, 0x3fc90fda, v23, -v25
	v_lshrrev_b32_e32 v19, 9, v19
	s_delay_alu instid0(VALU_DEP_2) | instskip(NEXT) | instid1(VALU_DEP_2)
	v_fmac_f32_e32 v21, 0x33a22168, v23
	v_or_b32_e32 v19, v20, v19
	s_delay_alu instid0(VALU_DEP_1) | instskip(NEXT) | instid1(VALU_DEP_1)
	v_dual_fmac_f32 v21, 0x3fc90fda, v19 :: v_dual_add_nc_u32 v20, v22, v8
	v_add_f32_e32 v19, v25, v21
	s_and_not1_saveexec_b32 s0, s13
	s_branch .LBB151_80
.LBB151_79:                             ;   in Loop: Header=BB151_73 Depth=1
	s_and_not1_saveexec_b32 s0, s13
.LBB151_80:                             ;   in Loop: Header=BB151_73 Depth=1
	v_mul_f32_e64 v8, 0x3f22f983, |v5|
	s_delay_alu instid0(VALU_DEP_1) | instskip(NEXT) | instid1(VALU_DEP_1)
	v_rndne_f32_e32 v8, v8
	v_fma_f32 v19, 0xbfc90fda, v8, |v5|
	v_cvt_i32_f32_e32 v20, v8
	s_delay_alu instid0(VALU_DEP_2) | instskip(NEXT) | instid1(VALU_DEP_1)
	v_fmac_f32_e32 v19, 0xb3a22168, v8
	v_fmac_f32_e32 v19, 0xa7c234c4, v8
; %bb.81:                               ;   in Loop: Header=BB151_73 Depth=1
	s_or_b32 exec_lo, exec_lo, s0
                                        ; implicit-def: $vgpr22
                                        ; implicit-def: $vgpr21
	s_and_saveexec_b32 s0, s12
	s_delay_alu instid0(SALU_CYCLE_1)
	s_xor_b32 s12, exec_lo, s0
	s_cbranch_execz .LBB151_83
; %bb.82:                               ;   in Loop: Header=BB151_73 Depth=1
	v_and_or_b32 v29, v16, s6, 0x800000
	v_lshrrev_b32_e32 v26, 23, v16
	s_delay_alu instid0(VALU_DEP_2) | instskip(NEXT) | instid1(VALU_DEP_2)
	v_mad_u64_u32 v[21:22], null, 0xfe5163ab, v29, 0
	v_add_nc_u32_e32 v27, 0xffffff88, v26
	s_delay_alu instid0(VALU_DEP_1) | instskip(NEXT) | instid1(VALU_DEP_3)
	v_cmp_lt_u32_e32 vcc_lo, 63, v27
	v_mov_b32_e32 v8, v22
	v_cndmask_b32_e64 v28, 0, 0xffffffc0, vcc_lo
	s_delay_alu instid0(VALU_DEP_2) | instskip(NEXT) | instid1(VALU_DEP_2)
	v_mad_u64_u32 v[22:23], null, 0x3c439041, v29, v[8:9]
	v_add_nc_u32_e32 v28, v28, v27
	s_delay_alu instid0(VALU_DEP_2) | instskip(NEXT) | instid1(VALU_DEP_2)
	v_mov_b32_e32 v8, v23
	v_cmp_lt_u32_e64 s0, 31, v28
	s_delay_alu instid0(VALU_DEP_2) | instskip(NEXT) | instid1(VALU_DEP_2)
	v_mad_u64_u32 v[23:24], null, 0xdb629599, v29, v[8:9]
	v_cndmask_b32_e64 v30, 0, 0xffffffe0, s0
	s_delay_alu instid0(VALU_DEP_1) | instskip(NEXT) | instid1(VALU_DEP_3)
	v_add_nc_u32_e32 v30, v30, v28
	v_dual_mov_b32 v8, v24 :: v_dual_cndmask_b32 v21, v23, v21
	s_delay_alu instid0(VALU_DEP_2) | instskip(NEXT) | instid1(VALU_DEP_2)
	v_cmp_lt_u32_e64 s1, 31, v30
	v_mad_u64_u32 v[24:25], null, 0xf534ddc0, v29, v[8:9]
	s_delay_alu instid0(VALU_DEP_1) | instskip(NEXT) | instid1(VALU_DEP_2)
	v_mov_b32_e32 v8, v25
	v_cndmask_b32_e32 v22, v24, v22, vcc_lo
	s_delay_alu instid0(VALU_DEP_2) | instskip(NEXT) | instid1(VALU_DEP_2)
	v_mad_u64_u32 v[25:26], null, 0xfc2757d1, v29, v[8:9]
	v_cndmask_b32_e64 v21, v22, v21, s0
	s_delay_alu instid0(VALU_DEP_2) | instskip(NEXT) | instid1(VALU_DEP_1)
	v_mov_b32_e32 v8, v26
	v_mad_u64_u32 v[26:27], null, 0x4e441529, v29, v[8:9]
	s_delay_alu instid0(VALU_DEP_1) | instskip(NEXT) | instid1(VALU_DEP_1)
	v_mov_b32_e32 v8, v27
	v_mad_u64_u32 v[27:28], null, 0xa2f9836e, v29, v[8:9]
	v_cndmask_b32_e64 v8, 0, 0xffffffe0, s1
	s_delay_alu instid0(VALU_DEP_1) | instskip(NEXT) | instid1(VALU_DEP_3)
	v_dual_cndmask_b32 v29, v26, v24 :: v_dual_add_nc_u32 v8, v8, v30
	v_dual_cndmask_b32 v27, v27, v25 :: v_dual_cndmask_b32 v26, v28, v26
	v_cndmask_b32_e32 v25, v25, v23, vcc_lo
	s_delay_alu instid0(VALU_DEP_3) | instskip(NEXT) | instid1(VALU_DEP_3)
	v_sub_nc_u32_e32 v28, 32, v8
	v_cndmask_b32_e64 v24, v27, v29, s0
	s_delay_alu instid0(VALU_DEP_4) | instskip(NEXT) | instid1(VALU_DEP_4)
	v_cndmask_b32_e64 v26, v26, v27, s0
	v_cndmask_b32_e64 v27, v29, v25, s0
	;; [unrolled: 1-line block ×3, first 2 shown]
	v_cmp_eq_u32_e64 s2, 0, v8
	s_delay_alu instid0(VALU_DEP_4) | instskip(NEXT) | instid1(VALU_DEP_4)
	v_cndmask_b32_e64 v26, v26, v24, s1
	v_cndmask_b32_e64 v24, v24, v27, s1
	s_delay_alu instid0(VALU_DEP_4) | instskip(SKIP_1) | instid1(VALU_DEP_3)
	v_cndmask_b32_e64 v27, v27, v25, s1
	v_cndmask_b32_e64 v21, v25, v21, s1
	v_alignbit_b32 v29, v26, v24, v28
	s_delay_alu instid0(VALU_DEP_3) | instskip(NEXT) | instid1(VALU_DEP_3)
	v_alignbit_b32 v30, v24, v27, v28
	v_alignbit_b32 v28, v27, v21, v28
	s_delay_alu instid0(VALU_DEP_3) | instskip(NEXT) | instid1(VALU_DEP_3)
	v_cndmask_b32_e64 v8, v29, v26, s2
	v_cndmask_b32_e64 v23, v30, v24, s2
	s_delay_alu instid0(VALU_DEP_3) | instskip(NEXT) | instid1(VALU_DEP_3)
	v_cndmask_b32_e64 v27, v28, v27, s2
	v_bfe_u32 v24, v8, 29, 1
	s_delay_alu instid0(VALU_DEP_3) | instskip(NEXT) | instid1(VALU_DEP_3)
	v_alignbit_b32 v22, v8, v23, 30
	v_alignbit_b32 v23, v23, v27, 30
	;; [unrolled: 1-line block ×3, first 2 shown]
	s_delay_alu instid0(VALU_DEP_4) | instskip(NEXT) | instid1(VALU_DEP_1)
	v_sub_nc_u32_e32 v26, 0, v24
	v_xor_b32_e32 v25, v22, v26
	v_cmp_ne_u32_e32 vcc_lo, v22, v26
	v_xor_b32_e32 v23, v23, v26
	v_xor_b32_e32 v21, v21, v26
	s_delay_alu instid0(VALU_DEP_4) | instskip(NEXT) | instid1(VALU_DEP_1)
	v_clz_i32_u32_e32 v29, v25
	v_add_nc_u32_e32 v28, 1, v29
	s_delay_alu instid0(VALU_DEP_1) | instskip(NEXT) | instid1(VALU_DEP_1)
	v_cndmask_b32_e32 v22, 33, v28, vcc_lo
	v_sub_nc_u32_e32 v27, 32, v22
	s_delay_alu instid0(VALU_DEP_1) | instskip(SKIP_3) | instid1(VALU_DEP_3)
	v_alignbit_b32 v25, v25, v23, v27
	v_alignbit_b32 v21, v23, v21, v27
	v_lshrrev_b32_e32 v23, 29, v8
	v_lshrrev_b32_e32 v8, 30, v8
	v_alignbit_b32 v26, v25, v21, 9
	s_delay_alu instid0(VALU_DEP_3) | instskip(SKIP_1) | instid1(VALU_DEP_3)
	v_lshlrev_b32_e32 v23, 31, v23
	v_alignbit_b32 v25, v22, v25, 9
	v_clz_i32_u32_e32 v27, v26
	s_delay_alu instid0(VALU_DEP_2) | instskip(SKIP_1) | instid1(VALU_DEP_3)
	v_or_b32_e32 v25, v25, v23
	v_or_b32_e32 v23, 0x33800000, v23
	v_min_u32_e32 v27, 32, v27
	s_delay_alu instid0(VALU_DEP_3) | instskip(NEXT) | instid1(VALU_DEP_2)
	v_xor_b32_e32 v25, 1.0, v25
	v_sub_nc_u32_e32 v28, 31, v27
	v_add_lshl_u32 v22, v27, v22, 23
	s_delay_alu instid0(VALU_DEP_3) | instskip(NEXT) | instid1(VALU_DEP_3)
	v_mul_f32_e32 v27, 0x3fc90fda, v25
	v_alignbit_b32 v21, v26, v21, v28
	s_delay_alu instid0(VALU_DEP_3) | instskip(NEXT) | instid1(VALU_DEP_3)
	v_sub_nc_u32_e32 v22, v23, v22
	v_fma_f32 v23, 0x3fc90fda, v25, -v27
	s_delay_alu instid0(VALU_DEP_3) | instskip(NEXT) | instid1(VALU_DEP_2)
	v_lshrrev_b32_e32 v21, 9, v21
	v_fmac_f32_e32 v23, 0x33a22168, v25
	s_delay_alu instid0(VALU_DEP_2) | instskip(NEXT) | instid1(VALU_DEP_1)
	v_or_b32_e32 v21, v22, v21
	v_dual_fmac_f32 v23, 0x3fc90fda, v21 :: v_dual_add_nc_u32 v22, v24, v8
	s_delay_alu instid0(VALU_DEP_1)
	v_add_f32_e32 v21, v27, v23
	s_and_not1_saveexec_b32 s0, s12
	s_cbranch_execnz .LBB151_84
	s_branch .LBB151_85
.LBB151_83:                             ;   in Loop: Header=BB151_73 Depth=1
	s_and_not1_saveexec_b32 s0, s12
.LBB151_84:                             ;   in Loop: Header=BB151_73 Depth=1
	v_mul_f32_e64 v8, 0x3f22f983, |v5|
	s_delay_alu instid0(VALU_DEP_1) | instskip(NEXT) | instid1(VALU_DEP_1)
	v_rndne_f32_e32 v8, v8
	v_fma_f32 v21, 0xbfc90fda, v8, |v5|
	v_cvt_i32_f32_e32 v22, v8
	s_delay_alu instid0(VALU_DEP_2) | instskip(NEXT) | instid1(VALU_DEP_1)
	v_fmac_f32_e32 v21, 0xb3a22168, v8
	v_fmac_f32_e32 v21, 0xa7c234c4, v8
.LBB151_85:                             ;   in Loop: Header=BB151_73 Depth=1
	s_or_b32 exec_lo, exec_lo, s0
	v_mul_f32_e32 v23, 0.5, v7
                                        ; implicit-def: $vgpr27
                                        ; implicit-def: $vgpr26
	s_mov_b32 s1, exec_lo
	s_delay_alu instid0(VALU_DEP_1)
	v_and_b32_e32 v24, 0x7fffffff, v23
	v_cmpx_ngt_f32_e64 0x48000000, |v23|
	s_xor_b32 s12, exec_lo, s1
	s_cbranch_execz .LBB151_87
; %bb.86:                               ;   in Loop: Header=BB151_73 Depth=1
	s_delay_alu instid0(VALU_DEP_2) | instskip(SKIP_1) | instid1(VALU_DEP_2)
	v_and_or_b32 v33, v24, s6, 0x800000
	v_lshrrev_b32_e32 v30, 23, v24
	v_mad_u64_u32 v[25:26], null, 0xfe5163ab, v33, 0
	s_delay_alu instid0(VALU_DEP_2) | instskip(NEXT) | instid1(VALU_DEP_1)
	v_add_nc_u32_e32 v31, 0xffffff88, v30
	v_cmp_lt_u32_e32 vcc_lo, 63, v31
	s_delay_alu instid0(VALU_DEP_3) | instskip(SKIP_1) | instid1(VALU_DEP_2)
	v_mov_b32_e32 v8, v26
	v_cndmask_b32_e64 v32, 0, 0xffffffc0, vcc_lo
	v_mad_u64_u32 v[26:27], null, 0x3c439041, v33, v[8:9]
	s_delay_alu instid0(VALU_DEP_2) | instskip(NEXT) | instid1(VALU_DEP_2)
	v_add_nc_u32_e32 v32, v32, v31
	v_mov_b32_e32 v8, v27
	s_delay_alu instid0(VALU_DEP_2) | instskip(NEXT) | instid1(VALU_DEP_2)
	v_cmp_lt_u32_e64 s0, 31, v32
	v_mad_u64_u32 v[27:28], null, 0xdb629599, v33, v[8:9]
	s_delay_alu instid0(VALU_DEP_2) | instskip(NEXT) | instid1(VALU_DEP_1)
	v_cndmask_b32_e64 v34, 0, 0xffffffe0, s0
	v_add_nc_u32_e32 v34, v34, v32
	s_delay_alu instid0(VALU_DEP_3) | instskip(NEXT) | instid1(VALU_DEP_2)
	v_dual_mov_b32 v8, v28 :: v_dual_cndmask_b32 v25, v27, v25
	v_cmp_lt_u32_e64 s1, 31, v34
	s_delay_alu instid0(VALU_DEP_2) | instskip(NEXT) | instid1(VALU_DEP_1)
	v_mad_u64_u32 v[28:29], null, 0xf534ddc0, v33, v[8:9]
	v_mov_b32_e32 v8, v29
	s_delay_alu instid0(VALU_DEP_2) | instskip(NEXT) | instid1(VALU_DEP_2)
	v_cndmask_b32_e32 v26, v28, v26, vcc_lo
	v_mad_u64_u32 v[29:30], null, 0xfc2757d1, v33, v[8:9]
	s_delay_alu instid0(VALU_DEP_2) | instskip(NEXT) | instid1(VALU_DEP_2)
	v_cndmask_b32_e64 v25, v26, v25, s0
	v_mov_b32_e32 v8, v30
	s_delay_alu instid0(VALU_DEP_1) | instskip(NEXT) | instid1(VALU_DEP_1)
	v_mad_u64_u32 v[30:31], null, 0x4e441529, v33, v[8:9]
	v_mov_b32_e32 v8, v31
	s_delay_alu instid0(VALU_DEP_1) | instskip(SKIP_1) | instid1(VALU_DEP_1)
	v_mad_u64_u32 v[31:32], null, 0xa2f9836e, v33, v[8:9]
	v_cndmask_b32_e64 v8, 0, 0xffffffe0, s1
	v_dual_cndmask_b32 v33, v30, v28 :: v_dual_add_nc_u32 v8, v8, v34
	s_delay_alu instid0(VALU_DEP_3) | instskip(SKIP_1) | instid1(VALU_DEP_3)
	v_dual_cndmask_b32 v31, v31, v29 :: v_dual_cndmask_b32 v30, v32, v30
	v_cndmask_b32_e32 v29, v29, v27, vcc_lo
	v_sub_nc_u32_e32 v32, 32, v8
	s_delay_alu instid0(VALU_DEP_3) | instskip(NEXT) | instid1(VALU_DEP_4)
	v_cndmask_b32_e64 v28, v31, v33, s0
	v_cndmask_b32_e64 v30, v30, v31, s0
	s_delay_alu instid0(VALU_DEP_4) | instskip(SKIP_2) | instid1(VALU_DEP_4)
	v_cndmask_b32_e64 v31, v33, v29, s0
	v_cndmask_b32_e64 v29, v29, v26, s0
	v_cmp_eq_u32_e64 s2, 0, v8
	v_cndmask_b32_e64 v30, v30, v28, s1
	s_delay_alu instid0(VALU_DEP_4) | instskip(NEXT) | instid1(VALU_DEP_4)
	v_cndmask_b32_e64 v28, v28, v31, s1
	v_cndmask_b32_e64 v31, v31, v29, s1
	;; [unrolled: 1-line block ×3, first 2 shown]
	s_delay_alu instid0(VALU_DEP_3) | instskip(NEXT) | instid1(VALU_DEP_3)
	v_alignbit_b32 v33, v30, v28, v32
	v_alignbit_b32 v34, v28, v31, v32
	s_delay_alu instid0(VALU_DEP_3) | instskip(NEXT) | instid1(VALU_DEP_3)
	v_alignbit_b32 v32, v31, v25, v32
	v_cndmask_b32_e64 v8, v33, v30, s2
	s_delay_alu instid0(VALU_DEP_3) | instskip(NEXT) | instid1(VALU_DEP_3)
	v_cndmask_b32_e64 v27, v34, v28, s2
	v_cndmask_b32_e64 v31, v32, v31, s2
	s_delay_alu instid0(VALU_DEP_3) | instskip(NEXT) | instid1(VALU_DEP_3)
	v_bfe_u32 v28, v8, 29, 1
	v_alignbit_b32 v26, v8, v27, 30
	s_delay_alu instid0(VALU_DEP_3) | instskip(SKIP_1) | instid1(VALU_DEP_4)
	v_alignbit_b32 v27, v27, v31, 30
	v_alignbit_b32 v25, v31, v25, 30
	v_sub_nc_u32_e32 v30, 0, v28
	s_delay_alu instid0(VALU_DEP_1) | instskip(SKIP_3) | instid1(VALU_DEP_4)
	v_xor_b32_e32 v29, v26, v30
	v_cmp_ne_u32_e32 vcc_lo, v26, v30
	v_xor_b32_e32 v27, v27, v30
	v_xor_b32_e32 v25, v25, v30
	v_clz_i32_u32_e32 v33, v29
	s_delay_alu instid0(VALU_DEP_1) | instskip(NEXT) | instid1(VALU_DEP_1)
	v_add_nc_u32_e32 v32, 1, v33
	v_cndmask_b32_e32 v26, 33, v32, vcc_lo
	s_delay_alu instid0(VALU_DEP_1) | instskip(NEXT) | instid1(VALU_DEP_1)
	v_sub_nc_u32_e32 v31, 32, v26
	v_alignbit_b32 v29, v29, v27, v31
	v_alignbit_b32 v25, v27, v25, v31
	v_lshrrev_b32_e32 v27, 29, v8
	v_lshrrev_b32_e32 v8, 30, v8
	s_delay_alu instid0(VALU_DEP_3) | instskip(NEXT) | instid1(VALU_DEP_3)
	v_alignbit_b32 v30, v29, v25, 9
	v_lshlrev_b32_e32 v27, 31, v27
	v_alignbit_b32 v29, v26, v29, 9
	s_delay_alu instid0(VALU_DEP_3) | instskip(NEXT) | instid1(VALU_DEP_2)
	v_clz_i32_u32_e32 v31, v30
	v_or_b32_e32 v29, v29, v27
	v_or_b32_e32 v27, 0x33800000, v27
	s_delay_alu instid0(VALU_DEP_3) | instskip(NEXT) | instid1(VALU_DEP_3)
	v_min_u32_e32 v31, 32, v31
	v_xor_b32_e32 v29, 1.0, v29
	s_delay_alu instid0(VALU_DEP_2) | instskip(SKIP_1) | instid1(VALU_DEP_3)
	v_sub_nc_u32_e32 v32, 31, v31
	v_add_lshl_u32 v26, v31, v26, 23
	v_mul_f32_e32 v31, 0x3fc90fda, v29
	s_delay_alu instid0(VALU_DEP_3) | instskip(NEXT) | instid1(VALU_DEP_3)
	v_alignbit_b32 v25, v30, v25, v32
	v_sub_nc_u32_e32 v26, v27, v26
	s_delay_alu instid0(VALU_DEP_3) | instskip(NEXT) | instid1(VALU_DEP_3)
	v_fma_f32 v27, 0x3fc90fda, v29, -v31
	v_lshrrev_b32_e32 v25, 9, v25
	s_delay_alu instid0(VALU_DEP_2) | instskip(NEXT) | instid1(VALU_DEP_2)
	v_fmac_f32_e32 v27, 0x33a22168, v29
	v_or_b32_e32 v25, v26, v25
	s_delay_alu instid0(VALU_DEP_1) | instskip(NEXT) | instid1(VALU_DEP_1)
	v_fmac_f32_e32 v27, 0x3fc90fda, v25
	v_dual_add_f32 v26, v31, v27 :: v_dual_add_nc_u32 v27, v28, v8
.LBB151_87:                             ;   in Loop: Header=BB151_73 Depth=1
	s_and_not1_saveexec_b32 s0, s12
; %bb.88:                               ;   in Loop: Header=BB151_73 Depth=1
	v_mul_f32_e64 v8, 0x3f22f983, |v23|
	s_delay_alu instid0(VALU_DEP_1) | instskip(NEXT) | instid1(VALU_DEP_1)
	v_rndne_f32_e32 v8, v8
	v_fma_f32 v26, 0xbfc90fda, v8, |v23|
	v_cvt_i32_f32_e32 v27, v8
	s_delay_alu instid0(VALU_DEP_2) | instskip(NEXT) | instid1(VALU_DEP_1)
	v_fmac_f32_e32 v26, 0xb3a22168, v8
	v_fmac_f32_e32 v26, 0xa7c234c4, v8
; %bb.89:                               ;   in Loop: Header=BB151_73 Depth=1
	s_or_b32 exec_lo, exec_lo, s0
	v_and_b32_e32 v25, 0x7fffffff, v7
	v_cmp_ngt_f32_e64 s12, 0x48000000, |v7|
                                        ; implicit-def: $vgpr29
                                        ; implicit-def: $vgpr28
	s_delay_alu instid0(VALU_DEP_1) | instskip(NEXT) | instid1(SALU_CYCLE_1)
	s_and_saveexec_b32 s0, s12
	s_xor_b32 s13, exec_lo, s0
	s_cbranch_execz .LBB151_91
; %bb.90:                               ;   in Loop: Header=BB151_73 Depth=1
	v_lshrrev_b32_e32 v33, 23, v25
	v_and_or_b32 v36, v25, s6, 0x800000
	s_delay_alu instid0(VALU_DEP_2) | instskip(NEXT) | instid1(VALU_DEP_2)
	v_add_nc_u32_e32 v34, 0xffffff88, v33
	v_mad_u64_u32 v[28:29], null, 0xfe5163ab, v36, 0
	s_delay_alu instid0(VALU_DEP_2) | instskip(SKIP_1) | instid1(VALU_DEP_1)
	v_cmp_lt_u32_e32 vcc_lo, 63, v34
	v_cndmask_b32_e64 v35, 0, 0xffffffc0, vcc_lo
	v_dual_mov_b32 v8, v29 :: v_dual_add_nc_u32 v35, v35, v34
	s_delay_alu instid0(VALU_DEP_1) | instskip(NEXT) | instid1(VALU_DEP_2)
	v_mad_u64_u32 v[29:30], null, 0x3c439041, v36, v[8:9]
	v_cmp_lt_u32_e64 s0, 31, v35
	s_delay_alu instid0(VALU_DEP_1) | instskip(NEXT) | instid1(VALU_DEP_1)
	v_cndmask_b32_e64 v37, 0, 0xffffffe0, s0
	v_dual_mov_b32 v8, v30 :: v_dual_add_nc_u32 v37, v37, v35
	s_delay_alu instid0(VALU_DEP_1) | instskip(NEXT) | instid1(VALU_DEP_2)
	v_mad_u64_u32 v[30:31], null, 0xdb629599, v36, v[8:9]
	v_cmp_lt_u32_e64 s1, 31, v37
	s_delay_alu instid0(VALU_DEP_2) | instskip(NEXT) | instid1(VALU_DEP_3)
	v_mov_b32_e32 v8, v31
	v_cndmask_b32_e32 v28, v30, v28, vcc_lo
	s_delay_alu instid0(VALU_DEP_2) | instskip(NEXT) | instid1(VALU_DEP_1)
	v_mad_u64_u32 v[31:32], null, 0xf534ddc0, v36, v[8:9]
	v_dual_mov_b32 v8, v32 :: v_dual_cndmask_b32 v29, v31, v29
	s_delay_alu instid0(VALU_DEP_1) | instskip(NEXT) | instid1(VALU_DEP_2)
	v_mad_u64_u32 v[32:33], null, 0xfc2757d1, v36, v[8:9]
	v_cndmask_b32_e64 v28, v29, v28, s0
	s_delay_alu instid0(VALU_DEP_2) | instskip(NEXT) | instid1(VALU_DEP_1)
	v_mov_b32_e32 v8, v33
	v_mad_u64_u32 v[33:34], null, 0x4e441529, v36, v[8:9]
	s_delay_alu instid0(VALU_DEP_1) | instskip(NEXT) | instid1(VALU_DEP_1)
	v_mov_b32_e32 v8, v34
	v_mad_u64_u32 v[34:35], null, 0xa2f9836e, v36, v[8:9]
	v_cndmask_b32_e64 v8, 0, 0xffffffe0, s1
	s_delay_alu instid0(VALU_DEP_4) | instskip(NEXT) | instid1(VALU_DEP_2)
	v_cndmask_b32_e32 v36, v33, v31, vcc_lo
	v_add_nc_u32_e32 v8, v8, v37
	s_delay_alu instid0(VALU_DEP_4) | instskip(SKIP_1) | instid1(VALU_DEP_3)
	v_dual_cndmask_b32 v34, v34, v32 :: v_dual_cndmask_b32 v33, v35, v33
	v_cndmask_b32_e32 v32, v32, v30, vcc_lo
	v_sub_nc_u32_e32 v35, 32, v8
	s_delay_alu instid0(VALU_DEP_3) | instskip(NEXT) | instid1(VALU_DEP_4)
	v_cndmask_b32_e64 v31, v34, v36, s0
	v_cndmask_b32_e64 v33, v33, v34, s0
	s_delay_alu instid0(VALU_DEP_4) | instskip(SKIP_2) | instid1(VALU_DEP_4)
	v_cndmask_b32_e64 v34, v36, v32, s0
	v_cndmask_b32_e64 v32, v32, v29, s0
	v_cmp_eq_u32_e64 s2, 0, v8
	v_cndmask_b32_e64 v33, v33, v31, s1
	s_delay_alu instid0(VALU_DEP_4) | instskip(NEXT) | instid1(VALU_DEP_4)
	v_cndmask_b32_e64 v31, v31, v34, s1
	v_cndmask_b32_e64 v34, v34, v32, s1
	;; [unrolled: 1-line block ×3, first 2 shown]
	s_delay_alu instid0(VALU_DEP_3) | instskip(NEXT) | instid1(VALU_DEP_3)
	v_alignbit_b32 v36, v33, v31, v35
	v_alignbit_b32 v37, v31, v34, v35
	s_delay_alu instid0(VALU_DEP_3) | instskip(NEXT) | instid1(VALU_DEP_3)
	v_alignbit_b32 v35, v34, v28, v35
	v_cndmask_b32_e64 v8, v36, v33, s2
	s_delay_alu instid0(VALU_DEP_3) | instskip(NEXT) | instid1(VALU_DEP_3)
	v_cndmask_b32_e64 v30, v37, v31, s2
	v_cndmask_b32_e64 v34, v35, v34, s2
	s_delay_alu instid0(VALU_DEP_3) | instskip(NEXT) | instid1(VALU_DEP_3)
	v_bfe_u32 v31, v8, 29, 1
	v_alignbit_b32 v29, v8, v30, 30
	s_delay_alu instid0(VALU_DEP_3) | instskip(SKIP_1) | instid1(VALU_DEP_4)
	v_alignbit_b32 v30, v30, v34, 30
	v_alignbit_b32 v28, v34, v28, 30
	v_sub_nc_u32_e32 v33, 0, v31
	s_delay_alu instid0(VALU_DEP_1) | instskip(SKIP_3) | instid1(VALU_DEP_4)
	v_xor_b32_e32 v32, v29, v33
	v_cmp_ne_u32_e32 vcc_lo, v29, v33
	v_xor_b32_e32 v30, v30, v33
	v_xor_b32_e32 v28, v28, v33
	v_clz_i32_u32_e32 v36, v32
	s_delay_alu instid0(VALU_DEP_1) | instskip(NEXT) | instid1(VALU_DEP_1)
	v_add_nc_u32_e32 v35, 1, v36
	v_cndmask_b32_e32 v29, 33, v35, vcc_lo
	s_delay_alu instid0(VALU_DEP_1) | instskip(NEXT) | instid1(VALU_DEP_1)
	v_sub_nc_u32_e32 v34, 32, v29
	v_alignbit_b32 v32, v32, v30, v34
	v_alignbit_b32 v28, v30, v28, v34
	v_lshrrev_b32_e32 v30, 29, v8
	v_lshrrev_b32_e32 v8, 30, v8
	s_delay_alu instid0(VALU_DEP_3) | instskip(NEXT) | instid1(VALU_DEP_3)
	v_alignbit_b32 v33, v32, v28, 9
	v_lshlrev_b32_e32 v30, 31, v30
	v_alignbit_b32 v32, v29, v32, 9
	s_delay_alu instid0(VALU_DEP_3) | instskip(NEXT) | instid1(VALU_DEP_2)
	v_clz_i32_u32_e32 v34, v33
	v_or_b32_e32 v32, v32, v30
	v_or_b32_e32 v30, 0x33800000, v30
	s_delay_alu instid0(VALU_DEP_3) | instskip(NEXT) | instid1(VALU_DEP_3)
	v_min_u32_e32 v34, 32, v34
	v_xor_b32_e32 v32, 1.0, v32
	s_delay_alu instid0(VALU_DEP_2) | instskip(SKIP_1) | instid1(VALU_DEP_3)
	v_sub_nc_u32_e32 v35, 31, v34
	v_add_lshl_u32 v29, v34, v29, 23
	v_mul_f32_e32 v34, 0x3fc90fda, v32
	s_delay_alu instid0(VALU_DEP_3) | instskip(NEXT) | instid1(VALU_DEP_3)
	v_alignbit_b32 v28, v33, v28, v35
	v_sub_nc_u32_e32 v29, v30, v29
	s_delay_alu instid0(VALU_DEP_3) | instskip(NEXT) | instid1(VALU_DEP_3)
	v_fma_f32 v30, 0x3fc90fda, v32, -v34
	v_lshrrev_b32_e32 v28, 9, v28
	s_delay_alu instid0(VALU_DEP_2) | instskip(NEXT) | instid1(VALU_DEP_2)
	v_fmac_f32_e32 v30, 0x33a22168, v32
	v_or_b32_e32 v28, v29, v28
	v_add_nc_u32_e32 v29, v31, v8
	s_delay_alu instid0(VALU_DEP_2) | instskip(NEXT) | instid1(VALU_DEP_1)
	v_fmac_f32_e32 v30, 0x3fc90fda, v28
	v_add_f32_e32 v28, v34, v30
	s_and_not1_saveexec_b32 s0, s13
	s_branch .LBB151_92
.LBB151_91:                             ;   in Loop: Header=BB151_73 Depth=1
	s_and_not1_saveexec_b32 s0, s13
.LBB151_92:                             ;   in Loop: Header=BB151_73 Depth=1
	v_mul_f32_e64 v8, 0x3f22f983, |v7|
	s_delay_alu instid0(VALU_DEP_1) | instskip(NEXT) | instid1(VALU_DEP_1)
	v_rndne_f32_e32 v8, v8
	v_fma_f32 v28, 0xbfc90fda, v8, |v7|
	v_cvt_i32_f32_e32 v29, v8
	s_delay_alu instid0(VALU_DEP_2) | instskip(NEXT) | instid1(VALU_DEP_1)
	v_fmac_f32_e32 v28, 0xb3a22168, v8
	v_fmac_f32_e32 v28, 0xa7c234c4, v8
; %bb.93:                               ;   in Loop: Header=BB151_73 Depth=1
	s_or_b32 exec_lo, exec_lo, s0
                                        ; implicit-def: $vgpr31
                                        ; implicit-def: $vgpr30
	s_and_saveexec_b32 s0, s12
	s_delay_alu instid0(SALU_CYCLE_1)
	s_xor_b32 s12, exec_lo, s0
	s_cbranch_execz .LBB151_95
; %bb.94:                               ;   in Loop: Header=BB151_73 Depth=1
	v_lshrrev_b32_e32 v35, 23, v25
	v_and_or_b32 v38, v25, s6, 0x800000
	s_delay_alu instid0(VALU_DEP_2) | instskip(NEXT) | instid1(VALU_DEP_2)
	v_add_nc_u32_e32 v36, 0xffffff88, v35
	v_mad_u64_u32 v[30:31], null, 0xfe5163ab, v38, 0
	s_delay_alu instid0(VALU_DEP_2) | instskip(SKIP_1) | instid1(VALU_DEP_1)
	v_cmp_lt_u32_e32 vcc_lo, 63, v36
	v_cndmask_b32_e64 v37, 0, 0xffffffc0, vcc_lo
	v_dual_mov_b32 v8, v31 :: v_dual_add_nc_u32 v37, v37, v36
	s_delay_alu instid0(VALU_DEP_1) | instskip(NEXT) | instid1(VALU_DEP_2)
	v_mad_u64_u32 v[31:32], null, 0x3c439041, v38, v[8:9]
	v_cmp_lt_u32_e64 s0, 31, v37
	s_delay_alu instid0(VALU_DEP_1) | instskip(NEXT) | instid1(VALU_DEP_1)
	v_cndmask_b32_e64 v39, 0, 0xffffffe0, s0
	v_dual_mov_b32 v8, v32 :: v_dual_add_nc_u32 v39, v39, v37
	s_delay_alu instid0(VALU_DEP_1) | instskip(NEXT) | instid1(VALU_DEP_2)
	v_mad_u64_u32 v[32:33], null, 0xdb629599, v38, v[8:9]
	v_cmp_lt_u32_e64 s1, 31, v39
	s_delay_alu instid0(VALU_DEP_2) | instskip(NEXT) | instid1(VALU_DEP_3)
	v_mov_b32_e32 v8, v33
	v_cndmask_b32_e32 v30, v32, v30, vcc_lo
	s_delay_alu instid0(VALU_DEP_2) | instskip(NEXT) | instid1(VALU_DEP_1)
	v_mad_u64_u32 v[33:34], null, 0xf534ddc0, v38, v[8:9]
	v_dual_mov_b32 v8, v34 :: v_dual_cndmask_b32 v31, v33, v31
	s_delay_alu instid0(VALU_DEP_1) | instskip(NEXT) | instid1(VALU_DEP_2)
	v_mad_u64_u32 v[34:35], null, 0xfc2757d1, v38, v[8:9]
	v_cndmask_b32_e64 v30, v31, v30, s0
	s_delay_alu instid0(VALU_DEP_2) | instskip(NEXT) | instid1(VALU_DEP_1)
	v_mov_b32_e32 v8, v35
	v_mad_u64_u32 v[35:36], null, 0x4e441529, v38, v[8:9]
	s_delay_alu instid0(VALU_DEP_1) | instskip(NEXT) | instid1(VALU_DEP_1)
	v_mov_b32_e32 v8, v36
	v_mad_u64_u32 v[36:37], null, 0xa2f9836e, v38, v[8:9]
	v_cndmask_b32_e64 v8, 0, 0xffffffe0, s1
	s_delay_alu instid0(VALU_DEP_4) | instskip(NEXT) | instid1(VALU_DEP_2)
	v_cndmask_b32_e32 v38, v35, v33, vcc_lo
	v_add_nc_u32_e32 v8, v8, v39
	s_delay_alu instid0(VALU_DEP_4) | instskip(SKIP_1) | instid1(VALU_DEP_3)
	v_dual_cndmask_b32 v36, v36, v34 :: v_dual_cndmask_b32 v35, v37, v35
	v_cndmask_b32_e32 v34, v34, v32, vcc_lo
	v_sub_nc_u32_e32 v37, 32, v8
	s_delay_alu instid0(VALU_DEP_3) | instskip(NEXT) | instid1(VALU_DEP_4)
	v_cndmask_b32_e64 v33, v36, v38, s0
	v_cndmask_b32_e64 v35, v35, v36, s0
	s_delay_alu instid0(VALU_DEP_4) | instskip(SKIP_2) | instid1(VALU_DEP_4)
	v_cndmask_b32_e64 v36, v38, v34, s0
	v_cndmask_b32_e64 v34, v34, v31, s0
	v_cmp_eq_u32_e64 s2, 0, v8
	v_cndmask_b32_e64 v35, v35, v33, s1
	s_delay_alu instid0(VALU_DEP_4) | instskip(NEXT) | instid1(VALU_DEP_4)
	v_cndmask_b32_e64 v33, v33, v36, s1
	v_cndmask_b32_e64 v36, v36, v34, s1
	;; [unrolled: 1-line block ×3, first 2 shown]
	s_delay_alu instid0(VALU_DEP_3) | instskip(NEXT) | instid1(VALU_DEP_3)
	v_alignbit_b32 v38, v35, v33, v37
	v_alignbit_b32 v39, v33, v36, v37
	s_delay_alu instid0(VALU_DEP_3) | instskip(NEXT) | instid1(VALU_DEP_3)
	v_alignbit_b32 v37, v36, v30, v37
	v_cndmask_b32_e64 v8, v38, v35, s2
	s_delay_alu instid0(VALU_DEP_3) | instskip(NEXT) | instid1(VALU_DEP_3)
	v_cndmask_b32_e64 v32, v39, v33, s2
	v_cndmask_b32_e64 v36, v37, v36, s2
	s_delay_alu instid0(VALU_DEP_3) | instskip(NEXT) | instid1(VALU_DEP_3)
	v_bfe_u32 v33, v8, 29, 1
	v_alignbit_b32 v31, v8, v32, 30
	s_delay_alu instid0(VALU_DEP_3) | instskip(SKIP_1) | instid1(VALU_DEP_4)
	v_alignbit_b32 v32, v32, v36, 30
	v_alignbit_b32 v30, v36, v30, 30
	v_sub_nc_u32_e32 v35, 0, v33
	s_delay_alu instid0(VALU_DEP_1) | instskip(SKIP_3) | instid1(VALU_DEP_4)
	v_xor_b32_e32 v34, v31, v35
	v_cmp_ne_u32_e32 vcc_lo, v31, v35
	v_xor_b32_e32 v32, v32, v35
	v_xor_b32_e32 v30, v30, v35
	v_clz_i32_u32_e32 v38, v34
	s_delay_alu instid0(VALU_DEP_1) | instskip(NEXT) | instid1(VALU_DEP_1)
	v_add_nc_u32_e32 v37, 1, v38
	v_cndmask_b32_e32 v31, 33, v37, vcc_lo
	s_delay_alu instid0(VALU_DEP_1) | instskip(NEXT) | instid1(VALU_DEP_1)
	v_sub_nc_u32_e32 v36, 32, v31
	v_alignbit_b32 v34, v34, v32, v36
	v_alignbit_b32 v30, v32, v30, v36
	v_lshrrev_b32_e32 v32, 29, v8
	v_lshrrev_b32_e32 v8, 30, v8
	s_delay_alu instid0(VALU_DEP_3) | instskip(NEXT) | instid1(VALU_DEP_3)
	v_alignbit_b32 v35, v34, v30, 9
	v_lshlrev_b32_e32 v32, 31, v32
	v_alignbit_b32 v34, v31, v34, 9
	s_delay_alu instid0(VALU_DEP_3) | instskip(NEXT) | instid1(VALU_DEP_2)
	v_clz_i32_u32_e32 v36, v35
	v_or_b32_e32 v34, v34, v32
	v_or_b32_e32 v32, 0x33800000, v32
	s_delay_alu instid0(VALU_DEP_3) | instskip(NEXT) | instid1(VALU_DEP_3)
	v_min_u32_e32 v36, 32, v36
	v_xor_b32_e32 v34, 1.0, v34
	s_delay_alu instid0(VALU_DEP_2) | instskip(SKIP_1) | instid1(VALU_DEP_3)
	v_sub_nc_u32_e32 v37, 31, v36
	v_add_lshl_u32 v31, v36, v31, 23
	v_mul_f32_e32 v36, 0x3fc90fda, v34
	s_delay_alu instid0(VALU_DEP_3) | instskip(NEXT) | instid1(VALU_DEP_3)
	v_alignbit_b32 v30, v35, v30, v37
	v_sub_nc_u32_e32 v31, v32, v31
	s_delay_alu instid0(VALU_DEP_3) | instskip(NEXT) | instid1(VALU_DEP_3)
	v_fma_f32 v32, 0x3fc90fda, v34, -v36
	v_lshrrev_b32_e32 v30, 9, v30
	s_delay_alu instid0(VALU_DEP_2) | instskip(NEXT) | instid1(VALU_DEP_2)
	v_fmac_f32_e32 v32, 0x33a22168, v34
	v_or_b32_e32 v30, v31, v30
	s_delay_alu instid0(VALU_DEP_1) | instskip(NEXT) | instid1(VALU_DEP_1)
	v_dual_fmac_f32 v32, 0x3fc90fda, v30 :: v_dual_add_nc_u32 v31, v33, v8
	v_add_f32_e32 v30, v36, v32
	s_and_not1_saveexec_b32 s0, s12
	s_cbranch_execnz .LBB151_96
	s_branch .LBB151_97
.LBB151_95:                             ;   in Loop: Header=BB151_73 Depth=1
	s_and_not1_saveexec_b32 s0, s12
.LBB151_96:                             ;   in Loop: Header=BB151_73 Depth=1
	v_mul_f32_e64 v8, 0x3f22f983, |v7|
	s_delay_alu instid0(VALU_DEP_1) | instskip(NEXT) | instid1(VALU_DEP_1)
	v_rndne_f32_e32 v8, v8
	v_fma_f32 v30, 0xbfc90fda, v8, |v7|
	v_cvt_i32_f32_e32 v31, v8
	s_delay_alu instid0(VALU_DEP_2) | instskip(NEXT) | instid1(VALU_DEP_1)
	v_fmac_f32_e32 v30, 0xb3a22168, v8
	v_fmac_f32_e32 v30, 0xa7c234c4, v8
.LBB151_97:                             ;   in Loop: Header=BB151_73 Depth=1
	s_or_b32 exec_lo, exec_lo, s0
	s_waitcnt vmcnt(0)
	v_mul_f32_e32 v32, 0.5, v1
                                        ; implicit-def: $vgpr41
                                        ; implicit-def: $vgpr36
	s_mov_b32 s1, exec_lo
	s_delay_alu instid0(VALU_DEP_1)
	v_and_b32_e32 v35, 0x7fffffff, v32
	v_cmpx_ngt_f32_e64 0x48000000, |v32|
	s_xor_b32 s12, exec_lo, s1
	s_cbranch_execz .LBB151_99
; %bb.98:                               ;   in Loop: Header=BB151_73 Depth=1
	s_delay_alu instid0(VALU_DEP_2) | instskip(NEXT) | instid1(VALU_DEP_1)
	v_and_or_b32 v43, v35, s6, 0x800000
	v_mad_u64_u32 v[33:34], null, 0xfe5163ab, v43, 0
	s_delay_alu instid0(VALU_DEP_1) | instskip(SKIP_1) | instid1(VALU_DEP_2)
	v_mov_b32_e32 v8, v34
	v_lshrrev_b32_e32 v34, 23, v35
	v_mad_u64_u32 v[36:37], null, 0x3c439041, v43, v[8:9]
	s_delay_alu instid0(VALU_DEP_2) | instskip(NEXT) | instid1(VALU_DEP_1)
	v_add_nc_u32_e32 v34, 0xffffff88, v34
	v_cmp_lt_u32_e32 vcc_lo, 63, v34
	s_delay_alu instid0(VALU_DEP_3) | instskip(SKIP_1) | instid1(VALU_DEP_2)
	v_mov_b32_e32 v8, v37
	v_cndmask_b32_e64 v41, 0, 0xffffffc0, vcc_lo
	v_mad_u64_u32 v[37:38], null, 0xdb629599, v43, v[8:9]
	s_delay_alu instid0(VALU_DEP_2) | instskip(NEXT) | instid1(VALU_DEP_2)
	v_add_nc_u32_e32 v34, v41, v34
	v_mov_b32_e32 v8, v38
	s_delay_alu instid0(VALU_DEP_2) | instskip(NEXT) | instid1(VALU_DEP_4)
	v_cmp_lt_u32_e64 s0, 31, v34
	v_cndmask_b32_e32 v33, v37, v33, vcc_lo
	s_delay_alu instid0(VALU_DEP_3) | instskip(NEXT) | instid1(VALU_DEP_3)
	v_mad_u64_u32 v[38:39], null, 0xf534ddc0, v43, v[8:9]
	v_cndmask_b32_e64 v42, 0, 0xffffffe0, s0
	s_delay_alu instid0(VALU_DEP_1) | instskip(NEXT) | instid1(VALU_DEP_3)
	v_add_nc_u32_e32 v34, v42, v34
	v_mov_b32_e32 v8, v39
	s_delay_alu instid0(VALU_DEP_2) | instskip(NEXT) | instid1(VALU_DEP_2)
	v_cmp_lt_u32_e64 s1, 31, v34
	v_mad_u64_u32 v[39:40], null, 0xfc2757d1, v43, v[8:9]
	s_delay_alu instid0(VALU_DEP_1) | instskip(NEXT) | instid1(VALU_DEP_1)
	v_mov_b32_e32 v8, v40
	v_mad_u64_u32 v[40:41], null, 0x4e441529, v43, v[8:9]
	s_delay_alu instid0(VALU_DEP_1) | instskip(NEXT) | instid1(VALU_DEP_1)
	v_mov_b32_e32 v8, v41
	v_mad_u64_u32 v[41:42], null, 0xa2f9836e, v43, v[8:9]
	v_cndmask_b32_e64 v8, 0, 0xffffffe0, s1
	s_delay_alu instid0(VALU_DEP_4) | instskip(NEXT) | instid1(VALU_DEP_2)
	v_cndmask_b32_e32 v43, v40, v38, vcc_lo
	v_dual_cndmask_b32 v41, v41, v39 :: v_dual_add_nc_u32 v8, v8, v34
	s_delay_alu instid0(VALU_DEP_4) | instskip(SKIP_1) | instid1(VALU_DEP_3)
	v_dual_cndmask_b32 v40, v42, v40 :: v_dual_cndmask_b32 v39, v39, v37
	v_cndmask_b32_e32 v34, v38, v36, vcc_lo
	v_cmp_eq_u32_e64 s2, 0, v8
	s_delay_alu instid0(VALU_DEP_4) | instskip(NEXT) | instid1(VALU_DEP_4)
	v_cndmask_b32_e64 v36, v41, v43, s0
	v_cndmask_b32_e64 v38, v40, v41, s0
	;; [unrolled: 1-line block ×3, first 2 shown]
	v_sub_nc_u32_e32 v41, 32, v8
	v_cndmask_b32_e64 v39, v39, v34, s0
	v_cndmask_b32_e64 v33, v34, v33, s0
	;; [unrolled: 1-line block ×4, first 2 shown]
	s_delay_alu instid0(VALU_DEP_4) | instskip(NEXT) | instid1(VALU_DEP_4)
	v_cndmask_b32_e64 v40, v40, v39, s1
	v_cndmask_b32_e64 v33, v39, v33, s1
	s_delay_alu instid0(VALU_DEP_3) | instskip(NEXT) | instid1(VALU_DEP_3)
	v_alignbit_b32 v42, v38, v36, v41
	v_alignbit_b32 v43, v36, v40, v41
	s_delay_alu instid0(VALU_DEP_3) | instskip(NEXT) | instid1(VALU_DEP_3)
	v_alignbit_b32 v41, v40, v33, v41
	v_cndmask_b32_e64 v8, v42, v38, s2
	s_delay_alu instid0(VALU_DEP_3) | instskip(NEXT) | instid1(VALU_DEP_3)
	v_cndmask_b32_e64 v36, v43, v36, s2
	v_cndmask_b32_e64 v40, v41, v40, s2
	s_delay_alu instid0(VALU_DEP_3) | instskip(NEXT) | instid1(VALU_DEP_3)
	v_bfe_u32 v37, v8, 29, 1
	v_alignbit_b32 v34, v8, v36, 30
	s_delay_alu instid0(VALU_DEP_3) | instskip(SKIP_1) | instid1(VALU_DEP_4)
	v_alignbit_b32 v36, v36, v40, 30
	v_alignbit_b32 v33, v40, v33, 30
	v_sub_nc_u32_e32 v38, 0, v37
	s_delay_alu instid0(VALU_DEP_1) | instskip(SKIP_3) | instid1(VALU_DEP_4)
	v_xor_b32_e32 v39, v34, v38
	v_cmp_ne_u32_e32 vcc_lo, v34, v38
	v_xor_b32_e32 v36, v36, v38
	v_xor_b32_e32 v33, v33, v38
	v_clz_i32_u32_e32 v42, v39
	s_delay_alu instid0(VALU_DEP_1) | instskip(NEXT) | instid1(VALU_DEP_1)
	v_add_nc_u32_e32 v41, 1, v42
	v_cndmask_b32_e32 v34, 33, v41, vcc_lo
	s_delay_alu instid0(VALU_DEP_1) | instskip(NEXT) | instid1(VALU_DEP_1)
	v_sub_nc_u32_e32 v40, 32, v34
	v_alignbit_b32 v38, v39, v36, v40
	v_alignbit_b32 v33, v36, v33, v40
	v_lshrrev_b32_e32 v36, 29, v8
	v_lshrrev_b32_e32 v8, 30, v8
	s_delay_alu instid0(VALU_DEP_3) | instskip(NEXT) | instid1(VALU_DEP_3)
	v_alignbit_b32 v39, v38, v33, 9
	v_lshlrev_b32_e32 v36, 31, v36
	s_delay_alu instid0(VALU_DEP_2) | instskip(NEXT) | instid1(VALU_DEP_1)
	v_clz_i32_u32_e32 v40, v39
	v_min_u32_e32 v40, 32, v40
	s_delay_alu instid0(VALU_DEP_1) | instskip(NEXT) | instid1(VALU_DEP_1)
	v_sub_nc_u32_e32 v41, 31, v40
	v_alignbit_b32 v33, v39, v33, v41
	v_add_nc_u32_e32 v41, v37, v8
	v_alignbit_b32 v38, v34, v38, 9
	v_add_lshl_u32 v34, v40, v34, 23
	s_delay_alu instid0(VALU_DEP_4) | instskip(NEXT) | instid1(VALU_DEP_3)
	v_lshrrev_b32_e32 v33, 9, v33
	v_or_b32_e32 v38, v38, v36
	v_or_b32_e32 v36, 0x33800000, v36
	s_delay_alu instid0(VALU_DEP_2) | instskip(NEXT) | instid1(VALU_DEP_2)
	v_xor_b32_e32 v38, 1.0, v38
	v_sub_nc_u32_e32 v34, v36, v34
	s_delay_alu instid0(VALU_DEP_2) | instskip(NEXT) | instid1(VALU_DEP_2)
	v_mul_f32_e32 v40, 0x3fc90fda, v38
	v_or_b32_e32 v33, v34, v33
	s_delay_alu instid0(VALU_DEP_2) | instskip(NEXT) | instid1(VALU_DEP_1)
	v_fma_f32 v36, 0x3fc90fda, v38, -v40
	v_fmac_f32_e32 v36, 0x33a22168, v38
	s_delay_alu instid0(VALU_DEP_1) | instskip(NEXT) | instid1(VALU_DEP_1)
	v_fmac_f32_e32 v36, 0x3fc90fda, v33
	v_add_f32_e32 v36, v40, v36
.LBB151_99:                             ;   in Loop: Header=BB151_73 Depth=1
	s_and_not1_saveexec_b32 s0, s12
; %bb.100:                              ;   in Loop: Header=BB151_73 Depth=1
	v_mul_f32_e64 v8, 0x3f22f983, |v32|
	s_delay_alu instid0(VALU_DEP_1) | instskip(NEXT) | instid1(VALU_DEP_1)
	v_rndne_f32_e32 v8, v8
	v_fma_f32 v36, 0xbfc90fda, v8, |v32|
	v_cvt_i32_f32_e32 v41, v8
	s_delay_alu instid0(VALU_DEP_2) | instskip(NEXT) | instid1(VALU_DEP_1)
	v_fmac_f32_e32 v36, 0xb3a22168, v8
	v_fmac_f32_e32 v36, 0xa7c234c4, v8
; %bb.101:                              ;   in Loop: Header=BB151_73 Depth=1
	s_or_b32 exec_lo, exec_lo, s0
	v_and_b32_e32 v37, 0x7fffffff, v1
	v_cmp_ngt_f32_e64 s12, 0x48000000, |v1|
                                        ; implicit-def: $vgpr45
                                        ; implicit-def: $vgpr42
	s_delay_alu instid0(VALU_DEP_1) | instskip(NEXT) | instid1(SALU_CYCLE_1)
	s_and_saveexec_b32 s0, s12
	s_xor_b32 s13, exec_lo, s0
	s_cbranch_execz .LBB151_103
; %bb.102:                              ;   in Loop: Header=BB151_73 Depth=1
	v_and_or_b32 v47, v37, s6, 0x800000
	s_delay_alu instid0(VALU_DEP_1) | instskip(NEXT) | instid1(VALU_DEP_1)
	v_mad_u64_u32 v[33:34], null, 0xfe5163ab, v47, 0
	v_mov_b32_e32 v8, v34
	v_lshrrev_b32_e32 v34, 23, v37
	s_delay_alu instid0(VALU_DEP_2) | instskip(NEXT) | instid1(VALU_DEP_1)
	v_mad_u64_u32 v[38:39], null, 0x3c439041, v47, v[8:9]
	v_mov_b32_e32 v8, v39
	s_delay_alu instid0(VALU_DEP_1) | instskip(NEXT) | instid1(VALU_DEP_4)
	v_mad_u64_u32 v[39:40], null, 0xdb629599, v47, v[8:9]
	v_add_nc_u32_e32 v34, 0xffffff88, v34
	s_delay_alu instid0(VALU_DEP_1) | instskip(NEXT) | instid1(VALU_DEP_3)
	v_cmp_lt_u32_e32 vcc_lo, 63, v34
	v_mov_b32_e32 v8, v40
	v_cndmask_b32_e64 v40, 0, 0xffffffc0, vcc_lo
	s_delay_alu instid0(VALU_DEP_2) | instskip(NEXT) | instid1(VALU_DEP_2)
	v_mad_u64_u32 v[42:43], null, 0xf534ddc0, v47, v[8:9]
	v_dual_cndmask_b32 v33, v39, v33 :: v_dual_add_nc_u32 v34, v40, v34
	s_delay_alu instid0(VALU_DEP_2) | instskip(NEXT) | instid1(VALU_DEP_2)
	v_mov_b32_e32 v8, v43
	v_cmp_lt_u32_e64 s0, 31, v34
	s_delay_alu instid0(VALU_DEP_2) | instskip(NEXT) | instid1(VALU_DEP_2)
	v_mad_u64_u32 v[43:44], null, 0xfc2757d1, v47, v[8:9]
	v_cndmask_b32_e64 v40, 0, 0xffffffe0, s0
	s_delay_alu instid0(VALU_DEP_1) | instskip(NEXT) | instid1(VALU_DEP_3)
	v_add_nc_u32_e32 v34, v40, v34
	v_mov_b32_e32 v8, v44
	s_delay_alu instid0(VALU_DEP_2) | instskip(NEXT) | instid1(VALU_DEP_2)
	v_cmp_lt_u32_e64 s1, 31, v34
	v_mad_u64_u32 v[44:45], null, 0x4e441529, v47, v[8:9]
	s_delay_alu instid0(VALU_DEP_1) | instskip(NEXT) | instid1(VALU_DEP_2)
	v_mov_b32_e32 v8, v45
	v_cndmask_b32_e32 v40, v44, v42, vcc_lo
	s_delay_alu instid0(VALU_DEP_2) | instskip(SKIP_1) | instid1(VALU_DEP_1)
	v_mad_u64_u32 v[45:46], null, 0xa2f9836e, v47, v[8:9]
	v_cndmask_b32_e64 v8, 0, 0xffffffe0, s1
	v_dual_cndmask_b32 v45, v45, v43 :: v_dual_add_nc_u32 v8, v8, v34
	s_delay_alu instid0(VALU_DEP_3) | instskip(SKIP_1) | instid1(VALU_DEP_3)
	v_dual_cndmask_b32 v44, v46, v44 :: v_dual_cndmask_b32 v43, v43, v39
	v_cndmask_b32_e32 v34, v42, v38, vcc_lo
	v_cmp_eq_u32_e64 s2, 0, v8
	s_delay_alu instid0(VALU_DEP_4) | instskip(NEXT) | instid1(VALU_DEP_4)
	v_cndmask_b32_e64 v38, v45, v40, s0
	v_cndmask_b32_e64 v42, v44, v45, s0
	;; [unrolled: 1-line block ×3, first 2 shown]
	v_sub_nc_u32_e32 v44, 32, v8
	v_cndmask_b32_e64 v43, v43, v34, s0
	v_cndmask_b32_e64 v33, v34, v33, s0
	;; [unrolled: 1-line block ×4, first 2 shown]
	s_delay_alu instid0(VALU_DEP_4) | instskip(NEXT) | instid1(VALU_DEP_4)
	v_cndmask_b32_e64 v40, v40, v43, s1
	v_cndmask_b32_e64 v33, v43, v33, s1
	s_delay_alu instid0(VALU_DEP_3) | instskip(NEXT) | instid1(VALU_DEP_3)
	v_alignbit_b32 v45, v42, v38, v44
	v_alignbit_b32 v46, v38, v40, v44
	s_delay_alu instid0(VALU_DEP_3) | instskip(NEXT) | instid1(VALU_DEP_3)
	v_alignbit_b32 v44, v40, v33, v44
	v_cndmask_b32_e64 v8, v45, v42, s2
	s_delay_alu instid0(VALU_DEP_3) | instskip(NEXT) | instid1(VALU_DEP_3)
	v_cndmask_b32_e64 v38, v46, v38, s2
	v_cndmask_b32_e64 v40, v44, v40, s2
	s_delay_alu instid0(VALU_DEP_3) | instskip(NEXT) | instid1(VALU_DEP_3)
	v_bfe_u32 v39, v8, 29, 1
	v_alignbit_b32 v34, v8, v38, 30
	s_delay_alu instid0(VALU_DEP_3) | instskip(SKIP_1) | instid1(VALU_DEP_4)
	v_alignbit_b32 v38, v38, v40, 30
	v_alignbit_b32 v33, v40, v33, 30
	v_sub_nc_u32_e32 v42, 0, v39
	s_delay_alu instid0(VALU_DEP_1) | instskip(SKIP_3) | instid1(VALU_DEP_4)
	v_xor_b32_e32 v43, v34, v42
	v_cmp_ne_u32_e32 vcc_lo, v34, v42
	v_xor_b32_e32 v38, v38, v42
	v_xor_b32_e32 v33, v33, v42
	v_clz_i32_u32_e32 v45, v43
	s_delay_alu instid0(VALU_DEP_1) | instskip(NEXT) | instid1(VALU_DEP_1)
	v_add_nc_u32_e32 v44, 1, v45
	v_cndmask_b32_e32 v34, 33, v44, vcc_lo
	s_delay_alu instid0(VALU_DEP_1) | instskip(NEXT) | instid1(VALU_DEP_1)
	v_sub_nc_u32_e32 v40, 32, v34
	v_alignbit_b32 v42, v43, v38, v40
	v_alignbit_b32 v33, v38, v33, v40
	v_lshrrev_b32_e32 v38, 29, v8
	v_lshrrev_b32_e32 v8, 30, v8
	s_delay_alu instid0(VALU_DEP_3) | instskip(NEXT) | instid1(VALU_DEP_3)
	v_alignbit_b32 v40, v42, v33, 9
	v_lshlrev_b32_e32 v38, 31, v38
	s_delay_alu instid0(VALU_DEP_3) | instskip(SKIP_1) | instid1(VALU_DEP_4)
	v_add_nc_u32_e32 v45, v39, v8
	v_alignbit_b32 v42, v34, v42, 9
	v_clz_i32_u32_e32 v43, v40
	s_delay_alu instid0(VALU_DEP_2) | instskip(SKIP_1) | instid1(VALU_DEP_3)
	v_or_b32_e32 v42, v42, v38
	v_or_b32_e32 v38, 0x33800000, v38
	v_min_u32_e32 v43, 32, v43
	s_delay_alu instid0(VALU_DEP_3) | instskip(NEXT) | instid1(VALU_DEP_2)
	v_xor_b32_e32 v42, 1.0, v42
	v_sub_nc_u32_e32 v44, 31, v43
	v_add_lshl_u32 v34, v43, v34, 23
	s_delay_alu instid0(VALU_DEP_3) | instskip(NEXT) | instid1(VALU_DEP_3)
	v_mul_f32_e32 v43, 0x3fc90fda, v42
	v_alignbit_b32 v33, v40, v33, v44
	s_delay_alu instid0(VALU_DEP_3) | instskip(NEXT) | instid1(VALU_DEP_3)
	v_sub_nc_u32_e32 v34, v38, v34
	v_fma_f32 v38, 0x3fc90fda, v42, -v43
	s_delay_alu instid0(VALU_DEP_3) | instskip(NEXT) | instid1(VALU_DEP_2)
	v_lshrrev_b32_e32 v33, 9, v33
	v_fmac_f32_e32 v38, 0x33a22168, v42
	s_delay_alu instid0(VALU_DEP_2) | instskip(NEXT) | instid1(VALU_DEP_1)
	v_or_b32_e32 v33, v34, v33
	v_fmac_f32_e32 v38, 0x3fc90fda, v33
	s_delay_alu instid0(VALU_DEP_1)
	v_add_f32_e32 v42, v43, v38
	s_and_not1_saveexec_b32 s0, s13
	s_branch .LBB151_104
.LBB151_103:                            ;   in Loop: Header=BB151_73 Depth=1
	s_and_not1_saveexec_b32 s0, s13
.LBB151_104:                            ;   in Loop: Header=BB151_73 Depth=1
	v_mul_f32_e64 v8, 0x3f22f983, |v1|
	s_delay_alu instid0(VALU_DEP_1) | instskip(NEXT) | instid1(VALU_DEP_1)
	v_rndne_f32_e32 v8, v8
	v_fma_f32 v42, 0xbfc90fda, v8, |v1|
	v_cvt_i32_f32_e32 v45, v8
	s_delay_alu instid0(VALU_DEP_2) | instskip(NEXT) | instid1(VALU_DEP_1)
	v_fmac_f32_e32 v42, 0xb3a22168, v8
	v_fmac_f32_e32 v42, 0xa7c234c4, v8
; %bb.105:                              ;   in Loop: Header=BB151_73 Depth=1
	s_or_b32 exec_lo, exec_lo, s0
                                        ; implicit-def: $vgpr47
                                        ; implicit-def: $vgpr46
	s_and_saveexec_b32 s0, s12
	s_delay_alu instid0(SALU_CYCLE_1)
	s_xor_b32 s12, exec_lo, s0
	s_cbranch_execz .LBB151_107
; %bb.106:                              ;   in Loop: Header=BB151_73 Depth=1
	v_and_or_b32 v50, v37, s6, 0x800000
	s_delay_alu instid0(VALU_DEP_1) | instskip(NEXT) | instid1(VALU_DEP_1)
	v_mad_u64_u32 v[33:34], null, 0xfe5163ab, v50, 0
	v_mov_b32_e32 v8, v34
	v_lshrrev_b32_e32 v34, 23, v37
	s_delay_alu instid0(VALU_DEP_2) | instskip(NEXT) | instid1(VALU_DEP_2)
	v_mad_u64_u32 v[38:39], null, 0x3c439041, v50, v[8:9]
	v_add_nc_u32_e32 v34, 0xffffff88, v34
	s_delay_alu instid0(VALU_DEP_1) | instskip(NEXT) | instid1(VALU_DEP_3)
	v_cmp_lt_u32_e32 vcc_lo, 63, v34
	v_mov_b32_e32 v8, v39
	s_delay_alu instid0(VALU_DEP_1) | instskip(NEXT) | instid1(VALU_DEP_1)
	v_mad_u64_u32 v[39:40], null, 0xdb629599, v50, v[8:9]
	v_dual_mov_b32 v8, v40 :: v_dual_cndmask_b32 v33, v39, v33
	v_cndmask_b32_e64 v40, 0, 0xffffffc0, vcc_lo
	s_delay_alu instid0(VALU_DEP_2) | instskip(NEXT) | instid1(VALU_DEP_2)
	v_mad_u64_u32 v[43:44], null, 0xf534ddc0, v50, v[8:9]
	v_add_nc_u32_e32 v34, v40, v34
	s_delay_alu instid0(VALU_DEP_1) | instskip(NEXT) | instid1(VALU_DEP_3)
	v_cmp_lt_u32_e64 s0, 31, v34
	v_mov_b32_e32 v8, v44
	s_delay_alu instid0(VALU_DEP_2) | instskip(NEXT) | instid1(VALU_DEP_2)
	v_cndmask_b32_e64 v40, 0, 0xffffffe0, s0
	v_mad_u64_u32 v[46:47], null, 0xfc2757d1, v50, v[8:9]
	s_delay_alu instid0(VALU_DEP_2) | instskip(NEXT) | instid1(VALU_DEP_2)
	v_add_nc_u32_e32 v34, v40, v34
	v_mov_b32_e32 v8, v47
	s_delay_alu instid0(VALU_DEP_2) | instskip(NEXT) | instid1(VALU_DEP_2)
	v_cmp_lt_u32_e64 s1, 31, v34
	v_mad_u64_u32 v[47:48], null, 0x4e441529, v50, v[8:9]
	s_delay_alu instid0(VALU_DEP_1) | instskip(NEXT) | instid1(VALU_DEP_2)
	v_mov_b32_e32 v8, v48
	v_cndmask_b32_e32 v40, v47, v43, vcc_lo
	s_delay_alu instid0(VALU_DEP_2) | instskip(SKIP_1) | instid1(VALU_DEP_1)
	v_mad_u64_u32 v[48:49], null, 0xa2f9836e, v50, v[8:9]
	v_cndmask_b32_e64 v8, 0, 0xffffffe0, s1
	v_add_nc_u32_e32 v8, v8, v34
	s_delay_alu instid0(VALU_DEP_3) | instskip(SKIP_2) | instid1(VALU_DEP_4)
	v_dual_cndmask_b32 v44, v48, v46 :: v_dual_cndmask_b32 v47, v49, v47
	v_cndmask_b32_e32 v46, v46, v39, vcc_lo
	v_cndmask_b32_e32 v34, v43, v38, vcc_lo
	v_cmp_eq_u32_e64 s2, 0, v8
	s_delay_alu instid0(VALU_DEP_4)
	v_cndmask_b32_e64 v38, v44, v40, s0
	v_cndmask_b32_e64 v43, v47, v44, s0
	;; [unrolled: 1-line block ×3, first 2 shown]
	v_sub_nc_u32_e32 v44, 32, v8
	v_cndmask_b32_e64 v46, v46, v34, s0
	v_cndmask_b32_e64 v33, v34, v33, s0
	;; [unrolled: 1-line block ×4, first 2 shown]
	s_delay_alu instid0(VALU_DEP_4) | instskip(NEXT) | instid1(VALU_DEP_4)
	v_cndmask_b32_e64 v40, v40, v46, s1
	v_cndmask_b32_e64 v33, v46, v33, s1
	s_delay_alu instid0(VALU_DEP_3) | instskip(NEXT) | instid1(VALU_DEP_3)
	v_alignbit_b32 v47, v43, v38, v44
	v_alignbit_b32 v48, v38, v40, v44
	s_delay_alu instid0(VALU_DEP_3) | instskip(NEXT) | instid1(VALU_DEP_3)
	v_alignbit_b32 v44, v40, v33, v44
	v_cndmask_b32_e64 v8, v47, v43, s2
	s_delay_alu instid0(VALU_DEP_3) | instskip(NEXT) | instid1(VALU_DEP_3)
	v_cndmask_b32_e64 v38, v48, v38, s2
	v_cndmask_b32_e64 v40, v44, v40, s2
	s_delay_alu instid0(VALU_DEP_3) | instskip(NEXT) | instid1(VALU_DEP_3)
	v_bfe_u32 v39, v8, 29, 1
	v_alignbit_b32 v34, v8, v38, 30
	s_delay_alu instid0(VALU_DEP_3) | instskip(SKIP_1) | instid1(VALU_DEP_4)
	v_alignbit_b32 v38, v38, v40, 30
	v_alignbit_b32 v33, v40, v33, 30
	v_sub_nc_u32_e32 v43, 0, v39
	s_delay_alu instid0(VALU_DEP_1) | instskip(SKIP_3) | instid1(VALU_DEP_4)
	v_xor_b32_e32 v46, v34, v43
	v_cmp_ne_u32_e32 vcc_lo, v34, v43
	v_xor_b32_e32 v38, v38, v43
	v_xor_b32_e32 v33, v33, v43
	v_clz_i32_u32_e32 v47, v46
	s_delay_alu instid0(VALU_DEP_1) | instskip(NEXT) | instid1(VALU_DEP_1)
	v_add_nc_u32_e32 v44, 1, v47
	v_cndmask_b32_e32 v34, 33, v44, vcc_lo
	s_delay_alu instid0(VALU_DEP_1) | instskip(NEXT) | instid1(VALU_DEP_1)
	v_sub_nc_u32_e32 v40, 32, v34
	v_alignbit_b32 v43, v46, v38, v40
	v_alignbit_b32 v33, v38, v33, v40
	v_lshrrev_b32_e32 v38, 29, v8
	v_lshrrev_b32_e32 v8, 30, v8
	s_delay_alu instid0(VALU_DEP_3) | instskip(NEXT) | instid1(VALU_DEP_3)
	v_alignbit_b32 v40, v43, v33, 9
	v_lshlrev_b32_e32 v38, 31, v38
	s_delay_alu instid0(VALU_DEP_3) | instskip(SKIP_1) | instid1(VALU_DEP_4)
	v_add_nc_u32_e32 v47, v39, v8
	v_alignbit_b32 v43, v34, v43, 9
	v_clz_i32_u32_e32 v44, v40
	s_delay_alu instid0(VALU_DEP_2) | instskip(SKIP_1) | instid1(VALU_DEP_3)
	v_or_b32_e32 v43, v43, v38
	v_or_b32_e32 v38, 0x33800000, v38
	v_min_u32_e32 v44, 32, v44
	s_delay_alu instid0(VALU_DEP_3) | instskip(NEXT) | instid1(VALU_DEP_2)
	v_xor_b32_e32 v43, 1.0, v43
	v_sub_nc_u32_e32 v46, 31, v44
	v_add_lshl_u32 v34, v44, v34, 23
	s_delay_alu instid0(VALU_DEP_3) | instskip(NEXT) | instid1(VALU_DEP_3)
	v_mul_f32_e32 v44, 0x3fc90fda, v43
	v_alignbit_b32 v33, v40, v33, v46
	s_delay_alu instid0(VALU_DEP_3) | instskip(NEXT) | instid1(VALU_DEP_3)
	v_sub_nc_u32_e32 v34, v38, v34
	v_fma_f32 v38, 0x3fc90fda, v43, -v44
	s_delay_alu instid0(VALU_DEP_3) | instskip(NEXT) | instid1(VALU_DEP_2)
	v_lshrrev_b32_e32 v33, 9, v33
	v_fmac_f32_e32 v38, 0x33a22168, v43
	s_delay_alu instid0(VALU_DEP_2) | instskip(NEXT) | instid1(VALU_DEP_1)
	v_or_b32_e32 v33, v34, v33
	v_fmac_f32_e32 v38, 0x3fc90fda, v33
	s_delay_alu instid0(VALU_DEP_1)
	v_add_f32_e32 v46, v44, v38
	s_and_not1_saveexec_b32 s0, s12
	s_cbranch_execnz .LBB151_108
	s_branch .LBB151_109
.LBB151_107:                            ;   in Loop: Header=BB151_73 Depth=1
	s_and_not1_saveexec_b32 s0, s12
.LBB151_108:                            ;   in Loop: Header=BB151_73 Depth=1
	v_mul_f32_e64 v8, 0x3f22f983, |v1|
	s_delay_alu instid0(VALU_DEP_1) | instskip(NEXT) | instid1(VALU_DEP_1)
	v_rndne_f32_e32 v8, v8
	v_fma_f32 v46, 0xbfc90fda, v8, |v1|
	v_cvt_i32_f32_e32 v47, v8
	s_delay_alu instid0(VALU_DEP_2) | instskip(NEXT) | instid1(VALU_DEP_1)
	v_fmac_f32_e32 v46, 0xb3a22168, v8
	v_fmac_f32_e32 v46, 0xa7c234c4, v8
.LBB151_109:                            ;   in Loop: Header=BB151_73 Depth=1
	s_or_b32 exec_lo, exec_lo, s0
	v_mul_f32_e32 v33, 0.5, v3
                                        ; implicit-def: $vgpr39
                                        ; implicit-def: $vgpr38
	s_mov_b32 s1, exec_lo
	s_delay_alu instid0(VALU_DEP_1)
	v_and_b32_e32 v34, 0x7fffffff, v33
	v_cmpx_ngt_f32_e64 0x48000000, |v33|
	s_xor_b32 s12, exec_lo, s1
	s_cbranch_execz .LBB151_111
; %bb.110:                              ;   in Loop: Header=BB151_73 Depth=1
	s_delay_alu instid0(VALU_DEP_2) | instskip(NEXT) | instid1(VALU_DEP_1)
	v_and_or_b32 v53, v34, s6, 0x800000
	v_mad_u64_u32 v[38:39], null, 0xfe5163ab, v53, 0
	s_delay_alu instid0(VALU_DEP_1) | instskip(NEXT) | instid1(VALU_DEP_1)
	v_mov_b32_e32 v8, v39
	v_mad_u64_u32 v[39:40], null, 0x3c439041, v53, v[8:9]
	s_delay_alu instid0(VALU_DEP_1) | instskip(SKIP_1) | instid1(VALU_DEP_2)
	v_mov_b32_e32 v8, v40
	v_lshrrev_b32_e32 v40, 23, v34
	v_mad_u64_u32 v[43:44], null, 0xdb629599, v53, v[8:9]
	s_delay_alu instid0(VALU_DEP_2) | instskip(NEXT) | instid1(VALU_DEP_1)
	v_add_nc_u32_e32 v40, 0xffffff88, v40
	v_cmp_lt_u32_e32 vcc_lo, 63, v40
	s_delay_alu instid0(VALU_DEP_3) | instskip(SKIP_1) | instid1(VALU_DEP_2)
	v_mov_b32_e32 v8, v44
	v_cndmask_b32_e64 v44, 0, 0xffffffc0, vcc_lo
	v_mad_u64_u32 v[48:49], null, 0xf534ddc0, v53, v[8:9]
	v_cndmask_b32_e32 v38, v43, v38, vcc_lo
	s_delay_alu instid0(VALU_DEP_3) | instskip(NEXT) | instid1(VALU_DEP_3)
	v_add_nc_u32_e32 v40, v44, v40
	v_dual_mov_b32 v8, v49 :: v_dual_cndmask_b32 v39, v48, v39
	s_delay_alu instid0(VALU_DEP_2) | instskip(NEXT) | instid1(VALU_DEP_2)
	v_cmp_lt_u32_e64 s0, 31, v40
	v_mad_u64_u32 v[49:50], null, 0xfc2757d1, v53, v[8:9]
	s_delay_alu instid0(VALU_DEP_2) | instskip(NEXT) | instid1(VALU_DEP_4)
	v_cndmask_b32_e64 v44, 0, 0xffffffe0, s0
	v_cndmask_b32_e64 v38, v39, v38, s0
	s_delay_alu instid0(VALU_DEP_2) | instskip(NEXT) | instid1(VALU_DEP_4)
	v_add_nc_u32_e32 v40, v44, v40
	v_mov_b32_e32 v8, v50
	s_delay_alu instid0(VALU_DEP_2) | instskip(NEXT) | instid1(VALU_DEP_2)
	v_cmp_lt_u32_e64 s1, 31, v40
	v_mad_u64_u32 v[50:51], null, 0x4e441529, v53, v[8:9]
	s_delay_alu instid0(VALU_DEP_1) | instskip(NEXT) | instid1(VALU_DEP_2)
	v_mov_b32_e32 v8, v51
	v_cndmask_b32_e32 v44, v50, v48, vcc_lo
	s_delay_alu instid0(VALU_DEP_2) | instskip(SKIP_1) | instid1(VALU_DEP_1)
	v_mad_u64_u32 v[51:52], null, 0xa2f9836e, v53, v[8:9]
	v_cndmask_b32_e64 v8, 0, 0xffffffe0, s1
	v_dual_cndmask_b32 v51, v51, v49 :: v_dual_add_nc_u32 v8, v8, v40
	s_delay_alu instid0(VALU_DEP_3) | instskip(NEXT) | instid1(VALU_DEP_2)
	v_dual_cndmask_b32 v50, v52, v50 :: v_dual_cndmask_b32 v49, v49, v43
	v_cmp_eq_u32_e64 s2, 0, v8
	s_delay_alu instid0(VALU_DEP_3) | instskip(NEXT) | instid1(VALU_DEP_3)
	v_cndmask_b32_e64 v40, v51, v44, s0
	v_cndmask_b32_e64 v48, v50, v51, s0
	s_delay_alu instid0(VALU_DEP_4) | instskip(SKIP_2) | instid1(VALU_DEP_4)
	v_cndmask_b32_e64 v44, v44, v49, s0
	v_sub_nc_u32_e32 v50, 32, v8
	v_cndmask_b32_e64 v49, v49, v39, s0
	v_cndmask_b32_e64 v48, v48, v40, s1
	s_delay_alu instid0(VALU_DEP_4) | instskip(NEXT) | instid1(VALU_DEP_3)
	v_cndmask_b32_e64 v40, v40, v44, s1
	v_cndmask_b32_e64 v44, v44, v49, s1
	;; [unrolled: 1-line block ×3, first 2 shown]
	s_delay_alu instid0(VALU_DEP_3) | instskip(NEXT) | instid1(VALU_DEP_3)
	v_alignbit_b32 v51, v48, v40, v50
	v_alignbit_b32 v52, v40, v44, v50
	s_delay_alu instid0(VALU_DEP_3) | instskip(NEXT) | instid1(VALU_DEP_3)
	v_alignbit_b32 v50, v44, v38, v50
	v_cndmask_b32_e64 v8, v51, v48, s2
	s_delay_alu instid0(VALU_DEP_3) | instskip(NEXT) | instid1(VALU_DEP_3)
	v_cndmask_b32_e64 v40, v52, v40, s2
	v_cndmask_b32_e64 v44, v50, v44, s2
	s_delay_alu instid0(VALU_DEP_3) | instskip(NEXT) | instid1(VALU_DEP_3)
	v_bfe_u32 v43, v8, 29, 1
	v_alignbit_b32 v39, v8, v40, 30
	s_delay_alu instid0(VALU_DEP_3) | instskip(SKIP_1) | instid1(VALU_DEP_4)
	v_alignbit_b32 v40, v40, v44, 30
	v_alignbit_b32 v38, v44, v38, 30
	v_sub_nc_u32_e32 v48, 0, v43
	s_delay_alu instid0(VALU_DEP_1) | instskip(SKIP_3) | instid1(VALU_DEP_4)
	v_xor_b32_e32 v49, v39, v48
	v_cmp_ne_u32_e32 vcc_lo, v39, v48
	v_xor_b32_e32 v40, v40, v48
	v_xor_b32_e32 v38, v38, v48
	v_clz_i32_u32_e32 v51, v49
	s_delay_alu instid0(VALU_DEP_1) | instskip(NEXT) | instid1(VALU_DEP_1)
	v_add_nc_u32_e32 v50, 1, v51
	v_cndmask_b32_e32 v39, 33, v50, vcc_lo
	s_delay_alu instid0(VALU_DEP_1) | instskip(NEXT) | instid1(VALU_DEP_1)
	v_sub_nc_u32_e32 v44, 32, v39
	v_alignbit_b32 v48, v49, v40, v44
	v_alignbit_b32 v38, v40, v38, v44
	v_lshrrev_b32_e32 v40, 29, v8
	v_lshrrev_b32_e32 v8, 30, v8
	s_delay_alu instid0(VALU_DEP_3) | instskip(NEXT) | instid1(VALU_DEP_3)
	v_alignbit_b32 v44, v48, v38, 9
	v_lshlrev_b32_e32 v40, 31, v40
	v_alignbit_b32 v48, v39, v48, 9
	s_delay_alu instid0(VALU_DEP_3) | instskip(NEXT) | instid1(VALU_DEP_2)
	v_clz_i32_u32_e32 v49, v44
	v_or_b32_e32 v48, v48, v40
	v_or_b32_e32 v40, 0x33800000, v40
	s_delay_alu instid0(VALU_DEP_3) | instskip(NEXT) | instid1(VALU_DEP_3)
	v_min_u32_e32 v49, 32, v49
	v_xor_b32_e32 v48, 1.0, v48
	s_delay_alu instid0(VALU_DEP_2) | instskip(SKIP_1) | instid1(VALU_DEP_3)
	v_sub_nc_u32_e32 v50, 31, v49
	v_add_lshl_u32 v39, v49, v39, 23
	v_mul_f32_e32 v49, 0x3fc90fda, v48
	s_delay_alu instid0(VALU_DEP_3) | instskip(NEXT) | instid1(VALU_DEP_3)
	v_alignbit_b32 v38, v44, v38, v50
	v_sub_nc_u32_e32 v39, v40, v39
	s_delay_alu instid0(VALU_DEP_3) | instskip(NEXT) | instid1(VALU_DEP_3)
	v_fma_f32 v40, 0x3fc90fda, v48, -v49
	v_lshrrev_b32_e32 v38, 9, v38
	s_delay_alu instid0(VALU_DEP_2) | instskip(NEXT) | instid1(VALU_DEP_2)
	v_fmac_f32_e32 v40, 0x33a22168, v48
	v_or_b32_e32 v38, v39, v38
	s_delay_alu instid0(VALU_DEP_1) | instskip(NEXT) | instid1(VALU_DEP_1)
	v_dual_fmac_f32 v40, 0x3fc90fda, v38 :: v_dual_add_nc_u32 v39, v43, v8
	v_add_f32_e32 v38, v49, v40
.LBB151_111:                            ;   in Loop: Header=BB151_73 Depth=1
	s_and_not1_saveexec_b32 s0, s12
; %bb.112:                              ;   in Loop: Header=BB151_73 Depth=1
	v_mul_f32_e64 v8, 0x3f22f983, |v33|
	s_delay_alu instid0(VALU_DEP_1) | instskip(NEXT) | instid1(VALU_DEP_1)
	v_rndne_f32_e32 v8, v8
	v_fma_f32 v38, 0xbfc90fda, v8, |v33|
	v_cvt_i32_f32_e32 v39, v8
	s_delay_alu instid0(VALU_DEP_2) | instskip(NEXT) | instid1(VALU_DEP_1)
	v_fmac_f32_e32 v38, 0xb3a22168, v8
	v_fmac_f32_e32 v38, 0xa7c234c4, v8
; %bb.113:                              ;   in Loop: Header=BB151_73 Depth=1
	s_or_b32 exec_lo, exec_lo, s0
	v_and_b32_e32 v40, 0x7fffffff, v3
	v_cmp_ngt_f32_e64 s12, 0x48000000, |v3|
                                        ; implicit-def: $vgpr44
                                        ; implicit-def: $vgpr43
	s_delay_alu instid0(VALU_DEP_1) | instskip(NEXT) | instid1(SALU_CYCLE_1)
	s_and_saveexec_b32 s0, s12
	s_xor_b32 s13, exec_lo, s0
	s_cbranch_execz .LBB151_115
; %bb.114:                              ;   in Loop: Header=BB151_73 Depth=1
	v_and_or_b32 v55, v40, s6, 0x800000
	s_delay_alu instid0(VALU_DEP_1) | instskip(NEXT) | instid1(VALU_DEP_1)
	v_mad_u64_u32 v[43:44], null, 0xfe5163ab, v55, 0
	v_mov_b32_e32 v8, v44
	v_lshrrev_b32_e32 v44, 23, v40
	s_delay_alu instid0(VALU_DEP_2) | instskip(NEXT) | instid1(VALU_DEP_2)
	v_mad_u64_u32 v[48:49], null, 0x3c439041, v55, v[8:9]
	v_add_nc_u32_e32 v44, 0xffffff88, v44
	s_delay_alu instid0(VALU_DEP_1) | instskip(NEXT) | instid1(VALU_DEP_3)
	v_cmp_lt_u32_e32 vcc_lo, 63, v44
	v_mov_b32_e32 v8, v49
	v_cndmask_b32_e64 v53, 0, 0xffffffc0, vcc_lo
	s_delay_alu instid0(VALU_DEP_2) | instskip(NEXT) | instid1(VALU_DEP_2)
	v_mad_u64_u32 v[49:50], null, 0xdb629599, v55, v[8:9]
	v_add_nc_u32_e32 v44, v53, v44
	s_delay_alu instid0(VALU_DEP_2) | instskip(NEXT) | instid1(VALU_DEP_2)
	v_mov_b32_e32 v8, v50
	v_cmp_lt_u32_e64 s0, 31, v44
	s_delay_alu instid0(VALU_DEP_4) | instskip(NEXT) | instid1(VALU_DEP_3)
	v_cndmask_b32_e32 v43, v49, v43, vcc_lo
	v_mad_u64_u32 v[50:51], null, 0xf534ddc0, v55, v[8:9]
	s_delay_alu instid0(VALU_DEP_3) | instskip(NEXT) | instid1(VALU_DEP_1)
	v_cndmask_b32_e64 v54, 0, 0xffffffe0, s0
	v_add_nc_u32_e32 v44, v54, v44
	s_delay_alu instid0(VALU_DEP_3) | instskip(NEXT) | instid1(VALU_DEP_2)
	v_mov_b32_e32 v8, v51
	v_cmp_lt_u32_e64 s1, 31, v44
	s_delay_alu instid0(VALU_DEP_2) | instskip(NEXT) | instid1(VALU_DEP_1)
	v_mad_u64_u32 v[51:52], null, 0xfc2757d1, v55, v[8:9]
	v_mov_b32_e32 v8, v52
	s_delay_alu instid0(VALU_DEP_1) | instskip(NEXT) | instid1(VALU_DEP_1)
	v_mad_u64_u32 v[52:53], null, 0x4e441529, v55, v[8:9]
	v_mov_b32_e32 v8, v53
	s_delay_alu instid0(VALU_DEP_1) | instskip(SKIP_1) | instid1(VALU_DEP_4)
	v_mad_u64_u32 v[53:54], null, 0xa2f9836e, v55, v[8:9]
	v_cndmask_b32_e64 v8, 0, 0xffffffe0, s1
	v_cndmask_b32_e32 v55, v52, v50, vcc_lo
	s_delay_alu instid0(VALU_DEP_2) | instskip(NEXT) | instid1(VALU_DEP_4)
	v_dual_cndmask_b32 v53, v53, v51 :: v_dual_add_nc_u32 v8, v8, v44
	v_dual_cndmask_b32 v52, v54, v52 :: v_dual_cndmask_b32 v51, v51, v49
	v_cndmask_b32_e32 v44, v50, v48, vcc_lo
	s_delay_alu instid0(VALU_DEP_3) | instskip(NEXT) | instid1(VALU_DEP_4)
	v_cmp_eq_u32_e64 s2, 0, v8
	v_cndmask_b32_e64 v48, v53, v55, s0
	s_delay_alu instid0(VALU_DEP_4)
	v_cndmask_b32_e64 v50, v52, v53, s0
	v_cndmask_b32_e64 v52, v55, v51, s0
	v_sub_nc_u32_e32 v53, 32, v8
	v_cndmask_b32_e64 v51, v51, v44, s0
	v_cndmask_b32_e64 v43, v44, v43, s0
	;; [unrolled: 1-line block ×4, first 2 shown]
	s_delay_alu instid0(VALU_DEP_4) | instskip(NEXT) | instid1(VALU_DEP_4)
	v_cndmask_b32_e64 v52, v52, v51, s1
	v_cndmask_b32_e64 v43, v51, v43, s1
	s_delay_alu instid0(VALU_DEP_3) | instskip(NEXT) | instid1(VALU_DEP_3)
	v_alignbit_b32 v54, v50, v48, v53
	v_alignbit_b32 v55, v48, v52, v53
	s_delay_alu instid0(VALU_DEP_3) | instskip(NEXT) | instid1(VALU_DEP_3)
	v_alignbit_b32 v53, v52, v43, v53
	v_cndmask_b32_e64 v8, v54, v50, s2
	s_delay_alu instid0(VALU_DEP_3) | instskip(NEXT) | instid1(VALU_DEP_3)
	v_cndmask_b32_e64 v48, v55, v48, s2
	v_cndmask_b32_e64 v52, v53, v52, s2
	s_delay_alu instid0(VALU_DEP_3) | instskip(NEXT) | instid1(VALU_DEP_3)
	v_bfe_u32 v49, v8, 29, 1
	v_alignbit_b32 v44, v8, v48, 30
	s_delay_alu instid0(VALU_DEP_3) | instskip(SKIP_1) | instid1(VALU_DEP_4)
	v_alignbit_b32 v48, v48, v52, 30
	v_alignbit_b32 v43, v52, v43, 30
	v_sub_nc_u32_e32 v50, 0, v49
	s_delay_alu instid0(VALU_DEP_1) | instskip(SKIP_3) | instid1(VALU_DEP_4)
	v_xor_b32_e32 v51, v44, v50
	v_cmp_ne_u32_e32 vcc_lo, v44, v50
	v_xor_b32_e32 v48, v48, v50
	v_xor_b32_e32 v43, v43, v50
	v_clz_i32_u32_e32 v54, v51
	s_delay_alu instid0(VALU_DEP_1) | instskip(NEXT) | instid1(VALU_DEP_1)
	v_add_nc_u32_e32 v53, 1, v54
	v_cndmask_b32_e32 v44, 33, v53, vcc_lo
	s_delay_alu instid0(VALU_DEP_1) | instskip(NEXT) | instid1(VALU_DEP_1)
	v_sub_nc_u32_e32 v52, 32, v44
	v_alignbit_b32 v50, v51, v48, v52
	v_alignbit_b32 v43, v48, v43, v52
	v_lshrrev_b32_e32 v48, 29, v8
	v_lshrrev_b32_e32 v8, 30, v8
	s_delay_alu instid0(VALU_DEP_3) | instskip(NEXT) | instid1(VALU_DEP_3)
	v_alignbit_b32 v51, v50, v43, 9
	v_lshlrev_b32_e32 v48, 31, v48
	v_alignbit_b32 v50, v44, v50, 9
	s_delay_alu instid0(VALU_DEP_3) | instskip(NEXT) | instid1(VALU_DEP_2)
	v_clz_i32_u32_e32 v52, v51
	v_or_b32_e32 v50, v50, v48
	v_or_b32_e32 v48, 0x33800000, v48
	s_delay_alu instid0(VALU_DEP_3) | instskip(NEXT) | instid1(VALU_DEP_3)
	v_min_u32_e32 v52, 32, v52
	v_xor_b32_e32 v50, 1.0, v50
	s_delay_alu instid0(VALU_DEP_2) | instskip(SKIP_1) | instid1(VALU_DEP_3)
	v_sub_nc_u32_e32 v53, 31, v52
	v_add_lshl_u32 v44, v52, v44, 23
	v_mul_f32_e32 v52, 0x3fc90fda, v50
	s_delay_alu instid0(VALU_DEP_3) | instskip(NEXT) | instid1(VALU_DEP_3)
	v_alignbit_b32 v43, v51, v43, v53
	v_sub_nc_u32_e32 v44, v48, v44
	s_delay_alu instid0(VALU_DEP_3) | instskip(NEXT) | instid1(VALU_DEP_3)
	v_fma_f32 v48, 0x3fc90fda, v50, -v52
	v_lshrrev_b32_e32 v43, 9, v43
	s_delay_alu instid0(VALU_DEP_2) | instskip(NEXT) | instid1(VALU_DEP_2)
	v_fmac_f32_e32 v48, 0x33a22168, v50
	v_or_b32_e32 v43, v44, v43
	v_add_nc_u32_e32 v44, v49, v8
	s_delay_alu instid0(VALU_DEP_2) | instskip(NEXT) | instid1(VALU_DEP_1)
	v_fmac_f32_e32 v48, 0x3fc90fda, v43
	v_add_f32_e32 v43, v52, v48
	s_and_not1_saveexec_b32 s0, s13
	s_branch .LBB151_116
.LBB151_115:                            ;   in Loop: Header=BB151_73 Depth=1
	s_and_not1_saveexec_b32 s0, s13
.LBB151_116:                            ;   in Loop: Header=BB151_73 Depth=1
	v_mul_f32_e64 v8, 0x3f22f983, |v3|
	s_delay_alu instid0(VALU_DEP_1) | instskip(NEXT) | instid1(VALU_DEP_1)
	v_rndne_f32_e32 v8, v8
	v_fma_f32 v43, 0xbfc90fda, v8, |v3|
	v_cvt_i32_f32_e32 v44, v8
	s_delay_alu instid0(VALU_DEP_2) | instskip(NEXT) | instid1(VALU_DEP_1)
	v_fmac_f32_e32 v43, 0xb3a22168, v8
	v_fmac_f32_e32 v43, 0xa7c234c4, v8
; %bb.117:                              ;   in Loop: Header=BB151_73 Depth=1
	s_or_b32 exec_lo, exec_lo, s0
                                        ; implicit-def: $vgpr48
                                        ; implicit-def: $vgpr8
	s_and_saveexec_b32 s0, s12
	s_delay_alu instid0(SALU_CYCLE_1)
	s_xor_b32 s12, exec_lo, s0
	s_cbranch_execz .LBB151_119
; %bb.118:                              ;   in Loop: Header=BB151_73 Depth=1
	v_lshrrev_b32_e32 v53, 23, v40
	v_and_or_b32 v56, v40, s6, 0x800000
	s_delay_alu instid0(VALU_DEP_2) | instskip(NEXT) | instid1(VALU_DEP_2)
	v_add_nc_u32_e32 v54, 0xffffff88, v53
	v_mad_u64_u32 v[48:49], null, 0xfe5163ab, v56, 0
	s_delay_alu instid0(VALU_DEP_2) | instskip(SKIP_1) | instid1(VALU_DEP_1)
	v_cmp_lt_u32_e32 vcc_lo, 63, v54
	v_cndmask_b32_e64 v55, 0, 0xffffffc0, vcc_lo
	v_dual_mov_b32 v8, v49 :: v_dual_add_nc_u32 v55, v55, v54
	s_delay_alu instid0(VALU_DEP_1) | instskip(NEXT) | instid1(VALU_DEP_2)
	v_mad_u64_u32 v[49:50], null, 0x3c439041, v56, v[8:9]
	v_cmp_lt_u32_e64 s0, 31, v55
	s_delay_alu instid0(VALU_DEP_1) | instskip(NEXT) | instid1(VALU_DEP_1)
	v_cndmask_b32_e64 v57, 0, 0xffffffe0, s0
	v_dual_mov_b32 v8, v50 :: v_dual_add_nc_u32 v57, v57, v55
	s_delay_alu instid0(VALU_DEP_1) | instskip(NEXT) | instid1(VALU_DEP_2)
	v_mad_u64_u32 v[50:51], null, 0xdb629599, v56, v[8:9]
	v_cmp_lt_u32_e64 s1, 31, v57
	s_delay_alu instid0(VALU_DEP_2) | instskip(NEXT) | instid1(VALU_DEP_3)
	v_mov_b32_e32 v8, v51
	v_cndmask_b32_e32 v48, v50, v48, vcc_lo
	s_delay_alu instid0(VALU_DEP_2) | instskip(NEXT) | instid1(VALU_DEP_1)
	v_mad_u64_u32 v[51:52], null, 0xf534ddc0, v56, v[8:9]
	v_dual_mov_b32 v8, v52 :: v_dual_cndmask_b32 v49, v51, v49
	s_delay_alu instid0(VALU_DEP_1) | instskip(NEXT) | instid1(VALU_DEP_2)
	v_mad_u64_u32 v[52:53], null, 0xfc2757d1, v56, v[8:9]
	v_cndmask_b32_e64 v48, v49, v48, s0
	s_delay_alu instid0(VALU_DEP_2) | instskip(NEXT) | instid1(VALU_DEP_1)
	v_mov_b32_e32 v8, v53
	v_mad_u64_u32 v[53:54], null, 0x4e441529, v56, v[8:9]
	s_delay_alu instid0(VALU_DEP_1) | instskip(NEXT) | instid1(VALU_DEP_1)
	v_mov_b32_e32 v8, v54
	v_mad_u64_u32 v[54:55], null, 0xa2f9836e, v56, v[8:9]
	v_cndmask_b32_e64 v8, 0, 0xffffffe0, s1
	s_delay_alu instid0(VALU_DEP_4) | instskip(NEXT) | instid1(VALU_DEP_2)
	v_cndmask_b32_e32 v56, v53, v51, vcc_lo
	v_add_nc_u32_e32 v8, v8, v57
	s_delay_alu instid0(VALU_DEP_4) | instskip(SKIP_1) | instid1(VALU_DEP_3)
	v_dual_cndmask_b32 v54, v54, v52 :: v_dual_cndmask_b32 v53, v55, v53
	v_cndmask_b32_e32 v52, v52, v50, vcc_lo
	v_sub_nc_u32_e32 v55, 32, v8
	s_delay_alu instid0(VALU_DEP_3) | instskip(NEXT) | instid1(VALU_DEP_4)
	v_cndmask_b32_e64 v51, v54, v56, s0
	v_cndmask_b32_e64 v53, v53, v54, s0
	s_delay_alu instid0(VALU_DEP_4) | instskip(SKIP_2) | instid1(VALU_DEP_4)
	v_cndmask_b32_e64 v54, v56, v52, s0
	v_cndmask_b32_e64 v52, v52, v49, s0
	v_cmp_eq_u32_e64 s2, 0, v8
	v_cndmask_b32_e64 v53, v53, v51, s1
	s_delay_alu instid0(VALU_DEP_4) | instskip(NEXT) | instid1(VALU_DEP_4)
	v_cndmask_b32_e64 v51, v51, v54, s1
	v_cndmask_b32_e64 v54, v54, v52, s1
	v_cndmask_b32_e64 v48, v52, v48, s1
	s_delay_alu instid0(VALU_DEP_3) | instskip(NEXT) | instid1(VALU_DEP_3)
	v_alignbit_b32 v56, v53, v51, v55
	v_alignbit_b32 v57, v51, v54, v55
	s_delay_alu instid0(VALU_DEP_3) | instskip(NEXT) | instid1(VALU_DEP_3)
	v_alignbit_b32 v55, v54, v48, v55
	v_cndmask_b32_e64 v8, v56, v53, s2
	s_delay_alu instid0(VALU_DEP_3) | instskip(NEXT) | instid1(VALU_DEP_3)
	v_cndmask_b32_e64 v50, v57, v51, s2
	v_cndmask_b32_e64 v54, v55, v54, s2
	s_delay_alu instid0(VALU_DEP_3) | instskip(NEXT) | instid1(VALU_DEP_3)
	v_bfe_u32 v51, v8, 29, 1
	v_alignbit_b32 v49, v8, v50, 30
	s_delay_alu instid0(VALU_DEP_3) | instskip(SKIP_1) | instid1(VALU_DEP_4)
	v_alignbit_b32 v50, v50, v54, 30
	v_alignbit_b32 v48, v54, v48, 30
	v_sub_nc_u32_e32 v53, 0, v51
	s_delay_alu instid0(VALU_DEP_1) | instskip(SKIP_3) | instid1(VALU_DEP_4)
	v_xor_b32_e32 v52, v49, v53
	v_cmp_ne_u32_e32 vcc_lo, v49, v53
	v_xor_b32_e32 v50, v50, v53
	v_xor_b32_e32 v48, v48, v53
	v_clz_i32_u32_e32 v56, v52
	s_delay_alu instid0(VALU_DEP_1) | instskip(NEXT) | instid1(VALU_DEP_1)
	v_add_nc_u32_e32 v55, 1, v56
	v_cndmask_b32_e32 v49, 33, v55, vcc_lo
	s_delay_alu instid0(VALU_DEP_1) | instskip(NEXT) | instid1(VALU_DEP_1)
	v_sub_nc_u32_e32 v54, 32, v49
	v_alignbit_b32 v52, v52, v50, v54
	v_alignbit_b32 v48, v50, v48, v54
	v_lshrrev_b32_e32 v50, 29, v8
	s_delay_alu instid0(VALU_DEP_2) | instskip(NEXT) | instid1(VALU_DEP_2)
	v_alignbit_b32 v53, v52, v48, 9
	v_lshlrev_b32_e32 v50, 31, v50
	v_alignbit_b32 v52, v49, v52, 9
	s_delay_alu instid0(VALU_DEP_3) | instskip(NEXT) | instid1(VALU_DEP_2)
	v_clz_i32_u32_e32 v54, v53
	v_or_b32_e32 v52, v52, v50
	v_or_b32_e32 v50, 0x33800000, v50
	s_delay_alu instid0(VALU_DEP_3) | instskip(NEXT) | instid1(VALU_DEP_3)
	v_min_u32_e32 v54, 32, v54
	v_xor_b32_e32 v52, 1.0, v52
	s_delay_alu instid0(VALU_DEP_2) | instskip(SKIP_1) | instid1(VALU_DEP_3)
	v_sub_nc_u32_e32 v55, 31, v54
	v_add_lshl_u32 v49, v54, v49, 23
	v_mul_f32_e32 v54, 0x3fc90fda, v52
	s_delay_alu instid0(VALU_DEP_3) | instskip(NEXT) | instid1(VALU_DEP_3)
	v_alignbit_b32 v48, v53, v48, v55
	v_sub_nc_u32_e32 v49, v50, v49
	s_delay_alu instid0(VALU_DEP_3) | instskip(NEXT) | instid1(VALU_DEP_3)
	v_fma_f32 v50, 0x3fc90fda, v52, -v54
	v_lshrrev_b32_e32 v48, 9, v48
	s_delay_alu instid0(VALU_DEP_2) | instskip(NEXT) | instid1(VALU_DEP_2)
	v_fmac_f32_e32 v50, 0x33a22168, v52
	v_or_b32_e32 v48, v49, v48
	s_delay_alu instid0(VALU_DEP_1) | instskip(SKIP_1) | instid1(VALU_DEP_2)
	v_fmac_f32_e32 v50, 0x3fc90fda, v48
	v_lshrrev_b32_e32 v48, 30, v8
	v_add_f32_e32 v8, v54, v50
	s_delay_alu instid0(VALU_DEP_2)
	v_add_nc_u32_e32 v48, v51, v48
	s_and_not1_saveexec_b32 s0, s12
	s_cbranch_execz .LBB151_72
	s_branch .LBB151_120
.LBB151_119:                            ;   in Loop: Header=BB151_73 Depth=1
	s_and_not1_saveexec_b32 s0, s12
	s_cbranch_execz .LBB151_72
.LBB151_120:                            ;   in Loop: Header=BB151_73 Depth=1
	v_mul_f32_e64 v8, 0x3f22f983, |v3|
	s_delay_alu instid0(VALU_DEP_1) | instskip(NEXT) | instid1(VALU_DEP_1)
	v_rndne_f32_e32 v48, v8
	v_fma_f32 v8, 0xbfc90fda, v48, |v3|
	s_delay_alu instid0(VALU_DEP_1) | instskip(NEXT) | instid1(VALU_DEP_1)
	v_fmac_f32_e32 v8, 0xb3a22168, v48
	v_fmac_f32_e32 v8, 0xa7c234c4, v48
	v_cvt_i32_f32_e32 v48, v48
	s_branch .LBB151_72
.LBB151_121:
	s_nop 0
	s_sendmsg sendmsg(MSG_DEALLOC_VGPRS)
	s_endpgm
	.section	.rodata,"a",@progbits
	.p2align	6, 0x0
	.amdhsa_kernel _ZN2at6native12_GLOBAL__N_125multi_tensor_apply_kernelINS1_18TensorListMetadataILi1EEENS1_14UnaryOpFunctorIN3c107complexIfEELi1ELi1ELi0EEEJNS0_5Expm1IS8_EEEEEvT_T0_DpT1_
		.amdhsa_group_segment_fixed_size 0
		.amdhsa_private_segment_fixed_size 0
		.amdhsa_kernarg_size 3632
		.amdhsa_user_sgpr_count 15
		.amdhsa_user_sgpr_dispatch_ptr 0
		.amdhsa_user_sgpr_queue_ptr 0
		.amdhsa_user_sgpr_kernarg_segment_ptr 1
		.amdhsa_user_sgpr_dispatch_id 0
		.amdhsa_user_sgpr_private_segment_size 0
		.amdhsa_wavefront_size32 1
		.amdhsa_uses_dynamic_stack 0
		.amdhsa_enable_private_segment 0
		.amdhsa_system_sgpr_workgroup_id_x 1
		.amdhsa_system_sgpr_workgroup_id_y 0
		.amdhsa_system_sgpr_workgroup_id_z 0
		.amdhsa_system_sgpr_workgroup_info 0
		.amdhsa_system_vgpr_workitem_id 0
		.amdhsa_next_free_vgpr 75
		.amdhsa_next_free_sgpr 29
		.amdhsa_reserve_vcc 1
		.amdhsa_float_round_mode_32 0
		.amdhsa_float_round_mode_16_64 0
		.amdhsa_float_denorm_mode_32 3
		.amdhsa_float_denorm_mode_16_64 3
		.amdhsa_dx10_clamp 1
		.amdhsa_ieee_mode 1
		.amdhsa_fp16_overflow 0
		.amdhsa_workgroup_processor_mode 1
		.amdhsa_memory_ordered 1
		.amdhsa_forward_progress 0
		.amdhsa_shared_vgpr_count 0
		.amdhsa_exception_fp_ieee_invalid_op 0
		.amdhsa_exception_fp_denorm_src 0
		.amdhsa_exception_fp_ieee_div_zero 0
		.amdhsa_exception_fp_ieee_overflow 0
		.amdhsa_exception_fp_ieee_underflow 0
		.amdhsa_exception_fp_ieee_inexact 0
		.amdhsa_exception_int_div_zero 0
	.end_amdhsa_kernel
	.section	.text._ZN2at6native12_GLOBAL__N_125multi_tensor_apply_kernelINS1_18TensorListMetadataILi1EEENS1_14UnaryOpFunctorIN3c107complexIfEELi1ELi1ELi0EEEJNS0_5Expm1IS8_EEEEEvT_T0_DpT1_,"axG",@progbits,_ZN2at6native12_GLOBAL__N_125multi_tensor_apply_kernelINS1_18TensorListMetadataILi1EEENS1_14UnaryOpFunctorIN3c107complexIfEELi1ELi1ELi0EEEJNS0_5Expm1IS8_EEEEEvT_T0_DpT1_,comdat
.Lfunc_end151:
	.size	_ZN2at6native12_GLOBAL__N_125multi_tensor_apply_kernelINS1_18TensorListMetadataILi1EEENS1_14UnaryOpFunctorIN3c107complexIfEELi1ELi1ELi0EEEJNS0_5Expm1IS8_EEEEEvT_T0_DpT1_, .Lfunc_end151-_ZN2at6native12_GLOBAL__N_125multi_tensor_apply_kernelINS1_18TensorListMetadataILi1EEENS1_14UnaryOpFunctorIN3c107complexIfEELi1ELi1ELi0EEEJNS0_5Expm1IS8_EEEEEvT_T0_DpT1_
                                        ; -- End function
	.section	.AMDGPU.csdata,"",@progbits
; Kernel info:
; codeLenInByte = 25888
; NumSgprs: 31
; NumVgprs: 75
; ScratchSize: 0
; MemoryBound: 1
; FloatMode: 240
; IeeeMode: 1
; LDSByteSize: 0 bytes/workgroup (compile time only)
; SGPRBlocks: 3
; VGPRBlocks: 9
; NumSGPRsForWavesPerEU: 31
; NumVGPRsForWavesPerEU: 75
; Occupancy: 16
; WaveLimiterHint : 0
; COMPUTE_PGM_RSRC2:SCRATCH_EN: 0
; COMPUTE_PGM_RSRC2:USER_SGPR: 15
; COMPUTE_PGM_RSRC2:TRAP_HANDLER: 0
; COMPUTE_PGM_RSRC2:TGID_X_EN: 1
; COMPUTE_PGM_RSRC2:TGID_Y_EN: 0
; COMPUTE_PGM_RSRC2:TGID_Z_EN: 0
; COMPUTE_PGM_RSRC2:TIDIG_COMP_CNT: 0
	.section	.text._ZN2at6native12_GLOBAL__N_125multi_tensor_apply_kernelINS1_18TensorListMetadataILi1EEENS1_14UnaryOpFunctorIN3c104HalfELi1ELi1ELi0EEEJNS0_5Expm1IfEEEEEvT_T0_DpT1_,"axG",@progbits,_ZN2at6native12_GLOBAL__N_125multi_tensor_apply_kernelINS1_18TensorListMetadataILi1EEENS1_14UnaryOpFunctorIN3c104HalfELi1ELi1ELi0EEEJNS0_5Expm1IfEEEEEvT_T0_DpT1_,comdat
	.globl	_ZN2at6native12_GLOBAL__N_125multi_tensor_apply_kernelINS1_18TensorListMetadataILi1EEENS1_14UnaryOpFunctorIN3c104HalfELi1ELi1ELi0EEEJNS0_5Expm1IfEEEEEvT_T0_DpT1_ ; -- Begin function _ZN2at6native12_GLOBAL__N_125multi_tensor_apply_kernelINS1_18TensorListMetadataILi1EEENS1_14UnaryOpFunctorIN3c104HalfELi1ELi1ELi0EEEJNS0_5Expm1IfEEEEEvT_T0_DpT1_
	.p2align	8
	.type	_ZN2at6native12_GLOBAL__N_125multi_tensor_apply_kernelINS1_18TensorListMetadataILi1EEENS1_14UnaryOpFunctorIN3c104HalfELi1ELi1ELi0EEEJNS0_5Expm1IfEEEEEvT_T0_DpT1_,@function
_ZN2at6native12_GLOBAL__N_125multi_tensor_apply_kernelINS1_18TensorListMetadataILi1EEENS1_14UnaryOpFunctorIN3c104HalfELi1ELi1ELi0EEEJNS0_5Expm1IfEEEEEvT_T0_DpT1_: ; @_ZN2at6native12_GLOBAL__N_125multi_tensor_apply_kernelINS1_18TensorListMetadataILi1EEENS1_14UnaryOpFunctorIN3c104HalfELi1ELi1ELi0EEEJNS0_5Expm1IfEEEEEvT_T0_DpT1_
; %bb.0:
	v_mov_b32_e32 v1, s15
	s_add_u32 s2, s0, s15
	s_mul_hi_u32 s3, s15, 3
	s_mul_i32 s15, s15, 3
	s_addc_u32 s4, s1, 0
	global_load_u8 v1, v1, s[0:1] offset:1760
	s_add_u32 s2, s2, s15
	s_addc_u32 s3, s4, s3
	s_mov_b32 s13, 0
	s_load_b32 s2, s[2:3], 0x820
	s_waitcnt vmcnt(0)
	v_readfirstlane_b32 s5, v1
	s_delay_alu instid0(VALU_DEP_1)
	s_lshl_b32 s3, s5, 3
	s_clause 0x1
	s_load_b64 s[8:9], s[0:1], s3 offset:0x0
	s_load_b64 s[4:5], s[0:1], s3 offset:0x370
	s_waitcnt lgkmcnt(0)
	s_ashr_i32 s3, s2, 31
	s_delay_alu instid0(SALU_CYCLE_1)
	s_lshl_b64 s[10:11], s[2:3], 17
	s_lshl_b64 s[2:3], s[2:3], 16
	s_and_b32 s12, s8, 7
	s_sub_u32 s6, s4, s2
	s_subb_u32 s7, s5, s3
	s_and_b32 s2, s4, 3
	s_mov_b32 s3, s13
	s_delay_alu instid0(SALU_CYCLE_1) | instskip(NEXT) | instid1(SALU_CYCLE_1)
	s_or_b64 s[2:3], s[12:13], s[2:3]
	s_cmp_eq_u64 s[2:3], 0
	s_cbranch_scc1 .LBB152_21
; %bb.1:
	v_cmp_lt_i64_e64 s2, s[6:7], 1
	s_delay_alu instid0(VALU_DEP_1)
	s_and_b32 vcc_lo, exec_lo, s2
	s_cbranch_vccnz .LBB152_20
; %bb.2:
	s_load_b32 s2, s[0:1], 0xd3c
	v_cmp_gt_u64_e64 s3, 0x10000, s[6:7]
	v_lshlrev_b32_e32 v1, 1, v0
	s_mov_b32 s19, 0xbf317218
	s_mov_b32 s20, 0x395133b1
	s_waitcnt lgkmcnt(0)
	s_and_b32 s2, s2, 0xffff
	s_and_b32 s3, s3, exec_lo
	v_add_co_u32 v5, s5, v0, s2
	s_cselect_b32 s13, s7, 0
	s_cselect_b32 s12, s6, 0x10000
	s_lshl_b32 s3, s2, 1
	s_mul_i32 s4, s2, 3
	s_lshl_b32 s16, s2, 2
	v_add_co_ci_u32_e64 v6, null, 0, 0, s5
	s_add_u32 s5, s8, s10
	s_mul_i32 s17, s2, 6
	s_addc_u32 s14, s9, s11
	s_lshl_b32 s18, s2, 3
	v_add_co_u32 v7, s2, s4, v0
	v_lshlrev_b32_e32 v3, 1, v5
	v_add_co_ci_u32_e64 v8, null, 0, 0, s2
	v_add_co_u32 v9, s2, s3, v0
	s_delay_alu instid0(VALU_DEP_1) | instskip(SKIP_1) | instid1(VALU_DEP_1)
	v_add_co_ci_u32_e64 v10, null, 0, 0, s2
	v_add_co_u32 v1, s2, s5, v1
	v_add_co_ci_u32_e64 v2, null, s14, 0, s2
	v_add_co_u32 v3, s2, s5, v3
	s_delay_alu instid0(VALU_DEP_1)
	v_add_co_ci_u32_e64 v4, null, s14, 0, s2
	s_mov_b64 s[14:15], 0
	s_branch .LBB152_4
.LBB152_3:                              ;   in Loop: Header=BB152_4 Depth=1
	s_or_b32 exec_lo, exec_lo, s2
	s_add_u32 s14, s14, s16
	s_addc_u32 s15, s15, 0
	v_add_co_u32 v1, vcc_lo, v1, s18
	v_cmp_lt_i64_e64 s2, s[14:15], s[6:7]
	v_cmp_gt_u64_e64 s3, 0x10000, s[14:15]
	v_add_co_ci_u32_e32 v2, vcc_lo, 0, v2, vcc_lo
	v_add_co_u32 v3, vcc_lo, v3, s18
	v_add_co_ci_u32_e32 v4, vcc_lo, 0, v4, vcc_lo
	s_delay_alu instid0(VALU_DEP_4) | instskip(NEXT) | instid1(SALU_CYCLE_1)
	s_and_b32 s2, s2, s3
	s_and_b32 vcc_lo, exec_lo, s2
	s_cbranch_vccz .LBB152_20
.LBB152_4:                              ; =>This Inner Loop Header: Depth=1
	s_waitcnt vmcnt(0)
	v_add_co_u32 v11, s2, v0, s14
	s_delay_alu instid0(VALU_DEP_1) | instskip(SKIP_1) | instid1(VALU_DEP_2)
	v_add_co_ci_u32_e64 v12, null, 0, s15, s2
	v_mov_b32_e32 v14, 0
	v_cmp_gt_u64_e64 s4, s[12:13], v[11:12]
	s_delay_alu instid0(VALU_DEP_1)
	s_and_saveexec_b32 s2, s4
	s_cbranch_execz .LBB152_6
; %bb.5:                                ;   in Loop: Header=BB152_4 Depth=1
	global_load_u16 v14, v[1:2], off
.LBB152_6:                              ;   in Loop: Header=BB152_4 Depth=1
	s_or_b32 exec_lo, exec_lo, s2
	v_add_co_u32 v11, vcc_lo, v5, s14
	v_add_co_ci_u32_e32 v12, vcc_lo, s15, v6, vcc_lo
	v_mov_b32_e32 v13, 0
	s_delay_alu instid0(VALU_DEP_2) | instskip(NEXT) | instid1(VALU_DEP_1)
	v_cmp_gt_u64_e64 s3, s[12:13], v[11:12]
	s_and_saveexec_b32 s2, s3
	s_cbranch_execz .LBB152_8
; %bb.7:                                ;   in Loop: Header=BB152_4 Depth=1
	global_load_u16 v13, v[3:4], off
.LBB152_8:                              ;   in Loop: Header=BB152_4 Depth=1
	s_or_b32 exec_lo, exec_lo, s2
	v_add_co_u32 v11, vcc_lo, v9, s14
	v_add_co_ci_u32_e32 v12, vcc_lo, s15, v10, vcc_lo
	s_delay_alu instid0(VALU_DEP_1) | instskip(SKIP_1) | instid1(VALU_DEP_2)
	v_cmp_gt_u64_e64 s2, s[12:13], v[11:12]
	v_dual_mov_b32 v11, 0 :: v_dual_mov_b32 v12, 0
	s_and_saveexec_b32 s5, s2
	s_cbranch_execz .LBB152_10
; %bb.9:                                ;   in Loop: Header=BB152_4 Depth=1
	v_add_co_u32 v15, vcc_lo, v1, s16
	v_add_co_ci_u32_e32 v16, vcc_lo, 0, v2, vcc_lo
	global_load_u16 v12, v[15:16], off
.LBB152_10:                             ;   in Loop: Header=BB152_4 Depth=1
	s_or_b32 exec_lo, exec_lo, s5
	v_add_co_u32 v15, vcc_lo, v7, s14
	v_add_co_ci_u32_e32 v16, vcc_lo, s15, v8, vcc_lo
	s_delay_alu instid0(VALU_DEP_1)
	v_cmp_gt_u64_e32 vcc_lo, s[12:13], v[15:16]
	s_and_saveexec_b32 s21, vcc_lo
	s_cbranch_execnz .LBB152_15
; %bb.11:                               ;   in Loop: Header=BB152_4 Depth=1
	s_or_b32 exec_lo, exec_lo, s21
	s_and_saveexec_b32 s5, s4
	s_cbranch_execnz .LBB152_16
.LBB152_12:                             ;   in Loop: Header=BB152_4 Depth=1
	s_or_b32 exec_lo, exec_lo, s5
	s_and_saveexec_b32 s4, s3
	s_cbranch_execnz .LBB152_17
.LBB152_13:                             ;   in Loop: Header=BB152_4 Depth=1
	s_or_b32 exec_lo, exec_lo, s4
	s_and_saveexec_b32 s3, s2
	s_cbranch_execnz .LBB152_18
.LBB152_14:                             ;   in Loop: Header=BB152_4 Depth=1
	s_or_b32 exec_lo, exec_lo, s3
	s_and_saveexec_b32 s2, vcc_lo
	s_cbranch_execz .LBB152_3
	s_branch .LBB152_19
.LBB152_15:                             ;   in Loop: Header=BB152_4 Depth=1
	v_add_co_u32 v15, s5, v1, s17
	s_delay_alu instid0(VALU_DEP_1)
	v_add_co_ci_u32_e64 v16, s5, 0, v2, s5
	global_load_u16 v11, v[15:16], off
	s_or_b32 exec_lo, exec_lo, s21
	s_and_saveexec_b32 s5, s4
	s_cbranch_execz .LBB152_12
.LBB152_16:                             ;   in Loop: Header=BB152_4 Depth=1
	s_waitcnt vmcnt(0)
	v_cvt_f32_f16_e32 v15, v14
	s_delay_alu instid0(VALU_DEP_1) | instskip(NEXT) | instid1(VALU_DEP_1)
	v_mul_f32_e32 v16, 0x3fb8aa3b, v15
	v_rndne_f32_e32 v16, v16
	s_delay_alu instid0(VALU_DEP_1) | instskip(SKIP_2) | instid1(VALU_DEP_3)
	v_fma_mix_f32 v17, v16, s19, v14 op_sel_hi:[0,0,1]
	v_cvt_i32_f32_e32 v19, v16
	v_cmp_eq_f32_e64 s4, 0x43000000, v16
	v_fmac_f32_e32 v17, 0x3102e308, v16
	s_delay_alu instid0(VALU_DEP_2) | instskip(NEXT) | instid1(VALU_DEP_2)
	v_cndmask_b32_e64 v16, v19, 0x7f, s4
	v_fmaak_f32 v18, s20, v17, 0x3ab69700
	s_delay_alu instid0(VALU_DEP_2) | instskip(NEXT) | instid1(VALU_DEP_2)
	v_ldexp_f32 v16, 1.0, v16
	v_fmaak_f32 v18, v17, v18, 0x3c0887f9
	s_delay_alu instid0(VALU_DEP_1) | instskip(NEXT) | instid1(VALU_DEP_1)
	v_fmaak_f32 v18, v17, v18, 0x3d2aaa81
	v_fmaak_f32 v18, v17, v18, 0x3e2aaaab
	s_delay_alu instid0(VALU_DEP_1) | instskip(NEXT) | instid1(VALU_DEP_1)
	v_fma_f32 v18, v17, v18, 0.5
	v_mul_f32_e32 v18, v17, v18
	s_delay_alu instid0(VALU_DEP_1) | instskip(NEXT) | instid1(VALU_DEP_1)
	v_dual_fmac_f32 v17, v17, v18 :: v_dual_add_f32 v18, -1.0, v16
	v_fmac_f32_e32 v18, v16, v17
	s_delay_alu instid0(VALU_DEP_1) | instskip(NEXT) | instid1(VALU_DEP_1)
	v_add_f32_e32 v16, v18, v18
	v_cndmask_b32_e64 v16, v18, v16, s4
	v_cmp_nlt_f32_e64 s4, 0x42b17217, v15
	s_delay_alu instid0(VALU_DEP_1) | instskip(SKIP_1) | instid1(VALU_DEP_2)
	v_cndmask_b32_e64 v15, 0x7f800000, v16, s4
	v_cmp_ngt_f16_e64 s4, 0xcc40, v14
	v_cvt_f16_f32_e32 v15, v15
	s_delay_alu instid0(VALU_DEP_1)
	v_cndmask_b32_e64 v14, 0xbc00, v15, s4
	global_store_b16 v[1:2], v14, off
	s_or_b32 exec_lo, exec_lo, s5
	s_and_saveexec_b32 s4, s3
	s_cbranch_execz .LBB152_13
.LBB152_17:                             ;   in Loop: Header=BB152_4 Depth=1
	s_waitcnt vmcnt(0)
	v_cvt_f32_f16_e32 v14, v13
	s_delay_alu instid0(VALU_DEP_1) | instskip(NEXT) | instid1(VALU_DEP_1)
	v_mul_f32_e32 v15, 0x3fb8aa3b, v14
	v_rndne_f32_e32 v15, v15
	s_delay_alu instid0(VALU_DEP_1) | instskip(SKIP_2) | instid1(VALU_DEP_3)
	v_fma_mix_f32 v16, v15, s19, v13 op_sel_hi:[0,0,1]
	v_cvt_i32_f32_e32 v18, v15
	v_cmp_eq_f32_e64 s3, 0x43000000, v15
	v_fmac_f32_e32 v16, 0x3102e308, v15
	s_delay_alu instid0(VALU_DEP_2) | instskip(NEXT) | instid1(VALU_DEP_2)
	v_cndmask_b32_e64 v15, v18, 0x7f, s3
	v_fmaak_f32 v17, s20, v16, 0x3ab69700
	s_delay_alu instid0(VALU_DEP_2) | instskip(NEXT) | instid1(VALU_DEP_2)
	v_ldexp_f32 v15, 1.0, v15
	v_fmaak_f32 v17, v16, v17, 0x3c0887f9
	s_delay_alu instid0(VALU_DEP_1) | instskip(NEXT) | instid1(VALU_DEP_1)
	v_fmaak_f32 v17, v16, v17, 0x3d2aaa81
	v_fmaak_f32 v17, v16, v17, 0x3e2aaaab
	s_delay_alu instid0(VALU_DEP_1) | instskip(NEXT) | instid1(VALU_DEP_1)
	v_fma_f32 v17, v16, v17, 0.5
	v_mul_f32_e32 v17, v16, v17
	s_delay_alu instid0(VALU_DEP_1) | instskip(NEXT) | instid1(VALU_DEP_1)
	v_dual_fmac_f32 v16, v16, v17 :: v_dual_add_f32 v17, -1.0, v15
	v_fmac_f32_e32 v17, v15, v16
	s_delay_alu instid0(VALU_DEP_1) | instskip(NEXT) | instid1(VALU_DEP_1)
	v_add_f32_e32 v15, v17, v17
	v_cndmask_b32_e64 v15, v17, v15, s3
	v_cmp_nlt_f32_e64 s3, 0x42b17217, v14
	s_delay_alu instid0(VALU_DEP_1) | instskip(SKIP_1) | instid1(VALU_DEP_2)
	v_cndmask_b32_e64 v14, 0x7f800000, v15, s3
	v_cmp_ngt_f16_e64 s3, 0xcc40, v13
	v_cvt_f16_f32_e32 v14, v14
	s_delay_alu instid0(VALU_DEP_1)
	v_cndmask_b32_e64 v13, 0xbc00, v14, s3
	global_store_b16 v[3:4], v13, off
	s_or_b32 exec_lo, exec_lo, s4
	s_and_saveexec_b32 s3, s2
	s_cbranch_execz .LBB152_14
.LBB152_18:                             ;   in Loop: Header=BB152_4 Depth=1
	s_waitcnt vmcnt(0)
	v_cvt_f32_f16_e32 v13, v12
	s_delay_alu instid0(VALU_DEP_1) | instskip(NEXT) | instid1(VALU_DEP_1)
	v_mul_f32_e32 v14, 0x3fb8aa3b, v13
	v_rndne_f32_e32 v14, v14
	s_delay_alu instid0(VALU_DEP_1) | instskip(SKIP_2) | instid1(VALU_DEP_3)
	v_fma_mix_f32 v15, v14, s19, v12 op_sel_hi:[0,0,1]
	v_cvt_i32_f32_e32 v17, v14
	v_cmp_eq_f32_e64 s2, 0x43000000, v14
	v_fmac_f32_e32 v15, 0x3102e308, v14
	s_delay_alu instid0(VALU_DEP_2) | instskip(NEXT) | instid1(VALU_DEP_1)
	v_cndmask_b32_e64 v14, v17, 0x7f, s2
	v_ldexp_f32 v14, 1.0, v14
	s_delay_alu instid0(VALU_DEP_1) | instskip(NEXT) | instid1(VALU_DEP_1)
	v_dual_fmaak_f32 v16, s20, v15, 0x3ab69700 :: v_dual_add_f32 v17, -1.0, v14
	v_fmaak_f32 v16, v15, v16, 0x3c0887f9
	s_delay_alu instid0(VALU_DEP_1) | instskip(NEXT) | instid1(VALU_DEP_1)
	v_fmaak_f32 v16, v15, v16, 0x3d2aaa81
	v_fmaak_f32 v16, v15, v16, 0x3e2aaaab
	s_delay_alu instid0(VALU_DEP_1) | instskip(NEXT) | instid1(VALU_DEP_1)
	v_fma_f32 v16, v15, v16, 0.5
	v_mul_f32_e32 v16, v15, v16
	s_delay_alu instid0(VALU_DEP_1) | instskip(NEXT) | instid1(VALU_DEP_1)
	v_fmac_f32_e32 v15, v15, v16
	v_fmac_f32_e32 v17, v14, v15
	s_delay_alu instid0(VALU_DEP_1) | instskip(NEXT) | instid1(VALU_DEP_1)
	v_add_f32_e32 v14, v17, v17
	v_cndmask_b32_e64 v14, v17, v14, s2
	v_cmp_nlt_f32_e64 s2, 0x42b17217, v13
	s_delay_alu instid0(VALU_DEP_1) | instskip(SKIP_1) | instid1(VALU_DEP_2)
	v_cndmask_b32_e64 v13, 0x7f800000, v14, s2
	v_cmp_ngt_f16_e64 s2, 0xcc40, v12
	v_cvt_f16_f32_e32 v13, v13
	s_delay_alu instid0(VALU_DEP_1) | instskip(SKIP_1) | instid1(VALU_DEP_1)
	v_cndmask_b32_e64 v14, 0xbc00, v13, s2
	v_add_co_u32 v12, s2, v1, s16
	v_add_co_ci_u32_e64 v13, s2, 0, v2, s2
	global_store_b16 v[12:13], v14, off
	s_or_b32 exec_lo, exec_lo, s3
	s_and_saveexec_b32 s2, vcc_lo
	s_cbranch_execz .LBB152_3
.LBB152_19:                             ;   in Loop: Header=BB152_4 Depth=1
	s_waitcnt vmcnt(0)
	v_cvt_f32_f16_e32 v12, v11
	s_delay_alu instid0(VALU_DEP_1) | instskip(NEXT) | instid1(VALU_DEP_1)
	v_mul_f32_e32 v13, 0x3fb8aa3b, v12
	v_rndne_f32_e32 v13, v13
	s_delay_alu instid0(VALU_DEP_1) | instskip(SKIP_2) | instid1(VALU_DEP_3)
	v_fma_mix_f32 v14, v13, s19, v11 op_sel_hi:[0,0,1]
	v_cvt_i32_f32_e32 v16, v13
	v_cmp_eq_f32_e32 vcc_lo, 0x43000000, v13
	v_fmac_f32_e32 v14, 0x3102e308, v13
	s_delay_alu instid0(VALU_DEP_3) | instskip(NEXT) | instid1(VALU_DEP_1)
	v_cndmask_b32_e64 v13, v16, 0x7f, vcc_lo
	v_ldexp_f32 v13, 1.0, v13
	s_delay_alu instid0(VALU_DEP_1) | instskip(NEXT) | instid1(VALU_DEP_1)
	v_dual_fmaak_f32 v15, s20, v14, 0x3ab69700 :: v_dual_add_f32 v16, -1.0, v13
	v_fmaak_f32 v15, v14, v15, 0x3c0887f9
	s_delay_alu instid0(VALU_DEP_1) | instskip(NEXT) | instid1(VALU_DEP_1)
	v_fmaak_f32 v15, v14, v15, 0x3d2aaa81
	v_fmaak_f32 v15, v14, v15, 0x3e2aaaab
	s_delay_alu instid0(VALU_DEP_1) | instskip(NEXT) | instid1(VALU_DEP_1)
	v_fma_f32 v15, v14, v15, 0.5
	v_mul_f32_e32 v15, v14, v15
	s_delay_alu instid0(VALU_DEP_1) | instskip(NEXT) | instid1(VALU_DEP_1)
	v_fmac_f32_e32 v14, v14, v15
	v_fmac_f32_e32 v16, v13, v14
	s_delay_alu instid0(VALU_DEP_1) | instskip(NEXT) | instid1(VALU_DEP_1)
	v_add_f32_e32 v13, v16, v16
	v_cndmask_b32_e32 v13, v16, v13, vcc_lo
	v_cmp_nlt_f32_e32 vcc_lo, 0x42b17217, v12
	s_delay_alu instid0(VALU_DEP_2) | instskip(SKIP_1) | instid1(VALU_DEP_2)
	v_cndmask_b32_e32 v12, 0x7f800000, v13, vcc_lo
	v_cmp_ngt_f16_e32 vcc_lo, 0xcc40, v11
	v_cvt_f16_f32_e32 v12, v12
	s_delay_alu instid0(VALU_DEP_1)
	v_cndmask_b32_e32 v13, 0xbc00, v12, vcc_lo
	v_add_co_u32 v11, vcc_lo, v1, s17
	v_add_co_ci_u32_e32 v12, vcc_lo, 0, v2, vcc_lo
	global_store_b16 v[11:12], v13, off
	s_branch .LBB152_3
.LBB152_20:
	s_cbranch_execz .LBB152_22
	s_branch .LBB152_25
.LBB152_21:
.LBB152_22:
	v_dual_mov_b32 v2, 0 :: v_dual_lshlrev_b32 v1, 2, v0
	s_mov_b32 s3, 0
	s_mov_b32 s2, exec_lo
	s_delay_alu instid0(VALU_DEP_1)
	v_cmpx_gt_i64_e64 s[6:7], v[1:2]
	s_cbranch_execz .LBB152_25
; %bb.23:
	s_load_b32 s0, s[0:1], 0xd3c
	v_lshlrev_b32_e32 v1, 3, v0
	s_waitcnt lgkmcnt(0)
	s_and_b32 s0, s0, 0xffff
	s_delay_alu instid0(SALU_CYCLE_1) | instskip(SKIP_3) | instid1(VALU_DEP_1)
	s_lshl_b32 s4, s0, 2
	s_add_u32 s1, s8, s10
	s_addc_u32 s2, s9, s11
	v_add_co_u32 v3, s1, s1, v1
	v_add_co_ci_u32_e64 v4, null, s2, 0, s1
	v_add_lshl_u32 v1, v0, s0, 2
	s_delay_alu instid0(VALU_DEP_3) | instskip(NEXT) | instid1(VALU_DEP_3)
	v_add_co_u32 v3, vcc_lo, v3, 4
	v_add_co_ci_u32_e32 v4, vcc_lo, 0, v4, vcc_lo
	s_lshl_b32 s5, s0, 3
	s_mov_b32 s8, 0xbf317218
	s_mov_b32 s9, 0x395133b1
.LBB152_24:                             ; =>This Inner Loop Header: Depth=1
	global_load_b64 v[5:6], v[3:4], off offset:-4
	s_waitcnt vmcnt(0)
	v_cvt_f32_f16_e32 v0, v5
	v_lshrrev_b32_e32 v9, 16, v6
	v_cvt_f32_f16_e32 v8, v6
	v_lshrrev_b32_e32 v7, 16, v5
	s_delay_alu instid0(VALU_DEP_3) | instskip(SKIP_1) | instid1(VALU_DEP_3)
	v_cvt_f32_f16_e32 v13, v9
	v_mul_f32_e32 v10, 0x3fb8aa3b, v0
	v_cvt_f32_f16_e32 v11, v7
	s_delay_alu instid0(VALU_DEP_3) | instskip(NEXT) | instid1(VALU_DEP_3)
	v_mul_f32_e32 v15, 0x3fb8aa3b, v13
	v_rndne_f32_e32 v10, v10
	s_delay_alu instid0(VALU_DEP_2) | instskip(NEXT) | instid1(VALU_DEP_2)
	v_rndne_f32_e32 v15, v15
	v_fma_mix_f32 v16, v10, s8, v5 op_sel_hi:[0,0,1]
	v_cvt_i32_f32_e32 v17, v10
	v_cmp_eq_f32_e32 vcc_lo, 0x43000000, v10
	s_delay_alu instid0(VALU_DEP_4) | instskip(NEXT) | instid1(VALU_DEP_4)
	v_cvt_i32_f32_e32 v21, v15
	v_fmac_f32_e32 v16, 0x3102e308, v10
	v_mul_f32_e32 v12, 0x3fb8aa3b, v8
	v_cndmask_b32_e64 v10, v17, 0x7f, vcc_lo
	v_cmp_eq_f32_e64 s2, 0x43000000, v15
	s_delay_alu instid0(VALU_DEP_3) | instskip(NEXT) | instid1(VALU_DEP_3)
	v_rndne_f32_e32 v12, v12
	v_ldexp_f32 v10, 1.0, v10
	s_delay_alu instid0(VALU_DEP_2) | instskip(SKIP_2) | instid1(VALU_DEP_3)
	v_fma_mix_f32 v18, v12, s8, v6 op_sel_hi:[0,0,1]
	v_cvt_i32_f32_e32 v19, v12
	v_cmp_eq_f32_e64 s0, 0x43000000, v12
	v_fmac_f32_e32 v18, 0x3102e308, v12
	s_delay_alu instid0(VALU_DEP_2) | instskip(SKIP_1) | instid1(VALU_DEP_2)
	v_cndmask_b32_e64 v12, v19, 0x7f, s0
	v_fma_mix_f32 v19, v15, s8, v6 op_sel:[0,0,1] op_sel_hi:[0,0,1]
	v_ldexp_f32 v12, 1.0, v12
	v_mul_f32_e32 v14, 0x3fb8aa3b, v11
	s_delay_alu instid0(VALU_DEP_3)
	v_fmac_f32_e32 v19, 0x3102e308, v15
	v_fmaak_f32 v22, s9, v16, 0x3ab69700
	v_cndmask_b32_e64 v15, v21, 0x7f, s2
	v_add_f32_e32 v25, -1.0, v12
	v_rndne_f32_e32 v14, v14
	v_fmaak_f32 v23, s9, v19, 0x3ab69700
	s_delay_alu instid0(VALU_DEP_4) | instskip(NEXT) | instid1(VALU_DEP_3)
	v_ldexp_f32 v15, 1.0, v15
	v_fma_mix_f32 v17, v14, s8, v5 op_sel:[0,0,1] op_sel_hi:[0,0,1]
	v_cvt_i32_f32_e32 v20, v14
	v_cmp_eq_f32_e64 s1, 0x43000000, v14
	v_fmaak_f32 v23, v19, v23, 0x3c0887f9
	s_delay_alu instid0(VALU_DEP_4)
	v_fmac_f32_e32 v17, 0x3102e308, v14
	v_fmaak_f32 v21, v16, v22, 0x3c0887f9
	v_add_f32_e32 v24, -1.0, v10
	v_cndmask_b32_e64 v14, v20, 0x7f, s1
	v_fmaak_f32 v23, v19, v23, 0x3d2aaa81
	v_fmaak_f32 v22, s9, v17, 0x3ab69700
	v_fmaak_f32 v21, v16, v21, 0x3d2aaa81
	s_delay_alu instid0(VALU_DEP_4) | instskip(NEXT) | instid1(VALU_DEP_4)
	v_ldexp_f32 v14, 1.0, v14
	v_fmaak_f32 v23, v19, v23, 0x3e2aaaab
	s_delay_alu instid0(VALU_DEP_4) | instskip(NEXT) | instid1(VALU_DEP_3)
	v_fmaak_f32 v22, v17, v22, 0x3c0887f9
	v_dual_fmaak_f32 v21, v16, v21, 0x3e2aaaab :: v_dual_add_f32 v26, -1.0, v14
	s_delay_alu instid0(VALU_DEP_3) | instskip(NEXT) | instid1(VALU_DEP_3)
	v_fma_f32 v23, v19, v23, 0.5
	v_fmaak_f32 v22, v17, v22, 0x3d2aaa81
	s_delay_alu instid0(VALU_DEP_3) | instskip(NEXT) | instid1(VALU_DEP_1)
	v_fma_f32 v21, v16, v21, 0.5
	v_dual_fmaak_f32 v22, v17, v22, 0x3e2aaaab :: v_dual_mul_f32 v21, v16, v21
	s_delay_alu instid0(VALU_DEP_1) | instskip(NEXT) | instid1(VALU_DEP_1)
	v_fma_f32 v22, v17, v22, 0.5
	v_dual_fmac_f32 v16, v16, v21 :: v_dual_mul_f32 v21, v17, v22
	v_fmaak_f32 v20, s9, v18, 0x3ab69700
	s_delay_alu instid0(VALU_DEP_2) | instskip(NEXT) | instid1(VALU_DEP_3)
	v_fmac_f32_e32 v24, v10, v16
	v_dual_mul_f32 v22, v19, v23 :: v_dual_fmac_f32 v17, v17, v21
	s_delay_alu instid0(VALU_DEP_3) | instskip(NEXT) | instid1(VALU_DEP_2)
	v_fmaak_f32 v20, v18, v20, 0x3c0887f9
	v_dual_add_f32 v10, v24, v24 :: v_dual_fmac_f32 v19, v19, v22
	s_delay_alu instid0(VALU_DEP_3) | instskip(NEXT) | instid1(VALU_DEP_3)
	v_fmac_f32_e32 v26, v14, v17
	v_fmaak_f32 v20, v18, v20, 0x3d2aaa81
	s_delay_alu instid0(VALU_DEP_3) | instskip(SKIP_1) | instid1(VALU_DEP_4)
	v_cndmask_b32_e32 v10, v24, v10, vcc_lo
	v_cmp_nlt_f32_e32 vcc_lo, 0x42b17217, v0
	v_add_f32_e32 v14, v26, v26
	s_delay_alu instid0(VALU_DEP_4) | instskip(NEXT) | instid1(VALU_DEP_4)
	v_fmaak_f32 v20, v18, v20, 0x3e2aaaab
	v_cndmask_b32_e32 v0, 0x7f800000, v10, vcc_lo
	v_cmp_nlt_f32_e32 vcc_lo, 0x42b17217, v8
	s_delay_alu instid0(VALU_DEP_4) | instskip(NEXT) | instid1(VALU_DEP_4)
	v_cndmask_b32_e64 v10, v26, v14, s1
	v_fma_f32 v20, v18, v20, 0.5
	s_delay_alu instid0(VALU_DEP_4) | instskip(NEXT) | instid1(VALU_DEP_2)
	v_cvt_f16_f32_e32 v0, v0
	v_mul_f32_e32 v20, v18, v20
	s_delay_alu instid0(VALU_DEP_1) | instskip(NEXT) | instid1(VALU_DEP_1)
	v_fmac_f32_e32 v18, v18, v20
	v_dual_add_f32 v20, -1.0, v15 :: v_dual_fmac_f32 v25, v12, v18
	s_delay_alu instid0(VALU_DEP_1) | instskip(NEXT) | instid1(VALU_DEP_1)
	v_fmac_f32_e32 v20, v15, v19
	v_dual_add_f32 v12, v25, v25 :: v_dual_add_f32 v15, v20, v20
	s_delay_alu instid0(VALU_DEP_1) | instskip(NEXT) | instid1(VALU_DEP_2)
	v_cndmask_b32_e64 v12, v25, v12, s0
	v_cndmask_b32_e64 v14, v20, v15, s2
	v_cmp_lt_u64_e64 s0, 0xffff, v[1:2]
	s_delay_alu instid0(VALU_DEP_3) | instskip(SKIP_1) | instid1(VALU_DEP_2)
	v_cndmask_b32_e32 v8, 0x7f800000, v12, vcc_lo
	v_cmp_nlt_f32_e32 vcc_lo, 0x42b17217, v13
	v_cvt_f16_f32_e32 v8, v8
	v_cndmask_b32_e32 v12, 0x7f800000, v14, vcc_lo
	v_cmp_nlt_f32_e32 vcc_lo, 0x42b17217, v11
	v_cndmask_b32_e32 v10, 0x7f800000, v10, vcc_lo
	v_cmp_ngt_f16_e32 vcc_lo, 0xcc40, v5
	s_delay_alu instid0(VALU_DEP_4) | instskip(NEXT) | instid1(VALU_DEP_3)
	v_cvt_f16_f32_e32 v5, v12
	v_cvt_f16_f32_e32 v10, v10
	v_cndmask_b32_e32 v0, 0xbc00, v0, vcc_lo
	v_cmp_ngt_f16_e32 vcc_lo, 0xcc40, v6
	v_cndmask_b32_e32 v6, 0xbc00, v8, vcc_lo
	v_cmp_ngt_f16_e32 vcc_lo, 0xcc40, v9
	;; [unrolled: 2-line block ×3, first 2 shown]
	s_delay_alu instid0(VALU_DEP_2) | instskip(SKIP_3) | instid1(VALU_DEP_1)
	v_pack_b32_f16 v6, v6, v5
	v_cndmask_b32_e32 v7, 0xbc00, v10, vcc_lo
	v_cmp_le_i64_e32 vcc_lo, s[6:7], v[1:2]
	v_add_co_u32 v1, s1, v1, s4
	v_add_co_ci_u32_e64 v2, s1, 0, v2, s1
	s_delay_alu instid0(VALU_DEP_4) | instskip(SKIP_1) | instid1(SALU_CYCLE_1)
	v_pack_b32_f16 v5, v0, v7
	s_or_b32 s0, vcc_lo, s0
	s_and_b32 s0, exec_lo, s0
	global_store_b64 v[3:4], v[5:6], off offset:-4
	v_add_co_u32 v3, vcc_lo, v3, s5
	v_add_co_ci_u32_e32 v4, vcc_lo, 0, v4, vcc_lo
	s_or_b32 s3, s0, s3
	s_delay_alu instid0(SALU_CYCLE_1)
	s_and_not1_b32 exec_lo, exec_lo, s3
	s_cbranch_execnz .LBB152_24
.LBB152_25:
	s_nop 0
	s_sendmsg sendmsg(MSG_DEALLOC_VGPRS)
	s_endpgm
	.section	.rodata,"a",@progbits
	.p2align	6, 0x0
	.amdhsa_kernel _ZN2at6native12_GLOBAL__N_125multi_tensor_apply_kernelINS1_18TensorListMetadataILi1EEENS1_14UnaryOpFunctorIN3c104HalfELi1ELi1ELi0EEEJNS0_5Expm1IfEEEEEvT_T0_DpT1_
		.amdhsa_group_segment_fixed_size 0
		.amdhsa_private_segment_fixed_size 0
		.amdhsa_kernarg_size 3632
		.amdhsa_user_sgpr_count 15
		.amdhsa_user_sgpr_dispatch_ptr 0
		.amdhsa_user_sgpr_queue_ptr 0
		.amdhsa_user_sgpr_kernarg_segment_ptr 1
		.amdhsa_user_sgpr_dispatch_id 0
		.amdhsa_user_sgpr_private_segment_size 0
		.amdhsa_wavefront_size32 1
		.amdhsa_uses_dynamic_stack 0
		.amdhsa_enable_private_segment 0
		.amdhsa_system_sgpr_workgroup_id_x 1
		.amdhsa_system_sgpr_workgroup_id_y 0
		.amdhsa_system_sgpr_workgroup_id_z 0
		.amdhsa_system_sgpr_workgroup_info 0
		.amdhsa_system_vgpr_workitem_id 0
		.amdhsa_next_free_vgpr 27
		.amdhsa_next_free_sgpr 22
		.amdhsa_reserve_vcc 1
		.amdhsa_float_round_mode_32 0
		.amdhsa_float_round_mode_16_64 0
		.amdhsa_float_denorm_mode_32 3
		.amdhsa_float_denorm_mode_16_64 3
		.amdhsa_dx10_clamp 1
		.amdhsa_ieee_mode 1
		.amdhsa_fp16_overflow 0
		.amdhsa_workgroup_processor_mode 1
		.amdhsa_memory_ordered 1
		.amdhsa_forward_progress 0
		.amdhsa_shared_vgpr_count 0
		.amdhsa_exception_fp_ieee_invalid_op 0
		.amdhsa_exception_fp_denorm_src 0
		.amdhsa_exception_fp_ieee_div_zero 0
		.amdhsa_exception_fp_ieee_overflow 0
		.amdhsa_exception_fp_ieee_underflow 0
		.amdhsa_exception_fp_ieee_inexact 0
		.amdhsa_exception_int_div_zero 0
	.end_amdhsa_kernel
	.section	.text._ZN2at6native12_GLOBAL__N_125multi_tensor_apply_kernelINS1_18TensorListMetadataILi1EEENS1_14UnaryOpFunctorIN3c104HalfELi1ELi1ELi0EEEJNS0_5Expm1IfEEEEEvT_T0_DpT1_,"axG",@progbits,_ZN2at6native12_GLOBAL__N_125multi_tensor_apply_kernelINS1_18TensorListMetadataILi1EEENS1_14UnaryOpFunctorIN3c104HalfELi1ELi1ELi0EEEJNS0_5Expm1IfEEEEEvT_T0_DpT1_,comdat
.Lfunc_end152:
	.size	_ZN2at6native12_GLOBAL__N_125multi_tensor_apply_kernelINS1_18TensorListMetadataILi1EEENS1_14UnaryOpFunctorIN3c104HalfELi1ELi1ELi0EEEJNS0_5Expm1IfEEEEEvT_T0_DpT1_, .Lfunc_end152-_ZN2at6native12_GLOBAL__N_125multi_tensor_apply_kernelINS1_18TensorListMetadataILi1EEENS1_14UnaryOpFunctorIN3c104HalfELi1ELi1ELi0EEEJNS0_5Expm1IfEEEEEvT_T0_DpT1_
                                        ; -- End function
	.section	.AMDGPU.csdata,"",@progbits
; Kernel info:
; codeLenInByte = 2784
; NumSgprs: 24
; NumVgprs: 27
; ScratchSize: 0
; MemoryBound: 0
; FloatMode: 240
; IeeeMode: 1
; LDSByteSize: 0 bytes/workgroup (compile time only)
; SGPRBlocks: 2
; VGPRBlocks: 3
; NumSGPRsForWavesPerEU: 24
; NumVGPRsForWavesPerEU: 27
; Occupancy: 16
; WaveLimiterHint : 0
; COMPUTE_PGM_RSRC2:SCRATCH_EN: 0
; COMPUTE_PGM_RSRC2:USER_SGPR: 15
; COMPUTE_PGM_RSRC2:TRAP_HANDLER: 0
; COMPUTE_PGM_RSRC2:TGID_X_EN: 1
; COMPUTE_PGM_RSRC2:TGID_Y_EN: 0
; COMPUTE_PGM_RSRC2:TGID_Z_EN: 0
; COMPUTE_PGM_RSRC2:TIDIG_COMP_CNT: 0
	.section	.text._ZN2at6native12_GLOBAL__N_125multi_tensor_apply_kernelINS1_18TensorListMetadataILi1EEENS1_14UnaryOpFunctorIN3c108BFloat16ELi1ELi1ELi0EEEJNS0_5Expm1IfEEEEEvT_T0_DpT1_,"axG",@progbits,_ZN2at6native12_GLOBAL__N_125multi_tensor_apply_kernelINS1_18TensorListMetadataILi1EEENS1_14UnaryOpFunctorIN3c108BFloat16ELi1ELi1ELi0EEEJNS0_5Expm1IfEEEEEvT_T0_DpT1_,comdat
	.globl	_ZN2at6native12_GLOBAL__N_125multi_tensor_apply_kernelINS1_18TensorListMetadataILi1EEENS1_14UnaryOpFunctorIN3c108BFloat16ELi1ELi1ELi0EEEJNS0_5Expm1IfEEEEEvT_T0_DpT1_ ; -- Begin function _ZN2at6native12_GLOBAL__N_125multi_tensor_apply_kernelINS1_18TensorListMetadataILi1EEENS1_14UnaryOpFunctorIN3c108BFloat16ELi1ELi1ELi0EEEJNS0_5Expm1IfEEEEEvT_T0_DpT1_
	.p2align	8
	.type	_ZN2at6native12_GLOBAL__N_125multi_tensor_apply_kernelINS1_18TensorListMetadataILi1EEENS1_14UnaryOpFunctorIN3c108BFloat16ELi1ELi1ELi0EEEJNS0_5Expm1IfEEEEEvT_T0_DpT1_,@function
_ZN2at6native12_GLOBAL__N_125multi_tensor_apply_kernelINS1_18TensorListMetadataILi1EEENS1_14UnaryOpFunctorIN3c108BFloat16ELi1ELi1ELi0EEEJNS0_5Expm1IfEEEEEvT_T0_DpT1_: ; @_ZN2at6native12_GLOBAL__N_125multi_tensor_apply_kernelINS1_18TensorListMetadataILi1EEENS1_14UnaryOpFunctorIN3c108BFloat16ELi1ELi1ELi0EEEJNS0_5Expm1IfEEEEEvT_T0_DpT1_
; %bb.0:
	v_mov_b32_e32 v1, s15
	s_add_u32 s2, s0, s15
	s_mul_hi_u32 s3, s15, 3
	s_mul_i32 s15, s15, 3
	s_addc_u32 s4, s1, 0
	global_load_u8 v1, v1, s[0:1] offset:1760
	s_add_u32 s2, s2, s15
	s_addc_u32 s3, s4, s3
	s_mov_b32 s13, 0
	s_load_b32 s2, s[2:3], 0x820
	s_waitcnt vmcnt(0)
	v_readfirstlane_b32 s5, v1
	s_delay_alu instid0(VALU_DEP_1)
	s_lshl_b32 s3, s5, 3
	s_clause 0x1
	s_load_b64 s[8:9], s[0:1], s3 offset:0x0
	s_load_b64 s[4:5], s[0:1], s3 offset:0x370
	s_waitcnt lgkmcnt(0)
	s_ashr_i32 s3, s2, 31
	s_delay_alu instid0(SALU_CYCLE_1)
	s_lshl_b64 s[10:11], s[2:3], 17
	s_lshl_b64 s[2:3], s[2:3], 16
	s_and_b32 s12, s8, 7
	s_sub_u32 s6, s4, s2
	s_subb_u32 s7, s5, s3
	s_and_b32 s2, s4, 3
	s_mov_b32 s3, s13
	s_delay_alu instid0(SALU_CYCLE_1) | instskip(NEXT) | instid1(SALU_CYCLE_1)
	s_or_b64 s[2:3], s[12:13], s[2:3]
	s_cmp_eq_u64 s[2:3], 0
	s_cbranch_scc1 .LBB153_21
; %bb.1:
	v_cmp_lt_i64_e64 s2, s[6:7], 1
	s_delay_alu instid0(VALU_DEP_1)
	s_and_b32 vcc_lo, exec_lo, s2
	s_cbranch_vccnz .LBB153_20
; %bb.2:
	s_load_b32 s2, s[0:1], 0xd3c
	v_cmp_gt_u64_e64 s3, 0x10000, s[6:7]
	v_lshlrev_b32_e32 v1, 1, v0
	s_mov_b32 s19, 0x395133b1
	s_waitcnt lgkmcnt(0)
	s_and_b32 s2, s2, 0xffff
	s_delay_alu instid0(VALU_DEP_2)
	s_and_b32 s3, s3, exec_lo
	v_add_co_u32 v5, s5, v0, s2
	s_cselect_b32 s13, s7, 0
	s_cselect_b32 s12, s6, 0x10000
	s_lshl_b32 s3, s2, 1
	s_lshl_b32 s16, s2, 2
	v_lshlrev_b32_e32 v3, 1, v5
	v_add_co_ci_u32_e64 v6, null, 0, 0, s5
	s_add_u32 s5, s8, s10
	v_add_co_u32 v9, s3, s3, v0
	s_mul_i32 s4, s2, 3
	s_addc_u32 s14, s9, s11
	v_add_co_ci_u32_e64 v10, null, 0, 0, s3
	v_add_co_u32 v1, s3, s5, v1
	v_add_co_u32 v7, s4, s4, v0
	v_add_co_ci_u32_e64 v2, null, s14, 0, s3
	v_add_co_u32 v3, s3, s5, v3
	v_add_co_ci_u32_e64 v8, null, 0, 0, s4
	v_add_co_ci_u32_e64 v4, null, s14, 0, s3
	s_lshl_b32 s17, s2, 3
	s_mul_i32 s18, s2, 6
	s_mov_b64 s[14:15], 0
	s_branch .LBB153_4
.LBB153_3:                              ;   in Loop: Header=BB153_4 Depth=1
	s_or_b32 exec_lo, exec_lo, s2
	s_add_u32 s14, s14, s16
	s_addc_u32 s15, s15, 0
	v_add_co_u32 v1, vcc_lo, v1, s17
	v_cmp_lt_i64_e64 s2, s[14:15], s[6:7]
	v_cmp_gt_u64_e64 s3, 0x10000, s[14:15]
	v_add_co_ci_u32_e32 v2, vcc_lo, 0, v2, vcc_lo
	v_add_co_u32 v3, vcc_lo, v3, s17
	v_add_co_ci_u32_e32 v4, vcc_lo, 0, v4, vcc_lo
	s_delay_alu instid0(VALU_DEP_4) | instskip(NEXT) | instid1(SALU_CYCLE_1)
	s_and_b32 s2, s2, s3
	s_and_b32 vcc_lo, exec_lo, s2
	s_cbranch_vccz .LBB153_20
.LBB153_4:                              ; =>This Inner Loop Header: Depth=1
	s_waitcnt vmcnt(0)
	v_add_co_u32 v11, s2, v0, s14
	s_delay_alu instid0(VALU_DEP_1) | instskip(SKIP_1) | instid1(VALU_DEP_2)
	v_add_co_ci_u32_e64 v12, null, 0, s15, s2
	v_mov_b32_e32 v14, 0
	v_cmp_gt_u64_e64 s4, s[12:13], v[11:12]
	s_delay_alu instid0(VALU_DEP_1)
	s_and_saveexec_b32 s2, s4
	s_cbranch_execz .LBB153_6
; %bb.5:                                ;   in Loop: Header=BB153_4 Depth=1
	global_load_u16 v14, v[1:2], off
.LBB153_6:                              ;   in Loop: Header=BB153_4 Depth=1
	s_or_b32 exec_lo, exec_lo, s2
	v_add_co_u32 v11, vcc_lo, v5, s14
	v_add_co_ci_u32_e32 v12, vcc_lo, s15, v6, vcc_lo
	v_mov_b32_e32 v13, 0
	s_delay_alu instid0(VALU_DEP_2) | instskip(NEXT) | instid1(VALU_DEP_1)
	v_cmp_gt_u64_e64 s3, s[12:13], v[11:12]
	s_and_saveexec_b32 s2, s3
	s_cbranch_execz .LBB153_8
; %bb.7:                                ;   in Loop: Header=BB153_4 Depth=1
	global_load_u16 v13, v[3:4], off
.LBB153_8:                              ;   in Loop: Header=BB153_4 Depth=1
	s_or_b32 exec_lo, exec_lo, s2
	v_add_co_u32 v11, vcc_lo, v9, s14
	v_add_co_ci_u32_e32 v12, vcc_lo, s15, v10, vcc_lo
	s_delay_alu instid0(VALU_DEP_1) | instskip(SKIP_1) | instid1(VALU_DEP_2)
	v_cmp_gt_u64_e64 s2, s[12:13], v[11:12]
	v_dual_mov_b32 v11, 0 :: v_dual_mov_b32 v12, 0
	s_and_saveexec_b32 s5, s2
	s_cbranch_execz .LBB153_10
; %bb.9:                                ;   in Loop: Header=BB153_4 Depth=1
	v_add_co_u32 v15, vcc_lo, v1, s16
	v_add_co_ci_u32_e32 v16, vcc_lo, 0, v2, vcc_lo
	global_load_u16 v12, v[15:16], off
.LBB153_10:                             ;   in Loop: Header=BB153_4 Depth=1
	s_or_b32 exec_lo, exec_lo, s5
	v_add_co_u32 v15, vcc_lo, v7, s14
	v_add_co_ci_u32_e32 v16, vcc_lo, s15, v8, vcc_lo
	s_delay_alu instid0(VALU_DEP_1)
	v_cmp_gt_u64_e32 vcc_lo, s[12:13], v[15:16]
	s_and_saveexec_b32 s20, vcc_lo
	s_cbranch_execnz .LBB153_15
; %bb.11:                               ;   in Loop: Header=BB153_4 Depth=1
	s_or_b32 exec_lo, exec_lo, s20
	s_and_saveexec_b32 s5, s4
	s_cbranch_execnz .LBB153_16
.LBB153_12:                             ;   in Loop: Header=BB153_4 Depth=1
	s_or_b32 exec_lo, exec_lo, s5
	s_and_saveexec_b32 s4, s3
	s_cbranch_execnz .LBB153_17
.LBB153_13:                             ;   in Loop: Header=BB153_4 Depth=1
	s_or_b32 exec_lo, exec_lo, s4
	s_and_saveexec_b32 s3, s2
	s_cbranch_execnz .LBB153_18
.LBB153_14:                             ;   in Loop: Header=BB153_4 Depth=1
	s_or_b32 exec_lo, exec_lo, s3
	s_and_saveexec_b32 s2, vcc_lo
	s_cbranch_execz .LBB153_3
	s_branch .LBB153_19
.LBB153_15:                             ;   in Loop: Header=BB153_4 Depth=1
	v_add_co_u32 v15, s5, v1, s18
	s_delay_alu instid0(VALU_DEP_1)
	v_add_co_ci_u32_e64 v16, s5, 0, v2, s5
	global_load_u16 v11, v[15:16], off
	s_or_b32 exec_lo, exec_lo, s20
	s_and_saveexec_b32 s5, s4
	s_cbranch_execz .LBB153_12
.LBB153_16:                             ;   in Loop: Header=BB153_4 Depth=1
	s_waitcnt vmcnt(0)
	v_lshlrev_b32_e32 v14, 16, v14
	s_delay_alu instid0(VALU_DEP_1) | instskip(NEXT) | instid1(VALU_DEP_1)
	v_mul_f32_e32 v15, 0x3fb8aa3b, v14
	v_rndne_f32_e32 v15, v15
	s_delay_alu instid0(VALU_DEP_1) | instskip(SKIP_2) | instid1(VALU_DEP_3)
	v_fmamk_f32 v16, v15, 0xbf317218, v14
	v_cvt_i32_f32_e32 v18, v15
	v_cmp_eq_f32_e64 s4, 0x43000000, v15
	v_fmac_f32_e32 v16, 0x3102e308, v15
	s_delay_alu instid0(VALU_DEP_2) | instskip(NEXT) | instid1(VALU_DEP_2)
	v_cndmask_b32_e64 v15, v18, 0x7f, s4
	v_fmaak_f32 v17, s19, v16, 0x3ab69700
	s_delay_alu instid0(VALU_DEP_2) | instskip(NEXT) | instid1(VALU_DEP_2)
	v_ldexp_f32 v15, 1.0, v15
	v_fmaak_f32 v17, v16, v17, 0x3c0887f9
	s_delay_alu instid0(VALU_DEP_1) | instskip(NEXT) | instid1(VALU_DEP_1)
	v_fmaak_f32 v17, v16, v17, 0x3d2aaa81
	v_fmaak_f32 v17, v16, v17, 0x3e2aaaab
	s_delay_alu instid0(VALU_DEP_1) | instskip(NEXT) | instid1(VALU_DEP_1)
	v_fma_f32 v17, v16, v17, 0.5
	v_mul_f32_e32 v17, v16, v17
	s_delay_alu instid0(VALU_DEP_1) | instskip(NEXT) | instid1(VALU_DEP_1)
	v_dual_fmac_f32 v16, v16, v17 :: v_dual_add_f32 v17, -1.0, v15
	v_fmac_f32_e32 v17, v15, v16
	s_delay_alu instid0(VALU_DEP_1) | instskip(NEXT) | instid1(VALU_DEP_1)
	v_add_f32_e32 v15, v17, v17
	v_cndmask_b32_e64 v15, v17, v15, s4
	v_cmp_nlt_f32_e64 s4, 0x42b17217, v14
	s_delay_alu instid0(VALU_DEP_1) | instskip(SKIP_1) | instid1(VALU_DEP_1)
	v_cndmask_b32_e64 v15, 0x7f800000, v15, s4
	v_cmp_ngt_f32_e64 s4, 0xc1880000, v14
	v_cndmask_b32_e64 v14, -1.0, v15, s4
	s_delay_alu instid0(VALU_DEP_1) | instskip(SKIP_1) | instid1(VALU_DEP_2)
	v_bfe_u32 v15, v14, 16, 1
	v_cmp_o_f32_e64 s4, v14, v14
	v_add3_u32 v15, v14, v15, 0x7fff
	s_delay_alu instid0(VALU_DEP_1) | instskip(NEXT) | instid1(VALU_DEP_1)
	v_lshrrev_b32_e32 v15, 16, v15
	v_cndmask_b32_e64 v14, 0x7fc0, v15, s4
	global_store_b16 v[1:2], v14, off
	s_or_b32 exec_lo, exec_lo, s5
	s_and_saveexec_b32 s4, s3
	s_cbranch_execz .LBB153_13
.LBB153_17:                             ;   in Loop: Header=BB153_4 Depth=1
	s_waitcnt vmcnt(0)
	v_lshlrev_b32_e32 v13, 16, v13
	s_delay_alu instid0(VALU_DEP_1) | instskip(NEXT) | instid1(VALU_DEP_1)
	v_mul_f32_e32 v14, 0x3fb8aa3b, v13
	v_rndne_f32_e32 v14, v14
	s_delay_alu instid0(VALU_DEP_1) | instskip(SKIP_2) | instid1(VALU_DEP_3)
	v_fmamk_f32 v15, v14, 0xbf317218, v13
	v_cvt_i32_f32_e32 v17, v14
	v_cmp_eq_f32_e64 s3, 0x43000000, v14
	v_fmac_f32_e32 v15, 0x3102e308, v14
	s_delay_alu instid0(VALU_DEP_2) | instskip(NEXT) | instid1(VALU_DEP_2)
	v_cndmask_b32_e64 v14, v17, 0x7f, s3
	v_fmaak_f32 v16, s19, v15, 0x3ab69700
	s_delay_alu instid0(VALU_DEP_2) | instskip(NEXT) | instid1(VALU_DEP_2)
	v_ldexp_f32 v14, 1.0, v14
	v_fmaak_f32 v16, v15, v16, 0x3c0887f9
	s_delay_alu instid0(VALU_DEP_1) | instskip(NEXT) | instid1(VALU_DEP_1)
	v_fmaak_f32 v16, v15, v16, 0x3d2aaa81
	v_fmaak_f32 v16, v15, v16, 0x3e2aaaab
	s_delay_alu instid0(VALU_DEP_1) | instskip(NEXT) | instid1(VALU_DEP_1)
	v_fma_f32 v16, v15, v16, 0.5
	v_mul_f32_e32 v16, v15, v16
	s_delay_alu instid0(VALU_DEP_1) | instskip(NEXT) | instid1(VALU_DEP_1)
	v_dual_fmac_f32 v15, v15, v16 :: v_dual_add_f32 v16, -1.0, v14
	v_fmac_f32_e32 v16, v14, v15
	s_delay_alu instid0(VALU_DEP_1) | instskip(NEXT) | instid1(VALU_DEP_1)
	v_add_f32_e32 v14, v16, v16
	v_cndmask_b32_e64 v14, v16, v14, s3
	v_cmp_nlt_f32_e64 s3, 0x42b17217, v13
	s_delay_alu instid0(VALU_DEP_1) | instskip(SKIP_1) | instid1(VALU_DEP_1)
	v_cndmask_b32_e64 v14, 0x7f800000, v14, s3
	v_cmp_ngt_f32_e64 s3, 0xc1880000, v13
	v_cndmask_b32_e64 v13, -1.0, v14, s3
	s_delay_alu instid0(VALU_DEP_1) | instskip(SKIP_1) | instid1(VALU_DEP_2)
	v_bfe_u32 v14, v13, 16, 1
	v_cmp_o_f32_e64 s3, v13, v13
	v_add3_u32 v14, v13, v14, 0x7fff
	s_delay_alu instid0(VALU_DEP_1) | instskip(NEXT) | instid1(VALU_DEP_1)
	v_lshrrev_b32_e32 v14, 16, v14
	v_cndmask_b32_e64 v13, 0x7fc0, v14, s3
	global_store_b16 v[3:4], v13, off
	s_or_b32 exec_lo, exec_lo, s4
	s_and_saveexec_b32 s3, s2
	s_cbranch_execz .LBB153_14
.LBB153_18:                             ;   in Loop: Header=BB153_4 Depth=1
	s_waitcnt vmcnt(0)
	v_lshlrev_b32_e32 v12, 16, v12
	s_delay_alu instid0(VALU_DEP_1) | instskip(NEXT) | instid1(VALU_DEP_1)
	v_mul_f32_e32 v13, 0x3fb8aa3b, v12
	v_rndne_f32_e32 v13, v13
	s_delay_alu instid0(VALU_DEP_1) | instskip(SKIP_2) | instid1(VALU_DEP_3)
	v_fmamk_f32 v14, v13, 0xbf317218, v12
	v_cvt_i32_f32_e32 v16, v13
	v_cmp_eq_f32_e64 s2, 0x43000000, v13
	v_fmac_f32_e32 v14, 0x3102e308, v13
	s_delay_alu instid0(VALU_DEP_2) | instskip(NEXT) | instid1(VALU_DEP_2)
	v_cndmask_b32_e64 v13, v16, 0x7f, s2
	v_fmaak_f32 v15, s19, v14, 0x3ab69700
	s_delay_alu instid0(VALU_DEP_2) | instskip(NEXT) | instid1(VALU_DEP_1)
	v_ldexp_f32 v13, 1.0, v13
	v_dual_fmaak_f32 v15, v14, v15, 0x3c0887f9 :: v_dual_add_f32 v16, -1.0, v13
	s_delay_alu instid0(VALU_DEP_1) | instskip(NEXT) | instid1(VALU_DEP_1)
	v_fmaak_f32 v15, v14, v15, 0x3d2aaa81
	v_fmaak_f32 v15, v14, v15, 0x3e2aaaab
	s_delay_alu instid0(VALU_DEP_1) | instskip(NEXT) | instid1(VALU_DEP_1)
	v_fma_f32 v15, v14, v15, 0.5
	v_mul_f32_e32 v15, v14, v15
	s_delay_alu instid0(VALU_DEP_1) | instskip(NEXT) | instid1(VALU_DEP_1)
	v_fmac_f32_e32 v14, v14, v15
	v_fmac_f32_e32 v16, v13, v14
	s_delay_alu instid0(VALU_DEP_1) | instskip(NEXT) | instid1(VALU_DEP_1)
	v_add_f32_e32 v13, v16, v16
	v_cndmask_b32_e64 v13, v16, v13, s2
	v_cmp_nlt_f32_e64 s2, 0x42b17217, v12
	s_delay_alu instid0(VALU_DEP_1) | instskip(SKIP_1) | instid1(VALU_DEP_1)
	v_cndmask_b32_e64 v13, 0x7f800000, v13, s2
	v_cmp_ngt_f32_e64 s2, 0xc1880000, v12
	v_cndmask_b32_e64 v12, -1.0, v13, s2
	s_delay_alu instid0(VALU_DEP_1) | instskip(SKIP_1) | instid1(VALU_DEP_2)
	v_bfe_u32 v13, v12, 16, 1
	v_cmp_o_f32_e64 s2, v12, v12
	v_add3_u32 v13, v12, v13, 0x7fff
	s_delay_alu instid0(VALU_DEP_1) | instskip(NEXT) | instid1(VALU_DEP_1)
	v_lshrrev_b32_e32 v13, 16, v13
	v_cndmask_b32_e64 v14, 0x7fc0, v13, s2
	v_add_co_u32 v12, s2, v1, s16
	s_delay_alu instid0(VALU_DEP_1)
	v_add_co_ci_u32_e64 v13, s2, 0, v2, s2
	global_store_b16 v[12:13], v14, off
	s_or_b32 exec_lo, exec_lo, s3
	s_and_saveexec_b32 s2, vcc_lo
	s_cbranch_execz .LBB153_3
.LBB153_19:                             ;   in Loop: Header=BB153_4 Depth=1
	s_waitcnt vmcnt(0)
	v_lshlrev_b32_e32 v11, 16, v11
	s_delay_alu instid0(VALU_DEP_1) | instskip(NEXT) | instid1(VALU_DEP_1)
	v_mul_f32_e32 v12, 0x3fb8aa3b, v11
	v_rndne_f32_e32 v12, v12
	s_delay_alu instid0(VALU_DEP_1) | instskip(SKIP_2) | instid1(VALU_DEP_3)
	v_fmamk_f32 v13, v12, 0xbf317218, v11
	v_cvt_i32_f32_e32 v15, v12
	v_cmp_eq_f32_e32 vcc_lo, 0x43000000, v12
	v_fmac_f32_e32 v13, 0x3102e308, v12
	s_delay_alu instid0(VALU_DEP_3) | instskip(NEXT) | instid1(VALU_DEP_2)
	v_cndmask_b32_e64 v12, v15, 0x7f, vcc_lo
	v_fmaak_f32 v14, s19, v13, 0x3ab69700
	s_delay_alu instid0(VALU_DEP_2) | instskip(NEXT) | instid1(VALU_DEP_1)
	v_ldexp_f32 v12, 1.0, v12
	v_dual_fmaak_f32 v14, v13, v14, 0x3c0887f9 :: v_dual_add_f32 v15, -1.0, v12
	s_delay_alu instid0(VALU_DEP_1) | instskip(NEXT) | instid1(VALU_DEP_1)
	v_fmaak_f32 v14, v13, v14, 0x3d2aaa81
	v_fmaak_f32 v14, v13, v14, 0x3e2aaaab
	s_delay_alu instid0(VALU_DEP_1) | instskip(NEXT) | instid1(VALU_DEP_1)
	v_fma_f32 v14, v13, v14, 0.5
	v_mul_f32_e32 v14, v13, v14
	s_delay_alu instid0(VALU_DEP_1) | instskip(NEXT) | instid1(VALU_DEP_1)
	v_fmac_f32_e32 v13, v13, v14
	v_fmac_f32_e32 v15, v12, v13
	s_delay_alu instid0(VALU_DEP_1) | instskip(NEXT) | instid1(VALU_DEP_1)
	v_add_f32_e32 v12, v15, v15
	v_cndmask_b32_e32 v12, v15, v12, vcc_lo
	v_cmp_nlt_f32_e32 vcc_lo, 0x42b17217, v11
	s_delay_alu instid0(VALU_DEP_2) | instskip(SKIP_1) | instid1(VALU_DEP_2)
	v_cndmask_b32_e32 v12, 0x7f800000, v12, vcc_lo
	v_cmp_ngt_f32_e32 vcc_lo, 0xc1880000, v11
	v_cndmask_b32_e32 v11, -1.0, v12, vcc_lo
	s_delay_alu instid0(VALU_DEP_1) | instskip(SKIP_1) | instid1(VALU_DEP_2)
	v_bfe_u32 v12, v11, 16, 1
	v_cmp_o_f32_e32 vcc_lo, v11, v11
	v_add3_u32 v12, v11, v12, 0x7fff
	s_delay_alu instid0(VALU_DEP_1) | instskip(NEXT) | instid1(VALU_DEP_1)
	v_lshrrev_b32_e32 v12, 16, v12
	v_cndmask_b32_e32 v13, 0x7fc0, v12, vcc_lo
	v_add_co_u32 v11, vcc_lo, v1, s18
	v_add_co_ci_u32_e32 v12, vcc_lo, 0, v2, vcc_lo
	global_store_b16 v[11:12], v13, off
	s_branch .LBB153_3
.LBB153_20:
	s_cbranch_execz .LBB153_22
	s_branch .LBB153_25
.LBB153_21:
.LBB153_22:
	v_dual_mov_b32 v2, 0 :: v_dual_lshlrev_b32 v1, 2, v0
	s_mov_b32 s3, 0
	s_mov_b32 s2, exec_lo
	s_delay_alu instid0(VALU_DEP_1)
	v_cmpx_gt_i64_e64 s[6:7], v[1:2]
	s_cbranch_execz .LBB153_25
; %bb.23:
	s_load_b32 s0, s[0:1], 0xd3c
	v_lshlrev_b32_e32 v1, 3, v0
	s_waitcnt lgkmcnt(0)
	s_and_b32 s0, s0, 0xffff
	s_add_u32 s1, s8, s10
	s_addc_u32 s2, s9, s11
	v_add_co_u32 v3, s1, s1, v1
	s_delay_alu instid0(VALU_DEP_1)
	v_add_co_ci_u32_e64 v4, null, s2, 0, s1
	v_add_lshl_u32 v1, v0, s0, 2
	s_lshl_b32 s4, s0, 3
	s_lshl_b32 s5, s0, 2
	s_mov_b32 s8, 0x395133b1
.LBB153_24:                             ; =>This Inner Loop Header: Depth=1
	global_load_b64 v[5:6], v[3:4], off
	s_waitcnt vmcnt(0)
	v_and_b32_e32 v7, 0xffff0000, v5
	v_lshlrev_b32_e32 v0, 16, v5
	v_alignbit_b32 v5, v6, v5, 16
	s_delay_alu instid0(VALU_DEP_3) | instskip(NEXT) | instid1(VALU_DEP_2)
	v_mul_f32_e32 v9, 0x3fb8aa3b, v7
	v_and_b32_e32 v5, 0xffff0000, v5
	s_delay_alu instid0(VALU_DEP_4) | instskip(NEXT) | instid1(VALU_DEP_3)
	v_mul_f32_e32 v8, 0x3fb8aa3b, v0
	v_rndne_f32_e32 v9, v9
	s_delay_alu instid0(VALU_DEP_3) | instskip(NEXT) | instid1(VALU_DEP_3)
	v_mul_f32_e32 v11, 0x3fb8aa3b, v5
	v_rndne_f32_e32 v8, v8
	s_delay_alu instid0(VALU_DEP_3) | instskip(SKIP_1) | instid1(VALU_DEP_4)
	v_cvt_i32_f32_e32 v15, v9
	v_cmp_eq_f32_e64 s0, 0x43000000, v9
	v_rndne_f32_e32 v11, v11
	s_delay_alu instid0(VALU_DEP_4) | instskip(SKIP_2) | instid1(VALU_DEP_4)
	v_fmamk_f32 v12, v8, 0xbf317218, v0
	v_cvt_i32_f32_e32 v13, v8
	v_cmp_eq_f32_e32 vcc_lo, 0x43000000, v8
	v_cmp_eq_f32_e64 s2, 0x43000000, v11
	s_delay_alu instid0(VALU_DEP_4) | instskip(NEXT) | instid1(VALU_DEP_4)
	v_fmac_f32_e32 v12, 0x3102e308, v8
	v_cndmask_b32_e64 v8, v13, 0x7f, vcc_lo
	s_delay_alu instid0(VALU_DEP_1) | instskip(NEXT) | instid1(VALU_DEP_1)
	v_ldexp_f32 v8, 1.0, v8
	v_add_f32_e32 v20, -1.0, v8
	v_fmamk_f32 v14, v9, 0xbf317218, v7
	s_delay_alu instid0(VALU_DEP_1) | instskip(SKIP_2) | instid1(VALU_DEP_3)
	v_fmac_f32_e32 v14, 0x3102e308, v9
	v_cndmask_b32_e64 v9, v15, 0x7f, s0
	v_cvt_i32_f32_e32 v15, v11
	v_fmaak_f32 v18, s8, v14, 0x3ab69700
	s_delay_alu instid0(VALU_DEP_3) | instskip(NEXT) | instid1(VALU_DEP_1)
	v_ldexp_f32 v9, 1.0, v9
	v_dual_add_f32 v21, -1.0, v9 :: v_dual_and_b32 v6, 0xffff0000, v6
	s_delay_alu instid0(VALU_DEP_1) | instskip(NEXT) | instid1(VALU_DEP_1)
	v_mul_f32_e32 v10, 0x3fb8aa3b, v6
	v_rndne_f32_e32 v10, v10
	s_delay_alu instid0(VALU_DEP_1) | instskip(SKIP_2) | instid1(VALU_DEP_3)
	v_fmamk_f32 v16, v10, 0xbf317218, v6
	v_cvt_i32_f32_e32 v17, v10
	v_cmp_eq_f32_e64 s1, 0x43000000, v10
	v_fmac_f32_e32 v16, 0x3102e308, v10
	s_delay_alu instid0(VALU_DEP_2) | instskip(NEXT) | instid1(VALU_DEP_1)
	v_cndmask_b32_e64 v10, v17, 0x7f, s1
	v_ldexp_f32 v10, 1.0, v10
	s_delay_alu instid0(VALU_DEP_1) | instskip(NEXT) | instid1(VALU_DEP_1)
	v_dual_add_f32 v22, -1.0, v10 :: v_dual_fmamk_f32 v13, v11, 0xbf317218, v5
	v_fmac_f32_e32 v13, 0x3102e308, v11
	v_fmaak_f32 v17, s8, v12, 0x3ab69700
	v_cndmask_b32_e64 v11, v15, 0x7f, s2
	s_delay_alu instid0(VALU_DEP_2) | instskip(SKIP_1) | instid1(VALU_DEP_3)
	v_fmaak_f32 v15, v12, v17, 0x3c0887f9
	v_fmaak_f32 v17, v14, v18, 0x3c0887f9
	v_ldexp_f32 v11, 1.0, v11
	v_fmaak_f32 v18, s8, v13, 0x3ab69700
	s_delay_alu instid0(VALU_DEP_3) | instskip(NEXT) | instid1(VALU_DEP_2)
	v_fmaak_f32 v17, v14, v17, 0x3d2aaa81
	v_fmaak_f32 v18, v13, v18, 0x3c0887f9
	v_fmaak_f32 v15, v12, v15, 0x3d2aaa81
	s_delay_alu instid0(VALU_DEP_3) | instskip(NEXT) | instid1(VALU_DEP_3)
	v_fmaak_f32 v17, v14, v17, 0x3e2aaaab
	v_fmaak_f32 v18, v13, v18, 0x3d2aaa81
	s_delay_alu instid0(VALU_DEP_3) | instskip(NEXT) | instid1(VALU_DEP_3)
	v_fmaak_f32 v15, v12, v15, 0x3e2aaaab
	v_fma_f32 v17, v14, v17, 0.5
	s_delay_alu instid0(VALU_DEP_3) | instskip(NEXT) | instid1(VALU_DEP_3)
	v_fmaak_f32 v18, v13, v18, 0x3e2aaaab
	v_fma_f32 v15, v12, v15, 0.5
	s_delay_alu instid0(VALU_DEP_3) | instskip(SKIP_1) | instid1(VALU_DEP_4)
	v_mul_f32_e32 v17, v14, v17
	v_fmaak_f32 v19, s8, v16, 0x3ab69700
	v_fma_f32 v18, v13, v18, 0.5
	s_delay_alu instid0(VALU_DEP_3) | instskip(NEXT) | instid1(VALU_DEP_3)
	v_dual_mul_f32 v15, v12, v15 :: v_dual_fmac_f32 v14, v14, v17
	v_fmaak_f32 v19, v16, v19, 0x3c0887f9
	v_add_f32_e32 v17, -1.0, v11
	s_delay_alu instid0(VALU_DEP_3) | instskip(NEXT) | instid1(VALU_DEP_3)
	v_dual_fmac_f32 v12, v12, v15 :: v_dual_mul_f32 v15, v13, v18
	v_fmaak_f32 v19, v16, v19, 0x3d2aaa81
	s_delay_alu instid0(VALU_DEP_2) | instskip(NEXT) | instid1(VALU_DEP_2)
	v_dual_fmac_f32 v20, v8, v12 :: v_dual_fmac_f32 v21, v9, v14
	v_fmaak_f32 v19, v16, v19, 0x3e2aaaab
	s_delay_alu instid0(VALU_DEP_2) | instskip(NEXT) | instid1(VALU_DEP_2)
	v_dual_add_f32 v8, v20, v20 :: v_dual_fmac_f32 v13, v13, v15
	v_fma_f32 v19, v16, v19, 0.5
	s_delay_alu instid0(VALU_DEP_2) | instskip(SKIP_2) | instid1(VALU_DEP_3)
	v_cndmask_b32_e32 v8, v20, v8, vcc_lo
	v_cmp_nlt_f32_e32 vcc_lo, 0x42b17217, v0
	v_add_f32_e32 v9, v21, v21
	v_dual_mul_f32 v19, v16, v19 :: v_dual_cndmask_b32 v8, 0x7f800000, v8
	s_delay_alu instid0(VALU_DEP_2) | instskip(NEXT) | instid1(VALU_DEP_2)
	v_cndmask_b32_e64 v9, v21, v9, s0
	v_fmac_f32_e32 v16, v16, v19
	v_cmp_nlt_f32_e32 vcc_lo, 0x42b17217, v7
	v_cmp_lt_u64_e64 s0, 0xffff, v[1:2]
	s_delay_alu instid0(VALU_DEP_3) | instskip(SKIP_1) | instid1(VALU_DEP_2)
	v_dual_fmac_f32 v22, v10, v16 :: v_dual_cndmask_b32 v9, 0x7f800000, v9
	v_cmp_nlt_f32_e32 vcc_lo, 0x42b17217, v6
	v_add_f32_e32 v10, v22, v22
	s_delay_alu instid0(VALU_DEP_1) | instskip(NEXT) | instid1(VALU_DEP_1)
	v_cndmask_b32_e64 v10, v22, v10, s1
	v_dual_fmac_f32 v17, v11, v13 :: v_dual_cndmask_b32 v10, 0x7f800000, v10
	v_cmp_ngt_f32_e32 vcc_lo, 0xc1880000, v0
	s_delay_alu instid0(VALU_DEP_2) | instskip(NEXT) | instid1(VALU_DEP_1)
	v_dual_add_f32 v11, v17, v17 :: v_dual_cndmask_b32 v0, -1.0, v8
	v_cndmask_b32_e64 v11, v17, v11, s2
	v_cmp_nlt_f32_e32 vcc_lo, 0x42b17217, v5
	s_delay_alu instid0(VALU_DEP_2)
	v_cndmask_b32_e32 v8, 0x7f800000, v11, vcc_lo
	v_cmp_ngt_f32_e32 vcc_lo, 0xc1880000, v7
	v_cndmask_b32_e32 v7, -1.0, v9, vcc_lo
	v_cmp_ngt_f32_e32 vcc_lo, 0xc1880000, v6
	v_bfe_u32 v9, v0, 16, 1
	v_cndmask_b32_e32 v6, -1.0, v10, vcc_lo
	v_cmp_ngt_f32_e32 vcc_lo, 0xc1880000, v5
	s_delay_alu instid0(VALU_DEP_3) | instskip(NEXT) | instid1(VALU_DEP_3)
	v_add3_u32 v9, v0, v9, 0x7fff
	v_bfe_u32 v10, v6, 16, 1
	s_delay_alu instid0(VALU_DEP_2) | instskip(NEXT) | instid1(VALU_DEP_2)
	v_lshrrev_b32_e32 v9, 16, v9
	v_add3_u32 v10, v6, v10, 0x7fff
	v_cndmask_b32_e32 v5, -1.0, v8, vcc_lo
	v_bfe_u32 v8, v7, 16, 1
	v_cmp_o_f32_e32 vcc_lo, v7, v7
	s_delay_alu instid0(VALU_DEP_4) | instskip(NEXT) | instid1(VALU_DEP_4)
	v_and_b32_e32 v10, 0xffff0000, v10
	v_bfe_u32 v11, v5, 16, 1
	s_delay_alu instid0(VALU_DEP_4) | instskip(NEXT) | instid1(VALU_DEP_2)
	v_add3_u32 v8, v7, v8, 0x7fff
	v_add3_u32 v11, v5, v11, 0x7fff
	s_delay_alu instid0(VALU_DEP_2) | instskip(NEXT) | instid1(VALU_DEP_2)
	v_and_b32_e32 v8, 0xffff0000, v8
	v_lshrrev_b32_e32 v11, 16, v11
	s_delay_alu instid0(VALU_DEP_2) | instskip(SKIP_3) | instid1(VALU_DEP_2)
	v_cndmask_b32_e32 v7, 0x7fc00000, v8, vcc_lo
	v_cmp_o_f32_e32 vcc_lo, v0, v0
	v_cndmask_b32_e32 v0, 0x7fc0, v9, vcc_lo
	v_cmp_o_f32_e32 vcc_lo, v6, v6
	v_or_b32_e32 v0, v0, v7
	v_cndmask_b32_e32 v6, 0x7fc00000, v10, vcc_lo
	v_cmp_o_f32_e32 vcc_lo, v5, v5
	v_cndmask_b32_e32 v5, 0x7fc0, v11, vcc_lo
	v_cmp_le_i64_e32 vcc_lo, s[6:7], v[1:2]
	v_add_co_u32 v1, s1, v1, s5
	s_delay_alu instid0(VALU_DEP_1) | instskip(NEXT) | instid1(VALU_DEP_4)
	v_add_co_ci_u32_e64 v2, s1, 0, v2, s1
	v_or3_b32 v6, 0, v5, v6
	v_or3_b32 v5, v0, 0, 0
	s_or_b32 s0, vcc_lo, s0
	s_delay_alu instid0(SALU_CYCLE_1) | instskip(SKIP_4) | instid1(SALU_CYCLE_1)
	s_and_b32 s0, exec_lo, s0
	global_store_b64 v[3:4], v[5:6], off
	v_add_co_u32 v3, vcc_lo, v3, s4
	v_add_co_ci_u32_e32 v4, vcc_lo, 0, v4, vcc_lo
	s_or_b32 s3, s0, s3
	s_and_not1_b32 exec_lo, exec_lo, s3
	s_cbranch_execnz .LBB153_24
.LBB153_25:
	s_nop 0
	s_sendmsg sendmsg(MSG_DEALLOC_VGPRS)
	s_endpgm
	.section	.rodata,"a",@progbits
	.p2align	6, 0x0
	.amdhsa_kernel _ZN2at6native12_GLOBAL__N_125multi_tensor_apply_kernelINS1_18TensorListMetadataILi1EEENS1_14UnaryOpFunctorIN3c108BFloat16ELi1ELi1ELi0EEEJNS0_5Expm1IfEEEEEvT_T0_DpT1_
		.amdhsa_group_segment_fixed_size 0
		.amdhsa_private_segment_fixed_size 0
		.amdhsa_kernarg_size 3632
		.amdhsa_user_sgpr_count 15
		.amdhsa_user_sgpr_dispatch_ptr 0
		.amdhsa_user_sgpr_queue_ptr 0
		.amdhsa_user_sgpr_kernarg_segment_ptr 1
		.amdhsa_user_sgpr_dispatch_id 0
		.amdhsa_user_sgpr_private_segment_size 0
		.amdhsa_wavefront_size32 1
		.amdhsa_uses_dynamic_stack 0
		.amdhsa_enable_private_segment 0
		.amdhsa_system_sgpr_workgroup_id_x 1
		.amdhsa_system_sgpr_workgroup_id_y 0
		.amdhsa_system_sgpr_workgroup_id_z 0
		.amdhsa_system_sgpr_workgroup_info 0
		.amdhsa_system_vgpr_workitem_id 0
		.amdhsa_next_free_vgpr 23
		.amdhsa_next_free_sgpr 21
		.amdhsa_reserve_vcc 1
		.amdhsa_float_round_mode_32 0
		.amdhsa_float_round_mode_16_64 0
		.amdhsa_float_denorm_mode_32 3
		.amdhsa_float_denorm_mode_16_64 3
		.amdhsa_dx10_clamp 1
		.amdhsa_ieee_mode 1
		.amdhsa_fp16_overflow 0
		.amdhsa_workgroup_processor_mode 1
		.amdhsa_memory_ordered 1
		.amdhsa_forward_progress 0
		.amdhsa_shared_vgpr_count 0
		.amdhsa_exception_fp_ieee_invalid_op 0
		.amdhsa_exception_fp_denorm_src 0
		.amdhsa_exception_fp_ieee_div_zero 0
		.amdhsa_exception_fp_ieee_overflow 0
		.amdhsa_exception_fp_ieee_underflow 0
		.amdhsa_exception_fp_ieee_inexact 0
		.amdhsa_exception_int_div_zero 0
	.end_amdhsa_kernel
	.section	.text._ZN2at6native12_GLOBAL__N_125multi_tensor_apply_kernelINS1_18TensorListMetadataILi1EEENS1_14UnaryOpFunctorIN3c108BFloat16ELi1ELi1ELi0EEEJNS0_5Expm1IfEEEEEvT_T0_DpT1_,"axG",@progbits,_ZN2at6native12_GLOBAL__N_125multi_tensor_apply_kernelINS1_18TensorListMetadataILi1EEENS1_14UnaryOpFunctorIN3c108BFloat16ELi1ELi1ELi0EEEJNS0_5Expm1IfEEEEEvT_T0_DpT1_,comdat
.Lfunc_end153:
	.size	_ZN2at6native12_GLOBAL__N_125multi_tensor_apply_kernelINS1_18TensorListMetadataILi1EEENS1_14UnaryOpFunctorIN3c108BFloat16ELi1ELi1ELi0EEEJNS0_5Expm1IfEEEEEvT_T0_DpT1_, .Lfunc_end153-_ZN2at6native12_GLOBAL__N_125multi_tensor_apply_kernelINS1_18TensorListMetadataILi1EEENS1_14UnaryOpFunctorIN3c108BFloat16ELi1ELi1ELi0EEEJNS0_5Expm1IfEEEEEvT_T0_DpT1_
                                        ; -- End function
	.section	.AMDGPU.csdata,"",@progbits
; Kernel info:
; codeLenInByte = 3068
; NumSgprs: 23
; NumVgprs: 23
; ScratchSize: 0
; MemoryBound: 0
; FloatMode: 240
; IeeeMode: 1
; LDSByteSize: 0 bytes/workgroup (compile time only)
; SGPRBlocks: 2
; VGPRBlocks: 2
; NumSGPRsForWavesPerEU: 23
; NumVGPRsForWavesPerEU: 23
; Occupancy: 16
; WaveLimiterHint : 0
; COMPUTE_PGM_RSRC2:SCRATCH_EN: 0
; COMPUTE_PGM_RSRC2:USER_SGPR: 15
; COMPUTE_PGM_RSRC2:TRAP_HANDLER: 0
; COMPUTE_PGM_RSRC2:TGID_X_EN: 1
; COMPUTE_PGM_RSRC2:TGID_Y_EN: 0
; COMPUTE_PGM_RSRC2:TGID_Z_EN: 0
; COMPUTE_PGM_RSRC2:TIDIG_COMP_CNT: 0
	.section	.text._ZN2at6native12_GLOBAL__N_125multi_tensor_apply_kernelINS1_18TensorListMetadataILi2EEENS1_14UnaryOpFunctorIdLi2ELi1ELi1EEEJNS0_4TanhIdEEEEEvT_T0_DpT1_,"axG",@progbits,_ZN2at6native12_GLOBAL__N_125multi_tensor_apply_kernelINS1_18TensorListMetadataILi2EEENS1_14UnaryOpFunctorIdLi2ELi1ELi1EEEJNS0_4TanhIdEEEEEvT_T0_DpT1_,comdat
	.globl	_ZN2at6native12_GLOBAL__N_125multi_tensor_apply_kernelINS1_18TensorListMetadataILi2EEENS1_14UnaryOpFunctorIdLi2ELi1ELi1EEEJNS0_4TanhIdEEEEEvT_T0_DpT1_ ; -- Begin function _ZN2at6native12_GLOBAL__N_125multi_tensor_apply_kernelINS1_18TensorListMetadataILi2EEENS1_14UnaryOpFunctorIdLi2ELi1ELi1EEEJNS0_4TanhIdEEEEEvT_T0_DpT1_
	.p2align	8
	.type	_ZN2at6native12_GLOBAL__N_125multi_tensor_apply_kernelINS1_18TensorListMetadataILi2EEENS1_14UnaryOpFunctorIdLi2ELi1ELi1EEEJNS0_4TanhIdEEEEEvT_T0_DpT1_,@function
_ZN2at6native12_GLOBAL__N_125multi_tensor_apply_kernelINS1_18TensorListMetadataILi2EEENS1_14UnaryOpFunctorIdLi2ELi1ELi1EEEJNS0_4TanhIdEEEEEvT_T0_DpT1_: ; @_ZN2at6native12_GLOBAL__N_125multi_tensor_apply_kernelINS1_18TensorListMetadataILi2EEENS1_14UnaryOpFunctorIdLi2ELi1ELi1EEEJNS0_4TanhIdEEEEEvT_T0_DpT1_
; %bb.0:
	v_mov_b32_e32 v1, s15
	s_add_u32 s2, s0, s15
	s_mul_hi_u32 s3, s15, 3
	s_mul_i32 s15, s15, 3
	s_addc_u32 s4, s1, 0
	global_load_u8 v1, v1, s[0:1] offset:1536
	s_add_u32 s2, s2, s15
	s_addc_u32 s3, s4, s3
	s_mov_b32 s7, 0
	s_load_b32 s2, s[2:3], 0x740
	s_mov_b32 s11, s7
	s_mov_b32 s17, s7
	s_waitcnt vmcnt(0)
	v_readfirstlane_b32 s5, v1
	s_delay_alu instid0(VALU_DEP_1)
	s_lshl_b32 s3, s5, 3
	s_clause 0x2
	s_load_b64 s[14:15], s[0:1], s3 offset:0x0
	s_load_b64 s[12:13], s[0:1], s3 offset:0x200
	s_load_b64 s[4:5], s[0:1], s3 offset:0x400
	s_waitcnt lgkmcnt(0)
	s_ashr_i32 s3, s2, 31
	s_delay_alu instid0(SALU_CYCLE_1) | instskip(NEXT) | instid1(SALU_CYCLE_1)
	s_lshl_b64 s[8:9], s[2:3], 19
	s_add_u32 s33, s14, s8
	s_addc_u32 s46, s15, s9
	s_and_b32 s6, s33, 31
	s_add_u32 s47, s12, s8
	s_addc_u32 s48, s13, s9
	s_and_b32 s10, s4, 3
	s_and_b32 s16, s47, 31
	s_or_b64 s[6:7], s[6:7], s[10:11]
	s_lshl_b64 s[2:3], s[2:3], 16
	s_or_b64 s[6:7], s[16:17], s[6:7]
	s_sub_u32 s10, s4, s2
	s_subb_u32 s11, s5, s3
	s_cmp_eq_u64 s[6:7], 0
	s_mov_b32 s2, -1
	s_cbranch_scc0 .LBB154_5
; %bb.1:
	v_dual_mov_b32 v10, 0 :: v_dual_lshlrev_b32 v9, 2, v0
	s_mov_b32 s49, exec_lo
	s_delay_alu instid0(VALU_DEP_1)
	v_cmpx_gt_i64_e64 s[10:11], v[9:10]
	s_cbranch_execz .LBB154_4
; %bb.2:
	s_load_b32 s2, s[0:1], 0xc5c
	v_lshlrev_b32_e32 v11, 5, v0
	s_mov_b32 s16, 0x652b82fe
	s_mov_b32 s18, 0xfefa3000
	;; [unrolled: 1-line block ×18, first 2 shown]
	s_waitcnt lgkmcnt(0)
	s_and_b32 s2, s2, 0xffff
	s_mov_b32 s25, 0x3e928af3
	v_add_lshl_u32 v9, v0, s2, 2
	s_mov_b32 s27, 0x3e5ade15
	s_mov_b32 s29, 0x3ec71dee
	;; [unrolled: 1-line block ×10, first 2 shown]
	s_lshl_b32 s51, s2, 2
	s_lshl_b32 s52, s2, 5
.LBB154_3:                              ; =>This Inner Loop Header: Depth=1
	v_add_co_u32 v1, s2, s33, v11
	s_delay_alu instid0(VALU_DEP_1)
	v_add_co_ci_u32_e64 v2, null, s46, 0, s2
	v_cmp_le_i64_e64 s5, s[10:11], v[9:10]
	v_cmp_lt_u64_e64 s6, 0xffff, v[9:10]
	s_clause 0x1
	global_load_b128 v[5:8], v[1:2], off
	global_load_b128 v[1:4], v[1:2], off offset:16
	s_or_b32 s5, s5, s6
	s_add_u32 s33, s33, s52
	s_addc_u32 s46, s46, 0
	s_waitcnt vmcnt(1)
	v_mul_f64 v[12:13], |v[5:6]|, s[16:17]
	v_mul_f64 v[14:15], |v[7:8]|, s[16:17]
	s_waitcnt vmcnt(0)
	v_mul_f64 v[16:17], |v[1:2]|, s[16:17]
	v_mul_f64 v[18:19], |v[3:4]|, s[16:17]
	v_cmp_nlt_f64_e64 vcc_lo, 0x40331000, |v[5:6]|
	v_cmp_nlt_f64_e64 s2, 0x40331000, |v[7:8]|
	v_cmp_nlt_f64_e64 s3, 0x40331000, |v[1:2]|
	;; [unrolled: 1-line block ×3, first 2 shown]
	v_rndne_f64_e32 v[12:13], v[12:13]
	v_rndne_f64_e32 v[14:15], v[14:15]
	;; [unrolled: 1-line block ×4, first 2 shown]
	s_delay_alu instid0(VALU_DEP_4) | instskip(NEXT) | instid1(VALU_DEP_4)
	v_fma_f64 v[20:21], v[12:13], s[18:19], |v[5:6]|
	v_fma_f64 v[22:23], v[14:15], s[18:19], |v[7:8]|
	s_delay_alu instid0(VALU_DEP_4) | instskip(NEXT) | instid1(VALU_DEP_4)
	v_fma_f64 v[24:25], v[16:17], s[18:19], |v[1:2]|
	v_fma_f64 v[26:27], v[18:19], s[18:19], |v[3:4]|
	v_mul_f64 v[28:29], v[12:13], s[20:21]
	v_mul_f64 v[30:31], v[14:15], s[20:21]
	;; [unrolled: 1-line block ×4, first 2 shown]
	v_add_f64 v[36:37], v[20:21], 0
	v_add_f64 v[38:39], v[22:23], 0
	;; [unrolled: 1-line block ×4, first 2 shown]
	s_delay_alu instid0(VALU_DEP_4) | instskip(NEXT) | instid1(VALU_DEP_4)
	v_add_f64 v[44:45], v[36:37], -v[28:29]
	v_add_f64 v[46:47], v[38:39], -v[30:31]
	s_delay_alu instid0(VALU_DEP_4) | instskip(NEXT) | instid1(VALU_DEP_4)
	v_add_f64 v[48:49], v[40:41], -v[32:33]
	v_add_f64 v[50:51], v[42:43], -v[34:35]
	;; [unrolled: 1-line block ×10, first 2 shown]
	v_add_f64 v[20:21], v[20:21], 0
	v_add_f64 v[22:23], v[22:23], 0
	v_add_f64 v[24:25], v[24:25], 0
	v_add_f64 v[26:27], v[26:27], 0
	v_add_f64 v[28:29], v[36:37], -v[28:29]
	v_add_f64 v[30:31], v[38:39], -v[30:31]
	v_add_f64 v[32:33], v[40:41], -v[32:33]
	v_add_f64 v[34:35], v[42:43], -v[34:35]
	s_delay_alu instid0(VALU_DEP_4) | instskip(NEXT) | instid1(VALU_DEP_4)
	v_add_f64 v[20:21], v[20:21], v[28:29]
	v_add_f64 v[22:23], v[22:23], v[30:31]
	s_delay_alu instid0(VALU_DEP_4) | instskip(NEXT) | instid1(VALU_DEP_4)
	v_add_f64 v[24:25], v[24:25], v[32:33]
	v_add_f64 v[26:27], v[26:27], v[34:35]
	v_mul_f64 v[28:29], v[12:13], s[22:23]
	v_mul_f64 v[30:31], v[14:15], s[22:23]
	;; [unrolled: 1-line block ×4, first 2 shown]
	v_add_f64 v[36:37], v[44:45], v[20:21]
	v_add_f64 v[38:39], v[46:47], v[22:23]
	;; [unrolled: 1-line block ×4, first 2 shown]
	s_delay_alu instid0(VALU_DEP_4) | instskip(NEXT) | instid1(VALU_DEP_4)
	v_add_f64 v[52:53], v[36:37], -v[28:29]
	v_add_f64 v[54:55], v[38:39], -v[30:31]
	s_delay_alu instid0(VALU_DEP_4) | instskip(NEXT) | instid1(VALU_DEP_4)
	v_add_f64 v[56:57], v[40:41], -v[32:33]
	v_add_f64 v[58:59], v[42:43], -v[34:35]
	;; [unrolled: 1-line block ×10, first 2 shown]
	v_add_f64 v[20:21], v[20:21], v[44:45]
	v_add_f64 v[22:23], v[22:23], v[46:47]
	;; [unrolled: 1-line block ×4, first 2 shown]
	v_add_f64 v[28:29], v[36:37], -v[28:29]
	v_add_f64 v[30:31], v[38:39], -v[30:31]
	v_add_f64 v[32:33], v[40:41], -v[32:33]
	v_add_f64 v[34:35], v[42:43], -v[34:35]
	s_delay_alu instid0(VALU_DEP_4) | instskip(NEXT) | instid1(VALU_DEP_4)
	v_add_f64 v[20:21], v[20:21], v[28:29]
	v_add_f64 v[22:23], v[22:23], v[30:31]
	s_delay_alu instid0(VALU_DEP_4) | instskip(NEXT) | instid1(VALU_DEP_4)
	v_add_f64 v[24:25], v[24:25], v[32:33]
	v_add_f64 v[26:27], v[26:27], v[34:35]
	;; [unrolled: 3-line block ×4, first 2 shown]
	s_delay_alu instid0(VALU_DEP_4) | instskip(NEXT) | instid1(VALU_DEP_4)
	v_fma_f64 v[36:37], v[28:29], s[26:27], s[24:25]
	v_fma_f64 v[38:39], v[30:31], s[26:27], s[24:25]
	s_delay_alu instid0(VALU_DEP_4) | instskip(NEXT) | instid1(VALU_DEP_4)
	v_fma_f64 v[40:41], v[32:33], s[26:27], s[24:25]
	v_fma_f64 v[42:43], v[34:35], s[26:27], s[24:25]
	v_add_f64 v[44:45], v[52:53], -v[28:29]
	v_add_f64 v[46:47], v[54:55], -v[30:31]
	;; [unrolled: 1-line block ×4, first 2 shown]
	v_mul_f64 v[52:53], v[28:29], v[28:29]
	v_mul_f64 v[54:55], v[30:31], v[30:31]
	;; [unrolled: 1-line block ×4, first 2 shown]
	v_fma_f64 v[36:37], v[28:29], v[36:37], s[28:29]
	v_fma_f64 v[38:39], v[30:31], v[38:39], s[28:29]
	;; [unrolled: 1-line block ×4, first 2 shown]
	v_add_f64 v[20:21], v[20:21], v[44:45]
	v_add_f64 v[22:23], v[22:23], v[46:47]
	;; [unrolled: 1-line block ×4, first 2 shown]
	v_fma_f64 v[44:45], v[28:29], v[28:29], -v[52:53]
	v_fma_f64 v[46:47], v[30:31], v[30:31], -v[54:55]
	;; [unrolled: 1-line block ×4, first 2 shown]
	v_fma_f64 v[36:37], v[28:29], v[36:37], s[30:31]
	v_fma_f64 v[38:39], v[30:31], v[38:39], s[30:31]
	;; [unrolled: 1-line block ×4, first 2 shown]
	v_add_f64 v[60:61], v[20:21], v[20:21]
	v_add_f64 v[62:63], v[22:23], v[22:23]
	;; [unrolled: 1-line block ×4, first 2 shown]
	v_fma_f64 v[36:37], v[28:29], v[36:37], s[34:35]
	v_fma_f64 v[38:39], v[30:31], v[38:39], s[34:35]
	;; [unrolled: 1-line block ×12, first 2 shown]
	v_add_f64 v[60:61], v[52:53], v[44:45]
	v_add_f64 v[62:63], v[54:55], v[46:47]
	;; [unrolled: 1-line block ×4, first 2 shown]
	v_fma_f64 v[36:37], v[28:29], v[36:37], s[38:39]
	v_fma_f64 v[38:39], v[30:31], v[38:39], s[38:39]
	;; [unrolled: 1-line block ×4, first 2 shown]
	v_add_f64 v[52:53], v[60:61], -v[52:53]
	v_add_f64 v[54:55], v[62:63], -v[54:55]
	;; [unrolled: 1-line block ×4, first 2 shown]
	v_fma_f64 v[36:37], v[28:29], v[36:37], s[40:41]
	v_fma_f64 v[38:39], v[30:31], v[38:39], s[40:41]
	;; [unrolled: 1-line block ×4, first 2 shown]
	v_add_f64 v[44:45], v[44:45], -v[52:53]
	v_add_f64 v[46:47], v[46:47], -v[54:55]
	;; [unrolled: 1-line block ×4, first 2 shown]
	v_fma_f64 v[36:37], v[28:29], v[36:37], s[42:43]
	v_fma_f64 v[38:39], v[30:31], v[38:39], s[42:43]
	;; [unrolled: 1-line block ×4, first 2 shown]
	s_delay_alu instid0(VALU_DEP_4) | instskip(NEXT) | instid1(VALU_DEP_4)
	v_fma_f64 v[36:37], v[28:29], v[36:37], s[44:45]
	v_fma_f64 v[38:39], v[30:31], v[38:39], s[44:45]
	s_delay_alu instid0(VALU_DEP_4) | instskip(NEXT) | instid1(VALU_DEP_4)
	v_fma_f64 v[40:41], v[32:33], v[40:41], s[44:45]
	v_fma_f64 v[42:43], v[34:35], v[42:43], s[44:45]
	s_delay_alu instid0(VALU_DEP_4) | instskip(NEXT) | instid1(VALU_DEP_4)
	v_mul_f64 v[68:69], v[60:61], v[36:37]
	v_mul_f64 v[70:71], v[62:63], v[38:39]
	s_delay_alu instid0(VALU_DEP_4) | instskip(NEXT) | instid1(VALU_DEP_4)
	v_mul_f64 v[72:73], v[64:65], v[40:41]
	v_mul_f64 v[74:75], v[66:67], v[42:43]
	s_delay_alu instid0(VALU_DEP_4) | instskip(NEXT) | instid1(VALU_DEP_4)
	v_fma_f64 v[52:53], v[60:61], v[36:37], -v[68:69]
	v_fma_f64 v[54:55], v[62:63], v[38:39], -v[70:71]
	s_delay_alu instid0(VALU_DEP_4) | instskip(NEXT) | instid1(VALU_DEP_4)
	v_fma_f64 v[56:57], v[64:65], v[40:41], -v[72:73]
	v_fma_f64 v[58:59], v[66:67], v[42:43], -v[74:75]
	s_delay_alu instid0(VALU_DEP_4) | instskip(NEXT) | instid1(VALU_DEP_4)
	v_fma_f64 v[36:37], v[44:45], v[36:37], v[52:53]
	v_fma_f64 v[38:39], v[46:47], v[38:39], v[54:55]
	s_delay_alu instid0(VALU_DEP_4) | instskip(NEXT) | instid1(VALU_DEP_4)
	v_fma_f64 v[40:41], v[48:49], v[40:41], v[56:57]
	v_fma_f64 v[42:43], v[50:51], v[42:43], v[58:59]
	s_delay_alu instid0(VALU_DEP_4) | instskip(NEXT) | instid1(VALU_DEP_4)
	v_add_f64 v[44:45], v[68:69], v[36:37]
	v_add_f64 v[46:47], v[70:71], v[38:39]
	s_delay_alu instid0(VALU_DEP_4) | instskip(NEXT) | instid1(VALU_DEP_4)
	v_add_f64 v[48:49], v[72:73], v[40:41]
	v_add_f64 v[50:51], v[74:75], v[42:43]
	s_delay_alu instid0(VALU_DEP_4)
	v_add_f64 v[52:53], v[28:29], v[44:45]
	v_add_f64 v[54:55], v[44:45], -v[68:69]
	v_add_f64 v[56:57], v[30:31], v[46:47]
	v_add_f64 v[58:59], v[46:47], -v[70:71]
	v_add_f64 v[60:61], v[32:33], v[48:49]
	v_add_f64 v[62:63], v[48:49], -v[72:73]
	v_add_f64 v[64:65], v[34:35], v[50:51]
	v_add_f64 v[66:67], v[50:51], -v[74:75]
	v_add_f64 v[28:29], v[52:53], -v[28:29]
	v_add_f64 v[36:37], v[36:37], -v[54:55]
	v_add_f64 v[30:31], v[56:57], -v[30:31]
	v_add_f64 v[38:39], v[38:39], -v[58:59]
	v_add_f64 v[32:33], v[60:61], -v[32:33]
	v_add_f64 v[40:41], v[40:41], -v[62:63]
	v_add_f64 v[34:35], v[64:65], -v[34:35]
	v_add_f64 v[42:43], v[42:43], -v[66:67]
	v_cvt_i32_f64_e32 v62, v[16:17]
	v_cvt_i32_f64_e32 v63, v[18:19]
	v_add_f64 v[28:29], v[44:45], -v[28:29]
	v_add_f64 v[20:21], v[20:21], v[36:37]
	v_add_f64 v[30:31], v[46:47], -v[30:31]
	v_add_f64 v[22:23], v[22:23], v[38:39]
	;; [unrolled: 2-line block ×4, first 2 shown]
	v_add_f64 v[20:21], v[20:21], v[28:29]
	v_add_f64 v[22:23], v[22:23], v[30:31]
	;; [unrolled: 1-line block ×3, first 2 shown]
	s_delay_alu instid0(VALU_DEP_4) | instskip(NEXT) | instid1(VALU_DEP_4)
	v_add_f64 v[26:27], v[26:27], v[34:35]
	v_add_f64 v[28:29], v[52:53], v[20:21]
	s_delay_alu instid0(VALU_DEP_4) | instskip(NEXT) | instid1(VALU_DEP_4)
	v_add_f64 v[30:31], v[56:57], v[22:23]
	v_add_f64 v[32:33], v[60:61], v[24:25]
	s_delay_alu instid0(VALU_DEP_4) | instskip(NEXT) | instid1(VALU_DEP_4)
	v_add_f64 v[34:35], v[64:65], v[26:27]
	v_add_f64 v[36:37], v[28:29], 1.0
	v_add_f64 v[44:45], v[28:29], -v[52:53]
	v_add_f64 v[38:39], v[30:31], 1.0
	v_add_f64 v[46:47], v[30:31], -v[56:57]
	;; [unrolled: 2-line block ×4, first 2 shown]
	v_cvt_i32_f64_e32 v60, v[12:13]
	v_cvt_i32_f64_e32 v61, v[14:15]
	v_add_f64 v[52:53], v[36:37], -1.0
	v_add_f64 v[20:21], v[20:21], -v[44:45]
	v_add_f64 v[54:55], v[38:39], -1.0
	v_add_f64 v[22:23], v[22:23], -v[46:47]
	;; [unrolled: 2-line block ×4, first 2 shown]
	v_add_f64 v[28:29], v[28:29], -v[52:53]
	v_add_f64 v[30:31], v[30:31], -v[54:55]
	;; [unrolled: 1-line block ×4, first 2 shown]
	s_delay_alu instid0(VALU_DEP_4) | instskip(NEXT) | instid1(VALU_DEP_4)
	v_add_f64 v[20:21], v[20:21], v[28:29]
	v_add_f64 v[22:23], v[22:23], v[30:31]
	s_delay_alu instid0(VALU_DEP_4) | instskip(NEXT) | instid1(VALU_DEP_4)
	v_add_f64 v[24:25], v[24:25], v[32:33]
	v_add_f64 v[26:27], v[26:27], v[34:35]
	;; [unrolled: 3-line block ×4, first 2 shown]
	s_delay_alu instid0(VALU_DEP_4)
	v_ldexp_f64 v[28:29], v[12:13], v60
	v_add_f64 v[12:13], v[12:13], -v[36:37]
	v_ldexp_f64 v[30:31], v[14:15], v61
	v_add_f64 v[14:15], v[14:15], -v[38:39]
	v_ldexp_f64 v[32:33], v[16:17], v62
	v_add_f64 v[16:17], v[16:17], -v[40:41]
	v_ldexp_f64 v[34:35], v[18:19], v63
	v_add_f64 v[18:19], v[18:19], -v[42:43]
	v_rcp_f64_e32 v[44:45], v[28:29]
	v_add_f64 v[12:13], v[20:21], -v[12:13]
	v_rcp_f64_e32 v[46:47], v[30:31]
	v_add_f64 v[14:15], v[22:23], -v[14:15]
	;; [unrolled: 2-line block ×3, first 2 shown]
	v_rcp_f64_e32 v[50:51], v[34:35]
	s_delay_alu instid0(VALU_DEP_4) | instskip(NEXT) | instid1(VALU_DEP_4)
	v_add_f64 v[18:19], v[26:27], -v[18:19]
	v_ldexp_f64 v[12:13], v[12:13], v60
	v_fma_f64 v[52:53], -v[28:29], v[44:45], 1.0
	v_ldexp_f64 v[14:15], v[14:15], v61
	s_delay_alu instid0(TRANS32_DEP_3) | instskip(SKIP_1) | instid1(TRANS32_DEP_2)
	v_fma_f64 v[54:55], -v[30:31], v[46:47], 1.0
	v_ldexp_f64 v[16:17], v[16:17], v62
	v_fma_f64 v[56:57], -v[32:33], v[48:49], 1.0
	v_ldexp_f64 v[18:19], v[18:19], v63
	s_delay_alu instid0(TRANS32_DEP_1) | instskip(SKIP_3) | instid1(VALU_DEP_4)
	v_fma_f64 v[58:59], -v[34:35], v[50:51], 1.0
	v_fma_f64 v[44:45], v[52:53], v[44:45], v[44:45]
	v_fma_f64 v[46:47], v[54:55], v[46:47], v[46:47]
	;; [unrolled: 1-line block ×4, first 2 shown]
	s_delay_alu instid0(VALU_DEP_4) | instskip(NEXT) | instid1(VALU_DEP_4)
	v_fma_f64 v[52:53], -v[28:29], v[44:45], 1.0
	v_fma_f64 v[54:55], -v[30:31], v[46:47], 1.0
	s_delay_alu instid0(VALU_DEP_4) | instskip(NEXT) | instid1(VALU_DEP_4)
	v_fma_f64 v[56:57], -v[32:33], v[48:49], 1.0
	v_fma_f64 v[58:59], -v[34:35], v[50:51], 1.0
	s_delay_alu instid0(VALU_DEP_4) | instskip(NEXT) | instid1(VALU_DEP_4)
	v_fma_f64 v[36:37], v[52:53], v[44:45], v[44:45]
	v_fma_f64 v[38:39], v[54:55], v[46:47], v[46:47]
	s_delay_alu instid0(VALU_DEP_4) | instskip(NEXT) | instid1(VALU_DEP_4)
	v_fma_f64 v[40:41], v[56:57], v[48:49], v[48:49]
	v_fma_f64 v[42:43], v[58:59], v[50:51], v[50:51]
	s_delay_alu instid0(VALU_DEP_4) | instskip(NEXT) | instid1(VALU_DEP_4)
	v_mul_f64 v[20:21], v[28:29], v[36:37]
	v_mul_f64 v[22:23], v[30:31], v[38:39]
	s_delay_alu instid0(VALU_DEP_4) | instskip(NEXT) | instid1(VALU_DEP_4)
	v_mul_f64 v[24:25], v[32:33], v[40:41]
	v_mul_f64 v[26:27], v[34:35], v[42:43]
	s_delay_alu instid0(VALU_DEP_4) | instskip(NEXT) | instid1(VALU_DEP_4)
	v_fma_f64 v[44:45], v[36:37], v[28:29], -v[20:21]
	v_fma_f64 v[46:47], v[38:39], v[30:31], -v[22:23]
	s_delay_alu instid0(VALU_DEP_4) | instskip(NEXT) | instid1(VALU_DEP_4)
	v_fma_f64 v[48:49], v[40:41], v[32:33], -v[24:25]
	v_fma_f64 v[50:51], v[42:43], v[34:35], -v[26:27]
	s_delay_alu instid0(VALU_DEP_4) | instskip(NEXT) | instid1(VALU_DEP_4)
	v_fma_f64 v[44:45], v[36:37], v[12:13], v[44:45]
	v_fma_f64 v[46:47], v[38:39], v[14:15], v[46:47]
	s_delay_alu instid0(VALU_DEP_4) | instskip(NEXT) | instid1(VALU_DEP_4)
	v_fma_f64 v[48:49], v[40:41], v[16:17], v[48:49]
	v_fma_f64 v[50:51], v[42:43], v[18:19], v[50:51]
	s_delay_alu instid0(VALU_DEP_4) | instskip(NEXT) | instid1(VALU_DEP_4)
	v_add_f64 v[52:53], v[20:21], v[44:45]
	v_add_f64 v[54:55], v[22:23], v[46:47]
	s_delay_alu instid0(VALU_DEP_4) | instskip(NEXT) | instid1(VALU_DEP_4)
	v_add_f64 v[56:57], v[24:25], v[48:49]
	v_add_f64 v[58:59], v[26:27], v[50:51]
	s_delay_alu instid0(VALU_DEP_4)
	v_add_f64 v[60:61], -v[52:53], 1.0
	v_add_f64 v[20:21], v[52:53], -v[20:21]
	v_add_f64 v[62:63], -v[54:55], 1.0
	v_add_f64 v[22:23], v[54:55], -v[22:23]
	;; [unrolled: 2-line block ×8, first 2 shown]
	v_add_f64 v[44:45], v[68:69], -v[52:53]
	v_add_f64 v[46:47], v[70:71], -v[54:55]
	v_add_f64 v[48:49], v[72:73], -v[56:57]
	v_add_f64 v[50:51], v[74:75], -v[58:59]
	s_delay_alu instid0(VALU_DEP_4) | instskip(NEXT) | instid1(VALU_DEP_4)
	v_add_f64 v[20:21], v[20:21], v[44:45]
	v_add_f64 v[22:23], v[22:23], v[46:47]
	s_delay_alu instid0(VALU_DEP_4) | instskip(NEXT) | instid1(VALU_DEP_4)
	v_add_f64 v[24:25], v[24:25], v[48:49]
	v_add_f64 v[26:27], v[26:27], v[50:51]
	;; [unrolled: 3-line block ×4, first 2 shown]
	s_delay_alu instid0(VALU_DEP_4)
	v_mul_f64 v[52:53], v[36:37], v[44:45]
	v_add_f64 v[60:61], v[60:61], -v[44:45]
	v_mul_f64 v[54:55], v[38:39], v[46:47]
	v_add_f64 v[62:63], v[62:63], -v[46:47]
	;; [unrolled: 2-line block ×4, first 2 shown]
	v_mul_f64 v[68:69], v[28:29], v[52:53]
	v_add_f64 v[20:21], v[20:21], v[60:61]
	v_mul_f64 v[70:71], v[30:31], v[54:55]
	v_add_f64 v[22:23], v[22:23], v[62:63]
	;; [unrolled: 2-line block ×4, first 2 shown]
	v_fma_f64 v[76:77], v[52:53], v[28:29], -v[68:69]
	v_fma_f64 v[78:79], v[54:55], v[30:31], -v[70:71]
	;; [unrolled: 1-line block ×4, first 2 shown]
	s_delay_alu instid0(VALU_DEP_4) | instskip(NEXT) | instid1(VALU_DEP_4)
	v_fma_f64 v[76:77], v[52:53], v[12:13], v[76:77]
	v_fma_f64 v[78:79], v[54:55], v[14:15], v[78:79]
	s_delay_alu instid0(VALU_DEP_4) | instskip(NEXT) | instid1(VALU_DEP_4)
	v_fma_f64 v[80:81], v[56:57], v[16:17], v[80:81]
	v_fma_f64 v[82:83], v[58:59], v[18:19], v[82:83]
	s_delay_alu instid0(VALU_DEP_4) | instskip(NEXT) | instid1(VALU_DEP_4)
	v_add_f64 v[84:85], v[68:69], v[76:77]
	v_add_f64 v[86:87], v[70:71], v[78:79]
	s_delay_alu instid0(VALU_DEP_4) | instskip(NEXT) | instid1(VALU_DEP_4)
	v_add_f64 v[88:89], v[72:73], v[80:81]
	v_add_f64 v[90:91], v[74:75], v[82:83]
	s_delay_alu instid0(VALU_DEP_4)
	v_add_f64 v[60:61], v[44:45], -v[84:85]
	v_add_f64 v[68:69], v[84:85], -v[68:69]
	;; [unrolled: 1-line block ×20, first 2 shown]
	s_delay_alu instid0(VALU_DEP_4)
	v_add_f64 v[20:21], v[20:21], v[44:45]
	v_add_f64 v[44:45], v[36:37], v[52:53]
	;; [unrolled: 1-line block ×9, first 2 shown]
	v_add_f64 v[68:69], v[44:45], -v[36:37]
	v_add_f64 v[22:23], v[70:71], v[22:23]
	v_add_f64 v[70:71], v[46:47], -v[38:39]
	v_add_f64 v[24:25], v[72:73], v[24:25]
	;; [unrolled: 2-line block ×7, first 2 shown]
	v_add_f64 v[58:59], v[58:59], -v[74:75]
	v_mul_f64 v[20:21], v[36:37], v[20:21]
	v_mul_f64 v[22:23], v[38:39], v[22:23]
	;; [unrolled: 1-line block ×4, first 2 shown]
	s_delay_alu instid0(VALU_DEP_4) | instskip(NEXT) | instid1(VALU_DEP_4)
	v_add_f64 v[20:21], v[52:53], v[20:21]
	v_add_f64 v[22:23], v[54:55], v[22:23]
	s_delay_alu instid0(VALU_DEP_4) | instskip(NEXT) | instid1(VALU_DEP_4)
	v_add_f64 v[24:25], v[56:57], v[24:25]
	v_add_f64 v[26:27], v[58:59], v[26:27]
	;; [unrolled: 3-line block ×4, first 2 shown]
	s_delay_alu instid0(VALU_DEP_4)
	v_add_f64 v[52:53], v[28:29], v[36:37]
	v_add_f64 v[44:45], v[36:37], -v[44:45]
	v_add_f64 v[54:55], v[30:31], v[38:39]
	v_add_f64 v[46:47], v[38:39], -v[46:47]
	;; [unrolled: 2-line block ×4, first 2 shown]
	v_add_f64 v[74:75], v[34:35], -v[42:43]
	v_add_f64 v[60:61], v[52:53], -v[28:29]
	v_add_f64 v[20:21], v[20:21], -v[44:45]
	v_add_f64 v[44:45], v[54:55], -v[30:31]
	v_add_f64 v[22:23], v[22:23], -v[46:47]
	v_add_f64 v[46:47], v[56:57], -v[32:33]
	v_add_f64 v[24:25], v[24:25], -v[48:49]
	v_add_f64 v[48:49], v[58:59], -v[34:35]
	v_add_f64 v[26:27], v[26:27], -v[50:51]
	v_add_f64 v[34:35], v[34:35], -v[74:75]
	v_add_f64 v[50:51], v[36:37], -v[60:61]
	v_add_f64 v[60:61], v[12:13], v[20:21]
	v_add_f64 v[44:45], v[38:39], -v[44:45]
	v_add_f64 v[62:63], v[14:15], v[22:23]
	v_add_f64 v[46:47], v[40:41], -v[46:47]
	;; [unrolled: 2-line block ×7, first 2 shown]
	v_add_f64 v[48:49], v[66:67], v[48:49]
	v_add_f64 v[18:19], v[18:19], v[34:35]
	;; [unrolled: 1-line block ×3, first 2 shown]
	v_add_f64 v[28:29], v[28:29], -v[60:61]
	v_add_f64 v[68:69], v[54:55], v[44:45]
	v_add_f64 v[30:31], v[30:31], -v[62:63]
	v_add_f64 v[70:71], v[56:57], v[46:47]
	v_add_f64 v[32:33], v[32:33], -v[64:65]
	v_add_f64 v[72:73], v[58:59], v[48:49]
	v_add_f64 v[18:19], v[18:19], -v[26:27]
	v_rcp_f64_e32 v[76:77], v[66:67]
	v_add_f64 v[28:29], v[28:29], -v[36:37]
	v_rcp_f64_e32 v[78:79], v[68:69]
	;; [unrolled: 2-line block ×4, first 2 shown]
	v_add_f64 v[52:53], v[66:67], -v[52:53]
	v_add_f64 v[54:55], v[68:69], -v[54:55]
	;; [unrolled: 1-line block ×4, first 2 shown]
	v_add_f64 v[12:13], v[12:13], v[28:29]
	v_fma_f64 v[36:37], -v[66:67], v[76:77], 1.0
	v_add_f64 v[14:15], v[14:15], v[30:31]
	s_delay_alu instid0(TRANS32_DEP_3) | instskip(SKIP_1) | instid1(TRANS32_DEP_2)
	v_fma_f64 v[38:39], -v[68:69], v[78:79], 1.0
	v_add_f64 v[16:17], v[16:17], v[32:33]
	v_fma_f64 v[40:41], -v[70:71], v[80:81], 1.0
	v_add_f64 v[50:51], v[50:51], -v[52:53]
	s_delay_alu instid0(TRANS32_DEP_1)
	v_fma_f64 v[42:43], -v[72:73], v[82:83], 1.0
	v_add_f64 v[44:45], v[44:45], -v[54:55]
	v_add_f64 v[46:47], v[46:47], -v[56:57]
	v_add_f64 v[48:49], v[48:49], -v[58:59]
	v_add_f64 v[12:13], v[12:13], -v[20:21]
	v_fma_f64 v[28:29], v[36:37], v[76:77], v[76:77]
	v_add_f64 v[14:15], v[14:15], -v[22:23]
	v_fma_f64 v[30:31], v[38:39], v[78:79], v[78:79]
	v_add_f64 v[16:17], v[16:17], -v[24:25]
	v_fma_f64 v[32:33], v[40:41], v[80:81], v[80:81]
	v_fma_f64 v[34:35], v[42:43], v[82:83], v[82:83]
	v_add_f64 v[42:43], v[74:75], v[18:19]
	v_add_f64 v[36:37], v[60:61], v[12:13]
	v_fma_f64 v[20:21], -v[66:67], v[28:29], 1.0
	v_add_f64 v[38:39], v[62:63], v[14:15]
	v_fma_f64 v[22:23], -v[68:69], v[30:31], 1.0
	;; [unrolled: 2-line block ×3, first 2 shown]
	v_fma_f64 v[26:27], -v[72:73], v[34:35], 1.0
	v_fma_f64 v[20:21], v[20:21], v[28:29], v[28:29]
	v_fma_f64 v[22:23], v[22:23], v[30:31], v[30:31]
	s_delay_alu instid0(VALU_DEP_4) | instskip(NEXT) | instid1(VALU_DEP_4)
	v_fma_f64 v[24:25], v[24:25], v[32:33], v[32:33]
	v_fma_f64 v[26:27], v[26:27], v[34:35], v[34:35]
	s_delay_alu instid0(VALU_DEP_4) | instskip(NEXT) | instid1(VALU_DEP_4)
	v_mul_f64 v[28:29], v[36:37], v[20:21]
	v_mul_f64 v[30:31], v[38:39], v[22:23]
	s_delay_alu instid0(VALU_DEP_4) | instskip(NEXT) | instid1(VALU_DEP_4)
	v_mul_f64 v[32:33], v[40:41], v[24:25]
	v_mul_f64 v[34:35], v[42:43], v[26:27]
	;; [unrolled: 3-line block ×4, first 2 shown]
	s_delay_alu instid0(VALU_DEP_4) | instskip(NEXT) | instid1(VALU_DEP_4)
	v_fma_f64 v[52:53], v[28:29], v[66:67], -v[76:77]
	v_fma_f64 v[54:55], v[30:31], v[68:69], -v[78:79]
	s_delay_alu instid0(VALU_DEP_4) | instskip(NEXT) | instid1(VALU_DEP_4)
	v_fma_f64 v[56:57], v[32:33], v[70:71], -v[80:81]
	v_fma_f64 v[58:59], v[34:35], v[72:73], -v[82:83]
	s_delay_alu instid0(VALU_DEP_4) | instskip(NEXT) | instid1(VALU_DEP_4)
	v_fma_f64 v[50:51], v[28:29], v[50:51], v[52:53]
	v_fma_f64 v[44:45], v[30:31], v[44:45], v[54:55]
	s_delay_alu instid0(VALU_DEP_4) | instskip(NEXT) | instid1(VALU_DEP_4)
	v_fma_f64 v[46:47], v[32:33], v[46:47], v[56:57]
	v_fma_f64 v[48:49], v[34:35], v[48:49], v[58:59]
	s_delay_alu instid0(VALU_DEP_4) | instskip(NEXT) | instid1(VALU_DEP_4)
	v_add_f64 v[52:53], v[76:77], v[50:51]
	v_add_f64 v[54:55], v[78:79], v[44:45]
	s_delay_alu instid0(VALU_DEP_4) | instskip(NEXT) | instid1(VALU_DEP_4)
	v_add_f64 v[56:57], v[80:81], v[46:47]
	v_add_f64 v[58:59], v[82:83], v[48:49]
	s_delay_alu instid0(VALU_DEP_4)
	v_add_f64 v[66:67], v[36:37], -v[52:53]
	v_add_f64 v[76:77], v[52:53], -v[76:77]
	;; [unrolled: 1-line block ×32, first 2 shown]
	s_delay_alu instid0(VALU_DEP_4) | instskip(NEXT) | instid1(VALU_DEP_4)
	v_add_f64 v[12:13], v[12:13], v[36:37]
	v_add_f64 v[14:15], v[14:15], v[38:39]
	s_delay_alu instid0(VALU_DEP_4) | instskip(NEXT) | instid1(VALU_DEP_4)
	v_add_f64 v[16:17], v[16:17], v[40:41]
	v_add_f64 v[18:19], v[18:19], v[42:43]
	;; [unrolled: 3-line block ×4, first 2 shown]
	s_delay_alu instid0(VALU_DEP_4) | instskip(NEXT) | instid1(VALU_DEP_4)
	v_mul_f64 v[12:13], v[20:21], v[12:13]
	v_mul_f64 v[14:15], v[22:23], v[14:15]
	v_and_b32_e32 v22, 0x7fffffff, v6
	v_mul_f64 v[16:17], v[24:25], v[16:17]
	v_and_b32_e32 v25, 0x7fffffff, v4
	v_mul_f64 v[18:19], v[26:27], v[18:19]
	v_add_f64 v[12:13], v[28:29], v[12:13]
	v_add_f64 v[14:15], v[30:31], v[14:15]
	;; [unrolled: 1-line block ×3, first 2 shown]
	s_delay_alu instid0(VALU_DEP_4) | instskip(NEXT) | instid1(VALU_DEP_4)
	v_add_f64 v[18:19], v[34:35], v[18:19]
	v_cndmask_b32_e32 v20, 0x3ff00000, v13, vcc_lo
	v_cndmask_b32_e32 v21, 0, v12, vcc_lo
	v_cmp_gt_f64_e64 vcc_lo, 0x3e400000, |v[5:6]|
	v_cndmask_b32_e64 v15, 0x3ff00000, v15, s2
	v_cndmask_b32_e64 v14, 0, v14, s2
	v_cmp_gt_f64_e64 s2, 0x3e400000, |v[7:8]|
	v_cndmask_b32_e64 v17, 0x3ff00000, v17, s3
	v_cndmask_b32_e64 v16, 0, v16, s3
	v_cmp_gt_f64_e64 s3, 0x3e400000, |v[1:2]|
	;; [unrolled: 3-line block ×3, first 2 shown]
	v_and_b32_e32 v23, 0x7fffffff, v8
	v_and_b32_e32 v24, 0x7fffffff, v2
	v_add_co_u32 v12, s7, s47, v11
	s_delay_alu instid0(VALU_DEP_1)
	v_add_co_ci_u32_e64 v13, null, s48, 0, s7
	v_add_co_u32 v9, s7, v9, s51
	s_add_u32 s47, s47, s52
	v_add_co_ci_u32_e64 v10, s7, 0, v10, s7
	s_addc_u32 s48, s48, 0
	v_cndmask_b32_e32 v5, v21, v5, vcc_lo
	v_cndmask_b32_e64 v7, v14, v7, s2
	v_cndmask_b32_e32 v14, v20, v22, vcc_lo
	v_cndmask_b32_e64 v15, v15, v23, s2
	v_cndmask_b32_e64 v1, v16, v1, s3
	;; [unrolled: 1-line block ×3, first 2 shown]
	s_and_b32 s2, exec_lo, s5
	v_cndmask_b32_e64 v17, v19, v25, s4
	v_bfi_b32 v6, 0x7fffffff, v14, v6
	v_bfi_b32 v8, 0x7fffffff, v15, v8
	v_cndmask_b32_e64 v3, v18, v3, s4
	v_bfi_b32 v2, 0x7fffffff, v16, v2
	v_bfi_b32 v4, 0x7fffffff, v17, v4
	s_or_b32 s50, s2, s50
	s_clause 0x1
	global_store_b128 v[12:13], v[5:8], off
	global_store_b128 v[12:13], v[1:4], off offset:16
	s_and_not1_b32 exec_lo, exec_lo, s50
	s_cbranch_execnz .LBB154_3
.LBB154_4:
	s_or_b32 exec_lo, exec_lo, s49
	s_mov_b32 s2, 0
.LBB154_5:
	s_delay_alu instid0(SALU_CYCLE_1)
	s_and_not1_b32 vcc_lo, exec_lo, s2
	s_cbranch_vccnz .LBB154_25
; %bb.6:
	v_cmp_lt_i64_e64 s2, s[10:11], 1
	s_delay_alu instid0(VALU_DEP_1)
	s_and_b32 vcc_lo, exec_lo, s2
	s_cbranch_vccnz .LBB154_25
; %bb.7:
	s_load_b32 s0, s[0:1], 0xc5c
	v_dual_mov_b32 v2, 0 :: v_dual_lshlrev_b32 v1, 3, v0
	v_cmp_gt_u64_e64 s1, 0x10000, s[10:11]
	s_mov_b32 s6, 0x652b82fe
	s_mov_b32 s16, 0xf278e000
	s_delay_alu instid0(VALU_DEP_2) | instskip(NEXT) | instid1(VALU_DEP_1)
	v_add_co_u32 v9, s2, s14, v1
	v_add_co_ci_u32_e64 v10, null, s15, 0, s2
	v_add_co_u32 v11, s2, s12, v1
	s_delay_alu instid0(VALU_DEP_1)
	v_add_co_ci_u32_e64 v12, null, s13, 0, s2
	s_mov_b32 s18, 0xf97b57a0
	s_mov_b32 s20, 0xfca7ab0c
	;; [unrolled: 1-line block ×6, first 2 shown]
	s_waitcnt lgkmcnt(0)
	s_and_b32 s0, s0, 0xffff
	s_and_b32 s1, s1, exec_lo
	v_mad_u64_u32 v[3:4], null, s0, 24, v[1:2]
	s_cselect_b32 s5, s11, 0
	s_cselect_b32 s4, s10, 0x10000
	s_lshl_b32 s3, s0, 4
	s_mul_i32 s2, s0, 3
	v_add_co_u32 v1, s3, s3, v1
	s_delay_alu instid0(VALU_DEP_2) | instskip(NEXT) | instid1(VALU_DEP_3)
	v_add_co_u32 v13, vcc_lo, s14, v3
	v_add_co_ci_u32_e32 v14, vcc_lo, s15, v4, vcc_lo
	v_add_co_u32 v17, s2, s2, v0
	v_add_co_u32 v15, vcc_lo, s12, v3
	v_add_co_ci_u32_e64 v2, null, 0, 0, s3
	v_add_co_ci_u32_e64 v18, null, 0, 0, s2
	v_add_co_u32 v21, s2, v0, s0
	v_add_co_ci_u32_e32 v16, vcc_lo, s13, v4, vcc_lo
	v_add_co_u32 v19, vcc_lo, s14, v1
	v_add_co_ci_u32_e32 v20, vcc_lo, s15, v2, vcc_lo
	v_add_co_u32 v22, vcc_lo, s12, v1
	v_lshlrev_b32_e32 v1, 3, v21
	s_lshl_b32 s1, s0, 1
	v_add_co_ci_u32_e32 v23, vcc_lo, s13, v2, vcc_lo
	v_add_co_u32 v25, s1, s1, v0
	s_delay_alu instid0(VALU_DEP_1) | instskip(SKIP_1) | instid1(VALU_DEP_1)
	v_add_co_ci_u32_e64 v26, null, 0, 0, s1
	v_add_co_u32 v27, s1, s14, v1
	v_add_co_ci_u32_e64 v28, null, s15, 0, s1
	v_add_co_u32 v29, s1, s12, v1
	v_add_co_ci_u32_e64 v24, null, 0, 0, s2
	v_add_co_ci_u32_e64 v30, null, s13, 0, s1
	s_mov_b32 s14, 0xfefa3000
	s_mov_b32 s30, 0x1852b7b0
	;; [unrolled: 1-line block ×20, first 2 shown]
	s_lshl_b32 s33, s0, 2
	s_lshl_b32 s42, s0, 5
	s_mov_b64 s[12:13], 0
	s_branch .LBB154_9
.LBB154_8:                              ;   in Loop: Header=BB154_9 Depth=1
	s_or_b32 exec_lo, exec_lo, s0
	v_add_co_u32 v9, vcc_lo, v9, s42
	v_add_co_ci_u32_e32 v10, vcc_lo, 0, v10, vcc_lo
	v_add_co_u32 v11, vcc_lo, v11, s42
	v_add_co_ci_u32_e32 v12, vcc_lo, 0, v12, vcc_lo
	;; [unrolled: 2-line block ×5, first 2 shown]
	s_add_u32 s12, s12, s33
	v_add_co_u32 v22, vcc_lo, v22, s42
	s_addc_u32 s13, s13, 0
	v_add_co_ci_u32_e32 v23, vcc_lo, 0, v23, vcc_lo
	v_cmp_ge_i64_e64 s0, s[12:13], s[10:11]
	v_cmp_lt_u64_e64 s1, 0xffff, s[12:13]
	v_add_co_u32 v27, vcc_lo, v27, s42
	v_add_co_ci_u32_e32 v28, vcc_lo, 0, v28, vcc_lo
	v_add_co_u32 v29, vcc_lo, v29, s42
	v_add_co_ci_u32_e32 v30, vcc_lo, 0, v30, vcc_lo
	s_or_b32 s0, s0, s1
	s_delay_alu instid0(SALU_CYCLE_1)
	s_and_b32 vcc_lo, exec_lo, s0
	s_cbranch_vccnz .LBB154_25
.LBB154_9:                              ; =>This Inner Loop Header: Depth=1
	s_waitcnt vmcnt(0)
	v_add_co_u32 v1, s0, v0, s12
	s_delay_alu instid0(VALU_DEP_1) | instskip(SKIP_2) | instid1(VALU_DEP_3)
	v_add_co_ci_u32_e64 v2, null, 0, s13, s0
	v_mov_b32_e32 v5, 0
	v_mov_b32_e32 v6, 0
	v_cmp_gt_u64_e64 s2, s[4:5], v[1:2]
	s_delay_alu instid0(VALU_DEP_2) | instskip(NEXT) | instid1(VALU_DEP_2)
	v_dual_mov_b32 v8, v6 :: v_dual_mov_b32 v7, v5
	s_and_saveexec_b32 s0, s2
	s_cbranch_execz .LBB154_11
; %bb.10:                               ;   in Loop: Header=BB154_9 Depth=1
	v_add_co_u32 v1, vcc_lo, v9, s8
	v_add_co_ci_u32_e32 v2, vcc_lo, s9, v10, vcc_lo
	global_load_b64 v[7:8], v[1:2], off
.LBB154_11:                             ;   in Loop: Header=BB154_9 Depth=1
	s_or_b32 exec_lo, exec_lo, s0
	v_add_co_u32 v1, vcc_lo, v21, s12
	v_add_co_ci_u32_e32 v2, vcc_lo, s13, v24, vcc_lo
	s_delay_alu instid0(VALU_DEP_1) | instskip(NEXT) | instid1(VALU_DEP_1)
	v_cmp_gt_u64_e64 s1, s[4:5], v[1:2]
	s_and_saveexec_b32 s0, s1
	s_cbranch_execz .LBB154_13
; %bb.12:                               ;   in Loop: Header=BB154_9 Depth=1
	v_add_co_u32 v1, vcc_lo, v27, s8
	v_add_co_ci_u32_e32 v2, vcc_lo, s9, v28, vcc_lo
	global_load_b64 v[5:6], v[1:2], off
.LBB154_13:                             ;   in Loop: Header=BB154_9 Depth=1
	s_or_b32 exec_lo, exec_lo, s0
	v_add_co_u32 v3, vcc_lo, v25, s12
	v_add_co_ci_u32_e32 v4, vcc_lo, s13, v26, vcc_lo
	v_mov_b32_e32 v1, 0
	v_mov_b32_e32 v2, 0
	s_delay_alu instid0(VALU_DEP_3) | instskip(NEXT) | instid1(VALU_DEP_2)
	v_cmp_gt_u64_e64 s0, s[4:5], v[3:4]
	v_dual_mov_b32 v4, v2 :: v_dual_mov_b32 v3, v1
	s_delay_alu instid0(VALU_DEP_2)
	s_and_saveexec_b32 s3, s0
	s_cbranch_execz .LBB154_15
; %bb.14:                               ;   in Loop: Header=BB154_9 Depth=1
	v_add_co_u32 v3, vcc_lo, v19, s8
	v_add_co_ci_u32_e32 v4, vcc_lo, s9, v20, vcc_lo
	global_load_b64 v[3:4], v[3:4], off
.LBB154_15:                             ;   in Loop: Header=BB154_9 Depth=1
	s_or_b32 exec_lo, exec_lo, s3
	v_add_co_u32 v31, vcc_lo, v17, s12
	v_add_co_ci_u32_e32 v32, vcc_lo, s13, v18, vcc_lo
	s_delay_alu instid0(VALU_DEP_1)
	v_cmp_gt_u64_e32 vcc_lo, s[4:5], v[31:32]
	s_and_saveexec_b32 s43, vcc_lo
	s_cbranch_execnz .LBB154_20
; %bb.16:                               ;   in Loop: Header=BB154_9 Depth=1
	s_or_b32 exec_lo, exec_lo, s43
	s_and_saveexec_b32 s3, s2
	s_cbranch_execnz .LBB154_21
.LBB154_17:                             ;   in Loop: Header=BB154_9 Depth=1
	s_or_b32 exec_lo, exec_lo, s3
	s_and_saveexec_b32 s2, s1
	s_cbranch_execnz .LBB154_22
.LBB154_18:                             ;   in Loop: Header=BB154_9 Depth=1
	s_or_b32 exec_lo, exec_lo, s2
	s_and_saveexec_b32 s1, s0
	s_cbranch_execnz .LBB154_23
.LBB154_19:                             ;   in Loop: Header=BB154_9 Depth=1
	s_or_b32 exec_lo, exec_lo, s1
	s_and_saveexec_b32 s0, vcc_lo
	s_cbranch_execz .LBB154_8
	s_branch .LBB154_24
.LBB154_20:                             ;   in Loop: Header=BB154_9 Depth=1
	v_add_co_u32 v1, s3, v13, s8
	s_delay_alu instid0(VALU_DEP_1)
	v_add_co_ci_u32_e64 v2, s3, s9, v14, s3
	global_load_b64 v[1:2], v[1:2], off
	s_or_b32 exec_lo, exec_lo, s43
	s_and_saveexec_b32 s3, s2
	s_cbranch_execz .LBB154_17
.LBB154_21:                             ;   in Loop: Header=BB154_9 Depth=1
	s_waitcnt vmcnt(0)
	v_mul_f64 v[31:32], |v[7:8]|, s[6:7]
	v_cmp_nlt_f64_e64 s2, 0x40331000, |v[7:8]|
	s_delay_alu instid0(VALU_DEP_2) | instskip(NEXT) | instid1(VALU_DEP_1)
	v_rndne_f64_e32 v[31:32], v[31:32]
	v_fma_f64 v[33:34], v[31:32], s[14:15], |v[7:8]|
	v_mul_f64 v[35:36], v[31:32], s[16:17]
	s_delay_alu instid0(VALU_DEP_2) | instskip(NEXT) | instid1(VALU_DEP_1)
	v_add_f64 v[37:38], v[33:34], 0
	v_add_f64 v[39:40], v[37:38], v[35:36]
	v_add_f64 v[33:34], v[33:34], -v[37:38]
	s_delay_alu instid0(VALU_DEP_2) | instskip(NEXT) | instid1(VALU_DEP_2)
	v_add_f64 v[37:38], v[37:38], -v[39:40]
	v_add_f64 v[33:34], v[33:34], 0
	s_delay_alu instid0(VALU_DEP_2) | instskip(NEXT) | instid1(VALU_DEP_1)
	v_add_f64 v[35:36], v[37:38], v[35:36]
	v_add_f64 v[33:34], v[33:34], v[35:36]
	v_mul_f64 v[35:36], v[31:32], s[18:19]
	s_delay_alu instid0(VALU_DEP_2) | instskip(NEXT) | instid1(VALU_DEP_1)
	v_add_f64 v[37:38], v[39:40], v[33:34]
	v_add_f64 v[41:42], v[37:38], v[35:36]
	v_add_f64 v[39:40], v[39:40], -v[37:38]
	s_delay_alu instid0(VALU_DEP_2) | instskip(NEXT) | instid1(VALU_DEP_2)
	v_add_f64 v[37:38], v[37:38], -v[41:42]
	v_add_f64 v[33:34], v[33:34], v[39:40]
	s_delay_alu instid0(VALU_DEP_2) | instskip(NEXT) | instid1(VALU_DEP_1)
	v_add_f64 v[35:36], v[37:38], v[35:36]
	v_add_f64 v[33:34], v[33:34], v[35:36]
	s_delay_alu instid0(VALU_DEP_1) | instskip(NEXT) | instid1(VALU_DEP_1)
	v_add_f64 v[35:36], v[41:42], v[33:34]
	v_fma_f64 v[37:38], v[35:36], s[22:23], s[20:21]
	v_add_f64 v[39:40], v[41:42], -v[35:36]
	v_mul_f64 v[41:42], v[35:36], v[35:36]
	s_delay_alu instid0(VALU_DEP_3) | instskip(NEXT) | instid1(VALU_DEP_3)
	v_fma_f64 v[37:38], v[35:36], v[37:38], s[24:25]
	v_add_f64 v[33:34], v[33:34], v[39:40]
	s_delay_alu instid0(VALU_DEP_3) | instskip(NEXT) | instid1(VALU_DEP_3)
	v_fma_f64 v[39:40], v[35:36], v[35:36], -v[41:42]
	v_fma_f64 v[37:38], v[35:36], v[37:38], s[26:27]
	s_delay_alu instid0(VALU_DEP_3) | instskip(NEXT) | instid1(VALU_DEP_2)
	v_add_f64 v[43:44], v[33:34], v[33:34]
	v_fma_f64 v[37:38], v[35:36], v[37:38], s[28:29]
	s_delay_alu instid0(VALU_DEP_2) | instskip(NEXT) | instid1(VALU_DEP_2)
	v_fma_f64 v[39:40], v[35:36], v[43:44], v[39:40]
	v_fma_f64 v[37:38], v[35:36], v[37:38], s[30:31]
	s_delay_alu instid0(VALU_DEP_2) | instskip(NEXT) | instid1(VALU_DEP_2)
	v_add_f64 v[43:44], v[41:42], v[39:40]
	v_fma_f64 v[37:38], v[35:36], v[37:38], s[34:35]
	s_delay_alu instid0(VALU_DEP_2) | instskip(NEXT) | instid1(VALU_DEP_2)
	v_add_f64 v[41:42], v[43:44], -v[41:42]
	v_fma_f64 v[37:38], v[35:36], v[37:38], s[36:37]
	s_delay_alu instid0(VALU_DEP_2) | instskip(NEXT) | instid1(VALU_DEP_2)
	v_add_f64 v[39:40], v[39:40], -v[41:42]
	v_fma_f64 v[37:38], v[35:36], v[37:38], s[38:39]
	s_delay_alu instid0(VALU_DEP_1) | instskip(NEXT) | instid1(VALU_DEP_1)
	v_fma_f64 v[37:38], v[35:36], v[37:38], s[40:41]
	v_mul_f64 v[45:46], v[43:44], v[37:38]
	s_delay_alu instid0(VALU_DEP_1) | instskip(NEXT) | instid1(VALU_DEP_1)
	v_fma_f64 v[41:42], v[43:44], v[37:38], -v[45:46]
	v_fma_f64 v[37:38], v[39:40], v[37:38], v[41:42]
	s_delay_alu instid0(VALU_DEP_1) | instskip(NEXT) | instid1(VALU_DEP_1)
	v_add_f64 v[39:40], v[45:46], v[37:38]
	v_add_f64 v[41:42], v[39:40], -v[45:46]
	v_add_f64 v[43:44], v[35:36], v[39:40]
	s_delay_alu instid0(VALU_DEP_2) | instskip(NEXT) | instid1(VALU_DEP_2)
	v_add_f64 v[37:38], v[37:38], -v[41:42]
	v_add_f64 v[35:36], v[43:44], -v[35:36]
	s_delay_alu instid0(VALU_DEP_2) | instskip(NEXT) | instid1(VALU_DEP_2)
	v_add_f64 v[33:34], v[33:34], v[37:38]
	v_add_f64 v[35:36], v[39:40], -v[35:36]
	s_delay_alu instid0(VALU_DEP_1) | instskip(NEXT) | instid1(VALU_DEP_1)
	v_add_f64 v[33:34], v[33:34], v[35:36]
	v_add_f64 v[35:36], v[43:44], v[33:34]
	s_delay_alu instid0(VALU_DEP_1) | instskip(SKIP_2) | instid1(VALU_DEP_3)
	v_add_f64 v[37:38], v[35:36], 1.0
	v_add_f64 v[39:40], v[35:36], -v[43:44]
	v_cvt_i32_f64_e32 v43, v[31:32]
	v_add_f64 v[41:42], v[37:38], -1.0
	s_delay_alu instid0(VALU_DEP_3) | instskip(NEXT) | instid1(VALU_DEP_2)
	v_add_f64 v[33:34], v[33:34], -v[39:40]
	v_add_f64 v[35:36], v[35:36], -v[41:42]
	s_delay_alu instid0(VALU_DEP_1) | instskip(NEXT) | instid1(VALU_DEP_1)
	v_add_f64 v[33:34], v[33:34], v[35:36]
	v_add_f64 v[31:32], v[37:38], v[33:34]
	s_delay_alu instid0(VALU_DEP_1) | instskip(SKIP_1) | instid1(VALU_DEP_2)
	v_ldexp_f64 v[35:36], v[31:32], v43
	v_add_f64 v[31:32], v[31:32], -v[37:38]
	v_rcp_f64_e32 v[39:40], v[35:36]
	s_delay_alu instid0(VALU_DEP_1) | instskip(NEXT) | instid1(VALU_DEP_1)
	v_add_f64 v[31:32], v[33:34], -v[31:32]
	v_ldexp_f64 v[31:32], v[31:32], v43
	s_waitcnt_depctr 0xfff
	v_fma_f64 v[41:42], -v[35:36], v[39:40], 1.0
	s_delay_alu instid0(VALU_DEP_1) | instskip(NEXT) | instid1(VALU_DEP_1)
	v_fma_f64 v[39:40], v[41:42], v[39:40], v[39:40]
	v_fma_f64 v[41:42], -v[35:36], v[39:40], 1.0
	s_delay_alu instid0(VALU_DEP_1) | instskip(NEXT) | instid1(VALU_DEP_1)
	v_fma_f64 v[37:38], v[41:42], v[39:40], v[39:40]
	v_mul_f64 v[33:34], v[35:36], v[37:38]
	s_delay_alu instid0(VALU_DEP_1) | instskip(NEXT) | instid1(VALU_DEP_1)
	v_fma_f64 v[39:40], v[37:38], v[35:36], -v[33:34]
	v_fma_f64 v[39:40], v[37:38], v[31:32], v[39:40]
	s_delay_alu instid0(VALU_DEP_1) | instskip(NEXT) | instid1(VALU_DEP_1)
	v_add_f64 v[41:42], v[33:34], v[39:40]
	v_add_f64 v[43:44], -v[41:42], 1.0
	v_add_f64 v[33:34], v[41:42], -v[33:34]
	s_delay_alu instid0(VALU_DEP_2) | instskip(NEXT) | instid1(VALU_DEP_2)
	v_add_f64 v[45:46], -v[43:44], 1.0
	v_add_f64 v[33:34], v[33:34], -v[39:40]
	s_delay_alu instid0(VALU_DEP_2) | instskip(NEXT) | instid1(VALU_DEP_1)
	v_add_f64 v[39:40], v[45:46], -v[41:42]
	v_add_f64 v[33:34], v[33:34], v[39:40]
	s_delay_alu instid0(VALU_DEP_1) | instskip(NEXT) | instid1(VALU_DEP_1)
	v_add_f64 v[39:40], v[43:44], v[33:34]
	v_mul_f64 v[41:42], v[37:38], v[39:40]
	v_add_f64 v[43:44], v[43:44], -v[39:40]
	s_delay_alu instid0(VALU_DEP_2) | instskip(NEXT) | instid1(VALU_DEP_2)
	v_mul_f64 v[45:46], v[35:36], v[41:42]
	v_add_f64 v[33:34], v[33:34], v[43:44]
	s_delay_alu instid0(VALU_DEP_2) | instskip(NEXT) | instid1(VALU_DEP_1)
	v_fma_f64 v[47:48], v[41:42], v[35:36], -v[45:46]
	v_fma_f64 v[47:48], v[41:42], v[31:32], v[47:48]
	s_delay_alu instid0(VALU_DEP_1) | instskip(NEXT) | instid1(VALU_DEP_1)
	v_add_f64 v[49:50], v[45:46], v[47:48]
	v_add_f64 v[51:52], v[39:40], -v[49:50]
	v_add_f64 v[43:44], v[49:50], -v[45:46]
	s_delay_alu instid0(VALU_DEP_2) | instskip(NEXT) | instid1(VALU_DEP_2)
	v_add_f64 v[39:40], v[39:40], -v[51:52]
	v_add_f64 v[43:44], v[43:44], -v[47:48]
	s_delay_alu instid0(VALU_DEP_2) | instskip(NEXT) | instid1(VALU_DEP_1)
	v_add_f64 v[39:40], v[39:40], -v[49:50]
	v_add_f64 v[33:34], v[33:34], v[39:40]
	v_add_f64 v[39:40], v[37:38], v[41:42]
	s_delay_alu instid0(VALU_DEP_2) | instskip(NEXT) | instid1(VALU_DEP_2)
	v_add_f64 v[33:34], v[43:44], v[33:34]
	v_add_f64 v[43:44], v[39:40], -v[37:38]
	s_delay_alu instid0(VALU_DEP_2) | instskip(NEXT) | instid1(VALU_DEP_2)
	v_add_f64 v[33:34], v[51:52], v[33:34]
	v_add_f64 v[41:42], v[41:42], -v[43:44]
	s_delay_alu instid0(VALU_DEP_2) | instskip(NEXT) | instid1(VALU_DEP_1)
	v_mul_f64 v[33:34], v[37:38], v[33:34]
	v_add_f64 v[33:34], v[41:42], v[33:34]
	s_delay_alu instid0(VALU_DEP_1) | instskip(NEXT) | instid1(VALU_DEP_1)
	v_add_f64 v[37:38], v[39:40], v[33:34]
	v_add_f64 v[39:40], v[37:38], -v[39:40]
	v_add_f64 v[41:42], v[35:36], v[37:38]
	v_add_f64 v[45:46], v[35:36], -v[37:38]
	s_delay_alu instid0(VALU_DEP_3) | instskip(NEXT) | instid1(VALU_DEP_3)
	v_add_f64 v[33:34], v[33:34], -v[39:40]
	v_add_f64 v[39:40], v[41:42], -v[35:36]
	s_delay_alu instid0(VALU_DEP_3) | instskip(NEXT) | instid1(VALU_DEP_3)
	v_add_f64 v[35:36], v[35:36], -v[45:46]
	v_add_f64 v[43:44], v[31:32], v[33:34]
	s_delay_alu instid0(VALU_DEP_3) | instskip(NEXT) | instid1(VALU_DEP_3)
	v_add_f64 v[39:40], v[37:38], -v[39:40]
	v_add_f64 v[35:36], v[35:36], -v[37:38]
	s_delay_alu instid0(VALU_DEP_2) | instskip(NEXT) | instid1(VALU_DEP_2)
	v_add_f64 v[39:40], v[43:44], v[39:40]
	v_add_f64 v[31:32], v[31:32], v[35:36]
	s_delay_alu instid0(VALU_DEP_2) | instskip(NEXT) | instid1(VALU_DEP_2)
	v_add_f64 v[43:44], v[41:42], v[39:40]
	v_add_f64 v[31:32], v[31:32], -v[33:34]
	s_delay_alu instid0(VALU_DEP_2) | instskip(SKIP_1) | instid1(VALU_DEP_1)
	v_rcp_f64_e32 v[47:48], v[43:44]
	v_add_f64 v[41:42], v[43:44], -v[41:42]
	v_add_f64 v[39:40], v[39:40], -v[41:42]
	s_waitcnt_depctr 0xfff
	v_fma_f64 v[37:38], -v[43:44], v[47:48], 1.0
	s_delay_alu instid0(VALU_DEP_1) | instskip(SKIP_1) | instid1(VALU_DEP_2)
	v_fma_f64 v[35:36], v[37:38], v[47:48], v[47:48]
	v_add_f64 v[37:38], v[45:46], v[31:32]
	v_fma_f64 v[33:34], -v[43:44], v[35:36], 1.0
	s_delay_alu instid0(VALU_DEP_1) | instskip(NEXT) | instid1(VALU_DEP_1)
	v_fma_f64 v[33:34], v[33:34], v[35:36], v[35:36]
	v_mul_f64 v[35:36], v[37:38], v[33:34]
	s_delay_alu instid0(VALU_DEP_1) | instskip(NEXT) | instid1(VALU_DEP_1)
	v_mul_f64 v[47:48], v[43:44], v[35:36]
	v_fma_f64 v[41:42], v[35:36], v[43:44], -v[47:48]
	s_delay_alu instid0(VALU_DEP_1) | instskip(NEXT) | instid1(VALU_DEP_1)
	v_fma_f64 v[39:40], v[35:36], v[39:40], v[41:42]
	v_add_f64 v[41:42], v[47:48], v[39:40]
	s_delay_alu instid0(VALU_DEP_1) | instskip(SKIP_1) | instid1(VALU_DEP_2)
	v_add_f64 v[43:44], v[37:38], -v[41:42]
	v_add_f64 v[47:48], v[41:42], -v[47:48]
	;; [unrolled: 1-line block ×4, first 2 shown]
	s_delay_alu instid0(VALU_DEP_3) | instskip(NEXT) | instid1(VALU_DEP_3)
	v_add_f64 v[39:40], v[39:40], -v[47:48]
	v_add_f64 v[41:42], v[49:50], -v[41:42]
	s_delay_alu instid0(VALU_DEP_3) | instskip(NEXT) | instid1(VALU_DEP_2)
	v_add_f64 v[31:32], v[31:32], -v[37:38]
	v_add_f64 v[37:38], v[41:42], -v[39:40]
	s_delay_alu instid0(VALU_DEP_1) | instskip(NEXT) | instid1(VALU_DEP_1)
	v_add_f64 v[31:32], v[31:32], v[37:38]
	v_add_f64 v[31:32], v[43:44], v[31:32]
	s_delay_alu instid0(VALU_DEP_1) | instskip(SKIP_1) | instid1(VALU_DEP_2)
	v_mul_f64 v[31:32], v[33:34], v[31:32]
	v_and_b32_e32 v33, 0x7fffffff, v8
	v_add_f64 v[31:32], v[35:36], v[31:32]
	s_delay_alu instid0(VALU_DEP_1) | instskip(NEXT) | instid1(VALU_DEP_2)
	v_cndmask_b32_e64 v32, 0x3ff00000, v32, s2
	v_cndmask_b32_e64 v31, 0, v31, s2
	v_cmp_gt_f64_e64 s2, 0x3e400000, |v[7:8]|
	s_delay_alu instid0(VALU_DEP_1) | instskip(NEXT) | instid1(VALU_DEP_4)
	v_cndmask_b32_e64 v7, v31, v7, s2
	v_cndmask_b32_e64 v31, v32, v33, s2
	s_delay_alu instid0(VALU_DEP_1) | instskip(SKIP_1) | instid1(VALU_DEP_1)
	v_bfi_b32 v8, 0x7fffffff, v31, v8
	v_add_co_u32 v31, s2, v11, s8
	v_add_co_ci_u32_e64 v32, s2, s9, v12, s2
	global_store_b64 v[31:32], v[7:8], off
	s_or_b32 exec_lo, exec_lo, s3
	s_and_saveexec_b32 s2, s1
	s_cbranch_execz .LBB154_18
.LBB154_22:                             ;   in Loop: Header=BB154_9 Depth=1
	s_waitcnt vmcnt(0)
	v_mul_f64 v[7:8], |v[5:6]|, s[6:7]
	v_cmp_nlt_f64_e64 s1, 0x40331000, |v[5:6]|
	s_delay_alu instid0(VALU_DEP_2) | instskip(NEXT) | instid1(VALU_DEP_1)
	v_rndne_f64_e32 v[7:8], v[7:8]
	v_fma_f64 v[31:32], v[7:8], s[14:15], |v[5:6]|
	v_mul_f64 v[33:34], v[7:8], s[16:17]
	s_delay_alu instid0(VALU_DEP_2) | instskip(NEXT) | instid1(VALU_DEP_1)
	v_add_f64 v[35:36], v[31:32], 0
	v_add_f64 v[37:38], v[35:36], v[33:34]
	v_add_f64 v[31:32], v[31:32], -v[35:36]
	s_delay_alu instid0(VALU_DEP_2) | instskip(NEXT) | instid1(VALU_DEP_2)
	v_add_f64 v[35:36], v[35:36], -v[37:38]
	v_add_f64 v[31:32], v[31:32], 0
	s_delay_alu instid0(VALU_DEP_2) | instskip(NEXT) | instid1(VALU_DEP_1)
	v_add_f64 v[33:34], v[35:36], v[33:34]
	v_add_f64 v[31:32], v[31:32], v[33:34]
	v_mul_f64 v[33:34], v[7:8], s[18:19]
	s_delay_alu instid0(VALU_DEP_2) | instskip(NEXT) | instid1(VALU_DEP_1)
	v_add_f64 v[35:36], v[37:38], v[31:32]
	v_add_f64 v[39:40], v[35:36], v[33:34]
	v_add_f64 v[37:38], v[37:38], -v[35:36]
	s_delay_alu instid0(VALU_DEP_2) | instskip(NEXT) | instid1(VALU_DEP_2)
	v_add_f64 v[35:36], v[35:36], -v[39:40]
	v_add_f64 v[31:32], v[31:32], v[37:38]
	s_delay_alu instid0(VALU_DEP_2) | instskip(NEXT) | instid1(VALU_DEP_1)
	v_add_f64 v[33:34], v[35:36], v[33:34]
	v_add_f64 v[31:32], v[31:32], v[33:34]
	s_delay_alu instid0(VALU_DEP_1) | instskip(NEXT) | instid1(VALU_DEP_1)
	v_add_f64 v[33:34], v[39:40], v[31:32]
	v_fma_f64 v[35:36], v[33:34], s[22:23], s[20:21]
	v_add_f64 v[37:38], v[39:40], -v[33:34]
	v_mul_f64 v[39:40], v[33:34], v[33:34]
	s_delay_alu instid0(VALU_DEP_3) | instskip(NEXT) | instid1(VALU_DEP_3)
	v_fma_f64 v[35:36], v[33:34], v[35:36], s[24:25]
	v_add_f64 v[31:32], v[31:32], v[37:38]
	s_delay_alu instid0(VALU_DEP_3) | instskip(NEXT) | instid1(VALU_DEP_3)
	v_fma_f64 v[37:38], v[33:34], v[33:34], -v[39:40]
	v_fma_f64 v[35:36], v[33:34], v[35:36], s[26:27]
	s_delay_alu instid0(VALU_DEP_3) | instskip(NEXT) | instid1(VALU_DEP_2)
	v_add_f64 v[41:42], v[31:32], v[31:32]
	v_fma_f64 v[35:36], v[33:34], v[35:36], s[28:29]
	s_delay_alu instid0(VALU_DEP_2) | instskip(NEXT) | instid1(VALU_DEP_2)
	v_fma_f64 v[37:38], v[33:34], v[41:42], v[37:38]
	v_fma_f64 v[35:36], v[33:34], v[35:36], s[30:31]
	s_delay_alu instid0(VALU_DEP_2) | instskip(NEXT) | instid1(VALU_DEP_2)
	v_add_f64 v[41:42], v[39:40], v[37:38]
	v_fma_f64 v[35:36], v[33:34], v[35:36], s[34:35]
	s_delay_alu instid0(VALU_DEP_2) | instskip(NEXT) | instid1(VALU_DEP_2)
	v_add_f64 v[39:40], v[41:42], -v[39:40]
	v_fma_f64 v[35:36], v[33:34], v[35:36], s[36:37]
	s_delay_alu instid0(VALU_DEP_2) | instskip(NEXT) | instid1(VALU_DEP_2)
	v_add_f64 v[37:38], v[37:38], -v[39:40]
	v_fma_f64 v[35:36], v[33:34], v[35:36], s[38:39]
	s_delay_alu instid0(VALU_DEP_1) | instskip(NEXT) | instid1(VALU_DEP_1)
	v_fma_f64 v[35:36], v[33:34], v[35:36], s[40:41]
	v_mul_f64 v[43:44], v[41:42], v[35:36]
	s_delay_alu instid0(VALU_DEP_1) | instskip(NEXT) | instid1(VALU_DEP_1)
	v_fma_f64 v[39:40], v[41:42], v[35:36], -v[43:44]
	v_fma_f64 v[35:36], v[37:38], v[35:36], v[39:40]
	s_delay_alu instid0(VALU_DEP_1) | instskip(NEXT) | instid1(VALU_DEP_1)
	v_add_f64 v[37:38], v[43:44], v[35:36]
	v_add_f64 v[39:40], v[33:34], v[37:38]
	v_add_f64 v[41:42], v[37:38], -v[43:44]
	s_delay_alu instid0(VALU_DEP_2) | instskip(NEXT) | instid1(VALU_DEP_2)
	v_add_f64 v[33:34], v[39:40], -v[33:34]
	v_add_f64 v[35:36], v[35:36], -v[41:42]
	v_cvt_i32_f64_e32 v41, v[7:8]
	s_delay_alu instid0(VALU_DEP_3) | instskip(NEXT) | instid1(VALU_DEP_3)
	v_add_f64 v[33:34], v[37:38], -v[33:34]
	v_add_f64 v[31:32], v[31:32], v[35:36]
	s_delay_alu instid0(VALU_DEP_1) | instskip(NEXT) | instid1(VALU_DEP_1)
	v_add_f64 v[31:32], v[31:32], v[33:34]
	v_add_f64 v[33:34], v[39:40], v[31:32]
	s_delay_alu instid0(VALU_DEP_1) | instskip(SKIP_1) | instid1(VALU_DEP_2)
	v_add_f64 v[35:36], v[33:34], 1.0
	v_add_f64 v[37:38], v[33:34], -v[39:40]
	v_add_f64 v[39:40], v[35:36], -1.0
	s_delay_alu instid0(VALU_DEP_2) | instskip(NEXT) | instid1(VALU_DEP_2)
	v_add_f64 v[31:32], v[31:32], -v[37:38]
	v_add_f64 v[33:34], v[33:34], -v[39:40]
	s_delay_alu instid0(VALU_DEP_1) | instskip(NEXT) | instid1(VALU_DEP_1)
	v_add_f64 v[31:32], v[31:32], v[33:34]
	v_add_f64 v[7:8], v[35:36], v[31:32]
	s_delay_alu instid0(VALU_DEP_1) | instskip(SKIP_1) | instid1(VALU_DEP_2)
	v_ldexp_f64 v[33:34], v[7:8], v41
	v_add_f64 v[7:8], v[7:8], -v[35:36]
	v_rcp_f64_e32 v[37:38], v[33:34]
	s_delay_alu instid0(VALU_DEP_1) | instskip(NEXT) | instid1(VALU_DEP_1)
	v_add_f64 v[7:8], v[31:32], -v[7:8]
	v_ldexp_f64 v[7:8], v[7:8], v41
	s_waitcnt_depctr 0xfff
	v_fma_f64 v[39:40], -v[33:34], v[37:38], 1.0
	s_delay_alu instid0(VALU_DEP_1) | instskip(NEXT) | instid1(VALU_DEP_1)
	v_fma_f64 v[37:38], v[39:40], v[37:38], v[37:38]
	v_fma_f64 v[39:40], -v[33:34], v[37:38], 1.0
	s_delay_alu instid0(VALU_DEP_1) | instskip(NEXT) | instid1(VALU_DEP_1)
	v_fma_f64 v[35:36], v[39:40], v[37:38], v[37:38]
	v_mul_f64 v[31:32], v[33:34], v[35:36]
	s_delay_alu instid0(VALU_DEP_1) | instskip(NEXT) | instid1(VALU_DEP_1)
	v_fma_f64 v[37:38], v[35:36], v[33:34], -v[31:32]
	v_fma_f64 v[37:38], v[35:36], v[7:8], v[37:38]
	s_delay_alu instid0(VALU_DEP_1) | instskip(NEXT) | instid1(VALU_DEP_1)
	v_add_f64 v[39:40], v[31:32], v[37:38]
	v_add_f64 v[41:42], -v[39:40], 1.0
	v_add_f64 v[31:32], v[39:40], -v[31:32]
	s_delay_alu instid0(VALU_DEP_2) | instskip(NEXT) | instid1(VALU_DEP_2)
	v_add_f64 v[43:44], -v[41:42], 1.0
	v_add_f64 v[31:32], v[31:32], -v[37:38]
	s_delay_alu instid0(VALU_DEP_2) | instskip(NEXT) | instid1(VALU_DEP_1)
	v_add_f64 v[37:38], v[43:44], -v[39:40]
	v_add_f64 v[31:32], v[31:32], v[37:38]
	s_delay_alu instid0(VALU_DEP_1) | instskip(NEXT) | instid1(VALU_DEP_1)
	v_add_f64 v[37:38], v[41:42], v[31:32]
	v_mul_f64 v[39:40], v[35:36], v[37:38]
	v_add_f64 v[41:42], v[41:42], -v[37:38]
	s_delay_alu instid0(VALU_DEP_2) | instskip(NEXT) | instid1(VALU_DEP_2)
	v_mul_f64 v[43:44], v[33:34], v[39:40]
	v_add_f64 v[31:32], v[31:32], v[41:42]
	s_delay_alu instid0(VALU_DEP_2) | instskip(NEXT) | instid1(VALU_DEP_1)
	v_fma_f64 v[45:46], v[39:40], v[33:34], -v[43:44]
	v_fma_f64 v[45:46], v[39:40], v[7:8], v[45:46]
	s_delay_alu instid0(VALU_DEP_1) | instskip(NEXT) | instid1(VALU_DEP_1)
	v_add_f64 v[47:48], v[43:44], v[45:46]
	v_add_f64 v[49:50], v[37:38], -v[47:48]
	v_add_f64 v[41:42], v[47:48], -v[43:44]
	s_delay_alu instid0(VALU_DEP_2) | instskip(NEXT) | instid1(VALU_DEP_2)
	v_add_f64 v[37:38], v[37:38], -v[49:50]
	v_add_f64 v[41:42], v[41:42], -v[45:46]
	s_delay_alu instid0(VALU_DEP_2) | instskip(NEXT) | instid1(VALU_DEP_1)
	v_add_f64 v[37:38], v[37:38], -v[47:48]
	v_add_f64 v[31:32], v[31:32], v[37:38]
	v_add_f64 v[37:38], v[35:36], v[39:40]
	s_delay_alu instid0(VALU_DEP_2) | instskip(NEXT) | instid1(VALU_DEP_2)
	v_add_f64 v[31:32], v[41:42], v[31:32]
	v_add_f64 v[41:42], v[37:38], -v[35:36]
	s_delay_alu instid0(VALU_DEP_2) | instskip(NEXT) | instid1(VALU_DEP_2)
	v_add_f64 v[31:32], v[49:50], v[31:32]
	v_add_f64 v[39:40], v[39:40], -v[41:42]
	s_delay_alu instid0(VALU_DEP_2) | instskip(NEXT) | instid1(VALU_DEP_1)
	v_mul_f64 v[31:32], v[35:36], v[31:32]
	v_add_f64 v[31:32], v[39:40], v[31:32]
	s_delay_alu instid0(VALU_DEP_1) | instskip(NEXT) | instid1(VALU_DEP_1)
	v_add_f64 v[35:36], v[37:38], v[31:32]
	v_add_f64 v[39:40], v[33:34], v[35:36]
	v_add_f64 v[37:38], v[35:36], -v[37:38]
	v_add_f64 v[43:44], v[33:34], -v[35:36]
	s_delay_alu instid0(VALU_DEP_3) | instskip(NEXT) | instid1(VALU_DEP_3)
	v_add_f64 v[41:42], v[39:40], -v[33:34]
	v_add_f64 v[31:32], v[31:32], -v[37:38]
	s_delay_alu instid0(VALU_DEP_3) | instskip(NEXT) | instid1(VALU_DEP_3)
	;; [unrolled: 3-line block ×3, first 2 shown]
	v_add_f64 v[41:42], v[7:8], v[31:32]
	v_add_f64 v[33:34], v[33:34], -v[35:36]
	s_delay_alu instid0(VALU_DEP_2) | instskip(NEXT) | instid1(VALU_DEP_2)
	v_add_f64 v[37:38], v[41:42], v[37:38]
	v_add_f64 v[7:8], v[7:8], v[33:34]
	s_delay_alu instid0(VALU_DEP_2) | instskip(NEXT) | instid1(VALU_DEP_2)
	v_add_f64 v[41:42], v[39:40], v[37:38]
	v_add_f64 v[7:8], v[7:8], -v[31:32]
	s_delay_alu instid0(VALU_DEP_2) | instskip(SKIP_1) | instid1(VALU_DEP_1)
	v_rcp_f64_e32 v[45:46], v[41:42]
	v_add_f64 v[39:40], v[41:42], -v[39:40]
	v_add_f64 v[37:38], v[37:38], -v[39:40]
	s_waitcnt_depctr 0xfff
	v_fma_f64 v[35:36], -v[41:42], v[45:46], 1.0
	s_delay_alu instid0(VALU_DEP_1) | instskip(SKIP_1) | instid1(VALU_DEP_2)
	v_fma_f64 v[33:34], v[35:36], v[45:46], v[45:46]
	v_add_f64 v[35:36], v[43:44], v[7:8]
	v_fma_f64 v[31:32], -v[41:42], v[33:34], 1.0
	s_delay_alu instid0(VALU_DEP_1) | instskip(NEXT) | instid1(VALU_DEP_1)
	v_fma_f64 v[31:32], v[31:32], v[33:34], v[33:34]
	v_mul_f64 v[33:34], v[35:36], v[31:32]
	s_delay_alu instid0(VALU_DEP_1) | instskip(NEXT) | instid1(VALU_DEP_1)
	v_mul_f64 v[45:46], v[41:42], v[33:34]
	v_fma_f64 v[39:40], v[33:34], v[41:42], -v[45:46]
	s_delay_alu instid0(VALU_DEP_1) | instskip(NEXT) | instid1(VALU_DEP_1)
	v_fma_f64 v[37:38], v[33:34], v[37:38], v[39:40]
	v_add_f64 v[39:40], v[45:46], v[37:38]
	s_delay_alu instid0(VALU_DEP_1) | instskip(SKIP_1) | instid1(VALU_DEP_2)
	v_add_f64 v[41:42], v[35:36], -v[39:40]
	v_add_f64 v[45:46], v[39:40], -v[45:46]
	;; [unrolled: 1-line block ×4, first 2 shown]
	s_delay_alu instid0(VALU_DEP_3) | instskip(NEXT) | instid1(VALU_DEP_3)
	v_add_f64 v[37:38], v[37:38], -v[45:46]
	v_add_f64 v[39:40], v[47:48], -v[39:40]
	s_delay_alu instid0(VALU_DEP_3) | instskip(NEXT) | instid1(VALU_DEP_2)
	v_add_f64 v[7:8], v[7:8], -v[35:36]
	v_add_f64 v[35:36], v[39:40], -v[37:38]
	s_delay_alu instid0(VALU_DEP_1) | instskip(NEXT) | instid1(VALU_DEP_1)
	v_add_f64 v[7:8], v[7:8], v[35:36]
	v_add_f64 v[7:8], v[41:42], v[7:8]
	s_delay_alu instid0(VALU_DEP_1) | instskip(SKIP_1) | instid1(VALU_DEP_2)
	v_mul_f64 v[7:8], v[31:32], v[7:8]
	v_and_b32_e32 v31, 0x7fffffff, v6
	v_add_f64 v[7:8], v[33:34], v[7:8]
	s_delay_alu instid0(VALU_DEP_1) | instskip(NEXT) | instid1(VALU_DEP_2)
	v_cndmask_b32_e64 v8, 0x3ff00000, v8, s1
	v_cndmask_b32_e64 v7, 0, v7, s1
	v_cmp_gt_f64_e64 s1, 0x3e400000, |v[5:6]|
	s_delay_alu instid0(VALU_DEP_1) | instskip(NEXT) | instid1(VALU_DEP_4)
	v_cndmask_b32_e64 v5, v7, v5, s1
	v_cndmask_b32_e64 v7, v8, v31, s1
	s_delay_alu instid0(VALU_DEP_1) | instskip(SKIP_1) | instid1(VALU_DEP_1)
	v_bfi_b32 v6, 0x7fffffff, v7, v6
	v_add_co_u32 v7, s1, v29, s8
	v_add_co_ci_u32_e64 v8, s1, s9, v30, s1
	global_store_b64 v[7:8], v[5:6], off
	s_or_b32 exec_lo, exec_lo, s2
	s_and_saveexec_b32 s1, s0
	s_cbranch_execz .LBB154_19
.LBB154_23:                             ;   in Loop: Header=BB154_9 Depth=1
	s_waitcnt vmcnt(0)
	v_mul_f64 v[5:6], |v[3:4]|, s[6:7]
	v_cmp_nlt_f64_e64 s0, 0x40331000, |v[3:4]|
	s_delay_alu instid0(VALU_DEP_2) | instskip(NEXT) | instid1(VALU_DEP_1)
	v_rndne_f64_e32 v[5:6], v[5:6]
	v_fma_f64 v[7:8], v[5:6], s[14:15], |v[3:4]|
	v_mul_f64 v[31:32], v[5:6], s[16:17]
	s_delay_alu instid0(VALU_DEP_2) | instskip(NEXT) | instid1(VALU_DEP_1)
	v_add_f64 v[33:34], v[7:8], 0
	v_add_f64 v[35:36], v[33:34], v[31:32]
	v_add_f64 v[7:8], v[7:8], -v[33:34]
	s_delay_alu instid0(VALU_DEP_2) | instskip(NEXT) | instid1(VALU_DEP_2)
	v_add_f64 v[33:34], v[33:34], -v[35:36]
	v_add_f64 v[7:8], v[7:8], 0
	s_delay_alu instid0(VALU_DEP_2) | instskip(NEXT) | instid1(VALU_DEP_1)
	v_add_f64 v[31:32], v[33:34], v[31:32]
	v_add_f64 v[7:8], v[7:8], v[31:32]
	v_mul_f64 v[31:32], v[5:6], s[18:19]
	s_delay_alu instid0(VALU_DEP_2) | instskip(NEXT) | instid1(VALU_DEP_1)
	v_add_f64 v[33:34], v[35:36], v[7:8]
	v_add_f64 v[37:38], v[33:34], v[31:32]
	v_add_f64 v[35:36], v[35:36], -v[33:34]
	s_delay_alu instid0(VALU_DEP_2) | instskip(NEXT) | instid1(VALU_DEP_2)
	v_add_f64 v[33:34], v[33:34], -v[37:38]
	v_add_f64 v[7:8], v[7:8], v[35:36]
	s_delay_alu instid0(VALU_DEP_2) | instskip(NEXT) | instid1(VALU_DEP_1)
	v_add_f64 v[31:32], v[33:34], v[31:32]
	v_add_f64 v[7:8], v[7:8], v[31:32]
	s_delay_alu instid0(VALU_DEP_1) | instskip(NEXT) | instid1(VALU_DEP_1)
	v_add_f64 v[31:32], v[37:38], v[7:8]
	v_fma_f64 v[33:34], v[31:32], s[22:23], s[20:21]
	v_add_f64 v[35:36], v[37:38], -v[31:32]
	v_mul_f64 v[37:38], v[31:32], v[31:32]
	s_delay_alu instid0(VALU_DEP_3) | instskip(NEXT) | instid1(VALU_DEP_3)
	v_fma_f64 v[33:34], v[31:32], v[33:34], s[24:25]
	v_add_f64 v[7:8], v[7:8], v[35:36]
	s_delay_alu instid0(VALU_DEP_3) | instskip(NEXT) | instid1(VALU_DEP_3)
	v_fma_f64 v[35:36], v[31:32], v[31:32], -v[37:38]
	v_fma_f64 v[33:34], v[31:32], v[33:34], s[26:27]
	s_delay_alu instid0(VALU_DEP_3) | instskip(NEXT) | instid1(VALU_DEP_2)
	v_add_f64 v[39:40], v[7:8], v[7:8]
	v_fma_f64 v[33:34], v[31:32], v[33:34], s[28:29]
	s_delay_alu instid0(VALU_DEP_2) | instskip(NEXT) | instid1(VALU_DEP_2)
	v_fma_f64 v[35:36], v[31:32], v[39:40], v[35:36]
	v_fma_f64 v[33:34], v[31:32], v[33:34], s[30:31]
	s_delay_alu instid0(VALU_DEP_2) | instskip(NEXT) | instid1(VALU_DEP_2)
	v_add_f64 v[39:40], v[37:38], v[35:36]
	v_fma_f64 v[33:34], v[31:32], v[33:34], s[34:35]
	s_delay_alu instid0(VALU_DEP_2) | instskip(NEXT) | instid1(VALU_DEP_2)
	v_add_f64 v[37:38], v[39:40], -v[37:38]
	v_fma_f64 v[33:34], v[31:32], v[33:34], s[36:37]
	s_delay_alu instid0(VALU_DEP_2) | instskip(NEXT) | instid1(VALU_DEP_2)
	v_add_f64 v[35:36], v[35:36], -v[37:38]
	v_fma_f64 v[33:34], v[31:32], v[33:34], s[38:39]
	s_delay_alu instid0(VALU_DEP_1) | instskip(NEXT) | instid1(VALU_DEP_1)
	v_fma_f64 v[33:34], v[31:32], v[33:34], s[40:41]
	v_mul_f64 v[41:42], v[39:40], v[33:34]
	s_delay_alu instid0(VALU_DEP_1) | instskip(NEXT) | instid1(VALU_DEP_1)
	v_fma_f64 v[37:38], v[39:40], v[33:34], -v[41:42]
	v_fma_f64 v[33:34], v[35:36], v[33:34], v[37:38]
	s_delay_alu instid0(VALU_DEP_1) | instskip(NEXT) | instid1(VALU_DEP_1)
	v_add_f64 v[35:36], v[41:42], v[33:34]
	v_add_f64 v[37:38], v[31:32], v[35:36]
	v_add_f64 v[39:40], v[35:36], -v[41:42]
	s_delay_alu instid0(VALU_DEP_2) | instskip(NEXT) | instid1(VALU_DEP_2)
	v_add_f64 v[31:32], v[37:38], -v[31:32]
	v_add_f64 v[33:34], v[33:34], -v[39:40]
	v_cvt_i32_f64_e32 v39, v[5:6]
	s_delay_alu instid0(VALU_DEP_3) | instskip(NEXT) | instid1(VALU_DEP_3)
	v_add_f64 v[31:32], v[35:36], -v[31:32]
	v_add_f64 v[7:8], v[7:8], v[33:34]
	s_delay_alu instid0(VALU_DEP_1) | instskip(NEXT) | instid1(VALU_DEP_1)
	v_add_f64 v[7:8], v[7:8], v[31:32]
	v_add_f64 v[31:32], v[37:38], v[7:8]
	s_delay_alu instid0(VALU_DEP_1) | instskip(SKIP_1) | instid1(VALU_DEP_2)
	v_add_f64 v[33:34], v[31:32], 1.0
	v_add_f64 v[35:36], v[31:32], -v[37:38]
	v_add_f64 v[37:38], v[33:34], -1.0
	s_delay_alu instid0(VALU_DEP_2) | instskip(NEXT) | instid1(VALU_DEP_2)
	v_add_f64 v[7:8], v[7:8], -v[35:36]
	v_add_f64 v[31:32], v[31:32], -v[37:38]
	s_delay_alu instid0(VALU_DEP_1) | instskip(NEXT) | instid1(VALU_DEP_1)
	v_add_f64 v[7:8], v[7:8], v[31:32]
	v_add_f64 v[5:6], v[33:34], v[7:8]
	s_delay_alu instid0(VALU_DEP_1) | instskip(SKIP_1) | instid1(VALU_DEP_2)
	v_ldexp_f64 v[31:32], v[5:6], v39
	v_add_f64 v[5:6], v[5:6], -v[33:34]
	v_rcp_f64_e32 v[35:36], v[31:32]
	s_delay_alu instid0(VALU_DEP_1) | instskip(NEXT) | instid1(VALU_DEP_1)
	v_add_f64 v[5:6], v[7:8], -v[5:6]
	v_ldexp_f64 v[5:6], v[5:6], v39
	s_waitcnt_depctr 0xfff
	v_fma_f64 v[37:38], -v[31:32], v[35:36], 1.0
	s_delay_alu instid0(VALU_DEP_1) | instskip(NEXT) | instid1(VALU_DEP_1)
	v_fma_f64 v[35:36], v[37:38], v[35:36], v[35:36]
	v_fma_f64 v[37:38], -v[31:32], v[35:36], 1.0
	s_delay_alu instid0(VALU_DEP_1) | instskip(NEXT) | instid1(VALU_DEP_1)
	v_fma_f64 v[33:34], v[37:38], v[35:36], v[35:36]
	v_mul_f64 v[7:8], v[31:32], v[33:34]
	s_delay_alu instid0(VALU_DEP_1) | instskip(NEXT) | instid1(VALU_DEP_1)
	v_fma_f64 v[35:36], v[33:34], v[31:32], -v[7:8]
	v_fma_f64 v[35:36], v[33:34], v[5:6], v[35:36]
	s_delay_alu instid0(VALU_DEP_1) | instskip(NEXT) | instid1(VALU_DEP_1)
	v_add_f64 v[37:38], v[7:8], v[35:36]
	v_add_f64 v[39:40], -v[37:38], 1.0
	v_add_f64 v[7:8], v[37:38], -v[7:8]
	s_delay_alu instid0(VALU_DEP_2) | instskip(NEXT) | instid1(VALU_DEP_2)
	v_add_f64 v[41:42], -v[39:40], 1.0
	v_add_f64 v[7:8], v[7:8], -v[35:36]
	s_delay_alu instid0(VALU_DEP_2) | instskip(NEXT) | instid1(VALU_DEP_1)
	v_add_f64 v[35:36], v[41:42], -v[37:38]
	v_add_f64 v[7:8], v[7:8], v[35:36]
	s_delay_alu instid0(VALU_DEP_1) | instskip(NEXT) | instid1(VALU_DEP_1)
	v_add_f64 v[35:36], v[39:40], v[7:8]
	v_mul_f64 v[37:38], v[33:34], v[35:36]
	v_add_f64 v[39:40], v[39:40], -v[35:36]
	s_delay_alu instid0(VALU_DEP_2) | instskip(NEXT) | instid1(VALU_DEP_2)
	v_mul_f64 v[41:42], v[31:32], v[37:38]
	v_add_f64 v[7:8], v[7:8], v[39:40]
	s_delay_alu instid0(VALU_DEP_2) | instskip(NEXT) | instid1(VALU_DEP_1)
	v_fma_f64 v[43:44], v[37:38], v[31:32], -v[41:42]
	v_fma_f64 v[43:44], v[37:38], v[5:6], v[43:44]
	s_delay_alu instid0(VALU_DEP_1) | instskip(NEXT) | instid1(VALU_DEP_1)
	v_add_f64 v[45:46], v[41:42], v[43:44]
	v_add_f64 v[47:48], v[35:36], -v[45:46]
	v_add_f64 v[39:40], v[45:46], -v[41:42]
	s_delay_alu instid0(VALU_DEP_2) | instskip(NEXT) | instid1(VALU_DEP_2)
	v_add_f64 v[35:36], v[35:36], -v[47:48]
	v_add_f64 v[39:40], v[39:40], -v[43:44]
	s_delay_alu instid0(VALU_DEP_2) | instskip(NEXT) | instid1(VALU_DEP_1)
	v_add_f64 v[35:36], v[35:36], -v[45:46]
	v_add_f64 v[7:8], v[7:8], v[35:36]
	v_add_f64 v[35:36], v[33:34], v[37:38]
	s_delay_alu instid0(VALU_DEP_2) | instskip(NEXT) | instid1(VALU_DEP_2)
	v_add_f64 v[7:8], v[39:40], v[7:8]
	v_add_f64 v[39:40], v[35:36], -v[33:34]
	s_delay_alu instid0(VALU_DEP_2) | instskip(NEXT) | instid1(VALU_DEP_2)
	v_add_f64 v[7:8], v[47:48], v[7:8]
	v_add_f64 v[37:38], v[37:38], -v[39:40]
	s_delay_alu instid0(VALU_DEP_2) | instskip(NEXT) | instid1(VALU_DEP_1)
	v_mul_f64 v[7:8], v[33:34], v[7:8]
	v_add_f64 v[7:8], v[37:38], v[7:8]
	s_delay_alu instid0(VALU_DEP_1) | instskip(NEXT) | instid1(VALU_DEP_1)
	v_add_f64 v[33:34], v[35:36], v[7:8]
	v_add_f64 v[37:38], v[31:32], v[33:34]
	v_add_f64 v[35:36], v[33:34], -v[35:36]
	v_add_f64 v[41:42], v[31:32], -v[33:34]
	s_delay_alu instid0(VALU_DEP_3) | instskip(NEXT) | instid1(VALU_DEP_3)
	v_add_f64 v[39:40], v[37:38], -v[31:32]
	v_add_f64 v[7:8], v[7:8], -v[35:36]
	s_delay_alu instid0(VALU_DEP_3) | instskip(NEXT) | instid1(VALU_DEP_3)
	;; [unrolled: 3-line block ×3, first 2 shown]
	v_add_f64 v[39:40], v[5:6], v[7:8]
	v_add_f64 v[31:32], v[31:32], -v[33:34]
	s_delay_alu instid0(VALU_DEP_2) | instskip(NEXT) | instid1(VALU_DEP_2)
	v_add_f64 v[35:36], v[39:40], v[35:36]
	v_add_f64 v[5:6], v[5:6], v[31:32]
	s_delay_alu instid0(VALU_DEP_2) | instskip(NEXT) | instid1(VALU_DEP_2)
	v_add_f64 v[39:40], v[37:38], v[35:36]
	v_add_f64 v[5:6], v[5:6], -v[7:8]
	s_delay_alu instid0(VALU_DEP_2) | instskip(SKIP_1) | instid1(VALU_DEP_1)
	v_rcp_f64_e32 v[43:44], v[39:40]
	v_add_f64 v[37:38], v[39:40], -v[37:38]
	v_add_f64 v[35:36], v[35:36], -v[37:38]
	s_waitcnt_depctr 0xfff
	v_fma_f64 v[33:34], -v[39:40], v[43:44], 1.0
	s_delay_alu instid0(VALU_DEP_1) | instskip(SKIP_1) | instid1(VALU_DEP_2)
	v_fma_f64 v[31:32], v[33:34], v[43:44], v[43:44]
	v_add_f64 v[33:34], v[41:42], v[5:6]
	v_fma_f64 v[7:8], -v[39:40], v[31:32], 1.0
	s_delay_alu instid0(VALU_DEP_1) | instskip(NEXT) | instid1(VALU_DEP_1)
	v_fma_f64 v[7:8], v[7:8], v[31:32], v[31:32]
	v_mul_f64 v[31:32], v[33:34], v[7:8]
	s_delay_alu instid0(VALU_DEP_1) | instskip(NEXT) | instid1(VALU_DEP_1)
	v_mul_f64 v[43:44], v[39:40], v[31:32]
	v_fma_f64 v[37:38], v[31:32], v[39:40], -v[43:44]
	s_delay_alu instid0(VALU_DEP_1) | instskip(NEXT) | instid1(VALU_DEP_1)
	v_fma_f64 v[35:36], v[31:32], v[35:36], v[37:38]
	v_add_f64 v[37:38], v[43:44], v[35:36]
	s_delay_alu instid0(VALU_DEP_1) | instskip(SKIP_1) | instid1(VALU_DEP_2)
	v_add_f64 v[39:40], v[33:34], -v[37:38]
	v_add_f64 v[43:44], v[37:38], -v[43:44]
	;; [unrolled: 1-line block ×4, first 2 shown]
	s_delay_alu instid0(VALU_DEP_3) | instskip(NEXT) | instid1(VALU_DEP_3)
	v_add_f64 v[35:36], v[35:36], -v[43:44]
	v_add_f64 v[37:38], v[45:46], -v[37:38]
	s_delay_alu instid0(VALU_DEP_3) | instskip(NEXT) | instid1(VALU_DEP_2)
	v_add_f64 v[5:6], v[5:6], -v[33:34]
	v_add_f64 v[33:34], v[37:38], -v[35:36]
	s_delay_alu instid0(VALU_DEP_1) | instskip(NEXT) | instid1(VALU_DEP_1)
	v_add_f64 v[5:6], v[5:6], v[33:34]
	v_add_f64 v[5:6], v[39:40], v[5:6]
	s_delay_alu instid0(VALU_DEP_1) | instskip(SKIP_1) | instid1(VALU_DEP_2)
	v_mul_f64 v[5:6], v[7:8], v[5:6]
	v_and_b32_e32 v7, 0x7fffffff, v4
	v_add_f64 v[5:6], v[31:32], v[5:6]
	s_delay_alu instid0(VALU_DEP_1) | instskip(NEXT) | instid1(VALU_DEP_2)
	v_cndmask_b32_e64 v6, 0x3ff00000, v6, s0
	v_cndmask_b32_e64 v5, 0, v5, s0
	v_cmp_gt_f64_e64 s0, 0x3e400000, |v[3:4]|
	s_delay_alu instid0(VALU_DEP_1) | instskip(NEXT) | instid1(VALU_DEP_4)
	v_cndmask_b32_e64 v3, v5, v3, s0
	v_cndmask_b32_e64 v5, v6, v7, s0
	s_delay_alu instid0(VALU_DEP_1) | instskip(SKIP_1) | instid1(VALU_DEP_1)
	v_bfi_b32 v4, 0x7fffffff, v5, v4
	v_add_co_u32 v5, s0, v22, s8
	v_add_co_ci_u32_e64 v6, s0, s9, v23, s0
	global_store_b64 v[5:6], v[3:4], off
	s_or_b32 exec_lo, exec_lo, s1
	s_and_saveexec_b32 s0, vcc_lo
	s_cbranch_execz .LBB154_8
.LBB154_24:                             ;   in Loop: Header=BB154_9 Depth=1
	s_waitcnt vmcnt(0)
	v_mul_f64 v[3:4], |v[1:2]|, s[6:7]
	v_cmp_nlt_f64_e64 vcc_lo, 0x40331000, |v[1:2]|
	s_delay_alu instid0(VALU_DEP_2) | instskip(NEXT) | instid1(VALU_DEP_1)
	v_rndne_f64_e32 v[3:4], v[3:4]
	v_fma_f64 v[5:6], v[3:4], s[14:15], |v[1:2]|
	v_mul_f64 v[7:8], v[3:4], s[16:17]
	s_delay_alu instid0(VALU_DEP_2) | instskip(NEXT) | instid1(VALU_DEP_1)
	v_add_f64 v[31:32], v[5:6], 0
	v_add_f64 v[33:34], v[31:32], v[7:8]
	v_add_f64 v[5:6], v[5:6], -v[31:32]
	s_delay_alu instid0(VALU_DEP_2) | instskip(NEXT) | instid1(VALU_DEP_2)
	v_add_f64 v[31:32], v[31:32], -v[33:34]
	v_add_f64 v[5:6], v[5:6], 0
	s_delay_alu instid0(VALU_DEP_2) | instskip(NEXT) | instid1(VALU_DEP_1)
	v_add_f64 v[7:8], v[31:32], v[7:8]
	v_add_f64 v[5:6], v[5:6], v[7:8]
	v_mul_f64 v[7:8], v[3:4], s[18:19]
	s_delay_alu instid0(VALU_DEP_2) | instskip(NEXT) | instid1(VALU_DEP_1)
	v_add_f64 v[31:32], v[33:34], v[5:6]
	v_add_f64 v[35:36], v[31:32], v[7:8]
	v_add_f64 v[33:34], v[33:34], -v[31:32]
	s_delay_alu instid0(VALU_DEP_2) | instskip(NEXT) | instid1(VALU_DEP_2)
	v_add_f64 v[31:32], v[31:32], -v[35:36]
	v_add_f64 v[5:6], v[5:6], v[33:34]
	s_delay_alu instid0(VALU_DEP_2) | instskip(NEXT) | instid1(VALU_DEP_1)
	v_add_f64 v[7:8], v[31:32], v[7:8]
	v_add_f64 v[5:6], v[5:6], v[7:8]
	s_delay_alu instid0(VALU_DEP_1) | instskip(NEXT) | instid1(VALU_DEP_1)
	v_add_f64 v[7:8], v[35:36], v[5:6]
	v_fma_f64 v[31:32], v[7:8], s[22:23], s[20:21]
	v_add_f64 v[33:34], v[35:36], -v[7:8]
	v_mul_f64 v[35:36], v[7:8], v[7:8]
	s_delay_alu instid0(VALU_DEP_3) | instskip(NEXT) | instid1(VALU_DEP_3)
	v_fma_f64 v[31:32], v[7:8], v[31:32], s[24:25]
	v_add_f64 v[5:6], v[5:6], v[33:34]
	s_delay_alu instid0(VALU_DEP_3) | instskip(NEXT) | instid1(VALU_DEP_3)
	v_fma_f64 v[33:34], v[7:8], v[7:8], -v[35:36]
	v_fma_f64 v[31:32], v[7:8], v[31:32], s[26:27]
	s_delay_alu instid0(VALU_DEP_3) | instskip(NEXT) | instid1(VALU_DEP_2)
	v_add_f64 v[37:38], v[5:6], v[5:6]
	v_fma_f64 v[31:32], v[7:8], v[31:32], s[28:29]
	s_delay_alu instid0(VALU_DEP_2) | instskip(NEXT) | instid1(VALU_DEP_2)
	v_fma_f64 v[33:34], v[7:8], v[37:38], v[33:34]
	v_fma_f64 v[31:32], v[7:8], v[31:32], s[30:31]
	s_delay_alu instid0(VALU_DEP_2) | instskip(NEXT) | instid1(VALU_DEP_2)
	v_add_f64 v[37:38], v[35:36], v[33:34]
	v_fma_f64 v[31:32], v[7:8], v[31:32], s[34:35]
	s_delay_alu instid0(VALU_DEP_2) | instskip(NEXT) | instid1(VALU_DEP_2)
	v_add_f64 v[35:36], v[37:38], -v[35:36]
	v_fma_f64 v[31:32], v[7:8], v[31:32], s[36:37]
	s_delay_alu instid0(VALU_DEP_2) | instskip(NEXT) | instid1(VALU_DEP_2)
	v_add_f64 v[33:34], v[33:34], -v[35:36]
	v_fma_f64 v[31:32], v[7:8], v[31:32], s[38:39]
	s_delay_alu instid0(VALU_DEP_1) | instskip(NEXT) | instid1(VALU_DEP_1)
	v_fma_f64 v[31:32], v[7:8], v[31:32], s[40:41]
	v_mul_f64 v[39:40], v[37:38], v[31:32]
	s_delay_alu instid0(VALU_DEP_1) | instskip(NEXT) | instid1(VALU_DEP_1)
	v_fma_f64 v[35:36], v[37:38], v[31:32], -v[39:40]
	v_fma_f64 v[31:32], v[33:34], v[31:32], v[35:36]
	s_delay_alu instid0(VALU_DEP_1) | instskip(NEXT) | instid1(VALU_DEP_1)
	v_add_f64 v[33:34], v[39:40], v[31:32]
	v_add_f64 v[35:36], v[7:8], v[33:34]
	v_add_f64 v[37:38], v[33:34], -v[39:40]
	s_delay_alu instid0(VALU_DEP_2) | instskip(NEXT) | instid1(VALU_DEP_2)
	v_add_f64 v[7:8], v[35:36], -v[7:8]
	v_add_f64 v[31:32], v[31:32], -v[37:38]
	v_cvt_i32_f64_e32 v37, v[3:4]
	s_delay_alu instid0(VALU_DEP_3) | instskip(NEXT) | instid1(VALU_DEP_3)
	v_add_f64 v[7:8], v[33:34], -v[7:8]
	v_add_f64 v[5:6], v[5:6], v[31:32]
	s_delay_alu instid0(VALU_DEP_1) | instskip(NEXT) | instid1(VALU_DEP_1)
	v_add_f64 v[5:6], v[5:6], v[7:8]
	v_add_f64 v[7:8], v[35:36], v[5:6]
	s_delay_alu instid0(VALU_DEP_1) | instskip(SKIP_1) | instid1(VALU_DEP_2)
	v_add_f64 v[31:32], v[7:8], 1.0
	v_add_f64 v[33:34], v[7:8], -v[35:36]
	v_add_f64 v[35:36], v[31:32], -1.0
	s_delay_alu instid0(VALU_DEP_2) | instskip(NEXT) | instid1(VALU_DEP_2)
	v_add_f64 v[5:6], v[5:6], -v[33:34]
	v_add_f64 v[7:8], v[7:8], -v[35:36]
	s_delay_alu instid0(VALU_DEP_1) | instskip(NEXT) | instid1(VALU_DEP_1)
	v_add_f64 v[5:6], v[5:6], v[7:8]
	v_add_f64 v[3:4], v[31:32], v[5:6]
	s_delay_alu instid0(VALU_DEP_1) | instskip(SKIP_1) | instid1(VALU_DEP_2)
	v_ldexp_f64 v[7:8], v[3:4], v37
	v_add_f64 v[3:4], v[3:4], -v[31:32]
	v_rcp_f64_e32 v[33:34], v[7:8]
	s_delay_alu instid0(VALU_DEP_1) | instskip(NEXT) | instid1(VALU_DEP_1)
	v_add_f64 v[3:4], v[5:6], -v[3:4]
	v_ldexp_f64 v[3:4], v[3:4], v37
	s_waitcnt_depctr 0xfff
	v_fma_f64 v[35:36], -v[7:8], v[33:34], 1.0
	s_delay_alu instid0(VALU_DEP_1) | instskip(NEXT) | instid1(VALU_DEP_1)
	v_fma_f64 v[33:34], v[35:36], v[33:34], v[33:34]
	v_fma_f64 v[35:36], -v[7:8], v[33:34], 1.0
	s_delay_alu instid0(VALU_DEP_1) | instskip(NEXT) | instid1(VALU_DEP_1)
	v_fma_f64 v[31:32], v[35:36], v[33:34], v[33:34]
	v_mul_f64 v[5:6], v[7:8], v[31:32]
	s_delay_alu instid0(VALU_DEP_1) | instskip(NEXT) | instid1(VALU_DEP_1)
	v_fma_f64 v[33:34], v[31:32], v[7:8], -v[5:6]
	v_fma_f64 v[33:34], v[31:32], v[3:4], v[33:34]
	s_delay_alu instid0(VALU_DEP_1) | instskip(NEXT) | instid1(VALU_DEP_1)
	v_add_f64 v[35:36], v[5:6], v[33:34]
	v_add_f64 v[37:38], -v[35:36], 1.0
	v_add_f64 v[5:6], v[35:36], -v[5:6]
	s_delay_alu instid0(VALU_DEP_2) | instskip(NEXT) | instid1(VALU_DEP_2)
	v_add_f64 v[39:40], -v[37:38], 1.0
	v_add_f64 v[5:6], v[5:6], -v[33:34]
	s_delay_alu instid0(VALU_DEP_2) | instskip(NEXT) | instid1(VALU_DEP_1)
	v_add_f64 v[33:34], v[39:40], -v[35:36]
	v_add_f64 v[5:6], v[5:6], v[33:34]
	s_delay_alu instid0(VALU_DEP_1) | instskip(NEXT) | instid1(VALU_DEP_1)
	v_add_f64 v[33:34], v[37:38], v[5:6]
	v_mul_f64 v[35:36], v[31:32], v[33:34]
	v_add_f64 v[37:38], v[37:38], -v[33:34]
	s_delay_alu instid0(VALU_DEP_2) | instskip(NEXT) | instid1(VALU_DEP_2)
	v_mul_f64 v[39:40], v[7:8], v[35:36]
	v_add_f64 v[5:6], v[5:6], v[37:38]
	s_delay_alu instid0(VALU_DEP_2) | instskip(NEXT) | instid1(VALU_DEP_1)
	v_fma_f64 v[41:42], v[35:36], v[7:8], -v[39:40]
	v_fma_f64 v[41:42], v[35:36], v[3:4], v[41:42]
	s_delay_alu instid0(VALU_DEP_1) | instskip(NEXT) | instid1(VALU_DEP_1)
	v_add_f64 v[43:44], v[39:40], v[41:42]
	v_add_f64 v[45:46], v[33:34], -v[43:44]
	v_add_f64 v[37:38], v[43:44], -v[39:40]
	s_delay_alu instid0(VALU_DEP_2) | instskip(NEXT) | instid1(VALU_DEP_2)
	v_add_f64 v[33:34], v[33:34], -v[45:46]
	v_add_f64 v[37:38], v[37:38], -v[41:42]
	s_delay_alu instid0(VALU_DEP_2) | instskip(NEXT) | instid1(VALU_DEP_1)
	v_add_f64 v[33:34], v[33:34], -v[43:44]
	v_add_f64 v[5:6], v[5:6], v[33:34]
	v_add_f64 v[33:34], v[31:32], v[35:36]
	s_delay_alu instid0(VALU_DEP_2) | instskip(NEXT) | instid1(VALU_DEP_2)
	v_add_f64 v[5:6], v[37:38], v[5:6]
	v_add_f64 v[37:38], v[33:34], -v[31:32]
	s_delay_alu instid0(VALU_DEP_2) | instskip(NEXT) | instid1(VALU_DEP_2)
	v_add_f64 v[5:6], v[45:46], v[5:6]
	v_add_f64 v[35:36], v[35:36], -v[37:38]
	s_delay_alu instid0(VALU_DEP_2) | instskip(NEXT) | instid1(VALU_DEP_1)
	v_mul_f64 v[5:6], v[31:32], v[5:6]
	v_add_f64 v[5:6], v[35:36], v[5:6]
	s_delay_alu instid0(VALU_DEP_1) | instskip(NEXT) | instid1(VALU_DEP_1)
	v_add_f64 v[31:32], v[33:34], v[5:6]
	v_add_f64 v[35:36], v[7:8], v[31:32]
	v_add_f64 v[33:34], v[31:32], -v[33:34]
	v_add_f64 v[39:40], v[7:8], -v[31:32]
	s_delay_alu instid0(VALU_DEP_3) | instskip(NEXT) | instid1(VALU_DEP_3)
	v_add_f64 v[37:38], v[35:36], -v[7:8]
	v_add_f64 v[5:6], v[5:6], -v[33:34]
	s_delay_alu instid0(VALU_DEP_3) | instskip(NEXT) | instid1(VALU_DEP_3)
	v_add_f64 v[7:8], v[7:8], -v[39:40]
	v_add_f64 v[33:34], v[31:32], -v[37:38]
	s_delay_alu instid0(VALU_DEP_3) | instskip(NEXT) | instid1(VALU_DEP_3)
	v_add_f64 v[37:38], v[3:4], v[5:6]
	v_add_f64 v[7:8], v[7:8], -v[31:32]
	s_delay_alu instid0(VALU_DEP_2) | instskip(NEXT) | instid1(VALU_DEP_2)
	v_add_f64 v[33:34], v[37:38], v[33:34]
	v_add_f64 v[3:4], v[3:4], v[7:8]
	s_delay_alu instid0(VALU_DEP_2) | instskip(NEXT) | instid1(VALU_DEP_2)
	v_add_f64 v[37:38], v[35:36], v[33:34]
	v_add_f64 v[3:4], v[3:4], -v[5:6]
	s_delay_alu instid0(VALU_DEP_2) | instskip(SKIP_1) | instid1(VALU_DEP_1)
	v_rcp_f64_e32 v[41:42], v[37:38]
	v_add_f64 v[35:36], v[37:38], -v[35:36]
	v_add_f64 v[33:34], v[33:34], -v[35:36]
	s_waitcnt_depctr 0xfff
	v_fma_f64 v[31:32], -v[37:38], v[41:42], 1.0
	s_delay_alu instid0(VALU_DEP_1) | instskip(SKIP_1) | instid1(VALU_DEP_2)
	v_fma_f64 v[7:8], v[31:32], v[41:42], v[41:42]
	v_add_f64 v[31:32], v[39:40], v[3:4]
	v_fma_f64 v[5:6], -v[37:38], v[7:8], 1.0
	s_delay_alu instid0(VALU_DEP_1) | instskip(NEXT) | instid1(VALU_DEP_1)
	v_fma_f64 v[5:6], v[5:6], v[7:8], v[7:8]
	v_mul_f64 v[7:8], v[31:32], v[5:6]
	s_delay_alu instid0(VALU_DEP_1) | instskip(NEXT) | instid1(VALU_DEP_1)
	v_mul_f64 v[41:42], v[37:38], v[7:8]
	v_fma_f64 v[35:36], v[7:8], v[37:38], -v[41:42]
	s_delay_alu instid0(VALU_DEP_1) | instskip(NEXT) | instid1(VALU_DEP_1)
	v_fma_f64 v[33:34], v[7:8], v[33:34], v[35:36]
	v_add_f64 v[35:36], v[41:42], v[33:34]
	s_delay_alu instid0(VALU_DEP_1) | instskip(SKIP_1) | instid1(VALU_DEP_2)
	v_add_f64 v[37:38], v[31:32], -v[35:36]
	v_add_f64 v[41:42], v[35:36], -v[41:42]
	;; [unrolled: 1-line block ×4, first 2 shown]
	s_delay_alu instid0(VALU_DEP_3) | instskip(NEXT) | instid1(VALU_DEP_3)
	v_add_f64 v[33:34], v[33:34], -v[41:42]
	v_add_f64 v[35:36], v[43:44], -v[35:36]
	s_delay_alu instid0(VALU_DEP_3) | instskip(NEXT) | instid1(VALU_DEP_2)
	v_add_f64 v[3:4], v[3:4], -v[31:32]
	v_add_f64 v[31:32], v[35:36], -v[33:34]
	s_delay_alu instid0(VALU_DEP_1) | instskip(NEXT) | instid1(VALU_DEP_1)
	v_add_f64 v[3:4], v[3:4], v[31:32]
	v_add_f64 v[3:4], v[37:38], v[3:4]
	s_delay_alu instid0(VALU_DEP_1) | instskip(SKIP_1) | instid1(VALU_DEP_2)
	v_mul_f64 v[3:4], v[5:6], v[3:4]
	v_and_b32_e32 v5, 0x7fffffff, v2
	v_add_f64 v[3:4], v[7:8], v[3:4]
	s_delay_alu instid0(VALU_DEP_1) | instskip(NEXT) | instid1(VALU_DEP_2)
	v_cndmask_b32_e32 v4, 0x3ff00000, v4, vcc_lo
	v_cndmask_b32_e32 v3, 0, v3, vcc_lo
	v_cmp_gt_f64_e64 vcc_lo, 0x3e400000, |v[1:2]|
	s_delay_alu instid0(VALU_DEP_2) | instskip(NEXT) | instid1(VALU_DEP_4)
	v_cndmask_b32_e32 v1, v3, v1, vcc_lo
	v_cndmask_b32_e32 v3, v4, v5, vcc_lo
	s_delay_alu instid0(VALU_DEP_1)
	v_bfi_b32 v2, 0x7fffffff, v3, v2
	v_add_co_u32 v3, vcc_lo, v15, s8
	v_add_co_ci_u32_e32 v4, vcc_lo, s9, v16, vcc_lo
	global_store_b64 v[3:4], v[1:2], off
	s_branch .LBB154_8
.LBB154_25:
	s_nop 0
	s_sendmsg sendmsg(MSG_DEALLOC_VGPRS)
	s_endpgm
	.section	.rodata,"a",@progbits
	.p2align	6, 0x0
	.amdhsa_kernel _ZN2at6native12_GLOBAL__N_125multi_tensor_apply_kernelINS1_18TensorListMetadataILi2EEENS1_14UnaryOpFunctorIdLi2ELi1ELi1EEEJNS0_4TanhIdEEEEEvT_T0_DpT1_
		.amdhsa_group_segment_fixed_size 0
		.amdhsa_private_segment_fixed_size 0
		.amdhsa_kernarg_size 3408
		.amdhsa_user_sgpr_count 15
		.amdhsa_user_sgpr_dispatch_ptr 0
		.amdhsa_user_sgpr_queue_ptr 0
		.amdhsa_user_sgpr_kernarg_segment_ptr 1
		.amdhsa_user_sgpr_dispatch_id 0
		.amdhsa_user_sgpr_private_segment_size 0
		.amdhsa_wavefront_size32 1
		.amdhsa_uses_dynamic_stack 0
		.amdhsa_enable_private_segment 0
		.amdhsa_system_sgpr_workgroup_id_x 1
		.amdhsa_system_sgpr_workgroup_id_y 0
		.amdhsa_system_sgpr_workgroup_id_z 0
		.amdhsa_system_sgpr_workgroup_info 0
		.amdhsa_system_vgpr_workitem_id 0
		.amdhsa_next_free_vgpr 92
		.amdhsa_next_free_sgpr 53
		.amdhsa_reserve_vcc 1
		.amdhsa_float_round_mode_32 0
		.amdhsa_float_round_mode_16_64 0
		.amdhsa_float_denorm_mode_32 3
		.amdhsa_float_denorm_mode_16_64 3
		.amdhsa_dx10_clamp 1
		.amdhsa_ieee_mode 1
		.amdhsa_fp16_overflow 0
		.amdhsa_workgroup_processor_mode 1
		.amdhsa_memory_ordered 1
		.amdhsa_forward_progress 0
		.amdhsa_shared_vgpr_count 0
		.amdhsa_exception_fp_ieee_invalid_op 0
		.amdhsa_exception_fp_denorm_src 0
		.amdhsa_exception_fp_ieee_div_zero 0
		.amdhsa_exception_fp_ieee_overflow 0
		.amdhsa_exception_fp_ieee_underflow 0
		.amdhsa_exception_fp_ieee_inexact 0
		.amdhsa_exception_int_div_zero 0
	.end_amdhsa_kernel
	.section	.text._ZN2at6native12_GLOBAL__N_125multi_tensor_apply_kernelINS1_18TensorListMetadataILi2EEENS1_14UnaryOpFunctorIdLi2ELi1ELi1EEEJNS0_4TanhIdEEEEEvT_T0_DpT1_,"axG",@progbits,_ZN2at6native12_GLOBAL__N_125multi_tensor_apply_kernelINS1_18TensorListMetadataILi2EEENS1_14UnaryOpFunctorIdLi2ELi1ELi1EEEJNS0_4TanhIdEEEEEvT_T0_DpT1_,comdat
.Lfunc_end154:
	.size	_ZN2at6native12_GLOBAL__N_125multi_tensor_apply_kernelINS1_18TensorListMetadataILi2EEENS1_14UnaryOpFunctorIdLi2ELi1ELi1EEEJNS0_4TanhIdEEEEEvT_T0_DpT1_, .Lfunc_end154-_ZN2at6native12_GLOBAL__N_125multi_tensor_apply_kernelINS1_18TensorListMetadataILi2EEENS1_14UnaryOpFunctorIdLi2ELi1ELi1EEEJNS0_4TanhIdEEEEEvT_T0_DpT1_
                                        ; -- End function
	.section	.AMDGPU.csdata,"",@progbits
; Kernel info:
; codeLenInByte = 12396
; NumSgprs: 55
; NumVgprs: 92
; ScratchSize: 0
; MemoryBound: 0
; FloatMode: 240
; IeeeMode: 1
; LDSByteSize: 0 bytes/workgroup (compile time only)
; SGPRBlocks: 6
; VGPRBlocks: 11
; NumSGPRsForWavesPerEU: 55
; NumVGPRsForWavesPerEU: 92
; Occupancy: 16
; WaveLimiterHint : 0
; COMPUTE_PGM_RSRC2:SCRATCH_EN: 0
; COMPUTE_PGM_RSRC2:USER_SGPR: 15
; COMPUTE_PGM_RSRC2:TRAP_HANDLER: 0
; COMPUTE_PGM_RSRC2:TGID_X_EN: 1
; COMPUTE_PGM_RSRC2:TGID_Y_EN: 0
; COMPUTE_PGM_RSRC2:TGID_Z_EN: 0
; COMPUTE_PGM_RSRC2:TIDIG_COMP_CNT: 0
	.section	.text._ZN2at6native12_GLOBAL__N_125multi_tensor_apply_kernelINS1_18TensorListMetadataILi2EEENS1_14UnaryOpFunctorIfLi2ELi1ELi1EEEJNS0_4TanhIfEEEEEvT_T0_DpT1_,"axG",@progbits,_ZN2at6native12_GLOBAL__N_125multi_tensor_apply_kernelINS1_18TensorListMetadataILi2EEENS1_14UnaryOpFunctorIfLi2ELi1ELi1EEEJNS0_4TanhIfEEEEEvT_T0_DpT1_,comdat
	.globl	_ZN2at6native12_GLOBAL__N_125multi_tensor_apply_kernelINS1_18TensorListMetadataILi2EEENS1_14UnaryOpFunctorIfLi2ELi1ELi1EEEJNS0_4TanhIfEEEEEvT_T0_DpT1_ ; -- Begin function _ZN2at6native12_GLOBAL__N_125multi_tensor_apply_kernelINS1_18TensorListMetadataILi2EEENS1_14UnaryOpFunctorIfLi2ELi1ELi1EEEJNS0_4TanhIfEEEEEvT_T0_DpT1_
	.p2align	8
	.type	_ZN2at6native12_GLOBAL__N_125multi_tensor_apply_kernelINS1_18TensorListMetadataILi2EEENS1_14UnaryOpFunctorIfLi2ELi1ELi1EEEJNS0_4TanhIfEEEEEvT_T0_DpT1_,@function
_ZN2at6native12_GLOBAL__N_125multi_tensor_apply_kernelINS1_18TensorListMetadataILi2EEENS1_14UnaryOpFunctorIfLi2ELi1ELi1EEEJNS0_4TanhIfEEEEEvT_T0_DpT1_: ; @_ZN2at6native12_GLOBAL__N_125multi_tensor_apply_kernelINS1_18TensorListMetadataILi2EEENS1_14UnaryOpFunctorIfLi2ELi1ELi1EEEJNS0_4TanhIfEEEEEvT_T0_DpT1_
; %bb.0:
	v_mov_b32_e32 v1, s15
	s_add_u32 s2, s0, s15
	s_mul_hi_u32 s3, s15, 3
	s_mul_i32 s15, s15, 3
	s_addc_u32 s4, s1, 0
	global_load_u8 v1, v1, s[0:1] offset:1536
	s_add_u32 s2, s2, s15
	s_addc_u32 s3, s4, s3
	s_mov_b32 s19, 0
	s_load_b32 s6, s[2:3], 0x740
	s_mov_b32 s21, s19
	s_mov_b32 s23, s19
	s_waitcnt lgkmcnt(0)
	s_ashr_i32 s7, s6, 31
	s_waitcnt vmcnt(0)
	v_readfirstlane_b32 s5, v1
	s_delay_alu instid0(VALU_DEP_1)
	s_lshl_b32 s2, s5, 3
	s_lshl_b64 s[4:5], s[6:7], 18
	s_clause 0x2
	s_load_b64 s[10:11], s[0:1], s2 offset:0x0
	s_load_b64 s[12:13], s[0:1], s2 offset:0x200
	;; [unrolled: 1-line block ×3, first 2 shown]
	s_mov_b32 s2, -1
	s_waitcnt lgkmcnt(0)
	s_add_u32 s3, s10, s4
	s_addc_u32 s8, s11, s5
	s_and_b32 s18, s3, 15
	s_add_u32 s9, s12, s4
	s_addc_u32 s14, s13, s5
	s_and_b32 s20, s16, 3
	s_and_b32 s22, s9, 15
	s_or_b64 s[18:19], s[18:19], s[20:21]
	s_lshl_b64 s[6:7], s[6:7], 16
	s_or_b64 s[18:19], s[22:23], s[18:19]
	s_sub_u32 s6, s16, s6
	s_subb_u32 s7, s17, s7
	s_cmp_eq_u64 s[18:19], 0
	s_cbranch_scc0 .LBB155_21
; %bb.1:
	v_dual_mov_b32 v6, 0 :: v_dual_lshlrev_b32 v5, 2, v0
	s_mov_b32 s15, exec_lo
	s_delay_alu instid0(VALU_DEP_1)
	v_cmpx_gt_i64_e64 s[6:7], v[5:6]
	s_cbranch_execz .LBB155_20
; %bb.2:
	s_load_b32 s2, s[0:1], 0xc5c
	v_lshlrev_b32_e32 v7, 4, v0
	s_mov_b32 s16, 0
	s_mov_b32 s19, 0xbbbac73d
	s_waitcnt lgkmcnt(0)
	s_and_b32 s2, s2, 0xffff
	s_delay_alu instid0(SALU_CYCLE_1)
	v_add_lshl_u32 v5, v0, s2, 2
	s_lshl_b32 s17, s2, 2
	s_lshl_b32 s18, s2, 4
	s_branch .LBB155_4
.LBB155_3:                              ;   in Loop: Header=BB155_4 Depth=1
	s_or_b32 exec_lo, exec_lo, s2
	v_cmp_le_i64_e32 vcc_lo, s[6:7], v[5:6]
	v_cmp_lt_u64_e64 s2, 0xffff, v[5:6]
	v_bfi_b32 v1, 0x7fffffff, v8, v1
	v_add_co_u32 v8, s20, s9, v7
	v_bfi_b32 v3, 0x7fffffff, v10, v3
	v_bfi_b32 v2, 0x7fffffff, v9, v2
	s_or_b32 s2, vcc_lo, s2
	s_add_u32 s3, s3, s18
	v_add_co_u32 v5, vcc_lo, v5, s17
	s_addc_u32 s8, s8, 0
	s_add_u32 s9, s9, s18
	v_bfi_b32 v4, 0x7fffffff, v11, v4
	v_add_co_ci_u32_e64 v9, null, s14, 0, s20
	v_add_co_ci_u32_e32 v6, vcc_lo, 0, v6, vcc_lo
	s_addc_u32 s14, s14, 0
	s_and_b32 s2, exec_lo, s2
	global_store_b128 v[8:9], v[1:4], off
	s_or_b32 s16, s2, s16
	s_delay_alu instid0(SALU_CYCLE_1)
	s_and_not1_b32 exec_lo, exec_lo, s16
	s_cbranch_execz .LBB155_20
.LBB155_4:                              ; =>This Inner Loop Header: Depth=1
	v_add_co_u32 v1, s2, s3, v7
	s_delay_alu instid0(VALU_DEP_1) | instskip(SKIP_3) | instid1(VALU_DEP_1)
	v_add_co_ci_u32_e64 v2, null, s8, 0, s2
                                        ; implicit-def: $vgpr8
	global_load_b128 v[1:4], v[1:2], off
	s_waitcnt vmcnt(0)
	v_cmp_ngt_f32_e64 s2, 0x3f200000, |v1|
	s_and_saveexec_b32 s20, s2
	s_delay_alu instid0(SALU_CYCLE_1)
	s_xor_b32 s2, exec_lo, s20
	s_cbranch_execz .LBB155_6
; %bb.5:                                ;   in Loop: Header=BB155_4 Depth=1
	v_add_f32_e64 v8, |v1|, |v1|
	s_delay_alu instid0(VALU_DEP_1) | instskip(SKIP_1) | instid1(VALU_DEP_2)
	v_mul_f32_e32 v9, 0x3fb8aa3b, v8
	v_cmp_ngt_f32_e32 vcc_lo, 0xc2ce8ed0, v8
	v_rndne_f32_e32 v10, v9
	v_fma_f32 v11, 0x3fb8aa3b, v8, -v9
	s_delay_alu instid0(VALU_DEP_2) | instskip(NEXT) | instid1(VALU_DEP_2)
	v_sub_f32_e32 v9, v9, v10
	v_fmac_f32_e32 v11, 0x32a5705f, v8
	v_cvt_i32_f32_e32 v10, v10
	s_delay_alu instid0(VALU_DEP_2) | instskip(NEXT) | instid1(VALU_DEP_1)
	v_add_f32_e32 v9, v9, v11
	v_exp_f32_e32 v9, v9
	s_waitcnt_depctr 0xfff
	v_ldexp_f32 v9, v9, v10
	s_delay_alu instid0(VALU_DEP_1) | instskip(SKIP_1) | instid1(VALU_DEP_2)
	v_cndmask_b32_e32 v9, 0, v9, vcc_lo
	v_cmp_nlt_f32_e32 vcc_lo, 0x42b17218, v8
	v_cndmask_b32_e32 v8, 0x7f800000, v9, vcc_lo
	s_delay_alu instid0(VALU_DEP_1) | instskip(NEXT) | instid1(VALU_DEP_1)
	v_add_f32_e32 v8, 1.0, v8
	v_rcp_f32_e32 v8, v8
	s_waitcnt_depctr 0xfff
	v_fma_f32 v8, v8, -2.0, 1.0
.LBB155_6:                              ;   in Loop: Header=BB155_4 Depth=1
	s_and_not1_saveexec_b32 s2, s2
; %bb.7:                                ;   in Loop: Header=BB155_4 Depth=1
	v_mul_f32_e32 v8, v1, v1
	s_delay_alu instid0(VALU_DEP_1) | instskip(NEXT) | instid1(VALU_DEP_1)
	v_fmaak_f32 v9, s19, v8, 0x3ca908c9
	v_fmaak_f32 v9, v8, v9, 0xbd5c1c4e
	s_delay_alu instid0(VALU_DEP_1) | instskip(NEXT) | instid1(VALU_DEP_1)
	v_fmaak_f32 v9, v8, v9, 0x3e088382
	v_fmaak_f32 v9, v8, v9, 0xbeaaaa99
	s_delay_alu instid0(VALU_DEP_1) | instskip(NEXT) | instid1(VALU_DEP_1)
	v_mul_f32_e64 v9, |v1|, v9
	v_fma_f32 v8, v8, v9, |v1|
; %bb.8:                                ;   in Loop: Header=BB155_4 Depth=1
	s_or_b32 exec_lo, exec_lo, s2
	v_cmp_ngt_f32_e64 s2, 0x3f200000, |v2|
                                        ; implicit-def: $vgpr9
	s_delay_alu instid0(VALU_DEP_1) | instskip(NEXT) | instid1(SALU_CYCLE_1)
	s_and_saveexec_b32 s20, s2
	s_xor_b32 s2, exec_lo, s20
	s_cbranch_execz .LBB155_10
; %bb.9:                                ;   in Loop: Header=BB155_4 Depth=1
	v_add_f32_e64 v9, |v2|, |v2|
	s_delay_alu instid0(VALU_DEP_1) | instskip(SKIP_1) | instid1(VALU_DEP_2)
	v_mul_f32_e32 v10, 0x3fb8aa3b, v9
	v_cmp_ngt_f32_e32 vcc_lo, 0xc2ce8ed0, v9
	v_rndne_f32_e32 v11, v10
	v_fma_f32 v12, 0x3fb8aa3b, v9, -v10
	s_delay_alu instid0(VALU_DEP_2) | instskip(NEXT) | instid1(VALU_DEP_2)
	v_sub_f32_e32 v10, v10, v11
	v_fmac_f32_e32 v12, 0x32a5705f, v9
	v_cvt_i32_f32_e32 v11, v11
	s_delay_alu instid0(VALU_DEP_2) | instskip(NEXT) | instid1(VALU_DEP_1)
	v_add_f32_e32 v10, v10, v12
	v_exp_f32_e32 v10, v10
	s_waitcnt_depctr 0xfff
	v_ldexp_f32 v10, v10, v11
	s_delay_alu instid0(VALU_DEP_1) | instskip(SKIP_1) | instid1(VALU_DEP_2)
	v_cndmask_b32_e32 v10, 0, v10, vcc_lo
	v_cmp_nlt_f32_e32 vcc_lo, 0x42b17218, v9
	v_cndmask_b32_e32 v9, 0x7f800000, v10, vcc_lo
	s_delay_alu instid0(VALU_DEP_1) | instskip(NEXT) | instid1(VALU_DEP_1)
	v_add_f32_e32 v9, 1.0, v9
	v_rcp_f32_e32 v9, v9
	s_waitcnt_depctr 0xfff
	v_fma_f32 v9, v9, -2.0, 1.0
.LBB155_10:                             ;   in Loop: Header=BB155_4 Depth=1
	s_and_not1_saveexec_b32 s2, s2
; %bb.11:                               ;   in Loop: Header=BB155_4 Depth=1
	v_mul_f32_e32 v9, v2, v2
	s_delay_alu instid0(VALU_DEP_1) | instskip(NEXT) | instid1(VALU_DEP_1)
	v_fmaak_f32 v10, s19, v9, 0x3ca908c9
	v_fmaak_f32 v10, v9, v10, 0xbd5c1c4e
	s_delay_alu instid0(VALU_DEP_1) | instskip(NEXT) | instid1(VALU_DEP_1)
	v_fmaak_f32 v10, v9, v10, 0x3e088382
	v_fmaak_f32 v10, v9, v10, 0xbeaaaa99
	s_delay_alu instid0(VALU_DEP_1) | instskip(NEXT) | instid1(VALU_DEP_1)
	v_mul_f32_e64 v10, |v2|, v10
	v_fma_f32 v9, v9, v10, |v2|
; %bb.12:                               ;   in Loop: Header=BB155_4 Depth=1
	s_or_b32 exec_lo, exec_lo, s2
	v_cmp_ngt_f32_e64 s2, 0x3f200000, |v3|
                                        ; implicit-def: $vgpr10
	s_delay_alu instid0(VALU_DEP_1) | instskip(NEXT) | instid1(SALU_CYCLE_1)
	s_and_saveexec_b32 s20, s2
	s_xor_b32 s2, exec_lo, s20
	s_cbranch_execz .LBB155_14
; %bb.13:                               ;   in Loop: Header=BB155_4 Depth=1
	v_add_f32_e64 v10, |v3|, |v3|
	s_delay_alu instid0(VALU_DEP_1) | instskip(SKIP_1) | instid1(VALU_DEP_2)
	v_mul_f32_e32 v11, 0x3fb8aa3b, v10
	v_cmp_ngt_f32_e32 vcc_lo, 0xc2ce8ed0, v10
	v_rndne_f32_e32 v12, v11
	v_fma_f32 v13, 0x3fb8aa3b, v10, -v11
	s_delay_alu instid0(VALU_DEP_2) | instskip(NEXT) | instid1(VALU_DEP_2)
	v_sub_f32_e32 v11, v11, v12
	v_fmac_f32_e32 v13, 0x32a5705f, v10
	v_cvt_i32_f32_e32 v12, v12
	s_delay_alu instid0(VALU_DEP_2) | instskip(NEXT) | instid1(VALU_DEP_1)
	v_add_f32_e32 v11, v11, v13
	v_exp_f32_e32 v11, v11
	s_waitcnt_depctr 0xfff
	v_ldexp_f32 v11, v11, v12
	s_delay_alu instid0(VALU_DEP_1) | instskip(SKIP_1) | instid1(VALU_DEP_2)
	v_cndmask_b32_e32 v11, 0, v11, vcc_lo
	v_cmp_nlt_f32_e32 vcc_lo, 0x42b17218, v10
	v_cndmask_b32_e32 v10, 0x7f800000, v11, vcc_lo
	s_delay_alu instid0(VALU_DEP_1) | instskip(NEXT) | instid1(VALU_DEP_1)
	v_add_f32_e32 v10, 1.0, v10
	v_rcp_f32_e32 v10, v10
	s_waitcnt_depctr 0xfff
	v_fma_f32 v10, v10, -2.0, 1.0
.LBB155_14:                             ;   in Loop: Header=BB155_4 Depth=1
	s_and_not1_saveexec_b32 s2, s2
; %bb.15:                               ;   in Loop: Header=BB155_4 Depth=1
	v_mul_f32_e32 v10, v3, v3
	s_delay_alu instid0(VALU_DEP_1) | instskip(NEXT) | instid1(VALU_DEP_1)
	v_fmaak_f32 v11, s19, v10, 0x3ca908c9
	v_fmaak_f32 v11, v10, v11, 0xbd5c1c4e
	s_delay_alu instid0(VALU_DEP_1) | instskip(NEXT) | instid1(VALU_DEP_1)
	v_fmaak_f32 v11, v10, v11, 0x3e088382
	v_fmaak_f32 v11, v10, v11, 0xbeaaaa99
	s_delay_alu instid0(VALU_DEP_1) | instskip(NEXT) | instid1(VALU_DEP_1)
	v_mul_f32_e64 v11, |v3|, v11
	v_fma_f32 v10, v10, v11, |v3|
; %bb.16:                               ;   in Loop: Header=BB155_4 Depth=1
	s_or_b32 exec_lo, exec_lo, s2
	v_cmp_ngt_f32_e64 s2, 0x3f200000, |v4|
                                        ; implicit-def: $vgpr11
	s_delay_alu instid0(VALU_DEP_1) | instskip(NEXT) | instid1(SALU_CYCLE_1)
	s_and_saveexec_b32 s20, s2
	s_xor_b32 s2, exec_lo, s20
	s_cbranch_execz .LBB155_18
; %bb.17:                               ;   in Loop: Header=BB155_4 Depth=1
	v_add_f32_e64 v11, |v4|, |v4|
	s_delay_alu instid0(VALU_DEP_1) | instskip(SKIP_1) | instid1(VALU_DEP_2)
	v_mul_f32_e32 v12, 0x3fb8aa3b, v11
	v_cmp_ngt_f32_e32 vcc_lo, 0xc2ce8ed0, v11
	v_rndne_f32_e32 v13, v12
	v_fma_f32 v14, 0x3fb8aa3b, v11, -v12
	s_delay_alu instid0(VALU_DEP_2) | instskip(NEXT) | instid1(VALU_DEP_2)
	v_sub_f32_e32 v12, v12, v13
	v_fmac_f32_e32 v14, 0x32a5705f, v11
	v_cvt_i32_f32_e32 v13, v13
	s_delay_alu instid0(VALU_DEP_2) | instskip(NEXT) | instid1(VALU_DEP_1)
	v_add_f32_e32 v12, v12, v14
	v_exp_f32_e32 v12, v12
	s_waitcnt_depctr 0xfff
	v_ldexp_f32 v12, v12, v13
	s_delay_alu instid0(VALU_DEP_1) | instskip(SKIP_1) | instid1(VALU_DEP_2)
	v_cndmask_b32_e32 v12, 0, v12, vcc_lo
	v_cmp_nlt_f32_e32 vcc_lo, 0x42b17218, v11
	v_cndmask_b32_e32 v11, 0x7f800000, v12, vcc_lo
	s_delay_alu instid0(VALU_DEP_1) | instskip(NEXT) | instid1(VALU_DEP_1)
	v_add_f32_e32 v11, 1.0, v11
	v_rcp_f32_e32 v11, v11
	s_waitcnt_depctr 0xfff
	v_fma_f32 v11, v11, -2.0, 1.0
.LBB155_18:                             ;   in Loop: Header=BB155_4 Depth=1
	s_and_not1_saveexec_b32 s2, s2
	s_cbranch_execz .LBB155_3
; %bb.19:                               ;   in Loop: Header=BB155_4 Depth=1
	v_mul_f32_e32 v11, v4, v4
	s_delay_alu instid0(VALU_DEP_1) | instskip(NEXT) | instid1(VALU_DEP_1)
	v_fmaak_f32 v12, s19, v11, 0x3ca908c9
	v_fmaak_f32 v12, v11, v12, 0xbd5c1c4e
	s_delay_alu instid0(VALU_DEP_1) | instskip(NEXT) | instid1(VALU_DEP_1)
	v_fmaak_f32 v12, v11, v12, 0x3e088382
	v_fmaak_f32 v12, v11, v12, 0xbeaaaa99
	s_delay_alu instid0(VALU_DEP_1) | instskip(NEXT) | instid1(VALU_DEP_1)
	v_mul_f32_e64 v12, |v4|, v12
	v_fma_f32 v11, v11, v12, |v4|
	s_branch .LBB155_3
.LBB155_20:
	s_or_b32 exec_lo, exec_lo, s15
	s_mov_b32 s2, 0
.LBB155_21:
	s_delay_alu instid0(SALU_CYCLE_1)
	s_and_not1_b32 vcc_lo, exec_lo, s2
	s_cbranch_vccnz .LBB155_57
; %bb.22:
	v_cmp_lt_i64_e64 s2, s[6:7], 1
	s_delay_alu instid0(VALU_DEP_1)
	s_and_b32 vcc_lo, exec_lo, s2
	s_cbranch_vccnz .LBB155_57
; %bb.23:
	s_load_b32 s0, s[0:1], 0xc5c
	v_dual_mov_b32 v10, 0 :: v_dual_lshlrev_b32 v9, 2, v0
	v_cmp_gt_u64_e64 s1, 0x10000, s[6:7]
	s_delay_alu instid0(VALU_DEP_2) | instskip(NEXT) | instid1(VALU_DEP_1)
	v_add_co_u32 v1, s2, s10, v9
	v_add_co_ci_u32_e64 v2, null, s11, 0, s2
	v_add_co_u32 v3, s2, s12, v9
	s_delay_alu instid0(VALU_DEP_1)
	v_add_co_ci_u32_e64 v4, null, s13, 0, s2
	s_waitcnt lgkmcnt(0)
	s_and_b32 s0, s0, 0xffff
	s_and_b32 s1, s1, exec_lo
	v_mad_u64_u32 v[7:8], null, s0, 12, v[9:10]
	s_cselect_b32 s9, s7, 0
	s_cselect_b32 s8, s6, 0x10000
	s_mul_i32 s2, s0, 3
	s_lshl_b32 s3, s0, 3
	s_lshl_b32 s1, s0, 1
	v_add_co_u32 v14, s3, s3, v9
	v_add_co_u32 v9, s2, s2, v0
	s_delay_alu instid0(VALU_DEP_1) | instskip(SKIP_3) | instid1(VALU_DEP_3)
	v_add_co_ci_u32_e64 v10, null, 0, 0, s2
	v_add_co_u32 v13, s2, v0, s0
	v_add_co_u32 v5, vcc_lo, s10, v7
	v_add_co_ci_u32_e32 v6, vcc_lo, s11, v8, vcc_lo
	v_lshlrev_b32_e32 v21, 2, v13
	v_add_co_u32 v7, vcc_lo, s12, v7
	v_add_co_ci_u32_e64 v15, null, 0, 0, s3
	v_add_co_ci_u32_e32 v8, vcc_lo, s13, v8, vcc_lo
	v_add_co_u32 v17, s1, s1, v0
	v_add_co_u32 v11, vcc_lo, s10, v14
	v_add_co_ci_u32_e64 v18, null, 0, 0, s1
	v_add_co_u32 v19, s1, s10, v21
	v_add_co_ci_u32_e32 v12, vcc_lo, s11, v15, vcc_lo
	v_add_co_u32 v14, vcc_lo, s12, v14
	v_add_co_ci_u32_e64 v20, null, s11, 0, s1
	v_add_co_u32 v21, s1, s12, v21
	v_add_co_ci_u32_e32 v15, vcc_lo, s13, v15, vcc_lo
	v_add_co_ci_u32_e64 v16, null, 0, 0, s2
	v_add_co_ci_u32_e64 v22, null, s13, 0, s1
	s_lshl_b32 s14, s0, 2
	s_lshl_b32 s12, s0, 4
	s_mov_b64 s[10:11], 0
	s_mov_b32 s13, 0xbbbac73d
	s_branch .LBB155_25
.LBB155_24:                             ;   in Loop: Header=BB155_25 Depth=1
	s_or_b32 exec_lo, exec_lo, s0
	v_add_co_u32 v1, vcc_lo, v1, s12
	v_add_co_ci_u32_e32 v2, vcc_lo, 0, v2, vcc_lo
	v_add_co_u32 v3, vcc_lo, v3, s12
	v_add_co_ci_u32_e32 v4, vcc_lo, 0, v4, vcc_lo
	;; [unrolled: 2-line block ×5, first 2 shown]
	s_add_u32 s10, s10, s14
	v_add_co_u32 v14, vcc_lo, v14, s12
	s_addc_u32 s11, s11, 0
	v_add_co_ci_u32_e32 v15, vcc_lo, 0, v15, vcc_lo
	v_cmp_ge_i64_e64 s0, s[10:11], s[6:7]
	v_cmp_lt_u64_e64 s1, 0xffff, s[10:11]
	v_add_co_u32 v19, vcc_lo, v19, s12
	v_add_co_ci_u32_e32 v20, vcc_lo, 0, v20, vcc_lo
	v_add_co_u32 v21, vcc_lo, v21, s12
	v_add_co_ci_u32_e32 v22, vcc_lo, 0, v22, vcc_lo
	s_or_b32 s0, s0, s1
	s_delay_alu instid0(SALU_CYCLE_1)
	s_and_b32 vcc_lo, exec_lo, s0
	s_cbranch_vccnz .LBB155_57
.LBB155_25:                             ; =>This Inner Loop Header: Depth=1
	v_add_co_u32 v23, s0, v0, s10
	s_delay_alu instid0(VALU_DEP_1) | instskip(NEXT) | instid1(VALU_DEP_1)
	v_add_co_ci_u32_e64 v24, null, 0, s11, s0
	v_cmp_gt_u64_e32 vcc_lo, s[8:9], v[23:24]
	v_mov_b32_e32 v23, 0
	s_and_saveexec_b32 s1, vcc_lo
	s_cbranch_execz .LBB155_27
; %bb.26:                               ;   in Loop: Header=BB155_25 Depth=1
	v_add_co_u32 v23, s0, v1, s4
	s_delay_alu instid0(VALU_DEP_1)
	v_add_co_ci_u32_e64 v24, s0, s5, v2, s0
	global_load_b32 v23, v[23:24], off
.LBB155_27:                             ;   in Loop: Header=BB155_25 Depth=1
	s_or_b32 exec_lo, exec_lo, s1
	v_add_co_u32 v24, s0, v13, s10
	s_delay_alu instid0(VALU_DEP_1) | instskip(NEXT) | instid1(VALU_DEP_1)
	v_add_co_ci_u32_e64 v25, s0, s11, v16, s0
	v_cmp_gt_u64_e64 s0, s[8:9], v[24:25]
	v_mov_b32_e32 v25, 0
	s_delay_alu instid0(VALU_DEP_2)
	s_and_saveexec_b32 s2, s0
	s_cbranch_execz .LBB155_29
; %bb.28:                               ;   in Loop: Header=BB155_25 Depth=1
	v_add_co_u32 v24, s1, v19, s4
	s_delay_alu instid0(VALU_DEP_1)
	v_add_co_ci_u32_e64 v25, s1, s5, v20, s1
	global_load_b32 v25, v[24:25], off
.LBB155_29:                             ;   in Loop: Header=BB155_25 Depth=1
	s_or_b32 exec_lo, exec_lo, s2
	v_add_co_u32 v26, s1, v17, s10
	s_delay_alu instid0(VALU_DEP_1) | instskip(SKIP_1) | instid1(VALU_DEP_2)
	v_add_co_ci_u32_e64 v27, s1, s11, v18, s1
	v_mov_b32_e32 v24, 0
	v_cmp_gt_u64_e64 s1, s[8:9], v[26:27]
	v_mov_b32_e32 v26, 0
	s_delay_alu instid0(VALU_DEP_2)
	s_and_saveexec_b32 s3, s1
	s_cbranch_execz .LBB155_31
; %bb.30:                               ;   in Loop: Header=BB155_25 Depth=1
	v_add_co_u32 v26, s2, v11, s4
	s_delay_alu instid0(VALU_DEP_1)
	v_add_co_ci_u32_e64 v27, s2, s5, v12, s2
	global_load_b32 v26, v[26:27], off
.LBB155_31:                             ;   in Loop: Header=BB155_25 Depth=1
	s_or_b32 exec_lo, exec_lo, s3
	v_add_co_u32 v27, s2, v9, s10
	s_delay_alu instid0(VALU_DEP_1) | instskip(NEXT) | instid1(VALU_DEP_1)
	v_add_co_ci_u32_e64 v28, s2, s11, v10, s2
	v_cmp_gt_u64_e64 s2, s[8:9], v[27:28]
	s_delay_alu instid0(VALU_DEP_1)
	s_and_saveexec_b32 s15, s2
	s_cbranch_execz .LBB155_33
; %bb.32:                               ;   in Loop: Header=BB155_25 Depth=1
	v_add_co_u32 v27, s3, v5, s4
	s_delay_alu instid0(VALU_DEP_1)
	v_add_co_ci_u32_e64 v28, s3, s5, v6, s3
	global_load_b32 v24, v[27:28], off
.LBB155_33:                             ;   in Loop: Header=BB155_25 Depth=1
	s_or_b32 exec_lo, exec_lo, s15
	s_delay_alu instid0(SALU_CYCLE_1)
	s_mov_b32 s15, exec_lo
                                        ; implicit-def: $vgpr27
	s_waitcnt vmcnt(0)
	v_cmpx_ngt_f32_e64 0x3f200000, |v23|
	s_xor_b32 s15, exec_lo, s15
	s_cbranch_execz .LBB155_35
; %bb.34:                               ;   in Loop: Header=BB155_25 Depth=1
	v_add_f32_e64 v27, |v23|, |v23|
	s_delay_alu instid0(VALU_DEP_1) | instskip(SKIP_1) | instid1(VALU_DEP_2)
	v_mul_f32_e32 v28, 0x3fb8aa3b, v27
	v_cmp_ngt_f32_e64 s3, 0xc2ce8ed0, v27
	v_rndne_f32_e32 v29, v28
	v_fma_f32 v30, 0x3fb8aa3b, v27, -v28
	s_delay_alu instid0(VALU_DEP_2) | instskip(NEXT) | instid1(VALU_DEP_2)
	v_sub_f32_e32 v28, v28, v29
	v_fmac_f32_e32 v30, 0x32a5705f, v27
	v_cvt_i32_f32_e32 v29, v29
	s_delay_alu instid0(VALU_DEP_2) | instskip(NEXT) | instid1(VALU_DEP_1)
	v_add_f32_e32 v28, v28, v30
	v_exp_f32_e32 v28, v28
	s_waitcnt_depctr 0xfff
	v_ldexp_f32 v28, v28, v29
	s_delay_alu instid0(VALU_DEP_1) | instskip(SKIP_1) | instid1(VALU_DEP_1)
	v_cndmask_b32_e64 v28, 0, v28, s3
	v_cmp_nlt_f32_e64 s3, 0x42b17218, v27
	v_cndmask_b32_e64 v27, 0x7f800000, v28, s3
	s_delay_alu instid0(VALU_DEP_1) | instskip(NEXT) | instid1(VALU_DEP_1)
	v_add_f32_e32 v27, 1.0, v27
	v_rcp_f32_e32 v27, v27
	s_waitcnt_depctr 0xfff
	v_fma_f32 v27, v27, -2.0, 1.0
.LBB155_35:                             ;   in Loop: Header=BB155_25 Depth=1
	s_and_not1_saveexec_b32 s3, s15
; %bb.36:                               ;   in Loop: Header=BB155_25 Depth=1
	v_mul_f32_e32 v27, v23, v23
	s_delay_alu instid0(VALU_DEP_1) | instskip(NEXT) | instid1(VALU_DEP_1)
	v_fmaak_f32 v28, s13, v27, 0x3ca908c9
	v_fmaak_f32 v28, v27, v28, 0xbd5c1c4e
	s_delay_alu instid0(VALU_DEP_1) | instskip(NEXT) | instid1(VALU_DEP_1)
	v_fmaak_f32 v28, v27, v28, 0x3e088382
	v_fmaak_f32 v28, v27, v28, 0xbeaaaa99
	s_delay_alu instid0(VALU_DEP_1) | instskip(NEXT) | instid1(VALU_DEP_1)
	v_mul_f32_e64 v28, |v23|, v28
	v_fma_f32 v27, v27, v28, |v23|
; %bb.37:                               ;   in Loop: Header=BB155_25 Depth=1
	s_or_b32 exec_lo, exec_lo, s3
	s_delay_alu instid0(SALU_CYCLE_1)
	s_mov_b32 s15, exec_lo
                                        ; implicit-def: $vgpr28
	v_cmpx_ngt_f32_e64 0x3f200000, |v25|
	s_xor_b32 s15, exec_lo, s15
	s_cbranch_execz .LBB155_39
; %bb.38:                               ;   in Loop: Header=BB155_25 Depth=1
	v_add_f32_e64 v28, |v25|, |v25|
	s_delay_alu instid0(VALU_DEP_1) | instskip(SKIP_1) | instid1(VALU_DEP_2)
	v_mul_f32_e32 v29, 0x3fb8aa3b, v28
	v_cmp_ngt_f32_e64 s3, 0xc2ce8ed0, v28
	v_rndne_f32_e32 v30, v29
	v_fma_f32 v31, 0x3fb8aa3b, v28, -v29
	s_delay_alu instid0(VALU_DEP_2) | instskip(NEXT) | instid1(VALU_DEP_2)
	v_sub_f32_e32 v29, v29, v30
	v_fmac_f32_e32 v31, 0x32a5705f, v28
	v_cvt_i32_f32_e32 v30, v30
	s_delay_alu instid0(VALU_DEP_2) | instskip(NEXT) | instid1(VALU_DEP_1)
	v_add_f32_e32 v29, v29, v31
	v_exp_f32_e32 v29, v29
	s_waitcnt_depctr 0xfff
	v_ldexp_f32 v29, v29, v30
	s_delay_alu instid0(VALU_DEP_1) | instskip(SKIP_1) | instid1(VALU_DEP_1)
	v_cndmask_b32_e64 v29, 0, v29, s3
	v_cmp_nlt_f32_e64 s3, 0x42b17218, v28
	v_cndmask_b32_e64 v28, 0x7f800000, v29, s3
	s_delay_alu instid0(VALU_DEP_1) | instskip(NEXT) | instid1(VALU_DEP_1)
	v_add_f32_e32 v28, 1.0, v28
	v_rcp_f32_e32 v28, v28
	s_waitcnt_depctr 0xfff
	v_fma_f32 v28, v28, -2.0, 1.0
.LBB155_39:                             ;   in Loop: Header=BB155_25 Depth=1
	s_and_not1_saveexec_b32 s3, s15
; %bb.40:                               ;   in Loop: Header=BB155_25 Depth=1
	v_mul_f32_e32 v28, v25, v25
	s_delay_alu instid0(VALU_DEP_1) | instskip(NEXT) | instid1(VALU_DEP_1)
	v_fmaak_f32 v29, s13, v28, 0x3ca908c9
	v_fmaak_f32 v29, v28, v29, 0xbd5c1c4e
	s_delay_alu instid0(VALU_DEP_1) | instskip(NEXT) | instid1(VALU_DEP_1)
	v_fmaak_f32 v29, v28, v29, 0x3e088382
	v_fmaak_f32 v29, v28, v29, 0xbeaaaa99
	s_delay_alu instid0(VALU_DEP_1) | instskip(NEXT) | instid1(VALU_DEP_1)
	v_mul_f32_e64 v29, |v25|, v29
	v_fma_f32 v28, v28, v29, |v25|
; %bb.41:                               ;   in Loop: Header=BB155_25 Depth=1
	s_or_b32 exec_lo, exec_lo, s3
	s_delay_alu instid0(SALU_CYCLE_1)
	s_mov_b32 s15, exec_lo
                                        ; implicit-def: $vgpr29
	v_cmpx_ngt_f32_e64 0x3f200000, |v26|
	s_xor_b32 s15, exec_lo, s15
	s_cbranch_execz .LBB155_43
; %bb.42:                               ;   in Loop: Header=BB155_25 Depth=1
	v_add_f32_e64 v29, |v26|, |v26|
	s_delay_alu instid0(VALU_DEP_1) | instskip(SKIP_1) | instid1(VALU_DEP_2)
	v_mul_f32_e32 v30, 0x3fb8aa3b, v29
	v_cmp_ngt_f32_e64 s3, 0xc2ce8ed0, v29
	v_rndne_f32_e32 v31, v30
	v_fma_f32 v32, 0x3fb8aa3b, v29, -v30
	s_delay_alu instid0(VALU_DEP_2) | instskip(NEXT) | instid1(VALU_DEP_2)
	v_sub_f32_e32 v30, v30, v31
	v_fmac_f32_e32 v32, 0x32a5705f, v29
	v_cvt_i32_f32_e32 v31, v31
	s_delay_alu instid0(VALU_DEP_2) | instskip(NEXT) | instid1(VALU_DEP_1)
	v_add_f32_e32 v30, v30, v32
	v_exp_f32_e32 v30, v30
	s_waitcnt_depctr 0xfff
	v_ldexp_f32 v30, v30, v31
	s_delay_alu instid0(VALU_DEP_1) | instskip(SKIP_1) | instid1(VALU_DEP_1)
	v_cndmask_b32_e64 v30, 0, v30, s3
	v_cmp_nlt_f32_e64 s3, 0x42b17218, v29
	v_cndmask_b32_e64 v29, 0x7f800000, v30, s3
	s_delay_alu instid0(VALU_DEP_1) | instskip(NEXT) | instid1(VALU_DEP_1)
	v_add_f32_e32 v29, 1.0, v29
	v_rcp_f32_e32 v29, v29
	s_waitcnt_depctr 0xfff
	v_fma_f32 v29, v29, -2.0, 1.0
.LBB155_43:                             ;   in Loop: Header=BB155_25 Depth=1
	s_and_not1_saveexec_b32 s3, s15
; %bb.44:                               ;   in Loop: Header=BB155_25 Depth=1
	v_mul_f32_e32 v29, v26, v26
	s_delay_alu instid0(VALU_DEP_1) | instskip(NEXT) | instid1(VALU_DEP_1)
	v_fmaak_f32 v30, s13, v29, 0x3ca908c9
	v_fmaak_f32 v30, v29, v30, 0xbd5c1c4e
	s_delay_alu instid0(VALU_DEP_1) | instskip(NEXT) | instid1(VALU_DEP_1)
	v_fmaak_f32 v30, v29, v30, 0x3e088382
	v_fmaak_f32 v30, v29, v30, 0xbeaaaa99
	s_delay_alu instid0(VALU_DEP_1) | instskip(NEXT) | instid1(VALU_DEP_1)
	v_mul_f32_e64 v30, |v26|, v30
	v_fma_f32 v29, v29, v30, |v26|
; %bb.45:                               ;   in Loop: Header=BB155_25 Depth=1
	s_or_b32 exec_lo, exec_lo, s3
	s_delay_alu instid0(SALU_CYCLE_1)
	s_mov_b32 s15, exec_lo
                                        ; implicit-def: $vgpr30
	v_cmpx_ngt_f32_e64 0x3f200000, |v24|
	s_xor_b32 s15, exec_lo, s15
	s_cbranch_execnz .LBB155_51
; %bb.46:                               ;   in Loop: Header=BB155_25 Depth=1
	s_and_not1_saveexec_b32 s3, s15
	s_cbranch_execnz .LBB155_52
.LBB155_47:                             ;   in Loop: Header=BB155_25 Depth=1
	s_or_b32 exec_lo, exec_lo, s3
	s_and_saveexec_b32 s3, vcc_lo
	s_delay_alu instid0(SALU_CYCLE_1)
	s_xor_b32 s3, exec_lo, s3
	s_cbranch_execnz .LBB155_53
.LBB155_48:                             ;   in Loop: Header=BB155_25 Depth=1
	s_or_b32 exec_lo, exec_lo, s3
	s_and_saveexec_b32 s3, s0
	s_cbranch_execnz .LBB155_54
.LBB155_49:                             ;   in Loop: Header=BB155_25 Depth=1
	s_or_b32 exec_lo, exec_lo, s3
	s_and_saveexec_b32 s0, s1
	s_cbranch_execnz .LBB155_55
.LBB155_50:                             ;   in Loop: Header=BB155_25 Depth=1
	s_or_b32 exec_lo, exec_lo, s0
	s_and_saveexec_b32 s0, s2
	s_cbranch_execz .LBB155_24
	s_branch .LBB155_56
.LBB155_51:                             ;   in Loop: Header=BB155_25 Depth=1
	v_add_f32_e64 v30, |v24|, |v24|
	s_delay_alu instid0(VALU_DEP_1) | instskip(SKIP_1) | instid1(VALU_DEP_2)
	v_mul_f32_e32 v31, 0x3fb8aa3b, v30
	v_cmp_ngt_f32_e64 s3, 0xc2ce8ed0, v30
	v_rndne_f32_e32 v32, v31
	v_fma_f32 v33, 0x3fb8aa3b, v30, -v31
	s_delay_alu instid0(VALU_DEP_2) | instskip(NEXT) | instid1(VALU_DEP_2)
	v_sub_f32_e32 v31, v31, v32
	v_fmac_f32_e32 v33, 0x32a5705f, v30
	v_cvt_i32_f32_e32 v32, v32
	s_delay_alu instid0(VALU_DEP_2) | instskip(NEXT) | instid1(VALU_DEP_1)
	v_add_f32_e32 v31, v31, v33
	v_exp_f32_e32 v31, v31
	s_waitcnt_depctr 0xfff
	v_ldexp_f32 v31, v31, v32
	s_delay_alu instid0(VALU_DEP_1) | instskip(SKIP_1) | instid1(VALU_DEP_1)
	v_cndmask_b32_e64 v31, 0, v31, s3
	v_cmp_nlt_f32_e64 s3, 0x42b17218, v30
	v_cndmask_b32_e64 v30, 0x7f800000, v31, s3
	s_delay_alu instid0(VALU_DEP_1) | instskip(NEXT) | instid1(VALU_DEP_1)
	v_add_f32_e32 v30, 1.0, v30
	v_rcp_f32_e32 v30, v30
	s_waitcnt_depctr 0xfff
	v_fma_f32 v30, v30, -2.0, 1.0
	s_and_not1_saveexec_b32 s3, s15
	s_cbranch_execz .LBB155_47
.LBB155_52:                             ;   in Loop: Header=BB155_25 Depth=1
	v_mul_f32_e32 v30, v24, v24
	s_delay_alu instid0(VALU_DEP_1) | instskip(NEXT) | instid1(VALU_DEP_1)
	v_fmaak_f32 v31, s13, v30, 0x3ca908c9
	v_fmaak_f32 v31, v30, v31, 0xbd5c1c4e
	s_delay_alu instid0(VALU_DEP_1) | instskip(NEXT) | instid1(VALU_DEP_1)
	v_fmaak_f32 v31, v30, v31, 0x3e088382
	v_fmaak_f32 v31, v30, v31, 0xbeaaaa99
	s_delay_alu instid0(VALU_DEP_1) | instskip(NEXT) | instid1(VALU_DEP_1)
	v_mul_f32_e64 v31, |v24|, v31
	v_fma_f32 v30, v30, v31, |v24|
	s_or_b32 exec_lo, exec_lo, s3
	s_and_saveexec_b32 s3, vcc_lo
	s_delay_alu instid0(SALU_CYCLE_1)
	s_xor_b32 s3, exec_lo, s3
	s_cbranch_execz .LBB155_48
.LBB155_53:                             ;   in Loop: Header=BB155_25 Depth=1
	v_add_co_u32 v31, vcc_lo, v3, s4
	v_bfi_b32 v23, 0x7fffffff, v27, v23
	v_add_co_ci_u32_e32 v32, vcc_lo, s5, v4, vcc_lo
	global_store_b32 v[31:32], v23, off
	s_or_b32 exec_lo, exec_lo, s3
	s_and_saveexec_b32 s3, s0
	s_cbranch_execz .LBB155_49
.LBB155_54:                             ;   in Loop: Header=BB155_25 Depth=1
	v_add_co_u32 v27, vcc_lo, v21, s4
	v_bfi_b32 v23, 0x7fffffff, v28, v25
	v_add_co_ci_u32_e32 v28, vcc_lo, s5, v22, vcc_lo
	global_store_b32 v[27:28], v23, off
	s_or_b32 exec_lo, exec_lo, s3
	s_and_saveexec_b32 s0, s1
	s_cbranch_execz .LBB155_50
.LBB155_55:                             ;   in Loop: Header=BB155_25 Depth=1
	v_add_co_u32 v25, vcc_lo, v14, s4
	v_bfi_b32 v23, 0x7fffffff, v29, v26
	v_add_co_ci_u32_e32 v26, vcc_lo, s5, v15, vcc_lo
	global_store_b32 v[25:26], v23, off
	s_or_b32 exec_lo, exec_lo, s0
	s_and_saveexec_b32 s0, s2
	s_cbranch_execz .LBB155_24
.LBB155_56:                             ;   in Loop: Header=BB155_25 Depth=1
	v_add_co_u32 v23, vcc_lo, v7, s4
	v_bfi_b32 v25, 0x7fffffff, v30, v24
	v_add_co_ci_u32_e32 v24, vcc_lo, s5, v8, vcc_lo
	global_store_b32 v[23:24], v25, off
	s_branch .LBB155_24
.LBB155_57:
	s_nop 0
	s_sendmsg sendmsg(MSG_DEALLOC_VGPRS)
	s_endpgm
	.section	.rodata,"a",@progbits
	.p2align	6, 0x0
	.amdhsa_kernel _ZN2at6native12_GLOBAL__N_125multi_tensor_apply_kernelINS1_18TensorListMetadataILi2EEENS1_14UnaryOpFunctorIfLi2ELi1ELi1EEEJNS0_4TanhIfEEEEEvT_T0_DpT1_
		.amdhsa_group_segment_fixed_size 0
		.amdhsa_private_segment_fixed_size 0
		.amdhsa_kernarg_size 3408
		.amdhsa_user_sgpr_count 15
		.amdhsa_user_sgpr_dispatch_ptr 0
		.amdhsa_user_sgpr_queue_ptr 0
		.amdhsa_user_sgpr_kernarg_segment_ptr 1
		.amdhsa_user_sgpr_dispatch_id 0
		.amdhsa_user_sgpr_private_segment_size 0
		.amdhsa_wavefront_size32 1
		.amdhsa_uses_dynamic_stack 0
		.amdhsa_enable_private_segment 0
		.amdhsa_system_sgpr_workgroup_id_x 1
		.amdhsa_system_sgpr_workgroup_id_y 0
		.amdhsa_system_sgpr_workgroup_id_z 0
		.amdhsa_system_sgpr_workgroup_info 0
		.amdhsa_system_vgpr_workitem_id 0
		.amdhsa_next_free_vgpr 34
		.amdhsa_next_free_sgpr 24
		.amdhsa_reserve_vcc 1
		.amdhsa_float_round_mode_32 0
		.amdhsa_float_round_mode_16_64 0
		.amdhsa_float_denorm_mode_32 3
		.amdhsa_float_denorm_mode_16_64 3
		.amdhsa_dx10_clamp 1
		.amdhsa_ieee_mode 1
		.amdhsa_fp16_overflow 0
		.amdhsa_workgroup_processor_mode 1
		.amdhsa_memory_ordered 1
		.amdhsa_forward_progress 0
		.amdhsa_shared_vgpr_count 0
		.amdhsa_exception_fp_ieee_invalid_op 0
		.amdhsa_exception_fp_denorm_src 0
		.amdhsa_exception_fp_ieee_div_zero 0
		.amdhsa_exception_fp_ieee_overflow 0
		.amdhsa_exception_fp_ieee_underflow 0
		.amdhsa_exception_fp_ieee_inexact 0
		.amdhsa_exception_int_div_zero 0
	.end_amdhsa_kernel
	.section	.text._ZN2at6native12_GLOBAL__N_125multi_tensor_apply_kernelINS1_18TensorListMetadataILi2EEENS1_14UnaryOpFunctorIfLi2ELi1ELi1EEEJNS0_4TanhIfEEEEEvT_T0_DpT1_,"axG",@progbits,_ZN2at6native12_GLOBAL__N_125multi_tensor_apply_kernelINS1_18TensorListMetadataILi2EEENS1_14UnaryOpFunctorIfLi2ELi1ELi1EEEJNS0_4TanhIfEEEEEvT_T0_DpT1_,comdat
.Lfunc_end155:
	.size	_ZN2at6native12_GLOBAL__N_125multi_tensor_apply_kernelINS1_18TensorListMetadataILi2EEENS1_14UnaryOpFunctorIfLi2ELi1ELi1EEEJNS0_4TanhIfEEEEEvT_T0_DpT1_, .Lfunc_end155-_ZN2at6native12_GLOBAL__N_125multi_tensor_apply_kernelINS1_18TensorListMetadataILi2EEENS1_14UnaryOpFunctorIfLi2ELi1ELi1EEEJNS0_4TanhIfEEEEEvT_T0_DpT1_
                                        ; -- End function
	.section	.AMDGPU.csdata,"",@progbits
; Kernel info:
; codeLenInByte = 3440
; NumSgprs: 26
; NumVgprs: 34
; ScratchSize: 0
; MemoryBound: 0
; FloatMode: 240
; IeeeMode: 1
; LDSByteSize: 0 bytes/workgroup (compile time only)
; SGPRBlocks: 3
; VGPRBlocks: 4
; NumSGPRsForWavesPerEU: 26
; NumVGPRsForWavesPerEU: 34
; Occupancy: 16
; WaveLimiterHint : 0
; COMPUTE_PGM_RSRC2:SCRATCH_EN: 0
; COMPUTE_PGM_RSRC2:USER_SGPR: 15
; COMPUTE_PGM_RSRC2:TRAP_HANDLER: 0
; COMPUTE_PGM_RSRC2:TGID_X_EN: 1
; COMPUTE_PGM_RSRC2:TGID_Y_EN: 0
; COMPUTE_PGM_RSRC2:TGID_Z_EN: 0
; COMPUTE_PGM_RSRC2:TIDIG_COMP_CNT: 0
	.section	.text._ZN2at6native12_GLOBAL__N_125multi_tensor_apply_kernelINS1_18TensorListMetadataILi2EEENS1_14UnaryOpFunctorIN3c107complexIdEELi2ELi1ELi1EEEJNS0_4TanhIS8_EEEEEvT_T0_DpT1_,"axG",@progbits,_ZN2at6native12_GLOBAL__N_125multi_tensor_apply_kernelINS1_18TensorListMetadataILi2EEENS1_14UnaryOpFunctorIN3c107complexIdEELi2ELi1ELi1EEEJNS0_4TanhIS8_EEEEEvT_T0_DpT1_,comdat
	.globl	_ZN2at6native12_GLOBAL__N_125multi_tensor_apply_kernelINS1_18TensorListMetadataILi2EEENS1_14UnaryOpFunctorIN3c107complexIdEELi2ELi1ELi1EEEJNS0_4TanhIS8_EEEEEvT_T0_DpT1_ ; -- Begin function _ZN2at6native12_GLOBAL__N_125multi_tensor_apply_kernelINS1_18TensorListMetadataILi2EEENS1_14UnaryOpFunctorIN3c107complexIdEELi2ELi1ELi1EEEJNS0_4TanhIS8_EEEEEvT_T0_DpT1_
	.p2align	8
	.type	_ZN2at6native12_GLOBAL__N_125multi_tensor_apply_kernelINS1_18TensorListMetadataILi2EEENS1_14UnaryOpFunctorIN3c107complexIdEELi2ELi1ELi1EEEJNS0_4TanhIS8_EEEEEvT_T0_DpT1_,@function
_ZN2at6native12_GLOBAL__N_125multi_tensor_apply_kernelINS1_18TensorListMetadataILi2EEENS1_14UnaryOpFunctorIN3c107complexIdEELi2ELi1ELi1EEEJNS0_4TanhIS8_EEEEEvT_T0_DpT1_: ; @_ZN2at6native12_GLOBAL__N_125multi_tensor_apply_kernelINS1_18TensorListMetadataILi2EEENS1_14UnaryOpFunctorIN3c107complexIdEELi2ELi1ELi1EEEJNS0_4TanhIS8_EEEEEvT_T0_DpT1_
; %bb.0:
	v_mov_b32_e32 v1, s15
	s_add_u32 s2, s0, s15
	s_mul_hi_u32 s3, s15, 3
	s_mul_i32 s15, s15, 3
	s_addc_u32 s4, s1, 0
	global_load_u8 v1, v1, s[0:1] offset:1536
	s_add_u32 s2, s2, s15
	s_addc_u32 s3, s4, s3
	s_mov_b32 s11, 0
	s_load_b32 s2, s[2:3], 0x740
	s_mov_b32 s15, s11
	s_mov_b32 s17, s11
	s_waitcnt vmcnt(0)
	v_readfirstlane_b32 s5, v1
	s_delay_alu instid0(VALU_DEP_1)
	s_lshl_b32 s3, s5, 3
	s_clause 0x2
	s_load_b64 s[4:5], s[0:1], s3 offset:0x0
	s_load_b64 s[12:13], s[0:1], s3 offset:0x200
	s_load_b64 s[8:9], s[0:1], s3 offset:0x400
	s_waitcnt lgkmcnt(0)
	s_ashr_i32 s3, s2, 31
	s_delay_alu instid0(SALU_CYCLE_1) | instskip(NEXT) | instid1(SALU_CYCLE_1)
	s_lshl_b64 s[6:7], s[2:3], 20
	s_add_u32 s33, s4, s6
	s_addc_u32 s104, s5, s7
	s_add_u32 vcc_hi, s12, s6
	s_addc_u32 s38, s13, s7
	s_and_b32 s14, s33, 63
	s_and_b32 s16, s8, 3
	s_and_b32 s10, vcc_hi, 63
	s_or_b64 s[14:15], s[14:15], s[16:17]
	s_lshl_b64 s[2:3], s[2:3], 16
	s_or_b64 s[10:11], s[10:11], s[14:15]
	s_sub_u32 s8, s8, s2
	s_subb_u32 s9, s9, s3
	s_cmp_eq_u64 s[10:11], 0
	s_mov_b32 s2, -1
	s_cbranch_scc0 .LBB156_157
; %bb.1:
	v_mov_b32_e32 v17, 0
	s_delay_alu instid0(VALU_DEP_1) | instskip(NEXT) | instid1(VALU_DEP_1)
	v_dual_mov_b32 v2, v17 :: v_dual_lshlrev_b32 v1, 2, v0
	v_cmp_gt_i64_e32 vcc_lo, s[8:9], v[1:2]
	s_mov_b32 s2, exec_lo
                                        ; implicit-def: $vgpr63 : SGPR spill to VGPR lane
	s_delay_alu instid0(SALU_CYCLE_1) | instskip(SKIP_1) | instid1(SALU_CYCLE_1)
	v_writelane_b32 v63, s2, 0
	s_and_b32 s2, s2, vcc_lo
	s_mov_b32 exec_lo, s2
	s_cbranch_execz .LBB156_156
; %bb.2:
	s_load_b32 s2, s[0:1], 0xc5c
	v_dual_mov_b32 v20, v17 :: v_dual_lshlrev_b32 v37, 6, v0
	s_mov_b32 s10, 0x54442d18
	s_mov_b32 s18, 0x6dc9c883
	;; [unrolled: 1-line block ×17, first 2 shown]
	s_waitcnt lgkmcnt(0)
	s_and_b32 s2, s2, 0xffff
	s_mov_b32 s78, 0x1852b7b0
	v_add_lshl_u32 v19, v0, s2, 2
	s_mov_b32 s30, 0x11110bb3
	s_mov_b32 s36, 0x55555555
	s_mov_b32 s84, 0x55555511
	s_mov_b32 s86, 11
	s_mov_b32 s88, 0x8fb9f87e
	s_mov_b32 s90, 0x9037ab78
	s_mov_b32 s92, 0x46cc5e42
	s_mov_b32 s94, 0xa17f65f6
	s_mov_b32 s96, 0x19f4ec90
	s_mov_b32 s98, 0x16c16967
	s_mov_b32 s100, 0xb42fdfa7
	s_mov_b32 s102, 0xf9a43bb8
	s_mov_b32 s24, 0x796cde01
	s_mov_b32 s26, 0x19e83e5c
	s_mov_b32 s39, 0
	s_mov_b32 s3, 0x3ff921fb
	s_mov_b32 s11, 0xbff921fb
	s_mov_b32 s15, 0x3c91a626
	s_mov_b32 s16, 0x33145c07
	s_mov_b32 s19, 0x3fe45f30
	s_mov_b32 s21, 0xbc91a626
	s_mov_b32 s23, 0xb97b839a
	s_lshl_b32 s40, s2, 2
	s_lshl_b32 s41, s2, 6
	s_mov_b32 s49, 0x3faba1ba
	s_mov_b32 s51, 0x3fc11111
	;; [unrolled: 1-line block ×34, first 2 shown]
	s_branch .LBB156_7
.LBB156_3:                              ;   in Loop: Header=BB156_7 Depth=1
	s_or_b32 exec_lo, exec_lo, s2
	v_mul_f64 v[25:26], v[21:22], v[21:22]
	s_delay_alu instid0(VALU_DEP_2) | instskip(NEXT) | instid1(VALU_DEP_3)
	v_mul_f64 v[39:40], v[23:24], 0.5
	v_mul_f64 v[45:46], v[35:36], 0.5
	s_mov_b32 s34, s36
	s_delay_alu instid0(VALU_DEP_3) | instskip(SKIP_1) | instid1(VALU_DEP_2)
	v_mul_f64 v[27:28], v[25:26], 0.5
	v_mul_f64 v[41:42], v[21:22], -v[25:26]
	v_add_f64 v[29:30], -v[27:28], 1.0
	s_delay_alu instid0(VALU_DEP_1) | instskip(NEXT) | instid1(VALU_DEP_1)
	v_add_f64 v[31:32], -v[29:30], 1.0
	v_add_f64 v[27:28], v[31:32], -v[27:28]
	v_fma_f64 v[31:32], v[25:26], s[102:103], s[100:101]
	s_delay_alu instid0(VALU_DEP_2) | instskip(NEXT) | instid1(VALU_DEP_2)
	v_fma_f64 v[27:28], v[21:22], -v[23:24], v[27:28]
	v_fma_f64 v[31:32], v[25:26], v[31:32], s[24:25]
	s_delay_alu instid0(VALU_DEP_1) | instskip(NEXT) | instid1(VALU_DEP_1)
	v_fma_f64 v[31:32], v[25:26], v[31:32], s[26:27]
	v_fma_f64 v[31:32], v[25:26], v[31:32], s[30:31]
	s_delay_alu instid0(VALU_DEP_1) | instskip(NEXT) | instid1(VALU_DEP_1)
	v_fma_f64 v[31:32], v[41:42], v[31:32], v[39:40]
	v_fma_f64 v[23:24], v[25:26], v[31:32], -v[23:24]
	v_fma_f64 v[31:32], v[25:26], s[92:93], s[90:91]
	s_delay_alu instid0(VALU_DEP_2) | instskip(NEXT) | instid1(VALU_DEP_2)
	v_fma_f64 v[23:24], v[41:42], s[34:35], v[23:24]
	v_fma_f64 v[31:32], v[25:26], v[31:32], s[94:95]
	s_delay_alu instid0(VALU_DEP_2) | instskip(NEXT) | instid1(VALU_DEP_2)
	v_add_f64 v[21:22], v[21:22], -v[23:24]
	v_fma_f64 v[31:32], v[25:26], v[31:32], s[96:97]
	v_and_b32_e32 v23, 1, v38
	s_delay_alu instid0(VALU_DEP_1) | instskip(NEXT) | instid1(VALU_DEP_3)
	v_cmp_eq_u32_e32 vcc_lo, 0, v23
	v_fma_f64 v[31:32], v[25:26], v[31:32], s[98:99]
	s_delay_alu instid0(VALU_DEP_1) | instskip(SKIP_1) | instid1(VALU_DEP_1)
	v_fma_f64 v[31:32], v[25:26], v[31:32], s[36:37]
	v_mul_f64 v[25:26], v[25:26], v[25:26]
	v_fma_f64 v[25:26], v[25:26], v[31:32], v[27:28]
	v_mul_f64 v[27:28], v[33:34], v[33:34]
	s_delay_alu instid0(VALU_DEP_2) | instskip(NEXT) | instid1(VALU_DEP_2)
	v_add_f64 v[25:26], v[29:30], v[25:26]
	v_mul_f64 v[31:32], v[27:28], 0.5
	v_mul_f64 v[47:48], v[33:34], -v[27:28]
	s_delay_alu instid0(VALU_DEP_3) | instskip(NEXT) | instid1(VALU_DEP_3)
	v_dual_cndmask_b32 v25, v25, v21 :: v_dual_cndmask_b32 v26, v26, v22
	v_add_f64 v[39:40], -v[31:32], 1.0
	v_cmp_class_f64_e64 vcc_lo, v[7:8], 0x1f8
	v_lshlrev_b32_e32 v7, 30, v38
	s_delay_alu instid0(VALU_DEP_1) | instskip(NEXT) | instid1(VALU_DEP_1)
	v_xor_b32_e32 v7, v7, v8
	v_and_b32_e32 v7, 0x80000000, v7
	v_add_f64 v[43:44], -v[39:40], 1.0
	s_delay_alu instid0(VALU_DEP_1) | instskip(SKIP_1) | instid1(VALU_DEP_2)
	v_add_f64 v[31:32], v[43:44], -v[31:32]
	v_fma_f64 v[43:44], v[27:28], s[102:103], s[100:101]
	v_fma_f64 v[31:32], v[33:34], -v[35:36], v[31:32]
	s_delay_alu instid0(VALU_DEP_2) | instskip(NEXT) | instid1(VALU_DEP_1)
	v_fma_f64 v[43:44], v[27:28], v[43:44], s[24:25]
	v_fma_f64 v[43:44], v[27:28], v[43:44], s[26:27]
	s_delay_alu instid0(VALU_DEP_1) | instskip(NEXT) | instid1(VALU_DEP_1)
	v_fma_f64 v[43:44], v[27:28], v[43:44], s[30:31]
	v_fma_f64 v[43:44], v[47:48], v[43:44], v[45:46]
	s_delay_alu instid0(VALU_DEP_1) | instskip(SKIP_1) | instid1(VALU_DEP_2)
	v_fma_f64 v[35:36], v[27:28], v[43:44], -v[35:36]
	v_fma_f64 v[43:44], v[27:28], s[92:93], s[90:91]
	v_fma_f64 v[21:22], v[47:48], s[34:35], v[35:36]
	s_delay_alu instid0(VALU_DEP_2) | instskip(NEXT) | instid1(VALU_DEP_2)
	v_fma_f64 v[43:44], v[27:28], v[43:44], s[94:95]
	v_add_f64 v[21:22], v[33:34], -v[21:22]
	s_delay_alu instid0(VALU_DEP_2) | instskip(NEXT) | instid1(VALU_DEP_2)
	v_fma_f64 v[43:44], v[27:28], v[43:44], s[96:97]
	v_xor_b32_e32 v8, 0x80000000, v22
	s_delay_alu instid0(VALU_DEP_2) | instskip(SKIP_2) | instid1(VALU_DEP_3)
	v_fma_f64 v[43:44], v[27:28], v[43:44], s[98:99]
	v_xor_b32_e32 v22, v26, v7
	v_cndmask_b32_e32 v7, 0, v25, vcc_lo
	v_fma_f64 v[43:44], v[27:28], v[43:44], s[36:37]
	v_mul_f64 v[27:28], v[27:28], v[27:28]
	s_delay_alu instid0(VALU_DEP_1) | instskip(NEXT) | instid1(VALU_DEP_1)
	v_fma_f64 v[27:28], v[27:28], v[43:44], v[31:32]
	v_add_f64 v[23:24], v[39:40], v[27:28]
	v_and_b32_e32 v27, 1, v18
	v_lshlrev_b32_e32 v18, 30, v18
	s_delay_alu instid0(VALU_DEP_2) | instskip(NEXT) | instid1(VALU_DEP_1)
	v_cmp_eq_u32_e64 s2, 0, v27
	v_cndmask_b32_e64 v8, v8, v24, s2
	v_cndmask_b32_e64 v21, v21, v23, s2
	s_delay_alu instid0(VALU_DEP_1) | instskip(NEXT) | instid1(VALU_DEP_1)
	v_dual_cndmask_b32 v21, 0, v21 :: v_dual_and_b32 v18, 0x80000000, v18
	v_xor_b32_e32 v18, v8, v18
	v_cndmask_b32_e32 v8, 0x7ff80000, v22, vcc_lo
	s_delay_alu instid0(VALU_DEP_2) | instskip(NEXT) | instid1(VALU_DEP_1)
	v_cndmask_b32_e32 v22, 0x7ff80000, v18, vcc_lo
	v_mul_f64 v[7:8], v[7:8], v[21:22]
.LBB156_4:                              ;   in Loop: Header=BB156_7 Depth=1
	s_or_b32 exec_lo, exec_lo, s55
	s_delay_alu instid0(VALU_DEP_1) | instskip(SKIP_2) | instid1(VALU_DEP_3)
	v_bfi_b32 v18, 0x7fffffff, 0, v8
	v_add_co_u32 v5, vcc_lo, v5, 0
	v_add_co_ci_u32_e32 v6, vcc_lo, -2.0, v6, vcc_lo
	v_dual_mov_b32 v7, v17 :: v_dual_mov_b32 v8, v18
.LBB156_5:                              ;   in Loop: Header=BB156_7 Depth=1
	s_or_b32 exec_lo, exec_lo, s43
.LBB156_6:                              ;   in Loop: Header=BB156_7 Depth=1
	s_delay_alu instid0(SALU_CYCLE_1) | instskip(SKIP_1) | instid1(VALU_DEP_1)
	s_or_b32 exec_lo, exec_lo, s42
	v_add_co_u32 v21, s2, vcc_hi, v37
	v_add_co_ci_u32_e64 v22, null, s38, 0, s2
	v_cmp_le_i64_e32 vcc_lo, s[8:9], v[19:20]
	v_cmp_lt_u64_e64 s2, 0xffff, v[19:20]
	s_clause 0x3
	global_store_b128 v[21:22], v[1:4], off
	global_store_b128 v[21:22], v[13:16], off offset:16
	global_store_b128 v[21:22], v[9:12], off offset:32
	;; [unrolled: 1-line block ×3, first 2 shown]
	s_or_b32 s2, vcc_lo, s2
	s_add_u32 s33, s33, s41
	v_add_co_u32 v19, vcc_lo, v19, s40
	s_addc_u32 s104, s104, 0
	s_add_u32 vcc_hi, vcc_hi, s41
	v_add_co_ci_u32_e32 v20, vcc_lo, 0, v20, vcc_lo
	s_addc_u32 s38, s38, 0
	s_and_b32 s2, exec_lo, s2
	s_delay_alu instid0(SALU_CYCLE_1) | instskip(NEXT) | instid1(SALU_CYCLE_1)
	s_or_b32 s39, s2, s39
	s_and_not1_b32 exec_lo, exec_lo, s39
	s_cbranch_execz .LBB156_156
.LBB156_7:                              ; =>This Inner Loop Header: Depth=1
	v_add_co_u32 v9, s2, s33, v37
	s_delay_alu instid0(VALU_DEP_1)
	v_add_co_ci_u32_e64 v10, null, s104, 0, s2
	s_mov_b32 s2, exec_lo
	s_clause 0x3
	global_load_b128 v[1:4], v[9:10], off
	global_load_b128 v[13:16], v[9:10], off offset:16
	global_load_b128 v[5:8], v[9:10], off offset:48
	;; [unrolled: 1-line block ×3, first 2 shown]
	s_waitcnt vmcnt(3)
	v_and_b32_e32 v18, 0x7fffffff, v2
	s_delay_alu instid0(VALU_DEP_1)
	v_cmpx_gt_u32_e32 0x7ff00000, v18
	s_xor_b32 s42, exec_lo, s2
	s_cbranch_execz .LBB156_29
; %bb.8:                                ;   in Loop: Header=BB156_7 Depth=1
	v_cmp_class_f64_e64 s2, v[3:4], 0x1f8
	s_delay_alu instid0(VALU_DEP_1) | instskip(NEXT) | instid1(SALU_CYCLE_1)
	s_and_saveexec_b32 s14, s2
	s_xor_b32 s43, exec_lo, s14
	s_cbranch_execz .LBB156_26
; %bb.9:                                ;   in Loop: Header=BB156_7 Depth=1
	s_mov_b32 s2, exec_lo
	v_cmpx_gt_u32_e32 0x40360000, v18
	s_xor_b32 s34, exec_lo, s2
	s_cbranch_execz .LBB156_15
; %bb.10:                               ;   in Loop: Header=BB156_7 Depth=1
	s_mov_b32 s14, exec_lo
                                        ; implicit-def: $vgpr18
                                        ; implicit-def: $vgpr21_vgpr22
                                        ; implicit-def: $vgpr23_vgpr24
	v_cmpx_ngt_f64_e64 0x41d00000, |v[3:4]|
	s_xor_b32 s14, exec_lo, s14
	s_cbranch_execz .LBB156_12
; %bb.11:                               ;   in Loop: Header=BB156_7 Depth=1
	v_ldexp_f64 v[21:22], |v[3:4]|, 0xffffff80
	v_cmp_le_f64_e64 vcc_lo, 0x7b000000, |v[3:4]|
	v_trig_preop_f64 v[23:24], |v[3:4]|, 0
	v_and_b32_e32 v18, 0x7fffffff, v4
	v_trig_preop_f64 v[27:28], |v[3:4]|, 1
	v_trig_preop_f64 v[31:32], |v[3:4]|, 2
	s_mov_b32 s2, s10
	s_mov_b32 s17, s15
	v_dual_cndmask_b32 v21, v3, v21 :: v_dual_cndmask_b32 v22, v18, v22
	s_delay_alu instid0(VALU_DEP_1) | instskip(NEXT) | instid1(VALU_DEP_4)
	v_mul_f64 v[25:26], v[23:24], v[21:22]
	v_mul_f64 v[29:30], v[27:28], v[21:22]
	s_delay_alu instid0(VALU_DEP_4) | instskip(NEXT) | instid1(VALU_DEP_3)
	v_mul_f64 v[33:34], v[31:32], v[21:22]
	v_fma_f64 v[23:24], v[23:24], v[21:22], -v[25:26]
	s_delay_alu instid0(VALU_DEP_3) | instskip(NEXT) | instid1(VALU_DEP_3)
	v_fma_f64 v[27:28], v[27:28], v[21:22], -v[29:30]
	v_fma_f64 v[21:22], v[31:32], v[21:22], -v[33:34]
	s_delay_alu instid0(VALU_DEP_3) | instskip(NEXT) | instid1(VALU_DEP_1)
	v_add_f64 v[31:32], v[29:30], v[23:24]
	v_add_f64 v[35:36], v[31:32], -v[29:30]
	s_delay_alu instid0(VALU_DEP_1) | instskip(SKIP_1) | instid1(VALU_DEP_1)
	v_add_f64 v[23:24], v[23:24], -v[35:36]
	v_add_f64 v[35:36], v[31:32], -v[35:36]
	;; [unrolled: 1-line block ×3, first 2 shown]
	v_add_f64 v[35:36], v[25:26], v[31:32]
	s_delay_alu instid0(VALU_DEP_2) | instskip(NEXT) | instid1(VALU_DEP_2)
	v_add_f64 v[23:24], v[23:24], v[29:30]
	v_add_f64 v[25:26], v[35:36], -v[25:26]
	v_add_f64 v[29:30], v[33:34], v[27:28]
	v_ldexp_f64 v[35:36], v[35:36], -2
	s_delay_alu instid0(VALU_DEP_3) | instskip(NEXT) | instid1(VALU_DEP_3)
	v_add_f64 v[25:26], v[31:32], -v[25:26]
	v_add_f64 v[31:32], v[29:30], -v[33:34]
	s_delay_alu instid0(VALU_DEP_3) | instskip(SKIP_1) | instid1(VALU_DEP_3)
	v_cmp_neq_f64_e64 vcc_lo, 0x7ff00000, |v[35:36]|
	v_fract_f64_e32 v[35:36], v[35:36]
	v_add_f64 v[27:28], v[27:28], -v[31:32]
	v_add_f64 v[31:32], v[29:30], -v[31:32]
	s_delay_alu instid0(VALU_DEP_3) | instskip(NEXT) | instid1(VALU_DEP_2)
	v_dual_cndmask_b32 v35, 0, v35 :: v_dual_cndmask_b32 v36, 0, v36
	v_add_f64 v[31:32], v[33:34], -v[31:32]
	v_add_f64 v[33:34], v[29:30], v[23:24]
	s_delay_alu instid0(VALU_DEP_2) | instskip(NEXT) | instid1(VALU_DEP_2)
	v_add_f64 v[27:28], v[27:28], v[31:32]
	v_add_f64 v[38:39], v[33:34], -v[29:30]
	v_add_f64 v[31:32], v[25:26], v[33:34]
	s_delay_alu instid0(VALU_DEP_2) | instskip(SKIP_1) | instid1(VALU_DEP_3)
	v_add_f64 v[23:24], v[23:24], -v[38:39]
	v_add_f64 v[38:39], v[33:34], -v[38:39]
	;; [unrolled: 1-line block ×3, first 2 shown]
	s_delay_alu instid0(VALU_DEP_2) | instskip(NEXT) | instid1(VALU_DEP_2)
	v_add_f64 v[29:30], v[29:30], -v[38:39]
	v_add_f64 v[25:26], v[33:34], -v[25:26]
	s_delay_alu instid0(VALU_DEP_2) | instskip(SKIP_1) | instid1(VALU_DEP_2)
	v_add_f64 v[23:24], v[23:24], v[29:30]
	v_ldexp_f64 v[29:30], v[35:36], 2
	v_add_f64 v[23:24], v[27:28], v[23:24]
	s_delay_alu instid0(VALU_DEP_2) | instskip(NEXT) | instid1(VALU_DEP_2)
	v_add_f64 v[35:36], v[31:32], v[29:30]
	v_add_f64 v[21:22], v[21:22], v[23:24]
	s_delay_alu instid0(VALU_DEP_2) | instskip(NEXT) | instid1(VALU_DEP_2)
	v_cmp_gt_f64_e32 vcc_lo, 0, v[35:36]
	v_add_f64 v[21:22], v[25:26], v[21:22]
	v_cndmask_b32_e64 v18, 0, 0x40100000, vcc_lo
	s_delay_alu instid0(VALU_DEP_1) | instskip(NEXT) | instid1(VALU_DEP_1)
	v_add_f64 v[23:24], v[29:30], v[17:18]
	v_add_f64 v[27:28], v[31:32], v[23:24]
	s_delay_alu instid0(VALU_DEP_1) | instskip(NEXT) | instid1(VALU_DEP_1)
	v_cvt_i32_f64_e32 v29, v[27:28]
	v_cvt_f64_i32_e32 v[27:28], v29
	s_delay_alu instid0(VALU_DEP_1) | instskip(NEXT) | instid1(VALU_DEP_1)
	v_add_f64 v[23:24], v[23:24], -v[27:28]
	v_add_f64 v[25:26], v[31:32], v[23:24]
	s_delay_alu instid0(VALU_DEP_1) | instskip(SKIP_1) | instid1(VALU_DEP_2)
	v_add_f64 v[23:24], v[25:26], -v[23:24]
	v_cmp_le_f64_e32 vcc_lo, 0.5, v[25:26]
	v_add_f64 v[23:24], v[31:32], -v[23:24]
	v_cndmask_b32_e64 v18, 0, 0x3ff00000, vcc_lo
	s_delay_alu instid0(VALU_DEP_1) | instskip(SKIP_1) | instid1(VALU_DEP_4)
	v_add_f64 v[25:26], v[25:26], -v[17:18]
	v_add_co_ci_u32_e32 v18, vcc_lo, 0, v29, vcc_lo
	v_add_f64 v[21:22], v[21:22], v[23:24]
	s_delay_alu instid0(VALU_DEP_1) | instskip(NEXT) | instid1(VALU_DEP_1)
	v_add_f64 v[23:24], v[25:26], v[21:22]
	v_add_f64 v[25:26], v[23:24], -v[25:26]
	s_delay_alu instid0(VALU_DEP_1) | instskip(SKIP_1) | instid1(VALU_DEP_1)
	v_add_f64 v[21:22], v[21:22], -v[25:26]
	v_mul_f64 v[25:26], v[23:24], s[2:3]
	v_fma_f64 v[27:28], v[23:24], s[2:3], -v[25:26]
	s_delay_alu instid0(VALU_DEP_1) | instskip(NEXT) | instid1(VALU_DEP_1)
	v_fma_f64 v[23:24], v[23:24], s[16:17], v[27:28]
	v_fma_f64 v[23:24], v[21:22], s[2:3], v[23:24]
	s_delay_alu instid0(VALU_DEP_1) | instskip(NEXT) | instid1(VALU_DEP_1)
	v_add_f64 v[21:22], v[25:26], v[23:24]
	v_add_f64 v[25:26], v[21:22], -v[25:26]
	s_delay_alu instid0(VALU_DEP_1)
	v_add_f64 v[23:24], v[23:24], -v[25:26]
.LBB156_12:                             ;   in Loop: Header=BB156_7 Depth=1
	s_and_not1_saveexec_b32 s2, s14
	s_cbranch_execz .LBB156_14
; %bb.13:                               ;   in Loop: Header=BB156_7 Depth=1
	v_mul_f64 v[21:22], |v[3:4]|, s[18:19]
	s_mov_b32 s14, s20
	s_delay_alu instid0(VALU_DEP_1) | instskip(NEXT) | instid1(VALU_DEP_1)
	v_rndne_f64_e32 v[25:26], v[21:22]
	v_fma_f64 v[21:22], v[25:26], s[10:11], |v[3:4]|
	v_mul_f64 v[23:24], v[25:26], s[20:21]
	v_cvt_i32_f64_e32 v18, v[25:26]
	s_delay_alu instid0(VALU_DEP_3) | instskip(NEXT) | instid1(VALU_DEP_3)
	v_fma_f64 v[29:30], v[25:26], s[20:21], v[21:22]
	v_add_f64 v[27:28], v[21:22], v[23:24]
	s_delay_alu instid0(VALU_DEP_1) | instskip(NEXT) | instid1(VALU_DEP_3)
	v_add_f64 v[21:22], v[21:22], -v[27:28]
	v_add_f64 v[27:28], v[27:28], -v[29:30]
	s_delay_alu instid0(VALU_DEP_2) | instskip(SKIP_1) | instid1(VALU_DEP_2)
	v_add_f64 v[21:22], v[21:22], v[23:24]
	v_fma_f64 v[23:24], v[25:26], s[14:15], v[23:24]
	v_add_f64 v[21:22], v[27:28], v[21:22]
	s_delay_alu instid0(VALU_DEP_1) | instskip(NEXT) | instid1(VALU_DEP_1)
	v_add_f64 v[21:22], v[21:22], -v[23:24]
	v_fma_f64 v[23:24], v[25:26], s[22:23], v[21:22]
	s_delay_alu instid0(VALU_DEP_1) | instskip(NEXT) | instid1(VALU_DEP_1)
	v_add_f64 v[21:22], v[29:30], v[23:24]
	v_add_f64 v[27:28], v[21:22], -v[29:30]
	s_delay_alu instid0(VALU_DEP_1)
	v_add_f64 v[23:24], v[23:24], -v[27:28]
.LBB156_14:                             ;   in Loop: Header=BB156_7 Depth=1
	s_or_b32 exec_lo, exec_lo, s2
	v_add_f64 v[25:26], |v[1:2]|, s[28:29]
	s_mov_b32 s56, s28
	s_mov_b32 s60, s62
	;; [unrolled: 1-line block ×5, first 2 shown]
	v_cmp_nge_f64_e64 vcc_lo, |v[1:2]|, s[88:89]
	v_cmp_gt_f64_e64 s2, 0x3e400000, |v[1:2]|
	s_mov_b32 s44, 0xa9a29f71
	s_mov_b32 s46, 0xc751c08c
	s_mov_b32 s45, 0xbf078809
	s_mov_b32 s47, 0x3ef5e089
	v_and_b32_e32 v18, 1, v18
	s_delay_alu instid0(VALU_DEP_4) | instskip(NEXT) | instid1(VALU_DEP_1)
	v_add_f64 v[27:28], v[25:26], -|v[1:2]|
	v_add_f64 v[29:30], v[27:28], -v[25:26]
	v_add_f64 v[27:28], v[27:28], s[56:57]
	s_delay_alu instid0(VALU_DEP_2) | instskip(NEXT) | instid1(VALU_DEP_1)
	v_add_f64 v[29:30], |v[1:2]|, v[29:30]
	v_add_f64 v[27:28], v[29:30], -v[27:28]
	s_delay_alu instid0(VALU_DEP_1) | instskip(NEXT) | instid1(VALU_DEP_1)
	v_add_f64 v[27:28], v[27:28], s[58:59]
	v_add_f64 v[29:30], v[25:26], v[27:28]
	s_delay_alu instid0(VALU_DEP_1) | instskip(NEXT) | instid1(VALU_DEP_1)
	v_add_f64 v[25:26], v[25:26], -v[29:30]
	v_add_f64 v[25:26], v[27:28], v[25:26]
	v_mul_f64 v[27:28], v[29:30], s[60:61]
	s_delay_alu instid0(VALU_DEP_1) | instskip(NEXT) | instid1(VALU_DEP_1)
	v_rndne_f64_e32 v[27:28], v[27:28]
	v_fma_f64 v[29:30], v[27:28], s[54:55], v[29:30]
	v_cvt_i32_f64_e32 v3, v[27:28]
	s_delay_alu instid0(VALU_DEP_2) | instskip(NEXT) | instid1(VALU_DEP_1)
	v_add_f64 v[31:32], v[25:26], v[29:30]
	v_add_f64 v[29:30], v[29:30], -v[31:32]
	s_delay_alu instid0(VALU_DEP_1) | instskip(SKIP_1) | instid1(VALU_DEP_1)
	v_add_f64 v[25:26], v[25:26], v[29:30]
	v_mul_f64 v[29:30], v[27:28], s[64:65]
	v_add_f64 v[33:34], v[31:32], v[29:30]
	s_delay_alu instid0(VALU_DEP_1) | instskip(NEXT) | instid1(VALU_DEP_1)
	v_add_f64 v[31:32], v[31:32], -v[33:34]
	v_add_f64 v[29:30], v[31:32], v[29:30]
	s_delay_alu instid0(VALU_DEP_1) | instskip(NEXT) | instid1(VALU_DEP_1)
	v_add_f64 v[25:26], v[25:26], v[29:30]
	v_add_f64 v[29:30], v[33:34], v[25:26]
	s_delay_alu instid0(VALU_DEP_1) | instskip(NEXT) | instid1(VALU_DEP_1)
	v_add_f64 v[31:32], v[33:34], -v[29:30]
	v_add_f64 v[25:26], v[25:26], v[31:32]
	v_mul_f64 v[31:32], v[27:28], s[66:67]
	s_delay_alu instid0(VALU_DEP_1) | instskip(NEXT) | instid1(VALU_DEP_1)
	v_add_f64 v[33:34], v[29:30], v[31:32]
	v_add_f64 v[29:30], v[29:30], -v[33:34]
	s_delay_alu instid0(VALU_DEP_1) | instskip(NEXT) | instid1(VALU_DEP_1)
	v_add_f64 v[29:30], v[29:30], v[31:32]
	v_add_f64 v[25:26], v[25:26], v[29:30]
	s_delay_alu instid0(VALU_DEP_1) | instskip(NEXT) | instid1(VALU_DEP_1)
	v_add_f64 v[29:30], v[33:34], v[25:26]
	v_add_f64 v[31:32], v[33:34], -v[29:30]
	s_delay_alu instid0(VALU_DEP_1) | instskip(SKIP_1) | instid1(VALU_DEP_2)
	v_add_f64 v[25:26], v[25:26], v[31:32]
	v_mul_f64 v[31:32], v[29:30], v[29:30]
	v_add_f64 v[35:36], v[25:26], v[25:26]
	s_delay_alu instid0(VALU_DEP_2) | instskip(NEXT) | instid1(VALU_DEP_1)
	v_fma_f64 v[33:34], v[29:30], v[29:30], -v[31:32]
	v_fma_f64 v[33:34], v[29:30], v[35:36], v[33:34]
	s_delay_alu instid0(VALU_DEP_1) | instskip(NEXT) | instid1(VALU_DEP_1)
	v_add_f64 v[35:36], v[31:32], v[33:34]
	v_add_f64 v[31:32], v[35:36], -v[31:32]
	s_delay_alu instid0(VALU_DEP_1) | instskip(SKIP_1) | instid1(VALU_DEP_1)
	v_add_f64 v[31:32], v[33:34], -v[31:32]
	v_fma_f64 v[33:34], v[29:30], s[70:71], s[68:69]
	v_fma_f64 v[33:34], v[29:30], v[33:34], s[72:73]
	s_delay_alu instid0(VALU_DEP_1) | instskip(NEXT) | instid1(VALU_DEP_1)
	v_fma_f64 v[33:34], v[29:30], v[33:34], s[74:75]
	v_fma_f64 v[33:34], v[29:30], v[33:34], s[76:77]
	s_delay_alu instid0(VALU_DEP_1) | instskip(NEXT) | instid1(VALU_DEP_1)
	;; [unrolled: 3-line block ×4, first 2 shown]
	v_fma_f64 v[33:34], v[29:30], v[33:34], s[86:87]
	v_mul_f64 v[38:39], v[35:36], v[33:34]
	s_delay_alu instid0(VALU_DEP_1) | instskip(NEXT) | instid1(VALU_DEP_1)
	v_fma_f64 v[35:36], v[35:36], v[33:34], -v[38:39]
	v_fma_f64 v[31:32], v[31:32], v[33:34], v[35:36]
	s_delay_alu instid0(VALU_DEP_1) | instskip(NEXT) | instid1(VALU_DEP_1)
	v_add_f64 v[33:34], v[38:39], v[31:32]
	v_add_f64 v[35:36], v[33:34], -v[38:39]
	s_delay_alu instid0(VALU_DEP_1) | instskip(SKIP_1) | instid1(VALU_DEP_2)
	v_add_f64 v[31:32], v[31:32], -v[35:36]
	v_add_f64 v[35:36], v[29:30], v[33:34]
	v_add_f64 v[25:26], v[25:26], v[31:32]
	s_delay_alu instid0(VALU_DEP_2) | instskip(NEXT) | instid1(VALU_DEP_1)
	v_add_f64 v[29:30], v[35:36], -v[29:30]
	v_add_f64 v[29:30], v[33:34], -v[29:30]
	s_delay_alu instid0(VALU_DEP_1) | instskip(NEXT) | instid1(VALU_DEP_1)
	v_add_f64 v[25:26], v[25:26], v[29:30]
	v_add_f64 v[29:30], v[35:36], v[25:26]
	s_delay_alu instid0(VALU_DEP_1) | instskip(NEXT) | instid1(VALU_DEP_1)
	v_add_f64 v[31:32], v[29:30], -v[35:36]
	v_add_f64 v[25:26], v[25:26], -v[31:32]
	v_add_f64 v[31:32], v[29:30], 1.0
	s_delay_alu instid0(VALU_DEP_1) | instskip(NEXT) | instid1(VALU_DEP_1)
	v_add_f64 v[33:34], v[31:32], -1.0
	v_add_f64 v[29:30], v[29:30], -v[33:34]
	s_delay_alu instid0(VALU_DEP_1) | instskip(NEXT) | instid1(VALU_DEP_1)
	v_add_f64 v[25:26], v[25:26], v[29:30]
	v_add_f64 v[27:28], v[31:32], v[25:26]
	s_delay_alu instid0(VALU_DEP_1) | instskip(SKIP_1) | instid1(VALU_DEP_2)
	v_add_f64 v[29:30], v[27:28], -v[31:32]
	v_ldexp_f64 v[27:28], v[27:28], v3
	v_add_f64 v[25:26], v[25:26], -v[29:30]
	s_delay_alu instid0(VALU_DEP_2) | instskip(NEXT) | instid1(VALU_DEP_1)
	v_rcp_f64_e32 v[31:32], v[27:28]
	v_ldexp_f64 v[25:26], v[25:26], v3
	v_and_b32_e32 v3, 0x7fffffff, v2
	s_waitcnt_depctr 0xfff
	v_fma_f64 v[33:34], -v[27:28], v[31:32], 1.0
	s_delay_alu instid0(VALU_DEP_1) | instskip(NEXT) | instid1(VALU_DEP_1)
	v_fma_f64 v[31:32], v[33:34], v[31:32], v[31:32]
	v_fma_f64 v[29:30], -v[27:28], v[31:32], 1.0
	s_delay_alu instid0(VALU_DEP_1) | instskip(NEXT) | instid1(VALU_DEP_1)
	v_fma_f64 v[29:30], v[29:30], v[31:32], v[31:32]
	v_mul_f64 v[31:32], v[27:28], v[29:30]
	s_delay_alu instid0(VALU_DEP_1) | instskip(NEXT) | instid1(VALU_DEP_1)
	v_fma_f64 v[33:34], v[29:30], v[27:28], -v[31:32]
	v_fma_f64 v[33:34], v[29:30], v[25:26], v[33:34]
	s_delay_alu instid0(VALU_DEP_1) | instskip(NEXT) | instid1(VALU_DEP_1)
	v_add_f64 v[35:36], v[31:32], v[33:34]
	v_add_f64 v[31:32], v[35:36], -v[31:32]
	s_delay_alu instid0(VALU_DEP_1) | instskip(SKIP_1) | instid1(VALU_DEP_1)
	v_add_f64 v[31:32], v[31:32], -v[33:34]
	v_add_f64 v[33:34], -v[35:36], 1.0
	v_add_f64 v[38:39], -v[33:34], 1.0
	s_delay_alu instid0(VALU_DEP_1) | instskip(NEXT) | instid1(VALU_DEP_1)
	v_add_f64 v[35:36], v[38:39], -v[35:36]
	v_add_f64 v[31:32], v[31:32], v[35:36]
	s_delay_alu instid0(VALU_DEP_1) | instskip(NEXT) | instid1(VALU_DEP_1)
	v_add_f64 v[35:36], v[33:34], v[31:32]
	v_add_f64 v[33:34], v[33:34], -v[35:36]
	s_delay_alu instid0(VALU_DEP_1) | instskip(SKIP_1) | instid1(VALU_DEP_1)
	v_add_f64 v[31:32], v[31:32], v[33:34]
	v_mul_f64 v[33:34], v[29:30], v[35:36]
	v_mul_f64 v[38:39], v[27:28], v[33:34]
	s_delay_alu instid0(VALU_DEP_1) | instskip(NEXT) | instid1(VALU_DEP_1)
	v_fma_f64 v[40:41], v[33:34], v[27:28], -v[38:39]
	v_fma_f64 v[40:41], v[33:34], v[25:26], v[40:41]
	s_delay_alu instid0(VALU_DEP_1) | instskip(NEXT) | instid1(VALU_DEP_1)
	v_add_f64 v[42:43], v[38:39], v[40:41]
	v_add_f64 v[44:45], v[35:36], -v[42:43]
	v_add_f64 v[38:39], v[42:43], -v[38:39]
	s_delay_alu instid0(VALU_DEP_2) | instskip(NEXT) | instid1(VALU_DEP_2)
	v_add_f64 v[35:36], v[35:36], -v[44:45]
	v_add_f64 v[38:39], v[38:39], -v[40:41]
	s_delay_alu instid0(VALU_DEP_2) | instskip(NEXT) | instid1(VALU_DEP_1)
	v_add_f64 v[35:36], v[35:36], -v[42:43]
	v_add_f64 v[31:32], v[31:32], v[35:36]
	v_add_f64 v[35:36], v[29:30], v[33:34]
	s_delay_alu instid0(VALU_DEP_2) | instskip(NEXT) | instid1(VALU_DEP_2)
	v_add_f64 v[31:32], v[38:39], v[31:32]
	v_add_f64 v[38:39], v[35:36], -v[29:30]
	s_delay_alu instid0(VALU_DEP_2) | instskip(NEXT) | instid1(VALU_DEP_2)
	v_add_f64 v[31:32], v[44:45], v[31:32]
	v_add_f64 v[33:34], v[33:34], -v[38:39]
	s_delay_alu instid0(VALU_DEP_2) | instskip(NEXT) | instid1(VALU_DEP_1)
	v_mul_f64 v[29:30], v[29:30], v[31:32]
	v_add_f64 v[29:30], v[33:34], v[29:30]
	s_delay_alu instid0(VALU_DEP_1) | instskip(NEXT) | instid1(VALU_DEP_1)
	v_add_f64 v[31:32], v[35:36], v[29:30]
	v_add_f64 v[33:34], v[31:32], -v[35:36]
	v_ldexp_f64 v[31:32], v[31:32], -2
	s_delay_alu instid0(VALU_DEP_2) | instskip(NEXT) | instid1(VALU_DEP_2)
	v_add_f64 v[29:30], v[29:30], -v[33:34]
	v_add_f64 v[35:36], v[27:28], -v[31:32]
	s_delay_alu instid0(VALU_DEP_1) | instskip(NEXT) | instid1(VALU_DEP_1)
	v_add_f64 v[27:28], v[27:28], -v[35:36]
	v_add_f64 v[27:28], v[27:28], -v[31:32]
	s_delay_alu instid0(VALU_DEP_1) | instskip(SKIP_1) | instid1(VALU_DEP_1)
	v_add_f64 v[25:26], v[25:26], v[27:28]
	v_ldexp_f64 v[27:28], v[29:30], -2
	v_add_f64 v[25:26], v[25:26], -v[27:28]
	s_delay_alu instid0(VALU_DEP_1) | instskip(NEXT) | instid1(VALU_DEP_1)
	v_add_f64 v[25:26], v[35:36], v[25:26]
	v_cndmask_b32_e32 v26, 0x7ff00000, v26, vcc_lo
	s_delay_alu instid0(VALU_DEP_2) | instskip(NEXT) | instid1(VALU_DEP_2)
	v_cndmask_b32_e32 v25, 0, v25, vcc_lo
	v_cndmask_b32_e64 v3, v26, v3, s2
	s_delay_alu instid0(VALU_DEP_2) | instskip(SKIP_1) | instid1(VALU_DEP_3)
	v_cndmask_b32_e64 v1, v25, v1, s2
	v_cmp_eq_u32_e64 s2, 0, v18
	v_bfi_b32 v2, 0x7fffffff, v3, v2
	s_delay_alu instid0(VALU_DEP_1) | instskip(NEXT) | instid1(VALU_DEP_1)
	v_fma_f64 v[25:26], v[1:2], v[1:2], 1.0
	v_cmp_gt_f64_e32 vcc_lo, 0x10000000, v[25:26]
	v_cndmask_b32_e64 v3, 0, 1, vcc_lo
	v_cndmask_b32_e64 v18, 0, 0xffffff80, vcc_lo
	s_delay_alu instid0(VALU_DEP_2) | instskip(NEXT) | instid1(VALU_DEP_1)
	v_lshlrev_b32_e32 v3, 8, v3
	v_ldexp_f64 v[25:26], v[25:26], v3
	s_delay_alu instid0(VALU_DEP_1)
	v_rsq_f64_e32 v[27:28], v[25:26]
	v_cmp_class_f64_e64 vcc_lo, v[25:26], 0x260
	v_and_b32_e32 v35, 0x80000000, v4
	v_mul_f64 v[3:4], v[21:22], v[21:22]
	s_waitcnt_depctr 0xfff
	v_mul_f64 v[29:30], v[25:26], v[27:28]
	v_mul_f64 v[27:28], v[27:28], 0.5
	s_delay_alu instid0(VALU_DEP_1) | instskip(NEXT) | instid1(VALU_DEP_1)
	v_fma_f64 v[31:32], -v[27:28], v[29:30], 0.5
	v_fma_f64 v[29:30], v[29:30], v[31:32], v[29:30]
	v_fma_f64 v[27:28], v[27:28], v[31:32], v[27:28]
	s_delay_alu instid0(VALU_DEP_2) | instskip(NEXT) | instid1(VALU_DEP_1)
	v_fma_f64 v[31:32], -v[29:30], v[29:30], v[25:26]
	v_fma_f64 v[29:30], v[31:32], v[27:28], v[29:30]
	s_delay_alu instid0(VALU_DEP_1) | instskip(NEXT) | instid1(VALU_DEP_1)
	v_fma_f64 v[31:32], -v[29:30], v[29:30], v[25:26]
	v_fma_f64 v[27:28], v[31:32], v[27:28], v[29:30]
	v_add_f64 v[29:30], v[23:24], v[23:24]
	v_fma_f64 v[31:32], v[21:22], v[21:22], -v[3:4]
	s_delay_alu instid0(VALU_DEP_1) | instskip(NEXT) | instid1(VALU_DEP_1)
	v_fma_f64 v[29:30], v[21:22], v[29:30], v[31:32]
	v_add_f64 v[3:4], v[3:4], v[29:30]
	s_delay_alu instid0(VALU_DEP_1)
	v_fma_f64 v[29:30], v[3:4], s[46:47], s[44:45]
	s_mov_b32 s44, 0x90a8aae0
	s_mov_b32 s45, 0x3f17746f
	s_delay_alu instid0(VALU_DEP_1) | instid1(SALU_CYCLE_1)
	v_fma_f64 v[29:30], v[3:4], v[29:30], s[44:45]
	s_mov_b32 s44, 0xa6fbf144
	s_mov_b32 s45, 0xbefbb44d
	s_delay_alu instid0(VALU_DEP_1) | instid1(SALU_CYCLE_1)
	;; [unrolled: 4-line block ×9, first 2 shown]
	v_fma_f64 v[29:30], v[3:4], v[29:30], s[44:45]
	s_delay_alu instid0(VALU_DEP_1) | instskip(NEXT) | instid1(VALU_DEP_1)
	v_fma_f64 v[29:30], v[3:4], v[29:30], s[48:49]
	v_fma_f64 v[29:30], v[3:4], v[29:30], s[50:51]
	s_delay_alu instid0(VALU_DEP_1) | instskip(NEXT) | instid1(VALU_DEP_1)
	v_fma_f64 v[29:30], v[3:4], v[29:30], s[52:53]
	v_mul_f64 v[3:4], v[3:4], v[29:30]
	s_delay_alu instid0(VALU_DEP_1) | instskip(NEXT) | instid1(VALU_DEP_1)
	v_mul_f64 v[29:30], v[21:22], v[3:4]
	v_fma_f64 v[3:4], v[21:22], v[3:4], -v[29:30]
	s_delay_alu instid0(VALU_DEP_1) | instskip(SKIP_1) | instid1(VALU_DEP_1)
	v_add_f64 v[3:4], v[23:24], v[3:4]
	v_add_f64 v[23:24], v[21:22], v[29:30]
	v_add_f64 v[21:22], v[23:24], -v[21:22]
	s_delay_alu instid0(VALU_DEP_1) | instskip(NEXT) | instid1(VALU_DEP_1)
	v_add_f64 v[21:22], v[29:30], -v[21:22]
	v_add_f64 v[3:4], v[3:4], v[21:22]
	s_delay_alu instid0(VALU_DEP_1) | instskip(NEXT) | instid1(VALU_DEP_1)
	v_add_f64 v[21:22], v[23:24], v[3:4]
	v_rcp_f64_e32 v[29:30], v[21:22]
	v_add_f64 v[23:24], v[21:22], -v[23:24]
	s_delay_alu instid0(VALU_DEP_1) | instskip(SKIP_2) | instid1(VALU_DEP_1)
	v_add_f64 v[3:4], v[3:4], -v[23:24]
	s_waitcnt_depctr 0xfff
	v_fma_f64 v[31:32], -v[21:22], v[29:30], 1.0
	v_fma_f64 v[29:30], v[31:32], v[29:30], v[29:30]
	s_delay_alu instid0(VALU_DEP_1) | instskip(NEXT) | instid1(VALU_DEP_1)
	v_fma_f64 v[31:32], -v[21:22], v[29:30], 1.0
	v_fma_f64 v[29:30], v[31:32], v[29:30], v[29:30]
	s_delay_alu instid0(VALU_DEP_1) | instskip(NEXT) | instid1(VALU_DEP_1)
	v_mul_f64 v[23:24], v[21:22], v[29:30]
	v_fma_f64 v[31:32], v[29:30], v[21:22], -v[23:24]
	s_delay_alu instid0(VALU_DEP_1) | instskip(NEXT) | instid1(VALU_DEP_1)
	v_fma_f64 v[3:4], v[29:30], v[3:4], v[31:32]
	v_add_f64 v[31:32], v[23:24], v[3:4]
	s_delay_alu instid0(VALU_DEP_1) | instskip(NEXT) | instid1(VALU_DEP_1)
	v_add_f64 v[23:24], v[31:32], -v[23:24]
	v_add_f64 v[3:4], v[23:24], -v[3:4]
	v_add_f64 v[23:24], -v[31:32], 1.0
	s_delay_alu instid0(VALU_DEP_1) | instskip(NEXT) | instid1(VALU_DEP_1)
	v_add_f64 v[33:34], -v[23:24], 1.0
	v_add_f64 v[31:32], v[33:34], -v[31:32]
	s_delay_alu instid0(VALU_DEP_1) | instskip(NEXT) | instid1(VALU_DEP_1)
	v_add_f64 v[3:4], v[3:4], v[31:32]
	v_add_f64 v[3:4], v[23:24], v[3:4]
	s_delay_alu instid0(VALU_DEP_1) | instskip(NEXT) | instid1(VALU_DEP_1)
	v_mul_f64 v[3:4], v[29:30], v[3:4]
	v_add_f64 v[3:4], v[29:30], v[3:4]
	s_delay_alu instid0(VALU_DEP_1) | instskip(NEXT) | instid1(VALU_DEP_2)
	v_xor_b32_e32 v4, 0x80000000, v4
	v_cndmask_b32_e64 v3, v3, v21, s2
	s_delay_alu instid0(VALU_DEP_2) | instskip(SKIP_1) | instid1(VALU_DEP_1)
	v_cndmask_b32_e64 v4, v4, v22, s2
	v_ldexp_f64 v[21:22], v[27:28], v18
	v_cndmask_b32_e32 v22, v22, v26, vcc_lo
	s_delay_alu instid0(VALU_DEP_3) | instskip(NEXT) | instid1(VALU_DEP_3)
	v_xor_b32_e32 v4, v4, v35
	v_cndmask_b32_e32 v21, v21, v25, vcc_lo
	s_delay_alu instid0(VALU_DEP_2) | instskip(NEXT) | instid1(VALU_DEP_1)
	v_fma_f64 v[23:24], v[3:4], v[3:4], 1.0
	v_mul_f64 v[25:26], v[1:2], v[23:24]
	s_delay_alu instid0(VALU_DEP_3) | instskip(NEXT) | instid1(VALU_DEP_2)
	v_mul_f64 v[21:22], v[21:22], v[23:24]
	v_fma_f64 v[23:24], v[1:2], v[25:26], 1.0
	s_delay_alu instid0(VALU_DEP_2) | instskip(NEXT) | instid1(VALU_DEP_1)
	v_mul_f64 v[1:2], v[1:2], v[21:22]
	v_div_scale_f64 v[21:22], null, v[23:24], v[23:24], v[1:2]
	s_delay_alu instid0(VALU_DEP_1) | instskip(SKIP_2) | instid1(VALU_DEP_1)
	v_rcp_f64_e32 v[25:26], v[21:22]
	s_waitcnt_depctr 0xfff
	v_fma_f64 v[27:28], -v[21:22], v[25:26], 1.0
	v_fma_f64 v[25:26], v[25:26], v[27:28], v[25:26]
	s_delay_alu instid0(VALU_DEP_1) | instskip(NEXT) | instid1(VALU_DEP_1)
	v_fma_f64 v[27:28], -v[21:22], v[25:26], 1.0
	v_fma_f64 v[25:26], v[25:26], v[27:28], v[25:26]
	v_div_scale_f64 v[27:28], vcc_lo, v[1:2], v[23:24], v[1:2]
	s_delay_alu instid0(VALU_DEP_1) | instskip(NEXT) | instid1(VALU_DEP_1)
	v_mul_f64 v[29:30], v[27:28], v[25:26]
	v_fma_f64 v[21:22], -v[21:22], v[29:30], v[27:28]
	s_delay_alu instid0(VALU_DEP_1) | instskip(SKIP_1) | instid1(VALU_DEP_2)
	v_div_fmas_f64 v[21:22], v[21:22], v[25:26], v[29:30]
	v_div_scale_f64 v[25:26], null, v[23:24], v[23:24], v[3:4]
	v_div_fixup_f64 v[1:2], v[21:22], v[23:24], v[1:2]
	s_delay_alu instid0(VALU_DEP_2) | instskip(SKIP_2) | instid1(VALU_DEP_1)
	v_rcp_f64_e32 v[27:28], v[25:26]
	s_waitcnt_depctr 0xfff
	v_fma_f64 v[29:30], -v[25:26], v[27:28], 1.0
	v_fma_f64 v[27:28], v[27:28], v[29:30], v[27:28]
	s_delay_alu instid0(VALU_DEP_1) | instskip(NEXT) | instid1(VALU_DEP_1)
	v_fma_f64 v[29:30], -v[25:26], v[27:28], 1.0
	v_fma_f64 v[27:28], v[27:28], v[29:30], v[27:28]
	v_div_scale_f64 v[29:30], vcc_lo, v[3:4], v[23:24], v[3:4]
	s_delay_alu instid0(VALU_DEP_1) | instskip(NEXT) | instid1(VALU_DEP_1)
	v_mul_f64 v[31:32], v[29:30], v[27:28]
	v_fma_f64 v[25:26], -v[25:26], v[31:32], v[29:30]
	s_delay_alu instid0(VALU_DEP_1) | instskip(NEXT) | instid1(VALU_DEP_1)
	v_div_fmas_f64 v[25:26], v[25:26], v[27:28], v[31:32]
	v_div_fixup_f64 v[3:4], v[25:26], v[23:24], v[3:4]
.LBB156_15:                             ;   in Loop: Header=BB156_7 Depth=1
	s_and_not1_saveexec_b32 s55, s34
	s_cbranch_execz .LBB156_18
; %bb.16:                               ;   in Loop: Header=BB156_7 Depth=1
	s_delay_alu instid0(VALU_DEP_1) | instskip(NEXT) | instid1(VALU_DEP_1)
	v_cmp_ngt_f64_e64 s34, 0x41d00000, |v[3:4]|
                                        ; implicit-def: $vgpr29
                                        ; implicit-def: $vgpr21_vgpr22
                                        ; implicit-def: $vgpr23_vgpr24
	s_and_saveexec_b32 s2, s34
	s_delay_alu instid0(SALU_CYCLE_1)
	s_xor_b32 s14, exec_lo, s2
	s_cbranch_execz .LBB156_19
; %bb.17:                               ;   in Loop: Header=BB156_7 Depth=1
	v_ldexp_f64 v[21:22], |v[3:4]|, 0xffffff80
	v_cmp_le_f64_e64 vcc_lo, 0x7b000000, |v[3:4]|
	v_trig_preop_f64 v[23:24], |v[3:4]|, 0
	v_and_b32_e32 v18, 0x7fffffff, v4
	v_trig_preop_f64 v[27:28], |v[3:4]|, 1
	v_trig_preop_f64 v[31:32], |v[3:4]|, 2
	s_mov_b32 s2, s10
	s_mov_b32 s17, s15
	v_dual_cndmask_b32 v21, v3, v21 :: v_dual_cndmask_b32 v22, v18, v22
	s_delay_alu instid0(VALU_DEP_1) | instskip(NEXT) | instid1(VALU_DEP_4)
	v_mul_f64 v[25:26], v[23:24], v[21:22]
	v_mul_f64 v[29:30], v[27:28], v[21:22]
	s_delay_alu instid0(VALU_DEP_4) | instskip(NEXT) | instid1(VALU_DEP_3)
	v_mul_f64 v[33:34], v[31:32], v[21:22]
	v_fma_f64 v[23:24], v[23:24], v[21:22], -v[25:26]
	s_delay_alu instid0(VALU_DEP_3) | instskip(NEXT) | instid1(VALU_DEP_3)
	v_fma_f64 v[27:28], v[27:28], v[21:22], -v[29:30]
	v_fma_f64 v[21:22], v[31:32], v[21:22], -v[33:34]
	s_delay_alu instid0(VALU_DEP_3) | instskip(NEXT) | instid1(VALU_DEP_1)
	v_add_f64 v[31:32], v[29:30], v[23:24]
	v_add_f64 v[35:36], v[31:32], -v[29:30]
	s_delay_alu instid0(VALU_DEP_1) | instskip(SKIP_1) | instid1(VALU_DEP_1)
	v_add_f64 v[23:24], v[23:24], -v[35:36]
	v_add_f64 v[35:36], v[31:32], -v[35:36]
	;; [unrolled: 1-line block ×3, first 2 shown]
	v_add_f64 v[35:36], v[25:26], v[31:32]
	s_delay_alu instid0(VALU_DEP_2) | instskip(NEXT) | instid1(VALU_DEP_2)
	v_add_f64 v[23:24], v[23:24], v[29:30]
	v_add_f64 v[25:26], v[35:36], -v[25:26]
	v_add_f64 v[29:30], v[33:34], v[27:28]
	v_ldexp_f64 v[35:36], v[35:36], -2
	s_delay_alu instid0(VALU_DEP_3) | instskip(NEXT) | instid1(VALU_DEP_3)
	v_add_f64 v[25:26], v[31:32], -v[25:26]
	v_add_f64 v[31:32], v[29:30], -v[33:34]
	s_delay_alu instid0(VALU_DEP_3) | instskip(SKIP_1) | instid1(VALU_DEP_3)
	v_cmp_neq_f64_e64 vcc_lo, 0x7ff00000, |v[35:36]|
	v_fract_f64_e32 v[35:36], v[35:36]
	v_add_f64 v[27:28], v[27:28], -v[31:32]
	v_add_f64 v[31:32], v[29:30], -v[31:32]
	s_delay_alu instid0(VALU_DEP_3) | instskip(NEXT) | instid1(VALU_DEP_2)
	v_dual_cndmask_b32 v35, 0, v35 :: v_dual_cndmask_b32 v36, 0, v36
	v_add_f64 v[31:32], v[33:34], -v[31:32]
	v_add_f64 v[33:34], v[29:30], v[23:24]
	s_delay_alu instid0(VALU_DEP_2) | instskip(NEXT) | instid1(VALU_DEP_2)
	v_add_f64 v[27:28], v[27:28], v[31:32]
	v_add_f64 v[38:39], v[33:34], -v[29:30]
	v_add_f64 v[31:32], v[25:26], v[33:34]
	s_delay_alu instid0(VALU_DEP_2) | instskip(SKIP_1) | instid1(VALU_DEP_3)
	v_add_f64 v[23:24], v[23:24], -v[38:39]
	v_add_f64 v[38:39], v[33:34], -v[38:39]
	;; [unrolled: 1-line block ×3, first 2 shown]
	s_delay_alu instid0(VALU_DEP_2) | instskip(NEXT) | instid1(VALU_DEP_2)
	v_add_f64 v[29:30], v[29:30], -v[38:39]
	v_add_f64 v[25:26], v[33:34], -v[25:26]
	s_delay_alu instid0(VALU_DEP_2) | instskip(SKIP_1) | instid1(VALU_DEP_2)
	v_add_f64 v[23:24], v[23:24], v[29:30]
	v_ldexp_f64 v[29:30], v[35:36], 2
	v_add_f64 v[23:24], v[27:28], v[23:24]
	s_delay_alu instid0(VALU_DEP_2) | instskip(NEXT) | instid1(VALU_DEP_2)
	v_add_f64 v[35:36], v[31:32], v[29:30]
	v_add_f64 v[21:22], v[21:22], v[23:24]
	s_delay_alu instid0(VALU_DEP_2) | instskip(NEXT) | instid1(VALU_DEP_2)
	v_cmp_gt_f64_e32 vcc_lo, 0, v[35:36]
	v_add_f64 v[21:22], v[25:26], v[21:22]
	v_cndmask_b32_e64 v18, 0, 0x40100000, vcc_lo
	s_delay_alu instid0(VALU_DEP_1) | instskip(NEXT) | instid1(VALU_DEP_1)
	v_add_f64 v[23:24], v[29:30], v[17:18]
	v_add_f64 v[27:28], v[31:32], v[23:24]
	s_delay_alu instid0(VALU_DEP_1) | instskip(NEXT) | instid1(VALU_DEP_1)
	v_cvt_i32_f64_e32 v29, v[27:28]
	v_cvt_f64_i32_e32 v[27:28], v29
	s_delay_alu instid0(VALU_DEP_1) | instskip(NEXT) | instid1(VALU_DEP_1)
	v_add_f64 v[23:24], v[23:24], -v[27:28]
	v_add_f64 v[25:26], v[31:32], v[23:24]
	s_delay_alu instid0(VALU_DEP_1) | instskip(SKIP_1) | instid1(VALU_DEP_2)
	v_add_f64 v[23:24], v[25:26], -v[23:24]
	v_cmp_le_f64_e32 vcc_lo, 0.5, v[25:26]
	v_add_f64 v[23:24], v[31:32], -v[23:24]
	v_cndmask_b32_e64 v18, 0, 0x3ff00000, vcc_lo
	v_add_co_ci_u32_e32 v29, vcc_lo, 0, v29, vcc_lo
	s_delay_alu instid0(VALU_DEP_2) | instskip(NEXT) | instid1(VALU_DEP_4)
	v_add_f64 v[25:26], v[25:26], -v[17:18]
	v_add_f64 v[21:22], v[21:22], v[23:24]
	s_delay_alu instid0(VALU_DEP_1) | instskip(NEXT) | instid1(VALU_DEP_1)
	v_add_f64 v[23:24], v[25:26], v[21:22]
	v_add_f64 v[25:26], v[23:24], -v[25:26]
	s_delay_alu instid0(VALU_DEP_1) | instskip(SKIP_1) | instid1(VALU_DEP_1)
	v_add_f64 v[21:22], v[21:22], -v[25:26]
	v_mul_f64 v[25:26], v[23:24], s[2:3]
	v_fma_f64 v[27:28], v[23:24], s[2:3], -v[25:26]
	s_delay_alu instid0(VALU_DEP_1) | instskip(NEXT) | instid1(VALU_DEP_1)
	v_fma_f64 v[23:24], v[23:24], s[16:17], v[27:28]
	v_fma_f64 v[23:24], v[21:22], s[2:3], v[23:24]
	s_delay_alu instid0(VALU_DEP_1) | instskip(NEXT) | instid1(VALU_DEP_1)
	v_add_f64 v[21:22], v[25:26], v[23:24]
	v_add_f64 v[25:26], v[21:22], -v[25:26]
	s_delay_alu instid0(VALU_DEP_1)
	v_add_f64 v[23:24], v[23:24], -v[25:26]
	s_and_not1_saveexec_b32 s2, s14
	s_cbranch_execz .LBB156_21
	s_branch .LBB156_20
.LBB156_18:                             ;   in Loop: Header=BB156_7 Depth=1
	s_or_b32 exec_lo, exec_lo, s55
	s_and_not1_saveexec_b32 s2, s43
	s_cbranch_execnz .LBB156_27
	s_branch .LBB156_28
.LBB156_19:                             ;   in Loop: Header=BB156_7 Depth=1
	s_and_not1_saveexec_b32 s2, s14
	s_cbranch_execz .LBB156_21
.LBB156_20:                             ;   in Loop: Header=BB156_7 Depth=1
	v_mul_f64 v[21:22], |v[3:4]|, s[18:19]
	s_mov_b32 s14, s20
	s_delay_alu instid0(VALU_DEP_1) | instskip(NEXT) | instid1(VALU_DEP_1)
	v_rndne_f64_e32 v[25:26], v[21:22]
	v_fma_f64 v[21:22], v[25:26], s[10:11], |v[3:4]|
	v_mul_f64 v[23:24], v[25:26], s[20:21]
	s_delay_alu instid0(VALU_DEP_2) | instskip(NEXT) | instid1(VALU_DEP_2)
	v_fma_f64 v[29:30], v[25:26], s[20:21], v[21:22]
	v_add_f64 v[27:28], v[21:22], v[23:24]
	s_delay_alu instid0(VALU_DEP_1) | instskip(NEXT) | instid1(VALU_DEP_3)
	v_add_f64 v[21:22], v[21:22], -v[27:28]
	v_add_f64 v[27:28], v[27:28], -v[29:30]
	s_delay_alu instid0(VALU_DEP_2) | instskip(SKIP_1) | instid1(VALU_DEP_2)
	v_add_f64 v[21:22], v[21:22], v[23:24]
	v_fma_f64 v[23:24], v[25:26], s[14:15], v[23:24]
	v_add_f64 v[21:22], v[27:28], v[21:22]
	s_delay_alu instid0(VALU_DEP_1) | instskip(NEXT) | instid1(VALU_DEP_1)
	v_add_f64 v[21:22], v[21:22], -v[23:24]
	v_fma_f64 v[23:24], v[25:26], s[22:23], v[21:22]
	s_delay_alu instid0(VALU_DEP_1) | instskip(NEXT) | instid1(VALU_DEP_1)
	v_add_f64 v[21:22], v[29:30], v[23:24]
	v_add_f64 v[27:28], v[21:22], -v[29:30]
	v_cvt_i32_f64_e32 v29, v[25:26]
	s_delay_alu instid0(VALU_DEP_2)
	v_add_f64 v[23:24], v[23:24], -v[27:28]
.LBB156_21:                             ;   in Loop: Header=BB156_7 Depth=1
	s_or_b32 exec_lo, exec_lo, s2
                                        ; implicit-def: $vgpr18
                                        ; implicit-def: $vgpr25_vgpr26
                                        ; implicit-def: $vgpr27_vgpr28
	s_and_saveexec_b32 s2, s34
	s_delay_alu instid0(SALU_CYCLE_1)
	s_xor_b32 s14, exec_lo, s2
	s_cbranch_execz .LBB156_23
; %bb.22:                               ;   in Loop: Header=BB156_7 Depth=1
	v_ldexp_f64 v[25:26], |v[3:4]|, 0xffffff80
	v_cmp_le_f64_e64 vcc_lo, 0x7b000000, |v[3:4]|
	v_trig_preop_f64 v[27:28], |v[3:4]|, 0
	v_and_b32_e32 v18, 0x7fffffff, v4
	v_trig_preop_f64 v[32:33], |v[3:4]|, 1
	v_trig_preop_f64 v[38:39], |v[3:4]|, 2
	s_mov_b32 s2, s10
	s_mov_b32 s17, s15
	v_dual_cndmask_b32 v25, v3, v25 :: v_dual_cndmask_b32 v26, v18, v26
	s_delay_alu instid0(VALU_DEP_1) | instskip(NEXT) | instid1(VALU_DEP_4)
	v_mul_f64 v[30:31], v[27:28], v[25:26]
	v_mul_f64 v[34:35], v[32:33], v[25:26]
	s_delay_alu instid0(VALU_DEP_4) | instskip(NEXT) | instid1(VALU_DEP_3)
	v_mul_f64 v[40:41], v[38:39], v[25:26]
	v_fma_f64 v[27:28], v[27:28], v[25:26], -v[30:31]
	s_delay_alu instid0(VALU_DEP_3) | instskip(NEXT) | instid1(VALU_DEP_3)
	v_fma_f64 v[32:33], v[32:33], v[25:26], -v[34:35]
	v_fma_f64 v[25:26], v[38:39], v[25:26], -v[40:41]
	s_delay_alu instid0(VALU_DEP_3) | instskip(NEXT) | instid1(VALU_DEP_1)
	v_add_f64 v[38:39], v[34:35], v[27:28]
	v_add_f64 v[42:43], v[38:39], -v[34:35]
	s_delay_alu instid0(VALU_DEP_1) | instskip(SKIP_1) | instid1(VALU_DEP_1)
	v_add_f64 v[27:28], v[27:28], -v[42:43]
	v_add_f64 v[42:43], v[38:39], -v[42:43]
	;; [unrolled: 1-line block ×3, first 2 shown]
	v_add_f64 v[42:43], v[30:31], v[38:39]
	s_delay_alu instid0(VALU_DEP_2) | instskip(NEXT) | instid1(VALU_DEP_2)
	v_add_f64 v[27:28], v[27:28], v[34:35]
	v_add_f64 v[30:31], v[42:43], -v[30:31]
	v_add_f64 v[34:35], v[40:41], v[32:33]
	v_ldexp_f64 v[42:43], v[42:43], -2
	s_delay_alu instid0(VALU_DEP_3) | instskip(NEXT) | instid1(VALU_DEP_3)
	v_add_f64 v[30:31], v[38:39], -v[30:31]
	v_add_f64 v[38:39], v[34:35], -v[40:41]
	s_delay_alu instid0(VALU_DEP_3) | instskip(SKIP_1) | instid1(VALU_DEP_3)
	v_cmp_neq_f64_e64 vcc_lo, 0x7ff00000, |v[42:43]|
	v_fract_f64_e32 v[42:43], v[42:43]
	v_add_f64 v[32:33], v[32:33], -v[38:39]
	v_add_f64 v[38:39], v[34:35], -v[38:39]
	s_delay_alu instid0(VALU_DEP_3) | instskip(NEXT) | instid1(VALU_DEP_2)
	v_dual_cndmask_b32 v43, 0, v43 :: v_dual_cndmask_b32 v42, 0, v42
	v_add_f64 v[38:39], v[40:41], -v[38:39]
	v_add_f64 v[40:41], v[34:35], v[27:28]
	s_delay_alu instid0(VALU_DEP_2) | instskip(NEXT) | instid1(VALU_DEP_2)
	v_add_f64 v[32:33], v[32:33], v[38:39]
	v_add_f64 v[44:45], v[40:41], -v[34:35]
	v_add_f64 v[38:39], v[30:31], v[40:41]
	s_delay_alu instid0(VALU_DEP_2) | instskip(SKIP_1) | instid1(VALU_DEP_3)
	v_add_f64 v[27:28], v[27:28], -v[44:45]
	v_add_f64 v[44:45], v[40:41], -v[44:45]
	;; [unrolled: 1-line block ×3, first 2 shown]
	s_delay_alu instid0(VALU_DEP_2) | instskip(NEXT) | instid1(VALU_DEP_2)
	v_add_f64 v[34:35], v[34:35], -v[44:45]
	v_add_f64 v[30:31], v[40:41], -v[30:31]
	s_delay_alu instid0(VALU_DEP_2) | instskip(SKIP_1) | instid1(VALU_DEP_2)
	v_add_f64 v[27:28], v[27:28], v[34:35]
	v_ldexp_f64 v[34:35], v[42:43], 2
	v_add_f64 v[27:28], v[32:33], v[27:28]
	s_delay_alu instid0(VALU_DEP_2) | instskip(NEXT) | instid1(VALU_DEP_2)
	v_add_f64 v[42:43], v[38:39], v[34:35]
	v_add_f64 v[25:26], v[25:26], v[27:28]
	s_delay_alu instid0(VALU_DEP_2) | instskip(NEXT) | instid1(VALU_DEP_2)
	v_cmp_gt_f64_e32 vcc_lo, 0, v[42:43]
	v_add_f64 v[25:26], v[30:31], v[25:26]
	v_cndmask_b32_e64 v18, 0, 0x40100000, vcc_lo
	s_delay_alu instid0(VALU_DEP_1) | instskip(NEXT) | instid1(VALU_DEP_1)
	v_add_f64 v[27:28], v[34:35], v[17:18]
	v_add_f64 v[32:33], v[38:39], v[27:28]
	s_delay_alu instid0(VALU_DEP_1) | instskip(NEXT) | instid1(VALU_DEP_1)
	v_cvt_i32_f64_e32 v34, v[32:33]
	v_cvt_f64_i32_e32 v[32:33], v34
	s_delay_alu instid0(VALU_DEP_1) | instskip(NEXT) | instid1(VALU_DEP_1)
	v_add_f64 v[27:28], v[27:28], -v[32:33]
	v_add_f64 v[30:31], v[38:39], v[27:28]
	s_delay_alu instid0(VALU_DEP_1) | instskip(SKIP_1) | instid1(VALU_DEP_2)
	v_add_f64 v[27:28], v[30:31], -v[27:28]
	v_cmp_le_f64_e32 vcc_lo, 0.5, v[30:31]
	v_add_f64 v[27:28], v[38:39], -v[27:28]
	v_cndmask_b32_e64 v18, 0, 0x3ff00000, vcc_lo
	s_delay_alu instid0(VALU_DEP_1) | instskip(SKIP_1) | instid1(VALU_DEP_4)
	v_add_f64 v[30:31], v[30:31], -v[17:18]
	v_add_co_ci_u32_e32 v18, vcc_lo, 0, v34, vcc_lo
	v_add_f64 v[25:26], v[25:26], v[27:28]
	s_delay_alu instid0(VALU_DEP_1) | instskip(NEXT) | instid1(VALU_DEP_1)
	v_add_f64 v[27:28], v[30:31], v[25:26]
	v_add_f64 v[30:31], v[27:28], -v[30:31]
	s_delay_alu instid0(VALU_DEP_1) | instskip(SKIP_1) | instid1(VALU_DEP_1)
	v_add_f64 v[25:26], v[25:26], -v[30:31]
	v_mul_f64 v[30:31], v[27:28], s[2:3]
	v_fma_f64 v[32:33], v[27:28], s[2:3], -v[30:31]
	s_delay_alu instid0(VALU_DEP_1) | instskip(NEXT) | instid1(VALU_DEP_1)
	v_fma_f64 v[27:28], v[27:28], s[16:17], v[32:33]
	v_fma_f64 v[27:28], v[25:26], s[2:3], v[27:28]
	s_delay_alu instid0(VALU_DEP_1) | instskip(NEXT) | instid1(VALU_DEP_1)
	v_add_f64 v[25:26], v[30:31], v[27:28]
	v_add_f64 v[30:31], v[25:26], -v[30:31]
	s_delay_alu instid0(VALU_DEP_1)
	v_add_f64 v[27:28], v[27:28], -v[30:31]
	s_and_not1_saveexec_b32 s2, s14
	s_cbranch_execnz .LBB156_24
	s_branch .LBB156_25
.LBB156_23:                             ;   in Loop: Header=BB156_7 Depth=1
	s_and_not1_saveexec_b32 s2, s14
	s_cbranch_execz .LBB156_25
.LBB156_24:                             ;   in Loop: Header=BB156_7 Depth=1
	v_mul_f64 v[25:26], |v[3:4]|, s[18:19]
	s_mov_b32 s14, s20
	s_delay_alu instid0(VALU_DEP_1) | instskip(NEXT) | instid1(VALU_DEP_1)
	v_rndne_f64_e32 v[30:31], v[25:26]
	v_fma_f64 v[25:26], v[30:31], s[10:11], |v[3:4]|
	v_mul_f64 v[27:28], v[30:31], s[20:21]
	v_cvt_i32_f64_e32 v18, v[30:31]
	s_delay_alu instid0(VALU_DEP_3) | instskip(NEXT) | instid1(VALU_DEP_3)
	v_fma_f64 v[34:35], v[30:31], s[20:21], v[25:26]
	v_add_f64 v[32:33], v[25:26], v[27:28]
	s_delay_alu instid0(VALU_DEP_1) | instskip(NEXT) | instid1(VALU_DEP_3)
	v_add_f64 v[25:26], v[25:26], -v[32:33]
	v_add_f64 v[32:33], v[32:33], -v[34:35]
	s_delay_alu instid0(VALU_DEP_2) | instskip(SKIP_1) | instid1(VALU_DEP_2)
	v_add_f64 v[25:26], v[25:26], v[27:28]
	v_fma_f64 v[27:28], v[30:31], s[14:15], v[27:28]
	v_add_f64 v[25:26], v[32:33], v[25:26]
	s_delay_alu instid0(VALU_DEP_1) | instskip(NEXT) | instid1(VALU_DEP_1)
	v_add_f64 v[25:26], v[25:26], -v[27:28]
	v_fma_f64 v[27:28], v[30:31], s[22:23], v[25:26]
	s_delay_alu instid0(VALU_DEP_1) | instskip(NEXT) | instid1(VALU_DEP_1)
	v_add_f64 v[25:26], v[34:35], v[27:28]
	v_add_f64 v[32:33], v[25:26], -v[34:35]
	s_delay_alu instid0(VALU_DEP_1)
	v_add_f64 v[27:28], v[27:28], -v[32:33]
.LBB156_25:                             ;   in Loop: Header=BB156_7 Depth=1
	s_or_b32 exec_lo, exec_lo, s2
	v_mul_f64 v[30:31], v[21:22], v[21:22]
	s_delay_alu instid0(VALU_DEP_2) | instskip(NEXT) | instid1(VALU_DEP_3)
	v_mul_f64 v[40:41], v[23:24], 0.5
	v_mul_f64 v[46:47], v[27:28], 0.5
	s_mov_b32 s34, s36
	s_mov_b32 s81, s31
	;; [unrolled: 1-line block ×4, first 2 shown]
	s_delay_alu instid0(VALU_DEP_3) | instskip(SKIP_1) | instid1(VALU_DEP_2)
	v_mul_f64 v[32:33], v[30:31], 0.5
	v_mul_f64 v[42:43], v[21:22], -v[30:31]
	v_add_f64 v[34:35], -v[32:33], 1.0
	s_delay_alu instid0(VALU_DEP_1) | instskip(NEXT) | instid1(VALU_DEP_1)
	v_add_f64 v[38:39], -v[34:35], 1.0
	v_add_f64 v[32:33], v[38:39], -v[32:33]
	v_fma_f64 v[38:39], v[30:31], s[102:103], s[100:101]
	s_delay_alu instid0(VALU_DEP_2) | instskip(NEXT) | instid1(VALU_DEP_2)
	v_fma_f64 v[32:33], v[21:22], -v[23:24], v[32:33]
	v_fma_f64 v[38:39], v[30:31], v[38:39], s[24:25]
	s_delay_alu instid0(VALU_DEP_1) | instskip(NEXT) | instid1(VALU_DEP_1)
	v_fma_f64 v[38:39], v[30:31], v[38:39], s[26:27]
	v_fma_f64 v[38:39], v[30:31], v[38:39], s[30:31]
	s_delay_alu instid0(VALU_DEP_1) | instskip(NEXT) | instid1(VALU_DEP_1)
	v_fma_f64 v[38:39], v[42:43], v[38:39], v[40:41]
	v_fma_f64 v[23:24], v[30:31], v[38:39], -v[23:24]
	v_fma_f64 v[38:39], v[30:31], s[92:93], s[90:91]
	s_delay_alu instid0(VALU_DEP_2) | instskip(NEXT) | instid1(VALU_DEP_2)
	v_fma_f64 v[23:24], v[42:43], s[34:35], v[23:24]
	v_fma_f64 v[38:39], v[30:31], v[38:39], s[94:95]
	s_delay_alu instid0(VALU_DEP_2) | instskip(NEXT) | instid1(VALU_DEP_2)
	v_add_f64 v[21:22], v[21:22], -v[23:24]
	v_fma_f64 v[38:39], v[30:31], v[38:39], s[96:97]
	s_delay_alu instid0(VALU_DEP_1) | instskip(NEXT) | instid1(VALU_DEP_1)
	v_fma_f64 v[38:39], v[30:31], v[38:39], s[98:99]
	v_fma_f64 v[38:39], v[30:31], v[38:39], s[36:37]
	v_mul_f64 v[30:31], v[30:31], v[30:31]
	s_delay_alu instid0(VALU_DEP_1) | instskip(SKIP_1) | instid1(VALU_DEP_2)
	v_fma_f64 v[30:31], v[30:31], v[38:39], v[32:33]
	v_mul_f64 v[32:33], v[25:26], v[25:26]
	v_add_f64 v[30:31], v[34:35], v[30:31]
	s_delay_alu instid0(VALU_DEP_2) | instskip(SKIP_2) | instid1(VALU_DEP_1)
	v_mul_f64 v[38:39], v[32:33], 0.5
	v_mul_f64 v[48:49], v[25:26], -v[32:33]
	v_and_b32_e32 v3, 1, v29
	v_cmp_eq_u32_e32 vcc_lo, 0, v3
	v_cndmask_b32_e32 v22, v31, v22, vcc_lo
	v_add_f64 v[40:41], -v[38:39], 1.0
	v_cndmask_b32_e32 v3, v30, v21, vcc_lo
	s_delay_alu instid0(VALU_DEP_2) | instskip(NEXT) | instid1(VALU_DEP_1)
	v_add_f64 v[44:45], -v[40:41], 1.0
	v_add_f64 v[38:39], v[44:45], -v[38:39]
	v_fma_f64 v[44:45], v[32:33], s[102:103], s[100:101]
	s_delay_alu instid0(VALU_DEP_2) | instskip(NEXT) | instid1(VALU_DEP_2)
	v_fma_f64 v[38:39], v[25:26], -v[27:28], v[38:39]
	v_fma_f64 v[44:45], v[32:33], v[44:45], s[24:25]
	s_delay_alu instid0(VALU_DEP_1) | instskip(NEXT) | instid1(VALU_DEP_1)
	v_fma_f64 v[44:45], v[32:33], v[44:45], s[26:27]
	v_fma_f64 v[44:45], v[32:33], v[44:45], s[30:31]
	s_delay_alu instid0(VALU_DEP_1) | instskip(NEXT) | instid1(VALU_DEP_1)
	v_fma_f64 v[44:45], v[48:49], v[44:45], v[46:47]
	v_fma_f64 v[27:28], v[32:33], v[44:45], -v[27:28]
	v_fma_f64 v[44:45], v[32:33], s[92:93], s[90:91]
	s_delay_alu instid0(VALU_DEP_2) | instskip(NEXT) | instid1(VALU_DEP_2)
	v_fma_f64 v[27:28], v[48:49], s[34:35], v[27:28]
	v_fma_f64 v[44:45], v[32:33], v[44:45], s[94:95]
	s_delay_alu instid0(VALU_DEP_2) | instskip(NEXT) | instid1(VALU_DEP_2)
	v_add_f64 v[23:24], v[25:26], -v[27:28]
	v_fma_f64 v[44:45], v[32:33], v[44:45], s[96:97]
	s_delay_alu instid0(VALU_DEP_1) | instskip(NEXT) | instid1(VALU_DEP_1)
	v_fma_f64 v[44:45], v[32:33], v[44:45], s[98:99]
	v_fma_f64 v[44:45], v[32:33], v[44:45], s[36:37]
	v_mul_f64 v[32:33], v[32:33], v[32:33]
	s_delay_alu instid0(VALU_DEP_1) | instskip(NEXT) | instid1(VALU_DEP_1)
	v_fma_f64 v[32:33], v[32:33], v[44:45], v[38:39]
	v_add_f64 v[25:26], v[40:41], v[32:33]
	v_lshlrev_b32_e32 v21, 30, v29
	s_delay_alu instid0(VALU_DEP_1) | instskip(SKIP_2) | instid1(VALU_DEP_3)
	v_xor_b32_e32 v4, v21, v4
	v_and_b32_e32 v21, 1, v18
	v_lshlrev_b32_e32 v18, 30, v18
	v_and_b32_e32 v4, 0x80000000, v4
	s_delay_alu instid0(VALU_DEP_3) | instskip(NEXT) | instid1(VALU_DEP_2)
	v_cmp_eq_u32_e32 vcc_lo, 0, v21
	v_xor_b32_e32 v4, v22, v4
	v_xor_b32_e32 v22, 0x80000000, v24
	s_delay_alu instid0(VALU_DEP_2) | instskip(SKIP_2) | instid1(VALU_DEP_4)
	v_mul_f64 v[3:4], v[3:4], 4.0
	v_cndmask_b32_e32 v21, v23, v25, vcc_lo
	v_mul_f64 v[23:24], |v[1:2]|, s[62:63]
	v_cndmask_b32_e32 v22, v22, v26, vcc_lo
	v_cmp_nlt_f64_e64 vcc_lo, 0x4090cc00, |v[1:2]|
	v_and_b32_e32 v18, 0x80000000, v18
	s_delay_alu instid0(VALU_DEP_1) | instskip(NEXT) | instid1(VALU_DEP_1)
	v_xor_b32_e32 v22, v22, v18
	v_mul_f64 v[3:4], v[3:4], v[21:22]
	v_rndne_f64_e32 v[23:24], v[23:24]
	s_delay_alu instid0(VALU_DEP_1) | instskip(SKIP_1) | instid1(VALU_DEP_2)
	v_fma_f64 v[25:26], v[23:24], s[28:29], -|v[1:2]|
	v_cvt_i32_f64_e32 v18, v[23:24]
	v_fma_f64 v[25:26], v[23:24], s[58:59], v[25:26]
	s_delay_alu instid0(VALU_DEP_1) | instskip(NEXT) | instid1(VALU_DEP_1)
	v_fma_f64 v[27:28], v[25:26], s[70:71], s[68:69]
	v_fma_f64 v[27:28], v[25:26], v[27:28], s[72:73]
	s_delay_alu instid0(VALU_DEP_1) | instskip(NEXT) | instid1(VALU_DEP_1)
	v_fma_f64 v[27:28], v[25:26], v[27:28], s[74:75]
	;; [unrolled: 3-line block ×5, first 2 shown]
	v_fma_f64 v[27:28], v[25:26], v[27:28], 1.0
	s_delay_alu instid0(VALU_DEP_1) | instskip(NEXT) | instid1(VALU_DEP_1)
	v_fma_f64 v[25:26], v[25:26], v[27:28], 1.0
	v_ldexp_f64 v[23:24], v[25:26], v18
	v_bfi_b32 v18, 0x7fffffff, s2, v2
	s_delay_alu instid0(VALU_DEP_1) | instskip(NEXT) | instid1(VALU_DEP_3)
	v_dual_mov_b32 v1, v17 :: v_dual_mov_b32 v2, v18
	v_dual_cndmask_b32 v22, 0, v24 :: v_dual_cndmask_b32 v21, 0, v23
	s_delay_alu instid0(VALU_DEP_1) | instskip(NEXT) | instid1(VALU_DEP_1)
	v_mul_f64 v[3:4], v[21:22], v[3:4]
	v_mul_f64 v[3:4], v[21:22], v[3:4]
	s_or_b32 exec_lo, exec_lo, s55
.LBB156_26:                             ;   in Loop: Header=BB156_7 Depth=1
	s_and_not1_saveexec_b32 s2, s43
.LBB156_27:                             ;   in Loop: Header=BB156_7 Depth=1
	s_delay_alu instid0(VALU_DEP_1) | instskip(NEXT) | instid1(VALU_DEP_1)
	v_add_f64 v[3:4], v[3:4], -v[3:4]
	v_dual_mov_b32 v1, v3 :: v_dual_mov_b32 v2, v4
.LBB156_28:                             ;   in Loop: Header=BB156_7 Depth=1
	s_or_b32 exec_lo, exec_lo, s2
.LBB156_29:                             ;   in Loop: Header=BB156_7 Depth=1
	s_and_not1_saveexec_b32 s42, s42
	s_cbranch_execz .LBB156_45
; %bb.30:                               ;   in Loop: Header=BB156_7 Depth=1
	s_delay_alu instid0(VALU_DEP_1) | instskip(SKIP_1) | instid1(VALU_DEP_1)
	v_and_or_b32 v18, 0xfffff, v2, v1
	s_mov_b32 s2, exec_lo
	v_cmpx_ne_u32_e32 0, v18
	s_xor_b32 s2, exec_lo, s2
; %bb.31:                               ;   in Loop: Header=BB156_7 Depth=1
	s_delay_alu instid0(VALU_DEP_3) | instskip(SKIP_1) | instid1(VALU_DEP_2)
	v_mul_f64 v[21:22], v[1:2], v[3:4]
	v_cmp_eq_f64_e32 vcc_lo, 0, v[3:4]
	v_dual_cndmask_b32 v4, v22, v4 :: v_dual_cndmask_b32 v3, v21, v3
; %bb.32:                               ;   in Loop: Header=BB156_7 Depth=1
	s_and_not1_saveexec_b32 s43, s2
	s_cbranch_execz .LBB156_44
; %bb.33:                               ;   in Loop: Header=BB156_7 Depth=1
	s_mov_b32 s55, exec_lo
	s_delay_alu instid0(VALU_DEP_1)
	v_cmpx_neq_f64_e64 0x7ff00000, |v[3:4]|
	s_cbranch_execz .LBB156_43
; %bb.34:                               ;   in Loop: Header=BB156_7 Depth=1
	v_cmp_ngt_f64_e64 s34, 0x41d00000, |v[3:4]|
	v_trig_preop_f64 v[29:30], |v[3:4]|, 0
	v_trig_preop_f64 v[27:28], |v[3:4]|, 1
	v_ldexp_f64 v[31:32], |v[3:4]|, 0xffffff80
	v_trig_preop_f64 v[25:26], |v[3:4]|, 2
	v_and_b32_e32 v39, 0x7fffffff, v4
                                        ; implicit-def: $vgpr38
                                        ; implicit-def: $vgpr21_vgpr22
                                        ; implicit-def: $vgpr23_vgpr24
	s_and_saveexec_b32 s2, s34
	s_delay_alu instid0(SALU_CYCLE_1)
	s_xor_b32 s14, exec_lo, s2
	s_cbranch_execz .LBB156_36
; %bb.35:                               ;   in Loop: Header=BB156_7 Depth=1
	v_cmp_le_f64_e64 vcc_lo, 0x7b000000, |v[3:4]|
	s_mov_b32 s2, s10
	s_mov_b32 s17, s15
	s_delay_alu instid0(VALU_DEP_4) | instskip(SKIP_1) | instid1(VALU_DEP_1)
	v_cndmask_b32_e32 v22, v39, v32, vcc_lo
	v_cndmask_b32_e32 v21, v3, v31, vcc_lo
	v_mul_f64 v[23:24], v[29:30], v[21:22]
	v_mul_f64 v[33:34], v[27:28], v[21:22]
	s_delay_alu instid0(VALU_DEP_2) | instskip(NEXT) | instid1(VALU_DEP_1)
	v_fma_f64 v[35:36], v[29:30], v[21:22], -v[23:24]
	v_add_f64 v[40:41], v[33:34], v[35:36]
	s_delay_alu instid0(VALU_DEP_1) | instskip(SKIP_1) | instid1(VALU_DEP_2)
	v_add_f64 v[42:43], v[40:41], -v[33:34]
	v_add_f64 v[44:45], v[23:24], v[40:41]
	v_add_f64 v[35:36], v[35:36], -v[42:43]
	s_delay_alu instid0(VALU_DEP_2) | instskip(SKIP_1) | instid1(VALU_DEP_2)
	v_add_f64 v[23:24], v[44:45], -v[23:24]
	v_add_f64 v[42:43], v[40:41], -v[42:43]
	;; [unrolled: 1-line block ×3, first 2 shown]
	s_delay_alu instid0(VALU_DEP_2) | instskip(NEXT) | instid1(VALU_DEP_1)
	v_add_f64 v[40:41], v[33:34], -v[42:43]
	v_add_f64 v[35:36], v[35:36], v[40:41]
	v_ldexp_f64 v[40:41], v[44:45], -2
	s_delay_alu instid0(VALU_DEP_1) | instskip(SKIP_1) | instid1(VALU_DEP_1)
	v_cmp_neq_f64_e64 vcc_lo, 0x7ff00000, |v[40:41]|
	v_fract_f64_e32 v[40:41], v[40:41]
	v_dual_cndmask_b32 v40, 0, v40 :: v_dual_cndmask_b32 v41, 0, v41
	v_fma_f64 v[33:34], v[27:28], v[21:22], -v[33:34]
	v_mul_f64 v[42:43], v[25:26], v[21:22]
	s_delay_alu instid0(VALU_DEP_3) | instskip(NEXT) | instid1(VALU_DEP_2)
	v_ldexp_f64 v[40:41], v[40:41], 2
	v_add_f64 v[44:45], v[42:43], v[33:34]
	v_fma_f64 v[21:22], v[25:26], v[21:22], -v[42:43]
	s_delay_alu instid0(VALU_DEP_2) | instskip(SKIP_1) | instid1(VALU_DEP_2)
	v_add_f64 v[48:49], v[44:45], v[35:36]
	v_add_f64 v[46:47], v[44:45], -v[42:43]
	v_add_f64 v[50:51], v[48:49], -v[44:45]
	s_delay_alu instid0(VALU_DEP_2) | instskip(SKIP_1) | instid1(VALU_DEP_3)
	v_add_f64 v[33:34], v[33:34], -v[46:47]
	v_add_f64 v[46:47], v[44:45], -v[46:47]
	;; [unrolled: 1-line block ×4, first 2 shown]
	s_delay_alu instid0(VALU_DEP_3) | instskip(SKIP_1) | instid1(VALU_DEP_3)
	v_add_f64 v[46:47], v[42:43], -v[46:47]
	v_add_f64 v[42:43], v[23:24], v[48:49]
	v_add_f64 v[44:45], v[44:45], -v[50:51]
	s_delay_alu instid0(VALU_DEP_3) | instskip(NEXT) | instid1(VALU_DEP_3)
	v_add_f64 v[33:34], v[33:34], v[46:47]
	v_add_f64 v[23:24], v[42:43], -v[23:24]
	s_delay_alu instid0(VALU_DEP_3) | instskip(SKIP_1) | instid1(VALU_DEP_3)
	v_add_f64 v[35:36], v[35:36], v[44:45]
	v_add_f64 v[44:45], v[42:43], v[40:41]
	v_add_f64 v[23:24], v[48:49], -v[23:24]
	s_delay_alu instid0(VALU_DEP_3) | instskip(NEXT) | instid1(VALU_DEP_3)
	v_add_f64 v[33:34], v[33:34], v[35:36]
	v_cmp_gt_f64_e32 vcc_lo, 0, v[44:45]
	s_delay_alu instid0(VALU_DEP_2) | instskip(SKIP_1) | instid1(VALU_DEP_1)
	v_add_f64 v[21:22], v[21:22], v[33:34]
	v_cndmask_b32_e64 v18, 0, 0x40100000, vcc_lo
	v_add_f64 v[33:34], v[40:41], v[17:18]
	s_delay_alu instid0(VALU_DEP_3) | instskip(NEXT) | instid1(VALU_DEP_2)
	v_add_f64 v[21:22], v[23:24], v[21:22]
	v_add_f64 v[35:36], v[42:43], v[33:34]
	s_delay_alu instid0(VALU_DEP_1) | instskip(NEXT) | instid1(VALU_DEP_1)
	v_cvt_i32_f64_e32 v38, v[35:36]
	v_cvt_f64_i32_e32 v[35:36], v38
	s_delay_alu instid0(VALU_DEP_1) | instskip(NEXT) | instid1(VALU_DEP_1)
	v_add_f64 v[33:34], v[33:34], -v[35:36]
	v_add_f64 v[23:24], v[42:43], v[33:34]
	s_delay_alu instid0(VALU_DEP_1) | instskip(SKIP_1) | instid1(VALU_DEP_2)
	v_add_f64 v[33:34], v[23:24], -v[33:34]
	v_cmp_le_f64_e32 vcc_lo, 0.5, v[23:24]
	v_add_f64 v[33:34], v[42:43], -v[33:34]
	v_cndmask_b32_e64 v18, 0, 0x3ff00000, vcc_lo
	v_add_co_ci_u32_e32 v38, vcc_lo, 0, v38, vcc_lo
	s_delay_alu instid0(VALU_DEP_2) | instskip(NEXT) | instid1(VALU_DEP_4)
	v_add_f64 v[23:24], v[23:24], -v[17:18]
	v_add_f64 v[21:22], v[21:22], v[33:34]
	s_delay_alu instid0(VALU_DEP_1) | instskip(NEXT) | instid1(VALU_DEP_1)
	v_add_f64 v[33:34], v[23:24], v[21:22]
	v_add_f64 v[23:24], v[33:34], -v[23:24]
	s_delay_alu instid0(VALU_DEP_1) | instskip(SKIP_1) | instid1(VALU_DEP_1)
	v_add_f64 v[21:22], v[21:22], -v[23:24]
	v_mul_f64 v[23:24], v[33:34], s[2:3]
	v_fma_f64 v[35:36], v[33:34], s[2:3], -v[23:24]
	s_delay_alu instid0(VALU_DEP_1) | instskip(NEXT) | instid1(VALU_DEP_1)
	v_fma_f64 v[33:34], v[33:34], s[16:17], v[35:36]
	v_fma_f64 v[33:34], v[21:22], s[2:3], v[33:34]
	s_delay_alu instid0(VALU_DEP_1) | instskip(NEXT) | instid1(VALU_DEP_1)
	v_add_f64 v[21:22], v[23:24], v[33:34]
	v_add_f64 v[23:24], v[21:22], -v[23:24]
	s_delay_alu instid0(VALU_DEP_1)
	v_add_f64 v[23:24], v[33:34], -v[23:24]
	s_and_not1_saveexec_b32 s2, s14
	s_cbranch_execz .LBB156_38
	s_branch .LBB156_37
.LBB156_36:                             ;   in Loop: Header=BB156_7 Depth=1
	s_and_not1_saveexec_b32 s2, s14
	s_cbranch_execz .LBB156_38
.LBB156_37:                             ;   in Loop: Header=BB156_7 Depth=1
	v_mul_f64 v[21:22], |v[3:4]|, s[18:19]
	s_mov_b32 s14, s20
	s_delay_alu instid0(VALU_DEP_1) | instskip(NEXT) | instid1(VALU_DEP_1)
	v_rndne_f64_e32 v[33:34], v[21:22]
	v_fma_f64 v[21:22], v[33:34], s[10:11], |v[3:4]|
	v_mul_f64 v[23:24], v[33:34], s[20:21]
	v_cvt_i32_f64_e32 v38, v[33:34]
	s_delay_alu instid0(VALU_DEP_3) | instskip(NEXT) | instid1(VALU_DEP_3)
	v_fma_f64 v[40:41], v[33:34], s[20:21], v[21:22]
	v_add_f64 v[35:36], v[21:22], v[23:24]
	s_delay_alu instid0(VALU_DEP_1) | instskip(NEXT) | instid1(VALU_DEP_3)
	v_add_f64 v[21:22], v[21:22], -v[35:36]
	v_add_f64 v[35:36], v[35:36], -v[40:41]
	s_delay_alu instid0(VALU_DEP_2) | instskip(SKIP_1) | instid1(VALU_DEP_2)
	v_add_f64 v[21:22], v[21:22], v[23:24]
	v_fma_f64 v[23:24], v[33:34], s[14:15], v[23:24]
	v_add_f64 v[21:22], v[35:36], v[21:22]
	s_delay_alu instid0(VALU_DEP_1) | instskip(NEXT) | instid1(VALU_DEP_1)
	v_add_f64 v[21:22], v[21:22], -v[23:24]
	v_fma_f64 v[23:24], v[33:34], s[22:23], v[21:22]
	s_delay_alu instid0(VALU_DEP_1) | instskip(NEXT) | instid1(VALU_DEP_1)
	v_add_f64 v[21:22], v[40:41], v[23:24]
	v_add_f64 v[35:36], v[21:22], -v[40:41]
	s_delay_alu instid0(VALU_DEP_1)
	v_add_f64 v[23:24], v[23:24], -v[35:36]
.LBB156_38:                             ;   in Loop: Header=BB156_7 Depth=1
	s_or_b32 exec_lo, exec_lo, s2
                                        ; implicit-def: $vgpr18
                                        ; implicit-def: $vgpr33_vgpr34
                                        ; implicit-def: $vgpr35_vgpr36
	s_and_saveexec_b32 s2, s34
	s_delay_alu instid0(SALU_CYCLE_1)
	s_xor_b32 s14, exec_lo, s2
	s_cbranch_execz .LBB156_40
; %bb.39:                               ;   in Loop: Header=BB156_7 Depth=1
	v_cmp_le_f64_e64 vcc_lo, 0x7b000000, |v[3:4]|
	s_mov_b32 s2, s10
	s_mov_b32 s17, s15
	s_delay_alu instid0(VALU_DEP_4) | instskip(SKIP_1) | instid1(VALU_DEP_1)
	v_cndmask_b32_e32 v32, v39, v32, vcc_lo
	v_cndmask_b32_e32 v31, v3, v31, vcc_lo
	v_mul_f64 v[33:34], v[29:30], v[31:32]
	v_mul_f64 v[35:36], v[27:28], v[31:32]
	;; [unrolled: 1-line block ×3, first 2 shown]
	s_delay_alu instid0(VALU_DEP_3) | instskip(NEXT) | instid1(VALU_DEP_3)
	v_fma_f64 v[29:30], v[29:30], v[31:32], -v[33:34]
	v_fma_f64 v[27:28], v[27:28], v[31:32], -v[35:36]
	s_delay_alu instid0(VALU_DEP_3) | instskip(NEXT) | instid1(VALU_DEP_3)
	v_fma_f64 v[25:26], v[25:26], v[31:32], -v[39:40]
	v_add_f64 v[31:32], v[35:36], v[29:30]
	s_delay_alu instid0(VALU_DEP_1) | instskip(NEXT) | instid1(VALU_DEP_1)
	v_add_f64 v[41:42], v[31:32], -v[35:36]
	v_add_f64 v[29:30], v[29:30], -v[41:42]
	;; [unrolled: 1-line block ×3, first 2 shown]
	s_delay_alu instid0(VALU_DEP_1) | instskip(SKIP_1) | instid1(VALU_DEP_2)
	v_add_f64 v[35:36], v[35:36], -v[41:42]
	v_add_f64 v[41:42], v[33:34], v[31:32]
	v_add_f64 v[29:30], v[29:30], v[35:36]
	s_delay_alu instid0(VALU_DEP_2) | instskip(SKIP_1) | instid1(VALU_DEP_2)
	v_add_f64 v[33:34], v[41:42], -v[33:34]
	v_ldexp_f64 v[41:42], v[41:42], -2
	v_add_f64 v[31:32], v[31:32], -v[33:34]
	v_add_f64 v[33:34], v[39:40], v[27:28]
	s_delay_alu instid0(VALU_DEP_3) | instskip(SKIP_1) | instid1(VALU_DEP_3)
	v_cmp_neq_f64_e64 vcc_lo, 0x7ff00000, |v[41:42]|
	v_fract_f64_e32 v[41:42], v[41:42]
	v_add_f64 v[35:36], v[33:34], -v[39:40]
	s_delay_alu instid0(VALU_DEP_2) | instskip(NEXT) | instid1(VALU_DEP_2)
	v_dual_cndmask_b32 v42, 0, v42 :: v_dual_cndmask_b32 v41, 0, v41
	v_add_f64 v[27:28], v[27:28], -v[35:36]
	v_add_f64 v[35:36], v[33:34], -v[35:36]
	s_delay_alu instid0(VALU_DEP_1) | instskip(SKIP_1) | instid1(VALU_DEP_2)
	v_add_f64 v[35:36], v[39:40], -v[35:36]
	v_add_f64 v[39:40], v[33:34], v[29:30]
	v_add_f64 v[27:28], v[27:28], v[35:36]
	s_delay_alu instid0(VALU_DEP_2) | instskip(SKIP_1) | instid1(VALU_DEP_2)
	v_add_f64 v[43:44], v[39:40], -v[33:34]
	v_add_f64 v[35:36], v[31:32], v[39:40]
	v_add_f64 v[29:30], v[29:30], -v[43:44]
	v_add_f64 v[43:44], v[39:40], -v[43:44]
	s_delay_alu instid0(VALU_DEP_1) | instskip(NEXT) | instid1(VALU_DEP_1)
	v_add_f64 v[33:34], v[33:34], -v[43:44]
	v_add_f64 v[29:30], v[29:30], v[33:34]
	v_ldexp_f64 v[33:34], v[41:42], 2
	s_delay_alu instid0(VALU_DEP_2) | instskip(NEXT) | instid1(VALU_DEP_2)
	v_add_f64 v[27:28], v[27:28], v[29:30]
	v_add_f64 v[41:42], v[35:36], v[33:34]
	v_add_f64 v[29:30], v[35:36], -v[31:32]
	s_delay_alu instid0(VALU_DEP_3) | instskip(NEXT) | instid1(VALU_DEP_3)
	v_add_f64 v[25:26], v[25:26], v[27:28]
	v_cmp_gt_f64_e32 vcc_lo, 0, v[41:42]
	s_delay_alu instid0(VALU_DEP_3) | instskip(SKIP_1) | instid1(VALU_DEP_2)
	v_add_f64 v[29:30], v[39:40], -v[29:30]
	v_cndmask_b32_e64 v18, 0, 0x40100000, vcc_lo
	v_add_f64 v[25:26], v[29:30], v[25:26]
	s_delay_alu instid0(VALU_DEP_2) | instskip(NEXT) | instid1(VALU_DEP_1)
	v_add_f64 v[27:28], v[33:34], v[17:18]
	v_add_f64 v[31:32], v[35:36], v[27:28]
	s_delay_alu instid0(VALU_DEP_1) | instskip(NEXT) | instid1(VALU_DEP_1)
	v_cvt_i32_f64_e32 v39, v[31:32]
	v_cvt_f64_i32_e32 v[31:32], v39
	s_delay_alu instid0(VALU_DEP_1) | instskip(NEXT) | instid1(VALU_DEP_1)
	v_add_f64 v[27:28], v[27:28], -v[31:32]
	v_add_f64 v[29:30], v[35:36], v[27:28]
	s_delay_alu instid0(VALU_DEP_1) | instskip(SKIP_1) | instid1(VALU_DEP_2)
	v_add_f64 v[27:28], v[29:30], -v[27:28]
	v_cmp_le_f64_e32 vcc_lo, 0.5, v[29:30]
	v_add_f64 v[27:28], v[35:36], -v[27:28]
	v_cndmask_b32_e64 v18, 0, 0x3ff00000, vcc_lo
	s_delay_alu instid0(VALU_DEP_1) | instskip(SKIP_1) | instid1(VALU_DEP_4)
	v_add_f64 v[29:30], v[29:30], -v[17:18]
	v_add_co_ci_u32_e32 v18, vcc_lo, 0, v39, vcc_lo
	v_add_f64 v[25:26], v[25:26], v[27:28]
	s_delay_alu instid0(VALU_DEP_1) | instskip(NEXT) | instid1(VALU_DEP_1)
	v_add_f64 v[27:28], v[29:30], v[25:26]
	v_add_f64 v[29:30], v[27:28], -v[29:30]
	s_delay_alu instid0(VALU_DEP_1) | instskip(SKIP_1) | instid1(VALU_DEP_1)
	v_add_f64 v[25:26], v[25:26], -v[29:30]
	v_mul_f64 v[29:30], v[27:28], s[2:3]
	v_fma_f64 v[31:32], v[27:28], s[2:3], -v[29:30]
	s_delay_alu instid0(VALU_DEP_1) | instskip(NEXT) | instid1(VALU_DEP_1)
	v_fma_f64 v[27:28], v[27:28], s[16:17], v[31:32]
	v_fma_f64 v[25:26], v[25:26], s[2:3], v[27:28]
	s_delay_alu instid0(VALU_DEP_1) | instskip(NEXT) | instid1(VALU_DEP_1)
	v_add_f64 v[33:34], v[29:30], v[25:26]
	v_add_f64 v[27:28], v[33:34], -v[29:30]
	s_delay_alu instid0(VALU_DEP_1)
	v_add_f64 v[35:36], v[25:26], -v[27:28]
	s_and_not1_saveexec_b32 s2, s14
	s_cbranch_execnz .LBB156_41
	s_branch .LBB156_42
.LBB156_40:                             ;   in Loop: Header=BB156_7 Depth=1
	s_and_not1_saveexec_b32 s2, s14
	s_cbranch_execz .LBB156_42
.LBB156_41:                             ;   in Loop: Header=BB156_7 Depth=1
	v_mul_f64 v[25:26], |v[3:4]|, s[18:19]
	s_mov_b32 s14, s20
	s_delay_alu instid0(VALU_DEP_1) | instskip(NEXT) | instid1(VALU_DEP_1)
	v_rndne_f64_e32 v[25:26], v[25:26]
	v_fma_f64 v[27:28], v[25:26], s[10:11], |v[3:4]|
	v_mul_f64 v[29:30], v[25:26], s[20:21]
	v_cvt_i32_f64_e32 v18, v[25:26]
	s_delay_alu instid0(VALU_DEP_3) | instskip(NEXT) | instid1(VALU_DEP_3)
	v_fma_f64 v[35:36], v[25:26], s[20:21], v[27:28]
	v_add_f64 v[31:32], v[27:28], v[29:30]
	s_delay_alu instid0(VALU_DEP_1) | instskip(NEXT) | instid1(VALU_DEP_3)
	v_add_f64 v[27:28], v[27:28], -v[31:32]
	v_add_f64 v[31:32], v[31:32], -v[35:36]
	s_delay_alu instid0(VALU_DEP_2) | instskip(SKIP_1) | instid1(VALU_DEP_2)
	v_add_f64 v[27:28], v[27:28], v[29:30]
	v_fma_f64 v[29:30], v[25:26], s[14:15], v[29:30]
	v_add_f64 v[27:28], v[31:32], v[27:28]
	s_delay_alu instid0(VALU_DEP_1) | instskip(NEXT) | instid1(VALU_DEP_1)
	v_add_f64 v[27:28], v[27:28], -v[29:30]
	v_fma_f64 v[27:28], v[25:26], s[22:23], v[27:28]
	s_delay_alu instid0(VALU_DEP_1) | instskip(NEXT) | instid1(VALU_DEP_1)
	v_add_f64 v[33:34], v[35:36], v[27:28]
	v_add_f64 v[29:30], v[33:34], -v[35:36]
	s_delay_alu instid0(VALU_DEP_1)
	v_add_f64 v[35:36], v[27:28], -v[29:30]
.LBB156_42:                             ;   in Loop: Header=BB156_7 Depth=1
	s_or_b32 exec_lo, exec_lo, s2
	v_mul_f64 v[25:26], v[21:22], v[21:22]
	s_delay_alu instid0(VALU_DEP_2) | instskip(NEXT) | instid1(VALU_DEP_3)
	v_mul_f64 v[39:40], v[23:24], 0.5
	v_mul_f64 v[45:46], v[35:36], 0.5
	s_mov_b32 s34, s36
	s_delay_alu instid0(VALU_DEP_3) | instskip(SKIP_1) | instid1(VALU_DEP_2)
	v_mul_f64 v[27:28], v[25:26], 0.5
	v_mul_f64 v[41:42], v[21:22], -v[25:26]
	v_add_f64 v[29:30], -v[27:28], 1.0
	s_delay_alu instid0(VALU_DEP_1) | instskip(NEXT) | instid1(VALU_DEP_1)
	v_add_f64 v[31:32], -v[29:30], 1.0
	v_add_f64 v[27:28], v[31:32], -v[27:28]
	v_fma_f64 v[31:32], v[25:26], s[102:103], s[100:101]
	s_delay_alu instid0(VALU_DEP_2) | instskip(NEXT) | instid1(VALU_DEP_2)
	v_fma_f64 v[27:28], v[21:22], -v[23:24], v[27:28]
	v_fma_f64 v[31:32], v[25:26], v[31:32], s[24:25]
	s_delay_alu instid0(VALU_DEP_1) | instskip(NEXT) | instid1(VALU_DEP_1)
	v_fma_f64 v[31:32], v[25:26], v[31:32], s[26:27]
	v_fma_f64 v[31:32], v[25:26], v[31:32], s[30:31]
	s_delay_alu instid0(VALU_DEP_1) | instskip(NEXT) | instid1(VALU_DEP_1)
	v_fma_f64 v[31:32], v[41:42], v[31:32], v[39:40]
	v_fma_f64 v[23:24], v[25:26], v[31:32], -v[23:24]
	v_fma_f64 v[31:32], v[25:26], s[92:93], s[90:91]
	s_delay_alu instid0(VALU_DEP_2) | instskip(NEXT) | instid1(VALU_DEP_2)
	v_fma_f64 v[23:24], v[41:42], s[34:35], v[23:24]
	v_fma_f64 v[31:32], v[25:26], v[31:32], s[94:95]
	s_delay_alu instid0(VALU_DEP_2) | instskip(NEXT) | instid1(VALU_DEP_2)
	v_add_f64 v[21:22], v[21:22], -v[23:24]
	v_fma_f64 v[31:32], v[25:26], v[31:32], s[96:97]
	v_and_b32_e32 v23, 1, v38
	s_delay_alu instid0(VALU_DEP_1) | instskip(NEXT) | instid1(VALU_DEP_3)
	v_cmp_eq_u32_e32 vcc_lo, 0, v23
	v_fma_f64 v[31:32], v[25:26], v[31:32], s[98:99]
	s_delay_alu instid0(VALU_DEP_1) | instskip(SKIP_1) | instid1(VALU_DEP_1)
	v_fma_f64 v[31:32], v[25:26], v[31:32], s[36:37]
	v_mul_f64 v[25:26], v[25:26], v[25:26]
	v_fma_f64 v[25:26], v[25:26], v[31:32], v[27:28]
	v_mul_f64 v[27:28], v[33:34], v[33:34]
	s_delay_alu instid0(VALU_DEP_2) | instskip(NEXT) | instid1(VALU_DEP_2)
	v_add_f64 v[25:26], v[29:30], v[25:26]
	v_mul_f64 v[31:32], v[27:28], 0.5
	v_mul_f64 v[47:48], v[33:34], -v[27:28]
	s_delay_alu instid0(VALU_DEP_3) | instskip(NEXT) | instid1(VALU_DEP_3)
	v_dual_cndmask_b32 v25, v25, v21 :: v_dual_cndmask_b32 v26, v26, v22
	v_add_f64 v[39:40], -v[31:32], 1.0
	v_cmp_class_f64_e64 vcc_lo, v[3:4], 0x1f8
	v_lshlrev_b32_e32 v3, 30, v38
	s_delay_alu instid0(VALU_DEP_1) | instskip(NEXT) | instid1(VALU_DEP_1)
	v_xor_b32_e32 v3, v3, v4
	v_and_b32_e32 v3, 0x80000000, v3
	v_add_f64 v[43:44], -v[39:40], 1.0
	s_delay_alu instid0(VALU_DEP_1) | instskip(SKIP_1) | instid1(VALU_DEP_2)
	v_add_f64 v[31:32], v[43:44], -v[31:32]
	v_fma_f64 v[43:44], v[27:28], s[102:103], s[100:101]
	v_fma_f64 v[31:32], v[33:34], -v[35:36], v[31:32]
	s_delay_alu instid0(VALU_DEP_2) | instskip(NEXT) | instid1(VALU_DEP_1)
	v_fma_f64 v[43:44], v[27:28], v[43:44], s[24:25]
	v_fma_f64 v[43:44], v[27:28], v[43:44], s[26:27]
	s_delay_alu instid0(VALU_DEP_1) | instskip(NEXT) | instid1(VALU_DEP_1)
	v_fma_f64 v[43:44], v[27:28], v[43:44], s[30:31]
	v_fma_f64 v[43:44], v[47:48], v[43:44], v[45:46]
	s_delay_alu instid0(VALU_DEP_1) | instskip(SKIP_1) | instid1(VALU_DEP_2)
	v_fma_f64 v[35:36], v[27:28], v[43:44], -v[35:36]
	v_fma_f64 v[43:44], v[27:28], s[92:93], s[90:91]
	v_fma_f64 v[21:22], v[47:48], s[34:35], v[35:36]
	s_delay_alu instid0(VALU_DEP_2) | instskip(NEXT) | instid1(VALU_DEP_2)
	v_fma_f64 v[43:44], v[27:28], v[43:44], s[94:95]
	v_add_f64 v[21:22], v[33:34], -v[21:22]
	s_delay_alu instid0(VALU_DEP_2) | instskip(NEXT) | instid1(VALU_DEP_2)
	v_fma_f64 v[43:44], v[27:28], v[43:44], s[96:97]
	v_xor_b32_e32 v4, 0x80000000, v22
	s_delay_alu instid0(VALU_DEP_2) | instskip(SKIP_2) | instid1(VALU_DEP_3)
	v_fma_f64 v[43:44], v[27:28], v[43:44], s[98:99]
	v_xor_b32_e32 v22, v26, v3
	v_cndmask_b32_e32 v3, 0, v25, vcc_lo
	v_fma_f64 v[43:44], v[27:28], v[43:44], s[36:37]
	v_mul_f64 v[27:28], v[27:28], v[27:28]
	s_delay_alu instid0(VALU_DEP_1) | instskip(NEXT) | instid1(VALU_DEP_1)
	v_fma_f64 v[27:28], v[27:28], v[43:44], v[31:32]
	v_add_f64 v[23:24], v[39:40], v[27:28]
	v_and_b32_e32 v27, 1, v18
	v_lshlrev_b32_e32 v18, 30, v18
	s_delay_alu instid0(VALU_DEP_2) | instskip(NEXT) | instid1(VALU_DEP_1)
	v_cmp_eq_u32_e64 s2, 0, v27
	v_cndmask_b32_e64 v4, v4, v24, s2
	v_cndmask_b32_e64 v21, v21, v23, s2
	s_delay_alu instid0(VALU_DEP_1) | instskip(NEXT) | instid1(VALU_DEP_1)
	v_dual_cndmask_b32 v21, 0, v21 :: v_dual_and_b32 v18, 0x80000000, v18
	v_xor_b32_e32 v18, v4, v18
	v_cndmask_b32_e32 v4, 0x7ff80000, v22, vcc_lo
	s_delay_alu instid0(VALU_DEP_2) | instskip(NEXT) | instid1(VALU_DEP_1)
	v_cndmask_b32_e32 v22, 0x7ff80000, v18, vcc_lo
	v_mul_f64 v[3:4], v[3:4], v[21:22]
.LBB156_43:                             ;   in Loop: Header=BB156_7 Depth=1
	s_or_b32 exec_lo, exec_lo, s55
	s_delay_alu instid0(VALU_DEP_1) | instskip(SKIP_2) | instid1(VALU_DEP_3)
	v_bfi_b32 v18, 0x7fffffff, 0, v4
	v_add_co_u32 v1, vcc_lo, v1, 0
	v_add_co_ci_u32_e32 v2, vcc_lo, -2.0, v2, vcc_lo
	v_dual_mov_b32 v3, v17 :: v_dual_mov_b32 v4, v18
.LBB156_44:                             ;   in Loop: Header=BB156_7 Depth=1
	s_or_b32 exec_lo, exec_lo, s43
.LBB156_45:                             ;   in Loop: Header=BB156_7 Depth=1
	s_delay_alu instid0(SALU_CYCLE_1) | instskip(SKIP_3) | instid1(VALU_DEP_1)
	s_or_b32 exec_lo, exec_lo, s42
	s_waitcnt vmcnt(2)
	v_and_b32_e32 v18, 0x7fffffff, v14
	s_mov_b32 s2, exec_lo
	v_cmpx_gt_u32_e32 0x7ff00000, v18
	s_xor_b32 s42, exec_lo, s2
	s_cbranch_execz .LBB156_67
; %bb.46:                               ;   in Loop: Header=BB156_7 Depth=1
	v_cmp_class_f64_e64 s2, v[15:16], 0x1f8
	s_delay_alu instid0(VALU_DEP_1) | instskip(NEXT) | instid1(SALU_CYCLE_1)
	s_and_saveexec_b32 s14, s2
	s_xor_b32 s43, exec_lo, s14
	s_cbranch_execz .LBB156_64
; %bb.47:                               ;   in Loop: Header=BB156_7 Depth=1
	s_mov_b32 s2, exec_lo
	v_cmpx_gt_u32_e32 0x40360000, v18
	s_xor_b32 s34, exec_lo, s2
	s_cbranch_execz .LBB156_53
; %bb.48:                               ;   in Loop: Header=BB156_7 Depth=1
	s_mov_b32 s14, exec_lo
                                        ; implicit-def: $vgpr18
                                        ; implicit-def: $vgpr21_vgpr22
                                        ; implicit-def: $vgpr23_vgpr24
	v_cmpx_ngt_f64_e64 0x41d00000, |v[15:16]|
	s_xor_b32 s14, exec_lo, s14
	s_cbranch_execz .LBB156_50
; %bb.49:                               ;   in Loop: Header=BB156_7 Depth=1
	v_ldexp_f64 v[21:22], |v[15:16]|, 0xffffff80
	v_cmp_le_f64_e64 vcc_lo, 0x7b000000, |v[15:16]|
	v_trig_preop_f64 v[23:24], |v[15:16]|, 0
	v_and_b32_e32 v18, 0x7fffffff, v16
	v_trig_preop_f64 v[27:28], |v[15:16]|, 1
	v_trig_preop_f64 v[31:32], |v[15:16]|, 2
	s_mov_b32 s2, s10
	s_mov_b32 s17, s15
	v_dual_cndmask_b32 v21, v15, v21 :: v_dual_cndmask_b32 v22, v18, v22
	s_delay_alu instid0(VALU_DEP_1) | instskip(NEXT) | instid1(VALU_DEP_4)
	v_mul_f64 v[25:26], v[23:24], v[21:22]
	v_mul_f64 v[29:30], v[27:28], v[21:22]
	s_delay_alu instid0(VALU_DEP_4) | instskip(NEXT) | instid1(VALU_DEP_3)
	v_mul_f64 v[33:34], v[31:32], v[21:22]
	v_fma_f64 v[23:24], v[23:24], v[21:22], -v[25:26]
	s_delay_alu instid0(VALU_DEP_3) | instskip(NEXT) | instid1(VALU_DEP_3)
	v_fma_f64 v[27:28], v[27:28], v[21:22], -v[29:30]
	v_fma_f64 v[21:22], v[31:32], v[21:22], -v[33:34]
	s_delay_alu instid0(VALU_DEP_3) | instskip(NEXT) | instid1(VALU_DEP_1)
	v_add_f64 v[31:32], v[29:30], v[23:24]
	v_add_f64 v[35:36], v[31:32], -v[29:30]
	s_delay_alu instid0(VALU_DEP_1) | instskip(SKIP_1) | instid1(VALU_DEP_1)
	v_add_f64 v[23:24], v[23:24], -v[35:36]
	v_add_f64 v[35:36], v[31:32], -v[35:36]
	v_add_f64 v[29:30], v[29:30], -v[35:36]
	v_add_f64 v[35:36], v[25:26], v[31:32]
	s_delay_alu instid0(VALU_DEP_2) | instskip(NEXT) | instid1(VALU_DEP_2)
	v_add_f64 v[23:24], v[23:24], v[29:30]
	v_add_f64 v[25:26], v[35:36], -v[25:26]
	v_add_f64 v[29:30], v[33:34], v[27:28]
	v_ldexp_f64 v[35:36], v[35:36], -2
	s_delay_alu instid0(VALU_DEP_3) | instskip(NEXT) | instid1(VALU_DEP_3)
	v_add_f64 v[25:26], v[31:32], -v[25:26]
	v_add_f64 v[31:32], v[29:30], -v[33:34]
	s_delay_alu instid0(VALU_DEP_3) | instskip(SKIP_1) | instid1(VALU_DEP_3)
	v_cmp_neq_f64_e64 vcc_lo, 0x7ff00000, |v[35:36]|
	v_fract_f64_e32 v[35:36], v[35:36]
	v_add_f64 v[27:28], v[27:28], -v[31:32]
	v_add_f64 v[31:32], v[29:30], -v[31:32]
	s_delay_alu instid0(VALU_DEP_3) | instskip(NEXT) | instid1(VALU_DEP_2)
	v_dual_cndmask_b32 v35, 0, v35 :: v_dual_cndmask_b32 v36, 0, v36
	v_add_f64 v[31:32], v[33:34], -v[31:32]
	v_add_f64 v[33:34], v[29:30], v[23:24]
	s_delay_alu instid0(VALU_DEP_2) | instskip(NEXT) | instid1(VALU_DEP_2)
	v_add_f64 v[27:28], v[27:28], v[31:32]
	v_add_f64 v[38:39], v[33:34], -v[29:30]
	v_add_f64 v[31:32], v[25:26], v[33:34]
	s_delay_alu instid0(VALU_DEP_2) | instskip(SKIP_1) | instid1(VALU_DEP_3)
	v_add_f64 v[23:24], v[23:24], -v[38:39]
	v_add_f64 v[38:39], v[33:34], -v[38:39]
	;; [unrolled: 1-line block ×3, first 2 shown]
	s_delay_alu instid0(VALU_DEP_2) | instskip(NEXT) | instid1(VALU_DEP_2)
	v_add_f64 v[29:30], v[29:30], -v[38:39]
	v_add_f64 v[25:26], v[33:34], -v[25:26]
	s_delay_alu instid0(VALU_DEP_2) | instskip(SKIP_1) | instid1(VALU_DEP_2)
	v_add_f64 v[23:24], v[23:24], v[29:30]
	v_ldexp_f64 v[29:30], v[35:36], 2
	v_add_f64 v[23:24], v[27:28], v[23:24]
	s_delay_alu instid0(VALU_DEP_2) | instskip(NEXT) | instid1(VALU_DEP_2)
	v_add_f64 v[35:36], v[31:32], v[29:30]
	v_add_f64 v[21:22], v[21:22], v[23:24]
	s_delay_alu instid0(VALU_DEP_2) | instskip(NEXT) | instid1(VALU_DEP_2)
	v_cmp_gt_f64_e32 vcc_lo, 0, v[35:36]
	v_add_f64 v[21:22], v[25:26], v[21:22]
	v_cndmask_b32_e64 v18, 0, 0x40100000, vcc_lo
	s_delay_alu instid0(VALU_DEP_1) | instskip(NEXT) | instid1(VALU_DEP_1)
	v_add_f64 v[23:24], v[29:30], v[17:18]
	v_add_f64 v[27:28], v[31:32], v[23:24]
	s_delay_alu instid0(VALU_DEP_1) | instskip(NEXT) | instid1(VALU_DEP_1)
	v_cvt_i32_f64_e32 v29, v[27:28]
	v_cvt_f64_i32_e32 v[27:28], v29
	s_delay_alu instid0(VALU_DEP_1) | instskip(NEXT) | instid1(VALU_DEP_1)
	v_add_f64 v[23:24], v[23:24], -v[27:28]
	v_add_f64 v[25:26], v[31:32], v[23:24]
	s_delay_alu instid0(VALU_DEP_1) | instskip(SKIP_1) | instid1(VALU_DEP_2)
	v_add_f64 v[23:24], v[25:26], -v[23:24]
	v_cmp_le_f64_e32 vcc_lo, 0.5, v[25:26]
	v_add_f64 v[23:24], v[31:32], -v[23:24]
	v_cndmask_b32_e64 v18, 0, 0x3ff00000, vcc_lo
	s_delay_alu instid0(VALU_DEP_1) | instskip(SKIP_1) | instid1(VALU_DEP_4)
	v_add_f64 v[25:26], v[25:26], -v[17:18]
	v_add_co_ci_u32_e32 v18, vcc_lo, 0, v29, vcc_lo
	v_add_f64 v[21:22], v[21:22], v[23:24]
	s_delay_alu instid0(VALU_DEP_1) | instskip(NEXT) | instid1(VALU_DEP_1)
	v_add_f64 v[23:24], v[25:26], v[21:22]
	v_add_f64 v[25:26], v[23:24], -v[25:26]
	s_delay_alu instid0(VALU_DEP_1) | instskip(SKIP_1) | instid1(VALU_DEP_1)
	v_add_f64 v[21:22], v[21:22], -v[25:26]
	v_mul_f64 v[25:26], v[23:24], s[2:3]
	v_fma_f64 v[27:28], v[23:24], s[2:3], -v[25:26]
	s_delay_alu instid0(VALU_DEP_1) | instskip(NEXT) | instid1(VALU_DEP_1)
	v_fma_f64 v[23:24], v[23:24], s[16:17], v[27:28]
	v_fma_f64 v[23:24], v[21:22], s[2:3], v[23:24]
	s_delay_alu instid0(VALU_DEP_1) | instskip(NEXT) | instid1(VALU_DEP_1)
	v_add_f64 v[21:22], v[25:26], v[23:24]
	v_add_f64 v[25:26], v[21:22], -v[25:26]
	s_delay_alu instid0(VALU_DEP_1)
	v_add_f64 v[23:24], v[23:24], -v[25:26]
.LBB156_50:                             ;   in Loop: Header=BB156_7 Depth=1
	s_and_not1_saveexec_b32 s2, s14
	s_cbranch_execz .LBB156_52
; %bb.51:                               ;   in Loop: Header=BB156_7 Depth=1
	v_mul_f64 v[21:22], |v[15:16]|, s[18:19]
	s_mov_b32 s14, s20
	s_delay_alu instid0(VALU_DEP_1) | instskip(NEXT) | instid1(VALU_DEP_1)
	v_rndne_f64_e32 v[25:26], v[21:22]
	v_fma_f64 v[21:22], v[25:26], s[10:11], |v[15:16]|
	v_mul_f64 v[23:24], v[25:26], s[20:21]
	v_cvt_i32_f64_e32 v18, v[25:26]
	s_delay_alu instid0(VALU_DEP_3) | instskip(NEXT) | instid1(VALU_DEP_3)
	v_fma_f64 v[29:30], v[25:26], s[20:21], v[21:22]
	v_add_f64 v[27:28], v[21:22], v[23:24]
	s_delay_alu instid0(VALU_DEP_1) | instskip(NEXT) | instid1(VALU_DEP_3)
	v_add_f64 v[21:22], v[21:22], -v[27:28]
	v_add_f64 v[27:28], v[27:28], -v[29:30]
	s_delay_alu instid0(VALU_DEP_2) | instskip(SKIP_1) | instid1(VALU_DEP_2)
	v_add_f64 v[21:22], v[21:22], v[23:24]
	v_fma_f64 v[23:24], v[25:26], s[14:15], v[23:24]
	v_add_f64 v[21:22], v[27:28], v[21:22]
	s_delay_alu instid0(VALU_DEP_1) | instskip(NEXT) | instid1(VALU_DEP_1)
	v_add_f64 v[21:22], v[21:22], -v[23:24]
	v_fma_f64 v[23:24], v[25:26], s[22:23], v[21:22]
	s_delay_alu instid0(VALU_DEP_1) | instskip(NEXT) | instid1(VALU_DEP_1)
	v_add_f64 v[21:22], v[29:30], v[23:24]
	v_add_f64 v[27:28], v[21:22], -v[29:30]
	s_delay_alu instid0(VALU_DEP_1)
	v_add_f64 v[23:24], v[23:24], -v[27:28]
.LBB156_52:                             ;   in Loop: Header=BB156_7 Depth=1
	s_or_b32 exec_lo, exec_lo, s2
	v_add_f64 v[25:26], |v[13:14]|, s[28:29]
	s_mov_b32 s56, s28
	s_mov_b32 s60, s62
	;; [unrolled: 1-line block ×5, first 2 shown]
	v_cmp_nge_f64_e64 vcc_lo, |v[13:14]|, s[88:89]
	v_cmp_gt_f64_e64 s2, 0x3e400000, |v[13:14]|
	s_mov_b32 s44, 0xa9a29f71
	s_mov_b32 s46, 0xc751c08c
	;; [unrolled: 1-line block ×4, first 2 shown]
	v_and_b32_e32 v18, 1, v18
	s_delay_alu instid0(VALU_DEP_4) | instskip(NEXT) | instid1(VALU_DEP_1)
	v_add_f64 v[27:28], v[25:26], -|v[13:14]|
	v_add_f64 v[29:30], v[27:28], -v[25:26]
	v_add_f64 v[27:28], v[27:28], s[56:57]
	s_delay_alu instid0(VALU_DEP_2) | instskip(NEXT) | instid1(VALU_DEP_1)
	v_add_f64 v[29:30], |v[13:14]|, v[29:30]
	v_add_f64 v[27:28], v[29:30], -v[27:28]
	s_delay_alu instid0(VALU_DEP_1) | instskip(NEXT) | instid1(VALU_DEP_1)
	v_add_f64 v[27:28], v[27:28], s[58:59]
	v_add_f64 v[29:30], v[25:26], v[27:28]
	s_delay_alu instid0(VALU_DEP_1) | instskip(NEXT) | instid1(VALU_DEP_1)
	v_add_f64 v[25:26], v[25:26], -v[29:30]
	v_add_f64 v[25:26], v[27:28], v[25:26]
	v_mul_f64 v[27:28], v[29:30], s[60:61]
	s_delay_alu instid0(VALU_DEP_1) | instskip(NEXT) | instid1(VALU_DEP_1)
	v_rndne_f64_e32 v[27:28], v[27:28]
	v_fma_f64 v[29:30], v[27:28], s[54:55], v[29:30]
	v_cvt_i32_f64_e32 v15, v[27:28]
	s_delay_alu instid0(VALU_DEP_2) | instskip(NEXT) | instid1(VALU_DEP_1)
	v_add_f64 v[31:32], v[25:26], v[29:30]
	v_add_f64 v[29:30], v[29:30], -v[31:32]
	s_delay_alu instid0(VALU_DEP_1) | instskip(SKIP_1) | instid1(VALU_DEP_1)
	v_add_f64 v[25:26], v[25:26], v[29:30]
	v_mul_f64 v[29:30], v[27:28], s[64:65]
	v_add_f64 v[33:34], v[31:32], v[29:30]
	s_delay_alu instid0(VALU_DEP_1) | instskip(NEXT) | instid1(VALU_DEP_1)
	v_add_f64 v[31:32], v[31:32], -v[33:34]
	v_add_f64 v[29:30], v[31:32], v[29:30]
	s_delay_alu instid0(VALU_DEP_1) | instskip(NEXT) | instid1(VALU_DEP_1)
	v_add_f64 v[25:26], v[25:26], v[29:30]
	v_add_f64 v[29:30], v[33:34], v[25:26]
	s_delay_alu instid0(VALU_DEP_1) | instskip(NEXT) | instid1(VALU_DEP_1)
	v_add_f64 v[31:32], v[33:34], -v[29:30]
	v_add_f64 v[25:26], v[25:26], v[31:32]
	v_mul_f64 v[31:32], v[27:28], s[66:67]
	s_delay_alu instid0(VALU_DEP_1) | instskip(NEXT) | instid1(VALU_DEP_1)
	v_add_f64 v[33:34], v[29:30], v[31:32]
	v_add_f64 v[29:30], v[29:30], -v[33:34]
	s_delay_alu instid0(VALU_DEP_1) | instskip(NEXT) | instid1(VALU_DEP_1)
	v_add_f64 v[29:30], v[29:30], v[31:32]
	v_add_f64 v[25:26], v[25:26], v[29:30]
	s_delay_alu instid0(VALU_DEP_1) | instskip(NEXT) | instid1(VALU_DEP_1)
	v_add_f64 v[29:30], v[33:34], v[25:26]
	v_add_f64 v[31:32], v[33:34], -v[29:30]
	s_delay_alu instid0(VALU_DEP_1) | instskip(SKIP_1) | instid1(VALU_DEP_2)
	v_add_f64 v[25:26], v[25:26], v[31:32]
	v_mul_f64 v[31:32], v[29:30], v[29:30]
	v_add_f64 v[35:36], v[25:26], v[25:26]
	s_delay_alu instid0(VALU_DEP_2) | instskip(NEXT) | instid1(VALU_DEP_1)
	v_fma_f64 v[33:34], v[29:30], v[29:30], -v[31:32]
	v_fma_f64 v[33:34], v[29:30], v[35:36], v[33:34]
	s_delay_alu instid0(VALU_DEP_1) | instskip(NEXT) | instid1(VALU_DEP_1)
	v_add_f64 v[35:36], v[31:32], v[33:34]
	v_add_f64 v[31:32], v[35:36], -v[31:32]
	s_delay_alu instid0(VALU_DEP_1) | instskip(SKIP_1) | instid1(VALU_DEP_1)
	v_add_f64 v[31:32], v[33:34], -v[31:32]
	v_fma_f64 v[33:34], v[29:30], s[70:71], s[68:69]
	v_fma_f64 v[33:34], v[29:30], v[33:34], s[72:73]
	s_delay_alu instid0(VALU_DEP_1) | instskip(NEXT) | instid1(VALU_DEP_1)
	v_fma_f64 v[33:34], v[29:30], v[33:34], s[74:75]
	v_fma_f64 v[33:34], v[29:30], v[33:34], s[76:77]
	s_delay_alu instid0(VALU_DEP_1) | instskip(NEXT) | instid1(VALU_DEP_1)
	;; [unrolled: 3-line block ×4, first 2 shown]
	v_fma_f64 v[33:34], v[29:30], v[33:34], s[86:87]
	v_mul_f64 v[38:39], v[35:36], v[33:34]
	s_delay_alu instid0(VALU_DEP_1) | instskip(NEXT) | instid1(VALU_DEP_1)
	v_fma_f64 v[35:36], v[35:36], v[33:34], -v[38:39]
	v_fma_f64 v[31:32], v[31:32], v[33:34], v[35:36]
	s_delay_alu instid0(VALU_DEP_1) | instskip(NEXT) | instid1(VALU_DEP_1)
	v_add_f64 v[33:34], v[38:39], v[31:32]
	v_add_f64 v[35:36], v[33:34], -v[38:39]
	s_delay_alu instid0(VALU_DEP_1) | instskip(SKIP_1) | instid1(VALU_DEP_2)
	v_add_f64 v[31:32], v[31:32], -v[35:36]
	v_add_f64 v[35:36], v[29:30], v[33:34]
	v_add_f64 v[25:26], v[25:26], v[31:32]
	s_delay_alu instid0(VALU_DEP_2) | instskip(NEXT) | instid1(VALU_DEP_1)
	v_add_f64 v[29:30], v[35:36], -v[29:30]
	v_add_f64 v[29:30], v[33:34], -v[29:30]
	s_delay_alu instid0(VALU_DEP_1) | instskip(NEXT) | instid1(VALU_DEP_1)
	v_add_f64 v[25:26], v[25:26], v[29:30]
	v_add_f64 v[29:30], v[35:36], v[25:26]
	s_delay_alu instid0(VALU_DEP_1) | instskip(NEXT) | instid1(VALU_DEP_1)
	v_add_f64 v[31:32], v[29:30], -v[35:36]
	v_add_f64 v[25:26], v[25:26], -v[31:32]
	v_add_f64 v[31:32], v[29:30], 1.0
	s_delay_alu instid0(VALU_DEP_1) | instskip(NEXT) | instid1(VALU_DEP_1)
	v_add_f64 v[33:34], v[31:32], -1.0
	v_add_f64 v[29:30], v[29:30], -v[33:34]
	s_delay_alu instid0(VALU_DEP_1) | instskip(NEXT) | instid1(VALU_DEP_1)
	v_add_f64 v[25:26], v[25:26], v[29:30]
	v_add_f64 v[27:28], v[31:32], v[25:26]
	s_delay_alu instid0(VALU_DEP_1) | instskip(SKIP_1) | instid1(VALU_DEP_2)
	v_add_f64 v[29:30], v[27:28], -v[31:32]
	v_ldexp_f64 v[27:28], v[27:28], v15
	v_add_f64 v[25:26], v[25:26], -v[29:30]
	s_delay_alu instid0(VALU_DEP_2) | instskip(NEXT) | instid1(VALU_DEP_1)
	v_rcp_f64_e32 v[31:32], v[27:28]
	v_ldexp_f64 v[25:26], v[25:26], v15
	v_and_b32_e32 v15, 0x7fffffff, v14
	s_waitcnt_depctr 0xfff
	v_fma_f64 v[33:34], -v[27:28], v[31:32], 1.0
	s_delay_alu instid0(VALU_DEP_1) | instskip(NEXT) | instid1(VALU_DEP_1)
	v_fma_f64 v[31:32], v[33:34], v[31:32], v[31:32]
	v_fma_f64 v[29:30], -v[27:28], v[31:32], 1.0
	s_delay_alu instid0(VALU_DEP_1) | instskip(NEXT) | instid1(VALU_DEP_1)
	v_fma_f64 v[29:30], v[29:30], v[31:32], v[31:32]
	v_mul_f64 v[31:32], v[27:28], v[29:30]
	s_delay_alu instid0(VALU_DEP_1) | instskip(NEXT) | instid1(VALU_DEP_1)
	v_fma_f64 v[33:34], v[29:30], v[27:28], -v[31:32]
	v_fma_f64 v[33:34], v[29:30], v[25:26], v[33:34]
	s_delay_alu instid0(VALU_DEP_1) | instskip(NEXT) | instid1(VALU_DEP_1)
	v_add_f64 v[35:36], v[31:32], v[33:34]
	v_add_f64 v[31:32], v[35:36], -v[31:32]
	s_delay_alu instid0(VALU_DEP_1) | instskip(SKIP_1) | instid1(VALU_DEP_1)
	v_add_f64 v[31:32], v[31:32], -v[33:34]
	v_add_f64 v[33:34], -v[35:36], 1.0
	v_add_f64 v[38:39], -v[33:34], 1.0
	s_delay_alu instid0(VALU_DEP_1) | instskip(NEXT) | instid1(VALU_DEP_1)
	v_add_f64 v[35:36], v[38:39], -v[35:36]
	v_add_f64 v[31:32], v[31:32], v[35:36]
	s_delay_alu instid0(VALU_DEP_1) | instskip(NEXT) | instid1(VALU_DEP_1)
	v_add_f64 v[35:36], v[33:34], v[31:32]
	v_add_f64 v[33:34], v[33:34], -v[35:36]
	s_delay_alu instid0(VALU_DEP_1) | instskip(SKIP_1) | instid1(VALU_DEP_1)
	v_add_f64 v[31:32], v[31:32], v[33:34]
	v_mul_f64 v[33:34], v[29:30], v[35:36]
	v_mul_f64 v[38:39], v[27:28], v[33:34]
	s_delay_alu instid0(VALU_DEP_1) | instskip(NEXT) | instid1(VALU_DEP_1)
	v_fma_f64 v[40:41], v[33:34], v[27:28], -v[38:39]
	v_fma_f64 v[40:41], v[33:34], v[25:26], v[40:41]
	s_delay_alu instid0(VALU_DEP_1) | instskip(NEXT) | instid1(VALU_DEP_1)
	v_add_f64 v[42:43], v[38:39], v[40:41]
	v_add_f64 v[44:45], v[35:36], -v[42:43]
	v_add_f64 v[38:39], v[42:43], -v[38:39]
	s_delay_alu instid0(VALU_DEP_2) | instskip(NEXT) | instid1(VALU_DEP_2)
	v_add_f64 v[35:36], v[35:36], -v[44:45]
	v_add_f64 v[38:39], v[38:39], -v[40:41]
	s_delay_alu instid0(VALU_DEP_2) | instskip(NEXT) | instid1(VALU_DEP_1)
	v_add_f64 v[35:36], v[35:36], -v[42:43]
	v_add_f64 v[31:32], v[31:32], v[35:36]
	v_add_f64 v[35:36], v[29:30], v[33:34]
	s_delay_alu instid0(VALU_DEP_2) | instskip(NEXT) | instid1(VALU_DEP_2)
	v_add_f64 v[31:32], v[38:39], v[31:32]
	v_add_f64 v[38:39], v[35:36], -v[29:30]
	s_delay_alu instid0(VALU_DEP_2) | instskip(NEXT) | instid1(VALU_DEP_2)
	v_add_f64 v[31:32], v[44:45], v[31:32]
	v_add_f64 v[33:34], v[33:34], -v[38:39]
	s_delay_alu instid0(VALU_DEP_2) | instskip(NEXT) | instid1(VALU_DEP_1)
	v_mul_f64 v[29:30], v[29:30], v[31:32]
	v_add_f64 v[29:30], v[33:34], v[29:30]
	s_delay_alu instid0(VALU_DEP_1) | instskip(NEXT) | instid1(VALU_DEP_1)
	v_add_f64 v[31:32], v[35:36], v[29:30]
	v_add_f64 v[33:34], v[31:32], -v[35:36]
	v_ldexp_f64 v[31:32], v[31:32], -2
	s_delay_alu instid0(VALU_DEP_2) | instskip(NEXT) | instid1(VALU_DEP_2)
	v_add_f64 v[29:30], v[29:30], -v[33:34]
	v_add_f64 v[35:36], v[27:28], -v[31:32]
	s_delay_alu instid0(VALU_DEP_1) | instskip(NEXT) | instid1(VALU_DEP_1)
	v_add_f64 v[27:28], v[27:28], -v[35:36]
	v_add_f64 v[27:28], v[27:28], -v[31:32]
	s_delay_alu instid0(VALU_DEP_1) | instskip(SKIP_1) | instid1(VALU_DEP_1)
	v_add_f64 v[25:26], v[25:26], v[27:28]
	v_ldexp_f64 v[27:28], v[29:30], -2
	v_add_f64 v[25:26], v[25:26], -v[27:28]
	s_delay_alu instid0(VALU_DEP_1) | instskip(NEXT) | instid1(VALU_DEP_1)
	v_add_f64 v[25:26], v[35:36], v[25:26]
	v_cndmask_b32_e32 v26, 0x7ff00000, v26, vcc_lo
	s_delay_alu instid0(VALU_DEP_2) | instskip(NEXT) | instid1(VALU_DEP_2)
	v_cndmask_b32_e32 v25, 0, v25, vcc_lo
	v_cndmask_b32_e64 v15, v26, v15, s2
	s_delay_alu instid0(VALU_DEP_2) | instskip(SKIP_1) | instid1(VALU_DEP_3)
	v_cndmask_b32_e64 v13, v25, v13, s2
	v_cmp_eq_u32_e64 s2, 0, v18
	v_bfi_b32 v14, 0x7fffffff, v15, v14
	s_delay_alu instid0(VALU_DEP_1) | instskip(NEXT) | instid1(VALU_DEP_1)
	v_fma_f64 v[25:26], v[13:14], v[13:14], 1.0
	v_cmp_gt_f64_e32 vcc_lo, 0x10000000, v[25:26]
	v_cndmask_b32_e64 v15, 0, 1, vcc_lo
	v_cndmask_b32_e64 v18, 0, 0xffffff80, vcc_lo
	s_delay_alu instid0(VALU_DEP_2) | instskip(NEXT) | instid1(VALU_DEP_1)
	v_lshlrev_b32_e32 v15, 8, v15
	v_ldexp_f64 v[25:26], v[25:26], v15
	s_delay_alu instid0(VALU_DEP_1)
	v_rsq_f64_e32 v[27:28], v[25:26]
	v_cmp_class_f64_e64 vcc_lo, v[25:26], 0x260
	v_and_b32_e32 v35, 0x80000000, v16
	v_mul_f64 v[15:16], v[21:22], v[21:22]
	s_waitcnt_depctr 0xfff
	v_mul_f64 v[29:30], v[25:26], v[27:28]
	v_mul_f64 v[27:28], v[27:28], 0.5
	s_delay_alu instid0(VALU_DEP_1) | instskip(NEXT) | instid1(VALU_DEP_1)
	v_fma_f64 v[31:32], -v[27:28], v[29:30], 0.5
	v_fma_f64 v[29:30], v[29:30], v[31:32], v[29:30]
	v_fma_f64 v[27:28], v[27:28], v[31:32], v[27:28]
	s_delay_alu instid0(VALU_DEP_2) | instskip(NEXT) | instid1(VALU_DEP_1)
	v_fma_f64 v[31:32], -v[29:30], v[29:30], v[25:26]
	v_fma_f64 v[29:30], v[31:32], v[27:28], v[29:30]
	s_delay_alu instid0(VALU_DEP_1) | instskip(NEXT) | instid1(VALU_DEP_1)
	v_fma_f64 v[31:32], -v[29:30], v[29:30], v[25:26]
	v_fma_f64 v[27:28], v[31:32], v[27:28], v[29:30]
	v_add_f64 v[29:30], v[23:24], v[23:24]
	v_fma_f64 v[31:32], v[21:22], v[21:22], -v[15:16]
	s_delay_alu instid0(VALU_DEP_1) | instskip(NEXT) | instid1(VALU_DEP_1)
	v_fma_f64 v[29:30], v[21:22], v[29:30], v[31:32]
	v_add_f64 v[15:16], v[15:16], v[29:30]
	s_delay_alu instid0(VALU_DEP_1)
	v_fma_f64 v[29:30], v[15:16], s[46:47], s[44:45]
	s_mov_b32 s44, 0x90a8aae0
	s_mov_b32 s45, 0x3f17746f
	s_delay_alu instid0(VALU_DEP_1) | instid1(SALU_CYCLE_1)
	v_fma_f64 v[29:30], v[15:16], v[29:30], s[44:45]
	s_mov_b32 s44, 0xa6fbf144
	s_mov_b32 s45, 0xbefbb44d
	s_delay_alu instid0(VALU_DEP_1) | instid1(SALU_CYCLE_1)
	;; [unrolled: 4-line block ×9, first 2 shown]
	v_fma_f64 v[29:30], v[15:16], v[29:30], s[44:45]
	s_delay_alu instid0(VALU_DEP_1) | instskip(NEXT) | instid1(VALU_DEP_1)
	v_fma_f64 v[29:30], v[15:16], v[29:30], s[48:49]
	v_fma_f64 v[29:30], v[15:16], v[29:30], s[50:51]
	s_delay_alu instid0(VALU_DEP_1) | instskip(NEXT) | instid1(VALU_DEP_1)
	v_fma_f64 v[29:30], v[15:16], v[29:30], s[52:53]
	v_mul_f64 v[15:16], v[15:16], v[29:30]
	s_delay_alu instid0(VALU_DEP_1) | instskip(NEXT) | instid1(VALU_DEP_1)
	v_mul_f64 v[29:30], v[21:22], v[15:16]
	v_fma_f64 v[15:16], v[21:22], v[15:16], -v[29:30]
	s_delay_alu instid0(VALU_DEP_1) | instskip(SKIP_1) | instid1(VALU_DEP_1)
	v_add_f64 v[15:16], v[23:24], v[15:16]
	v_add_f64 v[23:24], v[21:22], v[29:30]
	v_add_f64 v[21:22], v[23:24], -v[21:22]
	s_delay_alu instid0(VALU_DEP_1) | instskip(NEXT) | instid1(VALU_DEP_1)
	v_add_f64 v[21:22], v[29:30], -v[21:22]
	v_add_f64 v[15:16], v[15:16], v[21:22]
	s_delay_alu instid0(VALU_DEP_1) | instskip(NEXT) | instid1(VALU_DEP_1)
	v_add_f64 v[21:22], v[23:24], v[15:16]
	v_rcp_f64_e32 v[29:30], v[21:22]
	v_add_f64 v[23:24], v[21:22], -v[23:24]
	s_delay_alu instid0(VALU_DEP_1) | instskip(SKIP_2) | instid1(VALU_DEP_1)
	v_add_f64 v[15:16], v[15:16], -v[23:24]
	s_waitcnt_depctr 0xfff
	v_fma_f64 v[31:32], -v[21:22], v[29:30], 1.0
	v_fma_f64 v[29:30], v[31:32], v[29:30], v[29:30]
	s_delay_alu instid0(VALU_DEP_1) | instskip(NEXT) | instid1(VALU_DEP_1)
	v_fma_f64 v[31:32], -v[21:22], v[29:30], 1.0
	v_fma_f64 v[29:30], v[31:32], v[29:30], v[29:30]
	s_delay_alu instid0(VALU_DEP_1) | instskip(NEXT) | instid1(VALU_DEP_1)
	v_mul_f64 v[23:24], v[21:22], v[29:30]
	v_fma_f64 v[31:32], v[29:30], v[21:22], -v[23:24]
	s_delay_alu instid0(VALU_DEP_1) | instskip(NEXT) | instid1(VALU_DEP_1)
	v_fma_f64 v[15:16], v[29:30], v[15:16], v[31:32]
	v_add_f64 v[31:32], v[23:24], v[15:16]
	s_delay_alu instid0(VALU_DEP_1) | instskip(NEXT) | instid1(VALU_DEP_1)
	v_add_f64 v[23:24], v[31:32], -v[23:24]
	v_add_f64 v[15:16], v[23:24], -v[15:16]
	v_add_f64 v[23:24], -v[31:32], 1.0
	s_delay_alu instid0(VALU_DEP_1) | instskip(NEXT) | instid1(VALU_DEP_1)
	v_add_f64 v[33:34], -v[23:24], 1.0
	v_add_f64 v[31:32], v[33:34], -v[31:32]
	s_delay_alu instid0(VALU_DEP_1) | instskip(NEXT) | instid1(VALU_DEP_1)
	v_add_f64 v[15:16], v[15:16], v[31:32]
	v_add_f64 v[15:16], v[23:24], v[15:16]
	s_delay_alu instid0(VALU_DEP_1) | instskip(NEXT) | instid1(VALU_DEP_1)
	v_mul_f64 v[15:16], v[29:30], v[15:16]
	v_add_f64 v[15:16], v[29:30], v[15:16]
	s_delay_alu instid0(VALU_DEP_1) | instskip(NEXT) | instid1(VALU_DEP_2)
	v_xor_b32_e32 v16, 0x80000000, v16
	v_cndmask_b32_e64 v15, v15, v21, s2
	s_delay_alu instid0(VALU_DEP_2) | instskip(SKIP_1) | instid1(VALU_DEP_1)
	v_cndmask_b32_e64 v16, v16, v22, s2
	v_ldexp_f64 v[21:22], v[27:28], v18
	v_cndmask_b32_e32 v22, v22, v26, vcc_lo
	s_delay_alu instid0(VALU_DEP_3) | instskip(NEXT) | instid1(VALU_DEP_3)
	v_xor_b32_e32 v16, v16, v35
	v_cndmask_b32_e32 v21, v21, v25, vcc_lo
	s_delay_alu instid0(VALU_DEP_2) | instskip(NEXT) | instid1(VALU_DEP_1)
	v_fma_f64 v[23:24], v[15:16], v[15:16], 1.0
	v_mul_f64 v[25:26], v[13:14], v[23:24]
	s_delay_alu instid0(VALU_DEP_3) | instskip(NEXT) | instid1(VALU_DEP_2)
	v_mul_f64 v[21:22], v[21:22], v[23:24]
	v_fma_f64 v[23:24], v[13:14], v[25:26], 1.0
	s_delay_alu instid0(VALU_DEP_2) | instskip(NEXT) | instid1(VALU_DEP_1)
	v_mul_f64 v[13:14], v[13:14], v[21:22]
	v_div_scale_f64 v[21:22], null, v[23:24], v[23:24], v[13:14]
	s_delay_alu instid0(VALU_DEP_1) | instskip(SKIP_2) | instid1(VALU_DEP_1)
	v_rcp_f64_e32 v[25:26], v[21:22]
	s_waitcnt_depctr 0xfff
	v_fma_f64 v[27:28], -v[21:22], v[25:26], 1.0
	v_fma_f64 v[25:26], v[25:26], v[27:28], v[25:26]
	s_delay_alu instid0(VALU_DEP_1) | instskip(NEXT) | instid1(VALU_DEP_1)
	v_fma_f64 v[27:28], -v[21:22], v[25:26], 1.0
	v_fma_f64 v[25:26], v[25:26], v[27:28], v[25:26]
	v_div_scale_f64 v[27:28], vcc_lo, v[13:14], v[23:24], v[13:14]
	s_delay_alu instid0(VALU_DEP_1) | instskip(NEXT) | instid1(VALU_DEP_1)
	v_mul_f64 v[29:30], v[27:28], v[25:26]
	v_fma_f64 v[21:22], -v[21:22], v[29:30], v[27:28]
	s_delay_alu instid0(VALU_DEP_1) | instskip(SKIP_1) | instid1(VALU_DEP_2)
	v_div_fmas_f64 v[21:22], v[21:22], v[25:26], v[29:30]
	v_div_scale_f64 v[25:26], null, v[23:24], v[23:24], v[15:16]
	v_div_fixup_f64 v[13:14], v[21:22], v[23:24], v[13:14]
	s_delay_alu instid0(VALU_DEP_2) | instskip(SKIP_2) | instid1(VALU_DEP_1)
	v_rcp_f64_e32 v[27:28], v[25:26]
	s_waitcnt_depctr 0xfff
	v_fma_f64 v[29:30], -v[25:26], v[27:28], 1.0
	v_fma_f64 v[27:28], v[27:28], v[29:30], v[27:28]
	s_delay_alu instid0(VALU_DEP_1) | instskip(NEXT) | instid1(VALU_DEP_1)
	v_fma_f64 v[29:30], -v[25:26], v[27:28], 1.0
	v_fma_f64 v[27:28], v[27:28], v[29:30], v[27:28]
	v_div_scale_f64 v[29:30], vcc_lo, v[15:16], v[23:24], v[15:16]
	s_delay_alu instid0(VALU_DEP_1) | instskip(NEXT) | instid1(VALU_DEP_1)
	v_mul_f64 v[31:32], v[29:30], v[27:28]
	v_fma_f64 v[25:26], -v[25:26], v[31:32], v[29:30]
	s_delay_alu instid0(VALU_DEP_1) | instskip(NEXT) | instid1(VALU_DEP_1)
	v_div_fmas_f64 v[25:26], v[25:26], v[27:28], v[31:32]
	v_div_fixup_f64 v[15:16], v[25:26], v[23:24], v[15:16]
.LBB156_53:                             ;   in Loop: Header=BB156_7 Depth=1
	s_and_not1_saveexec_b32 s55, s34
	s_cbranch_execz .LBB156_63
; %bb.54:                               ;   in Loop: Header=BB156_7 Depth=1
	s_delay_alu instid0(VALU_DEP_1) | instskip(NEXT) | instid1(VALU_DEP_1)
	v_cmp_ngt_f64_e64 s34, 0x41d00000, |v[15:16]|
                                        ; implicit-def: $vgpr29
                                        ; implicit-def: $vgpr21_vgpr22
                                        ; implicit-def: $vgpr23_vgpr24
	s_and_saveexec_b32 s2, s34
	s_delay_alu instid0(SALU_CYCLE_1)
	s_xor_b32 s14, exec_lo, s2
	s_cbranch_execz .LBB156_56
; %bb.55:                               ;   in Loop: Header=BB156_7 Depth=1
	v_ldexp_f64 v[21:22], |v[15:16]|, 0xffffff80
	v_cmp_le_f64_e64 vcc_lo, 0x7b000000, |v[15:16]|
	v_trig_preop_f64 v[23:24], |v[15:16]|, 0
	v_and_b32_e32 v18, 0x7fffffff, v16
	v_trig_preop_f64 v[27:28], |v[15:16]|, 1
	v_trig_preop_f64 v[31:32], |v[15:16]|, 2
	s_mov_b32 s2, s10
	s_mov_b32 s17, s15
	v_dual_cndmask_b32 v21, v15, v21 :: v_dual_cndmask_b32 v22, v18, v22
	s_delay_alu instid0(VALU_DEP_1) | instskip(NEXT) | instid1(VALU_DEP_4)
	v_mul_f64 v[25:26], v[23:24], v[21:22]
	v_mul_f64 v[29:30], v[27:28], v[21:22]
	s_delay_alu instid0(VALU_DEP_4) | instskip(NEXT) | instid1(VALU_DEP_3)
	v_mul_f64 v[33:34], v[31:32], v[21:22]
	v_fma_f64 v[23:24], v[23:24], v[21:22], -v[25:26]
	s_delay_alu instid0(VALU_DEP_3) | instskip(NEXT) | instid1(VALU_DEP_3)
	v_fma_f64 v[27:28], v[27:28], v[21:22], -v[29:30]
	v_fma_f64 v[21:22], v[31:32], v[21:22], -v[33:34]
	s_delay_alu instid0(VALU_DEP_3) | instskip(NEXT) | instid1(VALU_DEP_1)
	v_add_f64 v[31:32], v[29:30], v[23:24]
	v_add_f64 v[35:36], v[31:32], -v[29:30]
	s_delay_alu instid0(VALU_DEP_1) | instskip(SKIP_1) | instid1(VALU_DEP_1)
	v_add_f64 v[23:24], v[23:24], -v[35:36]
	v_add_f64 v[35:36], v[31:32], -v[35:36]
	v_add_f64 v[29:30], v[29:30], -v[35:36]
	v_add_f64 v[35:36], v[25:26], v[31:32]
	s_delay_alu instid0(VALU_DEP_2) | instskip(NEXT) | instid1(VALU_DEP_2)
	v_add_f64 v[23:24], v[23:24], v[29:30]
	v_add_f64 v[25:26], v[35:36], -v[25:26]
	v_add_f64 v[29:30], v[33:34], v[27:28]
	v_ldexp_f64 v[35:36], v[35:36], -2
	s_delay_alu instid0(VALU_DEP_3) | instskip(NEXT) | instid1(VALU_DEP_3)
	v_add_f64 v[25:26], v[31:32], -v[25:26]
	v_add_f64 v[31:32], v[29:30], -v[33:34]
	s_delay_alu instid0(VALU_DEP_3) | instskip(SKIP_1) | instid1(VALU_DEP_3)
	v_cmp_neq_f64_e64 vcc_lo, 0x7ff00000, |v[35:36]|
	v_fract_f64_e32 v[35:36], v[35:36]
	v_add_f64 v[27:28], v[27:28], -v[31:32]
	v_add_f64 v[31:32], v[29:30], -v[31:32]
	s_delay_alu instid0(VALU_DEP_3) | instskip(NEXT) | instid1(VALU_DEP_2)
	v_dual_cndmask_b32 v35, 0, v35 :: v_dual_cndmask_b32 v36, 0, v36
	v_add_f64 v[31:32], v[33:34], -v[31:32]
	v_add_f64 v[33:34], v[29:30], v[23:24]
	s_delay_alu instid0(VALU_DEP_2) | instskip(NEXT) | instid1(VALU_DEP_2)
	v_add_f64 v[27:28], v[27:28], v[31:32]
	v_add_f64 v[38:39], v[33:34], -v[29:30]
	v_add_f64 v[31:32], v[25:26], v[33:34]
	s_delay_alu instid0(VALU_DEP_2) | instskip(SKIP_1) | instid1(VALU_DEP_3)
	v_add_f64 v[23:24], v[23:24], -v[38:39]
	v_add_f64 v[38:39], v[33:34], -v[38:39]
	;; [unrolled: 1-line block ×3, first 2 shown]
	s_delay_alu instid0(VALU_DEP_2) | instskip(NEXT) | instid1(VALU_DEP_2)
	v_add_f64 v[29:30], v[29:30], -v[38:39]
	v_add_f64 v[25:26], v[33:34], -v[25:26]
	s_delay_alu instid0(VALU_DEP_2) | instskip(SKIP_1) | instid1(VALU_DEP_2)
	v_add_f64 v[23:24], v[23:24], v[29:30]
	v_ldexp_f64 v[29:30], v[35:36], 2
	v_add_f64 v[23:24], v[27:28], v[23:24]
	s_delay_alu instid0(VALU_DEP_2) | instskip(NEXT) | instid1(VALU_DEP_2)
	v_add_f64 v[35:36], v[31:32], v[29:30]
	v_add_f64 v[21:22], v[21:22], v[23:24]
	s_delay_alu instid0(VALU_DEP_2) | instskip(NEXT) | instid1(VALU_DEP_2)
	v_cmp_gt_f64_e32 vcc_lo, 0, v[35:36]
	v_add_f64 v[21:22], v[25:26], v[21:22]
	v_cndmask_b32_e64 v18, 0, 0x40100000, vcc_lo
	s_delay_alu instid0(VALU_DEP_1) | instskip(NEXT) | instid1(VALU_DEP_1)
	v_add_f64 v[23:24], v[29:30], v[17:18]
	v_add_f64 v[27:28], v[31:32], v[23:24]
	s_delay_alu instid0(VALU_DEP_1) | instskip(NEXT) | instid1(VALU_DEP_1)
	v_cvt_i32_f64_e32 v29, v[27:28]
	v_cvt_f64_i32_e32 v[27:28], v29
	s_delay_alu instid0(VALU_DEP_1) | instskip(NEXT) | instid1(VALU_DEP_1)
	v_add_f64 v[23:24], v[23:24], -v[27:28]
	v_add_f64 v[25:26], v[31:32], v[23:24]
	s_delay_alu instid0(VALU_DEP_1) | instskip(SKIP_1) | instid1(VALU_DEP_2)
	v_add_f64 v[23:24], v[25:26], -v[23:24]
	v_cmp_le_f64_e32 vcc_lo, 0.5, v[25:26]
	v_add_f64 v[23:24], v[31:32], -v[23:24]
	v_cndmask_b32_e64 v18, 0, 0x3ff00000, vcc_lo
	v_add_co_ci_u32_e32 v29, vcc_lo, 0, v29, vcc_lo
	s_delay_alu instid0(VALU_DEP_2) | instskip(NEXT) | instid1(VALU_DEP_4)
	v_add_f64 v[25:26], v[25:26], -v[17:18]
	v_add_f64 v[21:22], v[21:22], v[23:24]
	s_delay_alu instid0(VALU_DEP_1) | instskip(NEXT) | instid1(VALU_DEP_1)
	v_add_f64 v[23:24], v[25:26], v[21:22]
	v_add_f64 v[25:26], v[23:24], -v[25:26]
	s_delay_alu instid0(VALU_DEP_1) | instskip(SKIP_1) | instid1(VALU_DEP_1)
	v_add_f64 v[21:22], v[21:22], -v[25:26]
	v_mul_f64 v[25:26], v[23:24], s[2:3]
	v_fma_f64 v[27:28], v[23:24], s[2:3], -v[25:26]
	s_delay_alu instid0(VALU_DEP_1) | instskip(NEXT) | instid1(VALU_DEP_1)
	v_fma_f64 v[23:24], v[23:24], s[16:17], v[27:28]
	v_fma_f64 v[23:24], v[21:22], s[2:3], v[23:24]
	s_delay_alu instid0(VALU_DEP_1) | instskip(NEXT) | instid1(VALU_DEP_1)
	v_add_f64 v[21:22], v[25:26], v[23:24]
	v_add_f64 v[25:26], v[21:22], -v[25:26]
	s_delay_alu instid0(VALU_DEP_1)
	v_add_f64 v[23:24], v[23:24], -v[25:26]
	s_and_not1_saveexec_b32 s2, s14
	s_cbranch_execz .LBB156_58
	s_branch .LBB156_57
.LBB156_56:                             ;   in Loop: Header=BB156_7 Depth=1
	s_and_not1_saveexec_b32 s2, s14
	s_cbranch_execz .LBB156_58
.LBB156_57:                             ;   in Loop: Header=BB156_7 Depth=1
	v_mul_f64 v[21:22], |v[15:16]|, s[18:19]
	s_mov_b32 s14, s20
	s_delay_alu instid0(VALU_DEP_1) | instskip(NEXT) | instid1(VALU_DEP_1)
	v_rndne_f64_e32 v[25:26], v[21:22]
	v_fma_f64 v[21:22], v[25:26], s[10:11], |v[15:16]|
	v_mul_f64 v[23:24], v[25:26], s[20:21]
	s_delay_alu instid0(VALU_DEP_2) | instskip(NEXT) | instid1(VALU_DEP_2)
	v_fma_f64 v[29:30], v[25:26], s[20:21], v[21:22]
	v_add_f64 v[27:28], v[21:22], v[23:24]
	s_delay_alu instid0(VALU_DEP_1) | instskip(NEXT) | instid1(VALU_DEP_3)
	v_add_f64 v[21:22], v[21:22], -v[27:28]
	v_add_f64 v[27:28], v[27:28], -v[29:30]
	s_delay_alu instid0(VALU_DEP_2) | instskip(SKIP_1) | instid1(VALU_DEP_2)
	v_add_f64 v[21:22], v[21:22], v[23:24]
	v_fma_f64 v[23:24], v[25:26], s[14:15], v[23:24]
	v_add_f64 v[21:22], v[27:28], v[21:22]
	s_delay_alu instid0(VALU_DEP_1) | instskip(NEXT) | instid1(VALU_DEP_1)
	v_add_f64 v[21:22], v[21:22], -v[23:24]
	v_fma_f64 v[23:24], v[25:26], s[22:23], v[21:22]
	s_delay_alu instid0(VALU_DEP_1) | instskip(NEXT) | instid1(VALU_DEP_1)
	v_add_f64 v[21:22], v[29:30], v[23:24]
	v_add_f64 v[27:28], v[21:22], -v[29:30]
	v_cvt_i32_f64_e32 v29, v[25:26]
	s_delay_alu instid0(VALU_DEP_2)
	v_add_f64 v[23:24], v[23:24], -v[27:28]
.LBB156_58:                             ;   in Loop: Header=BB156_7 Depth=1
	s_or_b32 exec_lo, exec_lo, s2
                                        ; implicit-def: $vgpr18
                                        ; implicit-def: $vgpr25_vgpr26
                                        ; implicit-def: $vgpr27_vgpr28
	s_and_saveexec_b32 s2, s34
	s_delay_alu instid0(SALU_CYCLE_1)
	s_xor_b32 s14, exec_lo, s2
	s_cbranch_execz .LBB156_60
; %bb.59:                               ;   in Loop: Header=BB156_7 Depth=1
	v_ldexp_f64 v[25:26], |v[15:16]|, 0xffffff80
	v_cmp_le_f64_e64 vcc_lo, 0x7b000000, |v[15:16]|
	v_trig_preop_f64 v[27:28], |v[15:16]|, 0
	v_and_b32_e32 v18, 0x7fffffff, v16
	v_trig_preop_f64 v[32:33], |v[15:16]|, 1
	v_trig_preop_f64 v[38:39], |v[15:16]|, 2
	s_mov_b32 s2, s10
	s_mov_b32 s17, s15
	v_dual_cndmask_b32 v25, v15, v25 :: v_dual_cndmask_b32 v26, v18, v26
	s_delay_alu instid0(VALU_DEP_1) | instskip(NEXT) | instid1(VALU_DEP_4)
	v_mul_f64 v[30:31], v[27:28], v[25:26]
	v_mul_f64 v[34:35], v[32:33], v[25:26]
	s_delay_alu instid0(VALU_DEP_4) | instskip(NEXT) | instid1(VALU_DEP_3)
	v_mul_f64 v[40:41], v[38:39], v[25:26]
	v_fma_f64 v[27:28], v[27:28], v[25:26], -v[30:31]
	s_delay_alu instid0(VALU_DEP_3) | instskip(NEXT) | instid1(VALU_DEP_3)
	v_fma_f64 v[32:33], v[32:33], v[25:26], -v[34:35]
	v_fma_f64 v[25:26], v[38:39], v[25:26], -v[40:41]
	s_delay_alu instid0(VALU_DEP_3) | instskip(NEXT) | instid1(VALU_DEP_1)
	v_add_f64 v[38:39], v[34:35], v[27:28]
	v_add_f64 v[42:43], v[38:39], -v[34:35]
	s_delay_alu instid0(VALU_DEP_1) | instskip(SKIP_1) | instid1(VALU_DEP_1)
	v_add_f64 v[27:28], v[27:28], -v[42:43]
	v_add_f64 v[42:43], v[38:39], -v[42:43]
	;; [unrolled: 1-line block ×3, first 2 shown]
	v_add_f64 v[42:43], v[30:31], v[38:39]
	s_delay_alu instid0(VALU_DEP_2) | instskip(NEXT) | instid1(VALU_DEP_2)
	v_add_f64 v[27:28], v[27:28], v[34:35]
	v_add_f64 v[30:31], v[42:43], -v[30:31]
	v_add_f64 v[34:35], v[40:41], v[32:33]
	v_ldexp_f64 v[42:43], v[42:43], -2
	s_delay_alu instid0(VALU_DEP_3) | instskip(NEXT) | instid1(VALU_DEP_3)
	v_add_f64 v[30:31], v[38:39], -v[30:31]
	v_add_f64 v[38:39], v[34:35], -v[40:41]
	s_delay_alu instid0(VALU_DEP_3) | instskip(SKIP_1) | instid1(VALU_DEP_3)
	v_cmp_neq_f64_e64 vcc_lo, 0x7ff00000, |v[42:43]|
	v_fract_f64_e32 v[42:43], v[42:43]
	v_add_f64 v[32:33], v[32:33], -v[38:39]
	v_add_f64 v[38:39], v[34:35], -v[38:39]
	s_delay_alu instid0(VALU_DEP_3) | instskip(NEXT) | instid1(VALU_DEP_2)
	v_dual_cndmask_b32 v43, 0, v43 :: v_dual_cndmask_b32 v42, 0, v42
	v_add_f64 v[38:39], v[40:41], -v[38:39]
	v_add_f64 v[40:41], v[34:35], v[27:28]
	s_delay_alu instid0(VALU_DEP_2) | instskip(NEXT) | instid1(VALU_DEP_2)
	v_add_f64 v[32:33], v[32:33], v[38:39]
	v_add_f64 v[44:45], v[40:41], -v[34:35]
	v_add_f64 v[38:39], v[30:31], v[40:41]
	s_delay_alu instid0(VALU_DEP_2) | instskip(SKIP_1) | instid1(VALU_DEP_3)
	v_add_f64 v[27:28], v[27:28], -v[44:45]
	v_add_f64 v[44:45], v[40:41], -v[44:45]
	;; [unrolled: 1-line block ×3, first 2 shown]
	s_delay_alu instid0(VALU_DEP_2) | instskip(NEXT) | instid1(VALU_DEP_2)
	v_add_f64 v[34:35], v[34:35], -v[44:45]
	v_add_f64 v[30:31], v[40:41], -v[30:31]
	s_delay_alu instid0(VALU_DEP_2) | instskip(SKIP_1) | instid1(VALU_DEP_2)
	v_add_f64 v[27:28], v[27:28], v[34:35]
	v_ldexp_f64 v[34:35], v[42:43], 2
	v_add_f64 v[27:28], v[32:33], v[27:28]
	s_delay_alu instid0(VALU_DEP_2) | instskip(NEXT) | instid1(VALU_DEP_2)
	v_add_f64 v[42:43], v[38:39], v[34:35]
	v_add_f64 v[25:26], v[25:26], v[27:28]
	s_delay_alu instid0(VALU_DEP_2) | instskip(NEXT) | instid1(VALU_DEP_2)
	v_cmp_gt_f64_e32 vcc_lo, 0, v[42:43]
	v_add_f64 v[25:26], v[30:31], v[25:26]
	v_cndmask_b32_e64 v18, 0, 0x40100000, vcc_lo
	s_delay_alu instid0(VALU_DEP_1) | instskip(NEXT) | instid1(VALU_DEP_1)
	v_add_f64 v[27:28], v[34:35], v[17:18]
	v_add_f64 v[32:33], v[38:39], v[27:28]
	s_delay_alu instid0(VALU_DEP_1) | instskip(NEXT) | instid1(VALU_DEP_1)
	v_cvt_i32_f64_e32 v34, v[32:33]
	v_cvt_f64_i32_e32 v[32:33], v34
	s_delay_alu instid0(VALU_DEP_1) | instskip(NEXT) | instid1(VALU_DEP_1)
	v_add_f64 v[27:28], v[27:28], -v[32:33]
	v_add_f64 v[30:31], v[38:39], v[27:28]
	s_delay_alu instid0(VALU_DEP_1) | instskip(SKIP_1) | instid1(VALU_DEP_2)
	v_add_f64 v[27:28], v[30:31], -v[27:28]
	v_cmp_le_f64_e32 vcc_lo, 0.5, v[30:31]
	v_add_f64 v[27:28], v[38:39], -v[27:28]
	v_cndmask_b32_e64 v18, 0, 0x3ff00000, vcc_lo
	s_delay_alu instid0(VALU_DEP_1) | instskip(SKIP_1) | instid1(VALU_DEP_4)
	v_add_f64 v[30:31], v[30:31], -v[17:18]
	v_add_co_ci_u32_e32 v18, vcc_lo, 0, v34, vcc_lo
	v_add_f64 v[25:26], v[25:26], v[27:28]
	s_delay_alu instid0(VALU_DEP_1) | instskip(NEXT) | instid1(VALU_DEP_1)
	v_add_f64 v[27:28], v[30:31], v[25:26]
	v_add_f64 v[30:31], v[27:28], -v[30:31]
	s_delay_alu instid0(VALU_DEP_1) | instskip(SKIP_1) | instid1(VALU_DEP_1)
	v_add_f64 v[25:26], v[25:26], -v[30:31]
	v_mul_f64 v[30:31], v[27:28], s[2:3]
	v_fma_f64 v[32:33], v[27:28], s[2:3], -v[30:31]
	s_delay_alu instid0(VALU_DEP_1) | instskip(NEXT) | instid1(VALU_DEP_1)
	v_fma_f64 v[27:28], v[27:28], s[16:17], v[32:33]
	v_fma_f64 v[27:28], v[25:26], s[2:3], v[27:28]
	s_delay_alu instid0(VALU_DEP_1) | instskip(NEXT) | instid1(VALU_DEP_1)
	v_add_f64 v[25:26], v[30:31], v[27:28]
	v_add_f64 v[30:31], v[25:26], -v[30:31]
	s_delay_alu instid0(VALU_DEP_1)
	v_add_f64 v[27:28], v[27:28], -v[30:31]
	s_and_not1_saveexec_b32 s2, s14
	s_cbranch_execnz .LBB156_61
	s_branch .LBB156_62
.LBB156_60:                             ;   in Loop: Header=BB156_7 Depth=1
	s_and_not1_saveexec_b32 s2, s14
	s_cbranch_execz .LBB156_62
.LBB156_61:                             ;   in Loop: Header=BB156_7 Depth=1
	v_mul_f64 v[25:26], |v[15:16]|, s[18:19]
	s_mov_b32 s14, s20
	s_delay_alu instid0(VALU_DEP_1) | instskip(NEXT) | instid1(VALU_DEP_1)
	v_rndne_f64_e32 v[30:31], v[25:26]
	v_fma_f64 v[25:26], v[30:31], s[10:11], |v[15:16]|
	v_mul_f64 v[27:28], v[30:31], s[20:21]
	v_cvt_i32_f64_e32 v18, v[30:31]
	s_delay_alu instid0(VALU_DEP_3) | instskip(NEXT) | instid1(VALU_DEP_3)
	v_fma_f64 v[34:35], v[30:31], s[20:21], v[25:26]
	v_add_f64 v[32:33], v[25:26], v[27:28]
	s_delay_alu instid0(VALU_DEP_1) | instskip(NEXT) | instid1(VALU_DEP_3)
	v_add_f64 v[25:26], v[25:26], -v[32:33]
	v_add_f64 v[32:33], v[32:33], -v[34:35]
	s_delay_alu instid0(VALU_DEP_2) | instskip(SKIP_1) | instid1(VALU_DEP_2)
	v_add_f64 v[25:26], v[25:26], v[27:28]
	v_fma_f64 v[27:28], v[30:31], s[14:15], v[27:28]
	v_add_f64 v[25:26], v[32:33], v[25:26]
	s_delay_alu instid0(VALU_DEP_1) | instskip(NEXT) | instid1(VALU_DEP_1)
	v_add_f64 v[25:26], v[25:26], -v[27:28]
	v_fma_f64 v[27:28], v[30:31], s[22:23], v[25:26]
	s_delay_alu instid0(VALU_DEP_1) | instskip(NEXT) | instid1(VALU_DEP_1)
	v_add_f64 v[25:26], v[34:35], v[27:28]
	v_add_f64 v[32:33], v[25:26], -v[34:35]
	s_delay_alu instid0(VALU_DEP_1)
	v_add_f64 v[27:28], v[27:28], -v[32:33]
.LBB156_62:                             ;   in Loop: Header=BB156_7 Depth=1
	s_or_b32 exec_lo, exec_lo, s2
	v_mul_f64 v[30:31], v[21:22], v[21:22]
	s_delay_alu instid0(VALU_DEP_2) | instskip(NEXT) | instid1(VALU_DEP_3)
	v_mul_f64 v[40:41], v[23:24], 0.5
	v_mul_f64 v[46:47], v[27:28], 0.5
	s_mov_b32 s34, s36
	s_mov_b32 s81, s31
	;; [unrolled: 1-line block ×4, first 2 shown]
	s_delay_alu instid0(VALU_DEP_3) | instskip(SKIP_1) | instid1(VALU_DEP_2)
	v_mul_f64 v[32:33], v[30:31], 0.5
	v_mul_f64 v[42:43], v[21:22], -v[30:31]
	v_add_f64 v[34:35], -v[32:33], 1.0
	s_delay_alu instid0(VALU_DEP_1) | instskip(NEXT) | instid1(VALU_DEP_1)
	v_add_f64 v[38:39], -v[34:35], 1.0
	v_add_f64 v[32:33], v[38:39], -v[32:33]
	v_fma_f64 v[38:39], v[30:31], s[102:103], s[100:101]
	s_delay_alu instid0(VALU_DEP_2) | instskip(NEXT) | instid1(VALU_DEP_2)
	v_fma_f64 v[32:33], v[21:22], -v[23:24], v[32:33]
	v_fma_f64 v[38:39], v[30:31], v[38:39], s[24:25]
	s_delay_alu instid0(VALU_DEP_1) | instskip(NEXT) | instid1(VALU_DEP_1)
	v_fma_f64 v[38:39], v[30:31], v[38:39], s[26:27]
	v_fma_f64 v[38:39], v[30:31], v[38:39], s[30:31]
	s_delay_alu instid0(VALU_DEP_1) | instskip(NEXT) | instid1(VALU_DEP_1)
	v_fma_f64 v[38:39], v[42:43], v[38:39], v[40:41]
	v_fma_f64 v[23:24], v[30:31], v[38:39], -v[23:24]
	v_fma_f64 v[38:39], v[30:31], s[92:93], s[90:91]
	s_delay_alu instid0(VALU_DEP_2) | instskip(NEXT) | instid1(VALU_DEP_2)
	v_fma_f64 v[23:24], v[42:43], s[34:35], v[23:24]
	v_fma_f64 v[38:39], v[30:31], v[38:39], s[94:95]
	s_delay_alu instid0(VALU_DEP_2) | instskip(NEXT) | instid1(VALU_DEP_2)
	v_add_f64 v[21:22], v[21:22], -v[23:24]
	v_fma_f64 v[38:39], v[30:31], v[38:39], s[96:97]
	s_delay_alu instid0(VALU_DEP_1) | instskip(NEXT) | instid1(VALU_DEP_1)
	v_fma_f64 v[38:39], v[30:31], v[38:39], s[98:99]
	v_fma_f64 v[38:39], v[30:31], v[38:39], s[36:37]
	v_mul_f64 v[30:31], v[30:31], v[30:31]
	s_delay_alu instid0(VALU_DEP_1) | instskip(SKIP_1) | instid1(VALU_DEP_2)
	v_fma_f64 v[30:31], v[30:31], v[38:39], v[32:33]
	v_mul_f64 v[32:33], v[25:26], v[25:26]
	v_add_f64 v[30:31], v[34:35], v[30:31]
	s_delay_alu instid0(VALU_DEP_2) | instskip(SKIP_2) | instid1(VALU_DEP_1)
	v_mul_f64 v[38:39], v[32:33], 0.5
	v_mul_f64 v[48:49], v[25:26], -v[32:33]
	v_and_b32_e32 v15, 1, v29
	v_cmp_eq_u32_e32 vcc_lo, 0, v15
	v_cndmask_b32_e32 v22, v31, v22, vcc_lo
	v_add_f64 v[40:41], -v[38:39], 1.0
	v_cndmask_b32_e32 v15, v30, v21, vcc_lo
	s_delay_alu instid0(VALU_DEP_2) | instskip(NEXT) | instid1(VALU_DEP_1)
	v_add_f64 v[44:45], -v[40:41], 1.0
	v_add_f64 v[38:39], v[44:45], -v[38:39]
	v_fma_f64 v[44:45], v[32:33], s[102:103], s[100:101]
	s_delay_alu instid0(VALU_DEP_2) | instskip(NEXT) | instid1(VALU_DEP_2)
	v_fma_f64 v[38:39], v[25:26], -v[27:28], v[38:39]
	v_fma_f64 v[44:45], v[32:33], v[44:45], s[24:25]
	s_delay_alu instid0(VALU_DEP_1) | instskip(NEXT) | instid1(VALU_DEP_1)
	v_fma_f64 v[44:45], v[32:33], v[44:45], s[26:27]
	v_fma_f64 v[44:45], v[32:33], v[44:45], s[30:31]
	s_delay_alu instid0(VALU_DEP_1) | instskip(NEXT) | instid1(VALU_DEP_1)
	v_fma_f64 v[44:45], v[48:49], v[44:45], v[46:47]
	v_fma_f64 v[27:28], v[32:33], v[44:45], -v[27:28]
	v_fma_f64 v[44:45], v[32:33], s[92:93], s[90:91]
	s_delay_alu instid0(VALU_DEP_2) | instskip(NEXT) | instid1(VALU_DEP_2)
	v_fma_f64 v[27:28], v[48:49], s[34:35], v[27:28]
	v_fma_f64 v[44:45], v[32:33], v[44:45], s[94:95]
	s_delay_alu instid0(VALU_DEP_2) | instskip(NEXT) | instid1(VALU_DEP_2)
	v_add_f64 v[23:24], v[25:26], -v[27:28]
	v_fma_f64 v[44:45], v[32:33], v[44:45], s[96:97]
	s_delay_alu instid0(VALU_DEP_1) | instskip(NEXT) | instid1(VALU_DEP_1)
	v_fma_f64 v[44:45], v[32:33], v[44:45], s[98:99]
	v_fma_f64 v[44:45], v[32:33], v[44:45], s[36:37]
	v_mul_f64 v[32:33], v[32:33], v[32:33]
	s_delay_alu instid0(VALU_DEP_1) | instskip(NEXT) | instid1(VALU_DEP_1)
	v_fma_f64 v[32:33], v[32:33], v[44:45], v[38:39]
	v_add_f64 v[25:26], v[40:41], v[32:33]
	v_lshlrev_b32_e32 v21, 30, v29
	s_delay_alu instid0(VALU_DEP_1) | instskip(SKIP_2) | instid1(VALU_DEP_3)
	v_xor_b32_e32 v16, v21, v16
	v_and_b32_e32 v21, 1, v18
	v_lshlrev_b32_e32 v18, 30, v18
	v_and_b32_e32 v16, 0x80000000, v16
	s_delay_alu instid0(VALU_DEP_3) | instskip(NEXT) | instid1(VALU_DEP_2)
	v_cmp_eq_u32_e32 vcc_lo, 0, v21
	v_xor_b32_e32 v16, v22, v16
	v_xor_b32_e32 v22, 0x80000000, v24
	s_delay_alu instid0(VALU_DEP_2) | instskip(SKIP_2) | instid1(VALU_DEP_4)
	v_mul_f64 v[15:16], v[15:16], 4.0
	v_cndmask_b32_e32 v21, v23, v25, vcc_lo
	v_mul_f64 v[23:24], |v[13:14]|, s[62:63]
	v_cndmask_b32_e32 v22, v22, v26, vcc_lo
	v_cmp_nlt_f64_e64 vcc_lo, 0x4090cc00, |v[13:14]|
	v_and_b32_e32 v18, 0x80000000, v18
	s_delay_alu instid0(VALU_DEP_1) | instskip(NEXT) | instid1(VALU_DEP_1)
	v_xor_b32_e32 v22, v22, v18
	v_mul_f64 v[15:16], v[15:16], v[21:22]
	v_rndne_f64_e32 v[23:24], v[23:24]
	s_delay_alu instid0(VALU_DEP_1) | instskip(SKIP_1) | instid1(VALU_DEP_2)
	v_fma_f64 v[25:26], v[23:24], s[28:29], -|v[13:14]|
	v_cvt_i32_f64_e32 v18, v[23:24]
	v_fma_f64 v[25:26], v[23:24], s[58:59], v[25:26]
	s_delay_alu instid0(VALU_DEP_1) | instskip(NEXT) | instid1(VALU_DEP_1)
	v_fma_f64 v[27:28], v[25:26], s[70:71], s[68:69]
	v_fma_f64 v[27:28], v[25:26], v[27:28], s[72:73]
	s_delay_alu instid0(VALU_DEP_1) | instskip(NEXT) | instid1(VALU_DEP_1)
	v_fma_f64 v[27:28], v[25:26], v[27:28], s[74:75]
	;; [unrolled: 3-line block ×5, first 2 shown]
	v_fma_f64 v[27:28], v[25:26], v[27:28], 1.0
	s_delay_alu instid0(VALU_DEP_1) | instskip(NEXT) | instid1(VALU_DEP_1)
	v_fma_f64 v[25:26], v[25:26], v[27:28], 1.0
	v_ldexp_f64 v[23:24], v[25:26], v18
	v_bfi_b32 v18, 0x7fffffff, s2, v14
	s_delay_alu instid0(VALU_DEP_1) | instskip(NEXT) | instid1(VALU_DEP_3)
	v_dual_mov_b32 v13, v17 :: v_dual_mov_b32 v14, v18
	v_dual_cndmask_b32 v22, 0, v24 :: v_dual_cndmask_b32 v21, 0, v23
	s_delay_alu instid0(VALU_DEP_1) | instskip(NEXT) | instid1(VALU_DEP_1)
	v_mul_f64 v[15:16], v[21:22], v[15:16]
	v_mul_f64 v[15:16], v[21:22], v[15:16]
.LBB156_63:                             ;   in Loop: Header=BB156_7 Depth=1
	s_or_b32 exec_lo, exec_lo, s55
.LBB156_64:                             ;   in Loop: Header=BB156_7 Depth=1
	s_and_not1_saveexec_b32 s2, s43
; %bb.65:                               ;   in Loop: Header=BB156_7 Depth=1
	s_delay_alu instid0(VALU_DEP_1) | instskip(NEXT) | instid1(VALU_DEP_1)
	v_add_f64 v[15:16], v[15:16], -v[15:16]
	v_dual_mov_b32 v13, v15 :: v_dual_mov_b32 v14, v16
; %bb.66:                               ;   in Loop: Header=BB156_7 Depth=1
	s_or_b32 exec_lo, exec_lo, s2
.LBB156_67:                             ;   in Loop: Header=BB156_7 Depth=1
	s_and_not1_saveexec_b32 s42, s42
	s_cbranch_execz .LBB156_83
; %bb.68:                               ;   in Loop: Header=BB156_7 Depth=1
	s_delay_alu instid0(VALU_DEP_1) | instskip(SKIP_1) | instid1(VALU_DEP_1)
	v_and_or_b32 v18, 0xfffff, v14, v13
	s_mov_b32 s2, exec_lo
	v_cmpx_ne_u32_e32 0, v18
	s_xor_b32 s2, exec_lo, s2
; %bb.69:                               ;   in Loop: Header=BB156_7 Depth=1
	v_mul_f64 v[21:22], v[13:14], v[15:16]
	v_cmp_eq_f64_e32 vcc_lo, 0, v[15:16]
	s_delay_alu instid0(VALU_DEP_2)
	v_dual_cndmask_b32 v16, v22, v16 :: v_dual_cndmask_b32 v15, v21, v15
; %bb.70:                               ;   in Loop: Header=BB156_7 Depth=1
	s_and_not1_saveexec_b32 s43, s2
	s_cbranch_execz .LBB156_82
; %bb.71:                               ;   in Loop: Header=BB156_7 Depth=1
	s_mov_b32 s55, exec_lo
	s_delay_alu instid0(VALU_DEP_1)
	v_cmpx_neq_f64_e64 0x7ff00000, |v[15:16]|
	s_cbranch_execz .LBB156_81
; %bb.72:                               ;   in Loop: Header=BB156_7 Depth=1
	v_cmp_ngt_f64_e64 s34, 0x41d00000, |v[15:16]|
	v_trig_preop_f64 v[29:30], |v[15:16]|, 0
	v_trig_preop_f64 v[27:28], |v[15:16]|, 1
	v_ldexp_f64 v[31:32], |v[15:16]|, 0xffffff80
	v_trig_preop_f64 v[25:26], |v[15:16]|, 2
	v_and_b32_e32 v39, 0x7fffffff, v16
                                        ; implicit-def: $vgpr38
                                        ; implicit-def: $vgpr21_vgpr22
                                        ; implicit-def: $vgpr23_vgpr24
	s_and_saveexec_b32 s2, s34
	s_delay_alu instid0(SALU_CYCLE_1)
	s_xor_b32 s14, exec_lo, s2
	s_cbranch_execz .LBB156_74
; %bb.73:                               ;   in Loop: Header=BB156_7 Depth=1
	v_cmp_le_f64_e64 vcc_lo, 0x7b000000, |v[15:16]|
	s_mov_b32 s2, s10
	s_mov_b32 s17, s15
	s_delay_alu instid0(VALU_DEP_4) | instskip(SKIP_1) | instid1(VALU_DEP_1)
	v_cndmask_b32_e32 v22, v39, v32, vcc_lo
	v_cndmask_b32_e32 v21, v15, v31, vcc_lo
	v_mul_f64 v[23:24], v[29:30], v[21:22]
	v_mul_f64 v[33:34], v[27:28], v[21:22]
	s_delay_alu instid0(VALU_DEP_2) | instskip(NEXT) | instid1(VALU_DEP_1)
	v_fma_f64 v[35:36], v[29:30], v[21:22], -v[23:24]
	v_add_f64 v[40:41], v[33:34], v[35:36]
	s_delay_alu instid0(VALU_DEP_1) | instskip(SKIP_1) | instid1(VALU_DEP_2)
	v_add_f64 v[42:43], v[40:41], -v[33:34]
	v_add_f64 v[44:45], v[23:24], v[40:41]
	v_add_f64 v[35:36], v[35:36], -v[42:43]
	s_delay_alu instid0(VALU_DEP_2) | instskip(SKIP_1) | instid1(VALU_DEP_2)
	v_add_f64 v[23:24], v[44:45], -v[23:24]
	v_add_f64 v[42:43], v[40:41], -v[42:43]
	;; [unrolled: 1-line block ×3, first 2 shown]
	s_delay_alu instid0(VALU_DEP_2) | instskip(NEXT) | instid1(VALU_DEP_1)
	v_add_f64 v[40:41], v[33:34], -v[42:43]
	v_add_f64 v[35:36], v[35:36], v[40:41]
	v_ldexp_f64 v[40:41], v[44:45], -2
	s_delay_alu instid0(VALU_DEP_1) | instskip(SKIP_1) | instid1(VALU_DEP_1)
	v_cmp_neq_f64_e64 vcc_lo, 0x7ff00000, |v[40:41]|
	v_fract_f64_e32 v[40:41], v[40:41]
	v_dual_cndmask_b32 v40, 0, v40 :: v_dual_cndmask_b32 v41, 0, v41
	v_fma_f64 v[33:34], v[27:28], v[21:22], -v[33:34]
	v_mul_f64 v[42:43], v[25:26], v[21:22]
	s_delay_alu instid0(VALU_DEP_3) | instskip(NEXT) | instid1(VALU_DEP_2)
	v_ldexp_f64 v[40:41], v[40:41], 2
	v_add_f64 v[44:45], v[42:43], v[33:34]
	v_fma_f64 v[21:22], v[25:26], v[21:22], -v[42:43]
	s_delay_alu instid0(VALU_DEP_2) | instskip(SKIP_1) | instid1(VALU_DEP_2)
	v_add_f64 v[48:49], v[44:45], v[35:36]
	v_add_f64 v[46:47], v[44:45], -v[42:43]
	v_add_f64 v[50:51], v[48:49], -v[44:45]
	s_delay_alu instid0(VALU_DEP_2) | instskip(SKIP_1) | instid1(VALU_DEP_3)
	v_add_f64 v[33:34], v[33:34], -v[46:47]
	v_add_f64 v[46:47], v[44:45], -v[46:47]
	;; [unrolled: 1-line block ×4, first 2 shown]
	s_delay_alu instid0(VALU_DEP_3) | instskip(SKIP_1) | instid1(VALU_DEP_3)
	v_add_f64 v[46:47], v[42:43], -v[46:47]
	v_add_f64 v[42:43], v[23:24], v[48:49]
	v_add_f64 v[44:45], v[44:45], -v[50:51]
	s_delay_alu instid0(VALU_DEP_3) | instskip(NEXT) | instid1(VALU_DEP_3)
	v_add_f64 v[33:34], v[33:34], v[46:47]
	v_add_f64 v[23:24], v[42:43], -v[23:24]
	s_delay_alu instid0(VALU_DEP_3) | instskip(SKIP_1) | instid1(VALU_DEP_3)
	v_add_f64 v[35:36], v[35:36], v[44:45]
	v_add_f64 v[44:45], v[42:43], v[40:41]
	v_add_f64 v[23:24], v[48:49], -v[23:24]
	s_delay_alu instid0(VALU_DEP_3) | instskip(NEXT) | instid1(VALU_DEP_3)
	v_add_f64 v[33:34], v[33:34], v[35:36]
	v_cmp_gt_f64_e32 vcc_lo, 0, v[44:45]
	s_delay_alu instid0(VALU_DEP_2) | instskip(SKIP_1) | instid1(VALU_DEP_1)
	v_add_f64 v[21:22], v[21:22], v[33:34]
	v_cndmask_b32_e64 v18, 0, 0x40100000, vcc_lo
	v_add_f64 v[33:34], v[40:41], v[17:18]
	s_delay_alu instid0(VALU_DEP_3) | instskip(NEXT) | instid1(VALU_DEP_2)
	v_add_f64 v[21:22], v[23:24], v[21:22]
	v_add_f64 v[35:36], v[42:43], v[33:34]
	s_delay_alu instid0(VALU_DEP_1) | instskip(NEXT) | instid1(VALU_DEP_1)
	v_cvt_i32_f64_e32 v38, v[35:36]
	v_cvt_f64_i32_e32 v[35:36], v38
	s_delay_alu instid0(VALU_DEP_1) | instskip(NEXT) | instid1(VALU_DEP_1)
	v_add_f64 v[33:34], v[33:34], -v[35:36]
	v_add_f64 v[23:24], v[42:43], v[33:34]
	s_delay_alu instid0(VALU_DEP_1) | instskip(SKIP_1) | instid1(VALU_DEP_2)
	v_add_f64 v[33:34], v[23:24], -v[33:34]
	v_cmp_le_f64_e32 vcc_lo, 0.5, v[23:24]
	v_add_f64 v[33:34], v[42:43], -v[33:34]
	v_cndmask_b32_e64 v18, 0, 0x3ff00000, vcc_lo
	v_add_co_ci_u32_e32 v38, vcc_lo, 0, v38, vcc_lo
	s_delay_alu instid0(VALU_DEP_2) | instskip(NEXT) | instid1(VALU_DEP_4)
	v_add_f64 v[23:24], v[23:24], -v[17:18]
	v_add_f64 v[21:22], v[21:22], v[33:34]
	s_delay_alu instid0(VALU_DEP_1) | instskip(NEXT) | instid1(VALU_DEP_1)
	v_add_f64 v[33:34], v[23:24], v[21:22]
	v_add_f64 v[23:24], v[33:34], -v[23:24]
	s_delay_alu instid0(VALU_DEP_1) | instskip(SKIP_1) | instid1(VALU_DEP_1)
	v_add_f64 v[21:22], v[21:22], -v[23:24]
	v_mul_f64 v[23:24], v[33:34], s[2:3]
	v_fma_f64 v[35:36], v[33:34], s[2:3], -v[23:24]
	s_delay_alu instid0(VALU_DEP_1) | instskip(NEXT) | instid1(VALU_DEP_1)
	v_fma_f64 v[33:34], v[33:34], s[16:17], v[35:36]
	v_fma_f64 v[33:34], v[21:22], s[2:3], v[33:34]
	s_delay_alu instid0(VALU_DEP_1) | instskip(NEXT) | instid1(VALU_DEP_1)
	v_add_f64 v[21:22], v[23:24], v[33:34]
	v_add_f64 v[23:24], v[21:22], -v[23:24]
	s_delay_alu instid0(VALU_DEP_1)
	v_add_f64 v[23:24], v[33:34], -v[23:24]
	s_and_not1_saveexec_b32 s2, s14
	s_cbranch_execz .LBB156_76
	s_branch .LBB156_75
.LBB156_74:                             ;   in Loop: Header=BB156_7 Depth=1
	s_and_not1_saveexec_b32 s2, s14
	s_cbranch_execz .LBB156_76
.LBB156_75:                             ;   in Loop: Header=BB156_7 Depth=1
	v_mul_f64 v[21:22], |v[15:16]|, s[18:19]
	s_mov_b32 s14, s20
	s_delay_alu instid0(VALU_DEP_1) | instskip(NEXT) | instid1(VALU_DEP_1)
	v_rndne_f64_e32 v[33:34], v[21:22]
	v_fma_f64 v[21:22], v[33:34], s[10:11], |v[15:16]|
	v_mul_f64 v[23:24], v[33:34], s[20:21]
	v_cvt_i32_f64_e32 v38, v[33:34]
	s_delay_alu instid0(VALU_DEP_3) | instskip(NEXT) | instid1(VALU_DEP_3)
	v_fma_f64 v[40:41], v[33:34], s[20:21], v[21:22]
	v_add_f64 v[35:36], v[21:22], v[23:24]
	s_delay_alu instid0(VALU_DEP_1) | instskip(NEXT) | instid1(VALU_DEP_3)
	v_add_f64 v[21:22], v[21:22], -v[35:36]
	v_add_f64 v[35:36], v[35:36], -v[40:41]
	s_delay_alu instid0(VALU_DEP_2) | instskip(SKIP_1) | instid1(VALU_DEP_2)
	v_add_f64 v[21:22], v[21:22], v[23:24]
	v_fma_f64 v[23:24], v[33:34], s[14:15], v[23:24]
	v_add_f64 v[21:22], v[35:36], v[21:22]
	s_delay_alu instid0(VALU_DEP_1) | instskip(NEXT) | instid1(VALU_DEP_1)
	v_add_f64 v[21:22], v[21:22], -v[23:24]
	v_fma_f64 v[23:24], v[33:34], s[22:23], v[21:22]
	s_delay_alu instid0(VALU_DEP_1) | instskip(NEXT) | instid1(VALU_DEP_1)
	v_add_f64 v[21:22], v[40:41], v[23:24]
	v_add_f64 v[35:36], v[21:22], -v[40:41]
	s_delay_alu instid0(VALU_DEP_1)
	v_add_f64 v[23:24], v[23:24], -v[35:36]
.LBB156_76:                             ;   in Loop: Header=BB156_7 Depth=1
	s_or_b32 exec_lo, exec_lo, s2
                                        ; implicit-def: $vgpr18
                                        ; implicit-def: $vgpr33_vgpr34
                                        ; implicit-def: $vgpr35_vgpr36
	s_and_saveexec_b32 s2, s34
	s_delay_alu instid0(SALU_CYCLE_1)
	s_xor_b32 s14, exec_lo, s2
	s_cbranch_execz .LBB156_78
; %bb.77:                               ;   in Loop: Header=BB156_7 Depth=1
	v_cmp_le_f64_e64 vcc_lo, 0x7b000000, |v[15:16]|
	s_mov_b32 s2, s10
	s_mov_b32 s17, s15
	s_delay_alu instid0(VALU_DEP_4) | instskip(SKIP_1) | instid1(VALU_DEP_1)
	v_cndmask_b32_e32 v32, v39, v32, vcc_lo
	v_cndmask_b32_e32 v31, v15, v31, vcc_lo
	v_mul_f64 v[33:34], v[29:30], v[31:32]
	v_mul_f64 v[35:36], v[27:28], v[31:32]
	;; [unrolled: 1-line block ×3, first 2 shown]
	s_delay_alu instid0(VALU_DEP_3) | instskip(NEXT) | instid1(VALU_DEP_3)
	v_fma_f64 v[29:30], v[29:30], v[31:32], -v[33:34]
	v_fma_f64 v[27:28], v[27:28], v[31:32], -v[35:36]
	s_delay_alu instid0(VALU_DEP_3) | instskip(NEXT) | instid1(VALU_DEP_3)
	v_fma_f64 v[25:26], v[25:26], v[31:32], -v[39:40]
	v_add_f64 v[31:32], v[35:36], v[29:30]
	s_delay_alu instid0(VALU_DEP_1) | instskip(NEXT) | instid1(VALU_DEP_1)
	v_add_f64 v[41:42], v[31:32], -v[35:36]
	v_add_f64 v[29:30], v[29:30], -v[41:42]
	;; [unrolled: 1-line block ×3, first 2 shown]
	s_delay_alu instid0(VALU_DEP_1) | instskip(SKIP_1) | instid1(VALU_DEP_2)
	v_add_f64 v[35:36], v[35:36], -v[41:42]
	v_add_f64 v[41:42], v[33:34], v[31:32]
	v_add_f64 v[29:30], v[29:30], v[35:36]
	s_delay_alu instid0(VALU_DEP_2) | instskip(SKIP_1) | instid1(VALU_DEP_2)
	v_add_f64 v[33:34], v[41:42], -v[33:34]
	v_ldexp_f64 v[41:42], v[41:42], -2
	v_add_f64 v[31:32], v[31:32], -v[33:34]
	v_add_f64 v[33:34], v[39:40], v[27:28]
	s_delay_alu instid0(VALU_DEP_3) | instskip(SKIP_1) | instid1(VALU_DEP_3)
	v_cmp_neq_f64_e64 vcc_lo, 0x7ff00000, |v[41:42]|
	v_fract_f64_e32 v[41:42], v[41:42]
	v_add_f64 v[35:36], v[33:34], -v[39:40]
	s_delay_alu instid0(VALU_DEP_2) | instskip(NEXT) | instid1(VALU_DEP_2)
	v_dual_cndmask_b32 v42, 0, v42 :: v_dual_cndmask_b32 v41, 0, v41
	v_add_f64 v[27:28], v[27:28], -v[35:36]
	v_add_f64 v[35:36], v[33:34], -v[35:36]
	s_delay_alu instid0(VALU_DEP_1) | instskip(SKIP_1) | instid1(VALU_DEP_2)
	v_add_f64 v[35:36], v[39:40], -v[35:36]
	v_add_f64 v[39:40], v[33:34], v[29:30]
	v_add_f64 v[27:28], v[27:28], v[35:36]
	s_delay_alu instid0(VALU_DEP_2) | instskip(SKIP_1) | instid1(VALU_DEP_2)
	v_add_f64 v[43:44], v[39:40], -v[33:34]
	v_add_f64 v[35:36], v[31:32], v[39:40]
	v_add_f64 v[29:30], v[29:30], -v[43:44]
	v_add_f64 v[43:44], v[39:40], -v[43:44]
	s_delay_alu instid0(VALU_DEP_1) | instskip(NEXT) | instid1(VALU_DEP_1)
	v_add_f64 v[33:34], v[33:34], -v[43:44]
	v_add_f64 v[29:30], v[29:30], v[33:34]
	v_ldexp_f64 v[33:34], v[41:42], 2
	s_delay_alu instid0(VALU_DEP_2) | instskip(NEXT) | instid1(VALU_DEP_2)
	v_add_f64 v[27:28], v[27:28], v[29:30]
	v_add_f64 v[41:42], v[35:36], v[33:34]
	v_add_f64 v[29:30], v[35:36], -v[31:32]
	s_delay_alu instid0(VALU_DEP_3) | instskip(NEXT) | instid1(VALU_DEP_3)
	v_add_f64 v[25:26], v[25:26], v[27:28]
	v_cmp_gt_f64_e32 vcc_lo, 0, v[41:42]
	s_delay_alu instid0(VALU_DEP_3) | instskip(SKIP_1) | instid1(VALU_DEP_2)
	v_add_f64 v[29:30], v[39:40], -v[29:30]
	v_cndmask_b32_e64 v18, 0, 0x40100000, vcc_lo
	v_add_f64 v[25:26], v[29:30], v[25:26]
	s_delay_alu instid0(VALU_DEP_2) | instskip(NEXT) | instid1(VALU_DEP_1)
	v_add_f64 v[27:28], v[33:34], v[17:18]
	v_add_f64 v[31:32], v[35:36], v[27:28]
	s_delay_alu instid0(VALU_DEP_1) | instskip(NEXT) | instid1(VALU_DEP_1)
	v_cvt_i32_f64_e32 v39, v[31:32]
	v_cvt_f64_i32_e32 v[31:32], v39
	s_delay_alu instid0(VALU_DEP_1) | instskip(NEXT) | instid1(VALU_DEP_1)
	v_add_f64 v[27:28], v[27:28], -v[31:32]
	v_add_f64 v[29:30], v[35:36], v[27:28]
	s_delay_alu instid0(VALU_DEP_1) | instskip(SKIP_1) | instid1(VALU_DEP_2)
	v_add_f64 v[27:28], v[29:30], -v[27:28]
	v_cmp_le_f64_e32 vcc_lo, 0.5, v[29:30]
	v_add_f64 v[27:28], v[35:36], -v[27:28]
	v_cndmask_b32_e64 v18, 0, 0x3ff00000, vcc_lo
	s_delay_alu instid0(VALU_DEP_1) | instskip(SKIP_1) | instid1(VALU_DEP_4)
	v_add_f64 v[29:30], v[29:30], -v[17:18]
	v_add_co_ci_u32_e32 v18, vcc_lo, 0, v39, vcc_lo
	v_add_f64 v[25:26], v[25:26], v[27:28]
	s_delay_alu instid0(VALU_DEP_1) | instskip(NEXT) | instid1(VALU_DEP_1)
	v_add_f64 v[27:28], v[29:30], v[25:26]
	v_add_f64 v[29:30], v[27:28], -v[29:30]
	s_delay_alu instid0(VALU_DEP_1) | instskip(SKIP_1) | instid1(VALU_DEP_1)
	v_add_f64 v[25:26], v[25:26], -v[29:30]
	v_mul_f64 v[29:30], v[27:28], s[2:3]
	v_fma_f64 v[31:32], v[27:28], s[2:3], -v[29:30]
	s_delay_alu instid0(VALU_DEP_1) | instskip(NEXT) | instid1(VALU_DEP_1)
	v_fma_f64 v[27:28], v[27:28], s[16:17], v[31:32]
	v_fma_f64 v[25:26], v[25:26], s[2:3], v[27:28]
	s_delay_alu instid0(VALU_DEP_1) | instskip(NEXT) | instid1(VALU_DEP_1)
	v_add_f64 v[33:34], v[29:30], v[25:26]
	v_add_f64 v[27:28], v[33:34], -v[29:30]
	s_delay_alu instid0(VALU_DEP_1)
	v_add_f64 v[35:36], v[25:26], -v[27:28]
	s_and_not1_saveexec_b32 s2, s14
	s_cbranch_execnz .LBB156_79
	s_branch .LBB156_80
.LBB156_78:                             ;   in Loop: Header=BB156_7 Depth=1
	s_and_not1_saveexec_b32 s2, s14
	s_cbranch_execz .LBB156_80
.LBB156_79:                             ;   in Loop: Header=BB156_7 Depth=1
	v_mul_f64 v[25:26], |v[15:16]|, s[18:19]
	s_mov_b32 s14, s20
	s_delay_alu instid0(VALU_DEP_1) | instskip(NEXT) | instid1(VALU_DEP_1)
	v_rndne_f64_e32 v[25:26], v[25:26]
	v_fma_f64 v[27:28], v[25:26], s[10:11], |v[15:16]|
	v_mul_f64 v[29:30], v[25:26], s[20:21]
	v_cvt_i32_f64_e32 v18, v[25:26]
	s_delay_alu instid0(VALU_DEP_3) | instskip(NEXT) | instid1(VALU_DEP_3)
	v_fma_f64 v[35:36], v[25:26], s[20:21], v[27:28]
	v_add_f64 v[31:32], v[27:28], v[29:30]
	s_delay_alu instid0(VALU_DEP_1) | instskip(NEXT) | instid1(VALU_DEP_3)
	v_add_f64 v[27:28], v[27:28], -v[31:32]
	v_add_f64 v[31:32], v[31:32], -v[35:36]
	s_delay_alu instid0(VALU_DEP_2) | instskip(SKIP_1) | instid1(VALU_DEP_2)
	v_add_f64 v[27:28], v[27:28], v[29:30]
	v_fma_f64 v[29:30], v[25:26], s[14:15], v[29:30]
	v_add_f64 v[27:28], v[31:32], v[27:28]
	s_delay_alu instid0(VALU_DEP_1) | instskip(NEXT) | instid1(VALU_DEP_1)
	v_add_f64 v[27:28], v[27:28], -v[29:30]
	v_fma_f64 v[27:28], v[25:26], s[22:23], v[27:28]
	s_delay_alu instid0(VALU_DEP_1) | instskip(NEXT) | instid1(VALU_DEP_1)
	v_add_f64 v[33:34], v[35:36], v[27:28]
	v_add_f64 v[29:30], v[33:34], -v[35:36]
	s_delay_alu instid0(VALU_DEP_1)
	v_add_f64 v[35:36], v[27:28], -v[29:30]
.LBB156_80:                             ;   in Loop: Header=BB156_7 Depth=1
	s_or_b32 exec_lo, exec_lo, s2
	v_mul_f64 v[25:26], v[21:22], v[21:22]
	s_delay_alu instid0(VALU_DEP_2) | instskip(NEXT) | instid1(VALU_DEP_3)
	v_mul_f64 v[39:40], v[23:24], 0.5
	v_mul_f64 v[45:46], v[35:36], 0.5
	s_mov_b32 s34, s36
	s_delay_alu instid0(VALU_DEP_3) | instskip(SKIP_1) | instid1(VALU_DEP_2)
	v_mul_f64 v[27:28], v[25:26], 0.5
	v_mul_f64 v[41:42], v[21:22], -v[25:26]
	v_add_f64 v[29:30], -v[27:28], 1.0
	s_delay_alu instid0(VALU_DEP_1) | instskip(NEXT) | instid1(VALU_DEP_1)
	v_add_f64 v[31:32], -v[29:30], 1.0
	v_add_f64 v[27:28], v[31:32], -v[27:28]
	v_fma_f64 v[31:32], v[25:26], s[102:103], s[100:101]
	s_delay_alu instid0(VALU_DEP_2) | instskip(NEXT) | instid1(VALU_DEP_2)
	v_fma_f64 v[27:28], v[21:22], -v[23:24], v[27:28]
	v_fma_f64 v[31:32], v[25:26], v[31:32], s[24:25]
	s_delay_alu instid0(VALU_DEP_1) | instskip(NEXT) | instid1(VALU_DEP_1)
	v_fma_f64 v[31:32], v[25:26], v[31:32], s[26:27]
	v_fma_f64 v[31:32], v[25:26], v[31:32], s[30:31]
	s_delay_alu instid0(VALU_DEP_1) | instskip(NEXT) | instid1(VALU_DEP_1)
	v_fma_f64 v[31:32], v[41:42], v[31:32], v[39:40]
	v_fma_f64 v[23:24], v[25:26], v[31:32], -v[23:24]
	v_fma_f64 v[31:32], v[25:26], s[92:93], s[90:91]
	s_delay_alu instid0(VALU_DEP_2) | instskip(NEXT) | instid1(VALU_DEP_2)
	v_fma_f64 v[23:24], v[41:42], s[34:35], v[23:24]
	v_fma_f64 v[31:32], v[25:26], v[31:32], s[94:95]
	s_delay_alu instid0(VALU_DEP_2) | instskip(NEXT) | instid1(VALU_DEP_2)
	v_add_f64 v[21:22], v[21:22], -v[23:24]
	v_fma_f64 v[31:32], v[25:26], v[31:32], s[96:97]
	v_and_b32_e32 v23, 1, v38
	s_delay_alu instid0(VALU_DEP_1) | instskip(NEXT) | instid1(VALU_DEP_3)
	v_cmp_eq_u32_e32 vcc_lo, 0, v23
	v_fma_f64 v[31:32], v[25:26], v[31:32], s[98:99]
	s_delay_alu instid0(VALU_DEP_1) | instskip(SKIP_1) | instid1(VALU_DEP_1)
	v_fma_f64 v[31:32], v[25:26], v[31:32], s[36:37]
	v_mul_f64 v[25:26], v[25:26], v[25:26]
	v_fma_f64 v[25:26], v[25:26], v[31:32], v[27:28]
	v_mul_f64 v[27:28], v[33:34], v[33:34]
	s_delay_alu instid0(VALU_DEP_2) | instskip(NEXT) | instid1(VALU_DEP_2)
	v_add_f64 v[25:26], v[29:30], v[25:26]
	v_mul_f64 v[31:32], v[27:28], 0.5
	v_mul_f64 v[47:48], v[33:34], -v[27:28]
	s_delay_alu instid0(VALU_DEP_3) | instskip(NEXT) | instid1(VALU_DEP_3)
	v_dual_cndmask_b32 v25, v25, v21 :: v_dual_cndmask_b32 v26, v26, v22
	v_add_f64 v[39:40], -v[31:32], 1.0
	v_cmp_class_f64_e64 vcc_lo, v[15:16], 0x1f8
	v_lshlrev_b32_e32 v15, 30, v38
	s_delay_alu instid0(VALU_DEP_1) | instskip(NEXT) | instid1(VALU_DEP_1)
	v_xor_b32_e32 v15, v15, v16
	v_and_b32_e32 v15, 0x80000000, v15
	v_add_f64 v[43:44], -v[39:40], 1.0
	s_delay_alu instid0(VALU_DEP_1) | instskip(SKIP_1) | instid1(VALU_DEP_2)
	v_add_f64 v[31:32], v[43:44], -v[31:32]
	v_fma_f64 v[43:44], v[27:28], s[102:103], s[100:101]
	v_fma_f64 v[31:32], v[33:34], -v[35:36], v[31:32]
	s_delay_alu instid0(VALU_DEP_2) | instskip(NEXT) | instid1(VALU_DEP_1)
	v_fma_f64 v[43:44], v[27:28], v[43:44], s[24:25]
	v_fma_f64 v[43:44], v[27:28], v[43:44], s[26:27]
	s_delay_alu instid0(VALU_DEP_1) | instskip(NEXT) | instid1(VALU_DEP_1)
	v_fma_f64 v[43:44], v[27:28], v[43:44], s[30:31]
	v_fma_f64 v[43:44], v[47:48], v[43:44], v[45:46]
	s_delay_alu instid0(VALU_DEP_1) | instskip(SKIP_1) | instid1(VALU_DEP_2)
	v_fma_f64 v[35:36], v[27:28], v[43:44], -v[35:36]
	v_fma_f64 v[43:44], v[27:28], s[92:93], s[90:91]
	v_fma_f64 v[21:22], v[47:48], s[34:35], v[35:36]
	s_delay_alu instid0(VALU_DEP_2) | instskip(NEXT) | instid1(VALU_DEP_2)
	v_fma_f64 v[43:44], v[27:28], v[43:44], s[94:95]
	v_add_f64 v[21:22], v[33:34], -v[21:22]
	s_delay_alu instid0(VALU_DEP_2) | instskip(NEXT) | instid1(VALU_DEP_2)
	v_fma_f64 v[43:44], v[27:28], v[43:44], s[96:97]
	v_xor_b32_e32 v16, 0x80000000, v22
	s_delay_alu instid0(VALU_DEP_2) | instskip(SKIP_2) | instid1(VALU_DEP_3)
	v_fma_f64 v[43:44], v[27:28], v[43:44], s[98:99]
	v_xor_b32_e32 v22, v26, v15
	v_cndmask_b32_e32 v15, 0, v25, vcc_lo
	v_fma_f64 v[43:44], v[27:28], v[43:44], s[36:37]
	v_mul_f64 v[27:28], v[27:28], v[27:28]
	s_delay_alu instid0(VALU_DEP_1) | instskip(NEXT) | instid1(VALU_DEP_1)
	v_fma_f64 v[27:28], v[27:28], v[43:44], v[31:32]
	v_add_f64 v[23:24], v[39:40], v[27:28]
	v_and_b32_e32 v27, 1, v18
	v_lshlrev_b32_e32 v18, 30, v18
	s_delay_alu instid0(VALU_DEP_2) | instskip(NEXT) | instid1(VALU_DEP_1)
	v_cmp_eq_u32_e64 s2, 0, v27
	v_cndmask_b32_e64 v16, v16, v24, s2
	v_cndmask_b32_e64 v21, v21, v23, s2
	s_delay_alu instid0(VALU_DEP_1) | instskip(NEXT) | instid1(VALU_DEP_1)
	v_dual_cndmask_b32 v21, 0, v21 :: v_dual_and_b32 v18, 0x80000000, v18
	v_xor_b32_e32 v18, v16, v18
	v_cndmask_b32_e32 v16, 0x7ff80000, v22, vcc_lo
	s_delay_alu instid0(VALU_DEP_2) | instskip(NEXT) | instid1(VALU_DEP_1)
	v_cndmask_b32_e32 v22, 0x7ff80000, v18, vcc_lo
	v_mul_f64 v[15:16], v[15:16], v[21:22]
.LBB156_81:                             ;   in Loop: Header=BB156_7 Depth=1
	s_or_b32 exec_lo, exec_lo, s55
	s_delay_alu instid0(VALU_DEP_1) | instskip(SKIP_2) | instid1(VALU_DEP_3)
	v_bfi_b32 v18, 0x7fffffff, 0, v16
	v_add_co_u32 v13, vcc_lo, v13, 0
	v_add_co_ci_u32_e32 v14, vcc_lo, -2.0, v14, vcc_lo
	v_dual_mov_b32 v15, v17 :: v_dual_mov_b32 v16, v18
.LBB156_82:                             ;   in Loop: Header=BB156_7 Depth=1
	s_or_b32 exec_lo, exec_lo, s43
.LBB156_83:                             ;   in Loop: Header=BB156_7 Depth=1
	s_delay_alu instid0(SALU_CYCLE_1) | instskip(SKIP_3) | instid1(VALU_DEP_1)
	s_or_b32 exec_lo, exec_lo, s42
	s_waitcnt vmcnt(0)
	v_and_b32_e32 v18, 0x7fffffff, v10
	s_mov_b32 s2, exec_lo
	v_cmpx_gt_u32_e32 0x7ff00000, v18
	s_xor_b32 s42, exec_lo, s2
	s_cbranch_execz .LBB156_105
; %bb.84:                               ;   in Loop: Header=BB156_7 Depth=1
	v_cmp_class_f64_e64 s2, v[11:12], 0x1f8
	s_delay_alu instid0(VALU_DEP_1) | instskip(NEXT) | instid1(SALU_CYCLE_1)
	s_and_saveexec_b32 s14, s2
	s_xor_b32 s43, exec_lo, s14
	s_cbranch_execz .LBB156_102
; %bb.85:                               ;   in Loop: Header=BB156_7 Depth=1
	s_mov_b32 s2, exec_lo
	v_cmpx_gt_u32_e32 0x40360000, v18
	s_xor_b32 s34, exec_lo, s2
	s_cbranch_execz .LBB156_91
; %bb.86:                               ;   in Loop: Header=BB156_7 Depth=1
	s_mov_b32 s14, exec_lo
                                        ; implicit-def: $vgpr18
                                        ; implicit-def: $vgpr21_vgpr22
                                        ; implicit-def: $vgpr23_vgpr24
	v_cmpx_ngt_f64_e64 0x41d00000, |v[11:12]|
	s_xor_b32 s14, exec_lo, s14
	s_cbranch_execz .LBB156_88
; %bb.87:                               ;   in Loop: Header=BB156_7 Depth=1
	v_ldexp_f64 v[21:22], |v[11:12]|, 0xffffff80
	v_cmp_le_f64_e64 vcc_lo, 0x7b000000, |v[11:12]|
	v_trig_preop_f64 v[23:24], |v[11:12]|, 0
	v_and_b32_e32 v18, 0x7fffffff, v12
	v_trig_preop_f64 v[27:28], |v[11:12]|, 1
	v_trig_preop_f64 v[31:32], |v[11:12]|, 2
	s_mov_b32 s2, s10
	s_mov_b32 s17, s15
	v_dual_cndmask_b32 v21, v11, v21 :: v_dual_cndmask_b32 v22, v18, v22
	s_delay_alu instid0(VALU_DEP_1) | instskip(NEXT) | instid1(VALU_DEP_4)
	v_mul_f64 v[25:26], v[23:24], v[21:22]
	v_mul_f64 v[29:30], v[27:28], v[21:22]
	s_delay_alu instid0(VALU_DEP_4) | instskip(NEXT) | instid1(VALU_DEP_3)
	v_mul_f64 v[33:34], v[31:32], v[21:22]
	v_fma_f64 v[23:24], v[23:24], v[21:22], -v[25:26]
	s_delay_alu instid0(VALU_DEP_3) | instskip(NEXT) | instid1(VALU_DEP_3)
	v_fma_f64 v[27:28], v[27:28], v[21:22], -v[29:30]
	v_fma_f64 v[21:22], v[31:32], v[21:22], -v[33:34]
	s_delay_alu instid0(VALU_DEP_3) | instskip(NEXT) | instid1(VALU_DEP_1)
	v_add_f64 v[31:32], v[29:30], v[23:24]
	v_add_f64 v[35:36], v[31:32], -v[29:30]
	s_delay_alu instid0(VALU_DEP_1) | instskip(SKIP_1) | instid1(VALU_DEP_1)
	v_add_f64 v[23:24], v[23:24], -v[35:36]
	v_add_f64 v[35:36], v[31:32], -v[35:36]
	;; [unrolled: 1-line block ×3, first 2 shown]
	v_add_f64 v[35:36], v[25:26], v[31:32]
	s_delay_alu instid0(VALU_DEP_2) | instskip(NEXT) | instid1(VALU_DEP_2)
	v_add_f64 v[23:24], v[23:24], v[29:30]
	v_add_f64 v[25:26], v[35:36], -v[25:26]
	v_add_f64 v[29:30], v[33:34], v[27:28]
	v_ldexp_f64 v[35:36], v[35:36], -2
	s_delay_alu instid0(VALU_DEP_3) | instskip(NEXT) | instid1(VALU_DEP_3)
	v_add_f64 v[25:26], v[31:32], -v[25:26]
	v_add_f64 v[31:32], v[29:30], -v[33:34]
	s_delay_alu instid0(VALU_DEP_3) | instskip(SKIP_1) | instid1(VALU_DEP_3)
	v_cmp_neq_f64_e64 vcc_lo, 0x7ff00000, |v[35:36]|
	v_fract_f64_e32 v[35:36], v[35:36]
	v_add_f64 v[27:28], v[27:28], -v[31:32]
	v_add_f64 v[31:32], v[29:30], -v[31:32]
	s_delay_alu instid0(VALU_DEP_3) | instskip(NEXT) | instid1(VALU_DEP_2)
	v_dual_cndmask_b32 v35, 0, v35 :: v_dual_cndmask_b32 v36, 0, v36
	v_add_f64 v[31:32], v[33:34], -v[31:32]
	v_add_f64 v[33:34], v[29:30], v[23:24]
	s_delay_alu instid0(VALU_DEP_2) | instskip(NEXT) | instid1(VALU_DEP_2)
	v_add_f64 v[27:28], v[27:28], v[31:32]
	v_add_f64 v[38:39], v[33:34], -v[29:30]
	v_add_f64 v[31:32], v[25:26], v[33:34]
	s_delay_alu instid0(VALU_DEP_2) | instskip(SKIP_1) | instid1(VALU_DEP_3)
	v_add_f64 v[23:24], v[23:24], -v[38:39]
	v_add_f64 v[38:39], v[33:34], -v[38:39]
	;; [unrolled: 1-line block ×3, first 2 shown]
	s_delay_alu instid0(VALU_DEP_2) | instskip(NEXT) | instid1(VALU_DEP_2)
	v_add_f64 v[29:30], v[29:30], -v[38:39]
	v_add_f64 v[25:26], v[33:34], -v[25:26]
	s_delay_alu instid0(VALU_DEP_2) | instskip(SKIP_1) | instid1(VALU_DEP_2)
	v_add_f64 v[23:24], v[23:24], v[29:30]
	v_ldexp_f64 v[29:30], v[35:36], 2
	v_add_f64 v[23:24], v[27:28], v[23:24]
	s_delay_alu instid0(VALU_DEP_2) | instskip(NEXT) | instid1(VALU_DEP_2)
	v_add_f64 v[35:36], v[31:32], v[29:30]
	v_add_f64 v[21:22], v[21:22], v[23:24]
	s_delay_alu instid0(VALU_DEP_2) | instskip(NEXT) | instid1(VALU_DEP_2)
	v_cmp_gt_f64_e32 vcc_lo, 0, v[35:36]
	v_add_f64 v[21:22], v[25:26], v[21:22]
	v_cndmask_b32_e64 v18, 0, 0x40100000, vcc_lo
	s_delay_alu instid0(VALU_DEP_1) | instskip(NEXT) | instid1(VALU_DEP_1)
	v_add_f64 v[23:24], v[29:30], v[17:18]
	v_add_f64 v[27:28], v[31:32], v[23:24]
	s_delay_alu instid0(VALU_DEP_1) | instskip(NEXT) | instid1(VALU_DEP_1)
	v_cvt_i32_f64_e32 v29, v[27:28]
	v_cvt_f64_i32_e32 v[27:28], v29
	s_delay_alu instid0(VALU_DEP_1) | instskip(NEXT) | instid1(VALU_DEP_1)
	v_add_f64 v[23:24], v[23:24], -v[27:28]
	v_add_f64 v[25:26], v[31:32], v[23:24]
	s_delay_alu instid0(VALU_DEP_1) | instskip(SKIP_1) | instid1(VALU_DEP_2)
	v_add_f64 v[23:24], v[25:26], -v[23:24]
	v_cmp_le_f64_e32 vcc_lo, 0.5, v[25:26]
	v_add_f64 v[23:24], v[31:32], -v[23:24]
	v_cndmask_b32_e64 v18, 0, 0x3ff00000, vcc_lo
	s_delay_alu instid0(VALU_DEP_1) | instskip(SKIP_1) | instid1(VALU_DEP_4)
	v_add_f64 v[25:26], v[25:26], -v[17:18]
	v_add_co_ci_u32_e32 v18, vcc_lo, 0, v29, vcc_lo
	v_add_f64 v[21:22], v[21:22], v[23:24]
	s_delay_alu instid0(VALU_DEP_1) | instskip(NEXT) | instid1(VALU_DEP_1)
	v_add_f64 v[23:24], v[25:26], v[21:22]
	v_add_f64 v[25:26], v[23:24], -v[25:26]
	s_delay_alu instid0(VALU_DEP_1) | instskip(SKIP_1) | instid1(VALU_DEP_1)
	v_add_f64 v[21:22], v[21:22], -v[25:26]
	v_mul_f64 v[25:26], v[23:24], s[2:3]
	v_fma_f64 v[27:28], v[23:24], s[2:3], -v[25:26]
	s_delay_alu instid0(VALU_DEP_1) | instskip(NEXT) | instid1(VALU_DEP_1)
	v_fma_f64 v[23:24], v[23:24], s[16:17], v[27:28]
	v_fma_f64 v[23:24], v[21:22], s[2:3], v[23:24]
	s_delay_alu instid0(VALU_DEP_1) | instskip(NEXT) | instid1(VALU_DEP_1)
	v_add_f64 v[21:22], v[25:26], v[23:24]
	v_add_f64 v[25:26], v[21:22], -v[25:26]
	s_delay_alu instid0(VALU_DEP_1)
	v_add_f64 v[23:24], v[23:24], -v[25:26]
.LBB156_88:                             ;   in Loop: Header=BB156_7 Depth=1
	s_and_not1_saveexec_b32 s2, s14
	s_cbranch_execz .LBB156_90
; %bb.89:                               ;   in Loop: Header=BB156_7 Depth=1
	v_mul_f64 v[21:22], |v[11:12]|, s[18:19]
	s_mov_b32 s14, s20
	s_delay_alu instid0(VALU_DEP_1) | instskip(NEXT) | instid1(VALU_DEP_1)
	v_rndne_f64_e32 v[25:26], v[21:22]
	v_fma_f64 v[21:22], v[25:26], s[10:11], |v[11:12]|
	v_mul_f64 v[23:24], v[25:26], s[20:21]
	v_cvt_i32_f64_e32 v18, v[25:26]
	s_delay_alu instid0(VALU_DEP_3) | instskip(NEXT) | instid1(VALU_DEP_3)
	v_fma_f64 v[29:30], v[25:26], s[20:21], v[21:22]
	v_add_f64 v[27:28], v[21:22], v[23:24]
	s_delay_alu instid0(VALU_DEP_1) | instskip(NEXT) | instid1(VALU_DEP_3)
	v_add_f64 v[21:22], v[21:22], -v[27:28]
	v_add_f64 v[27:28], v[27:28], -v[29:30]
	s_delay_alu instid0(VALU_DEP_2) | instskip(SKIP_1) | instid1(VALU_DEP_2)
	v_add_f64 v[21:22], v[21:22], v[23:24]
	v_fma_f64 v[23:24], v[25:26], s[14:15], v[23:24]
	v_add_f64 v[21:22], v[27:28], v[21:22]
	s_delay_alu instid0(VALU_DEP_1) | instskip(NEXT) | instid1(VALU_DEP_1)
	v_add_f64 v[21:22], v[21:22], -v[23:24]
	v_fma_f64 v[23:24], v[25:26], s[22:23], v[21:22]
	s_delay_alu instid0(VALU_DEP_1) | instskip(NEXT) | instid1(VALU_DEP_1)
	v_add_f64 v[21:22], v[29:30], v[23:24]
	v_add_f64 v[27:28], v[21:22], -v[29:30]
	s_delay_alu instid0(VALU_DEP_1)
	v_add_f64 v[23:24], v[23:24], -v[27:28]
.LBB156_90:                             ;   in Loop: Header=BB156_7 Depth=1
	s_or_b32 exec_lo, exec_lo, s2
	v_add_f64 v[25:26], |v[9:10]|, s[28:29]
	s_mov_b32 s56, s28
	s_mov_b32 s60, s62
	;; [unrolled: 1-line block ×5, first 2 shown]
	v_cmp_nge_f64_e64 vcc_lo, |v[9:10]|, s[88:89]
	v_cmp_gt_f64_e64 s2, 0x3e400000, |v[9:10]|
	s_mov_b32 s44, 0xa9a29f71
	s_mov_b32 s46, 0xc751c08c
	;; [unrolled: 1-line block ×4, first 2 shown]
	v_and_b32_e32 v18, 1, v18
	s_delay_alu instid0(VALU_DEP_4) | instskip(NEXT) | instid1(VALU_DEP_1)
	v_add_f64 v[27:28], v[25:26], -|v[9:10]|
	v_add_f64 v[29:30], v[27:28], -v[25:26]
	v_add_f64 v[27:28], v[27:28], s[56:57]
	s_delay_alu instid0(VALU_DEP_2) | instskip(NEXT) | instid1(VALU_DEP_1)
	v_add_f64 v[29:30], |v[9:10]|, v[29:30]
	v_add_f64 v[27:28], v[29:30], -v[27:28]
	s_delay_alu instid0(VALU_DEP_1) | instskip(NEXT) | instid1(VALU_DEP_1)
	v_add_f64 v[27:28], v[27:28], s[58:59]
	v_add_f64 v[29:30], v[25:26], v[27:28]
	s_delay_alu instid0(VALU_DEP_1) | instskip(NEXT) | instid1(VALU_DEP_1)
	v_add_f64 v[25:26], v[25:26], -v[29:30]
	v_add_f64 v[25:26], v[27:28], v[25:26]
	v_mul_f64 v[27:28], v[29:30], s[60:61]
	s_delay_alu instid0(VALU_DEP_1) | instskip(NEXT) | instid1(VALU_DEP_1)
	v_rndne_f64_e32 v[27:28], v[27:28]
	v_fma_f64 v[29:30], v[27:28], s[54:55], v[29:30]
	v_cvt_i32_f64_e32 v11, v[27:28]
	s_delay_alu instid0(VALU_DEP_2) | instskip(NEXT) | instid1(VALU_DEP_1)
	v_add_f64 v[31:32], v[25:26], v[29:30]
	v_add_f64 v[29:30], v[29:30], -v[31:32]
	s_delay_alu instid0(VALU_DEP_1) | instskip(SKIP_1) | instid1(VALU_DEP_1)
	v_add_f64 v[25:26], v[25:26], v[29:30]
	v_mul_f64 v[29:30], v[27:28], s[64:65]
	v_add_f64 v[33:34], v[31:32], v[29:30]
	s_delay_alu instid0(VALU_DEP_1) | instskip(NEXT) | instid1(VALU_DEP_1)
	v_add_f64 v[31:32], v[31:32], -v[33:34]
	v_add_f64 v[29:30], v[31:32], v[29:30]
	s_delay_alu instid0(VALU_DEP_1) | instskip(NEXT) | instid1(VALU_DEP_1)
	v_add_f64 v[25:26], v[25:26], v[29:30]
	v_add_f64 v[29:30], v[33:34], v[25:26]
	s_delay_alu instid0(VALU_DEP_1) | instskip(NEXT) | instid1(VALU_DEP_1)
	v_add_f64 v[31:32], v[33:34], -v[29:30]
	v_add_f64 v[25:26], v[25:26], v[31:32]
	v_mul_f64 v[31:32], v[27:28], s[66:67]
	s_delay_alu instid0(VALU_DEP_1) | instskip(NEXT) | instid1(VALU_DEP_1)
	v_add_f64 v[33:34], v[29:30], v[31:32]
	v_add_f64 v[29:30], v[29:30], -v[33:34]
	s_delay_alu instid0(VALU_DEP_1) | instskip(NEXT) | instid1(VALU_DEP_1)
	v_add_f64 v[29:30], v[29:30], v[31:32]
	v_add_f64 v[25:26], v[25:26], v[29:30]
	s_delay_alu instid0(VALU_DEP_1) | instskip(NEXT) | instid1(VALU_DEP_1)
	v_add_f64 v[29:30], v[33:34], v[25:26]
	v_add_f64 v[31:32], v[33:34], -v[29:30]
	s_delay_alu instid0(VALU_DEP_1) | instskip(SKIP_1) | instid1(VALU_DEP_2)
	v_add_f64 v[25:26], v[25:26], v[31:32]
	v_mul_f64 v[31:32], v[29:30], v[29:30]
	v_add_f64 v[35:36], v[25:26], v[25:26]
	s_delay_alu instid0(VALU_DEP_2) | instskip(NEXT) | instid1(VALU_DEP_1)
	v_fma_f64 v[33:34], v[29:30], v[29:30], -v[31:32]
	v_fma_f64 v[33:34], v[29:30], v[35:36], v[33:34]
	s_delay_alu instid0(VALU_DEP_1) | instskip(NEXT) | instid1(VALU_DEP_1)
	v_add_f64 v[35:36], v[31:32], v[33:34]
	v_add_f64 v[31:32], v[35:36], -v[31:32]
	s_delay_alu instid0(VALU_DEP_1) | instskip(SKIP_1) | instid1(VALU_DEP_1)
	v_add_f64 v[31:32], v[33:34], -v[31:32]
	v_fma_f64 v[33:34], v[29:30], s[70:71], s[68:69]
	v_fma_f64 v[33:34], v[29:30], v[33:34], s[72:73]
	s_delay_alu instid0(VALU_DEP_1) | instskip(NEXT) | instid1(VALU_DEP_1)
	v_fma_f64 v[33:34], v[29:30], v[33:34], s[74:75]
	v_fma_f64 v[33:34], v[29:30], v[33:34], s[76:77]
	s_delay_alu instid0(VALU_DEP_1) | instskip(NEXT) | instid1(VALU_DEP_1)
	;; [unrolled: 3-line block ×4, first 2 shown]
	v_fma_f64 v[33:34], v[29:30], v[33:34], s[86:87]
	v_mul_f64 v[38:39], v[35:36], v[33:34]
	s_delay_alu instid0(VALU_DEP_1) | instskip(NEXT) | instid1(VALU_DEP_1)
	v_fma_f64 v[35:36], v[35:36], v[33:34], -v[38:39]
	v_fma_f64 v[31:32], v[31:32], v[33:34], v[35:36]
	s_delay_alu instid0(VALU_DEP_1) | instskip(NEXT) | instid1(VALU_DEP_1)
	v_add_f64 v[33:34], v[38:39], v[31:32]
	v_add_f64 v[35:36], v[33:34], -v[38:39]
	s_delay_alu instid0(VALU_DEP_1) | instskip(SKIP_1) | instid1(VALU_DEP_2)
	v_add_f64 v[31:32], v[31:32], -v[35:36]
	v_add_f64 v[35:36], v[29:30], v[33:34]
	v_add_f64 v[25:26], v[25:26], v[31:32]
	s_delay_alu instid0(VALU_DEP_2) | instskip(NEXT) | instid1(VALU_DEP_1)
	v_add_f64 v[29:30], v[35:36], -v[29:30]
	v_add_f64 v[29:30], v[33:34], -v[29:30]
	s_delay_alu instid0(VALU_DEP_1) | instskip(NEXT) | instid1(VALU_DEP_1)
	v_add_f64 v[25:26], v[25:26], v[29:30]
	v_add_f64 v[29:30], v[35:36], v[25:26]
	s_delay_alu instid0(VALU_DEP_1) | instskip(NEXT) | instid1(VALU_DEP_1)
	v_add_f64 v[31:32], v[29:30], -v[35:36]
	v_add_f64 v[25:26], v[25:26], -v[31:32]
	v_add_f64 v[31:32], v[29:30], 1.0
	s_delay_alu instid0(VALU_DEP_1) | instskip(NEXT) | instid1(VALU_DEP_1)
	v_add_f64 v[33:34], v[31:32], -1.0
	v_add_f64 v[29:30], v[29:30], -v[33:34]
	s_delay_alu instid0(VALU_DEP_1) | instskip(NEXT) | instid1(VALU_DEP_1)
	v_add_f64 v[25:26], v[25:26], v[29:30]
	v_add_f64 v[27:28], v[31:32], v[25:26]
	s_delay_alu instid0(VALU_DEP_1) | instskip(SKIP_1) | instid1(VALU_DEP_2)
	v_add_f64 v[29:30], v[27:28], -v[31:32]
	v_ldexp_f64 v[27:28], v[27:28], v11
	v_add_f64 v[25:26], v[25:26], -v[29:30]
	s_delay_alu instid0(VALU_DEP_2) | instskip(NEXT) | instid1(VALU_DEP_1)
	v_rcp_f64_e32 v[31:32], v[27:28]
	v_ldexp_f64 v[25:26], v[25:26], v11
	v_and_b32_e32 v11, 0x7fffffff, v10
	s_waitcnt_depctr 0xfff
	v_fma_f64 v[33:34], -v[27:28], v[31:32], 1.0
	s_delay_alu instid0(VALU_DEP_1) | instskip(NEXT) | instid1(VALU_DEP_1)
	v_fma_f64 v[31:32], v[33:34], v[31:32], v[31:32]
	v_fma_f64 v[29:30], -v[27:28], v[31:32], 1.0
	s_delay_alu instid0(VALU_DEP_1) | instskip(NEXT) | instid1(VALU_DEP_1)
	v_fma_f64 v[29:30], v[29:30], v[31:32], v[31:32]
	v_mul_f64 v[31:32], v[27:28], v[29:30]
	s_delay_alu instid0(VALU_DEP_1) | instskip(NEXT) | instid1(VALU_DEP_1)
	v_fma_f64 v[33:34], v[29:30], v[27:28], -v[31:32]
	v_fma_f64 v[33:34], v[29:30], v[25:26], v[33:34]
	s_delay_alu instid0(VALU_DEP_1) | instskip(NEXT) | instid1(VALU_DEP_1)
	v_add_f64 v[35:36], v[31:32], v[33:34]
	v_add_f64 v[31:32], v[35:36], -v[31:32]
	s_delay_alu instid0(VALU_DEP_1) | instskip(SKIP_1) | instid1(VALU_DEP_1)
	v_add_f64 v[31:32], v[31:32], -v[33:34]
	v_add_f64 v[33:34], -v[35:36], 1.0
	v_add_f64 v[38:39], -v[33:34], 1.0
	s_delay_alu instid0(VALU_DEP_1) | instskip(NEXT) | instid1(VALU_DEP_1)
	v_add_f64 v[35:36], v[38:39], -v[35:36]
	v_add_f64 v[31:32], v[31:32], v[35:36]
	s_delay_alu instid0(VALU_DEP_1) | instskip(NEXT) | instid1(VALU_DEP_1)
	v_add_f64 v[35:36], v[33:34], v[31:32]
	v_add_f64 v[33:34], v[33:34], -v[35:36]
	s_delay_alu instid0(VALU_DEP_1) | instskip(SKIP_1) | instid1(VALU_DEP_1)
	v_add_f64 v[31:32], v[31:32], v[33:34]
	v_mul_f64 v[33:34], v[29:30], v[35:36]
	v_mul_f64 v[38:39], v[27:28], v[33:34]
	s_delay_alu instid0(VALU_DEP_1) | instskip(NEXT) | instid1(VALU_DEP_1)
	v_fma_f64 v[40:41], v[33:34], v[27:28], -v[38:39]
	v_fma_f64 v[40:41], v[33:34], v[25:26], v[40:41]
	s_delay_alu instid0(VALU_DEP_1) | instskip(NEXT) | instid1(VALU_DEP_1)
	v_add_f64 v[42:43], v[38:39], v[40:41]
	v_add_f64 v[44:45], v[35:36], -v[42:43]
	v_add_f64 v[38:39], v[42:43], -v[38:39]
	s_delay_alu instid0(VALU_DEP_2) | instskip(NEXT) | instid1(VALU_DEP_2)
	v_add_f64 v[35:36], v[35:36], -v[44:45]
	v_add_f64 v[38:39], v[38:39], -v[40:41]
	s_delay_alu instid0(VALU_DEP_2) | instskip(NEXT) | instid1(VALU_DEP_1)
	v_add_f64 v[35:36], v[35:36], -v[42:43]
	v_add_f64 v[31:32], v[31:32], v[35:36]
	v_add_f64 v[35:36], v[29:30], v[33:34]
	s_delay_alu instid0(VALU_DEP_2) | instskip(NEXT) | instid1(VALU_DEP_2)
	v_add_f64 v[31:32], v[38:39], v[31:32]
	v_add_f64 v[38:39], v[35:36], -v[29:30]
	s_delay_alu instid0(VALU_DEP_2) | instskip(NEXT) | instid1(VALU_DEP_2)
	v_add_f64 v[31:32], v[44:45], v[31:32]
	v_add_f64 v[33:34], v[33:34], -v[38:39]
	s_delay_alu instid0(VALU_DEP_2) | instskip(NEXT) | instid1(VALU_DEP_1)
	v_mul_f64 v[29:30], v[29:30], v[31:32]
	v_add_f64 v[29:30], v[33:34], v[29:30]
	s_delay_alu instid0(VALU_DEP_1) | instskip(NEXT) | instid1(VALU_DEP_1)
	v_add_f64 v[31:32], v[35:36], v[29:30]
	v_add_f64 v[33:34], v[31:32], -v[35:36]
	v_ldexp_f64 v[31:32], v[31:32], -2
	s_delay_alu instid0(VALU_DEP_2) | instskip(NEXT) | instid1(VALU_DEP_2)
	v_add_f64 v[29:30], v[29:30], -v[33:34]
	v_add_f64 v[35:36], v[27:28], -v[31:32]
	s_delay_alu instid0(VALU_DEP_1) | instskip(NEXT) | instid1(VALU_DEP_1)
	v_add_f64 v[27:28], v[27:28], -v[35:36]
	v_add_f64 v[27:28], v[27:28], -v[31:32]
	s_delay_alu instid0(VALU_DEP_1) | instskip(SKIP_1) | instid1(VALU_DEP_1)
	v_add_f64 v[25:26], v[25:26], v[27:28]
	v_ldexp_f64 v[27:28], v[29:30], -2
	v_add_f64 v[25:26], v[25:26], -v[27:28]
	s_delay_alu instid0(VALU_DEP_1) | instskip(NEXT) | instid1(VALU_DEP_1)
	v_add_f64 v[25:26], v[35:36], v[25:26]
	v_cndmask_b32_e32 v26, 0x7ff00000, v26, vcc_lo
	s_delay_alu instid0(VALU_DEP_2) | instskip(NEXT) | instid1(VALU_DEP_2)
	v_cndmask_b32_e32 v25, 0, v25, vcc_lo
	v_cndmask_b32_e64 v11, v26, v11, s2
	s_delay_alu instid0(VALU_DEP_2) | instskip(SKIP_1) | instid1(VALU_DEP_3)
	v_cndmask_b32_e64 v9, v25, v9, s2
	v_cmp_eq_u32_e64 s2, 0, v18
	v_bfi_b32 v10, 0x7fffffff, v11, v10
	s_delay_alu instid0(VALU_DEP_1) | instskip(NEXT) | instid1(VALU_DEP_1)
	v_fma_f64 v[25:26], v[9:10], v[9:10], 1.0
	v_cmp_gt_f64_e32 vcc_lo, 0x10000000, v[25:26]
	v_cndmask_b32_e64 v11, 0, 1, vcc_lo
	v_cndmask_b32_e64 v18, 0, 0xffffff80, vcc_lo
	s_delay_alu instid0(VALU_DEP_2) | instskip(NEXT) | instid1(VALU_DEP_1)
	v_lshlrev_b32_e32 v11, 8, v11
	v_ldexp_f64 v[25:26], v[25:26], v11
	s_delay_alu instid0(VALU_DEP_1)
	v_rsq_f64_e32 v[27:28], v[25:26]
	v_cmp_class_f64_e64 vcc_lo, v[25:26], 0x260
	v_and_b32_e32 v35, 0x80000000, v12
	v_mul_f64 v[11:12], v[21:22], v[21:22]
	s_waitcnt_depctr 0xfff
	v_mul_f64 v[29:30], v[25:26], v[27:28]
	v_mul_f64 v[27:28], v[27:28], 0.5
	s_delay_alu instid0(VALU_DEP_1) | instskip(NEXT) | instid1(VALU_DEP_1)
	v_fma_f64 v[31:32], -v[27:28], v[29:30], 0.5
	v_fma_f64 v[29:30], v[29:30], v[31:32], v[29:30]
	v_fma_f64 v[27:28], v[27:28], v[31:32], v[27:28]
	s_delay_alu instid0(VALU_DEP_2) | instskip(NEXT) | instid1(VALU_DEP_1)
	v_fma_f64 v[31:32], -v[29:30], v[29:30], v[25:26]
	v_fma_f64 v[29:30], v[31:32], v[27:28], v[29:30]
	s_delay_alu instid0(VALU_DEP_1) | instskip(NEXT) | instid1(VALU_DEP_1)
	v_fma_f64 v[31:32], -v[29:30], v[29:30], v[25:26]
	v_fma_f64 v[27:28], v[31:32], v[27:28], v[29:30]
	v_add_f64 v[29:30], v[23:24], v[23:24]
	v_fma_f64 v[31:32], v[21:22], v[21:22], -v[11:12]
	s_delay_alu instid0(VALU_DEP_1) | instskip(NEXT) | instid1(VALU_DEP_1)
	v_fma_f64 v[29:30], v[21:22], v[29:30], v[31:32]
	v_add_f64 v[11:12], v[11:12], v[29:30]
	s_delay_alu instid0(VALU_DEP_1)
	v_fma_f64 v[29:30], v[11:12], s[46:47], s[44:45]
	s_mov_b32 s44, 0x90a8aae0
	s_mov_b32 s45, 0x3f17746f
	s_delay_alu instid0(VALU_DEP_1) | instid1(SALU_CYCLE_1)
	v_fma_f64 v[29:30], v[11:12], v[29:30], s[44:45]
	s_mov_b32 s44, 0xa6fbf144
	s_mov_b32 s45, 0xbefbb44d
	s_delay_alu instid0(VALU_DEP_1) | instid1(SALU_CYCLE_1)
	;; [unrolled: 4-line block ×9, first 2 shown]
	v_fma_f64 v[29:30], v[11:12], v[29:30], s[44:45]
	s_delay_alu instid0(VALU_DEP_1) | instskip(NEXT) | instid1(VALU_DEP_1)
	v_fma_f64 v[29:30], v[11:12], v[29:30], s[48:49]
	v_fma_f64 v[29:30], v[11:12], v[29:30], s[50:51]
	s_delay_alu instid0(VALU_DEP_1) | instskip(NEXT) | instid1(VALU_DEP_1)
	v_fma_f64 v[29:30], v[11:12], v[29:30], s[52:53]
	v_mul_f64 v[11:12], v[11:12], v[29:30]
	s_delay_alu instid0(VALU_DEP_1) | instskip(NEXT) | instid1(VALU_DEP_1)
	v_mul_f64 v[29:30], v[21:22], v[11:12]
	v_fma_f64 v[11:12], v[21:22], v[11:12], -v[29:30]
	s_delay_alu instid0(VALU_DEP_1) | instskip(SKIP_1) | instid1(VALU_DEP_1)
	v_add_f64 v[11:12], v[23:24], v[11:12]
	v_add_f64 v[23:24], v[21:22], v[29:30]
	v_add_f64 v[21:22], v[23:24], -v[21:22]
	s_delay_alu instid0(VALU_DEP_1) | instskip(NEXT) | instid1(VALU_DEP_1)
	v_add_f64 v[21:22], v[29:30], -v[21:22]
	v_add_f64 v[11:12], v[11:12], v[21:22]
	s_delay_alu instid0(VALU_DEP_1) | instskip(NEXT) | instid1(VALU_DEP_1)
	v_add_f64 v[21:22], v[23:24], v[11:12]
	v_rcp_f64_e32 v[29:30], v[21:22]
	v_add_f64 v[23:24], v[21:22], -v[23:24]
	s_delay_alu instid0(VALU_DEP_1) | instskip(SKIP_2) | instid1(VALU_DEP_1)
	v_add_f64 v[11:12], v[11:12], -v[23:24]
	s_waitcnt_depctr 0xfff
	v_fma_f64 v[31:32], -v[21:22], v[29:30], 1.0
	v_fma_f64 v[29:30], v[31:32], v[29:30], v[29:30]
	s_delay_alu instid0(VALU_DEP_1) | instskip(NEXT) | instid1(VALU_DEP_1)
	v_fma_f64 v[31:32], -v[21:22], v[29:30], 1.0
	v_fma_f64 v[29:30], v[31:32], v[29:30], v[29:30]
	s_delay_alu instid0(VALU_DEP_1) | instskip(NEXT) | instid1(VALU_DEP_1)
	v_mul_f64 v[23:24], v[21:22], v[29:30]
	v_fma_f64 v[31:32], v[29:30], v[21:22], -v[23:24]
	s_delay_alu instid0(VALU_DEP_1) | instskip(NEXT) | instid1(VALU_DEP_1)
	v_fma_f64 v[11:12], v[29:30], v[11:12], v[31:32]
	v_add_f64 v[31:32], v[23:24], v[11:12]
	s_delay_alu instid0(VALU_DEP_1) | instskip(NEXT) | instid1(VALU_DEP_1)
	v_add_f64 v[23:24], v[31:32], -v[23:24]
	v_add_f64 v[11:12], v[23:24], -v[11:12]
	v_add_f64 v[23:24], -v[31:32], 1.0
	s_delay_alu instid0(VALU_DEP_1) | instskip(NEXT) | instid1(VALU_DEP_1)
	v_add_f64 v[33:34], -v[23:24], 1.0
	v_add_f64 v[31:32], v[33:34], -v[31:32]
	s_delay_alu instid0(VALU_DEP_1) | instskip(NEXT) | instid1(VALU_DEP_1)
	v_add_f64 v[11:12], v[11:12], v[31:32]
	v_add_f64 v[11:12], v[23:24], v[11:12]
	s_delay_alu instid0(VALU_DEP_1) | instskip(NEXT) | instid1(VALU_DEP_1)
	v_mul_f64 v[11:12], v[29:30], v[11:12]
	v_add_f64 v[11:12], v[29:30], v[11:12]
	s_delay_alu instid0(VALU_DEP_1) | instskip(NEXT) | instid1(VALU_DEP_2)
	v_xor_b32_e32 v12, 0x80000000, v12
	v_cndmask_b32_e64 v11, v11, v21, s2
	s_delay_alu instid0(VALU_DEP_2) | instskip(SKIP_1) | instid1(VALU_DEP_1)
	v_cndmask_b32_e64 v12, v12, v22, s2
	v_ldexp_f64 v[21:22], v[27:28], v18
	v_cndmask_b32_e32 v22, v22, v26, vcc_lo
	s_delay_alu instid0(VALU_DEP_3) | instskip(NEXT) | instid1(VALU_DEP_3)
	v_xor_b32_e32 v12, v12, v35
	v_cndmask_b32_e32 v21, v21, v25, vcc_lo
	s_delay_alu instid0(VALU_DEP_2) | instskip(NEXT) | instid1(VALU_DEP_1)
	v_fma_f64 v[23:24], v[11:12], v[11:12], 1.0
	v_mul_f64 v[25:26], v[9:10], v[23:24]
	s_delay_alu instid0(VALU_DEP_3) | instskip(NEXT) | instid1(VALU_DEP_2)
	v_mul_f64 v[21:22], v[21:22], v[23:24]
	v_fma_f64 v[23:24], v[9:10], v[25:26], 1.0
	s_delay_alu instid0(VALU_DEP_2) | instskip(NEXT) | instid1(VALU_DEP_1)
	v_mul_f64 v[9:10], v[9:10], v[21:22]
	v_div_scale_f64 v[21:22], null, v[23:24], v[23:24], v[9:10]
	s_delay_alu instid0(VALU_DEP_1) | instskip(SKIP_2) | instid1(VALU_DEP_1)
	v_rcp_f64_e32 v[25:26], v[21:22]
	s_waitcnt_depctr 0xfff
	v_fma_f64 v[27:28], -v[21:22], v[25:26], 1.0
	v_fma_f64 v[25:26], v[25:26], v[27:28], v[25:26]
	s_delay_alu instid0(VALU_DEP_1) | instskip(NEXT) | instid1(VALU_DEP_1)
	v_fma_f64 v[27:28], -v[21:22], v[25:26], 1.0
	v_fma_f64 v[25:26], v[25:26], v[27:28], v[25:26]
	v_div_scale_f64 v[27:28], vcc_lo, v[9:10], v[23:24], v[9:10]
	s_delay_alu instid0(VALU_DEP_1) | instskip(NEXT) | instid1(VALU_DEP_1)
	v_mul_f64 v[29:30], v[27:28], v[25:26]
	v_fma_f64 v[21:22], -v[21:22], v[29:30], v[27:28]
	s_delay_alu instid0(VALU_DEP_1) | instskip(SKIP_1) | instid1(VALU_DEP_2)
	v_div_fmas_f64 v[21:22], v[21:22], v[25:26], v[29:30]
	v_div_scale_f64 v[25:26], null, v[23:24], v[23:24], v[11:12]
	v_div_fixup_f64 v[9:10], v[21:22], v[23:24], v[9:10]
	s_delay_alu instid0(VALU_DEP_2) | instskip(SKIP_2) | instid1(VALU_DEP_1)
	v_rcp_f64_e32 v[27:28], v[25:26]
	s_waitcnt_depctr 0xfff
	v_fma_f64 v[29:30], -v[25:26], v[27:28], 1.0
	v_fma_f64 v[27:28], v[27:28], v[29:30], v[27:28]
	s_delay_alu instid0(VALU_DEP_1) | instskip(NEXT) | instid1(VALU_DEP_1)
	v_fma_f64 v[29:30], -v[25:26], v[27:28], 1.0
	v_fma_f64 v[27:28], v[27:28], v[29:30], v[27:28]
	v_div_scale_f64 v[29:30], vcc_lo, v[11:12], v[23:24], v[11:12]
	s_delay_alu instid0(VALU_DEP_1) | instskip(NEXT) | instid1(VALU_DEP_1)
	v_mul_f64 v[31:32], v[29:30], v[27:28]
	v_fma_f64 v[25:26], -v[25:26], v[31:32], v[29:30]
	s_delay_alu instid0(VALU_DEP_1) | instskip(NEXT) | instid1(VALU_DEP_1)
	v_div_fmas_f64 v[25:26], v[25:26], v[27:28], v[31:32]
	v_div_fixup_f64 v[11:12], v[25:26], v[23:24], v[11:12]
.LBB156_91:                             ;   in Loop: Header=BB156_7 Depth=1
	s_and_not1_saveexec_b32 s55, s34
	s_cbranch_execz .LBB156_101
; %bb.92:                               ;   in Loop: Header=BB156_7 Depth=1
	s_delay_alu instid0(VALU_DEP_1) | instskip(NEXT) | instid1(VALU_DEP_1)
	v_cmp_ngt_f64_e64 s34, 0x41d00000, |v[11:12]|
                                        ; implicit-def: $vgpr29
                                        ; implicit-def: $vgpr21_vgpr22
                                        ; implicit-def: $vgpr23_vgpr24
	s_and_saveexec_b32 s2, s34
	s_delay_alu instid0(SALU_CYCLE_1)
	s_xor_b32 s14, exec_lo, s2
	s_cbranch_execz .LBB156_94
; %bb.93:                               ;   in Loop: Header=BB156_7 Depth=1
	v_ldexp_f64 v[21:22], |v[11:12]|, 0xffffff80
	v_cmp_le_f64_e64 vcc_lo, 0x7b000000, |v[11:12]|
	v_trig_preop_f64 v[23:24], |v[11:12]|, 0
	v_and_b32_e32 v18, 0x7fffffff, v12
	v_trig_preop_f64 v[27:28], |v[11:12]|, 1
	v_trig_preop_f64 v[31:32], |v[11:12]|, 2
	s_mov_b32 s2, s10
	s_mov_b32 s17, s15
	v_dual_cndmask_b32 v21, v11, v21 :: v_dual_cndmask_b32 v22, v18, v22
	s_delay_alu instid0(VALU_DEP_1) | instskip(NEXT) | instid1(VALU_DEP_4)
	v_mul_f64 v[25:26], v[23:24], v[21:22]
	v_mul_f64 v[29:30], v[27:28], v[21:22]
	s_delay_alu instid0(VALU_DEP_4) | instskip(NEXT) | instid1(VALU_DEP_3)
	v_mul_f64 v[33:34], v[31:32], v[21:22]
	v_fma_f64 v[23:24], v[23:24], v[21:22], -v[25:26]
	s_delay_alu instid0(VALU_DEP_3) | instskip(NEXT) | instid1(VALU_DEP_3)
	v_fma_f64 v[27:28], v[27:28], v[21:22], -v[29:30]
	v_fma_f64 v[21:22], v[31:32], v[21:22], -v[33:34]
	s_delay_alu instid0(VALU_DEP_3) | instskip(NEXT) | instid1(VALU_DEP_1)
	v_add_f64 v[31:32], v[29:30], v[23:24]
	v_add_f64 v[35:36], v[31:32], -v[29:30]
	s_delay_alu instid0(VALU_DEP_1) | instskip(SKIP_1) | instid1(VALU_DEP_1)
	v_add_f64 v[23:24], v[23:24], -v[35:36]
	v_add_f64 v[35:36], v[31:32], -v[35:36]
	;; [unrolled: 1-line block ×3, first 2 shown]
	v_add_f64 v[35:36], v[25:26], v[31:32]
	s_delay_alu instid0(VALU_DEP_2) | instskip(NEXT) | instid1(VALU_DEP_2)
	v_add_f64 v[23:24], v[23:24], v[29:30]
	v_add_f64 v[25:26], v[35:36], -v[25:26]
	v_add_f64 v[29:30], v[33:34], v[27:28]
	v_ldexp_f64 v[35:36], v[35:36], -2
	s_delay_alu instid0(VALU_DEP_3) | instskip(NEXT) | instid1(VALU_DEP_3)
	v_add_f64 v[25:26], v[31:32], -v[25:26]
	v_add_f64 v[31:32], v[29:30], -v[33:34]
	s_delay_alu instid0(VALU_DEP_3) | instskip(SKIP_1) | instid1(VALU_DEP_3)
	v_cmp_neq_f64_e64 vcc_lo, 0x7ff00000, |v[35:36]|
	v_fract_f64_e32 v[35:36], v[35:36]
	v_add_f64 v[27:28], v[27:28], -v[31:32]
	v_add_f64 v[31:32], v[29:30], -v[31:32]
	s_delay_alu instid0(VALU_DEP_3) | instskip(NEXT) | instid1(VALU_DEP_2)
	v_dual_cndmask_b32 v35, 0, v35 :: v_dual_cndmask_b32 v36, 0, v36
	v_add_f64 v[31:32], v[33:34], -v[31:32]
	v_add_f64 v[33:34], v[29:30], v[23:24]
	s_delay_alu instid0(VALU_DEP_2) | instskip(NEXT) | instid1(VALU_DEP_2)
	v_add_f64 v[27:28], v[27:28], v[31:32]
	v_add_f64 v[38:39], v[33:34], -v[29:30]
	v_add_f64 v[31:32], v[25:26], v[33:34]
	s_delay_alu instid0(VALU_DEP_2) | instskip(SKIP_1) | instid1(VALU_DEP_3)
	v_add_f64 v[23:24], v[23:24], -v[38:39]
	v_add_f64 v[38:39], v[33:34], -v[38:39]
	;; [unrolled: 1-line block ×3, first 2 shown]
	s_delay_alu instid0(VALU_DEP_2) | instskip(NEXT) | instid1(VALU_DEP_2)
	v_add_f64 v[29:30], v[29:30], -v[38:39]
	v_add_f64 v[25:26], v[33:34], -v[25:26]
	s_delay_alu instid0(VALU_DEP_2) | instskip(SKIP_1) | instid1(VALU_DEP_2)
	v_add_f64 v[23:24], v[23:24], v[29:30]
	v_ldexp_f64 v[29:30], v[35:36], 2
	v_add_f64 v[23:24], v[27:28], v[23:24]
	s_delay_alu instid0(VALU_DEP_2) | instskip(NEXT) | instid1(VALU_DEP_2)
	v_add_f64 v[35:36], v[31:32], v[29:30]
	v_add_f64 v[21:22], v[21:22], v[23:24]
	s_delay_alu instid0(VALU_DEP_2) | instskip(NEXT) | instid1(VALU_DEP_2)
	v_cmp_gt_f64_e32 vcc_lo, 0, v[35:36]
	v_add_f64 v[21:22], v[25:26], v[21:22]
	v_cndmask_b32_e64 v18, 0, 0x40100000, vcc_lo
	s_delay_alu instid0(VALU_DEP_1) | instskip(NEXT) | instid1(VALU_DEP_1)
	v_add_f64 v[23:24], v[29:30], v[17:18]
	v_add_f64 v[27:28], v[31:32], v[23:24]
	s_delay_alu instid0(VALU_DEP_1) | instskip(NEXT) | instid1(VALU_DEP_1)
	v_cvt_i32_f64_e32 v29, v[27:28]
	v_cvt_f64_i32_e32 v[27:28], v29
	s_delay_alu instid0(VALU_DEP_1) | instskip(NEXT) | instid1(VALU_DEP_1)
	v_add_f64 v[23:24], v[23:24], -v[27:28]
	v_add_f64 v[25:26], v[31:32], v[23:24]
	s_delay_alu instid0(VALU_DEP_1) | instskip(SKIP_1) | instid1(VALU_DEP_2)
	v_add_f64 v[23:24], v[25:26], -v[23:24]
	v_cmp_le_f64_e32 vcc_lo, 0.5, v[25:26]
	v_add_f64 v[23:24], v[31:32], -v[23:24]
	v_cndmask_b32_e64 v18, 0, 0x3ff00000, vcc_lo
	v_add_co_ci_u32_e32 v29, vcc_lo, 0, v29, vcc_lo
	s_delay_alu instid0(VALU_DEP_2) | instskip(NEXT) | instid1(VALU_DEP_4)
	v_add_f64 v[25:26], v[25:26], -v[17:18]
	v_add_f64 v[21:22], v[21:22], v[23:24]
	s_delay_alu instid0(VALU_DEP_1) | instskip(NEXT) | instid1(VALU_DEP_1)
	v_add_f64 v[23:24], v[25:26], v[21:22]
	v_add_f64 v[25:26], v[23:24], -v[25:26]
	s_delay_alu instid0(VALU_DEP_1) | instskip(SKIP_1) | instid1(VALU_DEP_1)
	v_add_f64 v[21:22], v[21:22], -v[25:26]
	v_mul_f64 v[25:26], v[23:24], s[2:3]
	v_fma_f64 v[27:28], v[23:24], s[2:3], -v[25:26]
	s_delay_alu instid0(VALU_DEP_1) | instskip(NEXT) | instid1(VALU_DEP_1)
	v_fma_f64 v[23:24], v[23:24], s[16:17], v[27:28]
	v_fma_f64 v[23:24], v[21:22], s[2:3], v[23:24]
	s_delay_alu instid0(VALU_DEP_1) | instskip(NEXT) | instid1(VALU_DEP_1)
	v_add_f64 v[21:22], v[25:26], v[23:24]
	v_add_f64 v[25:26], v[21:22], -v[25:26]
	s_delay_alu instid0(VALU_DEP_1)
	v_add_f64 v[23:24], v[23:24], -v[25:26]
	s_and_not1_saveexec_b32 s2, s14
	s_cbranch_execz .LBB156_96
	s_branch .LBB156_95
.LBB156_94:                             ;   in Loop: Header=BB156_7 Depth=1
	s_and_not1_saveexec_b32 s2, s14
	s_cbranch_execz .LBB156_96
.LBB156_95:                             ;   in Loop: Header=BB156_7 Depth=1
	v_mul_f64 v[21:22], |v[11:12]|, s[18:19]
	s_mov_b32 s14, s20
	s_delay_alu instid0(VALU_DEP_1) | instskip(NEXT) | instid1(VALU_DEP_1)
	v_rndne_f64_e32 v[25:26], v[21:22]
	v_fma_f64 v[21:22], v[25:26], s[10:11], |v[11:12]|
	v_mul_f64 v[23:24], v[25:26], s[20:21]
	s_delay_alu instid0(VALU_DEP_2) | instskip(NEXT) | instid1(VALU_DEP_2)
	v_fma_f64 v[29:30], v[25:26], s[20:21], v[21:22]
	v_add_f64 v[27:28], v[21:22], v[23:24]
	s_delay_alu instid0(VALU_DEP_1) | instskip(NEXT) | instid1(VALU_DEP_3)
	v_add_f64 v[21:22], v[21:22], -v[27:28]
	v_add_f64 v[27:28], v[27:28], -v[29:30]
	s_delay_alu instid0(VALU_DEP_2) | instskip(SKIP_1) | instid1(VALU_DEP_2)
	v_add_f64 v[21:22], v[21:22], v[23:24]
	v_fma_f64 v[23:24], v[25:26], s[14:15], v[23:24]
	v_add_f64 v[21:22], v[27:28], v[21:22]
	s_delay_alu instid0(VALU_DEP_1) | instskip(NEXT) | instid1(VALU_DEP_1)
	v_add_f64 v[21:22], v[21:22], -v[23:24]
	v_fma_f64 v[23:24], v[25:26], s[22:23], v[21:22]
	s_delay_alu instid0(VALU_DEP_1) | instskip(NEXT) | instid1(VALU_DEP_1)
	v_add_f64 v[21:22], v[29:30], v[23:24]
	v_add_f64 v[27:28], v[21:22], -v[29:30]
	v_cvt_i32_f64_e32 v29, v[25:26]
	s_delay_alu instid0(VALU_DEP_2)
	v_add_f64 v[23:24], v[23:24], -v[27:28]
.LBB156_96:                             ;   in Loop: Header=BB156_7 Depth=1
	s_or_b32 exec_lo, exec_lo, s2
                                        ; implicit-def: $vgpr18
                                        ; implicit-def: $vgpr25_vgpr26
                                        ; implicit-def: $vgpr27_vgpr28
	s_and_saveexec_b32 s2, s34
	s_delay_alu instid0(SALU_CYCLE_1)
	s_xor_b32 s14, exec_lo, s2
	s_cbranch_execz .LBB156_98
; %bb.97:                               ;   in Loop: Header=BB156_7 Depth=1
	v_ldexp_f64 v[25:26], |v[11:12]|, 0xffffff80
	v_cmp_le_f64_e64 vcc_lo, 0x7b000000, |v[11:12]|
	v_trig_preop_f64 v[27:28], |v[11:12]|, 0
	v_and_b32_e32 v18, 0x7fffffff, v12
	v_trig_preop_f64 v[32:33], |v[11:12]|, 1
	v_trig_preop_f64 v[38:39], |v[11:12]|, 2
	s_mov_b32 s2, s10
	s_mov_b32 s17, s15
	v_dual_cndmask_b32 v25, v11, v25 :: v_dual_cndmask_b32 v26, v18, v26
	s_delay_alu instid0(VALU_DEP_1) | instskip(NEXT) | instid1(VALU_DEP_4)
	v_mul_f64 v[30:31], v[27:28], v[25:26]
	v_mul_f64 v[34:35], v[32:33], v[25:26]
	s_delay_alu instid0(VALU_DEP_4) | instskip(NEXT) | instid1(VALU_DEP_3)
	v_mul_f64 v[40:41], v[38:39], v[25:26]
	v_fma_f64 v[27:28], v[27:28], v[25:26], -v[30:31]
	s_delay_alu instid0(VALU_DEP_3) | instskip(NEXT) | instid1(VALU_DEP_3)
	v_fma_f64 v[32:33], v[32:33], v[25:26], -v[34:35]
	v_fma_f64 v[25:26], v[38:39], v[25:26], -v[40:41]
	s_delay_alu instid0(VALU_DEP_3) | instskip(NEXT) | instid1(VALU_DEP_1)
	v_add_f64 v[38:39], v[34:35], v[27:28]
	v_add_f64 v[42:43], v[38:39], -v[34:35]
	s_delay_alu instid0(VALU_DEP_1) | instskip(SKIP_1) | instid1(VALU_DEP_1)
	v_add_f64 v[27:28], v[27:28], -v[42:43]
	v_add_f64 v[42:43], v[38:39], -v[42:43]
	;; [unrolled: 1-line block ×3, first 2 shown]
	v_add_f64 v[42:43], v[30:31], v[38:39]
	s_delay_alu instid0(VALU_DEP_2) | instskip(NEXT) | instid1(VALU_DEP_2)
	v_add_f64 v[27:28], v[27:28], v[34:35]
	v_add_f64 v[30:31], v[42:43], -v[30:31]
	v_add_f64 v[34:35], v[40:41], v[32:33]
	v_ldexp_f64 v[42:43], v[42:43], -2
	s_delay_alu instid0(VALU_DEP_3) | instskip(NEXT) | instid1(VALU_DEP_3)
	v_add_f64 v[30:31], v[38:39], -v[30:31]
	v_add_f64 v[38:39], v[34:35], -v[40:41]
	s_delay_alu instid0(VALU_DEP_3) | instskip(SKIP_1) | instid1(VALU_DEP_3)
	v_cmp_neq_f64_e64 vcc_lo, 0x7ff00000, |v[42:43]|
	v_fract_f64_e32 v[42:43], v[42:43]
	v_add_f64 v[32:33], v[32:33], -v[38:39]
	v_add_f64 v[38:39], v[34:35], -v[38:39]
	s_delay_alu instid0(VALU_DEP_3) | instskip(NEXT) | instid1(VALU_DEP_2)
	v_dual_cndmask_b32 v43, 0, v43 :: v_dual_cndmask_b32 v42, 0, v42
	v_add_f64 v[38:39], v[40:41], -v[38:39]
	v_add_f64 v[40:41], v[34:35], v[27:28]
	s_delay_alu instid0(VALU_DEP_2) | instskip(NEXT) | instid1(VALU_DEP_2)
	v_add_f64 v[32:33], v[32:33], v[38:39]
	v_add_f64 v[44:45], v[40:41], -v[34:35]
	v_add_f64 v[38:39], v[30:31], v[40:41]
	s_delay_alu instid0(VALU_DEP_2) | instskip(SKIP_1) | instid1(VALU_DEP_3)
	v_add_f64 v[27:28], v[27:28], -v[44:45]
	v_add_f64 v[44:45], v[40:41], -v[44:45]
	;; [unrolled: 1-line block ×3, first 2 shown]
	s_delay_alu instid0(VALU_DEP_2) | instskip(NEXT) | instid1(VALU_DEP_2)
	v_add_f64 v[34:35], v[34:35], -v[44:45]
	v_add_f64 v[30:31], v[40:41], -v[30:31]
	s_delay_alu instid0(VALU_DEP_2) | instskip(SKIP_1) | instid1(VALU_DEP_2)
	v_add_f64 v[27:28], v[27:28], v[34:35]
	v_ldexp_f64 v[34:35], v[42:43], 2
	v_add_f64 v[27:28], v[32:33], v[27:28]
	s_delay_alu instid0(VALU_DEP_2) | instskip(NEXT) | instid1(VALU_DEP_2)
	v_add_f64 v[42:43], v[38:39], v[34:35]
	v_add_f64 v[25:26], v[25:26], v[27:28]
	s_delay_alu instid0(VALU_DEP_2) | instskip(NEXT) | instid1(VALU_DEP_2)
	v_cmp_gt_f64_e32 vcc_lo, 0, v[42:43]
	v_add_f64 v[25:26], v[30:31], v[25:26]
	v_cndmask_b32_e64 v18, 0, 0x40100000, vcc_lo
	s_delay_alu instid0(VALU_DEP_1) | instskip(NEXT) | instid1(VALU_DEP_1)
	v_add_f64 v[27:28], v[34:35], v[17:18]
	v_add_f64 v[32:33], v[38:39], v[27:28]
	s_delay_alu instid0(VALU_DEP_1) | instskip(NEXT) | instid1(VALU_DEP_1)
	v_cvt_i32_f64_e32 v34, v[32:33]
	v_cvt_f64_i32_e32 v[32:33], v34
	s_delay_alu instid0(VALU_DEP_1) | instskip(NEXT) | instid1(VALU_DEP_1)
	v_add_f64 v[27:28], v[27:28], -v[32:33]
	v_add_f64 v[30:31], v[38:39], v[27:28]
	s_delay_alu instid0(VALU_DEP_1) | instskip(SKIP_1) | instid1(VALU_DEP_2)
	v_add_f64 v[27:28], v[30:31], -v[27:28]
	v_cmp_le_f64_e32 vcc_lo, 0.5, v[30:31]
	v_add_f64 v[27:28], v[38:39], -v[27:28]
	v_cndmask_b32_e64 v18, 0, 0x3ff00000, vcc_lo
	s_delay_alu instid0(VALU_DEP_1) | instskip(SKIP_1) | instid1(VALU_DEP_4)
	v_add_f64 v[30:31], v[30:31], -v[17:18]
	v_add_co_ci_u32_e32 v18, vcc_lo, 0, v34, vcc_lo
	v_add_f64 v[25:26], v[25:26], v[27:28]
	s_delay_alu instid0(VALU_DEP_1) | instskip(NEXT) | instid1(VALU_DEP_1)
	v_add_f64 v[27:28], v[30:31], v[25:26]
	v_add_f64 v[30:31], v[27:28], -v[30:31]
	s_delay_alu instid0(VALU_DEP_1) | instskip(SKIP_1) | instid1(VALU_DEP_1)
	v_add_f64 v[25:26], v[25:26], -v[30:31]
	v_mul_f64 v[30:31], v[27:28], s[2:3]
	v_fma_f64 v[32:33], v[27:28], s[2:3], -v[30:31]
	s_delay_alu instid0(VALU_DEP_1) | instskip(NEXT) | instid1(VALU_DEP_1)
	v_fma_f64 v[27:28], v[27:28], s[16:17], v[32:33]
	v_fma_f64 v[27:28], v[25:26], s[2:3], v[27:28]
	s_delay_alu instid0(VALU_DEP_1) | instskip(NEXT) | instid1(VALU_DEP_1)
	v_add_f64 v[25:26], v[30:31], v[27:28]
	v_add_f64 v[30:31], v[25:26], -v[30:31]
	s_delay_alu instid0(VALU_DEP_1)
	v_add_f64 v[27:28], v[27:28], -v[30:31]
	s_and_not1_saveexec_b32 s2, s14
	s_cbranch_execnz .LBB156_99
	s_branch .LBB156_100
.LBB156_98:                             ;   in Loop: Header=BB156_7 Depth=1
	s_and_not1_saveexec_b32 s2, s14
	s_cbranch_execz .LBB156_100
.LBB156_99:                             ;   in Loop: Header=BB156_7 Depth=1
	v_mul_f64 v[25:26], |v[11:12]|, s[18:19]
	s_mov_b32 s14, s20
	s_delay_alu instid0(VALU_DEP_1) | instskip(NEXT) | instid1(VALU_DEP_1)
	v_rndne_f64_e32 v[30:31], v[25:26]
	v_fma_f64 v[25:26], v[30:31], s[10:11], |v[11:12]|
	v_mul_f64 v[27:28], v[30:31], s[20:21]
	v_cvt_i32_f64_e32 v18, v[30:31]
	s_delay_alu instid0(VALU_DEP_3) | instskip(NEXT) | instid1(VALU_DEP_3)
	v_fma_f64 v[34:35], v[30:31], s[20:21], v[25:26]
	v_add_f64 v[32:33], v[25:26], v[27:28]
	s_delay_alu instid0(VALU_DEP_1) | instskip(NEXT) | instid1(VALU_DEP_3)
	v_add_f64 v[25:26], v[25:26], -v[32:33]
	v_add_f64 v[32:33], v[32:33], -v[34:35]
	s_delay_alu instid0(VALU_DEP_2) | instskip(SKIP_1) | instid1(VALU_DEP_2)
	v_add_f64 v[25:26], v[25:26], v[27:28]
	v_fma_f64 v[27:28], v[30:31], s[14:15], v[27:28]
	v_add_f64 v[25:26], v[32:33], v[25:26]
	s_delay_alu instid0(VALU_DEP_1) | instskip(NEXT) | instid1(VALU_DEP_1)
	v_add_f64 v[25:26], v[25:26], -v[27:28]
	v_fma_f64 v[27:28], v[30:31], s[22:23], v[25:26]
	s_delay_alu instid0(VALU_DEP_1) | instskip(NEXT) | instid1(VALU_DEP_1)
	v_add_f64 v[25:26], v[34:35], v[27:28]
	v_add_f64 v[32:33], v[25:26], -v[34:35]
	s_delay_alu instid0(VALU_DEP_1)
	v_add_f64 v[27:28], v[27:28], -v[32:33]
.LBB156_100:                            ;   in Loop: Header=BB156_7 Depth=1
	s_or_b32 exec_lo, exec_lo, s2
	v_mul_f64 v[30:31], v[21:22], v[21:22]
	s_delay_alu instid0(VALU_DEP_2) | instskip(NEXT) | instid1(VALU_DEP_3)
	v_mul_f64 v[40:41], v[23:24], 0.5
	v_mul_f64 v[46:47], v[27:28], 0.5
	s_mov_b32 s34, s36
	s_mov_b32 s81, s31
	;; [unrolled: 1-line block ×4, first 2 shown]
	s_delay_alu instid0(VALU_DEP_3) | instskip(SKIP_1) | instid1(VALU_DEP_2)
	v_mul_f64 v[32:33], v[30:31], 0.5
	v_mul_f64 v[42:43], v[21:22], -v[30:31]
	v_add_f64 v[34:35], -v[32:33], 1.0
	s_delay_alu instid0(VALU_DEP_1) | instskip(NEXT) | instid1(VALU_DEP_1)
	v_add_f64 v[38:39], -v[34:35], 1.0
	v_add_f64 v[32:33], v[38:39], -v[32:33]
	v_fma_f64 v[38:39], v[30:31], s[102:103], s[100:101]
	s_delay_alu instid0(VALU_DEP_2) | instskip(NEXT) | instid1(VALU_DEP_2)
	v_fma_f64 v[32:33], v[21:22], -v[23:24], v[32:33]
	v_fma_f64 v[38:39], v[30:31], v[38:39], s[24:25]
	s_delay_alu instid0(VALU_DEP_1) | instskip(NEXT) | instid1(VALU_DEP_1)
	v_fma_f64 v[38:39], v[30:31], v[38:39], s[26:27]
	v_fma_f64 v[38:39], v[30:31], v[38:39], s[30:31]
	s_delay_alu instid0(VALU_DEP_1) | instskip(NEXT) | instid1(VALU_DEP_1)
	v_fma_f64 v[38:39], v[42:43], v[38:39], v[40:41]
	v_fma_f64 v[23:24], v[30:31], v[38:39], -v[23:24]
	v_fma_f64 v[38:39], v[30:31], s[92:93], s[90:91]
	s_delay_alu instid0(VALU_DEP_2) | instskip(NEXT) | instid1(VALU_DEP_2)
	v_fma_f64 v[23:24], v[42:43], s[34:35], v[23:24]
	v_fma_f64 v[38:39], v[30:31], v[38:39], s[94:95]
	s_delay_alu instid0(VALU_DEP_2) | instskip(NEXT) | instid1(VALU_DEP_2)
	v_add_f64 v[21:22], v[21:22], -v[23:24]
	v_fma_f64 v[38:39], v[30:31], v[38:39], s[96:97]
	s_delay_alu instid0(VALU_DEP_1) | instskip(NEXT) | instid1(VALU_DEP_1)
	v_fma_f64 v[38:39], v[30:31], v[38:39], s[98:99]
	v_fma_f64 v[38:39], v[30:31], v[38:39], s[36:37]
	v_mul_f64 v[30:31], v[30:31], v[30:31]
	s_delay_alu instid0(VALU_DEP_1) | instskip(SKIP_1) | instid1(VALU_DEP_2)
	v_fma_f64 v[30:31], v[30:31], v[38:39], v[32:33]
	v_mul_f64 v[32:33], v[25:26], v[25:26]
	v_add_f64 v[30:31], v[34:35], v[30:31]
	s_delay_alu instid0(VALU_DEP_2) | instskip(SKIP_2) | instid1(VALU_DEP_1)
	v_mul_f64 v[38:39], v[32:33], 0.5
	v_mul_f64 v[48:49], v[25:26], -v[32:33]
	v_and_b32_e32 v11, 1, v29
	v_cmp_eq_u32_e32 vcc_lo, 0, v11
	v_cndmask_b32_e32 v22, v31, v22, vcc_lo
	v_add_f64 v[40:41], -v[38:39], 1.0
	v_cndmask_b32_e32 v11, v30, v21, vcc_lo
	s_delay_alu instid0(VALU_DEP_2) | instskip(NEXT) | instid1(VALU_DEP_1)
	v_add_f64 v[44:45], -v[40:41], 1.0
	v_add_f64 v[38:39], v[44:45], -v[38:39]
	v_fma_f64 v[44:45], v[32:33], s[102:103], s[100:101]
	s_delay_alu instid0(VALU_DEP_2) | instskip(NEXT) | instid1(VALU_DEP_2)
	v_fma_f64 v[38:39], v[25:26], -v[27:28], v[38:39]
	v_fma_f64 v[44:45], v[32:33], v[44:45], s[24:25]
	s_delay_alu instid0(VALU_DEP_1) | instskip(NEXT) | instid1(VALU_DEP_1)
	v_fma_f64 v[44:45], v[32:33], v[44:45], s[26:27]
	v_fma_f64 v[44:45], v[32:33], v[44:45], s[30:31]
	s_delay_alu instid0(VALU_DEP_1) | instskip(NEXT) | instid1(VALU_DEP_1)
	v_fma_f64 v[44:45], v[48:49], v[44:45], v[46:47]
	v_fma_f64 v[27:28], v[32:33], v[44:45], -v[27:28]
	v_fma_f64 v[44:45], v[32:33], s[92:93], s[90:91]
	s_delay_alu instid0(VALU_DEP_2) | instskip(NEXT) | instid1(VALU_DEP_2)
	v_fma_f64 v[27:28], v[48:49], s[34:35], v[27:28]
	v_fma_f64 v[44:45], v[32:33], v[44:45], s[94:95]
	s_delay_alu instid0(VALU_DEP_2) | instskip(NEXT) | instid1(VALU_DEP_2)
	v_add_f64 v[23:24], v[25:26], -v[27:28]
	v_fma_f64 v[44:45], v[32:33], v[44:45], s[96:97]
	s_delay_alu instid0(VALU_DEP_1) | instskip(NEXT) | instid1(VALU_DEP_1)
	v_fma_f64 v[44:45], v[32:33], v[44:45], s[98:99]
	v_fma_f64 v[44:45], v[32:33], v[44:45], s[36:37]
	v_mul_f64 v[32:33], v[32:33], v[32:33]
	s_delay_alu instid0(VALU_DEP_1) | instskip(NEXT) | instid1(VALU_DEP_1)
	v_fma_f64 v[32:33], v[32:33], v[44:45], v[38:39]
	v_add_f64 v[25:26], v[40:41], v[32:33]
	v_lshlrev_b32_e32 v21, 30, v29
	s_delay_alu instid0(VALU_DEP_1) | instskip(SKIP_2) | instid1(VALU_DEP_3)
	v_xor_b32_e32 v12, v21, v12
	v_and_b32_e32 v21, 1, v18
	v_lshlrev_b32_e32 v18, 30, v18
	v_and_b32_e32 v12, 0x80000000, v12
	s_delay_alu instid0(VALU_DEP_3) | instskip(NEXT) | instid1(VALU_DEP_2)
	v_cmp_eq_u32_e32 vcc_lo, 0, v21
	v_xor_b32_e32 v12, v22, v12
	v_xor_b32_e32 v22, 0x80000000, v24
	s_delay_alu instid0(VALU_DEP_2) | instskip(SKIP_2) | instid1(VALU_DEP_4)
	v_mul_f64 v[11:12], v[11:12], 4.0
	v_cndmask_b32_e32 v21, v23, v25, vcc_lo
	v_mul_f64 v[23:24], |v[9:10]|, s[62:63]
	v_cndmask_b32_e32 v22, v22, v26, vcc_lo
	v_cmp_nlt_f64_e64 vcc_lo, 0x4090cc00, |v[9:10]|
	v_and_b32_e32 v18, 0x80000000, v18
	s_delay_alu instid0(VALU_DEP_1) | instskip(NEXT) | instid1(VALU_DEP_1)
	v_xor_b32_e32 v22, v22, v18
	v_mul_f64 v[11:12], v[11:12], v[21:22]
	v_rndne_f64_e32 v[23:24], v[23:24]
	s_delay_alu instid0(VALU_DEP_1) | instskip(SKIP_1) | instid1(VALU_DEP_2)
	v_fma_f64 v[25:26], v[23:24], s[28:29], -|v[9:10]|
	v_cvt_i32_f64_e32 v18, v[23:24]
	v_fma_f64 v[25:26], v[23:24], s[58:59], v[25:26]
	s_delay_alu instid0(VALU_DEP_1) | instskip(NEXT) | instid1(VALU_DEP_1)
	v_fma_f64 v[27:28], v[25:26], s[70:71], s[68:69]
	v_fma_f64 v[27:28], v[25:26], v[27:28], s[72:73]
	s_delay_alu instid0(VALU_DEP_1) | instskip(NEXT) | instid1(VALU_DEP_1)
	v_fma_f64 v[27:28], v[25:26], v[27:28], s[74:75]
	;; [unrolled: 3-line block ×5, first 2 shown]
	v_fma_f64 v[27:28], v[25:26], v[27:28], 1.0
	s_delay_alu instid0(VALU_DEP_1) | instskip(NEXT) | instid1(VALU_DEP_1)
	v_fma_f64 v[25:26], v[25:26], v[27:28], 1.0
	v_ldexp_f64 v[23:24], v[25:26], v18
	v_bfi_b32 v18, 0x7fffffff, s2, v10
	s_delay_alu instid0(VALU_DEP_1) | instskip(NEXT) | instid1(VALU_DEP_3)
	v_dual_mov_b32 v9, v17 :: v_dual_mov_b32 v10, v18
	v_dual_cndmask_b32 v22, 0, v24 :: v_dual_cndmask_b32 v21, 0, v23
	s_delay_alu instid0(VALU_DEP_1) | instskip(NEXT) | instid1(VALU_DEP_1)
	v_mul_f64 v[11:12], v[21:22], v[11:12]
	v_mul_f64 v[11:12], v[21:22], v[11:12]
.LBB156_101:                            ;   in Loop: Header=BB156_7 Depth=1
	s_or_b32 exec_lo, exec_lo, s55
.LBB156_102:                            ;   in Loop: Header=BB156_7 Depth=1
	s_and_not1_saveexec_b32 s2, s43
; %bb.103:                              ;   in Loop: Header=BB156_7 Depth=1
	s_delay_alu instid0(VALU_DEP_1) | instskip(NEXT) | instid1(VALU_DEP_1)
	v_add_f64 v[11:12], v[11:12], -v[11:12]
	v_dual_mov_b32 v9, v11 :: v_dual_mov_b32 v10, v12
; %bb.104:                              ;   in Loop: Header=BB156_7 Depth=1
	s_or_b32 exec_lo, exec_lo, s2
.LBB156_105:                            ;   in Loop: Header=BB156_7 Depth=1
	s_and_not1_saveexec_b32 s42, s42
	s_cbranch_execz .LBB156_121
; %bb.106:                              ;   in Loop: Header=BB156_7 Depth=1
	s_delay_alu instid0(VALU_DEP_1) | instskip(SKIP_1) | instid1(VALU_DEP_1)
	v_and_or_b32 v18, 0xfffff, v10, v9
	s_mov_b32 s2, exec_lo
	v_cmpx_ne_u32_e32 0, v18
	s_xor_b32 s2, exec_lo, s2
; %bb.107:                              ;   in Loop: Header=BB156_7 Depth=1
	v_mul_f64 v[21:22], v[9:10], v[11:12]
	v_cmp_eq_f64_e32 vcc_lo, 0, v[11:12]
	s_delay_alu instid0(VALU_DEP_2)
	v_dual_cndmask_b32 v12, v22, v12 :: v_dual_cndmask_b32 v11, v21, v11
; %bb.108:                              ;   in Loop: Header=BB156_7 Depth=1
	s_and_not1_saveexec_b32 s43, s2
	s_cbranch_execz .LBB156_120
; %bb.109:                              ;   in Loop: Header=BB156_7 Depth=1
	s_mov_b32 s55, exec_lo
	s_delay_alu instid0(VALU_DEP_1)
	v_cmpx_neq_f64_e64 0x7ff00000, |v[11:12]|
	s_cbranch_execz .LBB156_119
; %bb.110:                              ;   in Loop: Header=BB156_7 Depth=1
	v_cmp_ngt_f64_e64 s34, 0x41d00000, |v[11:12]|
	v_trig_preop_f64 v[29:30], |v[11:12]|, 0
	v_trig_preop_f64 v[27:28], |v[11:12]|, 1
	v_ldexp_f64 v[31:32], |v[11:12]|, 0xffffff80
	v_trig_preop_f64 v[25:26], |v[11:12]|, 2
	v_and_b32_e32 v39, 0x7fffffff, v12
                                        ; implicit-def: $vgpr38
                                        ; implicit-def: $vgpr21_vgpr22
                                        ; implicit-def: $vgpr23_vgpr24
	s_and_saveexec_b32 s2, s34
	s_delay_alu instid0(SALU_CYCLE_1)
	s_xor_b32 s14, exec_lo, s2
	s_cbranch_execz .LBB156_112
; %bb.111:                              ;   in Loop: Header=BB156_7 Depth=1
	v_cmp_le_f64_e64 vcc_lo, 0x7b000000, |v[11:12]|
	s_mov_b32 s2, s10
	s_mov_b32 s17, s15
	s_delay_alu instid0(VALU_DEP_4) | instskip(SKIP_1) | instid1(VALU_DEP_1)
	v_cndmask_b32_e32 v22, v39, v32, vcc_lo
	v_cndmask_b32_e32 v21, v11, v31, vcc_lo
	v_mul_f64 v[23:24], v[29:30], v[21:22]
	v_mul_f64 v[33:34], v[27:28], v[21:22]
	s_delay_alu instid0(VALU_DEP_2) | instskip(NEXT) | instid1(VALU_DEP_1)
	v_fma_f64 v[35:36], v[29:30], v[21:22], -v[23:24]
	v_add_f64 v[40:41], v[33:34], v[35:36]
	s_delay_alu instid0(VALU_DEP_1) | instskip(SKIP_1) | instid1(VALU_DEP_2)
	v_add_f64 v[42:43], v[40:41], -v[33:34]
	v_add_f64 v[44:45], v[23:24], v[40:41]
	v_add_f64 v[35:36], v[35:36], -v[42:43]
	s_delay_alu instid0(VALU_DEP_2) | instskip(SKIP_1) | instid1(VALU_DEP_2)
	v_add_f64 v[23:24], v[44:45], -v[23:24]
	v_add_f64 v[42:43], v[40:41], -v[42:43]
	;; [unrolled: 1-line block ×3, first 2 shown]
	s_delay_alu instid0(VALU_DEP_2) | instskip(NEXT) | instid1(VALU_DEP_1)
	v_add_f64 v[40:41], v[33:34], -v[42:43]
	v_add_f64 v[35:36], v[35:36], v[40:41]
	v_ldexp_f64 v[40:41], v[44:45], -2
	s_delay_alu instid0(VALU_DEP_1) | instskip(SKIP_1) | instid1(VALU_DEP_1)
	v_cmp_neq_f64_e64 vcc_lo, 0x7ff00000, |v[40:41]|
	v_fract_f64_e32 v[40:41], v[40:41]
	v_dual_cndmask_b32 v40, 0, v40 :: v_dual_cndmask_b32 v41, 0, v41
	v_fma_f64 v[33:34], v[27:28], v[21:22], -v[33:34]
	v_mul_f64 v[42:43], v[25:26], v[21:22]
	s_delay_alu instid0(VALU_DEP_3) | instskip(NEXT) | instid1(VALU_DEP_2)
	v_ldexp_f64 v[40:41], v[40:41], 2
	v_add_f64 v[44:45], v[42:43], v[33:34]
	v_fma_f64 v[21:22], v[25:26], v[21:22], -v[42:43]
	s_delay_alu instid0(VALU_DEP_2) | instskip(SKIP_1) | instid1(VALU_DEP_2)
	v_add_f64 v[48:49], v[44:45], v[35:36]
	v_add_f64 v[46:47], v[44:45], -v[42:43]
	v_add_f64 v[50:51], v[48:49], -v[44:45]
	s_delay_alu instid0(VALU_DEP_2) | instskip(SKIP_1) | instid1(VALU_DEP_3)
	v_add_f64 v[33:34], v[33:34], -v[46:47]
	v_add_f64 v[46:47], v[44:45], -v[46:47]
	;; [unrolled: 1-line block ×4, first 2 shown]
	s_delay_alu instid0(VALU_DEP_3) | instskip(SKIP_1) | instid1(VALU_DEP_3)
	v_add_f64 v[46:47], v[42:43], -v[46:47]
	v_add_f64 v[42:43], v[23:24], v[48:49]
	v_add_f64 v[44:45], v[44:45], -v[50:51]
	s_delay_alu instid0(VALU_DEP_3) | instskip(NEXT) | instid1(VALU_DEP_3)
	v_add_f64 v[33:34], v[33:34], v[46:47]
	v_add_f64 v[23:24], v[42:43], -v[23:24]
	s_delay_alu instid0(VALU_DEP_3) | instskip(SKIP_1) | instid1(VALU_DEP_3)
	v_add_f64 v[35:36], v[35:36], v[44:45]
	v_add_f64 v[44:45], v[42:43], v[40:41]
	v_add_f64 v[23:24], v[48:49], -v[23:24]
	s_delay_alu instid0(VALU_DEP_3) | instskip(NEXT) | instid1(VALU_DEP_3)
	v_add_f64 v[33:34], v[33:34], v[35:36]
	v_cmp_gt_f64_e32 vcc_lo, 0, v[44:45]
	s_delay_alu instid0(VALU_DEP_2) | instskip(SKIP_1) | instid1(VALU_DEP_1)
	v_add_f64 v[21:22], v[21:22], v[33:34]
	v_cndmask_b32_e64 v18, 0, 0x40100000, vcc_lo
	v_add_f64 v[33:34], v[40:41], v[17:18]
	s_delay_alu instid0(VALU_DEP_3) | instskip(NEXT) | instid1(VALU_DEP_2)
	v_add_f64 v[21:22], v[23:24], v[21:22]
	v_add_f64 v[35:36], v[42:43], v[33:34]
	s_delay_alu instid0(VALU_DEP_1) | instskip(NEXT) | instid1(VALU_DEP_1)
	v_cvt_i32_f64_e32 v38, v[35:36]
	v_cvt_f64_i32_e32 v[35:36], v38
	s_delay_alu instid0(VALU_DEP_1) | instskip(NEXT) | instid1(VALU_DEP_1)
	v_add_f64 v[33:34], v[33:34], -v[35:36]
	v_add_f64 v[23:24], v[42:43], v[33:34]
	s_delay_alu instid0(VALU_DEP_1) | instskip(SKIP_1) | instid1(VALU_DEP_2)
	v_add_f64 v[33:34], v[23:24], -v[33:34]
	v_cmp_le_f64_e32 vcc_lo, 0.5, v[23:24]
	v_add_f64 v[33:34], v[42:43], -v[33:34]
	v_cndmask_b32_e64 v18, 0, 0x3ff00000, vcc_lo
	v_add_co_ci_u32_e32 v38, vcc_lo, 0, v38, vcc_lo
	s_delay_alu instid0(VALU_DEP_2) | instskip(NEXT) | instid1(VALU_DEP_4)
	v_add_f64 v[23:24], v[23:24], -v[17:18]
	v_add_f64 v[21:22], v[21:22], v[33:34]
	s_delay_alu instid0(VALU_DEP_1) | instskip(NEXT) | instid1(VALU_DEP_1)
	v_add_f64 v[33:34], v[23:24], v[21:22]
	v_add_f64 v[23:24], v[33:34], -v[23:24]
	s_delay_alu instid0(VALU_DEP_1) | instskip(SKIP_1) | instid1(VALU_DEP_1)
	v_add_f64 v[21:22], v[21:22], -v[23:24]
	v_mul_f64 v[23:24], v[33:34], s[2:3]
	v_fma_f64 v[35:36], v[33:34], s[2:3], -v[23:24]
	s_delay_alu instid0(VALU_DEP_1) | instskip(NEXT) | instid1(VALU_DEP_1)
	v_fma_f64 v[33:34], v[33:34], s[16:17], v[35:36]
	v_fma_f64 v[33:34], v[21:22], s[2:3], v[33:34]
	s_delay_alu instid0(VALU_DEP_1) | instskip(NEXT) | instid1(VALU_DEP_1)
	v_add_f64 v[21:22], v[23:24], v[33:34]
	v_add_f64 v[23:24], v[21:22], -v[23:24]
	s_delay_alu instid0(VALU_DEP_1)
	v_add_f64 v[23:24], v[33:34], -v[23:24]
	s_and_not1_saveexec_b32 s2, s14
	s_cbranch_execz .LBB156_114
	s_branch .LBB156_113
.LBB156_112:                            ;   in Loop: Header=BB156_7 Depth=1
	s_and_not1_saveexec_b32 s2, s14
	s_cbranch_execz .LBB156_114
.LBB156_113:                            ;   in Loop: Header=BB156_7 Depth=1
	v_mul_f64 v[21:22], |v[11:12]|, s[18:19]
	s_mov_b32 s14, s20
	s_delay_alu instid0(VALU_DEP_1) | instskip(NEXT) | instid1(VALU_DEP_1)
	v_rndne_f64_e32 v[33:34], v[21:22]
	v_fma_f64 v[21:22], v[33:34], s[10:11], |v[11:12]|
	v_mul_f64 v[23:24], v[33:34], s[20:21]
	v_cvt_i32_f64_e32 v38, v[33:34]
	s_delay_alu instid0(VALU_DEP_3) | instskip(NEXT) | instid1(VALU_DEP_3)
	v_fma_f64 v[40:41], v[33:34], s[20:21], v[21:22]
	v_add_f64 v[35:36], v[21:22], v[23:24]
	s_delay_alu instid0(VALU_DEP_1) | instskip(NEXT) | instid1(VALU_DEP_3)
	v_add_f64 v[21:22], v[21:22], -v[35:36]
	v_add_f64 v[35:36], v[35:36], -v[40:41]
	s_delay_alu instid0(VALU_DEP_2) | instskip(SKIP_1) | instid1(VALU_DEP_2)
	v_add_f64 v[21:22], v[21:22], v[23:24]
	v_fma_f64 v[23:24], v[33:34], s[14:15], v[23:24]
	v_add_f64 v[21:22], v[35:36], v[21:22]
	s_delay_alu instid0(VALU_DEP_1) | instskip(NEXT) | instid1(VALU_DEP_1)
	v_add_f64 v[21:22], v[21:22], -v[23:24]
	v_fma_f64 v[23:24], v[33:34], s[22:23], v[21:22]
	s_delay_alu instid0(VALU_DEP_1) | instskip(NEXT) | instid1(VALU_DEP_1)
	v_add_f64 v[21:22], v[40:41], v[23:24]
	v_add_f64 v[35:36], v[21:22], -v[40:41]
	s_delay_alu instid0(VALU_DEP_1)
	v_add_f64 v[23:24], v[23:24], -v[35:36]
.LBB156_114:                            ;   in Loop: Header=BB156_7 Depth=1
	s_or_b32 exec_lo, exec_lo, s2
                                        ; implicit-def: $vgpr18
                                        ; implicit-def: $vgpr33_vgpr34
                                        ; implicit-def: $vgpr35_vgpr36
	s_and_saveexec_b32 s2, s34
	s_delay_alu instid0(SALU_CYCLE_1)
	s_xor_b32 s14, exec_lo, s2
	s_cbranch_execz .LBB156_116
; %bb.115:                              ;   in Loop: Header=BB156_7 Depth=1
	v_cmp_le_f64_e64 vcc_lo, 0x7b000000, |v[11:12]|
	s_mov_b32 s2, s10
	s_mov_b32 s17, s15
	s_delay_alu instid0(VALU_DEP_4) | instskip(SKIP_1) | instid1(VALU_DEP_1)
	v_cndmask_b32_e32 v32, v39, v32, vcc_lo
	v_cndmask_b32_e32 v31, v11, v31, vcc_lo
	v_mul_f64 v[33:34], v[29:30], v[31:32]
	v_mul_f64 v[35:36], v[27:28], v[31:32]
	;; [unrolled: 1-line block ×3, first 2 shown]
	s_delay_alu instid0(VALU_DEP_3) | instskip(NEXT) | instid1(VALU_DEP_3)
	v_fma_f64 v[29:30], v[29:30], v[31:32], -v[33:34]
	v_fma_f64 v[27:28], v[27:28], v[31:32], -v[35:36]
	s_delay_alu instid0(VALU_DEP_3) | instskip(NEXT) | instid1(VALU_DEP_3)
	v_fma_f64 v[25:26], v[25:26], v[31:32], -v[39:40]
	v_add_f64 v[31:32], v[35:36], v[29:30]
	s_delay_alu instid0(VALU_DEP_1) | instskip(NEXT) | instid1(VALU_DEP_1)
	v_add_f64 v[41:42], v[31:32], -v[35:36]
	v_add_f64 v[29:30], v[29:30], -v[41:42]
	v_add_f64 v[41:42], v[31:32], -v[41:42]
	s_delay_alu instid0(VALU_DEP_1) | instskip(SKIP_1) | instid1(VALU_DEP_2)
	v_add_f64 v[35:36], v[35:36], -v[41:42]
	v_add_f64 v[41:42], v[33:34], v[31:32]
	v_add_f64 v[29:30], v[29:30], v[35:36]
	s_delay_alu instid0(VALU_DEP_2) | instskip(SKIP_1) | instid1(VALU_DEP_2)
	v_add_f64 v[33:34], v[41:42], -v[33:34]
	v_ldexp_f64 v[41:42], v[41:42], -2
	v_add_f64 v[31:32], v[31:32], -v[33:34]
	v_add_f64 v[33:34], v[39:40], v[27:28]
	s_delay_alu instid0(VALU_DEP_3) | instskip(SKIP_1) | instid1(VALU_DEP_3)
	v_cmp_neq_f64_e64 vcc_lo, 0x7ff00000, |v[41:42]|
	v_fract_f64_e32 v[41:42], v[41:42]
	v_add_f64 v[35:36], v[33:34], -v[39:40]
	s_delay_alu instid0(VALU_DEP_2) | instskip(NEXT) | instid1(VALU_DEP_2)
	v_dual_cndmask_b32 v42, 0, v42 :: v_dual_cndmask_b32 v41, 0, v41
	v_add_f64 v[27:28], v[27:28], -v[35:36]
	v_add_f64 v[35:36], v[33:34], -v[35:36]
	s_delay_alu instid0(VALU_DEP_1) | instskip(SKIP_1) | instid1(VALU_DEP_2)
	v_add_f64 v[35:36], v[39:40], -v[35:36]
	v_add_f64 v[39:40], v[33:34], v[29:30]
	v_add_f64 v[27:28], v[27:28], v[35:36]
	s_delay_alu instid0(VALU_DEP_2) | instskip(SKIP_1) | instid1(VALU_DEP_2)
	v_add_f64 v[43:44], v[39:40], -v[33:34]
	v_add_f64 v[35:36], v[31:32], v[39:40]
	v_add_f64 v[29:30], v[29:30], -v[43:44]
	v_add_f64 v[43:44], v[39:40], -v[43:44]
	s_delay_alu instid0(VALU_DEP_1) | instskip(NEXT) | instid1(VALU_DEP_1)
	v_add_f64 v[33:34], v[33:34], -v[43:44]
	v_add_f64 v[29:30], v[29:30], v[33:34]
	v_ldexp_f64 v[33:34], v[41:42], 2
	s_delay_alu instid0(VALU_DEP_2) | instskip(NEXT) | instid1(VALU_DEP_2)
	v_add_f64 v[27:28], v[27:28], v[29:30]
	v_add_f64 v[41:42], v[35:36], v[33:34]
	v_add_f64 v[29:30], v[35:36], -v[31:32]
	s_delay_alu instid0(VALU_DEP_3) | instskip(NEXT) | instid1(VALU_DEP_3)
	v_add_f64 v[25:26], v[25:26], v[27:28]
	v_cmp_gt_f64_e32 vcc_lo, 0, v[41:42]
	s_delay_alu instid0(VALU_DEP_3) | instskip(SKIP_1) | instid1(VALU_DEP_2)
	v_add_f64 v[29:30], v[39:40], -v[29:30]
	v_cndmask_b32_e64 v18, 0, 0x40100000, vcc_lo
	v_add_f64 v[25:26], v[29:30], v[25:26]
	s_delay_alu instid0(VALU_DEP_2) | instskip(NEXT) | instid1(VALU_DEP_1)
	v_add_f64 v[27:28], v[33:34], v[17:18]
	v_add_f64 v[31:32], v[35:36], v[27:28]
	s_delay_alu instid0(VALU_DEP_1) | instskip(NEXT) | instid1(VALU_DEP_1)
	v_cvt_i32_f64_e32 v39, v[31:32]
	v_cvt_f64_i32_e32 v[31:32], v39
	s_delay_alu instid0(VALU_DEP_1) | instskip(NEXT) | instid1(VALU_DEP_1)
	v_add_f64 v[27:28], v[27:28], -v[31:32]
	v_add_f64 v[29:30], v[35:36], v[27:28]
	s_delay_alu instid0(VALU_DEP_1) | instskip(SKIP_1) | instid1(VALU_DEP_2)
	v_add_f64 v[27:28], v[29:30], -v[27:28]
	v_cmp_le_f64_e32 vcc_lo, 0.5, v[29:30]
	v_add_f64 v[27:28], v[35:36], -v[27:28]
	v_cndmask_b32_e64 v18, 0, 0x3ff00000, vcc_lo
	s_delay_alu instid0(VALU_DEP_1) | instskip(SKIP_1) | instid1(VALU_DEP_4)
	v_add_f64 v[29:30], v[29:30], -v[17:18]
	v_add_co_ci_u32_e32 v18, vcc_lo, 0, v39, vcc_lo
	v_add_f64 v[25:26], v[25:26], v[27:28]
	s_delay_alu instid0(VALU_DEP_1) | instskip(NEXT) | instid1(VALU_DEP_1)
	v_add_f64 v[27:28], v[29:30], v[25:26]
	v_add_f64 v[29:30], v[27:28], -v[29:30]
	s_delay_alu instid0(VALU_DEP_1) | instskip(SKIP_1) | instid1(VALU_DEP_1)
	v_add_f64 v[25:26], v[25:26], -v[29:30]
	v_mul_f64 v[29:30], v[27:28], s[2:3]
	v_fma_f64 v[31:32], v[27:28], s[2:3], -v[29:30]
	s_delay_alu instid0(VALU_DEP_1) | instskip(NEXT) | instid1(VALU_DEP_1)
	v_fma_f64 v[27:28], v[27:28], s[16:17], v[31:32]
	v_fma_f64 v[25:26], v[25:26], s[2:3], v[27:28]
	s_delay_alu instid0(VALU_DEP_1) | instskip(NEXT) | instid1(VALU_DEP_1)
	v_add_f64 v[33:34], v[29:30], v[25:26]
	v_add_f64 v[27:28], v[33:34], -v[29:30]
	s_delay_alu instid0(VALU_DEP_1)
	v_add_f64 v[35:36], v[25:26], -v[27:28]
	s_and_not1_saveexec_b32 s2, s14
	s_cbranch_execnz .LBB156_117
	s_branch .LBB156_118
.LBB156_116:                            ;   in Loop: Header=BB156_7 Depth=1
	s_and_not1_saveexec_b32 s2, s14
	s_cbranch_execz .LBB156_118
.LBB156_117:                            ;   in Loop: Header=BB156_7 Depth=1
	v_mul_f64 v[25:26], |v[11:12]|, s[18:19]
	s_mov_b32 s14, s20
	s_delay_alu instid0(VALU_DEP_1) | instskip(NEXT) | instid1(VALU_DEP_1)
	v_rndne_f64_e32 v[25:26], v[25:26]
	v_fma_f64 v[27:28], v[25:26], s[10:11], |v[11:12]|
	v_mul_f64 v[29:30], v[25:26], s[20:21]
	v_cvt_i32_f64_e32 v18, v[25:26]
	s_delay_alu instid0(VALU_DEP_3) | instskip(NEXT) | instid1(VALU_DEP_3)
	v_fma_f64 v[35:36], v[25:26], s[20:21], v[27:28]
	v_add_f64 v[31:32], v[27:28], v[29:30]
	s_delay_alu instid0(VALU_DEP_1) | instskip(NEXT) | instid1(VALU_DEP_3)
	v_add_f64 v[27:28], v[27:28], -v[31:32]
	v_add_f64 v[31:32], v[31:32], -v[35:36]
	s_delay_alu instid0(VALU_DEP_2) | instskip(SKIP_1) | instid1(VALU_DEP_2)
	v_add_f64 v[27:28], v[27:28], v[29:30]
	v_fma_f64 v[29:30], v[25:26], s[14:15], v[29:30]
	v_add_f64 v[27:28], v[31:32], v[27:28]
	s_delay_alu instid0(VALU_DEP_1) | instskip(NEXT) | instid1(VALU_DEP_1)
	v_add_f64 v[27:28], v[27:28], -v[29:30]
	v_fma_f64 v[27:28], v[25:26], s[22:23], v[27:28]
	s_delay_alu instid0(VALU_DEP_1) | instskip(NEXT) | instid1(VALU_DEP_1)
	v_add_f64 v[33:34], v[35:36], v[27:28]
	v_add_f64 v[29:30], v[33:34], -v[35:36]
	s_delay_alu instid0(VALU_DEP_1)
	v_add_f64 v[35:36], v[27:28], -v[29:30]
.LBB156_118:                            ;   in Loop: Header=BB156_7 Depth=1
	s_or_b32 exec_lo, exec_lo, s2
	v_mul_f64 v[25:26], v[21:22], v[21:22]
	s_delay_alu instid0(VALU_DEP_2) | instskip(NEXT) | instid1(VALU_DEP_3)
	v_mul_f64 v[39:40], v[23:24], 0.5
	v_mul_f64 v[45:46], v[35:36], 0.5
	s_mov_b32 s34, s36
	s_delay_alu instid0(VALU_DEP_3) | instskip(SKIP_1) | instid1(VALU_DEP_2)
	v_mul_f64 v[27:28], v[25:26], 0.5
	v_mul_f64 v[41:42], v[21:22], -v[25:26]
	v_add_f64 v[29:30], -v[27:28], 1.0
	s_delay_alu instid0(VALU_DEP_1) | instskip(NEXT) | instid1(VALU_DEP_1)
	v_add_f64 v[31:32], -v[29:30], 1.0
	v_add_f64 v[27:28], v[31:32], -v[27:28]
	v_fma_f64 v[31:32], v[25:26], s[102:103], s[100:101]
	s_delay_alu instid0(VALU_DEP_2) | instskip(NEXT) | instid1(VALU_DEP_2)
	v_fma_f64 v[27:28], v[21:22], -v[23:24], v[27:28]
	v_fma_f64 v[31:32], v[25:26], v[31:32], s[24:25]
	s_delay_alu instid0(VALU_DEP_1) | instskip(NEXT) | instid1(VALU_DEP_1)
	v_fma_f64 v[31:32], v[25:26], v[31:32], s[26:27]
	v_fma_f64 v[31:32], v[25:26], v[31:32], s[30:31]
	s_delay_alu instid0(VALU_DEP_1) | instskip(NEXT) | instid1(VALU_DEP_1)
	v_fma_f64 v[31:32], v[41:42], v[31:32], v[39:40]
	v_fma_f64 v[23:24], v[25:26], v[31:32], -v[23:24]
	v_fma_f64 v[31:32], v[25:26], s[92:93], s[90:91]
	s_delay_alu instid0(VALU_DEP_2) | instskip(NEXT) | instid1(VALU_DEP_2)
	v_fma_f64 v[23:24], v[41:42], s[34:35], v[23:24]
	v_fma_f64 v[31:32], v[25:26], v[31:32], s[94:95]
	s_delay_alu instid0(VALU_DEP_2) | instskip(NEXT) | instid1(VALU_DEP_2)
	v_add_f64 v[21:22], v[21:22], -v[23:24]
	v_fma_f64 v[31:32], v[25:26], v[31:32], s[96:97]
	v_and_b32_e32 v23, 1, v38
	s_delay_alu instid0(VALU_DEP_1) | instskip(NEXT) | instid1(VALU_DEP_3)
	v_cmp_eq_u32_e32 vcc_lo, 0, v23
	v_fma_f64 v[31:32], v[25:26], v[31:32], s[98:99]
	s_delay_alu instid0(VALU_DEP_1) | instskip(SKIP_1) | instid1(VALU_DEP_1)
	v_fma_f64 v[31:32], v[25:26], v[31:32], s[36:37]
	v_mul_f64 v[25:26], v[25:26], v[25:26]
	v_fma_f64 v[25:26], v[25:26], v[31:32], v[27:28]
	v_mul_f64 v[27:28], v[33:34], v[33:34]
	s_delay_alu instid0(VALU_DEP_2) | instskip(NEXT) | instid1(VALU_DEP_2)
	v_add_f64 v[25:26], v[29:30], v[25:26]
	v_mul_f64 v[31:32], v[27:28], 0.5
	v_mul_f64 v[47:48], v[33:34], -v[27:28]
	s_delay_alu instid0(VALU_DEP_3) | instskip(NEXT) | instid1(VALU_DEP_3)
	v_dual_cndmask_b32 v25, v25, v21 :: v_dual_cndmask_b32 v26, v26, v22
	v_add_f64 v[39:40], -v[31:32], 1.0
	v_cmp_class_f64_e64 vcc_lo, v[11:12], 0x1f8
	v_lshlrev_b32_e32 v11, 30, v38
	s_delay_alu instid0(VALU_DEP_1) | instskip(NEXT) | instid1(VALU_DEP_1)
	v_xor_b32_e32 v11, v11, v12
	v_and_b32_e32 v11, 0x80000000, v11
	v_add_f64 v[43:44], -v[39:40], 1.0
	s_delay_alu instid0(VALU_DEP_1) | instskip(SKIP_1) | instid1(VALU_DEP_2)
	v_add_f64 v[31:32], v[43:44], -v[31:32]
	v_fma_f64 v[43:44], v[27:28], s[102:103], s[100:101]
	v_fma_f64 v[31:32], v[33:34], -v[35:36], v[31:32]
	s_delay_alu instid0(VALU_DEP_2) | instskip(NEXT) | instid1(VALU_DEP_1)
	v_fma_f64 v[43:44], v[27:28], v[43:44], s[24:25]
	v_fma_f64 v[43:44], v[27:28], v[43:44], s[26:27]
	s_delay_alu instid0(VALU_DEP_1) | instskip(NEXT) | instid1(VALU_DEP_1)
	v_fma_f64 v[43:44], v[27:28], v[43:44], s[30:31]
	v_fma_f64 v[43:44], v[47:48], v[43:44], v[45:46]
	s_delay_alu instid0(VALU_DEP_1) | instskip(SKIP_1) | instid1(VALU_DEP_2)
	v_fma_f64 v[35:36], v[27:28], v[43:44], -v[35:36]
	v_fma_f64 v[43:44], v[27:28], s[92:93], s[90:91]
	v_fma_f64 v[21:22], v[47:48], s[34:35], v[35:36]
	s_delay_alu instid0(VALU_DEP_2) | instskip(NEXT) | instid1(VALU_DEP_2)
	v_fma_f64 v[43:44], v[27:28], v[43:44], s[94:95]
	v_add_f64 v[21:22], v[33:34], -v[21:22]
	s_delay_alu instid0(VALU_DEP_2) | instskip(NEXT) | instid1(VALU_DEP_2)
	v_fma_f64 v[43:44], v[27:28], v[43:44], s[96:97]
	v_xor_b32_e32 v12, 0x80000000, v22
	s_delay_alu instid0(VALU_DEP_2) | instskip(SKIP_2) | instid1(VALU_DEP_3)
	v_fma_f64 v[43:44], v[27:28], v[43:44], s[98:99]
	v_xor_b32_e32 v22, v26, v11
	v_cndmask_b32_e32 v11, 0, v25, vcc_lo
	v_fma_f64 v[43:44], v[27:28], v[43:44], s[36:37]
	v_mul_f64 v[27:28], v[27:28], v[27:28]
	s_delay_alu instid0(VALU_DEP_1) | instskip(NEXT) | instid1(VALU_DEP_1)
	v_fma_f64 v[27:28], v[27:28], v[43:44], v[31:32]
	v_add_f64 v[23:24], v[39:40], v[27:28]
	v_and_b32_e32 v27, 1, v18
	v_lshlrev_b32_e32 v18, 30, v18
	s_delay_alu instid0(VALU_DEP_2) | instskip(NEXT) | instid1(VALU_DEP_1)
	v_cmp_eq_u32_e64 s2, 0, v27
	v_cndmask_b32_e64 v12, v12, v24, s2
	v_cndmask_b32_e64 v21, v21, v23, s2
	s_delay_alu instid0(VALU_DEP_1) | instskip(NEXT) | instid1(VALU_DEP_1)
	v_dual_cndmask_b32 v21, 0, v21 :: v_dual_and_b32 v18, 0x80000000, v18
	v_xor_b32_e32 v18, v12, v18
	v_cndmask_b32_e32 v12, 0x7ff80000, v22, vcc_lo
	s_delay_alu instid0(VALU_DEP_2) | instskip(NEXT) | instid1(VALU_DEP_1)
	v_cndmask_b32_e32 v22, 0x7ff80000, v18, vcc_lo
	v_mul_f64 v[11:12], v[11:12], v[21:22]
.LBB156_119:                            ;   in Loop: Header=BB156_7 Depth=1
	s_or_b32 exec_lo, exec_lo, s55
	s_delay_alu instid0(VALU_DEP_1) | instskip(SKIP_2) | instid1(VALU_DEP_3)
	v_bfi_b32 v18, 0x7fffffff, 0, v12
	v_add_co_u32 v9, vcc_lo, v9, 0
	v_add_co_ci_u32_e32 v10, vcc_lo, -2.0, v10, vcc_lo
	v_dual_mov_b32 v11, v17 :: v_dual_mov_b32 v12, v18
.LBB156_120:                            ;   in Loop: Header=BB156_7 Depth=1
	s_or_b32 exec_lo, exec_lo, s43
.LBB156_121:                            ;   in Loop: Header=BB156_7 Depth=1
	s_delay_alu instid0(SALU_CYCLE_1) | instskip(SKIP_2) | instid1(VALU_DEP_1)
	s_or_b32 exec_lo, exec_lo, s42
	v_and_b32_e32 v18, 0x7fffffff, v6
	s_mov_b32 s2, exec_lo
	v_cmpx_gt_u32_e32 0x7ff00000, v18
	s_xor_b32 s42, exec_lo, s2
	s_cbranch_execz .LBB156_143
; %bb.122:                              ;   in Loop: Header=BB156_7 Depth=1
	v_cmp_class_f64_e64 s2, v[7:8], 0x1f8
	s_delay_alu instid0(VALU_DEP_1) | instskip(NEXT) | instid1(SALU_CYCLE_1)
	s_and_saveexec_b32 s14, s2
	s_xor_b32 s43, exec_lo, s14
	s_cbranch_execz .LBB156_140
; %bb.123:                              ;   in Loop: Header=BB156_7 Depth=1
	s_mov_b32 s2, exec_lo
	v_cmpx_gt_u32_e32 0x40360000, v18
	s_xor_b32 s34, exec_lo, s2
	s_cbranch_execz .LBB156_129
; %bb.124:                              ;   in Loop: Header=BB156_7 Depth=1
	s_mov_b32 s14, exec_lo
                                        ; implicit-def: $vgpr18
                                        ; implicit-def: $vgpr21_vgpr22
                                        ; implicit-def: $vgpr23_vgpr24
	v_cmpx_ngt_f64_e64 0x41d00000, |v[7:8]|
	s_xor_b32 s14, exec_lo, s14
	s_cbranch_execz .LBB156_126
; %bb.125:                              ;   in Loop: Header=BB156_7 Depth=1
	v_ldexp_f64 v[21:22], |v[7:8]|, 0xffffff80
	v_cmp_le_f64_e64 vcc_lo, 0x7b000000, |v[7:8]|
	v_trig_preop_f64 v[23:24], |v[7:8]|, 0
	v_and_b32_e32 v18, 0x7fffffff, v8
	v_trig_preop_f64 v[27:28], |v[7:8]|, 1
	v_trig_preop_f64 v[31:32], |v[7:8]|, 2
	s_mov_b32 s2, s10
	s_mov_b32 s17, s15
	v_dual_cndmask_b32 v21, v7, v21 :: v_dual_cndmask_b32 v22, v18, v22
	s_delay_alu instid0(VALU_DEP_1) | instskip(NEXT) | instid1(VALU_DEP_4)
	v_mul_f64 v[25:26], v[23:24], v[21:22]
	v_mul_f64 v[29:30], v[27:28], v[21:22]
	s_delay_alu instid0(VALU_DEP_4) | instskip(NEXT) | instid1(VALU_DEP_3)
	v_mul_f64 v[33:34], v[31:32], v[21:22]
	v_fma_f64 v[23:24], v[23:24], v[21:22], -v[25:26]
	s_delay_alu instid0(VALU_DEP_3) | instskip(NEXT) | instid1(VALU_DEP_3)
	v_fma_f64 v[27:28], v[27:28], v[21:22], -v[29:30]
	v_fma_f64 v[21:22], v[31:32], v[21:22], -v[33:34]
	s_delay_alu instid0(VALU_DEP_3) | instskip(NEXT) | instid1(VALU_DEP_1)
	v_add_f64 v[31:32], v[29:30], v[23:24]
	v_add_f64 v[35:36], v[31:32], -v[29:30]
	s_delay_alu instid0(VALU_DEP_1) | instskip(SKIP_1) | instid1(VALU_DEP_1)
	v_add_f64 v[23:24], v[23:24], -v[35:36]
	v_add_f64 v[35:36], v[31:32], -v[35:36]
	;; [unrolled: 1-line block ×3, first 2 shown]
	v_add_f64 v[35:36], v[25:26], v[31:32]
	s_delay_alu instid0(VALU_DEP_2) | instskip(NEXT) | instid1(VALU_DEP_2)
	v_add_f64 v[23:24], v[23:24], v[29:30]
	v_add_f64 v[25:26], v[35:36], -v[25:26]
	v_add_f64 v[29:30], v[33:34], v[27:28]
	v_ldexp_f64 v[35:36], v[35:36], -2
	s_delay_alu instid0(VALU_DEP_3) | instskip(NEXT) | instid1(VALU_DEP_3)
	v_add_f64 v[25:26], v[31:32], -v[25:26]
	v_add_f64 v[31:32], v[29:30], -v[33:34]
	s_delay_alu instid0(VALU_DEP_3) | instskip(SKIP_1) | instid1(VALU_DEP_3)
	v_cmp_neq_f64_e64 vcc_lo, 0x7ff00000, |v[35:36]|
	v_fract_f64_e32 v[35:36], v[35:36]
	v_add_f64 v[27:28], v[27:28], -v[31:32]
	v_add_f64 v[31:32], v[29:30], -v[31:32]
	s_delay_alu instid0(VALU_DEP_3) | instskip(NEXT) | instid1(VALU_DEP_2)
	v_dual_cndmask_b32 v35, 0, v35 :: v_dual_cndmask_b32 v36, 0, v36
	v_add_f64 v[31:32], v[33:34], -v[31:32]
	v_add_f64 v[33:34], v[29:30], v[23:24]
	s_delay_alu instid0(VALU_DEP_2) | instskip(NEXT) | instid1(VALU_DEP_2)
	v_add_f64 v[27:28], v[27:28], v[31:32]
	v_add_f64 v[38:39], v[33:34], -v[29:30]
	v_add_f64 v[31:32], v[25:26], v[33:34]
	s_delay_alu instid0(VALU_DEP_2) | instskip(SKIP_1) | instid1(VALU_DEP_3)
	v_add_f64 v[23:24], v[23:24], -v[38:39]
	v_add_f64 v[38:39], v[33:34], -v[38:39]
	;; [unrolled: 1-line block ×3, first 2 shown]
	s_delay_alu instid0(VALU_DEP_2) | instskip(NEXT) | instid1(VALU_DEP_2)
	v_add_f64 v[29:30], v[29:30], -v[38:39]
	v_add_f64 v[25:26], v[33:34], -v[25:26]
	s_delay_alu instid0(VALU_DEP_2) | instskip(SKIP_1) | instid1(VALU_DEP_2)
	v_add_f64 v[23:24], v[23:24], v[29:30]
	v_ldexp_f64 v[29:30], v[35:36], 2
	v_add_f64 v[23:24], v[27:28], v[23:24]
	s_delay_alu instid0(VALU_DEP_2) | instskip(NEXT) | instid1(VALU_DEP_2)
	v_add_f64 v[35:36], v[31:32], v[29:30]
	v_add_f64 v[21:22], v[21:22], v[23:24]
	s_delay_alu instid0(VALU_DEP_2) | instskip(NEXT) | instid1(VALU_DEP_2)
	v_cmp_gt_f64_e32 vcc_lo, 0, v[35:36]
	v_add_f64 v[21:22], v[25:26], v[21:22]
	v_cndmask_b32_e64 v18, 0, 0x40100000, vcc_lo
	s_delay_alu instid0(VALU_DEP_1) | instskip(NEXT) | instid1(VALU_DEP_1)
	v_add_f64 v[23:24], v[29:30], v[17:18]
	v_add_f64 v[27:28], v[31:32], v[23:24]
	s_delay_alu instid0(VALU_DEP_1) | instskip(NEXT) | instid1(VALU_DEP_1)
	v_cvt_i32_f64_e32 v29, v[27:28]
	v_cvt_f64_i32_e32 v[27:28], v29
	s_delay_alu instid0(VALU_DEP_1) | instskip(NEXT) | instid1(VALU_DEP_1)
	v_add_f64 v[23:24], v[23:24], -v[27:28]
	v_add_f64 v[25:26], v[31:32], v[23:24]
	s_delay_alu instid0(VALU_DEP_1) | instskip(SKIP_1) | instid1(VALU_DEP_2)
	v_add_f64 v[23:24], v[25:26], -v[23:24]
	v_cmp_le_f64_e32 vcc_lo, 0.5, v[25:26]
	v_add_f64 v[23:24], v[31:32], -v[23:24]
	v_cndmask_b32_e64 v18, 0, 0x3ff00000, vcc_lo
	s_delay_alu instid0(VALU_DEP_1) | instskip(SKIP_1) | instid1(VALU_DEP_4)
	v_add_f64 v[25:26], v[25:26], -v[17:18]
	v_add_co_ci_u32_e32 v18, vcc_lo, 0, v29, vcc_lo
	v_add_f64 v[21:22], v[21:22], v[23:24]
	s_delay_alu instid0(VALU_DEP_1) | instskip(NEXT) | instid1(VALU_DEP_1)
	v_add_f64 v[23:24], v[25:26], v[21:22]
	v_add_f64 v[25:26], v[23:24], -v[25:26]
	s_delay_alu instid0(VALU_DEP_1) | instskip(SKIP_1) | instid1(VALU_DEP_1)
	v_add_f64 v[21:22], v[21:22], -v[25:26]
	v_mul_f64 v[25:26], v[23:24], s[2:3]
	v_fma_f64 v[27:28], v[23:24], s[2:3], -v[25:26]
	s_delay_alu instid0(VALU_DEP_1) | instskip(NEXT) | instid1(VALU_DEP_1)
	v_fma_f64 v[23:24], v[23:24], s[16:17], v[27:28]
	v_fma_f64 v[23:24], v[21:22], s[2:3], v[23:24]
	s_delay_alu instid0(VALU_DEP_1) | instskip(NEXT) | instid1(VALU_DEP_1)
	v_add_f64 v[21:22], v[25:26], v[23:24]
	v_add_f64 v[25:26], v[21:22], -v[25:26]
	s_delay_alu instid0(VALU_DEP_1)
	v_add_f64 v[23:24], v[23:24], -v[25:26]
.LBB156_126:                            ;   in Loop: Header=BB156_7 Depth=1
	s_and_not1_saveexec_b32 s2, s14
	s_cbranch_execz .LBB156_128
; %bb.127:                              ;   in Loop: Header=BB156_7 Depth=1
	v_mul_f64 v[21:22], |v[7:8]|, s[18:19]
	s_mov_b32 s14, s20
	s_delay_alu instid0(VALU_DEP_1) | instskip(NEXT) | instid1(VALU_DEP_1)
	v_rndne_f64_e32 v[25:26], v[21:22]
	v_fma_f64 v[21:22], v[25:26], s[10:11], |v[7:8]|
	v_mul_f64 v[23:24], v[25:26], s[20:21]
	v_cvt_i32_f64_e32 v18, v[25:26]
	s_delay_alu instid0(VALU_DEP_3) | instskip(NEXT) | instid1(VALU_DEP_3)
	v_fma_f64 v[29:30], v[25:26], s[20:21], v[21:22]
	v_add_f64 v[27:28], v[21:22], v[23:24]
	s_delay_alu instid0(VALU_DEP_1) | instskip(NEXT) | instid1(VALU_DEP_3)
	v_add_f64 v[21:22], v[21:22], -v[27:28]
	v_add_f64 v[27:28], v[27:28], -v[29:30]
	s_delay_alu instid0(VALU_DEP_2) | instskip(SKIP_1) | instid1(VALU_DEP_2)
	v_add_f64 v[21:22], v[21:22], v[23:24]
	v_fma_f64 v[23:24], v[25:26], s[14:15], v[23:24]
	v_add_f64 v[21:22], v[27:28], v[21:22]
	s_delay_alu instid0(VALU_DEP_1) | instskip(NEXT) | instid1(VALU_DEP_1)
	v_add_f64 v[21:22], v[21:22], -v[23:24]
	v_fma_f64 v[23:24], v[25:26], s[22:23], v[21:22]
	s_delay_alu instid0(VALU_DEP_1) | instskip(NEXT) | instid1(VALU_DEP_1)
	v_add_f64 v[21:22], v[29:30], v[23:24]
	v_add_f64 v[27:28], v[21:22], -v[29:30]
	s_delay_alu instid0(VALU_DEP_1)
	v_add_f64 v[23:24], v[23:24], -v[27:28]
.LBB156_128:                            ;   in Loop: Header=BB156_7 Depth=1
	s_or_b32 exec_lo, exec_lo, s2
	v_add_f64 v[25:26], |v[5:6]|, s[28:29]
	s_mov_b32 s56, s28
	s_mov_b32 s60, s62
	;; [unrolled: 1-line block ×5, first 2 shown]
	v_cmp_nge_f64_e64 vcc_lo, |v[5:6]|, s[88:89]
	v_cmp_gt_f64_e64 s2, 0x3e400000, |v[5:6]|
	s_mov_b32 s44, 0xa9a29f71
	s_mov_b32 s46, 0xc751c08c
	;; [unrolled: 1-line block ×4, first 2 shown]
	v_and_b32_e32 v18, 1, v18
	s_delay_alu instid0(VALU_DEP_4) | instskip(NEXT) | instid1(VALU_DEP_1)
	v_add_f64 v[27:28], v[25:26], -|v[5:6]|
	v_add_f64 v[29:30], v[27:28], -v[25:26]
	v_add_f64 v[27:28], v[27:28], s[56:57]
	s_delay_alu instid0(VALU_DEP_2) | instskip(NEXT) | instid1(VALU_DEP_1)
	v_add_f64 v[29:30], |v[5:6]|, v[29:30]
	v_add_f64 v[27:28], v[29:30], -v[27:28]
	s_delay_alu instid0(VALU_DEP_1) | instskip(NEXT) | instid1(VALU_DEP_1)
	v_add_f64 v[27:28], v[27:28], s[58:59]
	v_add_f64 v[29:30], v[25:26], v[27:28]
	s_delay_alu instid0(VALU_DEP_1) | instskip(NEXT) | instid1(VALU_DEP_1)
	v_add_f64 v[25:26], v[25:26], -v[29:30]
	v_add_f64 v[25:26], v[27:28], v[25:26]
	v_mul_f64 v[27:28], v[29:30], s[60:61]
	s_delay_alu instid0(VALU_DEP_1) | instskip(NEXT) | instid1(VALU_DEP_1)
	v_rndne_f64_e32 v[27:28], v[27:28]
	v_fma_f64 v[29:30], v[27:28], s[54:55], v[29:30]
	v_cvt_i32_f64_e32 v7, v[27:28]
	s_delay_alu instid0(VALU_DEP_2) | instskip(NEXT) | instid1(VALU_DEP_1)
	v_add_f64 v[31:32], v[25:26], v[29:30]
	v_add_f64 v[29:30], v[29:30], -v[31:32]
	s_delay_alu instid0(VALU_DEP_1) | instskip(SKIP_1) | instid1(VALU_DEP_1)
	v_add_f64 v[25:26], v[25:26], v[29:30]
	v_mul_f64 v[29:30], v[27:28], s[64:65]
	v_add_f64 v[33:34], v[31:32], v[29:30]
	s_delay_alu instid0(VALU_DEP_1) | instskip(NEXT) | instid1(VALU_DEP_1)
	v_add_f64 v[31:32], v[31:32], -v[33:34]
	v_add_f64 v[29:30], v[31:32], v[29:30]
	s_delay_alu instid0(VALU_DEP_1) | instskip(NEXT) | instid1(VALU_DEP_1)
	v_add_f64 v[25:26], v[25:26], v[29:30]
	v_add_f64 v[29:30], v[33:34], v[25:26]
	s_delay_alu instid0(VALU_DEP_1) | instskip(NEXT) | instid1(VALU_DEP_1)
	v_add_f64 v[31:32], v[33:34], -v[29:30]
	v_add_f64 v[25:26], v[25:26], v[31:32]
	v_mul_f64 v[31:32], v[27:28], s[66:67]
	s_delay_alu instid0(VALU_DEP_1) | instskip(NEXT) | instid1(VALU_DEP_1)
	v_add_f64 v[33:34], v[29:30], v[31:32]
	v_add_f64 v[29:30], v[29:30], -v[33:34]
	s_delay_alu instid0(VALU_DEP_1) | instskip(NEXT) | instid1(VALU_DEP_1)
	v_add_f64 v[29:30], v[29:30], v[31:32]
	v_add_f64 v[25:26], v[25:26], v[29:30]
	s_delay_alu instid0(VALU_DEP_1) | instskip(NEXT) | instid1(VALU_DEP_1)
	v_add_f64 v[29:30], v[33:34], v[25:26]
	v_add_f64 v[31:32], v[33:34], -v[29:30]
	s_delay_alu instid0(VALU_DEP_1) | instskip(SKIP_1) | instid1(VALU_DEP_2)
	v_add_f64 v[25:26], v[25:26], v[31:32]
	v_mul_f64 v[31:32], v[29:30], v[29:30]
	v_add_f64 v[35:36], v[25:26], v[25:26]
	s_delay_alu instid0(VALU_DEP_2) | instskip(NEXT) | instid1(VALU_DEP_1)
	v_fma_f64 v[33:34], v[29:30], v[29:30], -v[31:32]
	v_fma_f64 v[33:34], v[29:30], v[35:36], v[33:34]
	s_delay_alu instid0(VALU_DEP_1) | instskip(NEXT) | instid1(VALU_DEP_1)
	v_add_f64 v[35:36], v[31:32], v[33:34]
	v_add_f64 v[31:32], v[35:36], -v[31:32]
	s_delay_alu instid0(VALU_DEP_1) | instskip(SKIP_1) | instid1(VALU_DEP_1)
	v_add_f64 v[31:32], v[33:34], -v[31:32]
	v_fma_f64 v[33:34], v[29:30], s[70:71], s[68:69]
	v_fma_f64 v[33:34], v[29:30], v[33:34], s[72:73]
	s_delay_alu instid0(VALU_DEP_1) | instskip(NEXT) | instid1(VALU_DEP_1)
	v_fma_f64 v[33:34], v[29:30], v[33:34], s[74:75]
	v_fma_f64 v[33:34], v[29:30], v[33:34], s[76:77]
	s_delay_alu instid0(VALU_DEP_1) | instskip(NEXT) | instid1(VALU_DEP_1)
	;; [unrolled: 3-line block ×4, first 2 shown]
	v_fma_f64 v[33:34], v[29:30], v[33:34], s[86:87]
	v_mul_f64 v[38:39], v[35:36], v[33:34]
	s_delay_alu instid0(VALU_DEP_1) | instskip(NEXT) | instid1(VALU_DEP_1)
	v_fma_f64 v[35:36], v[35:36], v[33:34], -v[38:39]
	v_fma_f64 v[31:32], v[31:32], v[33:34], v[35:36]
	s_delay_alu instid0(VALU_DEP_1) | instskip(NEXT) | instid1(VALU_DEP_1)
	v_add_f64 v[33:34], v[38:39], v[31:32]
	v_add_f64 v[35:36], v[33:34], -v[38:39]
	s_delay_alu instid0(VALU_DEP_1) | instskip(SKIP_1) | instid1(VALU_DEP_2)
	v_add_f64 v[31:32], v[31:32], -v[35:36]
	v_add_f64 v[35:36], v[29:30], v[33:34]
	v_add_f64 v[25:26], v[25:26], v[31:32]
	s_delay_alu instid0(VALU_DEP_2) | instskip(NEXT) | instid1(VALU_DEP_1)
	v_add_f64 v[29:30], v[35:36], -v[29:30]
	v_add_f64 v[29:30], v[33:34], -v[29:30]
	s_delay_alu instid0(VALU_DEP_1) | instskip(NEXT) | instid1(VALU_DEP_1)
	v_add_f64 v[25:26], v[25:26], v[29:30]
	v_add_f64 v[29:30], v[35:36], v[25:26]
	s_delay_alu instid0(VALU_DEP_1) | instskip(NEXT) | instid1(VALU_DEP_1)
	v_add_f64 v[31:32], v[29:30], -v[35:36]
	v_add_f64 v[25:26], v[25:26], -v[31:32]
	v_add_f64 v[31:32], v[29:30], 1.0
	s_delay_alu instid0(VALU_DEP_1) | instskip(NEXT) | instid1(VALU_DEP_1)
	v_add_f64 v[33:34], v[31:32], -1.0
	v_add_f64 v[29:30], v[29:30], -v[33:34]
	s_delay_alu instid0(VALU_DEP_1) | instskip(NEXT) | instid1(VALU_DEP_1)
	v_add_f64 v[25:26], v[25:26], v[29:30]
	v_add_f64 v[27:28], v[31:32], v[25:26]
	s_delay_alu instid0(VALU_DEP_1) | instskip(SKIP_1) | instid1(VALU_DEP_2)
	v_add_f64 v[29:30], v[27:28], -v[31:32]
	v_ldexp_f64 v[27:28], v[27:28], v7
	v_add_f64 v[25:26], v[25:26], -v[29:30]
	s_delay_alu instid0(VALU_DEP_2) | instskip(NEXT) | instid1(VALU_DEP_1)
	v_rcp_f64_e32 v[31:32], v[27:28]
	v_ldexp_f64 v[25:26], v[25:26], v7
	v_and_b32_e32 v7, 0x7fffffff, v6
	s_waitcnt_depctr 0xfff
	v_fma_f64 v[33:34], -v[27:28], v[31:32], 1.0
	s_delay_alu instid0(VALU_DEP_1) | instskip(NEXT) | instid1(VALU_DEP_1)
	v_fma_f64 v[31:32], v[33:34], v[31:32], v[31:32]
	v_fma_f64 v[29:30], -v[27:28], v[31:32], 1.0
	s_delay_alu instid0(VALU_DEP_1) | instskip(NEXT) | instid1(VALU_DEP_1)
	v_fma_f64 v[29:30], v[29:30], v[31:32], v[31:32]
	v_mul_f64 v[31:32], v[27:28], v[29:30]
	s_delay_alu instid0(VALU_DEP_1) | instskip(NEXT) | instid1(VALU_DEP_1)
	v_fma_f64 v[33:34], v[29:30], v[27:28], -v[31:32]
	v_fma_f64 v[33:34], v[29:30], v[25:26], v[33:34]
	s_delay_alu instid0(VALU_DEP_1) | instskip(NEXT) | instid1(VALU_DEP_1)
	v_add_f64 v[35:36], v[31:32], v[33:34]
	v_add_f64 v[31:32], v[35:36], -v[31:32]
	s_delay_alu instid0(VALU_DEP_1) | instskip(SKIP_1) | instid1(VALU_DEP_1)
	v_add_f64 v[31:32], v[31:32], -v[33:34]
	v_add_f64 v[33:34], -v[35:36], 1.0
	v_add_f64 v[38:39], -v[33:34], 1.0
	s_delay_alu instid0(VALU_DEP_1) | instskip(NEXT) | instid1(VALU_DEP_1)
	v_add_f64 v[35:36], v[38:39], -v[35:36]
	v_add_f64 v[31:32], v[31:32], v[35:36]
	s_delay_alu instid0(VALU_DEP_1) | instskip(NEXT) | instid1(VALU_DEP_1)
	v_add_f64 v[35:36], v[33:34], v[31:32]
	v_add_f64 v[33:34], v[33:34], -v[35:36]
	s_delay_alu instid0(VALU_DEP_1) | instskip(SKIP_1) | instid1(VALU_DEP_1)
	v_add_f64 v[31:32], v[31:32], v[33:34]
	v_mul_f64 v[33:34], v[29:30], v[35:36]
	v_mul_f64 v[38:39], v[27:28], v[33:34]
	s_delay_alu instid0(VALU_DEP_1) | instskip(NEXT) | instid1(VALU_DEP_1)
	v_fma_f64 v[40:41], v[33:34], v[27:28], -v[38:39]
	v_fma_f64 v[40:41], v[33:34], v[25:26], v[40:41]
	s_delay_alu instid0(VALU_DEP_1) | instskip(NEXT) | instid1(VALU_DEP_1)
	v_add_f64 v[42:43], v[38:39], v[40:41]
	v_add_f64 v[44:45], v[35:36], -v[42:43]
	v_add_f64 v[38:39], v[42:43], -v[38:39]
	s_delay_alu instid0(VALU_DEP_2) | instskip(NEXT) | instid1(VALU_DEP_2)
	v_add_f64 v[35:36], v[35:36], -v[44:45]
	v_add_f64 v[38:39], v[38:39], -v[40:41]
	s_delay_alu instid0(VALU_DEP_2) | instskip(NEXT) | instid1(VALU_DEP_1)
	v_add_f64 v[35:36], v[35:36], -v[42:43]
	v_add_f64 v[31:32], v[31:32], v[35:36]
	v_add_f64 v[35:36], v[29:30], v[33:34]
	s_delay_alu instid0(VALU_DEP_2) | instskip(NEXT) | instid1(VALU_DEP_2)
	v_add_f64 v[31:32], v[38:39], v[31:32]
	v_add_f64 v[38:39], v[35:36], -v[29:30]
	s_delay_alu instid0(VALU_DEP_2) | instskip(NEXT) | instid1(VALU_DEP_2)
	v_add_f64 v[31:32], v[44:45], v[31:32]
	v_add_f64 v[33:34], v[33:34], -v[38:39]
	s_delay_alu instid0(VALU_DEP_2) | instskip(NEXT) | instid1(VALU_DEP_1)
	v_mul_f64 v[29:30], v[29:30], v[31:32]
	v_add_f64 v[29:30], v[33:34], v[29:30]
	s_delay_alu instid0(VALU_DEP_1) | instskip(NEXT) | instid1(VALU_DEP_1)
	v_add_f64 v[31:32], v[35:36], v[29:30]
	v_add_f64 v[33:34], v[31:32], -v[35:36]
	v_ldexp_f64 v[31:32], v[31:32], -2
	s_delay_alu instid0(VALU_DEP_2) | instskip(NEXT) | instid1(VALU_DEP_2)
	v_add_f64 v[29:30], v[29:30], -v[33:34]
	v_add_f64 v[35:36], v[27:28], -v[31:32]
	s_delay_alu instid0(VALU_DEP_1) | instskip(NEXT) | instid1(VALU_DEP_1)
	v_add_f64 v[27:28], v[27:28], -v[35:36]
	v_add_f64 v[27:28], v[27:28], -v[31:32]
	s_delay_alu instid0(VALU_DEP_1) | instskip(SKIP_1) | instid1(VALU_DEP_1)
	v_add_f64 v[25:26], v[25:26], v[27:28]
	v_ldexp_f64 v[27:28], v[29:30], -2
	v_add_f64 v[25:26], v[25:26], -v[27:28]
	s_delay_alu instid0(VALU_DEP_1) | instskip(NEXT) | instid1(VALU_DEP_1)
	v_add_f64 v[25:26], v[35:36], v[25:26]
	v_cndmask_b32_e32 v26, 0x7ff00000, v26, vcc_lo
	s_delay_alu instid0(VALU_DEP_2) | instskip(NEXT) | instid1(VALU_DEP_2)
	v_cndmask_b32_e32 v25, 0, v25, vcc_lo
	v_cndmask_b32_e64 v7, v26, v7, s2
	s_delay_alu instid0(VALU_DEP_2) | instskip(SKIP_1) | instid1(VALU_DEP_3)
	v_cndmask_b32_e64 v5, v25, v5, s2
	v_cmp_eq_u32_e64 s2, 0, v18
	v_bfi_b32 v6, 0x7fffffff, v7, v6
	s_delay_alu instid0(VALU_DEP_1) | instskip(NEXT) | instid1(VALU_DEP_1)
	v_fma_f64 v[25:26], v[5:6], v[5:6], 1.0
	v_cmp_gt_f64_e32 vcc_lo, 0x10000000, v[25:26]
	v_cndmask_b32_e64 v7, 0, 1, vcc_lo
	v_cndmask_b32_e64 v18, 0, 0xffffff80, vcc_lo
	s_delay_alu instid0(VALU_DEP_2) | instskip(NEXT) | instid1(VALU_DEP_1)
	v_lshlrev_b32_e32 v7, 8, v7
	v_ldexp_f64 v[25:26], v[25:26], v7
	s_delay_alu instid0(VALU_DEP_1)
	v_rsq_f64_e32 v[27:28], v[25:26]
	v_cmp_class_f64_e64 vcc_lo, v[25:26], 0x260
	v_and_b32_e32 v35, 0x80000000, v8
	v_mul_f64 v[7:8], v[21:22], v[21:22]
	s_waitcnt_depctr 0xfff
	v_mul_f64 v[29:30], v[25:26], v[27:28]
	v_mul_f64 v[27:28], v[27:28], 0.5
	s_delay_alu instid0(VALU_DEP_1) | instskip(NEXT) | instid1(VALU_DEP_1)
	v_fma_f64 v[31:32], -v[27:28], v[29:30], 0.5
	v_fma_f64 v[29:30], v[29:30], v[31:32], v[29:30]
	v_fma_f64 v[27:28], v[27:28], v[31:32], v[27:28]
	s_delay_alu instid0(VALU_DEP_2) | instskip(NEXT) | instid1(VALU_DEP_1)
	v_fma_f64 v[31:32], -v[29:30], v[29:30], v[25:26]
	v_fma_f64 v[29:30], v[31:32], v[27:28], v[29:30]
	s_delay_alu instid0(VALU_DEP_1) | instskip(NEXT) | instid1(VALU_DEP_1)
	v_fma_f64 v[31:32], -v[29:30], v[29:30], v[25:26]
	v_fma_f64 v[27:28], v[31:32], v[27:28], v[29:30]
	v_add_f64 v[29:30], v[23:24], v[23:24]
	v_fma_f64 v[31:32], v[21:22], v[21:22], -v[7:8]
	s_delay_alu instid0(VALU_DEP_1) | instskip(NEXT) | instid1(VALU_DEP_1)
	v_fma_f64 v[29:30], v[21:22], v[29:30], v[31:32]
	v_add_f64 v[7:8], v[7:8], v[29:30]
	s_delay_alu instid0(VALU_DEP_1)
	v_fma_f64 v[29:30], v[7:8], s[46:47], s[44:45]
	s_mov_b32 s44, 0x90a8aae0
	s_mov_b32 s45, 0x3f17746f
	s_delay_alu instid0(VALU_DEP_1) | instid1(SALU_CYCLE_1)
	v_fma_f64 v[29:30], v[7:8], v[29:30], s[44:45]
	s_mov_b32 s44, 0xa6fbf144
	s_mov_b32 s45, 0xbefbb44d
	s_delay_alu instid0(VALU_DEP_1) | instid1(SALU_CYCLE_1)
	;; [unrolled: 4-line block ×9, first 2 shown]
	v_fma_f64 v[29:30], v[7:8], v[29:30], s[44:45]
	s_delay_alu instid0(VALU_DEP_1) | instskip(NEXT) | instid1(VALU_DEP_1)
	v_fma_f64 v[29:30], v[7:8], v[29:30], s[48:49]
	v_fma_f64 v[29:30], v[7:8], v[29:30], s[50:51]
	s_delay_alu instid0(VALU_DEP_1) | instskip(NEXT) | instid1(VALU_DEP_1)
	v_fma_f64 v[29:30], v[7:8], v[29:30], s[52:53]
	v_mul_f64 v[7:8], v[7:8], v[29:30]
	s_delay_alu instid0(VALU_DEP_1) | instskip(NEXT) | instid1(VALU_DEP_1)
	v_mul_f64 v[29:30], v[21:22], v[7:8]
	v_fma_f64 v[7:8], v[21:22], v[7:8], -v[29:30]
	s_delay_alu instid0(VALU_DEP_1) | instskip(SKIP_1) | instid1(VALU_DEP_1)
	v_add_f64 v[7:8], v[23:24], v[7:8]
	v_add_f64 v[23:24], v[21:22], v[29:30]
	v_add_f64 v[21:22], v[23:24], -v[21:22]
	s_delay_alu instid0(VALU_DEP_1) | instskip(NEXT) | instid1(VALU_DEP_1)
	v_add_f64 v[21:22], v[29:30], -v[21:22]
	v_add_f64 v[7:8], v[7:8], v[21:22]
	s_delay_alu instid0(VALU_DEP_1) | instskip(NEXT) | instid1(VALU_DEP_1)
	v_add_f64 v[21:22], v[23:24], v[7:8]
	v_rcp_f64_e32 v[29:30], v[21:22]
	v_add_f64 v[23:24], v[21:22], -v[23:24]
	s_delay_alu instid0(VALU_DEP_1) | instskip(SKIP_2) | instid1(VALU_DEP_1)
	v_add_f64 v[7:8], v[7:8], -v[23:24]
	s_waitcnt_depctr 0xfff
	v_fma_f64 v[31:32], -v[21:22], v[29:30], 1.0
	v_fma_f64 v[29:30], v[31:32], v[29:30], v[29:30]
	s_delay_alu instid0(VALU_DEP_1) | instskip(NEXT) | instid1(VALU_DEP_1)
	v_fma_f64 v[31:32], -v[21:22], v[29:30], 1.0
	v_fma_f64 v[29:30], v[31:32], v[29:30], v[29:30]
	s_delay_alu instid0(VALU_DEP_1) | instskip(NEXT) | instid1(VALU_DEP_1)
	v_mul_f64 v[23:24], v[21:22], v[29:30]
	v_fma_f64 v[31:32], v[29:30], v[21:22], -v[23:24]
	s_delay_alu instid0(VALU_DEP_1) | instskip(NEXT) | instid1(VALU_DEP_1)
	v_fma_f64 v[7:8], v[29:30], v[7:8], v[31:32]
	v_add_f64 v[31:32], v[23:24], v[7:8]
	s_delay_alu instid0(VALU_DEP_1) | instskip(NEXT) | instid1(VALU_DEP_1)
	v_add_f64 v[23:24], v[31:32], -v[23:24]
	v_add_f64 v[7:8], v[23:24], -v[7:8]
	v_add_f64 v[23:24], -v[31:32], 1.0
	s_delay_alu instid0(VALU_DEP_1) | instskip(NEXT) | instid1(VALU_DEP_1)
	v_add_f64 v[33:34], -v[23:24], 1.0
	v_add_f64 v[31:32], v[33:34], -v[31:32]
	s_delay_alu instid0(VALU_DEP_1) | instskip(NEXT) | instid1(VALU_DEP_1)
	v_add_f64 v[7:8], v[7:8], v[31:32]
	v_add_f64 v[7:8], v[23:24], v[7:8]
	s_delay_alu instid0(VALU_DEP_1) | instskip(NEXT) | instid1(VALU_DEP_1)
	v_mul_f64 v[7:8], v[29:30], v[7:8]
	v_add_f64 v[7:8], v[29:30], v[7:8]
	s_delay_alu instid0(VALU_DEP_1) | instskip(NEXT) | instid1(VALU_DEP_2)
	v_xor_b32_e32 v8, 0x80000000, v8
	v_cndmask_b32_e64 v7, v7, v21, s2
	s_delay_alu instid0(VALU_DEP_2) | instskip(SKIP_1) | instid1(VALU_DEP_1)
	v_cndmask_b32_e64 v8, v8, v22, s2
	v_ldexp_f64 v[21:22], v[27:28], v18
	v_cndmask_b32_e32 v22, v22, v26, vcc_lo
	s_delay_alu instid0(VALU_DEP_3) | instskip(NEXT) | instid1(VALU_DEP_3)
	v_xor_b32_e32 v8, v8, v35
	v_cndmask_b32_e32 v21, v21, v25, vcc_lo
	s_delay_alu instid0(VALU_DEP_2) | instskip(NEXT) | instid1(VALU_DEP_1)
	v_fma_f64 v[23:24], v[7:8], v[7:8], 1.0
	v_mul_f64 v[25:26], v[5:6], v[23:24]
	s_delay_alu instid0(VALU_DEP_3) | instskip(NEXT) | instid1(VALU_DEP_2)
	v_mul_f64 v[21:22], v[21:22], v[23:24]
	v_fma_f64 v[23:24], v[5:6], v[25:26], 1.0
	s_delay_alu instid0(VALU_DEP_2) | instskip(NEXT) | instid1(VALU_DEP_1)
	v_mul_f64 v[5:6], v[5:6], v[21:22]
	v_div_scale_f64 v[21:22], null, v[23:24], v[23:24], v[5:6]
	s_delay_alu instid0(VALU_DEP_1) | instskip(SKIP_2) | instid1(VALU_DEP_1)
	v_rcp_f64_e32 v[25:26], v[21:22]
	s_waitcnt_depctr 0xfff
	v_fma_f64 v[27:28], -v[21:22], v[25:26], 1.0
	v_fma_f64 v[25:26], v[25:26], v[27:28], v[25:26]
	s_delay_alu instid0(VALU_DEP_1) | instskip(NEXT) | instid1(VALU_DEP_1)
	v_fma_f64 v[27:28], -v[21:22], v[25:26], 1.0
	v_fma_f64 v[25:26], v[25:26], v[27:28], v[25:26]
	v_div_scale_f64 v[27:28], vcc_lo, v[5:6], v[23:24], v[5:6]
	s_delay_alu instid0(VALU_DEP_1) | instskip(NEXT) | instid1(VALU_DEP_1)
	v_mul_f64 v[29:30], v[27:28], v[25:26]
	v_fma_f64 v[21:22], -v[21:22], v[29:30], v[27:28]
	s_delay_alu instid0(VALU_DEP_1) | instskip(SKIP_1) | instid1(VALU_DEP_2)
	v_div_fmas_f64 v[21:22], v[21:22], v[25:26], v[29:30]
	v_div_scale_f64 v[25:26], null, v[23:24], v[23:24], v[7:8]
	v_div_fixup_f64 v[5:6], v[21:22], v[23:24], v[5:6]
	s_delay_alu instid0(VALU_DEP_2) | instskip(SKIP_2) | instid1(VALU_DEP_1)
	v_rcp_f64_e32 v[27:28], v[25:26]
	s_waitcnt_depctr 0xfff
	v_fma_f64 v[29:30], -v[25:26], v[27:28], 1.0
	v_fma_f64 v[27:28], v[27:28], v[29:30], v[27:28]
	s_delay_alu instid0(VALU_DEP_1) | instskip(NEXT) | instid1(VALU_DEP_1)
	v_fma_f64 v[29:30], -v[25:26], v[27:28], 1.0
	v_fma_f64 v[27:28], v[27:28], v[29:30], v[27:28]
	v_div_scale_f64 v[29:30], vcc_lo, v[7:8], v[23:24], v[7:8]
	s_delay_alu instid0(VALU_DEP_1) | instskip(NEXT) | instid1(VALU_DEP_1)
	v_mul_f64 v[31:32], v[29:30], v[27:28]
	v_fma_f64 v[25:26], -v[25:26], v[31:32], v[29:30]
	s_delay_alu instid0(VALU_DEP_1) | instskip(NEXT) | instid1(VALU_DEP_1)
	v_div_fmas_f64 v[25:26], v[25:26], v[27:28], v[31:32]
	v_div_fixup_f64 v[7:8], v[25:26], v[23:24], v[7:8]
.LBB156_129:                            ;   in Loop: Header=BB156_7 Depth=1
	s_and_not1_saveexec_b32 s55, s34
	s_cbranch_execz .LBB156_139
; %bb.130:                              ;   in Loop: Header=BB156_7 Depth=1
	s_delay_alu instid0(VALU_DEP_1) | instskip(NEXT) | instid1(VALU_DEP_1)
	v_cmp_ngt_f64_e64 s34, 0x41d00000, |v[7:8]|
                                        ; implicit-def: $vgpr29
                                        ; implicit-def: $vgpr21_vgpr22
                                        ; implicit-def: $vgpr23_vgpr24
	s_and_saveexec_b32 s2, s34
	s_delay_alu instid0(SALU_CYCLE_1)
	s_xor_b32 s14, exec_lo, s2
	s_cbranch_execz .LBB156_132
; %bb.131:                              ;   in Loop: Header=BB156_7 Depth=1
	v_ldexp_f64 v[21:22], |v[7:8]|, 0xffffff80
	v_cmp_le_f64_e64 vcc_lo, 0x7b000000, |v[7:8]|
	v_trig_preop_f64 v[23:24], |v[7:8]|, 0
	v_and_b32_e32 v18, 0x7fffffff, v8
	v_trig_preop_f64 v[27:28], |v[7:8]|, 1
	v_trig_preop_f64 v[31:32], |v[7:8]|, 2
	s_mov_b32 s2, s10
	s_mov_b32 s17, s15
	v_dual_cndmask_b32 v21, v7, v21 :: v_dual_cndmask_b32 v22, v18, v22
	s_delay_alu instid0(VALU_DEP_1) | instskip(NEXT) | instid1(VALU_DEP_4)
	v_mul_f64 v[25:26], v[23:24], v[21:22]
	v_mul_f64 v[29:30], v[27:28], v[21:22]
	s_delay_alu instid0(VALU_DEP_4) | instskip(NEXT) | instid1(VALU_DEP_3)
	v_mul_f64 v[33:34], v[31:32], v[21:22]
	v_fma_f64 v[23:24], v[23:24], v[21:22], -v[25:26]
	s_delay_alu instid0(VALU_DEP_3) | instskip(NEXT) | instid1(VALU_DEP_3)
	v_fma_f64 v[27:28], v[27:28], v[21:22], -v[29:30]
	v_fma_f64 v[21:22], v[31:32], v[21:22], -v[33:34]
	s_delay_alu instid0(VALU_DEP_3) | instskip(NEXT) | instid1(VALU_DEP_1)
	v_add_f64 v[31:32], v[29:30], v[23:24]
	v_add_f64 v[35:36], v[31:32], -v[29:30]
	s_delay_alu instid0(VALU_DEP_1) | instskip(SKIP_1) | instid1(VALU_DEP_1)
	v_add_f64 v[23:24], v[23:24], -v[35:36]
	v_add_f64 v[35:36], v[31:32], -v[35:36]
	;; [unrolled: 1-line block ×3, first 2 shown]
	v_add_f64 v[35:36], v[25:26], v[31:32]
	s_delay_alu instid0(VALU_DEP_2) | instskip(NEXT) | instid1(VALU_DEP_2)
	v_add_f64 v[23:24], v[23:24], v[29:30]
	v_add_f64 v[25:26], v[35:36], -v[25:26]
	v_add_f64 v[29:30], v[33:34], v[27:28]
	v_ldexp_f64 v[35:36], v[35:36], -2
	s_delay_alu instid0(VALU_DEP_3) | instskip(NEXT) | instid1(VALU_DEP_3)
	v_add_f64 v[25:26], v[31:32], -v[25:26]
	v_add_f64 v[31:32], v[29:30], -v[33:34]
	s_delay_alu instid0(VALU_DEP_3) | instskip(SKIP_1) | instid1(VALU_DEP_3)
	v_cmp_neq_f64_e64 vcc_lo, 0x7ff00000, |v[35:36]|
	v_fract_f64_e32 v[35:36], v[35:36]
	v_add_f64 v[27:28], v[27:28], -v[31:32]
	v_add_f64 v[31:32], v[29:30], -v[31:32]
	s_delay_alu instid0(VALU_DEP_3) | instskip(NEXT) | instid1(VALU_DEP_2)
	v_dual_cndmask_b32 v35, 0, v35 :: v_dual_cndmask_b32 v36, 0, v36
	v_add_f64 v[31:32], v[33:34], -v[31:32]
	v_add_f64 v[33:34], v[29:30], v[23:24]
	s_delay_alu instid0(VALU_DEP_2) | instskip(NEXT) | instid1(VALU_DEP_2)
	v_add_f64 v[27:28], v[27:28], v[31:32]
	v_add_f64 v[38:39], v[33:34], -v[29:30]
	v_add_f64 v[31:32], v[25:26], v[33:34]
	s_delay_alu instid0(VALU_DEP_2) | instskip(SKIP_1) | instid1(VALU_DEP_3)
	v_add_f64 v[23:24], v[23:24], -v[38:39]
	v_add_f64 v[38:39], v[33:34], -v[38:39]
	;; [unrolled: 1-line block ×3, first 2 shown]
	s_delay_alu instid0(VALU_DEP_2) | instskip(NEXT) | instid1(VALU_DEP_2)
	v_add_f64 v[29:30], v[29:30], -v[38:39]
	v_add_f64 v[25:26], v[33:34], -v[25:26]
	s_delay_alu instid0(VALU_DEP_2) | instskip(SKIP_1) | instid1(VALU_DEP_2)
	v_add_f64 v[23:24], v[23:24], v[29:30]
	v_ldexp_f64 v[29:30], v[35:36], 2
	v_add_f64 v[23:24], v[27:28], v[23:24]
	s_delay_alu instid0(VALU_DEP_2) | instskip(NEXT) | instid1(VALU_DEP_2)
	v_add_f64 v[35:36], v[31:32], v[29:30]
	v_add_f64 v[21:22], v[21:22], v[23:24]
	s_delay_alu instid0(VALU_DEP_2) | instskip(NEXT) | instid1(VALU_DEP_2)
	v_cmp_gt_f64_e32 vcc_lo, 0, v[35:36]
	v_add_f64 v[21:22], v[25:26], v[21:22]
	v_cndmask_b32_e64 v18, 0, 0x40100000, vcc_lo
	s_delay_alu instid0(VALU_DEP_1) | instskip(NEXT) | instid1(VALU_DEP_1)
	v_add_f64 v[23:24], v[29:30], v[17:18]
	v_add_f64 v[27:28], v[31:32], v[23:24]
	s_delay_alu instid0(VALU_DEP_1) | instskip(NEXT) | instid1(VALU_DEP_1)
	v_cvt_i32_f64_e32 v29, v[27:28]
	v_cvt_f64_i32_e32 v[27:28], v29
	s_delay_alu instid0(VALU_DEP_1) | instskip(NEXT) | instid1(VALU_DEP_1)
	v_add_f64 v[23:24], v[23:24], -v[27:28]
	v_add_f64 v[25:26], v[31:32], v[23:24]
	s_delay_alu instid0(VALU_DEP_1) | instskip(SKIP_1) | instid1(VALU_DEP_2)
	v_add_f64 v[23:24], v[25:26], -v[23:24]
	v_cmp_le_f64_e32 vcc_lo, 0.5, v[25:26]
	v_add_f64 v[23:24], v[31:32], -v[23:24]
	v_cndmask_b32_e64 v18, 0, 0x3ff00000, vcc_lo
	v_add_co_ci_u32_e32 v29, vcc_lo, 0, v29, vcc_lo
	s_delay_alu instid0(VALU_DEP_2) | instskip(NEXT) | instid1(VALU_DEP_4)
	v_add_f64 v[25:26], v[25:26], -v[17:18]
	v_add_f64 v[21:22], v[21:22], v[23:24]
	s_delay_alu instid0(VALU_DEP_1) | instskip(NEXT) | instid1(VALU_DEP_1)
	v_add_f64 v[23:24], v[25:26], v[21:22]
	v_add_f64 v[25:26], v[23:24], -v[25:26]
	s_delay_alu instid0(VALU_DEP_1) | instskip(SKIP_1) | instid1(VALU_DEP_1)
	v_add_f64 v[21:22], v[21:22], -v[25:26]
	v_mul_f64 v[25:26], v[23:24], s[2:3]
	v_fma_f64 v[27:28], v[23:24], s[2:3], -v[25:26]
	s_delay_alu instid0(VALU_DEP_1) | instskip(NEXT) | instid1(VALU_DEP_1)
	v_fma_f64 v[23:24], v[23:24], s[16:17], v[27:28]
	v_fma_f64 v[23:24], v[21:22], s[2:3], v[23:24]
	s_delay_alu instid0(VALU_DEP_1) | instskip(NEXT) | instid1(VALU_DEP_1)
	v_add_f64 v[21:22], v[25:26], v[23:24]
	v_add_f64 v[25:26], v[21:22], -v[25:26]
	s_delay_alu instid0(VALU_DEP_1)
	v_add_f64 v[23:24], v[23:24], -v[25:26]
	s_and_not1_saveexec_b32 s2, s14
	s_cbranch_execz .LBB156_134
	s_branch .LBB156_133
.LBB156_132:                            ;   in Loop: Header=BB156_7 Depth=1
	s_and_not1_saveexec_b32 s2, s14
	s_cbranch_execz .LBB156_134
.LBB156_133:                            ;   in Loop: Header=BB156_7 Depth=1
	v_mul_f64 v[21:22], |v[7:8]|, s[18:19]
	s_mov_b32 s14, s20
	s_delay_alu instid0(VALU_DEP_1) | instskip(NEXT) | instid1(VALU_DEP_1)
	v_rndne_f64_e32 v[25:26], v[21:22]
	v_fma_f64 v[21:22], v[25:26], s[10:11], |v[7:8]|
	v_mul_f64 v[23:24], v[25:26], s[20:21]
	s_delay_alu instid0(VALU_DEP_2) | instskip(NEXT) | instid1(VALU_DEP_2)
	v_fma_f64 v[29:30], v[25:26], s[20:21], v[21:22]
	v_add_f64 v[27:28], v[21:22], v[23:24]
	s_delay_alu instid0(VALU_DEP_1) | instskip(NEXT) | instid1(VALU_DEP_3)
	v_add_f64 v[21:22], v[21:22], -v[27:28]
	v_add_f64 v[27:28], v[27:28], -v[29:30]
	s_delay_alu instid0(VALU_DEP_2) | instskip(SKIP_1) | instid1(VALU_DEP_2)
	v_add_f64 v[21:22], v[21:22], v[23:24]
	v_fma_f64 v[23:24], v[25:26], s[14:15], v[23:24]
	v_add_f64 v[21:22], v[27:28], v[21:22]
	s_delay_alu instid0(VALU_DEP_1) | instskip(NEXT) | instid1(VALU_DEP_1)
	v_add_f64 v[21:22], v[21:22], -v[23:24]
	v_fma_f64 v[23:24], v[25:26], s[22:23], v[21:22]
	s_delay_alu instid0(VALU_DEP_1) | instskip(NEXT) | instid1(VALU_DEP_1)
	v_add_f64 v[21:22], v[29:30], v[23:24]
	v_add_f64 v[27:28], v[21:22], -v[29:30]
	v_cvt_i32_f64_e32 v29, v[25:26]
	s_delay_alu instid0(VALU_DEP_2)
	v_add_f64 v[23:24], v[23:24], -v[27:28]
.LBB156_134:                            ;   in Loop: Header=BB156_7 Depth=1
	s_or_b32 exec_lo, exec_lo, s2
                                        ; implicit-def: $vgpr18
                                        ; implicit-def: $vgpr25_vgpr26
                                        ; implicit-def: $vgpr27_vgpr28
	s_and_saveexec_b32 s2, s34
	s_delay_alu instid0(SALU_CYCLE_1)
	s_xor_b32 s14, exec_lo, s2
	s_cbranch_execz .LBB156_136
; %bb.135:                              ;   in Loop: Header=BB156_7 Depth=1
	v_ldexp_f64 v[25:26], |v[7:8]|, 0xffffff80
	v_cmp_le_f64_e64 vcc_lo, 0x7b000000, |v[7:8]|
	v_trig_preop_f64 v[27:28], |v[7:8]|, 0
	v_and_b32_e32 v18, 0x7fffffff, v8
	v_trig_preop_f64 v[32:33], |v[7:8]|, 1
	v_trig_preop_f64 v[38:39], |v[7:8]|, 2
	s_mov_b32 s2, s10
	s_mov_b32 s17, s15
	v_dual_cndmask_b32 v25, v7, v25 :: v_dual_cndmask_b32 v26, v18, v26
	s_delay_alu instid0(VALU_DEP_1) | instskip(NEXT) | instid1(VALU_DEP_4)
	v_mul_f64 v[30:31], v[27:28], v[25:26]
	v_mul_f64 v[34:35], v[32:33], v[25:26]
	s_delay_alu instid0(VALU_DEP_4) | instskip(NEXT) | instid1(VALU_DEP_3)
	v_mul_f64 v[40:41], v[38:39], v[25:26]
	v_fma_f64 v[27:28], v[27:28], v[25:26], -v[30:31]
	s_delay_alu instid0(VALU_DEP_3) | instskip(NEXT) | instid1(VALU_DEP_3)
	v_fma_f64 v[32:33], v[32:33], v[25:26], -v[34:35]
	v_fma_f64 v[25:26], v[38:39], v[25:26], -v[40:41]
	s_delay_alu instid0(VALU_DEP_3) | instskip(NEXT) | instid1(VALU_DEP_1)
	v_add_f64 v[38:39], v[34:35], v[27:28]
	v_add_f64 v[42:43], v[38:39], -v[34:35]
	s_delay_alu instid0(VALU_DEP_1) | instskip(SKIP_1) | instid1(VALU_DEP_1)
	v_add_f64 v[27:28], v[27:28], -v[42:43]
	v_add_f64 v[42:43], v[38:39], -v[42:43]
	;; [unrolled: 1-line block ×3, first 2 shown]
	v_add_f64 v[42:43], v[30:31], v[38:39]
	s_delay_alu instid0(VALU_DEP_2) | instskip(NEXT) | instid1(VALU_DEP_2)
	v_add_f64 v[27:28], v[27:28], v[34:35]
	v_add_f64 v[30:31], v[42:43], -v[30:31]
	v_add_f64 v[34:35], v[40:41], v[32:33]
	v_ldexp_f64 v[42:43], v[42:43], -2
	s_delay_alu instid0(VALU_DEP_3) | instskip(NEXT) | instid1(VALU_DEP_3)
	v_add_f64 v[30:31], v[38:39], -v[30:31]
	v_add_f64 v[38:39], v[34:35], -v[40:41]
	s_delay_alu instid0(VALU_DEP_3) | instskip(SKIP_1) | instid1(VALU_DEP_3)
	v_cmp_neq_f64_e64 vcc_lo, 0x7ff00000, |v[42:43]|
	v_fract_f64_e32 v[42:43], v[42:43]
	v_add_f64 v[32:33], v[32:33], -v[38:39]
	v_add_f64 v[38:39], v[34:35], -v[38:39]
	s_delay_alu instid0(VALU_DEP_3) | instskip(NEXT) | instid1(VALU_DEP_2)
	v_dual_cndmask_b32 v43, 0, v43 :: v_dual_cndmask_b32 v42, 0, v42
	v_add_f64 v[38:39], v[40:41], -v[38:39]
	v_add_f64 v[40:41], v[34:35], v[27:28]
	s_delay_alu instid0(VALU_DEP_2) | instskip(NEXT) | instid1(VALU_DEP_2)
	v_add_f64 v[32:33], v[32:33], v[38:39]
	v_add_f64 v[44:45], v[40:41], -v[34:35]
	v_add_f64 v[38:39], v[30:31], v[40:41]
	s_delay_alu instid0(VALU_DEP_2) | instskip(SKIP_1) | instid1(VALU_DEP_3)
	v_add_f64 v[27:28], v[27:28], -v[44:45]
	v_add_f64 v[44:45], v[40:41], -v[44:45]
	;; [unrolled: 1-line block ×3, first 2 shown]
	s_delay_alu instid0(VALU_DEP_2) | instskip(NEXT) | instid1(VALU_DEP_2)
	v_add_f64 v[34:35], v[34:35], -v[44:45]
	v_add_f64 v[30:31], v[40:41], -v[30:31]
	s_delay_alu instid0(VALU_DEP_2) | instskip(SKIP_1) | instid1(VALU_DEP_2)
	v_add_f64 v[27:28], v[27:28], v[34:35]
	v_ldexp_f64 v[34:35], v[42:43], 2
	v_add_f64 v[27:28], v[32:33], v[27:28]
	s_delay_alu instid0(VALU_DEP_2) | instskip(NEXT) | instid1(VALU_DEP_2)
	v_add_f64 v[42:43], v[38:39], v[34:35]
	v_add_f64 v[25:26], v[25:26], v[27:28]
	s_delay_alu instid0(VALU_DEP_2) | instskip(NEXT) | instid1(VALU_DEP_2)
	v_cmp_gt_f64_e32 vcc_lo, 0, v[42:43]
	v_add_f64 v[25:26], v[30:31], v[25:26]
	v_cndmask_b32_e64 v18, 0, 0x40100000, vcc_lo
	s_delay_alu instid0(VALU_DEP_1) | instskip(NEXT) | instid1(VALU_DEP_1)
	v_add_f64 v[27:28], v[34:35], v[17:18]
	v_add_f64 v[32:33], v[38:39], v[27:28]
	s_delay_alu instid0(VALU_DEP_1) | instskip(NEXT) | instid1(VALU_DEP_1)
	v_cvt_i32_f64_e32 v34, v[32:33]
	v_cvt_f64_i32_e32 v[32:33], v34
	s_delay_alu instid0(VALU_DEP_1) | instskip(NEXT) | instid1(VALU_DEP_1)
	v_add_f64 v[27:28], v[27:28], -v[32:33]
	v_add_f64 v[30:31], v[38:39], v[27:28]
	s_delay_alu instid0(VALU_DEP_1) | instskip(SKIP_1) | instid1(VALU_DEP_2)
	v_add_f64 v[27:28], v[30:31], -v[27:28]
	v_cmp_le_f64_e32 vcc_lo, 0.5, v[30:31]
	v_add_f64 v[27:28], v[38:39], -v[27:28]
	v_cndmask_b32_e64 v18, 0, 0x3ff00000, vcc_lo
	s_delay_alu instid0(VALU_DEP_1) | instskip(SKIP_1) | instid1(VALU_DEP_4)
	v_add_f64 v[30:31], v[30:31], -v[17:18]
	v_add_co_ci_u32_e32 v18, vcc_lo, 0, v34, vcc_lo
	v_add_f64 v[25:26], v[25:26], v[27:28]
	s_delay_alu instid0(VALU_DEP_1) | instskip(NEXT) | instid1(VALU_DEP_1)
	v_add_f64 v[27:28], v[30:31], v[25:26]
	v_add_f64 v[30:31], v[27:28], -v[30:31]
	s_delay_alu instid0(VALU_DEP_1) | instskip(SKIP_1) | instid1(VALU_DEP_1)
	v_add_f64 v[25:26], v[25:26], -v[30:31]
	v_mul_f64 v[30:31], v[27:28], s[2:3]
	v_fma_f64 v[32:33], v[27:28], s[2:3], -v[30:31]
	s_delay_alu instid0(VALU_DEP_1) | instskip(NEXT) | instid1(VALU_DEP_1)
	v_fma_f64 v[27:28], v[27:28], s[16:17], v[32:33]
	v_fma_f64 v[27:28], v[25:26], s[2:3], v[27:28]
	s_delay_alu instid0(VALU_DEP_1) | instskip(NEXT) | instid1(VALU_DEP_1)
	v_add_f64 v[25:26], v[30:31], v[27:28]
	v_add_f64 v[30:31], v[25:26], -v[30:31]
	s_delay_alu instid0(VALU_DEP_1)
	v_add_f64 v[27:28], v[27:28], -v[30:31]
	s_and_not1_saveexec_b32 s2, s14
	s_cbranch_execnz .LBB156_137
	s_branch .LBB156_138
.LBB156_136:                            ;   in Loop: Header=BB156_7 Depth=1
	s_and_not1_saveexec_b32 s2, s14
	s_cbranch_execz .LBB156_138
.LBB156_137:                            ;   in Loop: Header=BB156_7 Depth=1
	v_mul_f64 v[25:26], |v[7:8]|, s[18:19]
	s_mov_b32 s14, s20
	s_delay_alu instid0(VALU_DEP_1) | instskip(NEXT) | instid1(VALU_DEP_1)
	v_rndne_f64_e32 v[30:31], v[25:26]
	v_fma_f64 v[25:26], v[30:31], s[10:11], |v[7:8]|
	v_mul_f64 v[27:28], v[30:31], s[20:21]
	v_cvt_i32_f64_e32 v18, v[30:31]
	s_delay_alu instid0(VALU_DEP_3) | instskip(NEXT) | instid1(VALU_DEP_3)
	v_fma_f64 v[34:35], v[30:31], s[20:21], v[25:26]
	v_add_f64 v[32:33], v[25:26], v[27:28]
	s_delay_alu instid0(VALU_DEP_1) | instskip(NEXT) | instid1(VALU_DEP_3)
	v_add_f64 v[25:26], v[25:26], -v[32:33]
	v_add_f64 v[32:33], v[32:33], -v[34:35]
	s_delay_alu instid0(VALU_DEP_2) | instskip(SKIP_1) | instid1(VALU_DEP_2)
	v_add_f64 v[25:26], v[25:26], v[27:28]
	v_fma_f64 v[27:28], v[30:31], s[14:15], v[27:28]
	v_add_f64 v[25:26], v[32:33], v[25:26]
	s_delay_alu instid0(VALU_DEP_1) | instskip(NEXT) | instid1(VALU_DEP_1)
	v_add_f64 v[25:26], v[25:26], -v[27:28]
	v_fma_f64 v[27:28], v[30:31], s[22:23], v[25:26]
	s_delay_alu instid0(VALU_DEP_1) | instskip(NEXT) | instid1(VALU_DEP_1)
	v_add_f64 v[25:26], v[34:35], v[27:28]
	v_add_f64 v[32:33], v[25:26], -v[34:35]
	s_delay_alu instid0(VALU_DEP_1)
	v_add_f64 v[27:28], v[27:28], -v[32:33]
.LBB156_138:                            ;   in Loop: Header=BB156_7 Depth=1
	s_or_b32 exec_lo, exec_lo, s2
	v_mul_f64 v[30:31], v[21:22], v[21:22]
	s_delay_alu instid0(VALU_DEP_2) | instskip(NEXT) | instid1(VALU_DEP_3)
	v_mul_f64 v[40:41], v[23:24], 0.5
	v_mul_f64 v[46:47], v[27:28], 0.5
	s_mov_b32 s34, s36
	s_mov_b32 s81, s31
	s_mov_b32 s83, s37
	s_mov_b32 s2, 0x3ff00000
	s_delay_alu instid0(VALU_DEP_3) | instskip(SKIP_1) | instid1(VALU_DEP_2)
	v_mul_f64 v[32:33], v[30:31], 0.5
	v_mul_f64 v[42:43], v[21:22], -v[30:31]
	v_add_f64 v[34:35], -v[32:33], 1.0
	s_delay_alu instid0(VALU_DEP_1) | instskip(NEXT) | instid1(VALU_DEP_1)
	v_add_f64 v[38:39], -v[34:35], 1.0
	v_add_f64 v[32:33], v[38:39], -v[32:33]
	v_fma_f64 v[38:39], v[30:31], s[102:103], s[100:101]
	s_delay_alu instid0(VALU_DEP_2) | instskip(NEXT) | instid1(VALU_DEP_2)
	v_fma_f64 v[32:33], v[21:22], -v[23:24], v[32:33]
	v_fma_f64 v[38:39], v[30:31], v[38:39], s[24:25]
	s_delay_alu instid0(VALU_DEP_1) | instskip(NEXT) | instid1(VALU_DEP_1)
	v_fma_f64 v[38:39], v[30:31], v[38:39], s[26:27]
	v_fma_f64 v[38:39], v[30:31], v[38:39], s[30:31]
	s_delay_alu instid0(VALU_DEP_1) | instskip(NEXT) | instid1(VALU_DEP_1)
	v_fma_f64 v[38:39], v[42:43], v[38:39], v[40:41]
	v_fma_f64 v[23:24], v[30:31], v[38:39], -v[23:24]
	v_fma_f64 v[38:39], v[30:31], s[92:93], s[90:91]
	s_delay_alu instid0(VALU_DEP_2) | instskip(NEXT) | instid1(VALU_DEP_2)
	v_fma_f64 v[23:24], v[42:43], s[34:35], v[23:24]
	v_fma_f64 v[38:39], v[30:31], v[38:39], s[94:95]
	s_delay_alu instid0(VALU_DEP_2) | instskip(NEXT) | instid1(VALU_DEP_2)
	v_add_f64 v[21:22], v[21:22], -v[23:24]
	v_fma_f64 v[38:39], v[30:31], v[38:39], s[96:97]
	s_delay_alu instid0(VALU_DEP_1) | instskip(NEXT) | instid1(VALU_DEP_1)
	v_fma_f64 v[38:39], v[30:31], v[38:39], s[98:99]
	v_fma_f64 v[38:39], v[30:31], v[38:39], s[36:37]
	v_mul_f64 v[30:31], v[30:31], v[30:31]
	s_delay_alu instid0(VALU_DEP_1) | instskip(SKIP_1) | instid1(VALU_DEP_2)
	v_fma_f64 v[30:31], v[30:31], v[38:39], v[32:33]
	v_mul_f64 v[32:33], v[25:26], v[25:26]
	v_add_f64 v[30:31], v[34:35], v[30:31]
	s_delay_alu instid0(VALU_DEP_2) | instskip(SKIP_2) | instid1(VALU_DEP_1)
	v_mul_f64 v[38:39], v[32:33], 0.5
	v_mul_f64 v[48:49], v[25:26], -v[32:33]
	v_and_b32_e32 v7, 1, v29
	v_cmp_eq_u32_e32 vcc_lo, 0, v7
	v_cndmask_b32_e32 v22, v31, v22, vcc_lo
	v_add_f64 v[40:41], -v[38:39], 1.0
	v_cndmask_b32_e32 v7, v30, v21, vcc_lo
	s_delay_alu instid0(VALU_DEP_2) | instskip(NEXT) | instid1(VALU_DEP_1)
	v_add_f64 v[44:45], -v[40:41], 1.0
	v_add_f64 v[38:39], v[44:45], -v[38:39]
	v_fma_f64 v[44:45], v[32:33], s[102:103], s[100:101]
	s_delay_alu instid0(VALU_DEP_2) | instskip(NEXT) | instid1(VALU_DEP_2)
	v_fma_f64 v[38:39], v[25:26], -v[27:28], v[38:39]
	v_fma_f64 v[44:45], v[32:33], v[44:45], s[24:25]
	s_delay_alu instid0(VALU_DEP_1) | instskip(NEXT) | instid1(VALU_DEP_1)
	v_fma_f64 v[44:45], v[32:33], v[44:45], s[26:27]
	v_fma_f64 v[44:45], v[32:33], v[44:45], s[30:31]
	s_delay_alu instid0(VALU_DEP_1) | instskip(NEXT) | instid1(VALU_DEP_1)
	v_fma_f64 v[44:45], v[48:49], v[44:45], v[46:47]
	v_fma_f64 v[27:28], v[32:33], v[44:45], -v[27:28]
	v_fma_f64 v[44:45], v[32:33], s[92:93], s[90:91]
	s_delay_alu instid0(VALU_DEP_2) | instskip(NEXT) | instid1(VALU_DEP_2)
	v_fma_f64 v[27:28], v[48:49], s[34:35], v[27:28]
	v_fma_f64 v[44:45], v[32:33], v[44:45], s[94:95]
	s_delay_alu instid0(VALU_DEP_2) | instskip(NEXT) | instid1(VALU_DEP_2)
	v_add_f64 v[23:24], v[25:26], -v[27:28]
	v_fma_f64 v[44:45], v[32:33], v[44:45], s[96:97]
	s_delay_alu instid0(VALU_DEP_1) | instskip(NEXT) | instid1(VALU_DEP_1)
	v_fma_f64 v[44:45], v[32:33], v[44:45], s[98:99]
	v_fma_f64 v[44:45], v[32:33], v[44:45], s[36:37]
	v_mul_f64 v[32:33], v[32:33], v[32:33]
	s_delay_alu instid0(VALU_DEP_1) | instskip(NEXT) | instid1(VALU_DEP_1)
	v_fma_f64 v[32:33], v[32:33], v[44:45], v[38:39]
	v_add_f64 v[25:26], v[40:41], v[32:33]
	v_lshlrev_b32_e32 v21, 30, v29
	s_delay_alu instid0(VALU_DEP_1) | instskip(SKIP_2) | instid1(VALU_DEP_3)
	v_xor_b32_e32 v8, v21, v8
	v_and_b32_e32 v21, 1, v18
	v_lshlrev_b32_e32 v18, 30, v18
	v_and_b32_e32 v8, 0x80000000, v8
	s_delay_alu instid0(VALU_DEP_3) | instskip(NEXT) | instid1(VALU_DEP_2)
	v_cmp_eq_u32_e32 vcc_lo, 0, v21
	v_xor_b32_e32 v8, v22, v8
	v_xor_b32_e32 v22, 0x80000000, v24
	s_delay_alu instid0(VALU_DEP_2) | instskip(SKIP_2) | instid1(VALU_DEP_4)
	v_mul_f64 v[7:8], v[7:8], 4.0
	v_cndmask_b32_e32 v21, v23, v25, vcc_lo
	v_mul_f64 v[23:24], |v[5:6]|, s[62:63]
	v_cndmask_b32_e32 v22, v22, v26, vcc_lo
	v_cmp_nlt_f64_e64 vcc_lo, 0x4090cc00, |v[5:6]|
	v_and_b32_e32 v18, 0x80000000, v18
	s_delay_alu instid0(VALU_DEP_1) | instskip(NEXT) | instid1(VALU_DEP_1)
	v_xor_b32_e32 v22, v22, v18
	v_mul_f64 v[7:8], v[7:8], v[21:22]
	v_rndne_f64_e32 v[23:24], v[23:24]
	s_delay_alu instid0(VALU_DEP_1) | instskip(SKIP_1) | instid1(VALU_DEP_2)
	v_fma_f64 v[25:26], v[23:24], s[28:29], -|v[5:6]|
	v_cvt_i32_f64_e32 v18, v[23:24]
	v_fma_f64 v[25:26], v[23:24], s[58:59], v[25:26]
	s_delay_alu instid0(VALU_DEP_1) | instskip(NEXT) | instid1(VALU_DEP_1)
	v_fma_f64 v[27:28], v[25:26], s[70:71], s[68:69]
	v_fma_f64 v[27:28], v[25:26], v[27:28], s[72:73]
	s_delay_alu instid0(VALU_DEP_1) | instskip(NEXT) | instid1(VALU_DEP_1)
	v_fma_f64 v[27:28], v[25:26], v[27:28], s[74:75]
	;; [unrolled: 3-line block ×5, first 2 shown]
	v_fma_f64 v[27:28], v[25:26], v[27:28], 1.0
	s_delay_alu instid0(VALU_DEP_1) | instskip(NEXT) | instid1(VALU_DEP_1)
	v_fma_f64 v[25:26], v[25:26], v[27:28], 1.0
	v_ldexp_f64 v[23:24], v[25:26], v18
	v_bfi_b32 v18, 0x7fffffff, s2, v6
	s_delay_alu instid0(VALU_DEP_1) | instskip(NEXT) | instid1(VALU_DEP_3)
	v_dual_mov_b32 v5, v17 :: v_dual_mov_b32 v6, v18
	v_dual_cndmask_b32 v22, 0, v24 :: v_dual_cndmask_b32 v21, 0, v23
	s_delay_alu instid0(VALU_DEP_1) | instskip(NEXT) | instid1(VALU_DEP_1)
	v_mul_f64 v[7:8], v[21:22], v[7:8]
	v_mul_f64 v[7:8], v[21:22], v[7:8]
.LBB156_139:                            ;   in Loop: Header=BB156_7 Depth=1
	s_or_b32 exec_lo, exec_lo, s55
.LBB156_140:                            ;   in Loop: Header=BB156_7 Depth=1
	s_and_not1_saveexec_b32 s2, s43
; %bb.141:                              ;   in Loop: Header=BB156_7 Depth=1
	s_delay_alu instid0(VALU_DEP_1) | instskip(NEXT) | instid1(VALU_DEP_1)
	v_add_f64 v[7:8], v[7:8], -v[7:8]
	v_dual_mov_b32 v5, v7 :: v_dual_mov_b32 v6, v8
; %bb.142:                              ;   in Loop: Header=BB156_7 Depth=1
	s_or_b32 exec_lo, exec_lo, s2
.LBB156_143:                            ;   in Loop: Header=BB156_7 Depth=1
	s_and_not1_saveexec_b32 s42, s42
	s_cbranch_execz .LBB156_6
; %bb.144:                              ;   in Loop: Header=BB156_7 Depth=1
	s_delay_alu instid0(VALU_DEP_1) | instskip(SKIP_1) | instid1(VALU_DEP_1)
	v_and_or_b32 v18, 0xfffff, v6, v5
	s_mov_b32 s2, exec_lo
	v_cmpx_ne_u32_e32 0, v18
	s_xor_b32 s2, exec_lo, s2
; %bb.145:                              ;   in Loop: Header=BB156_7 Depth=1
	v_mul_f64 v[21:22], v[5:6], v[7:8]
	v_cmp_eq_f64_e32 vcc_lo, 0, v[7:8]
	s_delay_alu instid0(VALU_DEP_2)
	v_dual_cndmask_b32 v8, v22, v8 :: v_dual_cndmask_b32 v7, v21, v7
; %bb.146:                              ;   in Loop: Header=BB156_7 Depth=1
	s_and_not1_saveexec_b32 s43, s2
	s_cbranch_execz .LBB156_5
; %bb.147:                              ;   in Loop: Header=BB156_7 Depth=1
	s_mov_b32 s55, exec_lo
	s_delay_alu instid0(VALU_DEP_1)
	v_cmpx_neq_f64_e64 0x7ff00000, |v[7:8]|
	s_cbranch_execz .LBB156_4
; %bb.148:                              ;   in Loop: Header=BB156_7 Depth=1
	v_cmp_ngt_f64_e64 s34, 0x41d00000, |v[7:8]|
	v_trig_preop_f64 v[29:30], |v[7:8]|, 0
	v_trig_preop_f64 v[27:28], |v[7:8]|, 1
	v_ldexp_f64 v[31:32], |v[7:8]|, 0xffffff80
	v_trig_preop_f64 v[25:26], |v[7:8]|, 2
	v_and_b32_e32 v39, 0x7fffffff, v8
                                        ; implicit-def: $vgpr38
                                        ; implicit-def: $vgpr21_vgpr22
                                        ; implicit-def: $vgpr23_vgpr24
	s_and_saveexec_b32 s2, s34
	s_delay_alu instid0(SALU_CYCLE_1)
	s_xor_b32 s14, exec_lo, s2
	s_cbranch_execz .LBB156_150
; %bb.149:                              ;   in Loop: Header=BB156_7 Depth=1
	v_cmp_le_f64_e64 vcc_lo, 0x7b000000, |v[7:8]|
	s_mov_b32 s2, s10
	s_mov_b32 s17, s15
	s_delay_alu instid0(VALU_DEP_4) | instskip(SKIP_1) | instid1(VALU_DEP_1)
	v_cndmask_b32_e32 v22, v39, v32, vcc_lo
	v_cndmask_b32_e32 v21, v7, v31, vcc_lo
	v_mul_f64 v[23:24], v[29:30], v[21:22]
	v_mul_f64 v[33:34], v[27:28], v[21:22]
	s_delay_alu instid0(VALU_DEP_2) | instskip(NEXT) | instid1(VALU_DEP_1)
	v_fma_f64 v[35:36], v[29:30], v[21:22], -v[23:24]
	v_add_f64 v[40:41], v[33:34], v[35:36]
	s_delay_alu instid0(VALU_DEP_1) | instskip(SKIP_1) | instid1(VALU_DEP_2)
	v_add_f64 v[42:43], v[40:41], -v[33:34]
	v_add_f64 v[44:45], v[23:24], v[40:41]
	v_add_f64 v[35:36], v[35:36], -v[42:43]
	s_delay_alu instid0(VALU_DEP_2) | instskip(SKIP_1) | instid1(VALU_DEP_2)
	v_add_f64 v[23:24], v[44:45], -v[23:24]
	v_add_f64 v[42:43], v[40:41], -v[42:43]
	v_add_f64 v[23:24], v[40:41], -v[23:24]
	s_delay_alu instid0(VALU_DEP_2) | instskip(NEXT) | instid1(VALU_DEP_1)
	v_add_f64 v[40:41], v[33:34], -v[42:43]
	v_add_f64 v[35:36], v[35:36], v[40:41]
	v_ldexp_f64 v[40:41], v[44:45], -2
	s_delay_alu instid0(VALU_DEP_1) | instskip(SKIP_1) | instid1(VALU_DEP_1)
	v_cmp_neq_f64_e64 vcc_lo, 0x7ff00000, |v[40:41]|
	v_fract_f64_e32 v[40:41], v[40:41]
	v_dual_cndmask_b32 v40, 0, v40 :: v_dual_cndmask_b32 v41, 0, v41
	v_fma_f64 v[33:34], v[27:28], v[21:22], -v[33:34]
	v_mul_f64 v[42:43], v[25:26], v[21:22]
	s_delay_alu instid0(VALU_DEP_3) | instskip(NEXT) | instid1(VALU_DEP_2)
	v_ldexp_f64 v[40:41], v[40:41], 2
	v_add_f64 v[44:45], v[42:43], v[33:34]
	v_fma_f64 v[21:22], v[25:26], v[21:22], -v[42:43]
	s_delay_alu instid0(VALU_DEP_2) | instskip(SKIP_1) | instid1(VALU_DEP_2)
	v_add_f64 v[48:49], v[44:45], v[35:36]
	v_add_f64 v[46:47], v[44:45], -v[42:43]
	v_add_f64 v[50:51], v[48:49], -v[44:45]
	s_delay_alu instid0(VALU_DEP_2) | instskip(SKIP_1) | instid1(VALU_DEP_3)
	v_add_f64 v[33:34], v[33:34], -v[46:47]
	v_add_f64 v[46:47], v[44:45], -v[46:47]
	;; [unrolled: 1-line block ×4, first 2 shown]
	s_delay_alu instid0(VALU_DEP_3) | instskip(SKIP_1) | instid1(VALU_DEP_3)
	v_add_f64 v[46:47], v[42:43], -v[46:47]
	v_add_f64 v[42:43], v[23:24], v[48:49]
	v_add_f64 v[44:45], v[44:45], -v[50:51]
	s_delay_alu instid0(VALU_DEP_3) | instskip(NEXT) | instid1(VALU_DEP_3)
	v_add_f64 v[33:34], v[33:34], v[46:47]
	v_add_f64 v[23:24], v[42:43], -v[23:24]
	s_delay_alu instid0(VALU_DEP_3) | instskip(SKIP_1) | instid1(VALU_DEP_3)
	v_add_f64 v[35:36], v[35:36], v[44:45]
	v_add_f64 v[44:45], v[42:43], v[40:41]
	v_add_f64 v[23:24], v[48:49], -v[23:24]
	s_delay_alu instid0(VALU_DEP_3) | instskip(NEXT) | instid1(VALU_DEP_3)
	v_add_f64 v[33:34], v[33:34], v[35:36]
	v_cmp_gt_f64_e32 vcc_lo, 0, v[44:45]
	s_delay_alu instid0(VALU_DEP_2) | instskip(SKIP_1) | instid1(VALU_DEP_1)
	v_add_f64 v[21:22], v[21:22], v[33:34]
	v_cndmask_b32_e64 v18, 0, 0x40100000, vcc_lo
	v_add_f64 v[33:34], v[40:41], v[17:18]
	s_delay_alu instid0(VALU_DEP_3) | instskip(NEXT) | instid1(VALU_DEP_2)
	v_add_f64 v[21:22], v[23:24], v[21:22]
	v_add_f64 v[35:36], v[42:43], v[33:34]
	s_delay_alu instid0(VALU_DEP_1) | instskip(NEXT) | instid1(VALU_DEP_1)
	v_cvt_i32_f64_e32 v38, v[35:36]
	v_cvt_f64_i32_e32 v[35:36], v38
	s_delay_alu instid0(VALU_DEP_1) | instskip(NEXT) | instid1(VALU_DEP_1)
	v_add_f64 v[33:34], v[33:34], -v[35:36]
	v_add_f64 v[23:24], v[42:43], v[33:34]
	s_delay_alu instid0(VALU_DEP_1) | instskip(SKIP_1) | instid1(VALU_DEP_2)
	v_add_f64 v[33:34], v[23:24], -v[33:34]
	v_cmp_le_f64_e32 vcc_lo, 0.5, v[23:24]
	v_add_f64 v[33:34], v[42:43], -v[33:34]
	v_cndmask_b32_e64 v18, 0, 0x3ff00000, vcc_lo
	v_add_co_ci_u32_e32 v38, vcc_lo, 0, v38, vcc_lo
	s_delay_alu instid0(VALU_DEP_2) | instskip(NEXT) | instid1(VALU_DEP_4)
	v_add_f64 v[23:24], v[23:24], -v[17:18]
	v_add_f64 v[21:22], v[21:22], v[33:34]
	s_delay_alu instid0(VALU_DEP_1) | instskip(NEXT) | instid1(VALU_DEP_1)
	v_add_f64 v[33:34], v[23:24], v[21:22]
	v_add_f64 v[23:24], v[33:34], -v[23:24]
	s_delay_alu instid0(VALU_DEP_1) | instskip(SKIP_1) | instid1(VALU_DEP_1)
	v_add_f64 v[21:22], v[21:22], -v[23:24]
	v_mul_f64 v[23:24], v[33:34], s[2:3]
	v_fma_f64 v[35:36], v[33:34], s[2:3], -v[23:24]
	s_delay_alu instid0(VALU_DEP_1) | instskip(NEXT) | instid1(VALU_DEP_1)
	v_fma_f64 v[33:34], v[33:34], s[16:17], v[35:36]
	v_fma_f64 v[33:34], v[21:22], s[2:3], v[33:34]
	s_delay_alu instid0(VALU_DEP_1) | instskip(NEXT) | instid1(VALU_DEP_1)
	v_add_f64 v[21:22], v[23:24], v[33:34]
	v_add_f64 v[23:24], v[21:22], -v[23:24]
	s_delay_alu instid0(VALU_DEP_1)
	v_add_f64 v[23:24], v[33:34], -v[23:24]
	s_and_not1_saveexec_b32 s2, s14
	s_cbranch_execz .LBB156_152
	s_branch .LBB156_151
.LBB156_150:                            ;   in Loop: Header=BB156_7 Depth=1
	s_and_not1_saveexec_b32 s2, s14
	s_cbranch_execz .LBB156_152
.LBB156_151:                            ;   in Loop: Header=BB156_7 Depth=1
	v_mul_f64 v[21:22], |v[7:8]|, s[18:19]
	s_mov_b32 s14, s20
	s_delay_alu instid0(VALU_DEP_1) | instskip(NEXT) | instid1(VALU_DEP_1)
	v_rndne_f64_e32 v[33:34], v[21:22]
	v_fma_f64 v[21:22], v[33:34], s[10:11], |v[7:8]|
	v_mul_f64 v[23:24], v[33:34], s[20:21]
	v_cvt_i32_f64_e32 v38, v[33:34]
	s_delay_alu instid0(VALU_DEP_3) | instskip(NEXT) | instid1(VALU_DEP_3)
	v_fma_f64 v[40:41], v[33:34], s[20:21], v[21:22]
	v_add_f64 v[35:36], v[21:22], v[23:24]
	s_delay_alu instid0(VALU_DEP_1) | instskip(NEXT) | instid1(VALU_DEP_3)
	v_add_f64 v[21:22], v[21:22], -v[35:36]
	v_add_f64 v[35:36], v[35:36], -v[40:41]
	s_delay_alu instid0(VALU_DEP_2) | instskip(SKIP_1) | instid1(VALU_DEP_2)
	v_add_f64 v[21:22], v[21:22], v[23:24]
	v_fma_f64 v[23:24], v[33:34], s[14:15], v[23:24]
	v_add_f64 v[21:22], v[35:36], v[21:22]
	s_delay_alu instid0(VALU_DEP_1) | instskip(NEXT) | instid1(VALU_DEP_1)
	v_add_f64 v[21:22], v[21:22], -v[23:24]
	v_fma_f64 v[23:24], v[33:34], s[22:23], v[21:22]
	s_delay_alu instid0(VALU_DEP_1) | instskip(NEXT) | instid1(VALU_DEP_1)
	v_add_f64 v[21:22], v[40:41], v[23:24]
	v_add_f64 v[35:36], v[21:22], -v[40:41]
	s_delay_alu instid0(VALU_DEP_1)
	v_add_f64 v[23:24], v[23:24], -v[35:36]
.LBB156_152:                            ;   in Loop: Header=BB156_7 Depth=1
	s_or_b32 exec_lo, exec_lo, s2
                                        ; implicit-def: $vgpr18
                                        ; implicit-def: $vgpr33_vgpr34
                                        ; implicit-def: $vgpr35_vgpr36
	s_and_saveexec_b32 s2, s34
	s_delay_alu instid0(SALU_CYCLE_1)
	s_xor_b32 s14, exec_lo, s2
	s_cbranch_execz .LBB156_154
; %bb.153:                              ;   in Loop: Header=BB156_7 Depth=1
	v_cmp_le_f64_e64 vcc_lo, 0x7b000000, |v[7:8]|
	s_mov_b32 s2, s10
	s_mov_b32 s17, s15
	s_delay_alu instid0(VALU_DEP_4) | instskip(SKIP_1) | instid1(VALU_DEP_1)
	v_cndmask_b32_e32 v32, v39, v32, vcc_lo
	v_cndmask_b32_e32 v31, v7, v31, vcc_lo
	v_mul_f64 v[33:34], v[29:30], v[31:32]
	v_mul_f64 v[35:36], v[27:28], v[31:32]
	;; [unrolled: 1-line block ×3, first 2 shown]
	s_delay_alu instid0(VALU_DEP_3) | instskip(NEXT) | instid1(VALU_DEP_3)
	v_fma_f64 v[29:30], v[29:30], v[31:32], -v[33:34]
	v_fma_f64 v[27:28], v[27:28], v[31:32], -v[35:36]
	s_delay_alu instid0(VALU_DEP_3) | instskip(NEXT) | instid1(VALU_DEP_3)
	v_fma_f64 v[25:26], v[25:26], v[31:32], -v[39:40]
	v_add_f64 v[31:32], v[35:36], v[29:30]
	s_delay_alu instid0(VALU_DEP_1) | instskip(NEXT) | instid1(VALU_DEP_1)
	v_add_f64 v[41:42], v[31:32], -v[35:36]
	v_add_f64 v[29:30], v[29:30], -v[41:42]
	;; [unrolled: 1-line block ×3, first 2 shown]
	s_delay_alu instid0(VALU_DEP_1) | instskip(SKIP_1) | instid1(VALU_DEP_2)
	v_add_f64 v[35:36], v[35:36], -v[41:42]
	v_add_f64 v[41:42], v[33:34], v[31:32]
	v_add_f64 v[29:30], v[29:30], v[35:36]
	s_delay_alu instid0(VALU_DEP_2) | instskip(SKIP_1) | instid1(VALU_DEP_2)
	v_add_f64 v[33:34], v[41:42], -v[33:34]
	v_ldexp_f64 v[41:42], v[41:42], -2
	v_add_f64 v[31:32], v[31:32], -v[33:34]
	v_add_f64 v[33:34], v[39:40], v[27:28]
	s_delay_alu instid0(VALU_DEP_3) | instskip(SKIP_1) | instid1(VALU_DEP_3)
	v_cmp_neq_f64_e64 vcc_lo, 0x7ff00000, |v[41:42]|
	v_fract_f64_e32 v[41:42], v[41:42]
	v_add_f64 v[35:36], v[33:34], -v[39:40]
	s_delay_alu instid0(VALU_DEP_2) | instskip(NEXT) | instid1(VALU_DEP_2)
	v_dual_cndmask_b32 v42, 0, v42 :: v_dual_cndmask_b32 v41, 0, v41
	v_add_f64 v[27:28], v[27:28], -v[35:36]
	v_add_f64 v[35:36], v[33:34], -v[35:36]
	s_delay_alu instid0(VALU_DEP_1) | instskip(SKIP_1) | instid1(VALU_DEP_2)
	v_add_f64 v[35:36], v[39:40], -v[35:36]
	v_add_f64 v[39:40], v[33:34], v[29:30]
	v_add_f64 v[27:28], v[27:28], v[35:36]
	s_delay_alu instid0(VALU_DEP_2) | instskip(SKIP_1) | instid1(VALU_DEP_2)
	v_add_f64 v[43:44], v[39:40], -v[33:34]
	v_add_f64 v[35:36], v[31:32], v[39:40]
	v_add_f64 v[29:30], v[29:30], -v[43:44]
	v_add_f64 v[43:44], v[39:40], -v[43:44]
	s_delay_alu instid0(VALU_DEP_1) | instskip(NEXT) | instid1(VALU_DEP_1)
	v_add_f64 v[33:34], v[33:34], -v[43:44]
	v_add_f64 v[29:30], v[29:30], v[33:34]
	v_ldexp_f64 v[33:34], v[41:42], 2
	s_delay_alu instid0(VALU_DEP_2) | instskip(NEXT) | instid1(VALU_DEP_2)
	v_add_f64 v[27:28], v[27:28], v[29:30]
	v_add_f64 v[41:42], v[35:36], v[33:34]
	v_add_f64 v[29:30], v[35:36], -v[31:32]
	s_delay_alu instid0(VALU_DEP_3) | instskip(NEXT) | instid1(VALU_DEP_3)
	v_add_f64 v[25:26], v[25:26], v[27:28]
	v_cmp_gt_f64_e32 vcc_lo, 0, v[41:42]
	s_delay_alu instid0(VALU_DEP_3) | instskip(SKIP_1) | instid1(VALU_DEP_2)
	v_add_f64 v[29:30], v[39:40], -v[29:30]
	v_cndmask_b32_e64 v18, 0, 0x40100000, vcc_lo
	v_add_f64 v[25:26], v[29:30], v[25:26]
	s_delay_alu instid0(VALU_DEP_2) | instskip(NEXT) | instid1(VALU_DEP_1)
	v_add_f64 v[27:28], v[33:34], v[17:18]
	v_add_f64 v[31:32], v[35:36], v[27:28]
	s_delay_alu instid0(VALU_DEP_1) | instskip(NEXT) | instid1(VALU_DEP_1)
	v_cvt_i32_f64_e32 v39, v[31:32]
	v_cvt_f64_i32_e32 v[31:32], v39
	s_delay_alu instid0(VALU_DEP_1) | instskip(NEXT) | instid1(VALU_DEP_1)
	v_add_f64 v[27:28], v[27:28], -v[31:32]
	v_add_f64 v[29:30], v[35:36], v[27:28]
	s_delay_alu instid0(VALU_DEP_1) | instskip(SKIP_1) | instid1(VALU_DEP_2)
	v_add_f64 v[27:28], v[29:30], -v[27:28]
	v_cmp_le_f64_e32 vcc_lo, 0.5, v[29:30]
	v_add_f64 v[27:28], v[35:36], -v[27:28]
	v_cndmask_b32_e64 v18, 0, 0x3ff00000, vcc_lo
	s_delay_alu instid0(VALU_DEP_1) | instskip(SKIP_1) | instid1(VALU_DEP_4)
	v_add_f64 v[29:30], v[29:30], -v[17:18]
	v_add_co_ci_u32_e32 v18, vcc_lo, 0, v39, vcc_lo
	v_add_f64 v[25:26], v[25:26], v[27:28]
	s_delay_alu instid0(VALU_DEP_1) | instskip(NEXT) | instid1(VALU_DEP_1)
	v_add_f64 v[27:28], v[29:30], v[25:26]
	v_add_f64 v[29:30], v[27:28], -v[29:30]
	s_delay_alu instid0(VALU_DEP_1) | instskip(SKIP_1) | instid1(VALU_DEP_1)
	v_add_f64 v[25:26], v[25:26], -v[29:30]
	v_mul_f64 v[29:30], v[27:28], s[2:3]
	v_fma_f64 v[31:32], v[27:28], s[2:3], -v[29:30]
	s_delay_alu instid0(VALU_DEP_1) | instskip(NEXT) | instid1(VALU_DEP_1)
	v_fma_f64 v[27:28], v[27:28], s[16:17], v[31:32]
	v_fma_f64 v[25:26], v[25:26], s[2:3], v[27:28]
	s_delay_alu instid0(VALU_DEP_1) | instskip(NEXT) | instid1(VALU_DEP_1)
	v_add_f64 v[33:34], v[29:30], v[25:26]
	v_add_f64 v[27:28], v[33:34], -v[29:30]
	s_delay_alu instid0(VALU_DEP_1)
	v_add_f64 v[35:36], v[25:26], -v[27:28]
	s_and_not1_saveexec_b32 s2, s14
	s_cbranch_execz .LBB156_3
	s_branch .LBB156_155
.LBB156_154:                            ;   in Loop: Header=BB156_7 Depth=1
	s_and_not1_saveexec_b32 s2, s14
	s_cbranch_execz .LBB156_3
.LBB156_155:                            ;   in Loop: Header=BB156_7 Depth=1
	v_mul_f64 v[25:26], |v[7:8]|, s[18:19]
	s_mov_b32 s14, s20
	s_delay_alu instid0(VALU_DEP_1) | instskip(NEXT) | instid1(VALU_DEP_1)
	v_rndne_f64_e32 v[25:26], v[25:26]
	v_fma_f64 v[27:28], v[25:26], s[10:11], |v[7:8]|
	v_mul_f64 v[29:30], v[25:26], s[20:21]
	v_cvt_i32_f64_e32 v18, v[25:26]
	s_delay_alu instid0(VALU_DEP_3) | instskip(NEXT) | instid1(VALU_DEP_3)
	v_fma_f64 v[35:36], v[25:26], s[20:21], v[27:28]
	v_add_f64 v[31:32], v[27:28], v[29:30]
	s_delay_alu instid0(VALU_DEP_1) | instskip(NEXT) | instid1(VALU_DEP_3)
	v_add_f64 v[27:28], v[27:28], -v[31:32]
	v_add_f64 v[31:32], v[31:32], -v[35:36]
	s_delay_alu instid0(VALU_DEP_2) | instskip(SKIP_1) | instid1(VALU_DEP_2)
	v_add_f64 v[27:28], v[27:28], v[29:30]
	v_fma_f64 v[29:30], v[25:26], s[14:15], v[29:30]
	v_add_f64 v[27:28], v[31:32], v[27:28]
	s_delay_alu instid0(VALU_DEP_1) | instskip(NEXT) | instid1(VALU_DEP_1)
	v_add_f64 v[27:28], v[27:28], -v[29:30]
	v_fma_f64 v[27:28], v[25:26], s[22:23], v[27:28]
	s_delay_alu instid0(VALU_DEP_1) | instskip(NEXT) | instid1(VALU_DEP_1)
	v_add_f64 v[33:34], v[35:36], v[27:28]
	v_add_f64 v[29:30], v[33:34], -v[35:36]
	s_delay_alu instid0(VALU_DEP_1)
	v_add_f64 v[35:36], v[27:28], -v[29:30]
	s_branch .LBB156_3
.LBB156_156:
	s_delay_alu instid0(VALU_DEP_1) | instskip(NEXT) | instid1(VALU_DEP_1)
	v_readlane_b32 s2, v63, 0
	s_or_b32 exec_lo, exec_lo, s2
	s_mov_b32 s2, 0
.LBB156_157:
	s_delay_alu instid0(SALU_CYCLE_1)
	s_and_not1_b32 vcc_lo, exec_lo, s2
	s_cbranch_vccnz .LBB156_329
; %bb.158:
	v_cmp_lt_i64_e64 s2, s[8:9], 1
	s_delay_alu instid0(VALU_DEP_1)
	s_and_b32 vcc_lo, exec_lo, s2
	s_cbranch_vccnz .LBB156_329
; %bb.159:
	s_load_b32 s0, s[0:1], 0xc5c
	v_mov_b32_e32 v18, 0
	v_lshl_or_b32 v2, v0, 4, 8
	v_cmp_gt_u64_e64 s1, 0x10000, s[8:9]
	s_mov_b32 s45, 0
	s_mov_b32 s18, 0x54442d18
	v_mov_b32_e32 v3, v18
	v_add_co_u32 v28, s2, s4, v2
	v_add_co_u32 v29, s3, s12, v2
	v_mov_b32_e32 v1, v18
	v_add_co_ci_u32_e64 v40, null, s5, 0, s2
	v_add_co_ci_u32_e64 v41, null, s13, 0, s3
	s_mov_b32 s22, 0x6dc9c883
	s_mov_b32 s24, 0x33145c00
	;; [unrolled: 1-line block ×4, first 2 shown]
	s_waitcnt lgkmcnt(0)
	s_and_b32 s33, s0, 0xffff
	s_and_b32 s0, s1, exec_lo
	v_mad_u64_u32 v[4:5], null, s33, 48, v[2:3]
	s_cselect_b32 s15, s9, 0
	s_cselect_b32 s14, s8, 0x10000
	s_lshl_b32 s0, s33, 5
	v_add_lshl_u32 v3, v0, s33, 4
	v_add_co_u32 v2, s1, v2, s0
	s_delay_alu instid0(VALU_DEP_3)
	v_add_co_u32 v30, vcc_lo, s4, v4
	v_add_co_u32 v31, s0, s12, v4
	v_add_co_ci_u32_e32 v32, vcc_lo, s5, v5, vcc_lo
	v_add_co_ci_u32_e64 v33, vcc_lo, s13, v5, s0
	v_add_co_u32 v36, vcc_lo, s4, v2
	v_add_co_u32 v37, s0, s12, v2
	v_add_co_ci_u32_e64 v2, null, 0, 0, s1
	v_add_co_u32 v34, s10, s12, v3
	v_add_co_u32 v35, s11, s4, v3
	s_delay_alu instid0(VALU_DEP_3)
	v_add_co_ci_u32_e32 v38, vcc_lo, s5, v2, vcc_lo
	v_add_co_ci_u32_e64 v39, vcc_lo, s13, v2, s0
	v_add_co_ci_u32_e64 v42, null, s13, 0, s10
	v_add_co_ci_u32_e64 v43, null, s5, 0, s11
	s_lshl_b32 s44, s33, 2
	s_mov_b32 s56, 0x555554ee
	s_mov_b32 s58, 0xfefa39ef
	;; [unrolled: 1-line block ×26, first 2 shown]
	s_lshl_b32 s104, s33, 1
	s_mul_i32 vcc_hi, s33, 3
	s_lshl_b32 s46, s33, 6
	s_mov_b32 s49, 0x3ff00000
	s_mov_b32 s17, 0x3ff921fb
	;; [unrolled: 1-line block ×41, first 2 shown]
	s_mov_b64 s[10:11], s[44:45]
	s_branch .LBB156_161
.LBB156_160:                            ;   in Loop: Header=BB156_161 Depth=1
	s_or_b32 exec_lo, exec_lo, s0
	v_add_co_u32 v0, vcc_lo, v0, s44
	v_add_co_ci_u32_e32 v1, vcc_lo, 0, v1, vcc_lo
	v_add_co_u32 v28, vcc_lo, v28, s46
	v_add_co_ci_u32_e32 v40, vcc_lo, 0, v40, vcc_lo
	;; [unrolled: 2-line block ×7, first 2 shown]
	v_cmp_ge_i64_e64 s0, s[10:11], s[8:9]
	v_cmp_lt_u64_e64 s1, 0xffff, s[10:11]
	v_add_co_u32 v36, vcc_lo, v36, s46
	v_add_co_ci_u32_e32 v38, vcc_lo, 0, v38, vcc_lo
	v_add_co_u32 v37, vcc_lo, v37, s46
	v_add_co_ci_u32_e32 v39, vcc_lo, 0, v39, vcc_lo
	s_or_b32 s0, s0, s1
	s_add_u32 s10, s10, s44
	s_addc_u32 s11, s11, 0
	s_and_b32 vcc_lo, exec_lo, s0
	s_cbranch_vccnz .LBB156_329
.LBB156_161:                            ; =>This Inner Loop Header: Depth=1
	v_mov_b32_e32 v4, 0
	v_mov_b32_e32 v5, 0
	v_cmp_gt_u64_e64 s0, s[14:15], v[0:1]
	s_delay_alu instid0(VALU_DEP_2) | instskip(SKIP_1) | instid1(VALU_DEP_3)
	v_dual_mov_b32 v9, v5 :: v_dual_mov_b32 v8, v4
	v_dual_mov_b32 v7, v5 :: v_dual_mov_b32 v6, v4
	s_and_saveexec_b32 s1, s0
	s_cbranch_execz .LBB156_163
; %bb.162:                              ;   in Loop: Header=BB156_161 Depth=1
	v_add_co_u32 v2, vcc_lo, v28, s6
	v_add_co_ci_u32_e32 v3, vcc_lo, s7, v40, vcc_lo
	global_load_b128 v[6:9], v[2:3], off offset:-8
.LBB156_163:                            ;   in Loop: Header=BB156_161 Depth=1
	s_or_b32 exec_lo, exec_lo, s1
	v_add_co_u32 v2, vcc_lo, s33, v0
	v_add_co_ci_u32_e32 v3, vcc_lo, 0, v1, vcc_lo
	s_delay_alu instid0(VALU_DEP_1) | instskip(SKIP_1) | instid1(VALU_DEP_2)
	v_cmp_gt_u64_e64 s1, s[14:15], v[2:3]
	v_dual_mov_b32 v2, v4 :: v_dual_mov_b32 v3, v5
	s_and_saveexec_b32 s2, s1
	s_cbranch_execz .LBB156_165
; %bb.164:                              ;   in Loop: Header=BB156_161 Depth=1
	v_add_co_u32 v2, vcc_lo, v35, s6
	v_add_co_ci_u32_e32 v3, vcc_lo, s7, v43, vcc_lo
	global_load_b128 v[2:5], v[2:3], off
.LBB156_165:                            ;   in Loop: Header=BB156_161 Depth=1
	s_or_b32 exec_lo, exec_lo, s2
	v_add_co_u32 v10, vcc_lo, s104, v0
	v_mov_b32_e32 v12, 0
	v_add_co_ci_u32_e32 v11, vcc_lo, 0, v1, vcc_lo
	v_mov_b32_e32 v13, 0
	s_delay_alu instid0(VALU_DEP_2) | instskip(NEXT) | instid1(VALU_DEP_2)
	v_cmp_gt_u64_e64 s2, s[14:15], v[10:11]
	v_dual_mov_b32 v17, v13 :: v_dual_mov_b32 v16, v12
	v_dual_mov_b32 v15, v13 :: v_dual_mov_b32 v14, v12
	s_delay_alu instid0(VALU_DEP_3)
	s_and_saveexec_b32 s3, s2
	s_cbranch_execz .LBB156_167
; %bb.166:                              ;   in Loop: Header=BB156_161 Depth=1
	v_add_co_u32 v10, vcc_lo, v36, s6
	v_add_co_ci_u32_e32 v11, vcc_lo, s7, v38, vcc_lo
	global_load_b128 v[14:17], v[10:11], off offset:-8
.LBB156_167:                            ;   in Loop: Header=BB156_161 Depth=1
	s_or_b32 exec_lo, exec_lo, s3
	v_add_co_u32 v10, vcc_lo, vcc_hi, v0
	v_add_co_ci_u32_e32 v11, vcc_lo, 0, v1, vcc_lo
	s_delay_alu instid0(VALU_DEP_1) | instskip(SKIP_1) | instid1(VALU_DEP_2)
	v_cmp_gt_u64_e64 s3, s[14:15], v[10:11]
	v_dual_mov_b32 v10, v12 :: v_dual_mov_b32 v11, v13
	s_and_saveexec_b32 s4, s3
	s_cbranch_execz .LBB156_169
; %bb.168:                              ;   in Loop: Header=BB156_161 Depth=1
	v_add_co_u32 v10, vcc_lo, v30, s6
	v_add_co_ci_u32_e32 v11, vcc_lo, s7, v32, vcc_lo
	global_load_b128 v[10:13], v[10:11], off offset:-8
.LBB156_169:                            ;   in Loop: Header=BB156_161 Depth=1
	s_or_b32 exec_lo, exec_lo, s4
	s_waitcnt vmcnt(0)
	v_and_b32_e32 v23, 0x7fffffff, v7
	s_mov_b32 s4, exec_lo
	s_delay_alu instid0(VALU_DEP_1)
	v_cmpx_gt_u32_e32 0x7ff00000, v23
	s_xor_b32 s45, exec_lo, s4
	s_cbranch_execz .LBB156_190
; %bb.170:                              ;   in Loop: Header=BB156_161 Depth=1
	v_cmp_class_f64_e64 s4, v[8:9], 0x1f8
	s_delay_alu instid0(VALU_DEP_1) | instskip(NEXT) | instid1(SALU_CYCLE_1)
	s_and_saveexec_b32 s13, s4
	s_xor_b32 s47, exec_lo, s13
	s_cbranch_execz .LBB156_187
; %bb.171:                              ;   in Loop: Header=BB156_161 Depth=1
	s_mov_b32 s4, exec_lo
	v_cmpx_gt_u32_e32 0x40360000, v23
	s_xor_b32 s48, exec_lo, s4
	s_cbranch_execz .LBB156_177
; %bb.172:                              ;   in Loop: Header=BB156_161 Depth=1
	v_cmp_ngt_f64_e64 s4, 0x41d00000, |v[8:9]|
                                        ; implicit-def: $vgpr24
                                        ; implicit-def: $vgpr19_vgpr20
                                        ; implicit-def: $vgpr21_vgpr22
	s_delay_alu instid0(VALU_DEP_1) | instskip(NEXT) | instid1(SALU_CYCLE_1)
	s_and_saveexec_b32 s13, s4
	s_xor_b32 s4, exec_lo, s13
	s_cbranch_execz .LBB156_174
; %bb.173:                              ;   in Loop: Header=BB156_161 Depth=1
	v_ldexp_f64 v[19:20], |v[8:9]|, 0xffffff80
	v_cmp_le_f64_e64 vcc_lo, 0x7b000000, |v[8:9]|
	v_trig_preop_f64 v[21:22], |v[8:9]|, 0
	v_and_b32_e32 v24, 0x7fffffff, v9
	v_trig_preop_f64 v[26:27], |v[8:9]|, 1
	v_trig_preop_f64 v[46:47], |v[8:9]|, 2
	s_mov_b32 s16, s18
	s_mov_b32 s13, s21
	v_cndmask_b32_e32 v19, v8, v19, vcc_lo
	v_cndmask_b32_e32 v20, v24, v20, vcc_lo
	s_delay_alu instid0(VALU_DEP_1) | instskip(SKIP_2) | instid1(VALU_DEP_3)
	v_mul_f64 v[24:25], v[21:22], v[19:20]
	v_mul_f64 v[44:45], v[26:27], v[19:20]
	;; [unrolled: 1-line block ×3, first 2 shown]
	v_fma_f64 v[21:22], v[21:22], v[19:20], -v[24:25]
	s_delay_alu instid0(VALU_DEP_3) | instskip(NEXT) | instid1(VALU_DEP_3)
	v_fma_f64 v[26:27], v[26:27], v[19:20], -v[44:45]
	v_fma_f64 v[19:20], v[46:47], v[19:20], -v[48:49]
	s_delay_alu instid0(VALU_DEP_3) | instskip(NEXT) | instid1(VALU_DEP_1)
	v_add_f64 v[46:47], v[44:45], v[21:22]
	v_add_f64 v[50:51], v[46:47], -v[44:45]
	s_delay_alu instid0(VALU_DEP_1) | instskip(SKIP_1) | instid1(VALU_DEP_1)
	v_add_f64 v[21:22], v[21:22], -v[50:51]
	v_add_f64 v[50:51], v[46:47], -v[50:51]
	v_add_f64 v[44:45], v[44:45], -v[50:51]
	v_add_f64 v[50:51], v[24:25], v[46:47]
	s_delay_alu instid0(VALU_DEP_2) | instskip(NEXT) | instid1(VALU_DEP_2)
	v_add_f64 v[21:22], v[21:22], v[44:45]
	v_add_f64 v[24:25], v[50:51], -v[24:25]
	v_add_f64 v[44:45], v[48:49], v[26:27]
	v_ldexp_f64 v[50:51], v[50:51], -2
	s_delay_alu instid0(VALU_DEP_3) | instskip(NEXT) | instid1(VALU_DEP_3)
	v_add_f64 v[24:25], v[46:47], -v[24:25]
	v_add_f64 v[46:47], v[44:45], -v[48:49]
	s_delay_alu instid0(VALU_DEP_3) | instskip(SKIP_1) | instid1(VALU_DEP_3)
	v_cmp_neq_f64_e64 vcc_lo, 0x7ff00000, |v[50:51]|
	v_fract_f64_e32 v[50:51], v[50:51]
	v_add_f64 v[26:27], v[26:27], -v[46:47]
	v_add_f64 v[46:47], v[44:45], -v[46:47]
	s_delay_alu instid0(VALU_DEP_3) | instskip(NEXT) | instid1(VALU_DEP_2)
	v_dual_cndmask_b32 v51, 0, v51 :: v_dual_cndmask_b32 v50, 0, v50
	v_add_f64 v[46:47], v[48:49], -v[46:47]
	v_add_f64 v[48:49], v[44:45], v[21:22]
	s_delay_alu instid0(VALU_DEP_2) | instskip(NEXT) | instid1(VALU_DEP_2)
	v_add_f64 v[26:27], v[26:27], v[46:47]
	v_add_f64 v[52:53], v[48:49], -v[44:45]
	v_add_f64 v[46:47], v[24:25], v[48:49]
	s_delay_alu instid0(VALU_DEP_2) | instskip(SKIP_1) | instid1(VALU_DEP_3)
	v_add_f64 v[21:22], v[21:22], -v[52:53]
	v_add_f64 v[52:53], v[48:49], -v[52:53]
	;; [unrolled: 1-line block ×3, first 2 shown]
	s_delay_alu instid0(VALU_DEP_2) | instskip(NEXT) | instid1(VALU_DEP_2)
	v_add_f64 v[44:45], v[44:45], -v[52:53]
	v_add_f64 v[24:25], v[48:49], -v[24:25]
	s_delay_alu instid0(VALU_DEP_2) | instskip(SKIP_1) | instid1(VALU_DEP_2)
	v_add_f64 v[21:22], v[21:22], v[44:45]
	v_ldexp_f64 v[44:45], v[50:51], 2
	v_add_f64 v[21:22], v[26:27], v[21:22]
	s_delay_alu instid0(VALU_DEP_2) | instskip(NEXT) | instid1(VALU_DEP_2)
	v_add_f64 v[50:51], v[46:47], v[44:45]
	v_add_f64 v[20:21], v[19:20], v[21:22]
	s_delay_alu instid0(VALU_DEP_2) | instskip(NEXT) | instid1(VALU_DEP_2)
	v_cmp_gt_f64_e32 vcc_lo, 0, v[50:51]
	v_add_f64 v[20:21], v[24:25], v[20:21]
	v_cndmask_b32_e64 v19, 0, 0x40100000, vcc_lo
	s_delay_alu instid0(VALU_DEP_1) | instskip(NEXT) | instid1(VALU_DEP_1)
	v_add_f64 v[26:27], v[44:45], v[18:19]
	v_add_f64 v[44:45], v[46:47], v[26:27]
	s_delay_alu instid0(VALU_DEP_1) | instskip(NEXT) | instid1(VALU_DEP_1)
	v_cvt_i32_f64_e32 v48, v[44:45]
	v_cvt_f64_i32_e32 v[44:45], v48
	s_delay_alu instid0(VALU_DEP_1) | instskip(NEXT) | instid1(VALU_DEP_1)
	v_add_f64 v[26:27], v[26:27], -v[44:45]
	v_add_f64 v[24:25], v[46:47], v[26:27]
	s_delay_alu instid0(VALU_DEP_1) | instskip(SKIP_1) | instid1(VALU_DEP_2)
	v_add_f64 v[26:27], v[24:25], -v[26:27]
	v_cmp_le_f64_e32 vcc_lo, 0.5, v[24:25]
	v_add_f64 v[26:27], v[46:47], -v[26:27]
	v_cndmask_b32_e64 v19, 0, 0x3ff00000, vcc_lo
	s_delay_alu instid0(VALU_DEP_1) | instskip(NEXT) | instid1(VALU_DEP_3)
	v_add_f64 v[24:25], v[24:25], -v[18:19]
	v_add_f64 v[19:20], v[20:21], v[26:27]
	s_delay_alu instid0(VALU_DEP_1) | instskip(NEXT) | instid1(VALU_DEP_1)
	v_add_f64 v[21:22], v[24:25], v[19:20]
	v_add_f64 v[24:25], v[21:22], -v[24:25]
	s_delay_alu instid0(VALU_DEP_1) | instskip(SKIP_1) | instid1(VALU_DEP_1)
	v_add_f64 v[19:20], v[19:20], -v[24:25]
	v_mul_f64 v[24:25], v[21:22], s[16:17]
	v_fma_f64 v[26:27], v[21:22], s[16:17], -v[24:25]
	s_delay_alu instid0(VALU_DEP_1) | instskip(NEXT) | instid1(VALU_DEP_1)
	v_fma_f64 v[21:22], v[21:22], s[12:13], v[26:27]
	v_fma_f64 v[21:22], v[19:20], s[16:17], v[21:22]
	s_delay_alu instid0(VALU_DEP_1) | instskip(NEXT) | instid1(VALU_DEP_1)
	v_add_f64 v[19:20], v[24:25], v[21:22]
	v_add_f64 v[24:25], v[19:20], -v[24:25]
	s_delay_alu instid0(VALU_DEP_1)
	v_add_f64 v[21:22], v[21:22], -v[24:25]
	v_add_co_ci_u32_e32 v24, vcc_lo, 0, v48, vcc_lo
.LBB156_174:                            ;   in Loop: Header=BB156_161 Depth=1
	s_and_not1_saveexec_b32 s4, s4
	s_cbranch_execz .LBB156_176
; %bb.175:                              ;   in Loop: Header=BB156_161 Depth=1
	v_mul_f64 v[19:20], |v[8:9]|, s[22:23]
	s_mov_b32 s20, s24
	s_delay_alu instid0(VALU_DEP_1) | instskip(NEXT) | instid1(VALU_DEP_1)
	v_rndne_f64_e32 v[24:25], v[19:20]
	v_fma_f64 v[19:20], v[24:25], s[18:19], |v[8:9]|
	v_mul_f64 v[21:22], v[24:25], s[24:25]
	s_delay_alu instid0(VALU_DEP_2) | instskip(NEXT) | instid1(VALU_DEP_2)
	v_fma_f64 v[44:45], v[24:25], s[24:25], v[19:20]
	v_add_f64 v[26:27], v[19:20], v[21:22]
	s_delay_alu instid0(VALU_DEP_1) | instskip(NEXT) | instid1(VALU_DEP_3)
	v_add_f64 v[19:20], v[19:20], -v[26:27]
	v_add_f64 v[26:27], v[26:27], -v[44:45]
	s_delay_alu instid0(VALU_DEP_2) | instskip(SKIP_1) | instid1(VALU_DEP_2)
	v_add_f64 v[19:20], v[19:20], v[21:22]
	v_fma_f64 v[21:22], v[24:25], s[20:21], v[21:22]
	v_add_f64 v[19:20], v[26:27], v[19:20]
	s_delay_alu instid0(VALU_DEP_1) | instskip(NEXT) | instid1(VALU_DEP_1)
	v_add_f64 v[19:20], v[19:20], -v[21:22]
	v_fma_f64 v[21:22], v[24:25], s[26:27], v[19:20]
	v_cvt_i32_f64_e32 v24, v[24:25]
	s_delay_alu instid0(VALU_DEP_2) | instskip(NEXT) | instid1(VALU_DEP_1)
	v_add_f64 v[19:20], v[44:45], v[21:22]
	v_add_f64 v[26:27], v[19:20], -v[44:45]
	s_delay_alu instid0(VALU_DEP_1)
	v_add_f64 v[21:22], v[21:22], -v[26:27]
.LBB156_176:                            ;   in Loop: Header=BB156_161 Depth=1
	s_or_b32 exec_lo, exec_lo, s4
	v_add_f64 v[25:26], |v[6:7]|, s[58:59]
	s_mov_b32 s60, s58
	s_mov_b32 s64, s66
	;; [unrolled: 1-line block ×5, first 2 shown]
	v_cmp_nge_f64_e64 vcc_lo, |v[6:7]|, s[94:95]
	v_cmp_gt_f64_e64 s4, 0x3e400000, |v[6:7]|
	s_mov_b32 s50, 0xa9a29f71
	s_mov_b32 s52, 0xc751c08c
	;; [unrolled: 1-line block ×4, first 2 shown]
	s_delay_alu instid0(VALU_DEP_3) | instskip(NEXT) | instid1(VALU_DEP_1)
	v_add_f64 v[44:45], v[25:26], -|v[6:7]|
	v_add_f64 v[46:47], v[44:45], -v[25:26]
	v_add_f64 v[44:45], v[44:45], s[60:61]
	s_delay_alu instid0(VALU_DEP_2) | instskip(NEXT) | instid1(VALU_DEP_1)
	v_add_f64 v[46:47], |v[6:7]|, v[46:47]
	v_add_f64 v[44:45], v[46:47], -v[44:45]
	s_delay_alu instid0(VALU_DEP_1) | instskip(NEXT) | instid1(VALU_DEP_1)
	v_add_f64 v[44:45], v[44:45], s[62:63]
	v_add_f64 v[46:47], v[25:26], v[44:45]
	s_delay_alu instid0(VALU_DEP_1) | instskip(NEXT) | instid1(VALU_DEP_1)
	v_add_f64 v[25:26], v[25:26], -v[46:47]
	v_add_f64 v[25:26], v[44:45], v[25:26]
	v_mul_f64 v[44:45], v[46:47], s[64:65]
	s_delay_alu instid0(VALU_DEP_1) | instskip(NEXT) | instid1(VALU_DEP_1)
	v_rndne_f64_e32 v[44:45], v[44:45]
	v_fma_f64 v[46:47], v[44:45], s[68:69], v[46:47]
	v_cvt_i32_f64_e32 v8, v[44:45]
	s_delay_alu instid0(VALU_DEP_2) | instskip(NEXT) | instid1(VALU_DEP_1)
	v_add_f64 v[48:49], v[25:26], v[46:47]
	v_add_f64 v[46:47], v[46:47], -v[48:49]
	s_delay_alu instid0(VALU_DEP_1) | instskip(SKIP_1) | instid1(VALU_DEP_1)
	v_add_f64 v[25:26], v[25:26], v[46:47]
	v_mul_f64 v[46:47], v[44:45], s[70:71]
	v_add_f64 v[50:51], v[48:49], v[46:47]
	s_delay_alu instid0(VALU_DEP_1) | instskip(NEXT) | instid1(VALU_DEP_1)
	v_add_f64 v[48:49], v[48:49], -v[50:51]
	v_add_f64 v[46:47], v[48:49], v[46:47]
	s_delay_alu instid0(VALU_DEP_1) | instskip(NEXT) | instid1(VALU_DEP_1)
	v_add_f64 v[25:26], v[25:26], v[46:47]
	v_add_f64 v[46:47], v[50:51], v[25:26]
	s_delay_alu instid0(VALU_DEP_1) | instskip(NEXT) | instid1(VALU_DEP_1)
	v_add_f64 v[48:49], v[50:51], -v[46:47]
	v_add_f64 v[25:26], v[25:26], v[48:49]
	v_mul_f64 v[48:49], v[44:45], s[72:73]
	s_delay_alu instid0(VALU_DEP_1) | instskip(NEXT) | instid1(VALU_DEP_1)
	v_add_f64 v[50:51], v[46:47], v[48:49]
	v_add_f64 v[46:47], v[46:47], -v[50:51]
	s_delay_alu instid0(VALU_DEP_1) | instskip(NEXT) | instid1(VALU_DEP_1)
	v_add_f64 v[46:47], v[46:47], v[48:49]
	v_add_f64 v[25:26], v[25:26], v[46:47]
	s_delay_alu instid0(VALU_DEP_1) | instskip(NEXT) | instid1(VALU_DEP_1)
	v_add_f64 v[46:47], v[50:51], v[25:26]
	v_add_f64 v[48:49], v[50:51], -v[46:47]
	s_delay_alu instid0(VALU_DEP_1) | instskip(SKIP_1) | instid1(VALU_DEP_2)
	v_add_f64 v[25:26], v[25:26], v[48:49]
	v_mul_f64 v[48:49], v[46:47], v[46:47]
	v_add_f64 v[52:53], v[25:26], v[25:26]
	s_delay_alu instid0(VALU_DEP_2) | instskip(NEXT) | instid1(VALU_DEP_1)
	v_fma_f64 v[50:51], v[46:47], v[46:47], -v[48:49]
	v_fma_f64 v[50:51], v[46:47], v[52:53], v[50:51]
	s_delay_alu instid0(VALU_DEP_1) | instskip(NEXT) | instid1(VALU_DEP_1)
	v_add_f64 v[52:53], v[48:49], v[50:51]
	v_add_f64 v[48:49], v[52:53], -v[48:49]
	s_delay_alu instid0(VALU_DEP_1) | instskip(SKIP_1) | instid1(VALU_DEP_1)
	v_add_f64 v[48:49], v[50:51], -v[48:49]
	v_fma_f64 v[50:51], v[46:47], s[76:77], s[74:75]
	v_fma_f64 v[50:51], v[46:47], v[50:51], s[78:79]
	s_delay_alu instid0(VALU_DEP_1) | instskip(NEXT) | instid1(VALU_DEP_1)
	v_fma_f64 v[50:51], v[46:47], v[50:51], s[80:81]
	v_fma_f64 v[50:51], v[46:47], v[50:51], s[82:83]
	s_delay_alu instid0(VALU_DEP_1) | instskip(NEXT) | instid1(VALU_DEP_1)
	;; [unrolled: 3-line block ×4, first 2 shown]
	v_fma_f64 v[50:51], v[46:47], v[50:51], s[92:93]
	v_mul_f64 v[54:55], v[52:53], v[50:51]
	s_delay_alu instid0(VALU_DEP_1) | instskip(NEXT) | instid1(VALU_DEP_1)
	v_fma_f64 v[52:53], v[52:53], v[50:51], -v[54:55]
	v_fma_f64 v[48:49], v[48:49], v[50:51], v[52:53]
	s_delay_alu instid0(VALU_DEP_1) | instskip(NEXT) | instid1(VALU_DEP_1)
	v_add_f64 v[50:51], v[54:55], v[48:49]
	v_add_f64 v[52:53], v[50:51], -v[54:55]
	s_delay_alu instid0(VALU_DEP_1) | instskip(SKIP_1) | instid1(VALU_DEP_2)
	v_add_f64 v[48:49], v[48:49], -v[52:53]
	v_add_f64 v[52:53], v[46:47], v[50:51]
	v_add_f64 v[25:26], v[25:26], v[48:49]
	s_delay_alu instid0(VALU_DEP_2) | instskip(NEXT) | instid1(VALU_DEP_1)
	v_add_f64 v[46:47], v[52:53], -v[46:47]
	v_add_f64 v[46:47], v[50:51], -v[46:47]
	s_delay_alu instid0(VALU_DEP_1) | instskip(NEXT) | instid1(VALU_DEP_1)
	v_add_f64 v[25:26], v[25:26], v[46:47]
	v_add_f64 v[46:47], v[52:53], v[25:26]
	s_delay_alu instid0(VALU_DEP_1) | instskip(NEXT) | instid1(VALU_DEP_1)
	v_add_f64 v[48:49], v[46:47], -v[52:53]
	v_add_f64 v[25:26], v[25:26], -v[48:49]
	v_add_f64 v[48:49], v[46:47], 1.0
	s_delay_alu instid0(VALU_DEP_1) | instskip(NEXT) | instid1(VALU_DEP_1)
	v_add_f64 v[50:51], v[48:49], -1.0
	v_add_f64 v[46:47], v[46:47], -v[50:51]
	s_delay_alu instid0(VALU_DEP_1) | instskip(NEXT) | instid1(VALU_DEP_1)
	v_add_f64 v[25:26], v[25:26], v[46:47]
	v_add_f64 v[44:45], v[48:49], v[25:26]
	s_delay_alu instid0(VALU_DEP_1) | instskip(SKIP_1) | instid1(VALU_DEP_2)
	v_add_f64 v[46:47], v[44:45], -v[48:49]
	v_ldexp_f64 v[44:45], v[44:45], v8
	v_add_f64 v[25:26], v[25:26], -v[46:47]
	s_delay_alu instid0(VALU_DEP_2) | instskip(NEXT) | instid1(VALU_DEP_1)
	v_rcp_f64_e32 v[48:49], v[44:45]
	v_ldexp_f64 v[25:26], v[25:26], v8
	s_waitcnt_depctr 0xfff
	v_fma_f64 v[50:51], -v[44:45], v[48:49], 1.0
	s_delay_alu instid0(VALU_DEP_1) | instskip(NEXT) | instid1(VALU_DEP_1)
	v_fma_f64 v[48:49], v[50:51], v[48:49], v[48:49]
	v_fma_f64 v[46:47], -v[44:45], v[48:49], 1.0
	s_delay_alu instid0(VALU_DEP_1) | instskip(NEXT) | instid1(VALU_DEP_1)
	v_fma_f64 v[46:47], v[46:47], v[48:49], v[48:49]
	v_mul_f64 v[48:49], v[44:45], v[46:47]
	s_delay_alu instid0(VALU_DEP_1) | instskip(NEXT) | instid1(VALU_DEP_1)
	v_fma_f64 v[50:51], v[46:47], v[44:45], -v[48:49]
	v_fma_f64 v[50:51], v[46:47], v[25:26], v[50:51]
	s_delay_alu instid0(VALU_DEP_1) | instskip(NEXT) | instid1(VALU_DEP_1)
	v_add_f64 v[52:53], v[48:49], v[50:51]
	v_add_f64 v[48:49], v[52:53], -v[48:49]
	s_delay_alu instid0(VALU_DEP_1) | instskip(SKIP_1) | instid1(VALU_DEP_1)
	v_add_f64 v[48:49], v[48:49], -v[50:51]
	v_add_f64 v[50:51], -v[52:53], 1.0
	v_add_f64 v[54:55], -v[50:51], 1.0
	s_delay_alu instid0(VALU_DEP_1) | instskip(NEXT) | instid1(VALU_DEP_1)
	v_add_f64 v[52:53], v[54:55], -v[52:53]
	v_add_f64 v[48:49], v[48:49], v[52:53]
	s_delay_alu instid0(VALU_DEP_1) | instskip(NEXT) | instid1(VALU_DEP_1)
	v_add_f64 v[52:53], v[50:51], v[48:49]
	v_add_f64 v[50:51], v[50:51], -v[52:53]
	s_delay_alu instid0(VALU_DEP_1) | instskip(SKIP_1) | instid1(VALU_DEP_1)
	v_add_f64 v[48:49], v[48:49], v[50:51]
	v_mul_f64 v[50:51], v[46:47], v[52:53]
	v_mul_f64 v[54:55], v[44:45], v[50:51]
	s_delay_alu instid0(VALU_DEP_1) | instskip(NEXT) | instid1(VALU_DEP_1)
	v_fma_f64 v[56:57], v[50:51], v[44:45], -v[54:55]
	v_fma_f64 v[56:57], v[50:51], v[25:26], v[56:57]
	s_delay_alu instid0(VALU_DEP_1) | instskip(NEXT) | instid1(VALU_DEP_1)
	v_add_f64 v[58:59], v[54:55], v[56:57]
	v_add_f64 v[60:61], v[52:53], -v[58:59]
	v_add_f64 v[54:55], v[58:59], -v[54:55]
	s_delay_alu instid0(VALU_DEP_2) | instskip(NEXT) | instid1(VALU_DEP_2)
	v_add_f64 v[52:53], v[52:53], -v[60:61]
	v_add_f64 v[54:55], v[54:55], -v[56:57]
	s_delay_alu instid0(VALU_DEP_2) | instskip(NEXT) | instid1(VALU_DEP_1)
	v_add_f64 v[52:53], v[52:53], -v[58:59]
	v_add_f64 v[48:49], v[48:49], v[52:53]
	v_add_f64 v[52:53], v[46:47], v[50:51]
	s_delay_alu instid0(VALU_DEP_2) | instskip(NEXT) | instid1(VALU_DEP_2)
	v_add_f64 v[48:49], v[54:55], v[48:49]
	v_add_f64 v[54:55], v[52:53], -v[46:47]
	s_delay_alu instid0(VALU_DEP_2) | instskip(NEXT) | instid1(VALU_DEP_2)
	v_add_f64 v[48:49], v[60:61], v[48:49]
	v_add_f64 v[50:51], v[50:51], -v[54:55]
	s_delay_alu instid0(VALU_DEP_2) | instskip(NEXT) | instid1(VALU_DEP_1)
	v_mul_f64 v[46:47], v[46:47], v[48:49]
	v_add_f64 v[46:47], v[50:51], v[46:47]
	s_delay_alu instid0(VALU_DEP_1) | instskip(NEXT) | instid1(VALU_DEP_1)
	v_add_f64 v[48:49], v[52:53], v[46:47]
	v_add_f64 v[50:51], v[48:49], -v[52:53]
	v_ldexp_f64 v[48:49], v[48:49], -2
	s_delay_alu instid0(VALU_DEP_2) | instskip(NEXT) | instid1(VALU_DEP_2)
	v_add_f64 v[46:47], v[46:47], -v[50:51]
	v_add_f64 v[52:53], v[44:45], -v[48:49]
	s_delay_alu instid0(VALU_DEP_1) | instskip(NEXT) | instid1(VALU_DEP_1)
	v_add_f64 v[44:45], v[44:45], -v[52:53]
	v_add_f64 v[44:45], v[44:45], -v[48:49]
	s_delay_alu instid0(VALU_DEP_1) | instskip(SKIP_1) | instid1(VALU_DEP_1)
	v_add_f64 v[25:26], v[25:26], v[44:45]
	v_ldexp_f64 v[44:45], v[46:47], -2
	v_add_f64 v[25:26], v[25:26], -v[44:45]
	s_delay_alu instid0(VALU_DEP_1) | instskip(NEXT) | instid1(VALU_DEP_1)
	v_add_f64 v[25:26], v[52:53], v[25:26]
	v_cndmask_b32_e32 v8, 0x7ff00000, v26, vcc_lo
	s_delay_alu instid0(VALU_DEP_2) | instskip(NEXT) | instid1(VALU_DEP_2)
	v_cndmask_b32_e32 v25, 0, v25, vcc_lo
	v_cndmask_b32_e64 v8, v8, v23, s4
	s_delay_alu instid0(VALU_DEP_2) | instskip(NEXT) | instid1(VALU_DEP_2)
	v_cndmask_b32_e64 v6, v25, v6, s4
	v_bfi_b32 v7, 0x7fffffff, v8, v7
	s_delay_alu instid0(VALU_DEP_1) | instskip(NEXT) | instid1(VALU_DEP_1)
	v_fma_f64 v[25:26], v[6:7], v[6:7], 1.0
	v_cmp_gt_f64_e32 vcc_lo, 0x10000000, v[25:26]
	v_cndmask_b32_e64 v8, 0, 1, vcc_lo
	s_delay_alu instid0(VALU_DEP_1) | instskip(NEXT) | instid1(VALU_DEP_1)
	v_lshlrev_b32_e32 v8, 8, v8
	v_ldexp_f64 v[25:26], v[25:26], v8
	v_and_b32_e32 v23, 0x80000000, v9
	v_mul_f64 v[8:9], v[19:20], v[19:20]
	s_delay_alu instid0(VALU_DEP_3) | instskip(SKIP_3) | instid1(VALU_DEP_1)
	v_rsq_f64_e32 v[44:45], v[25:26]
	s_waitcnt_depctr 0xfff
	v_mul_f64 v[46:47], v[25:26], v[44:45]
	v_mul_f64 v[44:45], v[44:45], 0.5
	v_fma_f64 v[48:49], -v[44:45], v[46:47], 0.5
	s_delay_alu instid0(VALU_DEP_1) | instskip(SKIP_1) | instid1(VALU_DEP_2)
	v_fma_f64 v[46:47], v[46:47], v[48:49], v[46:47]
	v_fma_f64 v[44:45], v[44:45], v[48:49], v[44:45]
	v_fma_f64 v[48:49], -v[46:47], v[46:47], v[25:26]
	s_delay_alu instid0(VALU_DEP_1) | instskip(NEXT) | instid1(VALU_DEP_1)
	v_fma_f64 v[46:47], v[48:49], v[44:45], v[46:47]
	v_fma_f64 v[48:49], -v[46:47], v[46:47], v[25:26]
	s_delay_alu instid0(VALU_DEP_1) | instskip(SKIP_2) | instid1(VALU_DEP_1)
	v_fma_f64 v[44:45], v[48:49], v[44:45], v[46:47]
	v_add_f64 v[46:47], v[21:22], v[21:22]
	v_fma_f64 v[48:49], v[19:20], v[19:20], -v[8:9]
	v_fma_f64 v[46:47], v[19:20], v[46:47], v[48:49]
	s_delay_alu instid0(VALU_DEP_1) | instskip(NEXT) | instid1(VALU_DEP_1)
	v_add_f64 v[8:9], v[8:9], v[46:47]
	v_fma_f64 v[46:47], v[8:9], s[52:53], s[50:51]
	s_mov_b32 s50, 0x90a8aae0
	s_mov_b32 s51, 0x3f17746f
	s_delay_alu instid0(VALU_DEP_1) | instid1(SALU_CYCLE_1)
	v_fma_f64 v[46:47], v[8:9], v[46:47], s[50:51]
	s_mov_b32 s50, 0xa6fbf144
	s_mov_b32 s51, 0xbefbb44d
	s_delay_alu instid0(VALU_DEP_1) | instid1(SALU_CYCLE_1)
	;; [unrolled: 4-line block ×10, first 2 shown]
	v_fma_f64 v[46:47], v[8:9], v[46:47], s[50:51]
	s_delay_alu instid0(VALU_DEP_1) | instskip(NEXT) | instid1(VALU_DEP_1)
	v_fma_f64 v[46:47], v[8:9], v[46:47], s[54:55]
	v_fma_f64 v[46:47], v[8:9], v[46:47], s[56:57]
	s_delay_alu instid0(VALU_DEP_1) | instskip(NEXT) | instid1(VALU_DEP_1)
	v_mul_f64 v[8:9], v[8:9], v[46:47]
	v_mul_f64 v[46:47], v[19:20], v[8:9]
	s_delay_alu instid0(VALU_DEP_1) | instskip(NEXT) | instid1(VALU_DEP_1)
	v_fma_f64 v[8:9], v[19:20], v[8:9], -v[46:47]
	v_add_f64 v[8:9], v[21:22], v[8:9]
	v_add_f64 v[21:22], v[19:20], v[46:47]
	s_delay_alu instid0(VALU_DEP_1) | instskip(NEXT) | instid1(VALU_DEP_1)
	v_add_f64 v[19:20], v[21:22], -v[19:20]
	v_add_f64 v[19:20], v[46:47], -v[19:20]
	s_delay_alu instid0(VALU_DEP_1) | instskip(NEXT) | instid1(VALU_DEP_1)
	v_add_f64 v[8:9], v[8:9], v[19:20]
	v_add_f64 v[19:20], v[21:22], v[8:9]
	s_delay_alu instid0(VALU_DEP_1) | instskip(SKIP_1) | instid1(VALU_DEP_1)
	v_rcp_f64_e32 v[46:47], v[19:20]
	v_add_f64 v[21:22], v[19:20], -v[21:22]
	v_add_f64 v[8:9], v[8:9], -v[21:22]
	s_waitcnt_depctr 0xfff
	v_fma_f64 v[48:49], -v[19:20], v[46:47], 1.0
	s_delay_alu instid0(VALU_DEP_1) | instskip(NEXT) | instid1(VALU_DEP_1)
	v_fma_f64 v[46:47], v[48:49], v[46:47], v[46:47]
	v_fma_f64 v[48:49], -v[19:20], v[46:47], 1.0
	s_delay_alu instid0(VALU_DEP_1) | instskip(NEXT) | instid1(VALU_DEP_1)
	v_fma_f64 v[46:47], v[48:49], v[46:47], v[46:47]
	v_mul_f64 v[21:22], v[19:20], v[46:47]
	s_delay_alu instid0(VALU_DEP_1) | instskip(NEXT) | instid1(VALU_DEP_1)
	v_fma_f64 v[48:49], v[46:47], v[19:20], -v[21:22]
	v_fma_f64 v[8:9], v[46:47], v[8:9], v[48:49]
	s_delay_alu instid0(VALU_DEP_1) | instskip(NEXT) | instid1(VALU_DEP_1)
	v_add_f64 v[48:49], v[21:22], v[8:9]
	v_add_f64 v[21:22], v[48:49], -v[21:22]
	s_delay_alu instid0(VALU_DEP_1) | instskip(SKIP_1) | instid1(VALU_DEP_1)
	v_add_f64 v[8:9], v[21:22], -v[8:9]
	v_add_f64 v[21:22], -v[48:49], 1.0
	v_add_f64 v[50:51], -v[21:22], 1.0
	s_delay_alu instid0(VALU_DEP_1) | instskip(NEXT) | instid1(VALU_DEP_1)
	v_add_f64 v[48:49], v[50:51], -v[48:49]
	v_add_f64 v[8:9], v[8:9], v[48:49]
	s_delay_alu instid0(VALU_DEP_1) | instskip(SKIP_1) | instid1(VALU_DEP_1)
	v_add_f64 v[8:9], v[21:22], v[8:9]
	v_and_b32_e32 v21, 1, v24
	v_cmp_eq_u32_e64 s4, 0, v21
	s_delay_alu instid0(VALU_DEP_3) | instskip(NEXT) | instid1(VALU_DEP_1)
	v_mul_f64 v[8:9], v[46:47], v[8:9]
	v_add_f64 v[8:9], v[46:47], v[8:9]
	s_delay_alu instid0(VALU_DEP_1) | instskip(NEXT) | instid1(VALU_DEP_2)
	v_xor_b32_e32 v9, 0x80000000, v9
	v_cndmask_b32_e64 v8, v8, v19, s4
	s_delay_alu instid0(VALU_DEP_2) | instskip(SKIP_2) | instid1(VALU_DEP_2)
	v_cndmask_b32_e64 v9, v9, v20, s4
	v_cndmask_b32_e64 v20, 0, 0xffffff80, vcc_lo
	v_cmp_class_f64_e64 vcc_lo, v[25:26], 0x260
	v_ldexp_f64 v[19:20], v[44:45], v20
	s_delay_alu instid0(VALU_DEP_1) | instskip(SKIP_1) | instid1(VALU_DEP_3)
	v_cndmask_b32_e32 v20, v20, v26, vcc_lo
	v_xor_b32_e32 v9, v9, v23
	v_cndmask_b32_e32 v19, v19, v25, vcc_lo
	s_delay_alu instid0(VALU_DEP_2) | instskip(NEXT) | instid1(VALU_DEP_1)
	v_fma_f64 v[21:22], v[8:9], v[8:9], 1.0
	v_mul_f64 v[23:24], v[6:7], v[21:22]
	s_delay_alu instid0(VALU_DEP_3) | instskip(NEXT) | instid1(VALU_DEP_2)
	v_mul_f64 v[19:20], v[19:20], v[21:22]
	v_fma_f64 v[21:22], v[6:7], v[23:24], 1.0
	s_delay_alu instid0(VALU_DEP_2) | instskip(NEXT) | instid1(VALU_DEP_1)
	v_mul_f64 v[6:7], v[6:7], v[19:20]
	v_div_scale_f64 v[19:20], null, v[21:22], v[21:22], v[6:7]
	s_delay_alu instid0(VALU_DEP_1) | instskip(SKIP_2) | instid1(VALU_DEP_1)
	v_rcp_f64_e32 v[23:24], v[19:20]
	s_waitcnt_depctr 0xfff
	v_fma_f64 v[25:26], -v[19:20], v[23:24], 1.0
	v_fma_f64 v[23:24], v[23:24], v[25:26], v[23:24]
	s_delay_alu instid0(VALU_DEP_1) | instskip(NEXT) | instid1(VALU_DEP_1)
	v_fma_f64 v[25:26], -v[19:20], v[23:24], 1.0
	v_fma_f64 v[23:24], v[23:24], v[25:26], v[23:24]
	v_div_scale_f64 v[25:26], vcc_lo, v[6:7], v[21:22], v[6:7]
	s_delay_alu instid0(VALU_DEP_1) | instskip(NEXT) | instid1(VALU_DEP_1)
	v_mul_f64 v[44:45], v[25:26], v[23:24]
	v_fma_f64 v[19:20], -v[19:20], v[44:45], v[25:26]
	s_delay_alu instid0(VALU_DEP_1) | instskip(SKIP_1) | instid1(VALU_DEP_2)
	v_div_fmas_f64 v[19:20], v[19:20], v[23:24], v[44:45]
	v_div_scale_f64 v[23:24], null, v[21:22], v[21:22], v[8:9]
	v_div_fixup_f64 v[6:7], v[19:20], v[21:22], v[6:7]
	s_delay_alu instid0(VALU_DEP_2) | instskip(SKIP_2) | instid1(VALU_DEP_1)
	v_rcp_f64_e32 v[25:26], v[23:24]
	s_waitcnt_depctr 0xfff
	v_fma_f64 v[44:45], -v[23:24], v[25:26], 1.0
	v_fma_f64 v[25:26], v[25:26], v[44:45], v[25:26]
	s_delay_alu instid0(VALU_DEP_1) | instskip(NEXT) | instid1(VALU_DEP_1)
	v_fma_f64 v[44:45], -v[23:24], v[25:26], 1.0
	v_fma_f64 v[25:26], v[25:26], v[44:45], v[25:26]
	v_div_scale_f64 v[44:45], vcc_lo, v[8:9], v[21:22], v[8:9]
	s_delay_alu instid0(VALU_DEP_1) | instskip(NEXT) | instid1(VALU_DEP_1)
	v_mul_f64 v[46:47], v[44:45], v[25:26]
	v_fma_f64 v[23:24], -v[23:24], v[46:47], v[44:45]
	s_delay_alu instid0(VALU_DEP_1) | instskip(NEXT) | instid1(VALU_DEP_1)
	v_div_fmas_f64 v[23:24], v[23:24], v[25:26], v[46:47]
	v_div_fixup_f64 v[8:9], v[23:24], v[21:22], v[8:9]
.LBB156_177:                            ;   in Loop: Header=BB156_161 Depth=1
	s_and_not1_saveexec_b32 s60, s48
	s_cbranch_execz .LBB156_197
; %bb.178:                              ;   in Loop: Header=BB156_161 Depth=1
	s_delay_alu instid0(VALU_DEP_1) | instskip(NEXT) | instid1(VALU_DEP_1)
	v_cmp_ngt_f64_e64 s4, 0x41d00000, |v[8:9]|
                                        ; implicit-def: $vgpr44
                                        ; implicit-def: $vgpr20_vgpr21
                                        ; implicit-def: $vgpr22_vgpr23
	s_and_saveexec_b32 s13, s4
	s_delay_alu instid0(SALU_CYCLE_1)
	s_xor_b32 s20, exec_lo, s13
	s_cbranch_execz .LBB156_180
; %bb.179:                              ;   in Loop: Header=BB156_161 Depth=1
	v_ldexp_f64 v[19:20], |v[8:9]|, 0xffffff80
	v_cmp_le_f64_e64 vcc_lo, 0x7b000000, |v[8:9]|
	v_trig_preop_f64 v[21:22], |v[8:9]|, 0
	v_and_b32_e32 v23, 0x7fffffff, v9
	v_trig_preop_f64 v[25:26], |v[8:9]|, 1
	v_trig_preop_f64 v[46:47], |v[8:9]|, 2
	s_mov_b32 s16, s18
	s_mov_b32 s13, s21
	v_dual_cndmask_b32 v20, v23, v20 :: v_dual_cndmask_b32 v19, v8, v19
	s_delay_alu instid0(VALU_DEP_1) | instskip(NEXT) | instid1(VALU_DEP_4)
	v_mul_f64 v[23:24], v[21:22], v[19:20]
	v_mul_f64 v[44:45], v[25:26], v[19:20]
	s_delay_alu instid0(VALU_DEP_4) | instskip(NEXT) | instid1(VALU_DEP_3)
	v_mul_f64 v[48:49], v[46:47], v[19:20]
	v_fma_f64 v[21:22], v[21:22], v[19:20], -v[23:24]
	s_delay_alu instid0(VALU_DEP_3) | instskip(NEXT) | instid1(VALU_DEP_3)
	v_fma_f64 v[25:26], v[25:26], v[19:20], -v[44:45]
	v_fma_f64 v[19:20], v[46:47], v[19:20], -v[48:49]
	s_delay_alu instid0(VALU_DEP_3) | instskip(NEXT) | instid1(VALU_DEP_1)
	v_add_f64 v[46:47], v[44:45], v[21:22]
	v_add_f64 v[50:51], v[46:47], -v[44:45]
	s_delay_alu instid0(VALU_DEP_1) | instskip(SKIP_1) | instid1(VALU_DEP_1)
	v_add_f64 v[21:22], v[21:22], -v[50:51]
	v_add_f64 v[50:51], v[46:47], -v[50:51]
	;; [unrolled: 1-line block ×3, first 2 shown]
	v_add_f64 v[50:51], v[23:24], v[46:47]
	s_delay_alu instid0(VALU_DEP_2) | instskip(NEXT) | instid1(VALU_DEP_2)
	v_add_f64 v[21:22], v[21:22], v[44:45]
	v_add_f64 v[23:24], v[50:51], -v[23:24]
	v_add_f64 v[44:45], v[48:49], v[25:26]
	v_ldexp_f64 v[50:51], v[50:51], -2
	s_delay_alu instid0(VALU_DEP_3) | instskip(NEXT) | instid1(VALU_DEP_3)
	v_add_f64 v[23:24], v[46:47], -v[23:24]
	v_add_f64 v[46:47], v[44:45], -v[48:49]
	s_delay_alu instid0(VALU_DEP_3) | instskip(SKIP_1) | instid1(VALU_DEP_3)
	v_cmp_neq_f64_e64 vcc_lo, 0x7ff00000, |v[50:51]|
	v_fract_f64_e32 v[50:51], v[50:51]
	v_add_f64 v[25:26], v[25:26], -v[46:47]
	v_add_f64 v[46:47], v[44:45], -v[46:47]
	s_delay_alu instid0(VALU_DEP_3) | instskip(NEXT) | instid1(VALU_DEP_2)
	v_dual_cndmask_b32 v51, 0, v51 :: v_dual_cndmask_b32 v50, 0, v50
	v_add_f64 v[46:47], v[48:49], -v[46:47]
	v_add_f64 v[48:49], v[44:45], v[21:22]
	s_delay_alu instid0(VALU_DEP_2) | instskip(NEXT) | instid1(VALU_DEP_2)
	v_add_f64 v[25:26], v[25:26], v[46:47]
	v_add_f64 v[52:53], v[48:49], -v[44:45]
	v_add_f64 v[46:47], v[23:24], v[48:49]
	s_delay_alu instid0(VALU_DEP_2) | instskip(SKIP_1) | instid1(VALU_DEP_3)
	v_add_f64 v[21:22], v[21:22], -v[52:53]
	v_add_f64 v[52:53], v[48:49], -v[52:53]
	;; [unrolled: 1-line block ×3, first 2 shown]
	s_delay_alu instid0(VALU_DEP_2) | instskip(NEXT) | instid1(VALU_DEP_2)
	v_add_f64 v[44:45], v[44:45], -v[52:53]
	v_add_f64 v[23:24], v[48:49], -v[23:24]
	s_delay_alu instid0(VALU_DEP_2) | instskip(SKIP_1) | instid1(VALU_DEP_2)
	v_add_f64 v[21:22], v[21:22], v[44:45]
	v_ldexp_f64 v[44:45], v[50:51], 2
	v_add_f64 v[21:22], v[25:26], v[21:22]
	s_delay_alu instid0(VALU_DEP_2) | instskip(NEXT) | instid1(VALU_DEP_2)
	v_add_f64 v[50:51], v[46:47], v[44:45]
	v_add_f64 v[20:21], v[19:20], v[21:22]
	s_delay_alu instid0(VALU_DEP_2) | instskip(NEXT) | instid1(VALU_DEP_2)
	v_cmp_gt_f64_e32 vcc_lo, 0, v[50:51]
	v_add_f64 v[20:21], v[23:24], v[20:21]
	v_cndmask_b32_e64 v19, 0, 0x40100000, vcc_lo
	s_delay_alu instid0(VALU_DEP_1) | instskip(NEXT) | instid1(VALU_DEP_1)
	v_add_f64 v[25:26], v[44:45], v[18:19]
	v_add_f64 v[44:45], v[46:47], v[25:26]
	s_delay_alu instid0(VALU_DEP_1) | instskip(NEXT) | instid1(VALU_DEP_1)
	v_cvt_i32_f64_e32 v48, v[44:45]
	v_cvt_f64_i32_e32 v[44:45], v48
	s_delay_alu instid0(VALU_DEP_1) | instskip(NEXT) | instid1(VALU_DEP_1)
	v_add_f64 v[25:26], v[25:26], -v[44:45]
	v_add_f64 v[22:23], v[46:47], v[25:26]
	s_delay_alu instid0(VALU_DEP_1) | instskip(SKIP_1) | instid1(VALU_DEP_2)
	v_add_f64 v[24:25], v[22:23], -v[25:26]
	v_cmp_le_f64_e32 vcc_lo, 0.5, v[22:23]
	v_add_f64 v[24:25], v[46:47], -v[24:25]
	v_cndmask_b32_e64 v19, 0, 0x3ff00000, vcc_lo
	v_add_co_ci_u32_e32 v44, vcc_lo, 0, v48, vcc_lo
	s_delay_alu instid0(VALU_DEP_2) | instskip(NEXT) | instid1(VALU_DEP_4)
	v_add_f64 v[22:23], v[22:23], -v[18:19]
	v_add_f64 v[19:20], v[20:21], v[24:25]
	s_delay_alu instid0(VALU_DEP_1) | instskip(NEXT) | instid1(VALU_DEP_1)
	v_add_f64 v[24:25], v[22:23], v[19:20]
	v_add_f64 v[21:22], v[24:25], -v[22:23]
	s_delay_alu instid0(VALU_DEP_1) | instskip(SKIP_1) | instid1(VALU_DEP_1)
	v_add_f64 v[19:20], v[19:20], -v[21:22]
	v_mul_f64 v[22:23], v[24:25], s[16:17]
	v_fma_f64 v[26:27], v[24:25], s[16:17], -v[22:23]
	s_delay_alu instid0(VALU_DEP_1) | instskip(NEXT) | instid1(VALU_DEP_1)
	v_fma_f64 v[24:25], v[24:25], s[12:13], v[26:27]
	v_fma_f64 v[24:25], v[19:20], s[16:17], v[24:25]
	s_delay_alu instid0(VALU_DEP_1) | instskip(NEXT) | instid1(VALU_DEP_1)
	v_add_f64 v[20:21], v[22:23], v[24:25]
	v_add_f64 v[22:23], v[20:21], -v[22:23]
	s_delay_alu instid0(VALU_DEP_1)
	v_add_f64 v[22:23], v[24:25], -v[22:23]
	s_and_not1_saveexec_b32 s13, s20
	s_cbranch_execz .LBB156_182
	s_branch .LBB156_181
.LBB156_180:                            ;   in Loop: Header=BB156_161 Depth=1
	s_and_not1_saveexec_b32 s13, s20
	s_cbranch_execz .LBB156_182
.LBB156_181:                            ;   in Loop: Header=BB156_161 Depth=1
	v_mul_f64 v[19:20], |v[8:9]|, s[22:23]
	s_mov_b32 s20, s24
	s_delay_alu instid0(VALU_DEP_1) | instskip(NEXT) | instid1(VALU_DEP_1)
	v_rndne_f64_e32 v[24:25], v[19:20]
	v_fma_f64 v[19:20], v[24:25], s[18:19], |v[8:9]|
	v_mul_f64 v[21:22], v[24:25], s[24:25]
	s_delay_alu instid0(VALU_DEP_2) | instskip(NEXT) | instid1(VALU_DEP_2)
	v_fma_f64 v[44:45], v[24:25], s[24:25], v[19:20]
	v_add_f64 v[26:27], v[19:20], v[21:22]
	s_delay_alu instid0(VALU_DEP_1) | instskip(NEXT) | instid1(VALU_DEP_3)
	v_add_f64 v[19:20], v[19:20], -v[26:27]
	v_add_f64 v[26:27], v[26:27], -v[44:45]
	s_delay_alu instid0(VALU_DEP_2) | instskip(SKIP_1) | instid1(VALU_DEP_2)
	v_add_f64 v[19:20], v[19:20], v[21:22]
	v_fma_f64 v[21:22], v[24:25], s[20:21], v[21:22]
	v_add_f64 v[19:20], v[26:27], v[19:20]
	s_delay_alu instid0(VALU_DEP_1) | instskip(NEXT) | instid1(VALU_DEP_1)
	v_add_f64 v[19:20], v[19:20], -v[21:22]
	v_fma_f64 v[22:23], v[24:25], s[26:27], v[19:20]
	s_delay_alu instid0(VALU_DEP_1) | instskip(NEXT) | instid1(VALU_DEP_1)
	v_add_f64 v[20:21], v[44:45], v[22:23]
	v_add_f64 v[26:27], v[20:21], -v[44:45]
	v_cvt_i32_f64_e32 v44, v[24:25]
	s_delay_alu instid0(VALU_DEP_2)
	v_add_f64 v[22:23], v[22:23], -v[26:27]
.LBB156_182:                            ;   in Loop: Header=BB156_161 Depth=1
	s_or_b32 exec_lo, exec_lo, s13
                                        ; implicit-def: $vgpr19
                                        ; implicit-def: $vgpr24_vgpr25
                                        ; implicit-def: $vgpr26_vgpr27
	s_and_saveexec_b32 s13, s4
	s_delay_alu instid0(SALU_CYCLE_1)
	s_xor_b32 s4, exec_lo, s13
	s_cbranch_execz .LBB156_184
; %bb.183:                              ;   in Loop: Header=BB156_161 Depth=1
	v_ldexp_f64 v[24:25], |v[8:9]|, 0xffffff80
	v_cmp_le_f64_e64 vcc_lo, 0x7b000000, |v[8:9]|
	v_trig_preop_f64 v[26:27], |v[8:9]|, 0
	v_and_b32_e32 v19, 0x7fffffff, v9
	v_trig_preop_f64 v[47:48], |v[8:9]|, 1
	v_trig_preop_f64 v[51:52], |v[8:9]|, 2
	s_mov_b32 s16, s18
	s_mov_b32 s13, s21
	v_dual_cndmask_b32 v24, v8, v24 :: v_dual_cndmask_b32 v25, v19, v25
	s_delay_alu instid0(VALU_DEP_1) | instskip(NEXT) | instid1(VALU_DEP_4)
	v_mul_f64 v[45:46], v[26:27], v[24:25]
	v_mul_f64 v[49:50], v[47:48], v[24:25]
	s_delay_alu instid0(VALU_DEP_4) | instskip(NEXT) | instid1(VALU_DEP_3)
	v_mul_f64 v[53:54], v[51:52], v[24:25]
	v_fma_f64 v[26:27], v[26:27], v[24:25], -v[45:46]
	s_delay_alu instid0(VALU_DEP_3) | instskip(NEXT) | instid1(VALU_DEP_3)
	v_fma_f64 v[47:48], v[47:48], v[24:25], -v[49:50]
	v_fma_f64 v[24:25], v[51:52], v[24:25], -v[53:54]
	s_delay_alu instid0(VALU_DEP_3) | instskip(NEXT) | instid1(VALU_DEP_1)
	v_add_f64 v[51:52], v[49:50], v[26:27]
	v_add_f64 v[55:56], v[51:52], -v[49:50]
	s_delay_alu instid0(VALU_DEP_1) | instskip(SKIP_1) | instid1(VALU_DEP_1)
	v_add_f64 v[26:27], v[26:27], -v[55:56]
	v_add_f64 v[55:56], v[51:52], -v[55:56]
	;; [unrolled: 1-line block ×3, first 2 shown]
	v_add_f64 v[55:56], v[45:46], v[51:52]
	s_delay_alu instid0(VALU_DEP_2) | instskip(NEXT) | instid1(VALU_DEP_2)
	v_add_f64 v[26:27], v[26:27], v[49:50]
	v_add_f64 v[45:46], v[55:56], -v[45:46]
	v_add_f64 v[49:50], v[53:54], v[47:48]
	v_ldexp_f64 v[55:56], v[55:56], -2
	s_delay_alu instid0(VALU_DEP_3) | instskip(NEXT) | instid1(VALU_DEP_3)
	v_add_f64 v[45:46], v[51:52], -v[45:46]
	v_add_f64 v[51:52], v[49:50], -v[53:54]
	s_delay_alu instid0(VALU_DEP_3) | instskip(SKIP_1) | instid1(VALU_DEP_3)
	v_cmp_neq_f64_e64 vcc_lo, 0x7ff00000, |v[55:56]|
	v_fract_f64_e32 v[55:56], v[55:56]
	v_add_f64 v[47:48], v[47:48], -v[51:52]
	v_add_f64 v[51:52], v[49:50], -v[51:52]
	s_delay_alu instid0(VALU_DEP_3) | instskip(NEXT) | instid1(VALU_DEP_2)
	v_dual_cndmask_b32 v56, 0, v56 :: v_dual_cndmask_b32 v55, 0, v55
	v_add_f64 v[51:52], v[53:54], -v[51:52]
	v_add_f64 v[53:54], v[49:50], v[26:27]
	s_delay_alu instid0(VALU_DEP_2) | instskip(NEXT) | instid1(VALU_DEP_2)
	v_add_f64 v[47:48], v[47:48], v[51:52]
	v_add_f64 v[57:58], v[53:54], -v[49:50]
	v_add_f64 v[51:52], v[45:46], v[53:54]
	s_delay_alu instid0(VALU_DEP_2) | instskip(SKIP_1) | instid1(VALU_DEP_3)
	v_add_f64 v[26:27], v[26:27], -v[57:58]
	v_add_f64 v[57:58], v[53:54], -v[57:58]
	;; [unrolled: 1-line block ×3, first 2 shown]
	s_delay_alu instid0(VALU_DEP_2) | instskip(NEXT) | instid1(VALU_DEP_2)
	v_add_f64 v[49:50], v[49:50], -v[57:58]
	v_add_f64 v[45:46], v[53:54], -v[45:46]
	s_delay_alu instid0(VALU_DEP_2) | instskip(SKIP_1) | instid1(VALU_DEP_2)
	v_add_f64 v[26:27], v[26:27], v[49:50]
	v_ldexp_f64 v[49:50], v[55:56], 2
	v_add_f64 v[26:27], v[47:48], v[26:27]
	s_delay_alu instid0(VALU_DEP_2) | instskip(NEXT) | instid1(VALU_DEP_2)
	v_add_f64 v[55:56], v[51:52], v[49:50]
	v_add_f64 v[24:25], v[24:25], v[26:27]
	s_delay_alu instid0(VALU_DEP_2) | instskip(NEXT) | instid1(VALU_DEP_2)
	v_cmp_gt_f64_e32 vcc_lo, 0, v[55:56]
	v_add_f64 v[24:25], v[45:46], v[24:25]
	v_cndmask_b32_e64 v19, 0, 0x40100000, vcc_lo
	s_delay_alu instid0(VALU_DEP_1) | instskip(NEXT) | instid1(VALU_DEP_1)
	v_add_f64 v[26:27], v[49:50], v[18:19]
	v_add_f64 v[47:48], v[51:52], v[26:27]
	s_delay_alu instid0(VALU_DEP_1) | instskip(NEXT) | instid1(VALU_DEP_1)
	v_cvt_i32_f64_e32 v49, v[47:48]
	v_cvt_f64_i32_e32 v[47:48], v49
	s_delay_alu instid0(VALU_DEP_1) | instskip(NEXT) | instid1(VALU_DEP_1)
	v_add_f64 v[26:27], v[26:27], -v[47:48]
	v_add_f64 v[45:46], v[51:52], v[26:27]
	s_delay_alu instid0(VALU_DEP_1) | instskip(SKIP_1) | instid1(VALU_DEP_2)
	v_add_f64 v[26:27], v[45:46], -v[26:27]
	v_cmp_le_f64_e32 vcc_lo, 0.5, v[45:46]
	v_add_f64 v[26:27], v[51:52], -v[26:27]
	v_cndmask_b32_e64 v19, 0, 0x3ff00000, vcc_lo
	s_delay_alu instid0(VALU_DEP_1) | instskip(SKIP_1) | instid1(VALU_DEP_4)
	v_add_f64 v[45:46], v[45:46], -v[18:19]
	v_add_co_ci_u32_e32 v19, vcc_lo, 0, v49, vcc_lo
	v_add_f64 v[24:25], v[24:25], v[26:27]
	s_delay_alu instid0(VALU_DEP_1) | instskip(NEXT) | instid1(VALU_DEP_1)
	v_add_f64 v[26:27], v[45:46], v[24:25]
	v_add_f64 v[45:46], v[26:27], -v[45:46]
	s_delay_alu instid0(VALU_DEP_1) | instskip(SKIP_1) | instid1(VALU_DEP_1)
	v_add_f64 v[24:25], v[24:25], -v[45:46]
	v_mul_f64 v[45:46], v[26:27], s[16:17]
	v_fma_f64 v[47:48], v[26:27], s[16:17], -v[45:46]
	s_delay_alu instid0(VALU_DEP_1) | instskip(NEXT) | instid1(VALU_DEP_1)
	v_fma_f64 v[26:27], v[26:27], s[12:13], v[47:48]
	v_fma_f64 v[26:27], v[24:25], s[16:17], v[26:27]
	s_delay_alu instid0(VALU_DEP_1) | instskip(NEXT) | instid1(VALU_DEP_1)
	v_add_f64 v[24:25], v[45:46], v[26:27]
	v_add_f64 v[45:46], v[24:25], -v[45:46]
	s_delay_alu instid0(VALU_DEP_1)
	v_add_f64 v[26:27], v[26:27], -v[45:46]
	s_and_not1_saveexec_b32 s4, s4
	s_cbranch_execnz .LBB156_185
	s_branch .LBB156_186
.LBB156_184:                            ;   in Loop: Header=BB156_161 Depth=1
	s_and_not1_saveexec_b32 s4, s4
	s_cbranch_execz .LBB156_186
.LBB156_185:                            ;   in Loop: Header=BB156_161 Depth=1
	v_mul_f64 v[24:25], |v[8:9]|, s[22:23]
	s_mov_b32 s20, s24
	s_delay_alu instid0(VALU_DEP_1) | instskip(NEXT) | instid1(VALU_DEP_1)
	v_rndne_f64_e32 v[45:46], v[24:25]
	v_fma_f64 v[24:25], v[45:46], s[18:19], |v[8:9]|
	v_mul_f64 v[26:27], v[45:46], s[24:25]
	v_cvt_i32_f64_e32 v19, v[45:46]
	s_delay_alu instid0(VALU_DEP_3) | instskip(NEXT) | instid1(VALU_DEP_3)
	v_fma_f64 v[49:50], v[45:46], s[24:25], v[24:25]
	v_add_f64 v[47:48], v[24:25], v[26:27]
	s_delay_alu instid0(VALU_DEP_1) | instskip(NEXT) | instid1(VALU_DEP_3)
	v_add_f64 v[24:25], v[24:25], -v[47:48]
	v_add_f64 v[47:48], v[47:48], -v[49:50]
	s_delay_alu instid0(VALU_DEP_2) | instskip(SKIP_1) | instid1(VALU_DEP_2)
	v_add_f64 v[24:25], v[24:25], v[26:27]
	v_fma_f64 v[26:27], v[45:46], s[20:21], v[26:27]
	v_add_f64 v[24:25], v[47:48], v[24:25]
	s_delay_alu instid0(VALU_DEP_1) | instskip(NEXT) | instid1(VALU_DEP_1)
	v_add_f64 v[24:25], v[24:25], -v[26:27]
	v_fma_f64 v[26:27], v[45:46], s[26:27], v[24:25]
	s_delay_alu instid0(VALU_DEP_1) | instskip(NEXT) | instid1(VALU_DEP_1)
	v_add_f64 v[24:25], v[49:50], v[26:27]
	v_add_f64 v[47:48], v[24:25], -v[49:50]
	s_delay_alu instid0(VALU_DEP_1)
	v_add_f64 v[26:27], v[26:27], -v[47:48]
.LBB156_186:                            ;   in Loop: Header=BB156_161 Depth=1
	s_or_b32 exec_lo, exec_lo, s4
	v_mul_f64 v[45:46], v[20:21], v[20:21]
	s_delay_alu instid0(VALU_DEP_2) | instskip(NEXT) | instid1(VALU_DEP_3)
	v_mul_f64 v[53:54], v[22:23], 0.5
	v_mul_f64 v[59:60], v[26:27], 0.5
	s_mov_b32 s4, s42
	s_mov_b32 s87, s41
	;; [unrolled: 1-line block ×3, first 2 shown]
	s_delay_alu instid0(VALU_DEP_3) | instskip(SKIP_1) | instid1(VALU_DEP_2)
	v_mul_f64 v[47:48], v[45:46], 0.5
	v_mul_f64 v[55:56], v[20:21], -v[45:46]
	v_add_f64 v[49:50], -v[47:48], 1.0
	s_delay_alu instid0(VALU_DEP_1) | instskip(NEXT) | instid1(VALU_DEP_1)
	v_add_f64 v[51:52], -v[49:50], 1.0
	v_add_f64 v[47:48], v[51:52], -v[47:48]
	v_fma_f64 v[51:52], v[45:46], s[34:35], s[30:31]
	s_delay_alu instid0(VALU_DEP_2) | instskip(NEXT) | instid1(VALU_DEP_2)
	v_fma_f64 v[47:48], v[20:21], -v[22:23], v[47:48]
	v_fma_f64 v[51:52], v[45:46], v[51:52], s[36:37]
	s_delay_alu instid0(VALU_DEP_1) | instskip(NEXT) | instid1(VALU_DEP_1)
	v_fma_f64 v[51:52], v[45:46], v[51:52], s[38:39]
	v_fma_f64 v[51:52], v[45:46], v[51:52], s[40:41]
	s_delay_alu instid0(VALU_DEP_1) | instskip(NEXT) | instid1(VALU_DEP_1)
	v_fma_f64 v[51:52], v[55:56], v[51:52], v[53:54]
	v_fma_f64 v[22:23], v[45:46], v[51:52], -v[22:23]
	v_fma_f64 v[51:52], v[45:46], s[98:99], s[96:97]
	s_delay_alu instid0(VALU_DEP_2) | instskip(NEXT) | instid1(VALU_DEP_2)
	v_fma_f64 v[22:23], v[55:56], s[4:5], v[22:23]
	v_fma_f64 v[51:52], v[45:46], v[51:52], s[100:101]
	s_delay_alu instid0(VALU_DEP_2) | instskip(NEXT) | instid1(VALU_DEP_2)
	v_add_f64 v[20:21], v[20:21], -v[22:23]
	v_fma_f64 v[51:52], v[45:46], v[51:52], s[102:103]
	s_delay_alu instid0(VALU_DEP_1) | instskip(NEXT) | instid1(VALU_DEP_1)
	v_fma_f64 v[51:52], v[45:46], v[51:52], s[28:29]
	v_fma_f64 v[51:52], v[45:46], v[51:52], s[42:43]
	v_mul_f64 v[45:46], v[45:46], v[45:46]
	s_delay_alu instid0(VALU_DEP_1) | instskip(SKIP_1) | instid1(VALU_DEP_2)
	v_fma_f64 v[45:46], v[45:46], v[51:52], v[47:48]
	v_mul_f64 v[47:48], v[24:25], v[24:25]
	v_add_f64 v[45:46], v[49:50], v[45:46]
	s_delay_alu instid0(VALU_DEP_2) | instskip(SKIP_2) | instid1(VALU_DEP_1)
	v_mul_f64 v[51:52], v[47:48], 0.5
	v_mul_f64 v[61:62], v[24:25], -v[47:48]
	v_and_b32_e32 v8, 1, v44
	v_cmp_eq_u32_e32 vcc_lo, 0, v8
	v_cndmask_b32_e32 v21, v46, v21, vcc_lo
	v_add_f64 v[53:54], -v[51:52], 1.0
	v_cndmask_b32_e32 v8, v45, v20, vcc_lo
	s_delay_alu instid0(VALU_DEP_2) | instskip(NEXT) | instid1(VALU_DEP_1)
	v_add_f64 v[57:58], -v[53:54], 1.0
	v_add_f64 v[51:52], v[57:58], -v[51:52]
	v_fma_f64 v[57:58], v[47:48], s[34:35], s[30:31]
	s_delay_alu instid0(VALU_DEP_2) | instskip(NEXT) | instid1(VALU_DEP_2)
	v_fma_f64 v[51:52], v[24:25], -v[26:27], v[51:52]
	v_fma_f64 v[57:58], v[47:48], v[57:58], s[36:37]
	s_delay_alu instid0(VALU_DEP_1) | instskip(NEXT) | instid1(VALU_DEP_1)
	v_fma_f64 v[57:58], v[47:48], v[57:58], s[38:39]
	v_fma_f64 v[57:58], v[47:48], v[57:58], s[40:41]
	s_delay_alu instid0(VALU_DEP_1) | instskip(NEXT) | instid1(VALU_DEP_1)
	v_fma_f64 v[57:58], v[61:62], v[57:58], v[59:60]
	v_fma_f64 v[26:27], v[47:48], v[57:58], -v[26:27]
	v_fma_f64 v[57:58], v[47:48], s[98:99], s[96:97]
	s_delay_alu instid0(VALU_DEP_2) | instskip(NEXT) | instid1(VALU_DEP_2)
	v_fma_f64 v[26:27], v[61:62], s[4:5], v[26:27]
	v_fma_f64 v[57:58], v[47:48], v[57:58], s[100:101]
	s_delay_alu instid0(VALU_DEP_2) | instskip(NEXT) | instid1(VALU_DEP_2)
	v_add_f64 v[22:23], v[24:25], -v[26:27]
	v_fma_f64 v[57:58], v[47:48], v[57:58], s[102:103]
	s_delay_alu instid0(VALU_DEP_1) | instskip(NEXT) | instid1(VALU_DEP_1)
	v_fma_f64 v[57:58], v[47:48], v[57:58], s[28:29]
	v_fma_f64 v[57:58], v[47:48], v[57:58], s[42:43]
	v_mul_f64 v[47:48], v[47:48], v[47:48]
	s_delay_alu instid0(VALU_DEP_1) | instskip(NEXT) | instid1(VALU_DEP_1)
	v_fma_f64 v[47:48], v[47:48], v[57:58], v[51:52]
	v_add_f64 v[24:25], v[53:54], v[47:48]
	v_lshlrev_b32_e32 v20, 30, v44
	s_delay_alu instid0(VALU_DEP_1) | instskip(SKIP_2) | instid1(VALU_DEP_3)
	v_xor_b32_e32 v9, v20, v9
	v_and_b32_e32 v20, 1, v19
	v_lshlrev_b32_e32 v19, 30, v19
	v_and_b32_e32 v9, 0x80000000, v9
	s_delay_alu instid0(VALU_DEP_3) | instskip(NEXT) | instid1(VALU_DEP_3)
	v_cmp_eq_u32_e32 vcc_lo, 0, v20
	v_and_b32_e32 v19, 0x80000000, v19
	s_delay_alu instid0(VALU_DEP_3) | instskip(SKIP_1) | instid1(VALU_DEP_2)
	v_xor_b32_e32 v9, v21, v9
	v_xor_b32_e32 v21, 0x80000000, v23
	v_mul_f64 v[8:9], v[8:9], 4.0
	v_cndmask_b32_e32 v20, v22, v24, vcc_lo
	v_mul_f64 v[22:23], |v[6:7]|, s[66:67]
	s_delay_alu instid0(VALU_DEP_4) | instskip(SKIP_1) | instid1(VALU_DEP_2)
	v_cndmask_b32_e32 v21, v21, v25, vcc_lo
	v_cmp_nlt_f64_e64 vcc_lo, 0x4090cc00, |v[6:7]|
	v_xor_b32_e32 v21, v21, v19
	s_delay_alu instid0(VALU_DEP_1) | instskip(SKIP_1) | instid1(VALU_DEP_1)
	v_mul_f64 v[8:9], v[8:9], v[20:21]
	v_rndne_f64_e32 v[22:23], v[22:23]
	v_fma_f64 v[24:25], v[22:23], s[58:59], -|v[6:7]|
	v_cvt_i32_f64_e32 v19, v[22:23]
	s_delay_alu instid0(VALU_DEP_2) | instskip(NEXT) | instid1(VALU_DEP_1)
	v_fma_f64 v[24:25], v[22:23], s[62:63], v[24:25]
	v_fma_f64 v[26:27], v[24:25], s[76:77], s[74:75]
	s_delay_alu instid0(VALU_DEP_1) | instskip(NEXT) | instid1(VALU_DEP_1)
	v_fma_f64 v[26:27], v[24:25], v[26:27], s[78:79]
	v_fma_f64 v[26:27], v[24:25], v[26:27], s[80:81]
	s_delay_alu instid0(VALU_DEP_1) | instskip(NEXT) | instid1(VALU_DEP_1)
	;; [unrolled: 3-line block ×5, first 2 shown]
	v_fma_f64 v[26:27], v[24:25], v[26:27], 1.0
	v_fma_f64 v[24:25], v[24:25], v[26:27], 1.0
	s_delay_alu instid0(VALU_DEP_1) | instskip(NEXT) | instid1(VALU_DEP_1)
	v_ldexp_f64 v[22:23], v[24:25], v19
	v_dual_cndmask_b32 v20, 0, v23 :: v_dual_cndmask_b32 v19, 0, v22
	s_delay_alu instid0(VALU_DEP_1) | instskip(NEXT) | instid1(VALU_DEP_1)
	v_mul_f64 v[8:9], v[19:20], v[8:9]
	v_mul_f64 v[8:9], v[19:20], v[8:9]
	v_bfi_b32 v19, 0x7fffffff, s49, v7
	s_delay_alu instid0(VALU_DEP_1)
	v_dual_mov_b32 v6, v18 :: v_dual_mov_b32 v7, v19
	s_or_b32 exec_lo, exec_lo, s60
.LBB156_187:                            ;   in Loop: Header=BB156_161 Depth=1
	s_and_not1_saveexec_b32 s4, s47
.LBB156_188:                            ;   in Loop: Header=BB156_161 Depth=1
	s_delay_alu instid0(VALU_DEP_1) | instskip(NEXT) | instid1(VALU_DEP_1)
	v_add_f64 v[8:9], v[8:9], -v[8:9]
	v_dual_mov_b32 v6, v8 :: v_dual_mov_b32 v7, v9
.LBB156_189:                            ;   in Loop: Header=BB156_161 Depth=1
	s_or_b32 exec_lo, exec_lo, s4
.LBB156_190:                            ;   in Loop: Header=BB156_161 Depth=1
	s_and_not1_saveexec_b32 s45, s45
	s_cbranch_execz .LBB156_207
; %bb.191:                              ;   in Loop: Header=BB156_161 Depth=1
	s_delay_alu instid0(VALU_DEP_1) | instskip(SKIP_1) | instid1(VALU_DEP_1)
	v_and_or_b32 v19, 0xfffff, v7, v6
	s_mov_b32 s4, exec_lo
	v_cmpx_ne_u32_e32 0, v19
	s_xor_b32 s4, exec_lo, s4
; %bb.192:                              ;   in Loop: Header=BB156_161 Depth=1
	s_delay_alu instid0(VALU_DEP_3) | instskip(SKIP_1) | instid1(VALU_DEP_2)
	v_mul_f64 v[19:20], v[8:9], v[6:7]
	v_cmp_eq_f64_e32 vcc_lo, 0, v[8:9]
	v_dual_cndmask_b32 v9, v20, v9 :: v_dual_cndmask_b32 v8, v19, v8
; %bb.193:                              ;   in Loop: Header=BB156_161 Depth=1
	s_and_not1_saveexec_b32 s47, s4
	s_cbranch_execz .LBB156_206
; %bb.194:                              ;   in Loop: Header=BB156_161 Depth=1
	s_mov_b32 s48, exec_lo
	s_delay_alu instid0(VALU_DEP_1)
	v_cmpx_neq_f64_e64 0x7ff00000, |v[8:9]|
	s_cbranch_execz .LBB156_205
; %bb.195:                              ;   in Loop: Header=BB156_161 Depth=1
	v_cmp_ngt_f64_e64 s4, 0x41d00000, |v[8:9]|
                                        ; implicit-def: $vgpr44
                                        ; implicit-def: $vgpr20_vgpr21
                                        ; implicit-def: $vgpr22_vgpr23
	s_delay_alu instid0(VALU_DEP_1) | instskip(NEXT) | instid1(SALU_CYCLE_1)
	s_and_saveexec_b32 s13, s4
	s_xor_b32 s20, exec_lo, s13
	s_cbranch_execz .LBB156_198
; %bb.196:                              ;   in Loop: Header=BB156_161 Depth=1
	v_ldexp_f64 v[19:20], |v[8:9]|, 0xffffff80
	v_cmp_le_f64_e64 vcc_lo, 0x7b000000, |v[8:9]|
	v_trig_preop_f64 v[21:22], |v[8:9]|, 0
	v_and_b32_e32 v23, 0x7fffffff, v9
	v_trig_preop_f64 v[25:26], |v[8:9]|, 1
	v_trig_preop_f64 v[46:47], |v[8:9]|, 2
	s_mov_b32 s16, s18
	s_mov_b32 s13, s21
	v_dual_cndmask_b32 v20, v23, v20 :: v_dual_cndmask_b32 v19, v8, v19
	s_delay_alu instid0(VALU_DEP_1) | instskip(NEXT) | instid1(VALU_DEP_4)
	v_mul_f64 v[23:24], v[21:22], v[19:20]
	v_mul_f64 v[44:45], v[25:26], v[19:20]
	s_delay_alu instid0(VALU_DEP_4) | instskip(NEXT) | instid1(VALU_DEP_3)
	v_mul_f64 v[48:49], v[46:47], v[19:20]
	v_fma_f64 v[21:22], v[21:22], v[19:20], -v[23:24]
	s_delay_alu instid0(VALU_DEP_3) | instskip(NEXT) | instid1(VALU_DEP_3)
	v_fma_f64 v[25:26], v[25:26], v[19:20], -v[44:45]
	v_fma_f64 v[19:20], v[46:47], v[19:20], -v[48:49]
	s_delay_alu instid0(VALU_DEP_3) | instskip(NEXT) | instid1(VALU_DEP_1)
	v_add_f64 v[46:47], v[44:45], v[21:22]
	v_add_f64 v[50:51], v[46:47], -v[44:45]
	s_delay_alu instid0(VALU_DEP_1) | instskip(SKIP_1) | instid1(VALU_DEP_1)
	v_add_f64 v[21:22], v[21:22], -v[50:51]
	v_add_f64 v[50:51], v[46:47], -v[50:51]
	;; [unrolled: 1-line block ×3, first 2 shown]
	v_add_f64 v[50:51], v[23:24], v[46:47]
	s_delay_alu instid0(VALU_DEP_2) | instskip(NEXT) | instid1(VALU_DEP_2)
	v_add_f64 v[21:22], v[21:22], v[44:45]
	v_add_f64 v[23:24], v[50:51], -v[23:24]
	v_add_f64 v[44:45], v[48:49], v[25:26]
	v_ldexp_f64 v[50:51], v[50:51], -2
	s_delay_alu instid0(VALU_DEP_3) | instskip(NEXT) | instid1(VALU_DEP_3)
	v_add_f64 v[23:24], v[46:47], -v[23:24]
	v_add_f64 v[46:47], v[44:45], -v[48:49]
	s_delay_alu instid0(VALU_DEP_3) | instskip(SKIP_1) | instid1(VALU_DEP_3)
	v_cmp_neq_f64_e64 vcc_lo, 0x7ff00000, |v[50:51]|
	v_fract_f64_e32 v[50:51], v[50:51]
	v_add_f64 v[25:26], v[25:26], -v[46:47]
	v_add_f64 v[46:47], v[44:45], -v[46:47]
	s_delay_alu instid0(VALU_DEP_3) | instskip(NEXT) | instid1(VALU_DEP_2)
	v_dual_cndmask_b32 v51, 0, v51 :: v_dual_cndmask_b32 v50, 0, v50
	v_add_f64 v[46:47], v[48:49], -v[46:47]
	v_add_f64 v[48:49], v[44:45], v[21:22]
	s_delay_alu instid0(VALU_DEP_2) | instskip(NEXT) | instid1(VALU_DEP_2)
	v_add_f64 v[25:26], v[25:26], v[46:47]
	v_add_f64 v[52:53], v[48:49], -v[44:45]
	v_add_f64 v[46:47], v[23:24], v[48:49]
	s_delay_alu instid0(VALU_DEP_2) | instskip(SKIP_1) | instid1(VALU_DEP_3)
	v_add_f64 v[21:22], v[21:22], -v[52:53]
	v_add_f64 v[52:53], v[48:49], -v[52:53]
	;; [unrolled: 1-line block ×3, first 2 shown]
	s_delay_alu instid0(VALU_DEP_2) | instskip(NEXT) | instid1(VALU_DEP_2)
	v_add_f64 v[44:45], v[44:45], -v[52:53]
	v_add_f64 v[23:24], v[48:49], -v[23:24]
	s_delay_alu instid0(VALU_DEP_2) | instskip(SKIP_1) | instid1(VALU_DEP_2)
	v_add_f64 v[21:22], v[21:22], v[44:45]
	v_ldexp_f64 v[44:45], v[50:51], 2
	v_add_f64 v[21:22], v[25:26], v[21:22]
	s_delay_alu instid0(VALU_DEP_2) | instskip(NEXT) | instid1(VALU_DEP_2)
	v_add_f64 v[50:51], v[46:47], v[44:45]
	v_add_f64 v[20:21], v[19:20], v[21:22]
	s_delay_alu instid0(VALU_DEP_2) | instskip(NEXT) | instid1(VALU_DEP_2)
	v_cmp_gt_f64_e32 vcc_lo, 0, v[50:51]
	v_add_f64 v[20:21], v[23:24], v[20:21]
	v_cndmask_b32_e64 v19, 0, 0x40100000, vcc_lo
	s_delay_alu instid0(VALU_DEP_1) | instskip(NEXT) | instid1(VALU_DEP_1)
	v_add_f64 v[25:26], v[44:45], v[18:19]
	v_add_f64 v[44:45], v[46:47], v[25:26]
	s_delay_alu instid0(VALU_DEP_1) | instskip(NEXT) | instid1(VALU_DEP_1)
	v_cvt_i32_f64_e32 v48, v[44:45]
	v_cvt_f64_i32_e32 v[44:45], v48
	s_delay_alu instid0(VALU_DEP_1) | instskip(NEXT) | instid1(VALU_DEP_1)
	v_add_f64 v[25:26], v[25:26], -v[44:45]
	v_add_f64 v[22:23], v[46:47], v[25:26]
	s_delay_alu instid0(VALU_DEP_1) | instskip(SKIP_1) | instid1(VALU_DEP_2)
	v_add_f64 v[24:25], v[22:23], -v[25:26]
	v_cmp_le_f64_e32 vcc_lo, 0.5, v[22:23]
	v_add_f64 v[24:25], v[46:47], -v[24:25]
	v_cndmask_b32_e64 v19, 0, 0x3ff00000, vcc_lo
	v_add_co_ci_u32_e32 v44, vcc_lo, 0, v48, vcc_lo
	s_delay_alu instid0(VALU_DEP_2) | instskip(NEXT) | instid1(VALU_DEP_4)
	v_add_f64 v[22:23], v[22:23], -v[18:19]
	v_add_f64 v[19:20], v[20:21], v[24:25]
	s_delay_alu instid0(VALU_DEP_1) | instskip(NEXT) | instid1(VALU_DEP_1)
	v_add_f64 v[24:25], v[22:23], v[19:20]
	v_add_f64 v[21:22], v[24:25], -v[22:23]
	s_delay_alu instid0(VALU_DEP_1) | instskip(SKIP_1) | instid1(VALU_DEP_1)
	v_add_f64 v[19:20], v[19:20], -v[21:22]
	v_mul_f64 v[22:23], v[24:25], s[16:17]
	v_fma_f64 v[26:27], v[24:25], s[16:17], -v[22:23]
	s_delay_alu instid0(VALU_DEP_1) | instskip(NEXT) | instid1(VALU_DEP_1)
	v_fma_f64 v[24:25], v[24:25], s[12:13], v[26:27]
	v_fma_f64 v[24:25], v[19:20], s[16:17], v[24:25]
	s_delay_alu instid0(VALU_DEP_1) | instskip(NEXT) | instid1(VALU_DEP_1)
	v_add_f64 v[20:21], v[22:23], v[24:25]
	v_add_f64 v[22:23], v[20:21], -v[22:23]
	s_delay_alu instid0(VALU_DEP_1)
	v_add_f64 v[22:23], v[24:25], -v[22:23]
	s_and_not1_saveexec_b32 s13, s20
	s_cbranch_execz .LBB156_200
	s_branch .LBB156_199
.LBB156_197:                            ;   in Loop: Header=BB156_161 Depth=1
	s_or_b32 exec_lo, exec_lo, s60
	s_and_not1_saveexec_b32 s4, s47
	s_cbranch_execnz .LBB156_188
	s_branch .LBB156_189
.LBB156_198:                            ;   in Loop: Header=BB156_161 Depth=1
	s_and_not1_saveexec_b32 s13, s20
	s_cbranch_execz .LBB156_200
.LBB156_199:                            ;   in Loop: Header=BB156_161 Depth=1
	v_mul_f64 v[19:20], |v[8:9]|, s[22:23]
	s_mov_b32 s20, s24
	s_delay_alu instid0(VALU_DEP_1) | instskip(NEXT) | instid1(VALU_DEP_1)
	v_rndne_f64_e32 v[24:25], v[19:20]
	v_fma_f64 v[19:20], v[24:25], s[18:19], |v[8:9]|
	v_mul_f64 v[21:22], v[24:25], s[24:25]
	s_delay_alu instid0(VALU_DEP_2) | instskip(NEXT) | instid1(VALU_DEP_2)
	v_fma_f64 v[44:45], v[24:25], s[24:25], v[19:20]
	v_add_f64 v[26:27], v[19:20], v[21:22]
	s_delay_alu instid0(VALU_DEP_1) | instskip(NEXT) | instid1(VALU_DEP_3)
	v_add_f64 v[19:20], v[19:20], -v[26:27]
	v_add_f64 v[26:27], v[26:27], -v[44:45]
	s_delay_alu instid0(VALU_DEP_2) | instskip(SKIP_1) | instid1(VALU_DEP_2)
	v_add_f64 v[19:20], v[19:20], v[21:22]
	v_fma_f64 v[21:22], v[24:25], s[20:21], v[21:22]
	v_add_f64 v[19:20], v[26:27], v[19:20]
	s_delay_alu instid0(VALU_DEP_1) | instskip(NEXT) | instid1(VALU_DEP_1)
	v_add_f64 v[19:20], v[19:20], -v[21:22]
	v_fma_f64 v[22:23], v[24:25], s[26:27], v[19:20]
	s_delay_alu instid0(VALU_DEP_1) | instskip(NEXT) | instid1(VALU_DEP_1)
	v_add_f64 v[20:21], v[44:45], v[22:23]
	v_add_f64 v[26:27], v[20:21], -v[44:45]
	v_cvt_i32_f64_e32 v44, v[24:25]
	s_delay_alu instid0(VALU_DEP_2)
	v_add_f64 v[22:23], v[22:23], -v[26:27]
.LBB156_200:                            ;   in Loop: Header=BB156_161 Depth=1
	s_or_b32 exec_lo, exec_lo, s13
                                        ; implicit-def: $vgpr19
                                        ; implicit-def: $vgpr24_vgpr25
                                        ; implicit-def: $vgpr26_vgpr27
	s_and_saveexec_b32 s13, s4
	s_delay_alu instid0(SALU_CYCLE_1)
	s_xor_b32 s4, exec_lo, s13
	s_cbranch_execz .LBB156_202
; %bb.201:                              ;   in Loop: Header=BB156_161 Depth=1
	v_ldexp_f64 v[24:25], |v[8:9]|, 0xffffff80
	v_cmp_le_f64_e64 vcc_lo, 0x7b000000, |v[8:9]|
	v_trig_preop_f64 v[26:27], |v[8:9]|, 0
	v_and_b32_e32 v19, 0x7fffffff, v9
	v_trig_preop_f64 v[47:48], |v[8:9]|, 1
	v_trig_preop_f64 v[51:52], |v[8:9]|, 2
	s_mov_b32 s16, s18
	s_mov_b32 s13, s21
	v_dual_cndmask_b32 v24, v8, v24 :: v_dual_cndmask_b32 v25, v19, v25
	s_delay_alu instid0(VALU_DEP_1) | instskip(NEXT) | instid1(VALU_DEP_4)
	v_mul_f64 v[45:46], v[26:27], v[24:25]
	v_mul_f64 v[49:50], v[47:48], v[24:25]
	s_delay_alu instid0(VALU_DEP_4) | instskip(NEXT) | instid1(VALU_DEP_3)
	v_mul_f64 v[53:54], v[51:52], v[24:25]
	v_fma_f64 v[26:27], v[26:27], v[24:25], -v[45:46]
	s_delay_alu instid0(VALU_DEP_3) | instskip(NEXT) | instid1(VALU_DEP_3)
	v_fma_f64 v[47:48], v[47:48], v[24:25], -v[49:50]
	v_fma_f64 v[24:25], v[51:52], v[24:25], -v[53:54]
	s_delay_alu instid0(VALU_DEP_3) | instskip(NEXT) | instid1(VALU_DEP_1)
	v_add_f64 v[51:52], v[49:50], v[26:27]
	v_add_f64 v[55:56], v[51:52], -v[49:50]
	s_delay_alu instid0(VALU_DEP_1) | instskip(SKIP_1) | instid1(VALU_DEP_1)
	v_add_f64 v[26:27], v[26:27], -v[55:56]
	v_add_f64 v[55:56], v[51:52], -v[55:56]
	;; [unrolled: 1-line block ×3, first 2 shown]
	v_add_f64 v[55:56], v[45:46], v[51:52]
	s_delay_alu instid0(VALU_DEP_2) | instskip(NEXT) | instid1(VALU_DEP_2)
	v_add_f64 v[26:27], v[26:27], v[49:50]
	v_add_f64 v[45:46], v[55:56], -v[45:46]
	v_add_f64 v[49:50], v[53:54], v[47:48]
	v_ldexp_f64 v[55:56], v[55:56], -2
	s_delay_alu instid0(VALU_DEP_3) | instskip(NEXT) | instid1(VALU_DEP_3)
	v_add_f64 v[45:46], v[51:52], -v[45:46]
	v_add_f64 v[51:52], v[49:50], -v[53:54]
	s_delay_alu instid0(VALU_DEP_3) | instskip(SKIP_1) | instid1(VALU_DEP_3)
	v_cmp_neq_f64_e64 vcc_lo, 0x7ff00000, |v[55:56]|
	v_fract_f64_e32 v[55:56], v[55:56]
	v_add_f64 v[47:48], v[47:48], -v[51:52]
	v_add_f64 v[51:52], v[49:50], -v[51:52]
	s_delay_alu instid0(VALU_DEP_3) | instskip(NEXT) | instid1(VALU_DEP_2)
	v_dual_cndmask_b32 v56, 0, v56 :: v_dual_cndmask_b32 v55, 0, v55
	v_add_f64 v[51:52], v[53:54], -v[51:52]
	v_add_f64 v[53:54], v[49:50], v[26:27]
	s_delay_alu instid0(VALU_DEP_2) | instskip(NEXT) | instid1(VALU_DEP_2)
	v_add_f64 v[47:48], v[47:48], v[51:52]
	v_add_f64 v[57:58], v[53:54], -v[49:50]
	v_add_f64 v[51:52], v[45:46], v[53:54]
	s_delay_alu instid0(VALU_DEP_2) | instskip(SKIP_1) | instid1(VALU_DEP_3)
	v_add_f64 v[26:27], v[26:27], -v[57:58]
	v_add_f64 v[57:58], v[53:54], -v[57:58]
	;; [unrolled: 1-line block ×3, first 2 shown]
	s_delay_alu instid0(VALU_DEP_2) | instskip(NEXT) | instid1(VALU_DEP_2)
	v_add_f64 v[49:50], v[49:50], -v[57:58]
	v_add_f64 v[45:46], v[53:54], -v[45:46]
	s_delay_alu instid0(VALU_DEP_2) | instskip(SKIP_1) | instid1(VALU_DEP_2)
	v_add_f64 v[26:27], v[26:27], v[49:50]
	v_ldexp_f64 v[49:50], v[55:56], 2
	v_add_f64 v[26:27], v[47:48], v[26:27]
	s_delay_alu instid0(VALU_DEP_2) | instskip(NEXT) | instid1(VALU_DEP_2)
	v_add_f64 v[55:56], v[51:52], v[49:50]
	v_add_f64 v[24:25], v[24:25], v[26:27]
	s_delay_alu instid0(VALU_DEP_2) | instskip(NEXT) | instid1(VALU_DEP_2)
	v_cmp_gt_f64_e32 vcc_lo, 0, v[55:56]
	v_add_f64 v[24:25], v[45:46], v[24:25]
	v_cndmask_b32_e64 v19, 0, 0x40100000, vcc_lo
	s_delay_alu instid0(VALU_DEP_1) | instskip(NEXT) | instid1(VALU_DEP_1)
	v_add_f64 v[26:27], v[49:50], v[18:19]
	v_add_f64 v[47:48], v[51:52], v[26:27]
	s_delay_alu instid0(VALU_DEP_1) | instskip(NEXT) | instid1(VALU_DEP_1)
	v_cvt_i32_f64_e32 v49, v[47:48]
	v_cvt_f64_i32_e32 v[47:48], v49
	s_delay_alu instid0(VALU_DEP_1) | instskip(NEXT) | instid1(VALU_DEP_1)
	v_add_f64 v[26:27], v[26:27], -v[47:48]
	v_add_f64 v[45:46], v[51:52], v[26:27]
	s_delay_alu instid0(VALU_DEP_1) | instskip(SKIP_1) | instid1(VALU_DEP_2)
	v_add_f64 v[26:27], v[45:46], -v[26:27]
	v_cmp_le_f64_e32 vcc_lo, 0.5, v[45:46]
	v_add_f64 v[26:27], v[51:52], -v[26:27]
	v_cndmask_b32_e64 v19, 0, 0x3ff00000, vcc_lo
	s_delay_alu instid0(VALU_DEP_1) | instskip(SKIP_1) | instid1(VALU_DEP_4)
	v_add_f64 v[45:46], v[45:46], -v[18:19]
	v_add_co_ci_u32_e32 v19, vcc_lo, 0, v49, vcc_lo
	v_add_f64 v[24:25], v[24:25], v[26:27]
	s_delay_alu instid0(VALU_DEP_1) | instskip(NEXT) | instid1(VALU_DEP_1)
	v_add_f64 v[26:27], v[45:46], v[24:25]
	v_add_f64 v[45:46], v[26:27], -v[45:46]
	s_delay_alu instid0(VALU_DEP_1) | instskip(SKIP_1) | instid1(VALU_DEP_1)
	v_add_f64 v[24:25], v[24:25], -v[45:46]
	v_mul_f64 v[45:46], v[26:27], s[16:17]
	v_fma_f64 v[47:48], v[26:27], s[16:17], -v[45:46]
	s_delay_alu instid0(VALU_DEP_1) | instskip(NEXT) | instid1(VALU_DEP_1)
	v_fma_f64 v[26:27], v[26:27], s[12:13], v[47:48]
	v_fma_f64 v[26:27], v[24:25], s[16:17], v[26:27]
	s_delay_alu instid0(VALU_DEP_1) | instskip(NEXT) | instid1(VALU_DEP_1)
	v_add_f64 v[24:25], v[45:46], v[26:27]
	v_add_f64 v[45:46], v[24:25], -v[45:46]
	s_delay_alu instid0(VALU_DEP_1)
	v_add_f64 v[26:27], v[26:27], -v[45:46]
	s_and_not1_saveexec_b32 s4, s4
	s_cbranch_execnz .LBB156_203
	s_branch .LBB156_204
.LBB156_202:                            ;   in Loop: Header=BB156_161 Depth=1
	s_and_not1_saveexec_b32 s4, s4
	s_cbranch_execz .LBB156_204
.LBB156_203:                            ;   in Loop: Header=BB156_161 Depth=1
	v_mul_f64 v[24:25], |v[8:9]|, s[22:23]
	s_mov_b32 s20, s24
	s_delay_alu instid0(VALU_DEP_1) | instskip(NEXT) | instid1(VALU_DEP_1)
	v_rndne_f64_e32 v[45:46], v[24:25]
	v_fma_f64 v[24:25], v[45:46], s[18:19], |v[8:9]|
	v_mul_f64 v[26:27], v[45:46], s[24:25]
	v_cvt_i32_f64_e32 v19, v[45:46]
	s_delay_alu instid0(VALU_DEP_3) | instskip(NEXT) | instid1(VALU_DEP_3)
	v_fma_f64 v[49:50], v[45:46], s[24:25], v[24:25]
	v_add_f64 v[47:48], v[24:25], v[26:27]
	s_delay_alu instid0(VALU_DEP_1) | instskip(NEXT) | instid1(VALU_DEP_3)
	v_add_f64 v[24:25], v[24:25], -v[47:48]
	v_add_f64 v[47:48], v[47:48], -v[49:50]
	s_delay_alu instid0(VALU_DEP_2) | instskip(SKIP_1) | instid1(VALU_DEP_2)
	v_add_f64 v[24:25], v[24:25], v[26:27]
	v_fma_f64 v[26:27], v[45:46], s[20:21], v[26:27]
	v_add_f64 v[24:25], v[47:48], v[24:25]
	s_delay_alu instid0(VALU_DEP_1) | instskip(NEXT) | instid1(VALU_DEP_1)
	v_add_f64 v[24:25], v[24:25], -v[26:27]
	v_fma_f64 v[26:27], v[45:46], s[26:27], v[24:25]
	s_delay_alu instid0(VALU_DEP_1) | instskip(NEXT) | instid1(VALU_DEP_1)
	v_add_f64 v[24:25], v[49:50], v[26:27]
	v_add_f64 v[47:48], v[24:25], -v[49:50]
	s_delay_alu instid0(VALU_DEP_1)
	v_add_f64 v[26:27], v[26:27], -v[47:48]
.LBB156_204:                            ;   in Loop: Header=BB156_161 Depth=1
	s_or_b32 exec_lo, exec_lo, s4
	v_mul_f64 v[45:46], v[20:21], v[20:21]
	s_delay_alu instid0(VALU_DEP_2) | instskip(NEXT) | instid1(VALU_DEP_3)
	v_mul_f64 v[53:54], v[22:23], 0.5
	v_mul_f64 v[59:60], v[26:27], 0.5
	s_mov_b32 s4, s42
	s_delay_alu instid0(VALU_DEP_3) | instskip(SKIP_1) | instid1(VALU_DEP_2)
	v_mul_f64 v[47:48], v[45:46], 0.5
	v_mul_f64 v[55:56], v[20:21], -v[45:46]
	v_add_f64 v[49:50], -v[47:48], 1.0
	s_delay_alu instid0(VALU_DEP_1) | instskip(NEXT) | instid1(VALU_DEP_1)
	v_add_f64 v[51:52], -v[49:50], 1.0
	v_add_f64 v[47:48], v[51:52], -v[47:48]
	v_fma_f64 v[51:52], v[45:46], s[34:35], s[30:31]
	s_delay_alu instid0(VALU_DEP_2) | instskip(NEXT) | instid1(VALU_DEP_2)
	v_fma_f64 v[47:48], v[20:21], -v[22:23], v[47:48]
	v_fma_f64 v[51:52], v[45:46], v[51:52], s[36:37]
	s_delay_alu instid0(VALU_DEP_1) | instskip(NEXT) | instid1(VALU_DEP_1)
	v_fma_f64 v[51:52], v[45:46], v[51:52], s[38:39]
	v_fma_f64 v[51:52], v[45:46], v[51:52], s[40:41]
	s_delay_alu instid0(VALU_DEP_1) | instskip(NEXT) | instid1(VALU_DEP_1)
	v_fma_f64 v[51:52], v[55:56], v[51:52], v[53:54]
	v_fma_f64 v[22:23], v[45:46], v[51:52], -v[22:23]
	v_fma_f64 v[51:52], v[45:46], s[98:99], s[96:97]
	s_delay_alu instid0(VALU_DEP_2) | instskip(NEXT) | instid1(VALU_DEP_2)
	v_fma_f64 v[22:23], v[55:56], s[4:5], v[22:23]
	v_fma_f64 v[51:52], v[45:46], v[51:52], s[100:101]
	s_delay_alu instid0(VALU_DEP_2) | instskip(NEXT) | instid1(VALU_DEP_2)
	v_add_f64 v[20:21], v[20:21], -v[22:23]
	v_fma_f64 v[51:52], v[45:46], v[51:52], s[102:103]
	v_and_b32_e32 v22, 1, v44
	s_delay_alu instid0(VALU_DEP_1) | instskip(NEXT) | instid1(VALU_DEP_3)
	v_cmp_eq_u32_e32 vcc_lo, 0, v22
	v_fma_f64 v[51:52], v[45:46], v[51:52], s[28:29]
	s_delay_alu instid0(VALU_DEP_1) | instskip(SKIP_1) | instid1(VALU_DEP_1)
	v_fma_f64 v[51:52], v[45:46], v[51:52], s[42:43]
	v_mul_f64 v[45:46], v[45:46], v[45:46]
	v_fma_f64 v[45:46], v[45:46], v[51:52], v[47:48]
	v_mul_f64 v[47:48], v[24:25], v[24:25]
	s_delay_alu instid0(VALU_DEP_2) | instskip(NEXT) | instid1(VALU_DEP_2)
	v_add_f64 v[45:46], v[49:50], v[45:46]
	v_mul_f64 v[51:52], v[47:48], 0.5
	v_mul_f64 v[61:62], v[24:25], -v[47:48]
	s_delay_alu instid0(VALU_DEP_3) | instskip(NEXT) | instid1(VALU_DEP_3)
	v_dual_cndmask_b32 v45, v45, v20 :: v_dual_cndmask_b32 v46, v46, v21
	v_add_f64 v[53:54], -v[51:52], 1.0
	v_cmp_class_f64_e64 vcc_lo, v[8:9], 0x1f8
	v_lshlrev_b32_e32 v8, 30, v44
	s_delay_alu instid0(VALU_DEP_1) | instskip(NEXT) | instid1(VALU_DEP_1)
	v_xor_b32_e32 v8, v8, v9
	v_and_b32_e32 v8, 0x80000000, v8
	v_add_f64 v[57:58], -v[53:54], 1.0
	s_delay_alu instid0(VALU_DEP_1) | instskip(SKIP_1) | instid1(VALU_DEP_2)
	v_add_f64 v[51:52], v[57:58], -v[51:52]
	v_fma_f64 v[57:58], v[47:48], s[34:35], s[30:31]
	v_fma_f64 v[51:52], v[24:25], -v[26:27], v[51:52]
	s_delay_alu instid0(VALU_DEP_2) | instskip(NEXT) | instid1(VALU_DEP_1)
	v_fma_f64 v[57:58], v[47:48], v[57:58], s[36:37]
	v_fma_f64 v[57:58], v[47:48], v[57:58], s[38:39]
	s_delay_alu instid0(VALU_DEP_1) | instskip(NEXT) | instid1(VALU_DEP_1)
	v_fma_f64 v[57:58], v[47:48], v[57:58], s[40:41]
	v_fma_f64 v[57:58], v[61:62], v[57:58], v[59:60]
	s_delay_alu instid0(VALU_DEP_1) | instskip(SKIP_1) | instid1(VALU_DEP_2)
	v_fma_f64 v[26:27], v[47:48], v[57:58], -v[26:27]
	v_fma_f64 v[57:58], v[47:48], s[98:99], s[96:97]
	v_fma_f64 v[20:21], v[61:62], s[4:5], v[26:27]
	s_delay_alu instid0(VALU_DEP_2) | instskip(NEXT) | instid1(VALU_DEP_2)
	v_fma_f64 v[57:58], v[47:48], v[57:58], s[100:101]
	v_add_f64 v[20:21], v[24:25], -v[20:21]
	s_delay_alu instid0(VALU_DEP_2) | instskip(SKIP_2) | instid1(VALU_DEP_2)
	v_fma_f64 v[57:58], v[47:48], v[57:58], s[102:103]
	v_and_b32_e32 v24, 1, v19
	v_lshlrev_b32_e32 v19, 30, v19
	v_cmp_eq_u32_e64 s4, 0, v24
	v_xor_b32_e32 v9, 0x80000000, v21
	v_fma_f64 v[57:58], v[47:48], v[57:58], s[28:29]
	v_xor_b32_e32 v21, v46, v8
	v_dual_cndmask_b32 v8, 0, v45 :: v_dual_and_b32 v19, 0x80000000, v19
	s_delay_alu instid0(VALU_DEP_3) | instskip(SKIP_1) | instid1(VALU_DEP_1)
	v_fma_f64 v[57:58], v[47:48], v[57:58], s[42:43]
	v_mul_f64 v[47:48], v[47:48], v[47:48]
	v_fma_f64 v[47:48], v[47:48], v[57:58], v[51:52]
	s_delay_alu instid0(VALU_DEP_1) | instskip(NEXT) | instid1(VALU_DEP_1)
	v_add_f64 v[22:23], v[53:54], v[47:48]
	v_cndmask_b32_e64 v9, v9, v23, s4
	s_delay_alu instid0(VALU_DEP_2) | instskip(NEXT) | instid1(VALU_DEP_2)
	v_cndmask_b32_e64 v20, v20, v22, s4
	v_xor_b32_e32 v22, v9, v19
	v_cndmask_b32_e32 v9, 0x7ff80000, v21, vcc_lo
	s_delay_alu instid0(VALU_DEP_3) | instskip(NEXT) | instid1(VALU_DEP_3)
	v_cndmask_b32_e32 v19, 0, v20, vcc_lo
	v_cndmask_b32_e32 v20, 0x7ff80000, v22, vcc_lo
	s_delay_alu instid0(VALU_DEP_1)
	v_mul_f64 v[8:9], v[8:9], v[19:20]
.LBB156_205:                            ;   in Loop: Header=BB156_161 Depth=1
	s_or_b32 exec_lo, exec_lo, s48
	s_delay_alu instid0(VALU_DEP_1) | instskip(SKIP_2) | instid1(VALU_DEP_3)
	v_bfi_b32 v19, 0x7fffffff, 0, v9
	v_add_co_u32 v6, vcc_lo, v6, 0
	v_add_co_ci_u32_e32 v7, vcc_lo, -2.0, v7, vcc_lo
	v_dual_mov_b32 v8, v18 :: v_dual_mov_b32 v9, v19
.LBB156_206:                            ;   in Loop: Header=BB156_161 Depth=1
	s_or_b32 exec_lo, exec_lo, s47
.LBB156_207:                            ;   in Loop: Header=BB156_161 Depth=1
	s_delay_alu instid0(SALU_CYCLE_1) | instskip(SKIP_2) | instid1(VALU_DEP_1)
	s_or_b32 exec_lo, exec_lo, s45
	v_and_b32_e32 v23, 0x7fffffff, v3
	s_mov_b32 s4, exec_lo
	v_cmpx_gt_u32_e32 0x7ff00000, v23
	s_xor_b32 s45, exec_lo, s4
	s_cbranch_execz .LBB156_229
; %bb.208:                              ;   in Loop: Header=BB156_161 Depth=1
	v_cmp_class_f64_e64 s4, v[4:5], 0x1f8
	s_delay_alu instid0(VALU_DEP_1) | instskip(NEXT) | instid1(SALU_CYCLE_1)
	s_and_saveexec_b32 s13, s4
	s_xor_b32 s47, exec_lo, s13
	s_cbranch_execz .LBB156_226
; %bb.209:                              ;   in Loop: Header=BB156_161 Depth=1
	s_mov_b32 s4, exec_lo
	v_cmpx_gt_u32_e32 0x40360000, v23
	s_xor_b32 s48, exec_lo, s4
	s_cbranch_execz .LBB156_215
; %bb.210:                              ;   in Loop: Header=BB156_161 Depth=1
	v_cmp_ngt_f64_e64 s4, 0x41d00000, |v[4:5]|
                                        ; implicit-def: $vgpr24
                                        ; implicit-def: $vgpr19_vgpr20
                                        ; implicit-def: $vgpr21_vgpr22
	s_delay_alu instid0(VALU_DEP_1) | instskip(NEXT) | instid1(SALU_CYCLE_1)
	s_and_saveexec_b32 s13, s4
	s_xor_b32 s4, exec_lo, s13
	s_cbranch_execz .LBB156_212
; %bb.211:                              ;   in Loop: Header=BB156_161 Depth=1
	v_ldexp_f64 v[19:20], |v[4:5]|, 0xffffff80
	v_cmp_le_f64_e64 vcc_lo, 0x7b000000, |v[4:5]|
	v_trig_preop_f64 v[21:22], |v[4:5]|, 0
	v_and_b32_e32 v24, 0x7fffffff, v5
	v_trig_preop_f64 v[26:27], |v[4:5]|, 1
	v_trig_preop_f64 v[46:47], |v[4:5]|, 2
	s_mov_b32 s16, s18
	s_mov_b32 s13, s21
	v_cndmask_b32_e32 v19, v4, v19, vcc_lo
	v_cndmask_b32_e32 v20, v24, v20, vcc_lo
	s_delay_alu instid0(VALU_DEP_1) | instskip(SKIP_2) | instid1(VALU_DEP_3)
	v_mul_f64 v[24:25], v[21:22], v[19:20]
	v_mul_f64 v[44:45], v[26:27], v[19:20]
	;; [unrolled: 1-line block ×3, first 2 shown]
	v_fma_f64 v[21:22], v[21:22], v[19:20], -v[24:25]
	s_delay_alu instid0(VALU_DEP_3) | instskip(NEXT) | instid1(VALU_DEP_3)
	v_fma_f64 v[26:27], v[26:27], v[19:20], -v[44:45]
	v_fma_f64 v[19:20], v[46:47], v[19:20], -v[48:49]
	s_delay_alu instid0(VALU_DEP_3) | instskip(NEXT) | instid1(VALU_DEP_1)
	v_add_f64 v[46:47], v[44:45], v[21:22]
	v_add_f64 v[50:51], v[46:47], -v[44:45]
	s_delay_alu instid0(VALU_DEP_1) | instskip(SKIP_1) | instid1(VALU_DEP_1)
	v_add_f64 v[21:22], v[21:22], -v[50:51]
	v_add_f64 v[50:51], v[46:47], -v[50:51]
	;; [unrolled: 1-line block ×3, first 2 shown]
	v_add_f64 v[50:51], v[24:25], v[46:47]
	s_delay_alu instid0(VALU_DEP_2) | instskip(NEXT) | instid1(VALU_DEP_2)
	v_add_f64 v[21:22], v[21:22], v[44:45]
	v_add_f64 v[24:25], v[50:51], -v[24:25]
	v_add_f64 v[44:45], v[48:49], v[26:27]
	v_ldexp_f64 v[50:51], v[50:51], -2
	s_delay_alu instid0(VALU_DEP_3) | instskip(NEXT) | instid1(VALU_DEP_3)
	v_add_f64 v[24:25], v[46:47], -v[24:25]
	v_add_f64 v[46:47], v[44:45], -v[48:49]
	s_delay_alu instid0(VALU_DEP_3) | instskip(SKIP_1) | instid1(VALU_DEP_3)
	v_cmp_neq_f64_e64 vcc_lo, 0x7ff00000, |v[50:51]|
	v_fract_f64_e32 v[50:51], v[50:51]
	v_add_f64 v[26:27], v[26:27], -v[46:47]
	v_add_f64 v[46:47], v[44:45], -v[46:47]
	s_delay_alu instid0(VALU_DEP_3) | instskip(NEXT) | instid1(VALU_DEP_2)
	v_dual_cndmask_b32 v51, 0, v51 :: v_dual_cndmask_b32 v50, 0, v50
	v_add_f64 v[46:47], v[48:49], -v[46:47]
	v_add_f64 v[48:49], v[44:45], v[21:22]
	s_delay_alu instid0(VALU_DEP_2) | instskip(NEXT) | instid1(VALU_DEP_2)
	v_add_f64 v[26:27], v[26:27], v[46:47]
	v_add_f64 v[52:53], v[48:49], -v[44:45]
	v_add_f64 v[46:47], v[24:25], v[48:49]
	s_delay_alu instid0(VALU_DEP_2) | instskip(SKIP_1) | instid1(VALU_DEP_3)
	v_add_f64 v[21:22], v[21:22], -v[52:53]
	v_add_f64 v[52:53], v[48:49], -v[52:53]
	;; [unrolled: 1-line block ×3, first 2 shown]
	s_delay_alu instid0(VALU_DEP_2) | instskip(NEXT) | instid1(VALU_DEP_2)
	v_add_f64 v[44:45], v[44:45], -v[52:53]
	v_add_f64 v[24:25], v[48:49], -v[24:25]
	s_delay_alu instid0(VALU_DEP_2) | instskip(SKIP_1) | instid1(VALU_DEP_2)
	v_add_f64 v[21:22], v[21:22], v[44:45]
	v_ldexp_f64 v[44:45], v[50:51], 2
	v_add_f64 v[21:22], v[26:27], v[21:22]
	s_delay_alu instid0(VALU_DEP_2) | instskip(NEXT) | instid1(VALU_DEP_2)
	v_add_f64 v[50:51], v[46:47], v[44:45]
	v_add_f64 v[20:21], v[19:20], v[21:22]
	s_delay_alu instid0(VALU_DEP_2) | instskip(NEXT) | instid1(VALU_DEP_2)
	v_cmp_gt_f64_e32 vcc_lo, 0, v[50:51]
	v_add_f64 v[20:21], v[24:25], v[20:21]
	v_cndmask_b32_e64 v19, 0, 0x40100000, vcc_lo
	s_delay_alu instid0(VALU_DEP_1) | instskip(NEXT) | instid1(VALU_DEP_1)
	v_add_f64 v[26:27], v[44:45], v[18:19]
	v_add_f64 v[44:45], v[46:47], v[26:27]
	s_delay_alu instid0(VALU_DEP_1) | instskip(NEXT) | instid1(VALU_DEP_1)
	v_cvt_i32_f64_e32 v48, v[44:45]
	v_cvt_f64_i32_e32 v[44:45], v48
	s_delay_alu instid0(VALU_DEP_1) | instskip(NEXT) | instid1(VALU_DEP_1)
	v_add_f64 v[26:27], v[26:27], -v[44:45]
	v_add_f64 v[24:25], v[46:47], v[26:27]
	s_delay_alu instid0(VALU_DEP_1) | instskip(SKIP_1) | instid1(VALU_DEP_2)
	v_add_f64 v[26:27], v[24:25], -v[26:27]
	v_cmp_le_f64_e32 vcc_lo, 0.5, v[24:25]
	v_add_f64 v[26:27], v[46:47], -v[26:27]
	v_cndmask_b32_e64 v19, 0, 0x3ff00000, vcc_lo
	s_delay_alu instid0(VALU_DEP_1) | instskip(NEXT) | instid1(VALU_DEP_3)
	v_add_f64 v[24:25], v[24:25], -v[18:19]
	v_add_f64 v[19:20], v[20:21], v[26:27]
	s_delay_alu instid0(VALU_DEP_1) | instskip(NEXT) | instid1(VALU_DEP_1)
	v_add_f64 v[21:22], v[24:25], v[19:20]
	v_add_f64 v[24:25], v[21:22], -v[24:25]
	s_delay_alu instid0(VALU_DEP_1) | instskip(SKIP_1) | instid1(VALU_DEP_1)
	v_add_f64 v[19:20], v[19:20], -v[24:25]
	v_mul_f64 v[24:25], v[21:22], s[16:17]
	v_fma_f64 v[26:27], v[21:22], s[16:17], -v[24:25]
	s_delay_alu instid0(VALU_DEP_1) | instskip(NEXT) | instid1(VALU_DEP_1)
	v_fma_f64 v[21:22], v[21:22], s[12:13], v[26:27]
	v_fma_f64 v[21:22], v[19:20], s[16:17], v[21:22]
	s_delay_alu instid0(VALU_DEP_1) | instskip(NEXT) | instid1(VALU_DEP_1)
	v_add_f64 v[19:20], v[24:25], v[21:22]
	v_add_f64 v[24:25], v[19:20], -v[24:25]
	s_delay_alu instid0(VALU_DEP_1)
	v_add_f64 v[21:22], v[21:22], -v[24:25]
	v_add_co_ci_u32_e32 v24, vcc_lo, 0, v48, vcc_lo
.LBB156_212:                            ;   in Loop: Header=BB156_161 Depth=1
	s_and_not1_saveexec_b32 s4, s4
	s_cbranch_execz .LBB156_214
; %bb.213:                              ;   in Loop: Header=BB156_161 Depth=1
	v_mul_f64 v[19:20], |v[4:5]|, s[22:23]
	s_mov_b32 s20, s24
	s_delay_alu instid0(VALU_DEP_1) | instskip(NEXT) | instid1(VALU_DEP_1)
	v_rndne_f64_e32 v[24:25], v[19:20]
	v_fma_f64 v[19:20], v[24:25], s[18:19], |v[4:5]|
	v_mul_f64 v[21:22], v[24:25], s[24:25]
	s_delay_alu instid0(VALU_DEP_2) | instskip(NEXT) | instid1(VALU_DEP_2)
	v_fma_f64 v[44:45], v[24:25], s[24:25], v[19:20]
	v_add_f64 v[26:27], v[19:20], v[21:22]
	s_delay_alu instid0(VALU_DEP_1) | instskip(NEXT) | instid1(VALU_DEP_3)
	v_add_f64 v[19:20], v[19:20], -v[26:27]
	v_add_f64 v[26:27], v[26:27], -v[44:45]
	s_delay_alu instid0(VALU_DEP_2) | instskip(SKIP_1) | instid1(VALU_DEP_2)
	v_add_f64 v[19:20], v[19:20], v[21:22]
	v_fma_f64 v[21:22], v[24:25], s[20:21], v[21:22]
	v_add_f64 v[19:20], v[26:27], v[19:20]
	s_delay_alu instid0(VALU_DEP_1) | instskip(NEXT) | instid1(VALU_DEP_1)
	v_add_f64 v[19:20], v[19:20], -v[21:22]
	v_fma_f64 v[21:22], v[24:25], s[26:27], v[19:20]
	v_cvt_i32_f64_e32 v24, v[24:25]
	s_delay_alu instid0(VALU_DEP_2) | instskip(NEXT) | instid1(VALU_DEP_1)
	v_add_f64 v[19:20], v[44:45], v[21:22]
	v_add_f64 v[26:27], v[19:20], -v[44:45]
	s_delay_alu instid0(VALU_DEP_1)
	v_add_f64 v[21:22], v[21:22], -v[26:27]
.LBB156_214:                            ;   in Loop: Header=BB156_161 Depth=1
	s_or_b32 exec_lo, exec_lo, s4
	v_add_f64 v[25:26], |v[2:3]|, s[58:59]
	s_mov_b32 s60, s58
	s_mov_b32 s64, s66
	s_mov_b32 s69, s59
	s_mov_b32 s87, s41
	s_mov_b32 s89, s43
	v_cmp_nge_f64_e64 vcc_lo, |v[2:3]|, s[94:95]
	v_cmp_gt_f64_e64 s4, 0x3e400000, |v[2:3]|
	s_mov_b32 s50, 0xa9a29f71
	s_mov_b32 s52, 0xc751c08c
	;; [unrolled: 1-line block ×4, first 2 shown]
	s_delay_alu instid0(VALU_DEP_3) | instskip(NEXT) | instid1(VALU_DEP_1)
	v_add_f64 v[44:45], v[25:26], -|v[2:3]|
	v_add_f64 v[46:47], v[44:45], -v[25:26]
	v_add_f64 v[44:45], v[44:45], s[60:61]
	s_delay_alu instid0(VALU_DEP_2) | instskip(NEXT) | instid1(VALU_DEP_1)
	v_add_f64 v[46:47], |v[2:3]|, v[46:47]
	v_add_f64 v[44:45], v[46:47], -v[44:45]
	s_delay_alu instid0(VALU_DEP_1) | instskip(NEXT) | instid1(VALU_DEP_1)
	v_add_f64 v[44:45], v[44:45], s[62:63]
	v_add_f64 v[46:47], v[25:26], v[44:45]
	s_delay_alu instid0(VALU_DEP_1) | instskip(NEXT) | instid1(VALU_DEP_1)
	v_add_f64 v[25:26], v[25:26], -v[46:47]
	v_add_f64 v[25:26], v[44:45], v[25:26]
	v_mul_f64 v[44:45], v[46:47], s[64:65]
	s_delay_alu instid0(VALU_DEP_1) | instskip(NEXT) | instid1(VALU_DEP_1)
	v_rndne_f64_e32 v[44:45], v[44:45]
	v_fma_f64 v[46:47], v[44:45], s[68:69], v[46:47]
	v_cvt_i32_f64_e32 v4, v[44:45]
	s_delay_alu instid0(VALU_DEP_2) | instskip(NEXT) | instid1(VALU_DEP_1)
	v_add_f64 v[48:49], v[25:26], v[46:47]
	v_add_f64 v[46:47], v[46:47], -v[48:49]
	s_delay_alu instid0(VALU_DEP_1) | instskip(SKIP_1) | instid1(VALU_DEP_1)
	v_add_f64 v[25:26], v[25:26], v[46:47]
	v_mul_f64 v[46:47], v[44:45], s[70:71]
	v_add_f64 v[50:51], v[48:49], v[46:47]
	s_delay_alu instid0(VALU_DEP_1) | instskip(NEXT) | instid1(VALU_DEP_1)
	v_add_f64 v[48:49], v[48:49], -v[50:51]
	v_add_f64 v[46:47], v[48:49], v[46:47]
	s_delay_alu instid0(VALU_DEP_1) | instskip(NEXT) | instid1(VALU_DEP_1)
	v_add_f64 v[25:26], v[25:26], v[46:47]
	v_add_f64 v[46:47], v[50:51], v[25:26]
	s_delay_alu instid0(VALU_DEP_1) | instskip(NEXT) | instid1(VALU_DEP_1)
	v_add_f64 v[48:49], v[50:51], -v[46:47]
	v_add_f64 v[25:26], v[25:26], v[48:49]
	v_mul_f64 v[48:49], v[44:45], s[72:73]
	s_delay_alu instid0(VALU_DEP_1) | instskip(NEXT) | instid1(VALU_DEP_1)
	v_add_f64 v[50:51], v[46:47], v[48:49]
	v_add_f64 v[46:47], v[46:47], -v[50:51]
	s_delay_alu instid0(VALU_DEP_1) | instskip(NEXT) | instid1(VALU_DEP_1)
	v_add_f64 v[46:47], v[46:47], v[48:49]
	v_add_f64 v[25:26], v[25:26], v[46:47]
	s_delay_alu instid0(VALU_DEP_1) | instskip(NEXT) | instid1(VALU_DEP_1)
	v_add_f64 v[46:47], v[50:51], v[25:26]
	v_add_f64 v[48:49], v[50:51], -v[46:47]
	s_delay_alu instid0(VALU_DEP_1) | instskip(SKIP_1) | instid1(VALU_DEP_2)
	v_add_f64 v[25:26], v[25:26], v[48:49]
	v_mul_f64 v[48:49], v[46:47], v[46:47]
	v_add_f64 v[52:53], v[25:26], v[25:26]
	s_delay_alu instid0(VALU_DEP_2) | instskip(NEXT) | instid1(VALU_DEP_1)
	v_fma_f64 v[50:51], v[46:47], v[46:47], -v[48:49]
	v_fma_f64 v[50:51], v[46:47], v[52:53], v[50:51]
	s_delay_alu instid0(VALU_DEP_1) | instskip(NEXT) | instid1(VALU_DEP_1)
	v_add_f64 v[52:53], v[48:49], v[50:51]
	v_add_f64 v[48:49], v[52:53], -v[48:49]
	s_delay_alu instid0(VALU_DEP_1) | instskip(SKIP_1) | instid1(VALU_DEP_1)
	v_add_f64 v[48:49], v[50:51], -v[48:49]
	v_fma_f64 v[50:51], v[46:47], s[76:77], s[74:75]
	v_fma_f64 v[50:51], v[46:47], v[50:51], s[78:79]
	s_delay_alu instid0(VALU_DEP_1) | instskip(NEXT) | instid1(VALU_DEP_1)
	v_fma_f64 v[50:51], v[46:47], v[50:51], s[80:81]
	v_fma_f64 v[50:51], v[46:47], v[50:51], s[82:83]
	s_delay_alu instid0(VALU_DEP_1) | instskip(NEXT) | instid1(VALU_DEP_1)
	;; [unrolled: 3-line block ×4, first 2 shown]
	v_fma_f64 v[50:51], v[46:47], v[50:51], s[92:93]
	v_mul_f64 v[54:55], v[52:53], v[50:51]
	s_delay_alu instid0(VALU_DEP_1) | instskip(NEXT) | instid1(VALU_DEP_1)
	v_fma_f64 v[52:53], v[52:53], v[50:51], -v[54:55]
	v_fma_f64 v[48:49], v[48:49], v[50:51], v[52:53]
	s_delay_alu instid0(VALU_DEP_1) | instskip(NEXT) | instid1(VALU_DEP_1)
	v_add_f64 v[50:51], v[54:55], v[48:49]
	v_add_f64 v[52:53], v[50:51], -v[54:55]
	s_delay_alu instid0(VALU_DEP_1) | instskip(SKIP_1) | instid1(VALU_DEP_2)
	v_add_f64 v[48:49], v[48:49], -v[52:53]
	v_add_f64 v[52:53], v[46:47], v[50:51]
	v_add_f64 v[25:26], v[25:26], v[48:49]
	s_delay_alu instid0(VALU_DEP_2) | instskip(NEXT) | instid1(VALU_DEP_1)
	v_add_f64 v[46:47], v[52:53], -v[46:47]
	v_add_f64 v[46:47], v[50:51], -v[46:47]
	s_delay_alu instid0(VALU_DEP_1) | instskip(NEXT) | instid1(VALU_DEP_1)
	v_add_f64 v[25:26], v[25:26], v[46:47]
	v_add_f64 v[46:47], v[52:53], v[25:26]
	s_delay_alu instid0(VALU_DEP_1) | instskip(NEXT) | instid1(VALU_DEP_1)
	v_add_f64 v[48:49], v[46:47], -v[52:53]
	v_add_f64 v[25:26], v[25:26], -v[48:49]
	v_add_f64 v[48:49], v[46:47], 1.0
	s_delay_alu instid0(VALU_DEP_1) | instskip(NEXT) | instid1(VALU_DEP_1)
	v_add_f64 v[50:51], v[48:49], -1.0
	v_add_f64 v[46:47], v[46:47], -v[50:51]
	s_delay_alu instid0(VALU_DEP_1) | instskip(NEXT) | instid1(VALU_DEP_1)
	v_add_f64 v[25:26], v[25:26], v[46:47]
	v_add_f64 v[44:45], v[48:49], v[25:26]
	s_delay_alu instid0(VALU_DEP_1) | instskip(SKIP_1) | instid1(VALU_DEP_2)
	v_add_f64 v[46:47], v[44:45], -v[48:49]
	v_ldexp_f64 v[44:45], v[44:45], v4
	v_add_f64 v[25:26], v[25:26], -v[46:47]
	s_delay_alu instid0(VALU_DEP_2) | instskip(NEXT) | instid1(VALU_DEP_1)
	v_rcp_f64_e32 v[48:49], v[44:45]
	v_ldexp_f64 v[25:26], v[25:26], v4
	s_waitcnt_depctr 0xfff
	v_fma_f64 v[50:51], -v[44:45], v[48:49], 1.0
	s_delay_alu instid0(VALU_DEP_1) | instskip(NEXT) | instid1(VALU_DEP_1)
	v_fma_f64 v[48:49], v[50:51], v[48:49], v[48:49]
	v_fma_f64 v[46:47], -v[44:45], v[48:49], 1.0
	s_delay_alu instid0(VALU_DEP_1) | instskip(NEXT) | instid1(VALU_DEP_1)
	v_fma_f64 v[46:47], v[46:47], v[48:49], v[48:49]
	v_mul_f64 v[48:49], v[44:45], v[46:47]
	s_delay_alu instid0(VALU_DEP_1) | instskip(NEXT) | instid1(VALU_DEP_1)
	v_fma_f64 v[50:51], v[46:47], v[44:45], -v[48:49]
	v_fma_f64 v[50:51], v[46:47], v[25:26], v[50:51]
	s_delay_alu instid0(VALU_DEP_1) | instskip(NEXT) | instid1(VALU_DEP_1)
	v_add_f64 v[52:53], v[48:49], v[50:51]
	v_add_f64 v[48:49], v[52:53], -v[48:49]
	s_delay_alu instid0(VALU_DEP_1) | instskip(SKIP_1) | instid1(VALU_DEP_1)
	v_add_f64 v[48:49], v[48:49], -v[50:51]
	v_add_f64 v[50:51], -v[52:53], 1.0
	v_add_f64 v[54:55], -v[50:51], 1.0
	s_delay_alu instid0(VALU_DEP_1) | instskip(NEXT) | instid1(VALU_DEP_1)
	v_add_f64 v[52:53], v[54:55], -v[52:53]
	v_add_f64 v[48:49], v[48:49], v[52:53]
	s_delay_alu instid0(VALU_DEP_1) | instskip(NEXT) | instid1(VALU_DEP_1)
	v_add_f64 v[52:53], v[50:51], v[48:49]
	v_add_f64 v[50:51], v[50:51], -v[52:53]
	s_delay_alu instid0(VALU_DEP_1) | instskip(SKIP_1) | instid1(VALU_DEP_1)
	v_add_f64 v[48:49], v[48:49], v[50:51]
	v_mul_f64 v[50:51], v[46:47], v[52:53]
	v_mul_f64 v[54:55], v[44:45], v[50:51]
	s_delay_alu instid0(VALU_DEP_1) | instskip(NEXT) | instid1(VALU_DEP_1)
	v_fma_f64 v[56:57], v[50:51], v[44:45], -v[54:55]
	v_fma_f64 v[56:57], v[50:51], v[25:26], v[56:57]
	s_delay_alu instid0(VALU_DEP_1) | instskip(NEXT) | instid1(VALU_DEP_1)
	v_add_f64 v[58:59], v[54:55], v[56:57]
	v_add_f64 v[60:61], v[52:53], -v[58:59]
	v_add_f64 v[54:55], v[58:59], -v[54:55]
	s_delay_alu instid0(VALU_DEP_2) | instskip(NEXT) | instid1(VALU_DEP_2)
	v_add_f64 v[52:53], v[52:53], -v[60:61]
	v_add_f64 v[54:55], v[54:55], -v[56:57]
	s_delay_alu instid0(VALU_DEP_2) | instskip(NEXT) | instid1(VALU_DEP_1)
	v_add_f64 v[52:53], v[52:53], -v[58:59]
	v_add_f64 v[48:49], v[48:49], v[52:53]
	v_add_f64 v[52:53], v[46:47], v[50:51]
	s_delay_alu instid0(VALU_DEP_2) | instskip(NEXT) | instid1(VALU_DEP_2)
	v_add_f64 v[48:49], v[54:55], v[48:49]
	v_add_f64 v[54:55], v[52:53], -v[46:47]
	s_delay_alu instid0(VALU_DEP_2) | instskip(NEXT) | instid1(VALU_DEP_2)
	v_add_f64 v[48:49], v[60:61], v[48:49]
	v_add_f64 v[50:51], v[50:51], -v[54:55]
	s_delay_alu instid0(VALU_DEP_2) | instskip(NEXT) | instid1(VALU_DEP_1)
	v_mul_f64 v[46:47], v[46:47], v[48:49]
	v_add_f64 v[46:47], v[50:51], v[46:47]
	s_delay_alu instid0(VALU_DEP_1) | instskip(NEXT) | instid1(VALU_DEP_1)
	v_add_f64 v[48:49], v[52:53], v[46:47]
	v_add_f64 v[50:51], v[48:49], -v[52:53]
	v_ldexp_f64 v[48:49], v[48:49], -2
	s_delay_alu instid0(VALU_DEP_2) | instskip(NEXT) | instid1(VALU_DEP_2)
	v_add_f64 v[46:47], v[46:47], -v[50:51]
	v_add_f64 v[52:53], v[44:45], -v[48:49]
	s_delay_alu instid0(VALU_DEP_1) | instskip(NEXT) | instid1(VALU_DEP_1)
	v_add_f64 v[44:45], v[44:45], -v[52:53]
	v_add_f64 v[44:45], v[44:45], -v[48:49]
	s_delay_alu instid0(VALU_DEP_1) | instskip(SKIP_1) | instid1(VALU_DEP_1)
	v_add_f64 v[25:26], v[25:26], v[44:45]
	v_ldexp_f64 v[44:45], v[46:47], -2
	v_add_f64 v[25:26], v[25:26], -v[44:45]
	s_delay_alu instid0(VALU_DEP_1) | instskip(NEXT) | instid1(VALU_DEP_1)
	v_add_f64 v[25:26], v[52:53], v[25:26]
	v_cndmask_b32_e32 v4, 0x7ff00000, v26, vcc_lo
	s_delay_alu instid0(VALU_DEP_2) | instskip(NEXT) | instid1(VALU_DEP_2)
	v_cndmask_b32_e32 v25, 0, v25, vcc_lo
	v_cndmask_b32_e64 v4, v4, v23, s4
	s_delay_alu instid0(VALU_DEP_2) | instskip(NEXT) | instid1(VALU_DEP_2)
	v_cndmask_b32_e64 v2, v25, v2, s4
	v_bfi_b32 v3, 0x7fffffff, v4, v3
	s_delay_alu instid0(VALU_DEP_1) | instskip(NEXT) | instid1(VALU_DEP_1)
	v_fma_f64 v[25:26], v[2:3], v[2:3], 1.0
	v_cmp_gt_f64_e32 vcc_lo, 0x10000000, v[25:26]
	v_cndmask_b32_e64 v4, 0, 1, vcc_lo
	s_delay_alu instid0(VALU_DEP_1) | instskip(NEXT) | instid1(VALU_DEP_1)
	v_lshlrev_b32_e32 v4, 8, v4
	v_ldexp_f64 v[25:26], v[25:26], v4
	v_and_b32_e32 v23, 0x80000000, v5
	v_mul_f64 v[4:5], v[19:20], v[19:20]
	s_delay_alu instid0(VALU_DEP_3) | instskip(SKIP_3) | instid1(VALU_DEP_1)
	v_rsq_f64_e32 v[44:45], v[25:26]
	s_waitcnt_depctr 0xfff
	v_mul_f64 v[46:47], v[25:26], v[44:45]
	v_mul_f64 v[44:45], v[44:45], 0.5
	v_fma_f64 v[48:49], -v[44:45], v[46:47], 0.5
	s_delay_alu instid0(VALU_DEP_1) | instskip(SKIP_1) | instid1(VALU_DEP_2)
	v_fma_f64 v[46:47], v[46:47], v[48:49], v[46:47]
	v_fma_f64 v[44:45], v[44:45], v[48:49], v[44:45]
	v_fma_f64 v[48:49], -v[46:47], v[46:47], v[25:26]
	s_delay_alu instid0(VALU_DEP_1) | instskip(NEXT) | instid1(VALU_DEP_1)
	v_fma_f64 v[46:47], v[48:49], v[44:45], v[46:47]
	v_fma_f64 v[48:49], -v[46:47], v[46:47], v[25:26]
	s_delay_alu instid0(VALU_DEP_1) | instskip(SKIP_2) | instid1(VALU_DEP_1)
	v_fma_f64 v[44:45], v[48:49], v[44:45], v[46:47]
	v_add_f64 v[46:47], v[21:22], v[21:22]
	v_fma_f64 v[48:49], v[19:20], v[19:20], -v[4:5]
	v_fma_f64 v[46:47], v[19:20], v[46:47], v[48:49]
	s_delay_alu instid0(VALU_DEP_1) | instskip(NEXT) | instid1(VALU_DEP_1)
	v_add_f64 v[4:5], v[4:5], v[46:47]
	v_fma_f64 v[46:47], v[4:5], s[52:53], s[50:51]
	s_mov_b32 s50, 0x90a8aae0
	s_mov_b32 s51, 0x3f17746f
	s_delay_alu instid0(VALU_DEP_1) | instid1(SALU_CYCLE_1)
	v_fma_f64 v[46:47], v[4:5], v[46:47], s[50:51]
	s_mov_b32 s50, 0xa6fbf144
	s_mov_b32 s51, 0xbefbb44d
	s_delay_alu instid0(VALU_DEP_1) | instid1(SALU_CYCLE_1)
	;; [unrolled: 4-line block ×10, first 2 shown]
	v_fma_f64 v[46:47], v[4:5], v[46:47], s[50:51]
	s_delay_alu instid0(VALU_DEP_1) | instskip(NEXT) | instid1(VALU_DEP_1)
	v_fma_f64 v[46:47], v[4:5], v[46:47], s[54:55]
	v_fma_f64 v[46:47], v[4:5], v[46:47], s[56:57]
	s_delay_alu instid0(VALU_DEP_1) | instskip(NEXT) | instid1(VALU_DEP_1)
	v_mul_f64 v[4:5], v[4:5], v[46:47]
	v_mul_f64 v[46:47], v[19:20], v[4:5]
	s_delay_alu instid0(VALU_DEP_1) | instskip(NEXT) | instid1(VALU_DEP_1)
	v_fma_f64 v[4:5], v[19:20], v[4:5], -v[46:47]
	v_add_f64 v[4:5], v[21:22], v[4:5]
	v_add_f64 v[21:22], v[19:20], v[46:47]
	s_delay_alu instid0(VALU_DEP_1) | instskip(NEXT) | instid1(VALU_DEP_1)
	v_add_f64 v[19:20], v[21:22], -v[19:20]
	v_add_f64 v[19:20], v[46:47], -v[19:20]
	s_delay_alu instid0(VALU_DEP_1) | instskip(NEXT) | instid1(VALU_DEP_1)
	v_add_f64 v[4:5], v[4:5], v[19:20]
	v_add_f64 v[19:20], v[21:22], v[4:5]
	s_delay_alu instid0(VALU_DEP_1) | instskip(SKIP_1) | instid1(VALU_DEP_1)
	v_rcp_f64_e32 v[46:47], v[19:20]
	v_add_f64 v[21:22], v[19:20], -v[21:22]
	v_add_f64 v[4:5], v[4:5], -v[21:22]
	s_waitcnt_depctr 0xfff
	v_fma_f64 v[48:49], -v[19:20], v[46:47], 1.0
	s_delay_alu instid0(VALU_DEP_1) | instskip(NEXT) | instid1(VALU_DEP_1)
	v_fma_f64 v[46:47], v[48:49], v[46:47], v[46:47]
	v_fma_f64 v[48:49], -v[19:20], v[46:47], 1.0
	s_delay_alu instid0(VALU_DEP_1) | instskip(NEXT) | instid1(VALU_DEP_1)
	v_fma_f64 v[46:47], v[48:49], v[46:47], v[46:47]
	v_mul_f64 v[21:22], v[19:20], v[46:47]
	s_delay_alu instid0(VALU_DEP_1) | instskip(NEXT) | instid1(VALU_DEP_1)
	v_fma_f64 v[48:49], v[46:47], v[19:20], -v[21:22]
	v_fma_f64 v[4:5], v[46:47], v[4:5], v[48:49]
	s_delay_alu instid0(VALU_DEP_1) | instskip(NEXT) | instid1(VALU_DEP_1)
	v_add_f64 v[48:49], v[21:22], v[4:5]
	v_add_f64 v[21:22], v[48:49], -v[21:22]
	s_delay_alu instid0(VALU_DEP_1) | instskip(SKIP_1) | instid1(VALU_DEP_1)
	v_add_f64 v[4:5], v[21:22], -v[4:5]
	v_add_f64 v[21:22], -v[48:49], 1.0
	v_add_f64 v[50:51], -v[21:22], 1.0
	s_delay_alu instid0(VALU_DEP_1) | instskip(NEXT) | instid1(VALU_DEP_1)
	v_add_f64 v[48:49], v[50:51], -v[48:49]
	v_add_f64 v[4:5], v[4:5], v[48:49]
	s_delay_alu instid0(VALU_DEP_1) | instskip(SKIP_1) | instid1(VALU_DEP_1)
	v_add_f64 v[4:5], v[21:22], v[4:5]
	v_and_b32_e32 v21, 1, v24
	v_cmp_eq_u32_e64 s4, 0, v21
	s_delay_alu instid0(VALU_DEP_3) | instskip(NEXT) | instid1(VALU_DEP_1)
	v_mul_f64 v[4:5], v[46:47], v[4:5]
	v_add_f64 v[4:5], v[46:47], v[4:5]
	s_delay_alu instid0(VALU_DEP_1) | instskip(NEXT) | instid1(VALU_DEP_2)
	v_xor_b32_e32 v5, 0x80000000, v5
	v_cndmask_b32_e64 v4, v4, v19, s4
	s_delay_alu instid0(VALU_DEP_2) | instskip(SKIP_2) | instid1(VALU_DEP_2)
	v_cndmask_b32_e64 v5, v5, v20, s4
	v_cndmask_b32_e64 v20, 0, 0xffffff80, vcc_lo
	v_cmp_class_f64_e64 vcc_lo, v[25:26], 0x260
	v_ldexp_f64 v[19:20], v[44:45], v20
	s_delay_alu instid0(VALU_DEP_1) | instskip(SKIP_1) | instid1(VALU_DEP_3)
	v_cndmask_b32_e32 v20, v20, v26, vcc_lo
	v_xor_b32_e32 v5, v5, v23
	v_cndmask_b32_e32 v19, v19, v25, vcc_lo
	s_delay_alu instid0(VALU_DEP_2) | instskip(NEXT) | instid1(VALU_DEP_1)
	v_fma_f64 v[21:22], v[4:5], v[4:5], 1.0
	v_mul_f64 v[23:24], v[2:3], v[21:22]
	s_delay_alu instid0(VALU_DEP_3) | instskip(NEXT) | instid1(VALU_DEP_2)
	v_mul_f64 v[19:20], v[19:20], v[21:22]
	v_fma_f64 v[21:22], v[2:3], v[23:24], 1.0
	s_delay_alu instid0(VALU_DEP_2) | instskip(NEXT) | instid1(VALU_DEP_1)
	v_mul_f64 v[2:3], v[2:3], v[19:20]
	v_div_scale_f64 v[19:20], null, v[21:22], v[21:22], v[2:3]
	s_delay_alu instid0(VALU_DEP_1) | instskip(SKIP_2) | instid1(VALU_DEP_1)
	v_rcp_f64_e32 v[23:24], v[19:20]
	s_waitcnt_depctr 0xfff
	v_fma_f64 v[25:26], -v[19:20], v[23:24], 1.0
	v_fma_f64 v[23:24], v[23:24], v[25:26], v[23:24]
	s_delay_alu instid0(VALU_DEP_1) | instskip(NEXT) | instid1(VALU_DEP_1)
	v_fma_f64 v[25:26], -v[19:20], v[23:24], 1.0
	v_fma_f64 v[23:24], v[23:24], v[25:26], v[23:24]
	v_div_scale_f64 v[25:26], vcc_lo, v[2:3], v[21:22], v[2:3]
	s_delay_alu instid0(VALU_DEP_1) | instskip(NEXT) | instid1(VALU_DEP_1)
	v_mul_f64 v[44:45], v[25:26], v[23:24]
	v_fma_f64 v[19:20], -v[19:20], v[44:45], v[25:26]
	s_delay_alu instid0(VALU_DEP_1) | instskip(SKIP_1) | instid1(VALU_DEP_2)
	v_div_fmas_f64 v[19:20], v[19:20], v[23:24], v[44:45]
	v_div_scale_f64 v[23:24], null, v[21:22], v[21:22], v[4:5]
	v_div_fixup_f64 v[2:3], v[19:20], v[21:22], v[2:3]
	s_delay_alu instid0(VALU_DEP_2) | instskip(SKIP_2) | instid1(VALU_DEP_1)
	v_rcp_f64_e32 v[25:26], v[23:24]
	s_waitcnt_depctr 0xfff
	v_fma_f64 v[44:45], -v[23:24], v[25:26], 1.0
	v_fma_f64 v[25:26], v[25:26], v[44:45], v[25:26]
	s_delay_alu instid0(VALU_DEP_1) | instskip(NEXT) | instid1(VALU_DEP_1)
	v_fma_f64 v[44:45], -v[23:24], v[25:26], 1.0
	v_fma_f64 v[25:26], v[25:26], v[44:45], v[25:26]
	v_div_scale_f64 v[44:45], vcc_lo, v[4:5], v[21:22], v[4:5]
	s_delay_alu instid0(VALU_DEP_1) | instskip(NEXT) | instid1(VALU_DEP_1)
	v_mul_f64 v[46:47], v[44:45], v[25:26]
	v_fma_f64 v[23:24], -v[23:24], v[46:47], v[44:45]
	s_delay_alu instid0(VALU_DEP_1) | instskip(NEXT) | instid1(VALU_DEP_1)
	v_div_fmas_f64 v[23:24], v[23:24], v[25:26], v[46:47]
	v_div_fixup_f64 v[4:5], v[23:24], v[21:22], v[4:5]
.LBB156_215:                            ;   in Loop: Header=BB156_161 Depth=1
	s_and_not1_saveexec_b32 s60, s48
	s_cbranch_execz .LBB156_225
; %bb.216:                              ;   in Loop: Header=BB156_161 Depth=1
	s_delay_alu instid0(VALU_DEP_1) | instskip(NEXT) | instid1(VALU_DEP_1)
	v_cmp_ngt_f64_e64 s4, 0x41d00000, |v[4:5]|
                                        ; implicit-def: $vgpr44
                                        ; implicit-def: $vgpr20_vgpr21
                                        ; implicit-def: $vgpr22_vgpr23
	s_and_saveexec_b32 s13, s4
	s_delay_alu instid0(SALU_CYCLE_1)
	s_xor_b32 s20, exec_lo, s13
	s_cbranch_execz .LBB156_218
; %bb.217:                              ;   in Loop: Header=BB156_161 Depth=1
	v_ldexp_f64 v[19:20], |v[4:5]|, 0xffffff80
	v_cmp_le_f64_e64 vcc_lo, 0x7b000000, |v[4:5]|
	v_trig_preop_f64 v[21:22], |v[4:5]|, 0
	v_and_b32_e32 v23, 0x7fffffff, v5
	v_trig_preop_f64 v[25:26], |v[4:5]|, 1
	v_trig_preop_f64 v[46:47], |v[4:5]|, 2
	s_mov_b32 s16, s18
	s_mov_b32 s13, s21
	v_dual_cndmask_b32 v20, v23, v20 :: v_dual_cndmask_b32 v19, v4, v19
	s_delay_alu instid0(VALU_DEP_1) | instskip(NEXT) | instid1(VALU_DEP_4)
	v_mul_f64 v[23:24], v[21:22], v[19:20]
	v_mul_f64 v[44:45], v[25:26], v[19:20]
	s_delay_alu instid0(VALU_DEP_4) | instskip(NEXT) | instid1(VALU_DEP_3)
	v_mul_f64 v[48:49], v[46:47], v[19:20]
	v_fma_f64 v[21:22], v[21:22], v[19:20], -v[23:24]
	s_delay_alu instid0(VALU_DEP_3) | instskip(NEXT) | instid1(VALU_DEP_3)
	v_fma_f64 v[25:26], v[25:26], v[19:20], -v[44:45]
	v_fma_f64 v[19:20], v[46:47], v[19:20], -v[48:49]
	s_delay_alu instid0(VALU_DEP_3) | instskip(NEXT) | instid1(VALU_DEP_1)
	v_add_f64 v[46:47], v[44:45], v[21:22]
	v_add_f64 v[50:51], v[46:47], -v[44:45]
	s_delay_alu instid0(VALU_DEP_1) | instskip(SKIP_1) | instid1(VALU_DEP_1)
	v_add_f64 v[21:22], v[21:22], -v[50:51]
	v_add_f64 v[50:51], v[46:47], -v[50:51]
	;; [unrolled: 1-line block ×3, first 2 shown]
	v_add_f64 v[50:51], v[23:24], v[46:47]
	s_delay_alu instid0(VALU_DEP_2) | instskip(NEXT) | instid1(VALU_DEP_2)
	v_add_f64 v[21:22], v[21:22], v[44:45]
	v_add_f64 v[23:24], v[50:51], -v[23:24]
	v_add_f64 v[44:45], v[48:49], v[25:26]
	v_ldexp_f64 v[50:51], v[50:51], -2
	s_delay_alu instid0(VALU_DEP_3) | instskip(NEXT) | instid1(VALU_DEP_3)
	v_add_f64 v[23:24], v[46:47], -v[23:24]
	v_add_f64 v[46:47], v[44:45], -v[48:49]
	s_delay_alu instid0(VALU_DEP_3) | instskip(SKIP_1) | instid1(VALU_DEP_3)
	v_cmp_neq_f64_e64 vcc_lo, 0x7ff00000, |v[50:51]|
	v_fract_f64_e32 v[50:51], v[50:51]
	v_add_f64 v[25:26], v[25:26], -v[46:47]
	v_add_f64 v[46:47], v[44:45], -v[46:47]
	s_delay_alu instid0(VALU_DEP_3) | instskip(NEXT) | instid1(VALU_DEP_2)
	v_dual_cndmask_b32 v51, 0, v51 :: v_dual_cndmask_b32 v50, 0, v50
	v_add_f64 v[46:47], v[48:49], -v[46:47]
	v_add_f64 v[48:49], v[44:45], v[21:22]
	s_delay_alu instid0(VALU_DEP_2) | instskip(NEXT) | instid1(VALU_DEP_2)
	v_add_f64 v[25:26], v[25:26], v[46:47]
	v_add_f64 v[52:53], v[48:49], -v[44:45]
	v_add_f64 v[46:47], v[23:24], v[48:49]
	s_delay_alu instid0(VALU_DEP_2) | instskip(SKIP_1) | instid1(VALU_DEP_3)
	v_add_f64 v[21:22], v[21:22], -v[52:53]
	v_add_f64 v[52:53], v[48:49], -v[52:53]
	;; [unrolled: 1-line block ×3, first 2 shown]
	s_delay_alu instid0(VALU_DEP_2) | instskip(NEXT) | instid1(VALU_DEP_2)
	v_add_f64 v[44:45], v[44:45], -v[52:53]
	v_add_f64 v[23:24], v[48:49], -v[23:24]
	s_delay_alu instid0(VALU_DEP_2) | instskip(SKIP_1) | instid1(VALU_DEP_2)
	v_add_f64 v[21:22], v[21:22], v[44:45]
	v_ldexp_f64 v[44:45], v[50:51], 2
	v_add_f64 v[21:22], v[25:26], v[21:22]
	s_delay_alu instid0(VALU_DEP_2) | instskip(NEXT) | instid1(VALU_DEP_2)
	v_add_f64 v[50:51], v[46:47], v[44:45]
	v_add_f64 v[20:21], v[19:20], v[21:22]
	s_delay_alu instid0(VALU_DEP_2) | instskip(NEXT) | instid1(VALU_DEP_2)
	v_cmp_gt_f64_e32 vcc_lo, 0, v[50:51]
	v_add_f64 v[20:21], v[23:24], v[20:21]
	v_cndmask_b32_e64 v19, 0, 0x40100000, vcc_lo
	s_delay_alu instid0(VALU_DEP_1) | instskip(NEXT) | instid1(VALU_DEP_1)
	v_add_f64 v[25:26], v[44:45], v[18:19]
	v_add_f64 v[44:45], v[46:47], v[25:26]
	s_delay_alu instid0(VALU_DEP_1) | instskip(NEXT) | instid1(VALU_DEP_1)
	v_cvt_i32_f64_e32 v48, v[44:45]
	v_cvt_f64_i32_e32 v[44:45], v48
	s_delay_alu instid0(VALU_DEP_1) | instskip(NEXT) | instid1(VALU_DEP_1)
	v_add_f64 v[25:26], v[25:26], -v[44:45]
	v_add_f64 v[22:23], v[46:47], v[25:26]
	s_delay_alu instid0(VALU_DEP_1) | instskip(SKIP_1) | instid1(VALU_DEP_2)
	v_add_f64 v[24:25], v[22:23], -v[25:26]
	v_cmp_le_f64_e32 vcc_lo, 0.5, v[22:23]
	v_add_f64 v[24:25], v[46:47], -v[24:25]
	v_cndmask_b32_e64 v19, 0, 0x3ff00000, vcc_lo
	v_add_co_ci_u32_e32 v44, vcc_lo, 0, v48, vcc_lo
	s_delay_alu instid0(VALU_DEP_2) | instskip(NEXT) | instid1(VALU_DEP_4)
	v_add_f64 v[22:23], v[22:23], -v[18:19]
	v_add_f64 v[19:20], v[20:21], v[24:25]
	s_delay_alu instid0(VALU_DEP_1) | instskip(NEXT) | instid1(VALU_DEP_1)
	v_add_f64 v[24:25], v[22:23], v[19:20]
	v_add_f64 v[21:22], v[24:25], -v[22:23]
	s_delay_alu instid0(VALU_DEP_1) | instskip(SKIP_1) | instid1(VALU_DEP_1)
	v_add_f64 v[19:20], v[19:20], -v[21:22]
	v_mul_f64 v[22:23], v[24:25], s[16:17]
	v_fma_f64 v[26:27], v[24:25], s[16:17], -v[22:23]
	s_delay_alu instid0(VALU_DEP_1) | instskip(NEXT) | instid1(VALU_DEP_1)
	v_fma_f64 v[24:25], v[24:25], s[12:13], v[26:27]
	v_fma_f64 v[24:25], v[19:20], s[16:17], v[24:25]
	s_delay_alu instid0(VALU_DEP_1) | instskip(NEXT) | instid1(VALU_DEP_1)
	v_add_f64 v[20:21], v[22:23], v[24:25]
	v_add_f64 v[22:23], v[20:21], -v[22:23]
	s_delay_alu instid0(VALU_DEP_1)
	v_add_f64 v[22:23], v[24:25], -v[22:23]
	s_and_not1_saveexec_b32 s13, s20
	s_cbranch_execz .LBB156_220
	s_branch .LBB156_219
.LBB156_218:                            ;   in Loop: Header=BB156_161 Depth=1
	s_and_not1_saveexec_b32 s13, s20
	s_cbranch_execz .LBB156_220
.LBB156_219:                            ;   in Loop: Header=BB156_161 Depth=1
	v_mul_f64 v[19:20], |v[4:5]|, s[22:23]
	s_mov_b32 s20, s24
	s_delay_alu instid0(VALU_DEP_1) | instskip(NEXT) | instid1(VALU_DEP_1)
	v_rndne_f64_e32 v[24:25], v[19:20]
	v_fma_f64 v[19:20], v[24:25], s[18:19], |v[4:5]|
	v_mul_f64 v[21:22], v[24:25], s[24:25]
	s_delay_alu instid0(VALU_DEP_2) | instskip(NEXT) | instid1(VALU_DEP_2)
	v_fma_f64 v[44:45], v[24:25], s[24:25], v[19:20]
	v_add_f64 v[26:27], v[19:20], v[21:22]
	s_delay_alu instid0(VALU_DEP_1) | instskip(NEXT) | instid1(VALU_DEP_3)
	v_add_f64 v[19:20], v[19:20], -v[26:27]
	v_add_f64 v[26:27], v[26:27], -v[44:45]
	s_delay_alu instid0(VALU_DEP_2) | instskip(SKIP_1) | instid1(VALU_DEP_2)
	v_add_f64 v[19:20], v[19:20], v[21:22]
	v_fma_f64 v[21:22], v[24:25], s[20:21], v[21:22]
	v_add_f64 v[19:20], v[26:27], v[19:20]
	s_delay_alu instid0(VALU_DEP_1) | instskip(NEXT) | instid1(VALU_DEP_1)
	v_add_f64 v[19:20], v[19:20], -v[21:22]
	v_fma_f64 v[22:23], v[24:25], s[26:27], v[19:20]
	s_delay_alu instid0(VALU_DEP_1) | instskip(NEXT) | instid1(VALU_DEP_1)
	v_add_f64 v[20:21], v[44:45], v[22:23]
	v_add_f64 v[26:27], v[20:21], -v[44:45]
	v_cvt_i32_f64_e32 v44, v[24:25]
	s_delay_alu instid0(VALU_DEP_2)
	v_add_f64 v[22:23], v[22:23], -v[26:27]
.LBB156_220:                            ;   in Loop: Header=BB156_161 Depth=1
	s_or_b32 exec_lo, exec_lo, s13
                                        ; implicit-def: $vgpr19
                                        ; implicit-def: $vgpr24_vgpr25
                                        ; implicit-def: $vgpr26_vgpr27
	s_and_saveexec_b32 s13, s4
	s_delay_alu instid0(SALU_CYCLE_1)
	s_xor_b32 s4, exec_lo, s13
	s_cbranch_execz .LBB156_222
; %bb.221:                              ;   in Loop: Header=BB156_161 Depth=1
	v_ldexp_f64 v[24:25], |v[4:5]|, 0xffffff80
	v_cmp_le_f64_e64 vcc_lo, 0x7b000000, |v[4:5]|
	v_trig_preop_f64 v[26:27], |v[4:5]|, 0
	v_and_b32_e32 v19, 0x7fffffff, v5
	v_trig_preop_f64 v[47:48], |v[4:5]|, 1
	v_trig_preop_f64 v[51:52], |v[4:5]|, 2
	s_mov_b32 s16, s18
	s_mov_b32 s13, s21
	v_dual_cndmask_b32 v24, v4, v24 :: v_dual_cndmask_b32 v25, v19, v25
	s_delay_alu instid0(VALU_DEP_1) | instskip(NEXT) | instid1(VALU_DEP_4)
	v_mul_f64 v[45:46], v[26:27], v[24:25]
	v_mul_f64 v[49:50], v[47:48], v[24:25]
	s_delay_alu instid0(VALU_DEP_4) | instskip(NEXT) | instid1(VALU_DEP_3)
	v_mul_f64 v[53:54], v[51:52], v[24:25]
	v_fma_f64 v[26:27], v[26:27], v[24:25], -v[45:46]
	s_delay_alu instid0(VALU_DEP_3) | instskip(NEXT) | instid1(VALU_DEP_3)
	v_fma_f64 v[47:48], v[47:48], v[24:25], -v[49:50]
	v_fma_f64 v[24:25], v[51:52], v[24:25], -v[53:54]
	s_delay_alu instid0(VALU_DEP_3) | instskip(NEXT) | instid1(VALU_DEP_1)
	v_add_f64 v[51:52], v[49:50], v[26:27]
	v_add_f64 v[55:56], v[51:52], -v[49:50]
	s_delay_alu instid0(VALU_DEP_1) | instskip(SKIP_1) | instid1(VALU_DEP_1)
	v_add_f64 v[26:27], v[26:27], -v[55:56]
	v_add_f64 v[55:56], v[51:52], -v[55:56]
	;; [unrolled: 1-line block ×3, first 2 shown]
	v_add_f64 v[55:56], v[45:46], v[51:52]
	s_delay_alu instid0(VALU_DEP_2) | instskip(NEXT) | instid1(VALU_DEP_2)
	v_add_f64 v[26:27], v[26:27], v[49:50]
	v_add_f64 v[45:46], v[55:56], -v[45:46]
	v_add_f64 v[49:50], v[53:54], v[47:48]
	v_ldexp_f64 v[55:56], v[55:56], -2
	s_delay_alu instid0(VALU_DEP_3) | instskip(NEXT) | instid1(VALU_DEP_3)
	v_add_f64 v[45:46], v[51:52], -v[45:46]
	v_add_f64 v[51:52], v[49:50], -v[53:54]
	s_delay_alu instid0(VALU_DEP_3) | instskip(SKIP_1) | instid1(VALU_DEP_3)
	v_cmp_neq_f64_e64 vcc_lo, 0x7ff00000, |v[55:56]|
	v_fract_f64_e32 v[55:56], v[55:56]
	v_add_f64 v[47:48], v[47:48], -v[51:52]
	v_add_f64 v[51:52], v[49:50], -v[51:52]
	s_delay_alu instid0(VALU_DEP_3) | instskip(NEXT) | instid1(VALU_DEP_2)
	v_dual_cndmask_b32 v56, 0, v56 :: v_dual_cndmask_b32 v55, 0, v55
	v_add_f64 v[51:52], v[53:54], -v[51:52]
	v_add_f64 v[53:54], v[49:50], v[26:27]
	s_delay_alu instid0(VALU_DEP_2) | instskip(NEXT) | instid1(VALU_DEP_2)
	v_add_f64 v[47:48], v[47:48], v[51:52]
	v_add_f64 v[57:58], v[53:54], -v[49:50]
	v_add_f64 v[51:52], v[45:46], v[53:54]
	s_delay_alu instid0(VALU_DEP_2) | instskip(SKIP_1) | instid1(VALU_DEP_3)
	v_add_f64 v[26:27], v[26:27], -v[57:58]
	v_add_f64 v[57:58], v[53:54], -v[57:58]
	v_add_f64 v[45:46], v[51:52], -v[45:46]
	s_delay_alu instid0(VALU_DEP_2) | instskip(NEXT) | instid1(VALU_DEP_2)
	v_add_f64 v[49:50], v[49:50], -v[57:58]
	v_add_f64 v[45:46], v[53:54], -v[45:46]
	s_delay_alu instid0(VALU_DEP_2) | instskip(SKIP_1) | instid1(VALU_DEP_2)
	v_add_f64 v[26:27], v[26:27], v[49:50]
	v_ldexp_f64 v[49:50], v[55:56], 2
	v_add_f64 v[26:27], v[47:48], v[26:27]
	s_delay_alu instid0(VALU_DEP_2) | instskip(NEXT) | instid1(VALU_DEP_2)
	v_add_f64 v[55:56], v[51:52], v[49:50]
	v_add_f64 v[24:25], v[24:25], v[26:27]
	s_delay_alu instid0(VALU_DEP_2) | instskip(NEXT) | instid1(VALU_DEP_2)
	v_cmp_gt_f64_e32 vcc_lo, 0, v[55:56]
	v_add_f64 v[24:25], v[45:46], v[24:25]
	v_cndmask_b32_e64 v19, 0, 0x40100000, vcc_lo
	s_delay_alu instid0(VALU_DEP_1) | instskip(NEXT) | instid1(VALU_DEP_1)
	v_add_f64 v[26:27], v[49:50], v[18:19]
	v_add_f64 v[47:48], v[51:52], v[26:27]
	s_delay_alu instid0(VALU_DEP_1) | instskip(NEXT) | instid1(VALU_DEP_1)
	v_cvt_i32_f64_e32 v49, v[47:48]
	v_cvt_f64_i32_e32 v[47:48], v49
	s_delay_alu instid0(VALU_DEP_1) | instskip(NEXT) | instid1(VALU_DEP_1)
	v_add_f64 v[26:27], v[26:27], -v[47:48]
	v_add_f64 v[45:46], v[51:52], v[26:27]
	s_delay_alu instid0(VALU_DEP_1) | instskip(SKIP_1) | instid1(VALU_DEP_2)
	v_add_f64 v[26:27], v[45:46], -v[26:27]
	v_cmp_le_f64_e32 vcc_lo, 0.5, v[45:46]
	v_add_f64 v[26:27], v[51:52], -v[26:27]
	v_cndmask_b32_e64 v19, 0, 0x3ff00000, vcc_lo
	s_delay_alu instid0(VALU_DEP_1) | instskip(SKIP_1) | instid1(VALU_DEP_4)
	v_add_f64 v[45:46], v[45:46], -v[18:19]
	v_add_co_ci_u32_e32 v19, vcc_lo, 0, v49, vcc_lo
	v_add_f64 v[24:25], v[24:25], v[26:27]
	s_delay_alu instid0(VALU_DEP_1) | instskip(NEXT) | instid1(VALU_DEP_1)
	v_add_f64 v[26:27], v[45:46], v[24:25]
	v_add_f64 v[45:46], v[26:27], -v[45:46]
	s_delay_alu instid0(VALU_DEP_1) | instskip(SKIP_1) | instid1(VALU_DEP_1)
	v_add_f64 v[24:25], v[24:25], -v[45:46]
	v_mul_f64 v[45:46], v[26:27], s[16:17]
	v_fma_f64 v[47:48], v[26:27], s[16:17], -v[45:46]
	s_delay_alu instid0(VALU_DEP_1) | instskip(NEXT) | instid1(VALU_DEP_1)
	v_fma_f64 v[26:27], v[26:27], s[12:13], v[47:48]
	v_fma_f64 v[26:27], v[24:25], s[16:17], v[26:27]
	s_delay_alu instid0(VALU_DEP_1) | instskip(NEXT) | instid1(VALU_DEP_1)
	v_add_f64 v[24:25], v[45:46], v[26:27]
	v_add_f64 v[45:46], v[24:25], -v[45:46]
	s_delay_alu instid0(VALU_DEP_1)
	v_add_f64 v[26:27], v[26:27], -v[45:46]
	s_and_not1_saveexec_b32 s4, s4
	s_cbranch_execnz .LBB156_223
	s_branch .LBB156_224
.LBB156_222:                            ;   in Loop: Header=BB156_161 Depth=1
	s_and_not1_saveexec_b32 s4, s4
	s_cbranch_execz .LBB156_224
.LBB156_223:                            ;   in Loop: Header=BB156_161 Depth=1
	v_mul_f64 v[24:25], |v[4:5]|, s[22:23]
	s_mov_b32 s20, s24
	s_delay_alu instid0(VALU_DEP_1) | instskip(NEXT) | instid1(VALU_DEP_1)
	v_rndne_f64_e32 v[45:46], v[24:25]
	v_fma_f64 v[24:25], v[45:46], s[18:19], |v[4:5]|
	v_mul_f64 v[26:27], v[45:46], s[24:25]
	v_cvt_i32_f64_e32 v19, v[45:46]
	s_delay_alu instid0(VALU_DEP_3) | instskip(NEXT) | instid1(VALU_DEP_3)
	v_fma_f64 v[49:50], v[45:46], s[24:25], v[24:25]
	v_add_f64 v[47:48], v[24:25], v[26:27]
	s_delay_alu instid0(VALU_DEP_1) | instskip(NEXT) | instid1(VALU_DEP_3)
	v_add_f64 v[24:25], v[24:25], -v[47:48]
	v_add_f64 v[47:48], v[47:48], -v[49:50]
	s_delay_alu instid0(VALU_DEP_2) | instskip(SKIP_1) | instid1(VALU_DEP_2)
	v_add_f64 v[24:25], v[24:25], v[26:27]
	v_fma_f64 v[26:27], v[45:46], s[20:21], v[26:27]
	v_add_f64 v[24:25], v[47:48], v[24:25]
	s_delay_alu instid0(VALU_DEP_1) | instskip(NEXT) | instid1(VALU_DEP_1)
	v_add_f64 v[24:25], v[24:25], -v[26:27]
	v_fma_f64 v[26:27], v[45:46], s[26:27], v[24:25]
	s_delay_alu instid0(VALU_DEP_1) | instskip(NEXT) | instid1(VALU_DEP_1)
	v_add_f64 v[24:25], v[49:50], v[26:27]
	v_add_f64 v[47:48], v[24:25], -v[49:50]
	s_delay_alu instid0(VALU_DEP_1)
	v_add_f64 v[26:27], v[26:27], -v[47:48]
.LBB156_224:                            ;   in Loop: Header=BB156_161 Depth=1
	s_or_b32 exec_lo, exec_lo, s4
	v_mul_f64 v[45:46], v[20:21], v[20:21]
	s_delay_alu instid0(VALU_DEP_2) | instskip(NEXT) | instid1(VALU_DEP_3)
	v_mul_f64 v[53:54], v[22:23], 0.5
	v_mul_f64 v[59:60], v[26:27], 0.5
	s_mov_b32 s4, s42
	s_mov_b32 s87, s41
	;; [unrolled: 1-line block ×3, first 2 shown]
	s_delay_alu instid0(VALU_DEP_3) | instskip(SKIP_1) | instid1(VALU_DEP_2)
	v_mul_f64 v[47:48], v[45:46], 0.5
	v_mul_f64 v[55:56], v[20:21], -v[45:46]
	v_add_f64 v[49:50], -v[47:48], 1.0
	s_delay_alu instid0(VALU_DEP_1) | instskip(NEXT) | instid1(VALU_DEP_1)
	v_add_f64 v[51:52], -v[49:50], 1.0
	v_add_f64 v[47:48], v[51:52], -v[47:48]
	v_fma_f64 v[51:52], v[45:46], s[34:35], s[30:31]
	s_delay_alu instid0(VALU_DEP_2) | instskip(NEXT) | instid1(VALU_DEP_2)
	v_fma_f64 v[47:48], v[20:21], -v[22:23], v[47:48]
	v_fma_f64 v[51:52], v[45:46], v[51:52], s[36:37]
	s_delay_alu instid0(VALU_DEP_1) | instskip(NEXT) | instid1(VALU_DEP_1)
	v_fma_f64 v[51:52], v[45:46], v[51:52], s[38:39]
	v_fma_f64 v[51:52], v[45:46], v[51:52], s[40:41]
	s_delay_alu instid0(VALU_DEP_1) | instskip(NEXT) | instid1(VALU_DEP_1)
	v_fma_f64 v[51:52], v[55:56], v[51:52], v[53:54]
	v_fma_f64 v[22:23], v[45:46], v[51:52], -v[22:23]
	v_fma_f64 v[51:52], v[45:46], s[98:99], s[96:97]
	s_delay_alu instid0(VALU_DEP_2) | instskip(NEXT) | instid1(VALU_DEP_2)
	v_fma_f64 v[22:23], v[55:56], s[4:5], v[22:23]
	v_fma_f64 v[51:52], v[45:46], v[51:52], s[100:101]
	s_delay_alu instid0(VALU_DEP_2) | instskip(NEXT) | instid1(VALU_DEP_2)
	v_add_f64 v[20:21], v[20:21], -v[22:23]
	v_fma_f64 v[51:52], v[45:46], v[51:52], s[102:103]
	s_delay_alu instid0(VALU_DEP_1) | instskip(NEXT) | instid1(VALU_DEP_1)
	v_fma_f64 v[51:52], v[45:46], v[51:52], s[28:29]
	v_fma_f64 v[51:52], v[45:46], v[51:52], s[42:43]
	v_mul_f64 v[45:46], v[45:46], v[45:46]
	s_delay_alu instid0(VALU_DEP_1) | instskip(SKIP_1) | instid1(VALU_DEP_2)
	v_fma_f64 v[45:46], v[45:46], v[51:52], v[47:48]
	v_mul_f64 v[47:48], v[24:25], v[24:25]
	v_add_f64 v[45:46], v[49:50], v[45:46]
	s_delay_alu instid0(VALU_DEP_2) | instskip(SKIP_2) | instid1(VALU_DEP_1)
	v_mul_f64 v[51:52], v[47:48], 0.5
	v_mul_f64 v[61:62], v[24:25], -v[47:48]
	v_and_b32_e32 v4, 1, v44
	v_cmp_eq_u32_e32 vcc_lo, 0, v4
	v_cndmask_b32_e32 v21, v46, v21, vcc_lo
	v_add_f64 v[53:54], -v[51:52], 1.0
	v_cndmask_b32_e32 v4, v45, v20, vcc_lo
	s_delay_alu instid0(VALU_DEP_2) | instskip(NEXT) | instid1(VALU_DEP_1)
	v_add_f64 v[57:58], -v[53:54], 1.0
	v_add_f64 v[51:52], v[57:58], -v[51:52]
	v_fma_f64 v[57:58], v[47:48], s[34:35], s[30:31]
	s_delay_alu instid0(VALU_DEP_2) | instskip(NEXT) | instid1(VALU_DEP_2)
	v_fma_f64 v[51:52], v[24:25], -v[26:27], v[51:52]
	v_fma_f64 v[57:58], v[47:48], v[57:58], s[36:37]
	s_delay_alu instid0(VALU_DEP_1) | instskip(NEXT) | instid1(VALU_DEP_1)
	v_fma_f64 v[57:58], v[47:48], v[57:58], s[38:39]
	v_fma_f64 v[57:58], v[47:48], v[57:58], s[40:41]
	s_delay_alu instid0(VALU_DEP_1) | instskip(NEXT) | instid1(VALU_DEP_1)
	v_fma_f64 v[57:58], v[61:62], v[57:58], v[59:60]
	v_fma_f64 v[26:27], v[47:48], v[57:58], -v[26:27]
	v_fma_f64 v[57:58], v[47:48], s[98:99], s[96:97]
	s_delay_alu instid0(VALU_DEP_2) | instskip(NEXT) | instid1(VALU_DEP_2)
	v_fma_f64 v[26:27], v[61:62], s[4:5], v[26:27]
	v_fma_f64 v[57:58], v[47:48], v[57:58], s[100:101]
	s_delay_alu instid0(VALU_DEP_2) | instskip(NEXT) | instid1(VALU_DEP_2)
	v_add_f64 v[22:23], v[24:25], -v[26:27]
	v_fma_f64 v[57:58], v[47:48], v[57:58], s[102:103]
	s_delay_alu instid0(VALU_DEP_1) | instskip(NEXT) | instid1(VALU_DEP_1)
	v_fma_f64 v[57:58], v[47:48], v[57:58], s[28:29]
	v_fma_f64 v[57:58], v[47:48], v[57:58], s[42:43]
	v_mul_f64 v[47:48], v[47:48], v[47:48]
	s_delay_alu instid0(VALU_DEP_1) | instskip(NEXT) | instid1(VALU_DEP_1)
	v_fma_f64 v[47:48], v[47:48], v[57:58], v[51:52]
	v_add_f64 v[24:25], v[53:54], v[47:48]
	v_lshlrev_b32_e32 v20, 30, v44
	s_delay_alu instid0(VALU_DEP_1) | instskip(SKIP_2) | instid1(VALU_DEP_3)
	v_xor_b32_e32 v5, v20, v5
	v_and_b32_e32 v20, 1, v19
	v_lshlrev_b32_e32 v19, 30, v19
	v_and_b32_e32 v5, 0x80000000, v5
	s_delay_alu instid0(VALU_DEP_3) | instskip(NEXT) | instid1(VALU_DEP_3)
	v_cmp_eq_u32_e32 vcc_lo, 0, v20
	v_and_b32_e32 v19, 0x80000000, v19
	s_delay_alu instid0(VALU_DEP_3) | instskip(SKIP_1) | instid1(VALU_DEP_2)
	v_xor_b32_e32 v5, v21, v5
	v_xor_b32_e32 v21, 0x80000000, v23
	v_mul_f64 v[4:5], v[4:5], 4.0
	v_cndmask_b32_e32 v20, v22, v24, vcc_lo
	v_mul_f64 v[22:23], |v[2:3]|, s[66:67]
	s_delay_alu instid0(VALU_DEP_4) | instskip(SKIP_1) | instid1(VALU_DEP_2)
	v_cndmask_b32_e32 v21, v21, v25, vcc_lo
	v_cmp_nlt_f64_e64 vcc_lo, 0x4090cc00, |v[2:3]|
	v_xor_b32_e32 v21, v21, v19
	s_delay_alu instid0(VALU_DEP_1) | instskip(SKIP_1) | instid1(VALU_DEP_1)
	v_mul_f64 v[4:5], v[4:5], v[20:21]
	v_rndne_f64_e32 v[22:23], v[22:23]
	v_fma_f64 v[24:25], v[22:23], s[58:59], -|v[2:3]|
	v_cvt_i32_f64_e32 v19, v[22:23]
	s_delay_alu instid0(VALU_DEP_2) | instskip(NEXT) | instid1(VALU_DEP_1)
	v_fma_f64 v[24:25], v[22:23], s[62:63], v[24:25]
	v_fma_f64 v[26:27], v[24:25], s[76:77], s[74:75]
	s_delay_alu instid0(VALU_DEP_1) | instskip(NEXT) | instid1(VALU_DEP_1)
	v_fma_f64 v[26:27], v[24:25], v[26:27], s[78:79]
	v_fma_f64 v[26:27], v[24:25], v[26:27], s[80:81]
	s_delay_alu instid0(VALU_DEP_1) | instskip(NEXT) | instid1(VALU_DEP_1)
	;; [unrolled: 3-line block ×5, first 2 shown]
	v_fma_f64 v[26:27], v[24:25], v[26:27], 1.0
	v_fma_f64 v[24:25], v[24:25], v[26:27], 1.0
	s_delay_alu instid0(VALU_DEP_1) | instskip(NEXT) | instid1(VALU_DEP_1)
	v_ldexp_f64 v[22:23], v[24:25], v19
	v_dual_cndmask_b32 v20, 0, v23 :: v_dual_cndmask_b32 v19, 0, v22
	s_delay_alu instid0(VALU_DEP_1) | instskip(NEXT) | instid1(VALU_DEP_1)
	v_mul_f64 v[4:5], v[19:20], v[4:5]
	v_mul_f64 v[4:5], v[19:20], v[4:5]
	v_bfi_b32 v19, 0x7fffffff, s49, v3
	s_delay_alu instid0(VALU_DEP_1)
	v_dual_mov_b32 v2, v18 :: v_dual_mov_b32 v3, v19
.LBB156_225:                            ;   in Loop: Header=BB156_161 Depth=1
	s_or_b32 exec_lo, exec_lo, s60
.LBB156_226:                            ;   in Loop: Header=BB156_161 Depth=1
	s_and_not1_saveexec_b32 s4, s47
; %bb.227:                              ;   in Loop: Header=BB156_161 Depth=1
	s_delay_alu instid0(VALU_DEP_1) | instskip(NEXT) | instid1(VALU_DEP_1)
	v_add_f64 v[4:5], v[4:5], -v[4:5]
	v_dual_mov_b32 v2, v4 :: v_dual_mov_b32 v3, v5
; %bb.228:                              ;   in Loop: Header=BB156_161 Depth=1
	s_or_b32 exec_lo, exec_lo, s4
.LBB156_229:                            ;   in Loop: Header=BB156_161 Depth=1
	s_and_not1_saveexec_b32 s45, s45
	s_cbranch_execz .LBB156_245
; %bb.230:                              ;   in Loop: Header=BB156_161 Depth=1
	s_delay_alu instid0(VALU_DEP_1) | instskip(SKIP_1) | instid1(VALU_DEP_1)
	v_and_or_b32 v19, 0xfffff, v3, v2
	s_mov_b32 s4, exec_lo
	v_cmpx_ne_u32_e32 0, v19
	s_xor_b32 s4, exec_lo, s4
; %bb.231:                              ;   in Loop: Header=BB156_161 Depth=1
	v_mul_f64 v[19:20], v[4:5], v[2:3]
	v_cmp_eq_f64_e32 vcc_lo, 0, v[4:5]
	s_delay_alu instid0(VALU_DEP_2)
	v_dual_cndmask_b32 v5, v20, v5 :: v_dual_cndmask_b32 v4, v19, v4
; %bb.232:                              ;   in Loop: Header=BB156_161 Depth=1
	s_and_not1_saveexec_b32 s47, s4
	s_cbranch_execz .LBB156_244
; %bb.233:                              ;   in Loop: Header=BB156_161 Depth=1
	s_mov_b32 s48, exec_lo
	s_delay_alu instid0(VALU_DEP_1)
	v_cmpx_neq_f64_e64 0x7ff00000, |v[4:5]|
	s_cbranch_execz .LBB156_243
; %bb.234:                              ;   in Loop: Header=BB156_161 Depth=1
	v_cmp_ngt_f64_e64 s4, 0x41d00000, |v[4:5]|
                                        ; implicit-def: $vgpr44
                                        ; implicit-def: $vgpr20_vgpr21
                                        ; implicit-def: $vgpr22_vgpr23
	s_delay_alu instid0(VALU_DEP_1) | instskip(NEXT) | instid1(SALU_CYCLE_1)
	s_and_saveexec_b32 s13, s4
	s_xor_b32 s20, exec_lo, s13
	s_cbranch_execz .LBB156_236
; %bb.235:                              ;   in Loop: Header=BB156_161 Depth=1
	v_ldexp_f64 v[19:20], |v[4:5]|, 0xffffff80
	v_cmp_le_f64_e64 vcc_lo, 0x7b000000, |v[4:5]|
	v_trig_preop_f64 v[21:22], |v[4:5]|, 0
	v_and_b32_e32 v23, 0x7fffffff, v5
	v_trig_preop_f64 v[25:26], |v[4:5]|, 1
	v_trig_preop_f64 v[46:47], |v[4:5]|, 2
	s_mov_b32 s16, s18
	s_mov_b32 s13, s21
	v_dual_cndmask_b32 v20, v23, v20 :: v_dual_cndmask_b32 v19, v4, v19
	s_delay_alu instid0(VALU_DEP_1) | instskip(NEXT) | instid1(VALU_DEP_4)
	v_mul_f64 v[23:24], v[21:22], v[19:20]
	v_mul_f64 v[44:45], v[25:26], v[19:20]
	s_delay_alu instid0(VALU_DEP_4) | instskip(NEXT) | instid1(VALU_DEP_3)
	v_mul_f64 v[48:49], v[46:47], v[19:20]
	v_fma_f64 v[21:22], v[21:22], v[19:20], -v[23:24]
	s_delay_alu instid0(VALU_DEP_3) | instskip(NEXT) | instid1(VALU_DEP_3)
	v_fma_f64 v[25:26], v[25:26], v[19:20], -v[44:45]
	v_fma_f64 v[19:20], v[46:47], v[19:20], -v[48:49]
	s_delay_alu instid0(VALU_DEP_3) | instskip(NEXT) | instid1(VALU_DEP_1)
	v_add_f64 v[46:47], v[44:45], v[21:22]
	v_add_f64 v[50:51], v[46:47], -v[44:45]
	s_delay_alu instid0(VALU_DEP_1) | instskip(SKIP_1) | instid1(VALU_DEP_1)
	v_add_f64 v[21:22], v[21:22], -v[50:51]
	v_add_f64 v[50:51], v[46:47], -v[50:51]
	v_add_f64 v[44:45], v[44:45], -v[50:51]
	v_add_f64 v[50:51], v[23:24], v[46:47]
	s_delay_alu instid0(VALU_DEP_2) | instskip(NEXT) | instid1(VALU_DEP_2)
	v_add_f64 v[21:22], v[21:22], v[44:45]
	v_add_f64 v[23:24], v[50:51], -v[23:24]
	v_add_f64 v[44:45], v[48:49], v[25:26]
	v_ldexp_f64 v[50:51], v[50:51], -2
	s_delay_alu instid0(VALU_DEP_3) | instskip(NEXT) | instid1(VALU_DEP_3)
	v_add_f64 v[23:24], v[46:47], -v[23:24]
	v_add_f64 v[46:47], v[44:45], -v[48:49]
	s_delay_alu instid0(VALU_DEP_3) | instskip(SKIP_1) | instid1(VALU_DEP_3)
	v_cmp_neq_f64_e64 vcc_lo, 0x7ff00000, |v[50:51]|
	v_fract_f64_e32 v[50:51], v[50:51]
	v_add_f64 v[25:26], v[25:26], -v[46:47]
	v_add_f64 v[46:47], v[44:45], -v[46:47]
	s_delay_alu instid0(VALU_DEP_3) | instskip(NEXT) | instid1(VALU_DEP_2)
	v_dual_cndmask_b32 v51, 0, v51 :: v_dual_cndmask_b32 v50, 0, v50
	v_add_f64 v[46:47], v[48:49], -v[46:47]
	v_add_f64 v[48:49], v[44:45], v[21:22]
	s_delay_alu instid0(VALU_DEP_2) | instskip(NEXT) | instid1(VALU_DEP_2)
	v_add_f64 v[25:26], v[25:26], v[46:47]
	v_add_f64 v[52:53], v[48:49], -v[44:45]
	v_add_f64 v[46:47], v[23:24], v[48:49]
	s_delay_alu instid0(VALU_DEP_2) | instskip(SKIP_1) | instid1(VALU_DEP_3)
	v_add_f64 v[21:22], v[21:22], -v[52:53]
	v_add_f64 v[52:53], v[48:49], -v[52:53]
	;; [unrolled: 1-line block ×3, first 2 shown]
	s_delay_alu instid0(VALU_DEP_2) | instskip(NEXT) | instid1(VALU_DEP_2)
	v_add_f64 v[44:45], v[44:45], -v[52:53]
	v_add_f64 v[23:24], v[48:49], -v[23:24]
	s_delay_alu instid0(VALU_DEP_2) | instskip(SKIP_1) | instid1(VALU_DEP_2)
	v_add_f64 v[21:22], v[21:22], v[44:45]
	v_ldexp_f64 v[44:45], v[50:51], 2
	v_add_f64 v[21:22], v[25:26], v[21:22]
	s_delay_alu instid0(VALU_DEP_2) | instskip(NEXT) | instid1(VALU_DEP_2)
	v_add_f64 v[50:51], v[46:47], v[44:45]
	v_add_f64 v[20:21], v[19:20], v[21:22]
	s_delay_alu instid0(VALU_DEP_2) | instskip(NEXT) | instid1(VALU_DEP_2)
	v_cmp_gt_f64_e32 vcc_lo, 0, v[50:51]
	v_add_f64 v[20:21], v[23:24], v[20:21]
	v_cndmask_b32_e64 v19, 0, 0x40100000, vcc_lo
	s_delay_alu instid0(VALU_DEP_1) | instskip(NEXT) | instid1(VALU_DEP_1)
	v_add_f64 v[25:26], v[44:45], v[18:19]
	v_add_f64 v[44:45], v[46:47], v[25:26]
	s_delay_alu instid0(VALU_DEP_1) | instskip(NEXT) | instid1(VALU_DEP_1)
	v_cvt_i32_f64_e32 v48, v[44:45]
	v_cvt_f64_i32_e32 v[44:45], v48
	s_delay_alu instid0(VALU_DEP_1) | instskip(NEXT) | instid1(VALU_DEP_1)
	v_add_f64 v[25:26], v[25:26], -v[44:45]
	v_add_f64 v[22:23], v[46:47], v[25:26]
	s_delay_alu instid0(VALU_DEP_1) | instskip(SKIP_1) | instid1(VALU_DEP_2)
	v_add_f64 v[24:25], v[22:23], -v[25:26]
	v_cmp_le_f64_e32 vcc_lo, 0.5, v[22:23]
	v_add_f64 v[24:25], v[46:47], -v[24:25]
	v_cndmask_b32_e64 v19, 0, 0x3ff00000, vcc_lo
	v_add_co_ci_u32_e32 v44, vcc_lo, 0, v48, vcc_lo
	s_delay_alu instid0(VALU_DEP_2) | instskip(NEXT) | instid1(VALU_DEP_4)
	v_add_f64 v[22:23], v[22:23], -v[18:19]
	v_add_f64 v[19:20], v[20:21], v[24:25]
	s_delay_alu instid0(VALU_DEP_1) | instskip(NEXT) | instid1(VALU_DEP_1)
	v_add_f64 v[24:25], v[22:23], v[19:20]
	v_add_f64 v[21:22], v[24:25], -v[22:23]
	s_delay_alu instid0(VALU_DEP_1) | instskip(SKIP_1) | instid1(VALU_DEP_1)
	v_add_f64 v[19:20], v[19:20], -v[21:22]
	v_mul_f64 v[22:23], v[24:25], s[16:17]
	v_fma_f64 v[26:27], v[24:25], s[16:17], -v[22:23]
	s_delay_alu instid0(VALU_DEP_1) | instskip(NEXT) | instid1(VALU_DEP_1)
	v_fma_f64 v[24:25], v[24:25], s[12:13], v[26:27]
	v_fma_f64 v[24:25], v[19:20], s[16:17], v[24:25]
	s_delay_alu instid0(VALU_DEP_1) | instskip(NEXT) | instid1(VALU_DEP_1)
	v_add_f64 v[20:21], v[22:23], v[24:25]
	v_add_f64 v[22:23], v[20:21], -v[22:23]
	s_delay_alu instid0(VALU_DEP_1)
	v_add_f64 v[22:23], v[24:25], -v[22:23]
	s_and_not1_saveexec_b32 s13, s20
	s_cbranch_execz .LBB156_238
	s_branch .LBB156_237
.LBB156_236:                            ;   in Loop: Header=BB156_161 Depth=1
	s_and_not1_saveexec_b32 s13, s20
	s_cbranch_execz .LBB156_238
.LBB156_237:                            ;   in Loop: Header=BB156_161 Depth=1
	v_mul_f64 v[19:20], |v[4:5]|, s[22:23]
	s_mov_b32 s20, s24
	s_delay_alu instid0(VALU_DEP_1) | instskip(NEXT) | instid1(VALU_DEP_1)
	v_rndne_f64_e32 v[24:25], v[19:20]
	v_fma_f64 v[19:20], v[24:25], s[18:19], |v[4:5]|
	v_mul_f64 v[21:22], v[24:25], s[24:25]
	s_delay_alu instid0(VALU_DEP_2) | instskip(NEXT) | instid1(VALU_DEP_2)
	v_fma_f64 v[44:45], v[24:25], s[24:25], v[19:20]
	v_add_f64 v[26:27], v[19:20], v[21:22]
	s_delay_alu instid0(VALU_DEP_1) | instskip(NEXT) | instid1(VALU_DEP_3)
	v_add_f64 v[19:20], v[19:20], -v[26:27]
	v_add_f64 v[26:27], v[26:27], -v[44:45]
	s_delay_alu instid0(VALU_DEP_2) | instskip(SKIP_1) | instid1(VALU_DEP_2)
	v_add_f64 v[19:20], v[19:20], v[21:22]
	v_fma_f64 v[21:22], v[24:25], s[20:21], v[21:22]
	v_add_f64 v[19:20], v[26:27], v[19:20]
	s_delay_alu instid0(VALU_DEP_1) | instskip(NEXT) | instid1(VALU_DEP_1)
	v_add_f64 v[19:20], v[19:20], -v[21:22]
	v_fma_f64 v[22:23], v[24:25], s[26:27], v[19:20]
	s_delay_alu instid0(VALU_DEP_1) | instskip(NEXT) | instid1(VALU_DEP_1)
	v_add_f64 v[20:21], v[44:45], v[22:23]
	v_add_f64 v[26:27], v[20:21], -v[44:45]
	v_cvt_i32_f64_e32 v44, v[24:25]
	s_delay_alu instid0(VALU_DEP_2)
	v_add_f64 v[22:23], v[22:23], -v[26:27]
.LBB156_238:                            ;   in Loop: Header=BB156_161 Depth=1
	s_or_b32 exec_lo, exec_lo, s13
                                        ; implicit-def: $vgpr19
                                        ; implicit-def: $vgpr24_vgpr25
                                        ; implicit-def: $vgpr26_vgpr27
	s_and_saveexec_b32 s13, s4
	s_delay_alu instid0(SALU_CYCLE_1)
	s_xor_b32 s4, exec_lo, s13
	s_cbranch_execz .LBB156_240
; %bb.239:                              ;   in Loop: Header=BB156_161 Depth=1
	v_ldexp_f64 v[24:25], |v[4:5]|, 0xffffff80
	v_cmp_le_f64_e64 vcc_lo, 0x7b000000, |v[4:5]|
	v_trig_preop_f64 v[26:27], |v[4:5]|, 0
	v_and_b32_e32 v19, 0x7fffffff, v5
	v_trig_preop_f64 v[47:48], |v[4:5]|, 1
	v_trig_preop_f64 v[51:52], |v[4:5]|, 2
	s_mov_b32 s16, s18
	s_mov_b32 s13, s21
	v_dual_cndmask_b32 v24, v4, v24 :: v_dual_cndmask_b32 v25, v19, v25
	s_delay_alu instid0(VALU_DEP_1) | instskip(NEXT) | instid1(VALU_DEP_4)
	v_mul_f64 v[45:46], v[26:27], v[24:25]
	v_mul_f64 v[49:50], v[47:48], v[24:25]
	s_delay_alu instid0(VALU_DEP_4) | instskip(NEXT) | instid1(VALU_DEP_3)
	v_mul_f64 v[53:54], v[51:52], v[24:25]
	v_fma_f64 v[26:27], v[26:27], v[24:25], -v[45:46]
	s_delay_alu instid0(VALU_DEP_3) | instskip(NEXT) | instid1(VALU_DEP_3)
	v_fma_f64 v[47:48], v[47:48], v[24:25], -v[49:50]
	v_fma_f64 v[24:25], v[51:52], v[24:25], -v[53:54]
	s_delay_alu instid0(VALU_DEP_3) | instskip(NEXT) | instid1(VALU_DEP_1)
	v_add_f64 v[51:52], v[49:50], v[26:27]
	v_add_f64 v[55:56], v[51:52], -v[49:50]
	s_delay_alu instid0(VALU_DEP_1) | instskip(SKIP_1) | instid1(VALU_DEP_1)
	v_add_f64 v[26:27], v[26:27], -v[55:56]
	v_add_f64 v[55:56], v[51:52], -v[55:56]
	;; [unrolled: 1-line block ×3, first 2 shown]
	v_add_f64 v[55:56], v[45:46], v[51:52]
	s_delay_alu instid0(VALU_DEP_2) | instskip(NEXT) | instid1(VALU_DEP_2)
	v_add_f64 v[26:27], v[26:27], v[49:50]
	v_add_f64 v[45:46], v[55:56], -v[45:46]
	v_add_f64 v[49:50], v[53:54], v[47:48]
	v_ldexp_f64 v[55:56], v[55:56], -2
	s_delay_alu instid0(VALU_DEP_3) | instskip(NEXT) | instid1(VALU_DEP_3)
	v_add_f64 v[45:46], v[51:52], -v[45:46]
	v_add_f64 v[51:52], v[49:50], -v[53:54]
	s_delay_alu instid0(VALU_DEP_3) | instskip(SKIP_1) | instid1(VALU_DEP_3)
	v_cmp_neq_f64_e64 vcc_lo, 0x7ff00000, |v[55:56]|
	v_fract_f64_e32 v[55:56], v[55:56]
	v_add_f64 v[47:48], v[47:48], -v[51:52]
	v_add_f64 v[51:52], v[49:50], -v[51:52]
	s_delay_alu instid0(VALU_DEP_3) | instskip(NEXT) | instid1(VALU_DEP_2)
	v_dual_cndmask_b32 v56, 0, v56 :: v_dual_cndmask_b32 v55, 0, v55
	v_add_f64 v[51:52], v[53:54], -v[51:52]
	v_add_f64 v[53:54], v[49:50], v[26:27]
	s_delay_alu instid0(VALU_DEP_2) | instskip(NEXT) | instid1(VALU_DEP_2)
	v_add_f64 v[47:48], v[47:48], v[51:52]
	v_add_f64 v[57:58], v[53:54], -v[49:50]
	v_add_f64 v[51:52], v[45:46], v[53:54]
	s_delay_alu instid0(VALU_DEP_2) | instskip(SKIP_1) | instid1(VALU_DEP_3)
	v_add_f64 v[26:27], v[26:27], -v[57:58]
	v_add_f64 v[57:58], v[53:54], -v[57:58]
	;; [unrolled: 1-line block ×3, first 2 shown]
	s_delay_alu instid0(VALU_DEP_2) | instskip(NEXT) | instid1(VALU_DEP_2)
	v_add_f64 v[49:50], v[49:50], -v[57:58]
	v_add_f64 v[45:46], v[53:54], -v[45:46]
	s_delay_alu instid0(VALU_DEP_2) | instskip(SKIP_1) | instid1(VALU_DEP_2)
	v_add_f64 v[26:27], v[26:27], v[49:50]
	v_ldexp_f64 v[49:50], v[55:56], 2
	v_add_f64 v[26:27], v[47:48], v[26:27]
	s_delay_alu instid0(VALU_DEP_2) | instskip(NEXT) | instid1(VALU_DEP_2)
	v_add_f64 v[55:56], v[51:52], v[49:50]
	v_add_f64 v[24:25], v[24:25], v[26:27]
	s_delay_alu instid0(VALU_DEP_2) | instskip(NEXT) | instid1(VALU_DEP_2)
	v_cmp_gt_f64_e32 vcc_lo, 0, v[55:56]
	v_add_f64 v[24:25], v[45:46], v[24:25]
	v_cndmask_b32_e64 v19, 0, 0x40100000, vcc_lo
	s_delay_alu instid0(VALU_DEP_1) | instskip(NEXT) | instid1(VALU_DEP_1)
	v_add_f64 v[26:27], v[49:50], v[18:19]
	v_add_f64 v[47:48], v[51:52], v[26:27]
	s_delay_alu instid0(VALU_DEP_1) | instskip(NEXT) | instid1(VALU_DEP_1)
	v_cvt_i32_f64_e32 v49, v[47:48]
	v_cvt_f64_i32_e32 v[47:48], v49
	s_delay_alu instid0(VALU_DEP_1) | instskip(NEXT) | instid1(VALU_DEP_1)
	v_add_f64 v[26:27], v[26:27], -v[47:48]
	v_add_f64 v[45:46], v[51:52], v[26:27]
	s_delay_alu instid0(VALU_DEP_1) | instskip(SKIP_1) | instid1(VALU_DEP_2)
	v_add_f64 v[26:27], v[45:46], -v[26:27]
	v_cmp_le_f64_e32 vcc_lo, 0.5, v[45:46]
	v_add_f64 v[26:27], v[51:52], -v[26:27]
	v_cndmask_b32_e64 v19, 0, 0x3ff00000, vcc_lo
	s_delay_alu instid0(VALU_DEP_1) | instskip(SKIP_1) | instid1(VALU_DEP_4)
	v_add_f64 v[45:46], v[45:46], -v[18:19]
	v_add_co_ci_u32_e32 v19, vcc_lo, 0, v49, vcc_lo
	v_add_f64 v[24:25], v[24:25], v[26:27]
	s_delay_alu instid0(VALU_DEP_1) | instskip(NEXT) | instid1(VALU_DEP_1)
	v_add_f64 v[26:27], v[45:46], v[24:25]
	v_add_f64 v[45:46], v[26:27], -v[45:46]
	s_delay_alu instid0(VALU_DEP_1) | instskip(SKIP_1) | instid1(VALU_DEP_1)
	v_add_f64 v[24:25], v[24:25], -v[45:46]
	v_mul_f64 v[45:46], v[26:27], s[16:17]
	v_fma_f64 v[47:48], v[26:27], s[16:17], -v[45:46]
	s_delay_alu instid0(VALU_DEP_1) | instskip(NEXT) | instid1(VALU_DEP_1)
	v_fma_f64 v[26:27], v[26:27], s[12:13], v[47:48]
	v_fma_f64 v[26:27], v[24:25], s[16:17], v[26:27]
	s_delay_alu instid0(VALU_DEP_1) | instskip(NEXT) | instid1(VALU_DEP_1)
	v_add_f64 v[24:25], v[45:46], v[26:27]
	v_add_f64 v[45:46], v[24:25], -v[45:46]
	s_delay_alu instid0(VALU_DEP_1)
	v_add_f64 v[26:27], v[26:27], -v[45:46]
	s_and_not1_saveexec_b32 s4, s4
	s_cbranch_execnz .LBB156_241
	s_branch .LBB156_242
.LBB156_240:                            ;   in Loop: Header=BB156_161 Depth=1
	s_and_not1_saveexec_b32 s4, s4
	s_cbranch_execz .LBB156_242
.LBB156_241:                            ;   in Loop: Header=BB156_161 Depth=1
	v_mul_f64 v[24:25], |v[4:5]|, s[22:23]
	s_mov_b32 s20, s24
	s_delay_alu instid0(VALU_DEP_1) | instskip(NEXT) | instid1(VALU_DEP_1)
	v_rndne_f64_e32 v[45:46], v[24:25]
	v_fma_f64 v[24:25], v[45:46], s[18:19], |v[4:5]|
	v_mul_f64 v[26:27], v[45:46], s[24:25]
	v_cvt_i32_f64_e32 v19, v[45:46]
	s_delay_alu instid0(VALU_DEP_3) | instskip(NEXT) | instid1(VALU_DEP_3)
	v_fma_f64 v[49:50], v[45:46], s[24:25], v[24:25]
	v_add_f64 v[47:48], v[24:25], v[26:27]
	s_delay_alu instid0(VALU_DEP_1) | instskip(NEXT) | instid1(VALU_DEP_3)
	v_add_f64 v[24:25], v[24:25], -v[47:48]
	v_add_f64 v[47:48], v[47:48], -v[49:50]
	s_delay_alu instid0(VALU_DEP_2) | instskip(SKIP_1) | instid1(VALU_DEP_2)
	v_add_f64 v[24:25], v[24:25], v[26:27]
	v_fma_f64 v[26:27], v[45:46], s[20:21], v[26:27]
	v_add_f64 v[24:25], v[47:48], v[24:25]
	s_delay_alu instid0(VALU_DEP_1) | instskip(NEXT) | instid1(VALU_DEP_1)
	v_add_f64 v[24:25], v[24:25], -v[26:27]
	v_fma_f64 v[26:27], v[45:46], s[26:27], v[24:25]
	s_delay_alu instid0(VALU_DEP_1) | instskip(NEXT) | instid1(VALU_DEP_1)
	v_add_f64 v[24:25], v[49:50], v[26:27]
	v_add_f64 v[47:48], v[24:25], -v[49:50]
	s_delay_alu instid0(VALU_DEP_1)
	v_add_f64 v[26:27], v[26:27], -v[47:48]
.LBB156_242:                            ;   in Loop: Header=BB156_161 Depth=1
	s_or_b32 exec_lo, exec_lo, s4
	v_mul_f64 v[45:46], v[20:21], v[20:21]
	s_delay_alu instid0(VALU_DEP_2) | instskip(NEXT) | instid1(VALU_DEP_3)
	v_mul_f64 v[53:54], v[22:23], 0.5
	v_mul_f64 v[59:60], v[26:27], 0.5
	s_mov_b32 s4, s42
	s_delay_alu instid0(VALU_DEP_3) | instskip(SKIP_1) | instid1(VALU_DEP_2)
	v_mul_f64 v[47:48], v[45:46], 0.5
	v_mul_f64 v[55:56], v[20:21], -v[45:46]
	v_add_f64 v[49:50], -v[47:48], 1.0
	s_delay_alu instid0(VALU_DEP_1) | instskip(NEXT) | instid1(VALU_DEP_1)
	v_add_f64 v[51:52], -v[49:50], 1.0
	v_add_f64 v[47:48], v[51:52], -v[47:48]
	v_fma_f64 v[51:52], v[45:46], s[34:35], s[30:31]
	s_delay_alu instid0(VALU_DEP_2) | instskip(NEXT) | instid1(VALU_DEP_2)
	v_fma_f64 v[47:48], v[20:21], -v[22:23], v[47:48]
	v_fma_f64 v[51:52], v[45:46], v[51:52], s[36:37]
	s_delay_alu instid0(VALU_DEP_1) | instskip(NEXT) | instid1(VALU_DEP_1)
	v_fma_f64 v[51:52], v[45:46], v[51:52], s[38:39]
	v_fma_f64 v[51:52], v[45:46], v[51:52], s[40:41]
	s_delay_alu instid0(VALU_DEP_1) | instskip(NEXT) | instid1(VALU_DEP_1)
	v_fma_f64 v[51:52], v[55:56], v[51:52], v[53:54]
	v_fma_f64 v[22:23], v[45:46], v[51:52], -v[22:23]
	v_fma_f64 v[51:52], v[45:46], s[98:99], s[96:97]
	s_delay_alu instid0(VALU_DEP_2) | instskip(NEXT) | instid1(VALU_DEP_2)
	v_fma_f64 v[22:23], v[55:56], s[4:5], v[22:23]
	v_fma_f64 v[51:52], v[45:46], v[51:52], s[100:101]
	s_delay_alu instid0(VALU_DEP_2) | instskip(NEXT) | instid1(VALU_DEP_2)
	v_add_f64 v[20:21], v[20:21], -v[22:23]
	v_fma_f64 v[51:52], v[45:46], v[51:52], s[102:103]
	v_and_b32_e32 v22, 1, v44
	s_delay_alu instid0(VALU_DEP_1) | instskip(NEXT) | instid1(VALU_DEP_3)
	v_cmp_eq_u32_e32 vcc_lo, 0, v22
	v_fma_f64 v[51:52], v[45:46], v[51:52], s[28:29]
	s_delay_alu instid0(VALU_DEP_1) | instskip(SKIP_1) | instid1(VALU_DEP_1)
	v_fma_f64 v[51:52], v[45:46], v[51:52], s[42:43]
	v_mul_f64 v[45:46], v[45:46], v[45:46]
	v_fma_f64 v[45:46], v[45:46], v[51:52], v[47:48]
	v_mul_f64 v[47:48], v[24:25], v[24:25]
	s_delay_alu instid0(VALU_DEP_2) | instskip(NEXT) | instid1(VALU_DEP_2)
	v_add_f64 v[45:46], v[49:50], v[45:46]
	v_mul_f64 v[51:52], v[47:48], 0.5
	v_mul_f64 v[61:62], v[24:25], -v[47:48]
	s_delay_alu instid0(VALU_DEP_3) | instskip(NEXT) | instid1(VALU_DEP_3)
	v_dual_cndmask_b32 v45, v45, v20 :: v_dual_cndmask_b32 v46, v46, v21
	v_add_f64 v[53:54], -v[51:52], 1.0
	v_cmp_class_f64_e64 vcc_lo, v[4:5], 0x1f8
	v_lshlrev_b32_e32 v4, 30, v44
	s_delay_alu instid0(VALU_DEP_1) | instskip(NEXT) | instid1(VALU_DEP_1)
	v_xor_b32_e32 v4, v4, v5
	v_and_b32_e32 v4, 0x80000000, v4
	v_add_f64 v[57:58], -v[53:54], 1.0
	s_delay_alu instid0(VALU_DEP_1) | instskip(SKIP_1) | instid1(VALU_DEP_2)
	v_add_f64 v[51:52], v[57:58], -v[51:52]
	v_fma_f64 v[57:58], v[47:48], s[34:35], s[30:31]
	v_fma_f64 v[51:52], v[24:25], -v[26:27], v[51:52]
	s_delay_alu instid0(VALU_DEP_2) | instskip(NEXT) | instid1(VALU_DEP_1)
	v_fma_f64 v[57:58], v[47:48], v[57:58], s[36:37]
	v_fma_f64 v[57:58], v[47:48], v[57:58], s[38:39]
	s_delay_alu instid0(VALU_DEP_1) | instskip(NEXT) | instid1(VALU_DEP_1)
	v_fma_f64 v[57:58], v[47:48], v[57:58], s[40:41]
	v_fma_f64 v[57:58], v[61:62], v[57:58], v[59:60]
	s_delay_alu instid0(VALU_DEP_1) | instskip(SKIP_1) | instid1(VALU_DEP_2)
	v_fma_f64 v[26:27], v[47:48], v[57:58], -v[26:27]
	v_fma_f64 v[57:58], v[47:48], s[98:99], s[96:97]
	v_fma_f64 v[20:21], v[61:62], s[4:5], v[26:27]
	s_delay_alu instid0(VALU_DEP_2) | instskip(NEXT) | instid1(VALU_DEP_2)
	v_fma_f64 v[57:58], v[47:48], v[57:58], s[100:101]
	v_add_f64 v[20:21], v[24:25], -v[20:21]
	s_delay_alu instid0(VALU_DEP_2) | instskip(SKIP_2) | instid1(VALU_DEP_2)
	v_fma_f64 v[57:58], v[47:48], v[57:58], s[102:103]
	v_and_b32_e32 v24, 1, v19
	v_lshlrev_b32_e32 v19, 30, v19
	v_cmp_eq_u32_e64 s4, 0, v24
	v_xor_b32_e32 v5, 0x80000000, v21
	v_fma_f64 v[57:58], v[47:48], v[57:58], s[28:29]
	v_xor_b32_e32 v21, v46, v4
	v_dual_cndmask_b32 v4, 0, v45 :: v_dual_and_b32 v19, 0x80000000, v19
	s_delay_alu instid0(VALU_DEP_3) | instskip(SKIP_1) | instid1(VALU_DEP_1)
	v_fma_f64 v[57:58], v[47:48], v[57:58], s[42:43]
	v_mul_f64 v[47:48], v[47:48], v[47:48]
	v_fma_f64 v[47:48], v[47:48], v[57:58], v[51:52]
	s_delay_alu instid0(VALU_DEP_1) | instskip(NEXT) | instid1(VALU_DEP_1)
	v_add_f64 v[22:23], v[53:54], v[47:48]
	v_cndmask_b32_e64 v5, v5, v23, s4
	s_delay_alu instid0(VALU_DEP_2) | instskip(NEXT) | instid1(VALU_DEP_2)
	v_cndmask_b32_e64 v20, v20, v22, s4
	v_xor_b32_e32 v22, v5, v19
	v_cndmask_b32_e32 v5, 0x7ff80000, v21, vcc_lo
	s_delay_alu instid0(VALU_DEP_3) | instskip(NEXT) | instid1(VALU_DEP_3)
	v_cndmask_b32_e32 v19, 0, v20, vcc_lo
	v_cndmask_b32_e32 v20, 0x7ff80000, v22, vcc_lo
	s_delay_alu instid0(VALU_DEP_1)
	v_mul_f64 v[4:5], v[4:5], v[19:20]
.LBB156_243:                            ;   in Loop: Header=BB156_161 Depth=1
	s_or_b32 exec_lo, exec_lo, s48
	s_delay_alu instid0(VALU_DEP_1) | instskip(SKIP_2) | instid1(VALU_DEP_3)
	v_bfi_b32 v19, 0x7fffffff, 0, v5
	v_add_co_u32 v2, vcc_lo, v2, 0
	v_add_co_ci_u32_e32 v3, vcc_lo, -2.0, v3, vcc_lo
	v_dual_mov_b32 v4, v18 :: v_dual_mov_b32 v5, v19
.LBB156_244:                            ;   in Loop: Header=BB156_161 Depth=1
	s_or_b32 exec_lo, exec_lo, s47
.LBB156_245:                            ;   in Loop: Header=BB156_161 Depth=1
	s_delay_alu instid0(SALU_CYCLE_1) | instskip(SKIP_2) | instid1(VALU_DEP_1)
	s_or_b32 exec_lo, exec_lo, s45
	v_and_b32_e32 v23, 0x7fffffff, v15
	s_mov_b32 s4, exec_lo
	v_cmpx_gt_u32_e32 0x7ff00000, v23
	s_xor_b32 s45, exec_lo, s4
	s_cbranch_execz .LBB156_267
; %bb.246:                              ;   in Loop: Header=BB156_161 Depth=1
	v_cmp_class_f64_e64 s4, v[16:17], 0x1f8
	s_delay_alu instid0(VALU_DEP_1) | instskip(NEXT) | instid1(SALU_CYCLE_1)
	s_and_saveexec_b32 s13, s4
	s_xor_b32 s47, exec_lo, s13
	s_cbranch_execz .LBB156_264
; %bb.247:                              ;   in Loop: Header=BB156_161 Depth=1
	s_mov_b32 s4, exec_lo
	v_cmpx_gt_u32_e32 0x40360000, v23
	s_xor_b32 s48, exec_lo, s4
	s_cbranch_execz .LBB156_253
; %bb.248:                              ;   in Loop: Header=BB156_161 Depth=1
	v_cmp_ngt_f64_e64 s4, 0x41d00000, |v[16:17]|
                                        ; implicit-def: $vgpr24
                                        ; implicit-def: $vgpr19_vgpr20
                                        ; implicit-def: $vgpr21_vgpr22
	s_delay_alu instid0(VALU_DEP_1) | instskip(NEXT) | instid1(SALU_CYCLE_1)
	s_and_saveexec_b32 s13, s4
	s_xor_b32 s4, exec_lo, s13
	s_cbranch_execz .LBB156_250
; %bb.249:                              ;   in Loop: Header=BB156_161 Depth=1
	v_ldexp_f64 v[19:20], |v[16:17]|, 0xffffff80
	v_cmp_le_f64_e64 vcc_lo, 0x7b000000, |v[16:17]|
	v_trig_preop_f64 v[21:22], |v[16:17]|, 0
	v_and_b32_e32 v24, 0x7fffffff, v17
	v_trig_preop_f64 v[26:27], |v[16:17]|, 1
	v_trig_preop_f64 v[46:47], |v[16:17]|, 2
	s_mov_b32 s16, s18
	s_mov_b32 s13, s21
	v_cndmask_b32_e32 v19, v16, v19, vcc_lo
	v_cndmask_b32_e32 v20, v24, v20, vcc_lo
	s_delay_alu instid0(VALU_DEP_1) | instskip(SKIP_2) | instid1(VALU_DEP_3)
	v_mul_f64 v[24:25], v[21:22], v[19:20]
	v_mul_f64 v[44:45], v[26:27], v[19:20]
	;; [unrolled: 1-line block ×3, first 2 shown]
	v_fma_f64 v[21:22], v[21:22], v[19:20], -v[24:25]
	s_delay_alu instid0(VALU_DEP_3) | instskip(NEXT) | instid1(VALU_DEP_3)
	v_fma_f64 v[26:27], v[26:27], v[19:20], -v[44:45]
	v_fma_f64 v[19:20], v[46:47], v[19:20], -v[48:49]
	s_delay_alu instid0(VALU_DEP_3) | instskip(NEXT) | instid1(VALU_DEP_1)
	v_add_f64 v[46:47], v[44:45], v[21:22]
	v_add_f64 v[50:51], v[46:47], -v[44:45]
	s_delay_alu instid0(VALU_DEP_1) | instskip(SKIP_1) | instid1(VALU_DEP_1)
	v_add_f64 v[21:22], v[21:22], -v[50:51]
	v_add_f64 v[50:51], v[46:47], -v[50:51]
	v_add_f64 v[44:45], v[44:45], -v[50:51]
	v_add_f64 v[50:51], v[24:25], v[46:47]
	s_delay_alu instid0(VALU_DEP_2) | instskip(NEXT) | instid1(VALU_DEP_2)
	v_add_f64 v[21:22], v[21:22], v[44:45]
	v_add_f64 v[24:25], v[50:51], -v[24:25]
	v_add_f64 v[44:45], v[48:49], v[26:27]
	v_ldexp_f64 v[50:51], v[50:51], -2
	s_delay_alu instid0(VALU_DEP_3) | instskip(NEXT) | instid1(VALU_DEP_3)
	v_add_f64 v[24:25], v[46:47], -v[24:25]
	v_add_f64 v[46:47], v[44:45], -v[48:49]
	s_delay_alu instid0(VALU_DEP_3) | instskip(SKIP_1) | instid1(VALU_DEP_3)
	v_cmp_neq_f64_e64 vcc_lo, 0x7ff00000, |v[50:51]|
	v_fract_f64_e32 v[50:51], v[50:51]
	v_add_f64 v[26:27], v[26:27], -v[46:47]
	v_add_f64 v[46:47], v[44:45], -v[46:47]
	s_delay_alu instid0(VALU_DEP_3) | instskip(NEXT) | instid1(VALU_DEP_2)
	v_dual_cndmask_b32 v51, 0, v51 :: v_dual_cndmask_b32 v50, 0, v50
	v_add_f64 v[46:47], v[48:49], -v[46:47]
	v_add_f64 v[48:49], v[44:45], v[21:22]
	s_delay_alu instid0(VALU_DEP_2) | instskip(NEXT) | instid1(VALU_DEP_2)
	v_add_f64 v[26:27], v[26:27], v[46:47]
	v_add_f64 v[52:53], v[48:49], -v[44:45]
	v_add_f64 v[46:47], v[24:25], v[48:49]
	s_delay_alu instid0(VALU_DEP_2) | instskip(SKIP_1) | instid1(VALU_DEP_3)
	v_add_f64 v[21:22], v[21:22], -v[52:53]
	v_add_f64 v[52:53], v[48:49], -v[52:53]
	v_add_f64 v[24:25], v[46:47], -v[24:25]
	s_delay_alu instid0(VALU_DEP_2) | instskip(NEXT) | instid1(VALU_DEP_2)
	v_add_f64 v[44:45], v[44:45], -v[52:53]
	v_add_f64 v[24:25], v[48:49], -v[24:25]
	s_delay_alu instid0(VALU_DEP_2) | instskip(SKIP_1) | instid1(VALU_DEP_2)
	v_add_f64 v[21:22], v[21:22], v[44:45]
	v_ldexp_f64 v[44:45], v[50:51], 2
	v_add_f64 v[21:22], v[26:27], v[21:22]
	s_delay_alu instid0(VALU_DEP_2) | instskip(NEXT) | instid1(VALU_DEP_2)
	v_add_f64 v[50:51], v[46:47], v[44:45]
	v_add_f64 v[20:21], v[19:20], v[21:22]
	s_delay_alu instid0(VALU_DEP_2) | instskip(NEXT) | instid1(VALU_DEP_2)
	v_cmp_gt_f64_e32 vcc_lo, 0, v[50:51]
	v_add_f64 v[20:21], v[24:25], v[20:21]
	v_cndmask_b32_e64 v19, 0, 0x40100000, vcc_lo
	s_delay_alu instid0(VALU_DEP_1) | instskip(NEXT) | instid1(VALU_DEP_1)
	v_add_f64 v[26:27], v[44:45], v[18:19]
	v_add_f64 v[44:45], v[46:47], v[26:27]
	s_delay_alu instid0(VALU_DEP_1) | instskip(NEXT) | instid1(VALU_DEP_1)
	v_cvt_i32_f64_e32 v48, v[44:45]
	v_cvt_f64_i32_e32 v[44:45], v48
	s_delay_alu instid0(VALU_DEP_1) | instskip(NEXT) | instid1(VALU_DEP_1)
	v_add_f64 v[26:27], v[26:27], -v[44:45]
	v_add_f64 v[24:25], v[46:47], v[26:27]
	s_delay_alu instid0(VALU_DEP_1) | instskip(SKIP_1) | instid1(VALU_DEP_2)
	v_add_f64 v[26:27], v[24:25], -v[26:27]
	v_cmp_le_f64_e32 vcc_lo, 0.5, v[24:25]
	v_add_f64 v[26:27], v[46:47], -v[26:27]
	v_cndmask_b32_e64 v19, 0, 0x3ff00000, vcc_lo
	s_delay_alu instid0(VALU_DEP_1) | instskip(NEXT) | instid1(VALU_DEP_3)
	v_add_f64 v[24:25], v[24:25], -v[18:19]
	v_add_f64 v[19:20], v[20:21], v[26:27]
	s_delay_alu instid0(VALU_DEP_1) | instskip(NEXT) | instid1(VALU_DEP_1)
	v_add_f64 v[21:22], v[24:25], v[19:20]
	v_add_f64 v[24:25], v[21:22], -v[24:25]
	s_delay_alu instid0(VALU_DEP_1) | instskip(SKIP_1) | instid1(VALU_DEP_1)
	v_add_f64 v[19:20], v[19:20], -v[24:25]
	v_mul_f64 v[24:25], v[21:22], s[16:17]
	v_fma_f64 v[26:27], v[21:22], s[16:17], -v[24:25]
	s_delay_alu instid0(VALU_DEP_1) | instskip(NEXT) | instid1(VALU_DEP_1)
	v_fma_f64 v[21:22], v[21:22], s[12:13], v[26:27]
	v_fma_f64 v[21:22], v[19:20], s[16:17], v[21:22]
	s_delay_alu instid0(VALU_DEP_1) | instskip(NEXT) | instid1(VALU_DEP_1)
	v_add_f64 v[19:20], v[24:25], v[21:22]
	v_add_f64 v[24:25], v[19:20], -v[24:25]
	s_delay_alu instid0(VALU_DEP_1)
	v_add_f64 v[21:22], v[21:22], -v[24:25]
	v_add_co_ci_u32_e32 v24, vcc_lo, 0, v48, vcc_lo
.LBB156_250:                            ;   in Loop: Header=BB156_161 Depth=1
	s_and_not1_saveexec_b32 s4, s4
	s_cbranch_execz .LBB156_252
; %bb.251:                              ;   in Loop: Header=BB156_161 Depth=1
	v_mul_f64 v[19:20], |v[16:17]|, s[22:23]
	s_mov_b32 s20, s24
	s_delay_alu instid0(VALU_DEP_1) | instskip(NEXT) | instid1(VALU_DEP_1)
	v_rndne_f64_e32 v[24:25], v[19:20]
	v_fma_f64 v[19:20], v[24:25], s[18:19], |v[16:17]|
	v_mul_f64 v[21:22], v[24:25], s[24:25]
	s_delay_alu instid0(VALU_DEP_2) | instskip(NEXT) | instid1(VALU_DEP_2)
	v_fma_f64 v[44:45], v[24:25], s[24:25], v[19:20]
	v_add_f64 v[26:27], v[19:20], v[21:22]
	s_delay_alu instid0(VALU_DEP_1) | instskip(NEXT) | instid1(VALU_DEP_3)
	v_add_f64 v[19:20], v[19:20], -v[26:27]
	v_add_f64 v[26:27], v[26:27], -v[44:45]
	s_delay_alu instid0(VALU_DEP_2) | instskip(SKIP_1) | instid1(VALU_DEP_2)
	v_add_f64 v[19:20], v[19:20], v[21:22]
	v_fma_f64 v[21:22], v[24:25], s[20:21], v[21:22]
	v_add_f64 v[19:20], v[26:27], v[19:20]
	s_delay_alu instid0(VALU_DEP_1) | instskip(NEXT) | instid1(VALU_DEP_1)
	v_add_f64 v[19:20], v[19:20], -v[21:22]
	v_fma_f64 v[21:22], v[24:25], s[26:27], v[19:20]
	v_cvt_i32_f64_e32 v24, v[24:25]
	s_delay_alu instid0(VALU_DEP_2) | instskip(NEXT) | instid1(VALU_DEP_1)
	v_add_f64 v[19:20], v[44:45], v[21:22]
	v_add_f64 v[26:27], v[19:20], -v[44:45]
	s_delay_alu instid0(VALU_DEP_1)
	v_add_f64 v[21:22], v[21:22], -v[26:27]
.LBB156_252:                            ;   in Loop: Header=BB156_161 Depth=1
	s_or_b32 exec_lo, exec_lo, s4
	v_add_f64 v[25:26], |v[14:15]|, s[58:59]
	s_mov_b32 s60, s58
	s_mov_b32 s64, s66
	;; [unrolled: 1-line block ×5, first 2 shown]
	v_cmp_nge_f64_e64 vcc_lo, |v[14:15]|, s[94:95]
	v_cmp_gt_f64_e64 s4, 0x3e400000, |v[14:15]|
	s_mov_b32 s50, 0xa9a29f71
	s_mov_b32 s52, 0xc751c08c
	;; [unrolled: 1-line block ×4, first 2 shown]
	s_delay_alu instid0(VALU_DEP_3) | instskip(NEXT) | instid1(VALU_DEP_1)
	v_add_f64 v[44:45], v[25:26], -|v[14:15]|
	v_add_f64 v[46:47], v[44:45], -v[25:26]
	v_add_f64 v[44:45], v[44:45], s[60:61]
	s_delay_alu instid0(VALU_DEP_2) | instskip(NEXT) | instid1(VALU_DEP_1)
	v_add_f64 v[46:47], |v[14:15]|, v[46:47]
	v_add_f64 v[44:45], v[46:47], -v[44:45]
	s_delay_alu instid0(VALU_DEP_1) | instskip(NEXT) | instid1(VALU_DEP_1)
	v_add_f64 v[44:45], v[44:45], s[62:63]
	v_add_f64 v[46:47], v[25:26], v[44:45]
	s_delay_alu instid0(VALU_DEP_1) | instskip(NEXT) | instid1(VALU_DEP_1)
	v_add_f64 v[25:26], v[25:26], -v[46:47]
	v_add_f64 v[25:26], v[44:45], v[25:26]
	v_mul_f64 v[44:45], v[46:47], s[64:65]
	s_delay_alu instid0(VALU_DEP_1) | instskip(NEXT) | instid1(VALU_DEP_1)
	v_rndne_f64_e32 v[44:45], v[44:45]
	v_fma_f64 v[46:47], v[44:45], s[68:69], v[46:47]
	v_cvt_i32_f64_e32 v16, v[44:45]
	s_delay_alu instid0(VALU_DEP_2) | instskip(NEXT) | instid1(VALU_DEP_1)
	v_add_f64 v[48:49], v[25:26], v[46:47]
	v_add_f64 v[46:47], v[46:47], -v[48:49]
	s_delay_alu instid0(VALU_DEP_1) | instskip(SKIP_1) | instid1(VALU_DEP_1)
	v_add_f64 v[25:26], v[25:26], v[46:47]
	v_mul_f64 v[46:47], v[44:45], s[70:71]
	v_add_f64 v[50:51], v[48:49], v[46:47]
	s_delay_alu instid0(VALU_DEP_1) | instskip(NEXT) | instid1(VALU_DEP_1)
	v_add_f64 v[48:49], v[48:49], -v[50:51]
	v_add_f64 v[46:47], v[48:49], v[46:47]
	s_delay_alu instid0(VALU_DEP_1) | instskip(NEXT) | instid1(VALU_DEP_1)
	v_add_f64 v[25:26], v[25:26], v[46:47]
	v_add_f64 v[46:47], v[50:51], v[25:26]
	s_delay_alu instid0(VALU_DEP_1) | instskip(NEXT) | instid1(VALU_DEP_1)
	v_add_f64 v[48:49], v[50:51], -v[46:47]
	v_add_f64 v[25:26], v[25:26], v[48:49]
	v_mul_f64 v[48:49], v[44:45], s[72:73]
	s_delay_alu instid0(VALU_DEP_1) | instskip(NEXT) | instid1(VALU_DEP_1)
	v_add_f64 v[50:51], v[46:47], v[48:49]
	v_add_f64 v[46:47], v[46:47], -v[50:51]
	s_delay_alu instid0(VALU_DEP_1) | instskip(NEXT) | instid1(VALU_DEP_1)
	v_add_f64 v[46:47], v[46:47], v[48:49]
	v_add_f64 v[25:26], v[25:26], v[46:47]
	s_delay_alu instid0(VALU_DEP_1) | instskip(NEXT) | instid1(VALU_DEP_1)
	v_add_f64 v[46:47], v[50:51], v[25:26]
	v_add_f64 v[48:49], v[50:51], -v[46:47]
	s_delay_alu instid0(VALU_DEP_1) | instskip(SKIP_1) | instid1(VALU_DEP_2)
	v_add_f64 v[25:26], v[25:26], v[48:49]
	v_mul_f64 v[48:49], v[46:47], v[46:47]
	v_add_f64 v[52:53], v[25:26], v[25:26]
	s_delay_alu instid0(VALU_DEP_2) | instskip(NEXT) | instid1(VALU_DEP_1)
	v_fma_f64 v[50:51], v[46:47], v[46:47], -v[48:49]
	v_fma_f64 v[50:51], v[46:47], v[52:53], v[50:51]
	s_delay_alu instid0(VALU_DEP_1) | instskip(NEXT) | instid1(VALU_DEP_1)
	v_add_f64 v[52:53], v[48:49], v[50:51]
	v_add_f64 v[48:49], v[52:53], -v[48:49]
	s_delay_alu instid0(VALU_DEP_1) | instskip(SKIP_1) | instid1(VALU_DEP_1)
	v_add_f64 v[48:49], v[50:51], -v[48:49]
	v_fma_f64 v[50:51], v[46:47], s[76:77], s[74:75]
	v_fma_f64 v[50:51], v[46:47], v[50:51], s[78:79]
	s_delay_alu instid0(VALU_DEP_1) | instskip(NEXT) | instid1(VALU_DEP_1)
	v_fma_f64 v[50:51], v[46:47], v[50:51], s[80:81]
	v_fma_f64 v[50:51], v[46:47], v[50:51], s[82:83]
	s_delay_alu instid0(VALU_DEP_1) | instskip(NEXT) | instid1(VALU_DEP_1)
	;; [unrolled: 3-line block ×4, first 2 shown]
	v_fma_f64 v[50:51], v[46:47], v[50:51], s[92:93]
	v_mul_f64 v[54:55], v[52:53], v[50:51]
	s_delay_alu instid0(VALU_DEP_1) | instskip(NEXT) | instid1(VALU_DEP_1)
	v_fma_f64 v[52:53], v[52:53], v[50:51], -v[54:55]
	v_fma_f64 v[48:49], v[48:49], v[50:51], v[52:53]
	s_delay_alu instid0(VALU_DEP_1) | instskip(NEXT) | instid1(VALU_DEP_1)
	v_add_f64 v[50:51], v[54:55], v[48:49]
	v_add_f64 v[52:53], v[50:51], -v[54:55]
	s_delay_alu instid0(VALU_DEP_1) | instskip(SKIP_1) | instid1(VALU_DEP_2)
	v_add_f64 v[48:49], v[48:49], -v[52:53]
	v_add_f64 v[52:53], v[46:47], v[50:51]
	v_add_f64 v[25:26], v[25:26], v[48:49]
	s_delay_alu instid0(VALU_DEP_2) | instskip(NEXT) | instid1(VALU_DEP_1)
	v_add_f64 v[46:47], v[52:53], -v[46:47]
	v_add_f64 v[46:47], v[50:51], -v[46:47]
	s_delay_alu instid0(VALU_DEP_1) | instskip(NEXT) | instid1(VALU_DEP_1)
	v_add_f64 v[25:26], v[25:26], v[46:47]
	v_add_f64 v[46:47], v[52:53], v[25:26]
	s_delay_alu instid0(VALU_DEP_1) | instskip(NEXT) | instid1(VALU_DEP_1)
	v_add_f64 v[48:49], v[46:47], -v[52:53]
	v_add_f64 v[25:26], v[25:26], -v[48:49]
	v_add_f64 v[48:49], v[46:47], 1.0
	s_delay_alu instid0(VALU_DEP_1) | instskip(NEXT) | instid1(VALU_DEP_1)
	v_add_f64 v[50:51], v[48:49], -1.0
	v_add_f64 v[46:47], v[46:47], -v[50:51]
	s_delay_alu instid0(VALU_DEP_1) | instskip(NEXT) | instid1(VALU_DEP_1)
	v_add_f64 v[25:26], v[25:26], v[46:47]
	v_add_f64 v[44:45], v[48:49], v[25:26]
	s_delay_alu instid0(VALU_DEP_1) | instskip(SKIP_1) | instid1(VALU_DEP_2)
	v_add_f64 v[46:47], v[44:45], -v[48:49]
	v_ldexp_f64 v[44:45], v[44:45], v16
	v_add_f64 v[25:26], v[25:26], -v[46:47]
	s_delay_alu instid0(VALU_DEP_2) | instskip(NEXT) | instid1(VALU_DEP_1)
	v_rcp_f64_e32 v[48:49], v[44:45]
	v_ldexp_f64 v[25:26], v[25:26], v16
	s_waitcnt_depctr 0xfff
	v_fma_f64 v[50:51], -v[44:45], v[48:49], 1.0
	s_delay_alu instid0(VALU_DEP_1) | instskip(NEXT) | instid1(VALU_DEP_1)
	v_fma_f64 v[48:49], v[50:51], v[48:49], v[48:49]
	v_fma_f64 v[46:47], -v[44:45], v[48:49], 1.0
	s_delay_alu instid0(VALU_DEP_1) | instskip(NEXT) | instid1(VALU_DEP_1)
	v_fma_f64 v[46:47], v[46:47], v[48:49], v[48:49]
	v_mul_f64 v[48:49], v[44:45], v[46:47]
	s_delay_alu instid0(VALU_DEP_1) | instskip(NEXT) | instid1(VALU_DEP_1)
	v_fma_f64 v[50:51], v[46:47], v[44:45], -v[48:49]
	v_fma_f64 v[50:51], v[46:47], v[25:26], v[50:51]
	s_delay_alu instid0(VALU_DEP_1) | instskip(NEXT) | instid1(VALU_DEP_1)
	v_add_f64 v[52:53], v[48:49], v[50:51]
	v_add_f64 v[48:49], v[52:53], -v[48:49]
	s_delay_alu instid0(VALU_DEP_1) | instskip(SKIP_1) | instid1(VALU_DEP_1)
	v_add_f64 v[48:49], v[48:49], -v[50:51]
	v_add_f64 v[50:51], -v[52:53], 1.0
	v_add_f64 v[54:55], -v[50:51], 1.0
	s_delay_alu instid0(VALU_DEP_1) | instskip(NEXT) | instid1(VALU_DEP_1)
	v_add_f64 v[52:53], v[54:55], -v[52:53]
	v_add_f64 v[48:49], v[48:49], v[52:53]
	s_delay_alu instid0(VALU_DEP_1) | instskip(NEXT) | instid1(VALU_DEP_1)
	v_add_f64 v[52:53], v[50:51], v[48:49]
	v_add_f64 v[50:51], v[50:51], -v[52:53]
	s_delay_alu instid0(VALU_DEP_1) | instskip(SKIP_1) | instid1(VALU_DEP_1)
	v_add_f64 v[48:49], v[48:49], v[50:51]
	v_mul_f64 v[50:51], v[46:47], v[52:53]
	v_mul_f64 v[54:55], v[44:45], v[50:51]
	s_delay_alu instid0(VALU_DEP_1) | instskip(NEXT) | instid1(VALU_DEP_1)
	v_fma_f64 v[56:57], v[50:51], v[44:45], -v[54:55]
	v_fma_f64 v[56:57], v[50:51], v[25:26], v[56:57]
	s_delay_alu instid0(VALU_DEP_1) | instskip(NEXT) | instid1(VALU_DEP_1)
	v_add_f64 v[58:59], v[54:55], v[56:57]
	v_add_f64 v[60:61], v[52:53], -v[58:59]
	v_add_f64 v[54:55], v[58:59], -v[54:55]
	s_delay_alu instid0(VALU_DEP_2) | instskip(NEXT) | instid1(VALU_DEP_2)
	v_add_f64 v[52:53], v[52:53], -v[60:61]
	v_add_f64 v[54:55], v[54:55], -v[56:57]
	s_delay_alu instid0(VALU_DEP_2) | instskip(NEXT) | instid1(VALU_DEP_1)
	v_add_f64 v[52:53], v[52:53], -v[58:59]
	v_add_f64 v[48:49], v[48:49], v[52:53]
	v_add_f64 v[52:53], v[46:47], v[50:51]
	s_delay_alu instid0(VALU_DEP_2) | instskip(NEXT) | instid1(VALU_DEP_2)
	v_add_f64 v[48:49], v[54:55], v[48:49]
	v_add_f64 v[54:55], v[52:53], -v[46:47]
	s_delay_alu instid0(VALU_DEP_2) | instskip(NEXT) | instid1(VALU_DEP_2)
	v_add_f64 v[48:49], v[60:61], v[48:49]
	v_add_f64 v[50:51], v[50:51], -v[54:55]
	s_delay_alu instid0(VALU_DEP_2) | instskip(NEXT) | instid1(VALU_DEP_1)
	v_mul_f64 v[46:47], v[46:47], v[48:49]
	v_add_f64 v[46:47], v[50:51], v[46:47]
	s_delay_alu instid0(VALU_DEP_1) | instskip(NEXT) | instid1(VALU_DEP_1)
	v_add_f64 v[48:49], v[52:53], v[46:47]
	v_add_f64 v[50:51], v[48:49], -v[52:53]
	v_ldexp_f64 v[48:49], v[48:49], -2
	s_delay_alu instid0(VALU_DEP_2) | instskip(NEXT) | instid1(VALU_DEP_2)
	v_add_f64 v[46:47], v[46:47], -v[50:51]
	v_add_f64 v[52:53], v[44:45], -v[48:49]
	s_delay_alu instid0(VALU_DEP_1) | instskip(NEXT) | instid1(VALU_DEP_1)
	v_add_f64 v[44:45], v[44:45], -v[52:53]
	v_add_f64 v[44:45], v[44:45], -v[48:49]
	s_delay_alu instid0(VALU_DEP_1) | instskip(SKIP_1) | instid1(VALU_DEP_1)
	v_add_f64 v[25:26], v[25:26], v[44:45]
	v_ldexp_f64 v[44:45], v[46:47], -2
	v_add_f64 v[25:26], v[25:26], -v[44:45]
	s_delay_alu instid0(VALU_DEP_1) | instskip(NEXT) | instid1(VALU_DEP_1)
	v_add_f64 v[25:26], v[52:53], v[25:26]
	v_cndmask_b32_e32 v16, 0x7ff00000, v26, vcc_lo
	s_delay_alu instid0(VALU_DEP_2) | instskip(NEXT) | instid1(VALU_DEP_2)
	v_cndmask_b32_e32 v25, 0, v25, vcc_lo
	v_cndmask_b32_e64 v16, v16, v23, s4
	s_delay_alu instid0(VALU_DEP_2) | instskip(NEXT) | instid1(VALU_DEP_2)
	v_cndmask_b32_e64 v14, v25, v14, s4
	v_bfi_b32 v15, 0x7fffffff, v16, v15
	s_delay_alu instid0(VALU_DEP_1) | instskip(NEXT) | instid1(VALU_DEP_1)
	v_fma_f64 v[25:26], v[14:15], v[14:15], 1.0
	v_cmp_gt_f64_e32 vcc_lo, 0x10000000, v[25:26]
	v_cndmask_b32_e64 v16, 0, 1, vcc_lo
	s_delay_alu instid0(VALU_DEP_1) | instskip(NEXT) | instid1(VALU_DEP_1)
	v_lshlrev_b32_e32 v16, 8, v16
	v_ldexp_f64 v[25:26], v[25:26], v16
	v_and_b32_e32 v23, 0x80000000, v17
	v_mul_f64 v[16:17], v[19:20], v[19:20]
	s_delay_alu instid0(VALU_DEP_3) | instskip(SKIP_3) | instid1(VALU_DEP_1)
	v_rsq_f64_e32 v[44:45], v[25:26]
	s_waitcnt_depctr 0xfff
	v_mul_f64 v[46:47], v[25:26], v[44:45]
	v_mul_f64 v[44:45], v[44:45], 0.5
	v_fma_f64 v[48:49], -v[44:45], v[46:47], 0.5
	s_delay_alu instid0(VALU_DEP_1) | instskip(SKIP_1) | instid1(VALU_DEP_2)
	v_fma_f64 v[46:47], v[46:47], v[48:49], v[46:47]
	v_fma_f64 v[44:45], v[44:45], v[48:49], v[44:45]
	v_fma_f64 v[48:49], -v[46:47], v[46:47], v[25:26]
	s_delay_alu instid0(VALU_DEP_1) | instskip(NEXT) | instid1(VALU_DEP_1)
	v_fma_f64 v[46:47], v[48:49], v[44:45], v[46:47]
	v_fma_f64 v[48:49], -v[46:47], v[46:47], v[25:26]
	s_delay_alu instid0(VALU_DEP_1) | instskip(SKIP_2) | instid1(VALU_DEP_1)
	v_fma_f64 v[44:45], v[48:49], v[44:45], v[46:47]
	v_add_f64 v[46:47], v[21:22], v[21:22]
	v_fma_f64 v[48:49], v[19:20], v[19:20], -v[16:17]
	v_fma_f64 v[46:47], v[19:20], v[46:47], v[48:49]
	s_delay_alu instid0(VALU_DEP_1) | instskip(NEXT) | instid1(VALU_DEP_1)
	v_add_f64 v[16:17], v[16:17], v[46:47]
	v_fma_f64 v[46:47], v[16:17], s[52:53], s[50:51]
	s_mov_b32 s50, 0x90a8aae0
	s_mov_b32 s51, 0x3f17746f
	s_delay_alu instid0(VALU_DEP_1) | instid1(SALU_CYCLE_1)
	v_fma_f64 v[46:47], v[16:17], v[46:47], s[50:51]
	s_mov_b32 s50, 0xa6fbf144
	s_mov_b32 s51, 0xbefbb44d
	s_delay_alu instid0(VALU_DEP_1) | instid1(SALU_CYCLE_1)
	;; [unrolled: 4-line block ×10, first 2 shown]
	v_fma_f64 v[46:47], v[16:17], v[46:47], s[50:51]
	s_delay_alu instid0(VALU_DEP_1) | instskip(NEXT) | instid1(VALU_DEP_1)
	v_fma_f64 v[46:47], v[16:17], v[46:47], s[54:55]
	v_fma_f64 v[46:47], v[16:17], v[46:47], s[56:57]
	s_delay_alu instid0(VALU_DEP_1) | instskip(NEXT) | instid1(VALU_DEP_1)
	v_mul_f64 v[16:17], v[16:17], v[46:47]
	v_mul_f64 v[46:47], v[19:20], v[16:17]
	s_delay_alu instid0(VALU_DEP_1) | instskip(NEXT) | instid1(VALU_DEP_1)
	v_fma_f64 v[16:17], v[19:20], v[16:17], -v[46:47]
	v_add_f64 v[16:17], v[21:22], v[16:17]
	v_add_f64 v[21:22], v[19:20], v[46:47]
	s_delay_alu instid0(VALU_DEP_1) | instskip(NEXT) | instid1(VALU_DEP_1)
	v_add_f64 v[19:20], v[21:22], -v[19:20]
	v_add_f64 v[19:20], v[46:47], -v[19:20]
	s_delay_alu instid0(VALU_DEP_1) | instskip(NEXT) | instid1(VALU_DEP_1)
	v_add_f64 v[16:17], v[16:17], v[19:20]
	v_add_f64 v[19:20], v[21:22], v[16:17]
	s_delay_alu instid0(VALU_DEP_1) | instskip(SKIP_1) | instid1(VALU_DEP_1)
	v_rcp_f64_e32 v[46:47], v[19:20]
	v_add_f64 v[21:22], v[19:20], -v[21:22]
	v_add_f64 v[16:17], v[16:17], -v[21:22]
	s_waitcnt_depctr 0xfff
	v_fma_f64 v[48:49], -v[19:20], v[46:47], 1.0
	s_delay_alu instid0(VALU_DEP_1) | instskip(NEXT) | instid1(VALU_DEP_1)
	v_fma_f64 v[46:47], v[48:49], v[46:47], v[46:47]
	v_fma_f64 v[48:49], -v[19:20], v[46:47], 1.0
	s_delay_alu instid0(VALU_DEP_1) | instskip(NEXT) | instid1(VALU_DEP_1)
	v_fma_f64 v[46:47], v[48:49], v[46:47], v[46:47]
	v_mul_f64 v[21:22], v[19:20], v[46:47]
	s_delay_alu instid0(VALU_DEP_1) | instskip(NEXT) | instid1(VALU_DEP_1)
	v_fma_f64 v[48:49], v[46:47], v[19:20], -v[21:22]
	v_fma_f64 v[16:17], v[46:47], v[16:17], v[48:49]
	s_delay_alu instid0(VALU_DEP_1) | instskip(NEXT) | instid1(VALU_DEP_1)
	v_add_f64 v[48:49], v[21:22], v[16:17]
	v_add_f64 v[21:22], v[48:49], -v[21:22]
	s_delay_alu instid0(VALU_DEP_1) | instskip(SKIP_1) | instid1(VALU_DEP_1)
	v_add_f64 v[16:17], v[21:22], -v[16:17]
	v_add_f64 v[21:22], -v[48:49], 1.0
	v_add_f64 v[50:51], -v[21:22], 1.0
	s_delay_alu instid0(VALU_DEP_1) | instskip(NEXT) | instid1(VALU_DEP_1)
	v_add_f64 v[48:49], v[50:51], -v[48:49]
	v_add_f64 v[16:17], v[16:17], v[48:49]
	s_delay_alu instid0(VALU_DEP_1) | instskip(SKIP_1) | instid1(VALU_DEP_1)
	v_add_f64 v[16:17], v[21:22], v[16:17]
	v_and_b32_e32 v21, 1, v24
	v_cmp_eq_u32_e64 s4, 0, v21
	s_delay_alu instid0(VALU_DEP_3) | instskip(NEXT) | instid1(VALU_DEP_1)
	v_mul_f64 v[16:17], v[46:47], v[16:17]
	v_add_f64 v[16:17], v[46:47], v[16:17]
	s_delay_alu instid0(VALU_DEP_1) | instskip(NEXT) | instid1(VALU_DEP_2)
	v_xor_b32_e32 v17, 0x80000000, v17
	v_cndmask_b32_e64 v16, v16, v19, s4
	s_delay_alu instid0(VALU_DEP_2) | instskip(SKIP_2) | instid1(VALU_DEP_2)
	v_cndmask_b32_e64 v17, v17, v20, s4
	v_cndmask_b32_e64 v20, 0, 0xffffff80, vcc_lo
	v_cmp_class_f64_e64 vcc_lo, v[25:26], 0x260
	v_ldexp_f64 v[19:20], v[44:45], v20
	s_delay_alu instid0(VALU_DEP_1) | instskip(SKIP_1) | instid1(VALU_DEP_3)
	v_cndmask_b32_e32 v20, v20, v26, vcc_lo
	v_xor_b32_e32 v17, v17, v23
	v_cndmask_b32_e32 v19, v19, v25, vcc_lo
	s_delay_alu instid0(VALU_DEP_2) | instskip(NEXT) | instid1(VALU_DEP_1)
	v_fma_f64 v[21:22], v[16:17], v[16:17], 1.0
	v_mul_f64 v[23:24], v[14:15], v[21:22]
	s_delay_alu instid0(VALU_DEP_3) | instskip(NEXT) | instid1(VALU_DEP_2)
	v_mul_f64 v[19:20], v[19:20], v[21:22]
	v_fma_f64 v[21:22], v[14:15], v[23:24], 1.0
	s_delay_alu instid0(VALU_DEP_2) | instskip(NEXT) | instid1(VALU_DEP_1)
	v_mul_f64 v[14:15], v[14:15], v[19:20]
	v_div_scale_f64 v[19:20], null, v[21:22], v[21:22], v[14:15]
	s_delay_alu instid0(VALU_DEP_1) | instskip(SKIP_2) | instid1(VALU_DEP_1)
	v_rcp_f64_e32 v[23:24], v[19:20]
	s_waitcnt_depctr 0xfff
	v_fma_f64 v[25:26], -v[19:20], v[23:24], 1.0
	v_fma_f64 v[23:24], v[23:24], v[25:26], v[23:24]
	s_delay_alu instid0(VALU_DEP_1) | instskip(NEXT) | instid1(VALU_DEP_1)
	v_fma_f64 v[25:26], -v[19:20], v[23:24], 1.0
	v_fma_f64 v[23:24], v[23:24], v[25:26], v[23:24]
	v_div_scale_f64 v[25:26], vcc_lo, v[14:15], v[21:22], v[14:15]
	s_delay_alu instid0(VALU_DEP_1) | instskip(NEXT) | instid1(VALU_DEP_1)
	v_mul_f64 v[44:45], v[25:26], v[23:24]
	v_fma_f64 v[19:20], -v[19:20], v[44:45], v[25:26]
	s_delay_alu instid0(VALU_DEP_1) | instskip(SKIP_1) | instid1(VALU_DEP_2)
	v_div_fmas_f64 v[19:20], v[19:20], v[23:24], v[44:45]
	v_div_scale_f64 v[23:24], null, v[21:22], v[21:22], v[16:17]
	v_div_fixup_f64 v[14:15], v[19:20], v[21:22], v[14:15]
	s_delay_alu instid0(VALU_DEP_2) | instskip(SKIP_2) | instid1(VALU_DEP_1)
	v_rcp_f64_e32 v[25:26], v[23:24]
	s_waitcnt_depctr 0xfff
	v_fma_f64 v[44:45], -v[23:24], v[25:26], 1.0
	v_fma_f64 v[25:26], v[25:26], v[44:45], v[25:26]
	s_delay_alu instid0(VALU_DEP_1) | instskip(NEXT) | instid1(VALU_DEP_1)
	v_fma_f64 v[44:45], -v[23:24], v[25:26], 1.0
	v_fma_f64 v[25:26], v[25:26], v[44:45], v[25:26]
	v_div_scale_f64 v[44:45], vcc_lo, v[16:17], v[21:22], v[16:17]
	s_delay_alu instid0(VALU_DEP_1) | instskip(NEXT) | instid1(VALU_DEP_1)
	v_mul_f64 v[46:47], v[44:45], v[25:26]
	v_fma_f64 v[23:24], -v[23:24], v[46:47], v[44:45]
	s_delay_alu instid0(VALU_DEP_1) | instskip(NEXT) | instid1(VALU_DEP_1)
	v_div_fmas_f64 v[23:24], v[23:24], v[25:26], v[46:47]
	v_div_fixup_f64 v[16:17], v[23:24], v[21:22], v[16:17]
.LBB156_253:                            ;   in Loop: Header=BB156_161 Depth=1
	s_and_not1_saveexec_b32 s60, s48
	s_cbranch_execz .LBB156_263
; %bb.254:                              ;   in Loop: Header=BB156_161 Depth=1
	s_delay_alu instid0(VALU_DEP_1) | instskip(NEXT) | instid1(VALU_DEP_1)
	v_cmp_ngt_f64_e64 s4, 0x41d00000, |v[16:17]|
                                        ; implicit-def: $vgpr44
                                        ; implicit-def: $vgpr20_vgpr21
                                        ; implicit-def: $vgpr22_vgpr23
	s_and_saveexec_b32 s13, s4
	s_delay_alu instid0(SALU_CYCLE_1)
	s_xor_b32 s20, exec_lo, s13
	s_cbranch_execz .LBB156_256
; %bb.255:                              ;   in Loop: Header=BB156_161 Depth=1
	v_ldexp_f64 v[19:20], |v[16:17]|, 0xffffff80
	v_cmp_le_f64_e64 vcc_lo, 0x7b000000, |v[16:17]|
	v_trig_preop_f64 v[21:22], |v[16:17]|, 0
	v_and_b32_e32 v23, 0x7fffffff, v17
	v_trig_preop_f64 v[25:26], |v[16:17]|, 1
	v_trig_preop_f64 v[46:47], |v[16:17]|, 2
	s_mov_b32 s16, s18
	s_mov_b32 s13, s21
	v_dual_cndmask_b32 v20, v23, v20 :: v_dual_cndmask_b32 v19, v16, v19
	s_delay_alu instid0(VALU_DEP_1) | instskip(NEXT) | instid1(VALU_DEP_4)
	v_mul_f64 v[23:24], v[21:22], v[19:20]
	v_mul_f64 v[44:45], v[25:26], v[19:20]
	s_delay_alu instid0(VALU_DEP_4) | instskip(NEXT) | instid1(VALU_DEP_3)
	v_mul_f64 v[48:49], v[46:47], v[19:20]
	v_fma_f64 v[21:22], v[21:22], v[19:20], -v[23:24]
	s_delay_alu instid0(VALU_DEP_3) | instskip(NEXT) | instid1(VALU_DEP_3)
	v_fma_f64 v[25:26], v[25:26], v[19:20], -v[44:45]
	v_fma_f64 v[19:20], v[46:47], v[19:20], -v[48:49]
	s_delay_alu instid0(VALU_DEP_3) | instskip(NEXT) | instid1(VALU_DEP_1)
	v_add_f64 v[46:47], v[44:45], v[21:22]
	v_add_f64 v[50:51], v[46:47], -v[44:45]
	s_delay_alu instid0(VALU_DEP_1) | instskip(SKIP_1) | instid1(VALU_DEP_1)
	v_add_f64 v[21:22], v[21:22], -v[50:51]
	v_add_f64 v[50:51], v[46:47], -v[50:51]
	;; [unrolled: 1-line block ×3, first 2 shown]
	v_add_f64 v[50:51], v[23:24], v[46:47]
	s_delay_alu instid0(VALU_DEP_2) | instskip(NEXT) | instid1(VALU_DEP_2)
	v_add_f64 v[21:22], v[21:22], v[44:45]
	v_add_f64 v[23:24], v[50:51], -v[23:24]
	v_add_f64 v[44:45], v[48:49], v[25:26]
	v_ldexp_f64 v[50:51], v[50:51], -2
	s_delay_alu instid0(VALU_DEP_3) | instskip(NEXT) | instid1(VALU_DEP_3)
	v_add_f64 v[23:24], v[46:47], -v[23:24]
	v_add_f64 v[46:47], v[44:45], -v[48:49]
	s_delay_alu instid0(VALU_DEP_3) | instskip(SKIP_1) | instid1(VALU_DEP_3)
	v_cmp_neq_f64_e64 vcc_lo, 0x7ff00000, |v[50:51]|
	v_fract_f64_e32 v[50:51], v[50:51]
	v_add_f64 v[25:26], v[25:26], -v[46:47]
	v_add_f64 v[46:47], v[44:45], -v[46:47]
	s_delay_alu instid0(VALU_DEP_3) | instskip(NEXT) | instid1(VALU_DEP_2)
	v_dual_cndmask_b32 v51, 0, v51 :: v_dual_cndmask_b32 v50, 0, v50
	v_add_f64 v[46:47], v[48:49], -v[46:47]
	v_add_f64 v[48:49], v[44:45], v[21:22]
	s_delay_alu instid0(VALU_DEP_2) | instskip(NEXT) | instid1(VALU_DEP_2)
	v_add_f64 v[25:26], v[25:26], v[46:47]
	v_add_f64 v[52:53], v[48:49], -v[44:45]
	v_add_f64 v[46:47], v[23:24], v[48:49]
	s_delay_alu instid0(VALU_DEP_2) | instskip(SKIP_1) | instid1(VALU_DEP_3)
	v_add_f64 v[21:22], v[21:22], -v[52:53]
	v_add_f64 v[52:53], v[48:49], -v[52:53]
	;; [unrolled: 1-line block ×3, first 2 shown]
	s_delay_alu instid0(VALU_DEP_2) | instskip(NEXT) | instid1(VALU_DEP_2)
	v_add_f64 v[44:45], v[44:45], -v[52:53]
	v_add_f64 v[23:24], v[48:49], -v[23:24]
	s_delay_alu instid0(VALU_DEP_2) | instskip(SKIP_1) | instid1(VALU_DEP_2)
	v_add_f64 v[21:22], v[21:22], v[44:45]
	v_ldexp_f64 v[44:45], v[50:51], 2
	v_add_f64 v[21:22], v[25:26], v[21:22]
	s_delay_alu instid0(VALU_DEP_2) | instskip(NEXT) | instid1(VALU_DEP_2)
	v_add_f64 v[50:51], v[46:47], v[44:45]
	v_add_f64 v[20:21], v[19:20], v[21:22]
	s_delay_alu instid0(VALU_DEP_2) | instskip(NEXT) | instid1(VALU_DEP_2)
	v_cmp_gt_f64_e32 vcc_lo, 0, v[50:51]
	v_add_f64 v[20:21], v[23:24], v[20:21]
	v_cndmask_b32_e64 v19, 0, 0x40100000, vcc_lo
	s_delay_alu instid0(VALU_DEP_1) | instskip(NEXT) | instid1(VALU_DEP_1)
	v_add_f64 v[25:26], v[44:45], v[18:19]
	v_add_f64 v[44:45], v[46:47], v[25:26]
	s_delay_alu instid0(VALU_DEP_1) | instskip(NEXT) | instid1(VALU_DEP_1)
	v_cvt_i32_f64_e32 v48, v[44:45]
	v_cvt_f64_i32_e32 v[44:45], v48
	s_delay_alu instid0(VALU_DEP_1) | instskip(NEXT) | instid1(VALU_DEP_1)
	v_add_f64 v[25:26], v[25:26], -v[44:45]
	v_add_f64 v[22:23], v[46:47], v[25:26]
	s_delay_alu instid0(VALU_DEP_1) | instskip(SKIP_1) | instid1(VALU_DEP_2)
	v_add_f64 v[24:25], v[22:23], -v[25:26]
	v_cmp_le_f64_e32 vcc_lo, 0.5, v[22:23]
	v_add_f64 v[24:25], v[46:47], -v[24:25]
	v_cndmask_b32_e64 v19, 0, 0x3ff00000, vcc_lo
	v_add_co_ci_u32_e32 v44, vcc_lo, 0, v48, vcc_lo
	s_delay_alu instid0(VALU_DEP_2) | instskip(NEXT) | instid1(VALU_DEP_4)
	v_add_f64 v[22:23], v[22:23], -v[18:19]
	v_add_f64 v[19:20], v[20:21], v[24:25]
	s_delay_alu instid0(VALU_DEP_1) | instskip(NEXT) | instid1(VALU_DEP_1)
	v_add_f64 v[24:25], v[22:23], v[19:20]
	v_add_f64 v[21:22], v[24:25], -v[22:23]
	s_delay_alu instid0(VALU_DEP_1) | instskip(SKIP_1) | instid1(VALU_DEP_1)
	v_add_f64 v[19:20], v[19:20], -v[21:22]
	v_mul_f64 v[22:23], v[24:25], s[16:17]
	v_fma_f64 v[26:27], v[24:25], s[16:17], -v[22:23]
	s_delay_alu instid0(VALU_DEP_1) | instskip(NEXT) | instid1(VALU_DEP_1)
	v_fma_f64 v[24:25], v[24:25], s[12:13], v[26:27]
	v_fma_f64 v[24:25], v[19:20], s[16:17], v[24:25]
	s_delay_alu instid0(VALU_DEP_1) | instskip(NEXT) | instid1(VALU_DEP_1)
	v_add_f64 v[20:21], v[22:23], v[24:25]
	v_add_f64 v[22:23], v[20:21], -v[22:23]
	s_delay_alu instid0(VALU_DEP_1)
	v_add_f64 v[22:23], v[24:25], -v[22:23]
	s_and_not1_saveexec_b32 s13, s20
	s_cbranch_execz .LBB156_258
	s_branch .LBB156_257
.LBB156_256:                            ;   in Loop: Header=BB156_161 Depth=1
	s_and_not1_saveexec_b32 s13, s20
	s_cbranch_execz .LBB156_258
.LBB156_257:                            ;   in Loop: Header=BB156_161 Depth=1
	v_mul_f64 v[19:20], |v[16:17]|, s[22:23]
	s_mov_b32 s20, s24
	s_delay_alu instid0(VALU_DEP_1) | instskip(NEXT) | instid1(VALU_DEP_1)
	v_rndne_f64_e32 v[24:25], v[19:20]
	v_fma_f64 v[19:20], v[24:25], s[18:19], |v[16:17]|
	v_mul_f64 v[21:22], v[24:25], s[24:25]
	s_delay_alu instid0(VALU_DEP_2) | instskip(NEXT) | instid1(VALU_DEP_2)
	v_fma_f64 v[44:45], v[24:25], s[24:25], v[19:20]
	v_add_f64 v[26:27], v[19:20], v[21:22]
	s_delay_alu instid0(VALU_DEP_1) | instskip(NEXT) | instid1(VALU_DEP_3)
	v_add_f64 v[19:20], v[19:20], -v[26:27]
	v_add_f64 v[26:27], v[26:27], -v[44:45]
	s_delay_alu instid0(VALU_DEP_2) | instskip(SKIP_1) | instid1(VALU_DEP_2)
	v_add_f64 v[19:20], v[19:20], v[21:22]
	v_fma_f64 v[21:22], v[24:25], s[20:21], v[21:22]
	v_add_f64 v[19:20], v[26:27], v[19:20]
	s_delay_alu instid0(VALU_DEP_1) | instskip(NEXT) | instid1(VALU_DEP_1)
	v_add_f64 v[19:20], v[19:20], -v[21:22]
	v_fma_f64 v[22:23], v[24:25], s[26:27], v[19:20]
	s_delay_alu instid0(VALU_DEP_1) | instskip(NEXT) | instid1(VALU_DEP_1)
	v_add_f64 v[20:21], v[44:45], v[22:23]
	v_add_f64 v[26:27], v[20:21], -v[44:45]
	v_cvt_i32_f64_e32 v44, v[24:25]
	s_delay_alu instid0(VALU_DEP_2)
	v_add_f64 v[22:23], v[22:23], -v[26:27]
.LBB156_258:                            ;   in Loop: Header=BB156_161 Depth=1
	s_or_b32 exec_lo, exec_lo, s13
                                        ; implicit-def: $vgpr19
                                        ; implicit-def: $vgpr24_vgpr25
                                        ; implicit-def: $vgpr26_vgpr27
	s_and_saveexec_b32 s13, s4
	s_delay_alu instid0(SALU_CYCLE_1)
	s_xor_b32 s4, exec_lo, s13
	s_cbranch_execz .LBB156_260
; %bb.259:                              ;   in Loop: Header=BB156_161 Depth=1
	v_ldexp_f64 v[24:25], |v[16:17]|, 0xffffff80
	v_cmp_le_f64_e64 vcc_lo, 0x7b000000, |v[16:17]|
	v_trig_preop_f64 v[26:27], |v[16:17]|, 0
	v_and_b32_e32 v19, 0x7fffffff, v17
	v_trig_preop_f64 v[47:48], |v[16:17]|, 1
	v_trig_preop_f64 v[51:52], |v[16:17]|, 2
	s_mov_b32 s16, s18
	s_mov_b32 s13, s21
	v_dual_cndmask_b32 v24, v16, v24 :: v_dual_cndmask_b32 v25, v19, v25
	s_delay_alu instid0(VALU_DEP_1) | instskip(NEXT) | instid1(VALU_DEP_4)
	v_mul_f64 v[45:46], v[26:27], v[24:25]
	v_mul_f64 v[49:50], v[47:48], v[24:25]
	s_delay_alu instid0(VALU_DEP_4) | instskip(NEXT) | instid1(VALU_DEP_3)
	v_mul_f64 v[53:54], v[51:52], v[24:25]
	v_fma_f64 v[26:27], v[26:27], v[24:25], -v[45:46]
	s_delay_alu instid0(VALU_DEP_3) | instskip(NEXT) | instid1(VALU_DEP_3)
	v_fma_f64 v[47:48], v[47:48], v[24:25], -v[49:50]
	v_fma_f64 v[24:25], v[51:52], v[24:25], -v[53:54]
	s_delay_alu instid0(VALU_DEP_3) | instskip(NEXT) | instid1(VALU_DEP_1)
	v_add_f64 v[51:52], v[49:50], v[26:27]
	v_add_f64 v[55:56], v[51:52], -v[49:50]
	s_delay_alu instid0(VALU_DEP_1) | instskip(SKIP_1) | instid1(VALU_DEP_1)
	v_add_f64 v[26:27], v[26:27], -v[55:56]
	v_add_f64 v[55:56], v[51:52], -v[55:56]
	;; [unrolled: 1-line block ×3, first 2 shown]
	v_add_f64 v[55:56], v[45:46], v[51:52]
	s_delay_alu instid0(VALU_DEP_2) | instskip(NEXT) | instid1(VALU_DEP_2)
	v_add_f64 v[26:27], v[26:27], v[49:50]
	v_add_f64 v[45:46], v[55:56], -v[45:46]
	v_add_f64 v[49:50], v[53:54], v[47:48]
	v_ldexp_f64 v[55:56], v[55:56], -2
	s_delay_alu instid0(VALU_DEP_3) | instskip(NEXT) | instid1(VALU_DEP_3)
	v_add_f64 v[45:46], v[51:52], -v[45:46]
	v_add_f64 v[51:52], v[49:50], -v[53:54]
	s_delay_alu instid0(VALU_DEP_3) | instskip(SKIP_1) | instid1(VALU_DEP_3)
	v_cmp_neq_f64_e64 vcc_lo, 0x7ff00000, |v[55:56]|
	v_fract_f64_e32 v[55:56], v[55:56]
	v_add_f64 v[47:48], v[47:48], -v[51:52]
	v_add_f64 v[51:52], v[49:50], -v[51:52]
	s_delay_alu instid0(VALU_DEP_3) | instskip(NEXT) | instid1(VALU_DEP_2)
	v_dual_cndmask_b32 v56, 0, v56 :: v_dual_cndmask_b32 v55, 0, v55
	v_add_f64 v[51:52], v[53:54], -v[51:52]
	v_add_f64 v[53:54], v[49:50], v[26:27]
	s_delay_alu instid0(VALU_DEP_2) | instskip(NEXT) | instid1(VALU_DEP_2)
	v_add_f64 v[47:48], v[47:48], v[51:52]
	v_add_f64 v[57:58], v[53:54], -v[49:50]
	v_add_f64 v[51:52], v[45:46], v[53:54]
	s_delay_alu instid0(VALU_DEP_2) | instskip(SKIP_1) | instid1(VALU_DEP_3)
	v_add_f64 v[26:27], v[26:27], -v[57:58]
	v_add_f64 v[57:58], v[53:54], -v[57:58]
	;; [unrolled: 1-line block ×3, first 2 shown]
	s_delay_alu instid0(VALU_DEP_2) | instskip(NEXT) | instid1(VALU_DEP_2)
	v_add_f64 v[49:50], v[49:50], -v[57:58]
	v_add_f64 v[45:46], v[53:54], -v[45:46]
	s_delay_alu instid0(VALU_DEP_2) | instskip(SKIP_1) | instid1(VALU_DEP_2)
	v_add_f64 v[26:27], v[26:27], v[49:50]
	v_ldexp_f64 v[49:50], v[55:56], 2
	v_add_f64 v[26:27], v[47:48], v[26:27]
	s_delay_alu instid0(VALU_DEP_2) | instskip(NEXT) | instid1(VALU_DEP_2)
	v_add_f64 v[55:56], v[51:52], v[49:50]
	v_add_f64 v[24:25], v[24:25], v[26:27]
	s_delay_alu instid0(VALU_DEP_2) | instskip(NEXT) | instid1(VALU_DEP_2)
	v_cmp_gt_f64_e32 vcc_lo, 0, v[55:56]
	v_add_f64 v[24:25], v[45:46], v[24:25]
	v_cndmask_b32_e64 v19, 0, 0x40100000, vcc_lo
	s_delay_alu instid0(VALU_DEP_1) | instskip(NEXT) | instid1(VALU_DEP_1)
	v_add_f64 v[26:27], v[49:50], v[18:19]
	v_add_f64 v[47:48], v[51:52], v[26:27]
	s_delay_alu instid0(VALU_DEP_1) | instskip(NEXT) | instid1(VALU_DEP_1)
	v_cvt_i32_f64_e32 v49, v[47:48]
	v_cvt_f64_i32_e32 v[47:48], v49
	s_delay_alu instid0(VALU_DEP_1) | instskip(NEXT) | instid1(VALU_DEP_1)
	v_add_f64 v[26:27], v[26:27], -v[47:48]
	v_add_f64 v[45:46], v[51:52], v[26:27]
	s_delay_alu instid0(VALU_DEP_1) | instskip(SKIP_1) | instid1(VALU_DEP_2)
	v_add_f64 v[26:27], v[45:46], -v[26:27]
	v_cmp_le_f64_e32 vcc_lo, 0.5, v[45:46]
	v_add_f64 v[26:27], v[51:52], -v[26:27]
	v_cndmask_b32_e64 v19, 0, 0x3ff00000, vcc_lo
	s_delay_alu instid0(VALU_DEP_1) | instskip(SKIP_1) | instid1(VALU_DEP_4)
	v_add_f64 v[45:46], v[45:46], -v[18:19]
	v_add_co_ci_u32_e32 v19, vcc_lo, 0, v49, vcc_lo
	v_add_f64 v[24:25], v[24:25], v[26:27]
	s_delay_alu instid0(VALU_DEP_1) | instskip(NEXT) | instid1(VALU_DEP_1)
	v_add_f64 v[26:27], v[45:46], v[24:25]
	v_add_f64 v[45:46], v[26:27], -v[45:46]
	s_delay_alu instid0(VALU_DEP_1) | instskip(SKIP_1) | instid1(VALU_DEP_1)
	v_add_f64 v[24:25], v[24:25], -v[45:46]
	v_mul_f64 v[45:46], v[26:27], s[16:17]
	v_fma_f64 v[47:48], v[26:27], s[16:17], -v[45:46]
	s_delay_alu instid0(VALU_DEP_1) | instskip(NEXT) | instid1(VALU_DEP_1)
	v_fma_f64 v[26:27], v[26:27], s[12:13], v[47:48]
	v_fma_f64 v[26:27], v[24:25], s[16:17], v[26:27]
	s_delay_alu instid0(VALU_DEP_1) | instskip(NEXT) | instid1(VALU_DEP_1)
	v_add_f64 v[24:25], v[45:46], v[26:27]
	v_add_f64 v[45:46], v[24:25], -v[45:46]
	s_delay_alu instid0(VALU_DEP_1)
	v_add_f64 v[26:27], v[26:27], -v[45:46]
	s_and_not1_saveexec_b32 s4, s4
	s_cbranch_execnz .LBB156_261
	s_branch .LBB156_262
.LBB156_260:                            ;   in Loop: Header=BB156_161 Depth=1
	s_and_not1_saveexec_b32 s4, s4
	s_cbranch_execz .LBB156_262
.LBB156_261:                            ;   in Loop: Header=BB156_161 Depth=1
	v_mul_f64 v[24:25], |v[16:17]|, s[22:23]
	s_mov_b32 s20, s24
	s_delay_alu instid0(VALU_DEP_1) | instskip(NEXT) | instid1(VALU_DEP_1)
	v_rndne_f64_e32 v[45:46], v[24:25]
	v_fma_f64 v[24:25], v[45:46], s[18:19], |v[16:17]|
	v_mul_f64 v[26:27], v[45:46], s[24:25]
	v_cvt_i32_f64_e32 v19, v[45:46]
	s_delay_alu instid0(VALU_DEP_3) | instskip(NEXT) | instid1(VALU_DEP_3)
	v_fma_f64 v[49:50], v[45:46], s[24:25], v[24:25]
	v_add_f64 v[47:48], v[24:25], v[26:27]
	s_delay_alu instid0(VALU_DEP_1) | instskip(NEXT) | instid1(VALU_DEP_3)
	v_add_f64 v[24:25], v[24:25], -v[47:48]
	v_add_f64 v[47:48], v[47:48], -v[49:50]
	s_delay_alu instid0(VALU_DEP_2) | instskip(SKIP_1) | instid1(VALU_DEP_2)
	v_add_f64 v[24:25], v[24:25], v[26:27]
	v_fma_f64 v[26:27], v[45:46], s[20:21], v[26:27]
	v_add_f64 v[24:25], v[47:48], v[24:25]
	s_delay_alu instid0(VALU_DEP_1) | instskip(NEXT) | instid1(VALU_DEP_1)
	v_add_f64 v[24:25], v[24:25], -v[26:27]
	v_fma_f64 v[26:27], v[45:46], s[26:27], v[24:25]
	s_delay_alu instid0(VALU_DEP_1) | instskip(NEXT) | instid1(VALU_DEP_1)
	v_add_f64 v[24:25], v[49:50], v[26:27]
	v_add_f64 v[47:48], v[24:25], -v[49:50]
	s_delay_alu instid0(VALU_DEP_1)
	v_add_f64 v[26:27], v[26:27], -v[47:48]
.LBB156_262:                            ;   in Loop: Header=BB156_161 Depth=1
	s_or_b32 exec_lo, exec_lo, s4
	v_mul_f64 v[45:46], v[20:21], v[20:21]
	s_delay_alu instid0(VALU_DEP_2) | instskip(NEXT) | instid1(VALU_DEP_3)
	v_mul_f64 v[53:54], v[22:23], 0.5
	v_mul_f64 v[59:60], v[26:27], 0.5
	s_mov_b32 s4, s42
	s_mov_b32 s87, s41
	;; [unrolled: 1-line block ×3, first 2 shown]
	s_delay_alu instid0(VALU_DEP_3) | instskip(SKIP_1) | instid1(VALU_DEP_2)
	v_mul_f64 v[47:48], v[45:46], 0.5
	v_mul_f64 v[55:56], v[20:21], -v[45:46]
	v_add_f64 v[49:50], -v[47:48], 1.0
	s_delay_alu instid0(VALU_DEP_1) | instskip(NEXT) | instid1(VALU_DEP_1)
	v_add_f64 v[51:52], -v[49:50], 1.0
	v_add_f64 v[47:48], v[51:52], -v[47:48]
	v_fma_f64 v[51:52], v[45:46], s[34:35], s[30:31]
	s_delay_alu instid0(VALU_DEP_2) | instskip(NEXT) | instid1(VALU_DEP_2)
	v_fma_f64 v[47:48], v[20:21], -v[22:23], v[47:48]
	v_fma_f64 v[51:52], v[45:46], v[51:52], s[36:37]
	s_delay_alu instid0(VALU_DEP_1) | instskip(NEXT) | instid1(VALU_DEP_1)
	v_fma_f64 v[51:52], v[45:46], v[51:52], s[38:39]
	v_fma_f64 v[51:52], v[45:46], v[51:52], s[40:41]
	s_delay_alu instid0(VALU_DEP_1) | instskip(NEXT) | instid1(VALU_DEP_1)
	v_fma_f64 v[51:52], v[55:56], v[51:52], v[53:54]
	v_fma_f64 v[22:23], v[45:46], v[51:52], -v[22:23]
	v_fma_f64 v[51:52], v[45:46], s[98:99], s[96:97]
	s_delay_alu instid0(VALU_DEP_2) | instskip(NEXT) | instid1(VALU_DEP_2)
	v_fma_f64 v[22:23], v[55:56], s[4:5], v[22:23]
	v_fma_f64 v[51:52], v[45:46], v[51:52], s[100:101]
	s_delay_alu instid0(VALU_DEP_2) | instskip(NEXT) | instid1(VALU_DEP_2)
	v_add_f64 v[20:21], v[20:21], -v[22:23]
	v_fma_f64 v[51:52], v[45:46], v[51:52], s[102:103]
	s_delay_alu instid0(VALU_DEP_1) | instskip(NEXT) | instid1(VALU_DEP_1)
	v_fma_f64 v[51:52], v[45:46], v[51:52], s[28:29]
	v_fma_f64 v[51:52], v[45:46], v[51:52], s[42:43]
	v_mul_f64 v[45:46], v[45:46], v[45:46]
	s_delay_alu instid0(VALU_DEP_1) | instskip(SKIP_1) | instid1(VALU_DEP_2)
	v_fma_f64 v[45:46], v[45:46], v[51:52], v[47:48]
	v_mul_f64 v[47:48], v[24:25], v[24:25]
	v_add_f64 v[45:46], v[49:50], v[45:46]
	s_delay_alu instid0(VALU_DEP_2) | instskip(SKIP_2) | instid1(VALU_DEP_1)
	v_mul_f64 v[51:52], v[47:48], 0.5
	v_mul_f64 v[61:62], v[24:25], -v[47:48]
	v_and_b32_e32 v16, 1, v44
	v_cmp_eq_u32_e32 vcc_lo, 0, v16
	v_cndmask_b32_e32 v21, v46, v21, vcc_lo
	v_add_f64 v[53:54], -v[51:52], 1.0
	v_cndmask_b32_e32 v16, v45, v20, vcc_lo
	s_delay_alu instid0(VALU_DEP_2) | instskip(NEXT) | instid1(VALU_DEP_1)
	v_add_f64 v[57:58], -v[53:54], 1.0
	v_add_f64 v[51:52], v[57:58], -v[51:52]
	v_fma_f64 v[57:58], v[47:48], s[34:35], s[30:31]
	s_delay_alu instid0(VALU_DEP_2) | instskip(NEXT) | instid1(VALU_DEP_2)
	v_fma_f64 v[51:52], v[24:25], -v[26:27], v[51:52]
	v_fma_f64 v[57:58], v[47:48], v[57:58], s[36:37]
	s_delay_alu instid0(VALU_DEP_1) | instskip(NEXT) | instid1(VALU_DEP_1)
	v_fma_f64 v[57:58], v[47:48], v[57:58], s[38:39]
	v_fma_f64 v[57:58], v[47:48], v[57:58], s[40:41]
	s_delay_alu instid0(VALU_DEP_1) | instskip(NEXT) | instid1(VALU_DEP_1)
	v_fma_f64 v[57:58], v[61:62], v[57:58], v[59:60]
	v_fma_f64 v[26:27], v[47:48], v[57:58], -v[26:27]
	v_fma_f64 v[57:58], v[47:48], s[98:99], s[96:97]
	s_delay_alu instid0(VALU_DEP_2) | instskip(NEXT) | instid1(VALU_DEP_2)
	v_fma_f64 v[26:27], v[61:62], s[4:5], v[26:27]
	v_fma_f64 v[57:58], v[47:48], v[57:58], s[100:101]
	s_delay_alu instid0(VALU_DEP_2) | instskip(NEXT) | instid1(VALU_DEP_2)
	v_add_f64 v[22:23], v[24:25], -v[26:27]
	v_fma_f64 v[57:58], v[47:48], v[57:58], s[102:103]
	s_delay_alu instid0(VALU_DEP_1) | instskip(NEXT) | instid1(VALU_DEP_1)
	v_fma_f64 v[57:58], v[47:48], v[57:58], s[28:29]
	v_fma_f64 v[57:58], v[47:48], v[57:58], s[42:43]
	v_mul_f64 v[47:48], v[47:48], v[47:48]
	s_delay_alu instid0(VALU_DEP_1) | instskip(NEXT) | instid1(VALU_DEP_1)
	v_fma_f64 v[47:48], v[47:48], v[57:58], v[51:52]
	v_add_f64 v[24:25], v[53:54], v[47:48]
	v_lshlrev_b32_e32 v20, 30, v44
	s_delay_alu instid0(VALU_DEP_1) | instskip(SKIP_2) | instid1(VALU_DEP_3)
	v_xor_b32_e32 v17, v20, v17
	v_and_b32_e32 v20, 1, v19
	v_lshlrev_b32_e32 v19, 30, v19
	v_and_b32_e32 v17, 0x80000000, v17
	s_delay_alu instid0(VALU_DEP_3) | instskip(NEXT) | instid1(VALU_DEP_3)
	v_cmp_eq_u32_e32 vcc_lo, 0, v20
	v_and_b32_e32 v19, 0x80000000, v19
	s_delay_alu instid0(VALU_DEP_3) | instskip(SKIP_1) | instid1(VALU_DEP_2)
	v_xor_b32_e32 v17, v21, v17
	v_xor_b32_e32 v21, 0x80000000, v23
	v_mul_f64 v[16:17], v[16:17], 4.0
	v_cndmask_b32_e32 v20, v22, v24, vcc_lo
	v_mul_f64 v[22:23], |v[14:15]|, s[66:67]
	s_delay_alu instid0(VALU_DEP_4) | instskip(SKIP_1) | instid1(VALU_DEP_2)
	v_cndmask_b32_e32 v21, v21, v25, vcc_lo
	v_cmp_nlt_f64_e64 vcc_lo, 0x4090cc00, |v[14:15]|
	v_xor_b32_e32 v21, v21, v19
	s_delay_alu instid0(VALU_DEP_1) | instskip(SKIP_1) | instid1(VALU_DEP_1)
	v_mul_f64 v[16:17], v[16:17], v[20:21]
	v_rndne_f64_e32 v[22:23], v[22:23]
	v_fma_f64 v[24:25], v[22:23], s[58:59], -|v[14:15]|
	v_cvt_i32_f64_e32 v19, v[22:23]
	s_delay_alu instid0(VALU_DEP_2) | instskip(NEXT) | instid1(VALU_DEP_1)
	v_fma_f64 v[24:25], v[22:23], s[62:63], v[24:25]
	v_fma_f64 v[26:27], v[24:25], s[76:77], s[74:75]
	s_delay_alu instid0(VALU_DEP_1) | instskip(NEXT) | instid1(VALU_DEP_1)
	v_fma_f64 v[26:27], v[24:25], v[26:27], s[78:79]
	v_fma_f64 v[26:27], v[24:25], v[26:27], s[80:81]
	s_delay_alu instid0(VALU_DEP_1) | instskip(NEXT) | instid1(VALU_DEP_1)
	;; [unrolled: 3-line block ×5, first 2 shown]
	v_fma_f64 v[26:27], v[24:25], v[26:27], 1.0
	v_fma_f64 v[24:25], v[24:25], v[26:27], 1.0
	s_delay_alu instid0(VALU_DEP_1) | instskip(NEXT) | instid1(VALU_DEP_1)
	v_ldexp_f64 v[22:23], v[24:25], v19
	v_dual_cndmask_b32 v20, 0, v23 :: v_dual_cndmask_b32 v19, 0, v22
	s_delay_alu instid0(VALU_DEP_1) | instskip(NEXT) | instid1(VALU_DEP_1)
	v_mul_f64 v[16:17], v[19:20], v[16:17]
	v_mul_f64 v[16:17], v[19:20], v[16:17]
	v_bfi_b32 v19, 0x7fffffff, s49, v15
	s_delay_alu instid0(VALU_DEP_1)
	v_dual_mov_b32 v14, v18 :: v_dual_mov_b32 v15, v19
.LBB156_263:                            ;   in Loop: Header=BB156_161 Depth=1
	s_or_b32 exec_lo, exec_lo, s60
.LBB156_264:                            ;   in Loop: Header=BB156_161 Depth=1
	s_and_not1_saveexec_b32 s4, s47
; %bb.265:                              ;   in Loop: Header=BB156_161 Depth=1
	s_delay_alu instid0(VALU_DEP_1) | instskip(NEXT) | instid1(VALU_DEP_1)
	v_add_f64 v[16:17], v[16:17], -v[16:17]
	v_dual_mov_b32 v14, v16 :: v_dual_mov_b32 v15, v17
; %bb.266:                              ;   in Loop: Header=BB156_161 Depth=1
	s_or_b32 exec_lo, exec_lo, s4
.LBB156_267:                            ;   in Loop: Header=BB156_161 Depth=1
	s_and_not1_saveexec_b32 s45, s45
	s_cbranch_execz .LBB156_283
; %bb.268:                              ;   in Loop: Header=BB156_161 Depth=1
	s_delay_alu instid0(VALU_DEP_1) | instskip(SKIP_1) | instid1(VALU_DEP_1)
	v_and_or_b32 v19, 0xfffff, v15, v14
	s_mov_b32 s4, exec_lo
	v_cmpx_ne_u32_e32 0, v19
	s_xor_b32 s4, exec_lo, s4
; %bb.269:                              ;   in Loop: Header=BB156_161 Depth=1
	v_mul_f64 v[19:20], v[16:17], v[14:15]
	v_cmp_eq_f64_e32 vcc_lo, 0, v[16:17]
	s_delay_alu instid0(VALU_DEP_2)
	v_dual_cndmask_b32 v17, v20, v17 :: v_dual_cndmask_b32 v16, v19, v16
; %bb.270:                              ;   in Loop: Header=BB156_161 Depth=1
	s_and_not1_saveexec_b32 s47, s4
	s_cbranch_execz .LBB156_282
; %bb.271:                              ;   in Loop: Header=BB156_161 Depth=1
	s_mov_b32 s48, exec_lo
	s_delay_alu instid0(VALU_DEP_1)
	v_cmpx_neq_f64_e64 0x7ff00000, |v[16:17]|
	s_cbranch_execz .LBB156_281
; %bb.272:                              ;   in Loop: Header=BB156_161 Depth=1
	v_cmp_ngt_f64_e64 s4, 0x41d00000, |v[16:17]|
                                        ; implicit-def: $vgpr44
                                        ; implicit-def: $vgpr20_vgpr21
                                        ; implicit-def: $vgpr22_vgpr23
	s_delay_alu instid0(VALU_DEP_1) | instskip(NEXT) | instid1(SALU_CYCLE_1)
	s_and_saveexec_b32 s13, s4
	s_xor_b32 s20, exec_lo, s13
	s_cbranch_execz .LBB156_274
; %bb.273:                              ;   in Loop: Header=BB156_161 Depth=1
	v_ldexp_f64 v[19:20], |v[16:17]|, 0xffffff80
	v_cmp_le_f64_e64 vcc_lo, 0x7b000000, |v[16:17]|
	v_trig_preop_f64 v[21:22], |v[16:17]|, 0
	v_and_b32_e32 v23, 0x7fffffff, v17
	v_trig_preop_f64 v[25:26], |v[16:17]|, 1
	v_trig_preop_f64 v[46:47], |v[16:17]|, 2
	s_mov_b32 s16, s18
	s_mov_b32 s13, s21
	v_dual_cndmask_b32 v20, v23, v20 :: v_dual_cndmask_b32 v19, v16, v19
	s_delay_alu instid0(VALU_DEP_1) | instskip(NEXT) | instid1(VALU_DEP_4)
	v_mul_f64 v[23:24], v[21:22], v[19:20]
	v_mul_f64 v[44:45], v[25:26], v[19:20]
	s_delay_alu instid0(VALU_DEP_4) | instskip(NEXT) | instid1(VALU_DEP_3)
	v_mul_f64 v[48:49], v[46:47], v[19:20]
	v_fma_f64 v[21:22], v[21:22], v[19:20], -v[23:24]
	s_delay_alu instid0(VALU_DEP_3) | instskip(NEXT) | instid1(VALU_DEP_3)
	v_fma_f64 v[25:26], v[25:26], v[19:20], -v[44:45]
	v_fma_f64 v[19:20], v[46:47], v[19:20], -v[48:49]
	s_delay_alu instid0(VALU_DEP_3) | instskip(NEXT) | instid1(VALU_DEP_1)
	v_add_f64 v[46:47], v[44:45], v[21:22]
	v_add_f64 v[50:51], v[46:47], -v[44:45]
	s_delay_alu instid0(VALU_DEP_1) | instskip(SKIP_1) | instid1(VALU_DEP_1)
	v_add_f64 v[21:22], v[21:22], -v[50:51]
	v_add_f64 v[50:51], v[46:47], -v[50:51]
	;; [unrolled: 1-line block ×3, first 2 shown]
	v_add_f64 v[50:51], v[23:24], v[46:47]
	s_delay_alu instid0(VALU_DEP_2) | instskip(NEXT) | instid1(VALU_DEP_2)
	v_add_f64 v[21:22], v[21:22], v[44:45]
	v_add_f64 v[23:24], v[50:51], -v[23:24]
	v_add_f64 v[44:45], v[48:49], v[25:26]
	v_ldexp_f64 v[50:51], v[50:51], -2
	s_delay_alu instid0(VALU_DEP_3) | instskip(NEXT) | instid1(VALU_DEP_3)
	v_add_f64 v[23:24], v[46:47], -v[23:24]
	v_add_f64 v[46:47], v[44:45], -v[48:49]
	s_delay_alu instid0(VALU_DEP_3) | instskip(SKIP_1) | instid1(VALU_DEP_3)
	v_cmp_neq_f64_e64 vcc_lo, 0x7ff00000, |v[50:51]|
	v_fract_f64_e32 v[50:51], v[50:51]
	v_add_f64 v[25:26], v[25:26], -v[46:47]
	v_add_f64 v[46:47], v[44:45], -v[46:47]
	s_delay_alu instid0(VALU_DEP_3) | instskip(NEXT) | instid1(VALU_DEP_2)
	v_dual_cndmask_b32 v51, 0, v51 :: v_dual_cndmask_b32 v50, 0, v50
	v_add_f64 v[46:47], v[48:49], -v[46:47]
	v_add_f64 v[48:49], v[44:45], v[21:22]
	s_delay_alu instid0(VALU_DEP_2) | instskip(NEXT) | instid1(VALU_DEP_2)
	v_add_f64 v[25:26], v[25:26], v[46:47]
	v_add_f64 v[52:53], v[48:49], -v[44:45]
	v_add_f64 v[46:47], v[23:24], v[48:49]
	s_delay_alu instid0(VALU_DEP_2) | instskip(SKIP_1) | instid1(VALU_DEP_3)
	v_add_f64 v[21:22], v[21:22], -v[52:53]
	v_add_f64 v[52:53], v[48:49], -v[52:53]
	;; [unrolled: 1-line block ×3, first 2 shown]
	s_delay_alu instid0(VALU_DEP_2) | instskip(NEXT) | instid1(VALU_DEP_2)
	v_add_f64 v[44:45], v[44:45], -v[52:53]
	v_add_f64 v[23:24], v[48:49], -v[23:24]
	s_delay_alu instid0(VALU_DEP_2) | instskip(SKIP_1) | instid1(VALU_DEP_2)
	v_add_f64 v[21:22], v[21:22], v[44:45]
	v_ldexp_f64 v[44:45], v[50:51], 2
	v_add_f64 v[21:22], v[25:26], v[21:22]
	s_delay_alu instid0(VALU_DEP_2) | instskip(NEXT) | instid1(VALU_DEP_2)
	v_add_f64 v[50:51], v[46:47], v[44:45]
	v_add_f64 v[20:21], v[19:20], v[21:22]
	s_delay_alu instid0(VALU_DEP_2) | instskip(NEXT) | instid1(VALU_DEP_2)
	v_cmp_gt_f64_e32 vcc_lo, 0, v[50:51]
	v_add_f64 v[20:21], v[23:24], v[20:21]
	v_cndmask_b32_e64 v19, 0, 0x40100000, vcc_lo
	s_delay_alu instid0(VALU_DEP_1) | instskip(NEXT) | instid1(VALU_DEP_1)
	v_add_f64 v[25:26], v[44:45], v[18:19]
	v_add_f64 v[44:45], v[46:47], v[25:26]
	s_delay_alu instid0(VALU_DEP_1) | instskip(NEXT) | instid1(VALU_DEP_1)
	v_cvt_i32_f64_e32 v48, v[44:45]
	v_cvt_f64_i32_e32 v[44:45], v48
	s_delay_alu instid0(VALU_DEP_1) | instskip(NEXT) | instid1(VALU_DEP_1)
	v_add_f64 v[25:26], v[25:26], -v[44:45]
	v_add_f64 v[22:23], v[46:47], v[25:26]
	s_delay_alu instid0(VALU_DEP_1) | instskip(SKIP_1) | instid1(VALU_DEP_2)
	v_add_f64 v[24:25], v[22:23], -v[25:26]
	v_cmp_le_f64_e32 vcc_lo, 0.5, v[22:23]
	v_add_f64 v[24:25], v[46:47], -v[24:25]
	v_cndmask_b32_e64 v19, 0, 0x3ff00000, vcc_lo
	v_add_co_ci_u32_e32 v44, vcc_lo, 0, v48, vcc_lo
	s_delay_alu instid0(VALU_DEP_2) | instskip(NEXT) | instid1(VALU_DEP_4)
	v_add_f64 v[22:23], v[22:23], -v[18:19]
	v_add_f64 v[19:20], v[20:21], v[24:25]
	s_delay_alu instid0(VALU_DEP_1) | instskip(NEXT) | instid1(VALU_DEP_1)
	v_add_f64 v[24:25], v[22:23], v[19:20]
	v_add_f64 v[21:22], v[24:25], -v[22:23]
	s_delay_alu instid0(VALU_DEP_1) | instskip(SKIP_1) | instid1(VALU_DEP_1)
	v_add_f64 v[19:20], v[19:20], -v[21:22]
	v_mul_f64 v[22:23], v[24:25], s[16:17]
	v_fma_f64 v[26:27], v[24:25], s[16:17], -v[22:23]
	s_delay_alu instid0(VALU_DEP_1) | instskip(NEXT) | instid1(VALU_DEP_1)
	v_fma_f64 v[24:25], v[24:25], s[12:13], v[26:27]
	v_fma_f64 v[24:25], v[19:20], s[16:17], v[24:25]
	s_delay_alu instid0(VALU_DEP_1) | instskip(NEXT) | instid1(VALU_DEP_1)
	v_add_f64 v[20:21], v[22:23], v[24:25]
	v_add_f64 v[22:23], v[20:21], -v[22:23]
	s_delay_alu instid0(VALU_DEP_1)
	v_add_f64 v[22:23], v[24:25], -v[22:23]
	s_and_not1_saveexec_b32 s13, s20
	s_cbranch_execz .LBB156_276
	s_branch .LBB156_275
.LBB156_274:                            ;   in Loop: Header=BB156_161 Depth=1
	s_and_not1_saveexec_b32 s13, s20
	s_cbranch_execz .LBB156_276
.LBB156_275:                            ;   in Loop: Header=BB156_161 Depth=1
	v_mul_f64 v[19:20], |v[16:17]|, s[22:23]
	s_mov_b32 s20, s24
	s_delay_alu instid0(VALU_DEP_1) | instskip(NEXT) | instid1(VALU_DEP_1)
	v_rndne_f64_e32 v[24:25], v[19:20]
	v_fma_f64 v[19:20], v[24:25], s[18:19], |v[16:17]|
	v_mul_f64 v[21:22], v[24:25], s[24:25]
	s_delay_alu instid0(VALU_DEP_2) | instskip(NEXT) | instid1(VALU_DEP_2)
	v_fma_f64 v[44:45], v[24:25], s[24:25], v[19:20]
	v_add_f64 v[26:27], v[19:20], v[21:22]
	s_delay_alu instid0(VALU_DEP_1) | instskip(NEXT) | instid1(VALU_DEP_3)
	v_add_f64 v[19:20], v[19:20], -v[26:27]
	v_add_f64 v[26:27], v[26:27], -v[44:45]
	s_delay_alu instid0(VALU_DEP_2) | instskip(SKIP_1) | instid1(VALU_DEP_2)
	v_add_f64 v[19:20], v[19:20], v[21:22]
	v_fma_f64 v[21:22], v[24:25], s[20:21], v[21:22]
	v_add_f64 v[19:20], v[26:27], v[19:20]
	s_delay_alu instid0(VALU_DEP_1) | instskip(NEXT) | instid1(VALU_DEP_1)
	v_add_f64 v[19:20], v[19:20], -v[21:22]
	v_fma_f64 v[22:23], v[24:25], s[26:27], v[19:20]
	s_delay_alu instid0(VALU_DEP_1) | instskip(NEXT) | instid1(VALU_DEP_1)
	v_add_f64 v[20:21], v[44:45], v[22:23]
	v_add_f64 v[26:27], v[20:21], -v[44:45]
	v_cvt_i32_f64_e32 v44, v[24:25]
	s_delay_alu instid0(VALU_DEP_2)
	v_add_f64 v[22:23], v[22:23], -v[26:27]
.LBB156_276:                            ;   in Loop: Header=BB156_161 Depth=1
	s_or_b32 exec_lo, exec_lo, s13
                                        ; implicit-def: $vgpr19
                                        ; implicit-def: $vgpr24_vgpr25
                                        ; implicit-def: $vgpr26_vgpr27
	s_and_saveexec_b32 s13, s4
	s_delay_alu instid0(SALU_CYCLE_1)
	s_xor_b32 s4, exec_lo, s13
	s_cbranch_execz .LBB156_278
; %bb.277:                              ;   in Loop: Header=BB156_161 Depth=1
	v_ldexp_f64 v[24:25], |v[16:17]|, 0xffffff80
	v_cmp_le_f64_e64 vcc_lo, 0x7b000000, |v[16:17]|
	v_trig_preop_f64 v[26:27], |v[16:17]|, 0
	v_and_b32_e32 v19, 0x7fffffff, v17
	v_trig_preop_f64 v[47:48], |v[16:17]|, 1
	v_trig_preop_f64 v[51:52], |v[16:17]|, 2
	s_mov_b32 s16, s18
	s_mov_b32 s13, s21
	v_dual_cndmask_b32 v24, v16, v24 :: v_dual_cndmask_b32 v25, v19, v25
	s_delay_alu instid0(VALU_DEP_1) | instskip(NEXT) | instid1(VALU_DEP_4)
	v_mul_f64 v[45:46], v[26:27], v[24:25]
	v_mul_f64 v[49:50], v[47:48], v[24:25]
	s_delay_alu instid0(VALU_DEP_4) | instskip(NEXT) | instid1(VALU_DEP_3)
	v_mul_f64 v[53:54], v[51:52], v[24:25]
	v_fma_f64 v[26:27], v[26:27], v[24:25], -v[45:46]
	s_delay_alu instid0(VALU_DEP_3) | instskip(NEXT) | instid1(VALU_DEP_3)
	v_fma_f64 v[47:48], v[47:48], v[24:25], -v[49:50]
	v_fma_f64 v[24:25], v[51:52], v[24:25], -v[53:54]
	s_delay_alu instid0(VALU_DEP_3) | instskip(NEXT) | instid1(VALU_DEP_1)
	v_add_f64 v[51:52], v[49:50], v[26:27]
	v_add_f64 v[55:56], v[51:52], -v[49:50]
	s_delay_alu instid0(VALU_DEP_1) | instskip(SKIP_1) | instid1(VALU_DEP_1)
	v_add_f64 v[26:27], v[26:27], -v[55:56]
	v_add_f64 v[55:56], v[51:52], -v[55:56]
	;; [unrolled: 1-line block ×3, first 2 shown]
	v_add_f64 v[55:56], v[45:46], v[51:52]
	s_delay_alu instid0(VALU_DEP_2) | instskip(NEXT) | instid1(VALU_DEP_2)
	v_add_f64 v[26:27], v[26:27], v[49:50]
	v_add_f64 v[45:46], v[55:56], -v[45:46]
	v_add_f64 v[49:50], v[53:54], v[47:48]
	v_ldexp_f64 v[55:56], v[55:56], -2
	s_delay_alu instid0(VALU_DEP_3) | instskip(NEXT) | instid1(VALU_DEP_3)
	v_add_f64 v[45:46], v[51:52], -v[45:46]
	v_add_f64 v[51:52], v[49:50], -v[53:54]
	s_delay_alu instid0(VALU_DEP_3) | instskip(SKIP_1) | instid1(VALU_DEP_3)
	v_cmp_neq_f64_e64 vcc_lo, 0x7ff00000, |v[55:56]|
	v_fract_f64_e32 v[55:56], v[55:56]
	v_add_f64 v[47:48], v[47:48], -v[51:52]
	v_add_f64 v[51:52], v[49:50], -v[51:52]
	s_delay_alu instid0(VALU_DEP_3) | instskip(NEXT) | instid1(VALU_DEP_2)
	v_dual_cndmask_b32 v56, 0, v56 :: v_dual_cndmask_b32 v55, 0, v55
	v_add_f64 v[51:52], v[53:54], -v[51:52]
	v_add_f64 v[53:54], v[49:50], v[26:27]
	s_delay_alu instid0(VALU_DEP_2) | instskip(NEXT) | instid1(VALU_DEP_2)
	v_add_f64 v[47:48], v[47:48], v[51:52]
	v_add_f64 v[57:58], v[53:54], -v[49:50]
	v_add_f64 v[51:52], v[45:46], v[53:54]
	s_delay_alu instid0(VALU_DEP_2) | instskip(SKIP_1) | instid1(VALU_DEP_3)
	v_add_f64 v[26:27], v[26:27], -v[57:58]
	v_add_f64 v[57:58], v[53:54], -v[57:58]
	;; [unrolled: 1-line block ×3, first 2 shown]
	s_delay_alu instid0(VALU_DEP_2) | instskip(NEXT) | instid1(VALU_DEP_2)
	v_add_f64 v[49:50], v[49:50], -v[57:58]
	v_add_f64 v[45:46], v[53:54], -v[45:46]
	s_delay_alu instid0(VALU_DEP_2) | instskip(SKIP_1) | instid1(VALU_DEP_2)
	v_add_f64 v[26:27], v[26:27], v[49:50]
	v_ldexp_f64 v[49:50], v[55:56], 2
	v_add_f64 v[26:27], v[47:48], v[26:27]
	s_delay_alu instid0(VALU_DEP_2) | instskip(NEXT) | instid1(VALU_DEP_2)
	v_add_f64 v[55:56], v[51:52], v[49:50]
	v_add_f64 v[24:25], v[24:25], v[26:27]
	s_delay_alu instid0(VALU_DEP_2) | instskip(NEXT) | instid1(VALU_DEP_2)
	v_cmp_gt_f64_e32 vcc_lo, 0, v[55:56]
	v_add_f64 v[24:25], v[45:46], v[24:25]
	v_cndmask_b32_e64 v19, 0, 0x40100000, vcc_lo
	s_delay_alu instid0(VALU_DEP_1) | instskip(NEXT) | instid1(VALU_DEP_1)
	v_add_f64 v[26:27], v[49:50], v[18:19]
	v_add_f64 v[47:48], v[51:52], v[26:27]
	s_delay_alu instid0(VALU_DEP_1) | instskip(NEXT) | instid1(VALU_DEP_1)
	v_cvt_i32_f64_e32 v49, v[47:48]
	v_cvt_f64_i32_e32 v[47:48], v49
	s_delay_alu instid0(VALU_DEP_1) | instskip(NEXT) | instid1(VALU_DEP_1)
	v_add_f64 v[26:27], v[26:27], -v[47:48]
	v_add_f64 v[45:46], v[51:52], v[26:27]
	s_delay_alu instid0(VALU_DEP_1) | instskip(SKIP_1) | instid1(VALU_DEP_2)
	v_add_f64 v[26:27], v[45:46], -v[26:27]
	v_cmp_le_f64_e32 vcc_lo, 0.5, v[45:46]
	v_add_f64 v[26:27], v[51:52], -v[26:27]
	v_cndmask_b32_e64 v19, 0, 0x3ff00000, vcc_lo
	s_delay_alu instid0(VALU_DEP_1) | instskip(SKIP_1) | instid1(VALU_DEP_4)
	v_add_f64 v[45:46], v[45:46], -v[18:19]
	v_add_co_ci_u32_e32 v19, vcc_lo, 0, v49, vcc_lo
	v_add_f64 v[24:25], v[24:25], v[26:27]
	s_delay_alu instid0(VALU_DEP_1) | instskip(NEXT) | instid1(VALU_DEP_1)
	v_add_f64 v[26:27], v[45:46], v[24:25]
	v_add_f64 v[45:46], v[26:27], -v[45:46]
	s_delay_alu instid0(VALU_DEP_1) | instskip(SKIP_1) | instid1(VALU_DEP_1)
	v_add_f64 v[24:25], v[24:25], -v[45:46]
	v_mul_f64 v[45:46], v[26:27], s[16:17]
	v_fma_f64 v[47:48], v[26:27], s[16:17], -v[45:46]
	s_delay_alu instid0(VALU_DEP_1) | instskip(NEXT) | instid1(VALU_DEP_1)
	v_fma_f64 v[26:27], v[26:27], s[12:13], v[47:48]
	v_fma_f64 v[26:27], v[24:25], s[16:17], v[26:27]
	s_delay_alu instid0(VALU_DEP_1) | instskip(NEXT) | instid1(VALU_DEP_1)
	v_add_f64 v[24:25], v[45:46], v[26:27]
	v_add_f64 v[45:46], v[24:25], -v[45:46]
	s_delay_alu instid0(VALU_DEP_1)
	v_add_f64 v[26:27], v[26:27], -v[45:46]
	s_and_not1_saveexec_b32 s4, s4
	s_cbranch_execnz .LBB156_279
	s_branch .LBB156_280
.LBB156_278:                            ;   in Loop: Header=BB156_161 Depth=1
	s_and_not1_saveexec_b32 s4, s4
	s_cbranch_execz .LBB156_280
.LBB156_279:                            ;   in Loop: Header=BB156_161 Depth=1
	v_mul_f64 v[24:25], |v[16:17]|, s[22:23]
	s_mov_b32 s20, s24
	s_delay_alu instid0(VALU_DEP_1) | instskip(NEXT) | instid1(VALU_DEP_1)
	v_rndne_f64_e32 v[45:46], v[24:25]
	v_fma_f64 v[24:25], v[45:46], s[18:19], |v[16:17]|
	v_mul_f64 v[26:27], v[45:46], s[24:25]
	v_cvt_i32_f64_e32 v19, v[45:46]
	s_delay_alu instid0(VALU_DEP_3) | instskip(NEXT) | instid1(VALU_DEP_3)
	v_fma_f64 v[49:50], v[45:46], s[24:25], v[24:25]
	v_add_f64 v[47:48], v[24:25], v[26:27]
	s_delay_alu instid0(VALU_DEP_1) | instskip(NEXT) | instid1(VALU_DEP_3)
	v_add_f64 v[24:25], v[24:25], -v[47:48]
	v_add_f64 v[47:48], v[47:48], -v[49:50]
	s_delay_alu instid0(VALU_DEP_2) | instskip(SKIP_1) | instid1(VALU_DEP_2)
	v_add_f64 v[24:25], v[24:25], v[26:27]
	v_fma_f64 v[26:27], v[45:46], s[20:21], v[26:27]
	v_add_f64 v[24:25], v[47:48], v[24:25]
	s_delay_alu instid0(VALU_DEP_1) | instskip(NEXT) | instid1(VALU_DEP_1)
	v_add_f64 v[24:25], v[24:25], -v[26:27]
	v_fma_f64 v[26:27], v[45:46], s[26:27], v[24:25]
	s_delay_alu instid0(VALU_DEP_1) | instskip(NEXT) | instid1(VALU_DEP_1)
	v_add_f64 v[24:25], v[49:50], v[26:27]
	v_add_f64 v[47:48], v[24:25], -v[49:50]
	s_delay_alu instid0(VALU_DEP_1)
	v_add_f64 v[26:27], v[26:27], -v[47:48]
.LBB156_280:                            ;   in Loop: Header=BB156_161 Depth=1
	s_or_b32 exec_lo, exec_lo, s4
	v_mul_f64 v[45:46], v[20:21], v[20:21]
	s_delay_alu instid0(VALU_DEP_2) | instskip(NEXT) | instid1(VALU_DEP_3)
	v_mul_f64 v[53:54], v[22:23], 0.5
	v_mul_f64 v[59:60], v[26:27], 0.5
	s_mov_b32 s4, s42
	s_delay_alu instid0(VALU_DEP_3) | instskip(SKIP_1) | instid1(VALU_DEP_2)
	v_mul_f64 v[47:48], v[45:46], 0.5
	v_mul_f64 v[55:56], v[20:21], -v[45:46]
	v_add_f64 v[49:50], -v[47:48], 1.0
	s_delay_alu instid0(VALU_DEP_1) | instskip(NEXT) | instid1(VALU_DEP_1)
	v_add_f64 v[51:52], -v[49:50], 1.0
	v_add_f64 v[47:48], v[51:52], -v[47:48]
	v_fma_f64 v[51:52], v[45:46], s[34:35], s[30:31]
	s_delay_alu instid0(VALU_DEP_2) | instskip(NEXT) | instid1(VALU_DEP_2)
	v_fma_f64 v[47:48], v[20:21], -v[22:23], v[47:48]
	v_fma_f64 v[51:52], v[45:46], v[51:52], s[36:37]
	s_delay_alu instid0(VALU_DEP_1) | instskip(NEXT) | instid1(VALU_DEP_1)
	v_fma_f64 v[51:52], v[45:46], v[51:52], s[38:39]
	v_fma_f64 v[51:52], v[45:46], v[51:52], s[40:41]
	s_delay_alu instid0(VALU_DEP_1) | instskip(NEXT) | instid1(VALU_DEP_1)
	v_fma_f64 v[51:52], v[55:56], v[51:52], v[53:54]
	v_fma_f64 v[22:23], v[45:46], v[51:52], -v[22:23]
	v_fma_f64 v[51:52], v[45:46], s[98:99], s[96:97]
	s_delay_alu instid0(VALU_DEP_2) | instskip(NEXT) | instid1(VALU_DEP_2)
	v_fma_f64 v[22:23], v[55:56], s[4:5], v[22:23]
	v_fma_f64 v[51:52], v[45:46], v[51:52], s[100:101]
	s_delay_alu instid0(VALU_DEP_2) | instskip(NEXT) | instid1(VALU_DEP_2)
	v_add_f64 v[20:21], v[20:21], -v[22:23]
	v_fma_f64 v[51:52], v[45:46], v[51:52], s[102:103]
	v_and_b32_e32 v22, 1, v44
	s_delay_alu instid0(VALU_DEP_1) | instskip(NEXT) | instid1(VALU_DEP_3)
	v_cmp_eq_u32_e32 vcc_lo, 0, v22
	v_fma_f64 v[51:52], v[45:46], v[51:52], s[28:29]
	s_delay_alu instid0(VALU_DEP_1) | instskip(SKIP_1) | instid1(VALU_DEP_1)
	v_fma_f64 v[51:52], v[45:46], v[51:52], s[42:43]
	v_mul_f64 v[45:46], v[45:46], v[45:46]
	v_fma_f64 v[45:46], v[45:46], v[51:52], v[47:48]
	v_mul_f64 v[47:48], v[24:25], v[24:25]
	s_delay_alu instid0(VALU_DEP_2) | instskip(NEXT) | instid1(VALU_DEP_2)
	v_add_f64 v[45:46], v[49:50], v[45:46]
	v_mul_f64 v[51:52], v[47:48], 0.5
	v_mul_f64 v[61:62], v[24:25], -v[47:48]
	s_delay_alu instid0(VALU_DEP_3) | instskip(NEXT) | instid1(VALU_DEP_3)
	v_dual_cndmask_b32 v45, v45, v20 :: v_dual_cndmask_b32 v46, v46, v21
	v_add_f64 v[53:54], -v[51:52], 1.0
	v_cmp_class_f64_e64 vcc_lo, v[16:17], 0x1f8
	v_lshlrev_b32_e32 v16, 30, v44
	s_delay_alu instid0(VALU_DEP_1) | instskip(NEXT) | instid1(VALU_DEP_1)
	v_xor_b32_e32 v16, v16, v17
	v_and_b32_e32 v16, 0x80000000, v16
	v_add_f64 v[57:58], -v[53:54], 1.0
	s_delay_alu instid0(VALU_DEP_1) | instskip(SKIP_1) | instid1(VALU_DEP_2)
	v_add_f64 v[51:52], v[57:58], -v[51:52]
	v_fma_f64 v[57:58], v[47:48], s[34:35], s[30:31]
	v_fma_f64 v[51:52], v[24:25], -v[26:27], v[51:52]
	s_delay_alu instid0(VALU_DEP_2) | instskip(NEXT) | instid1(VALU_DEP_1)
	v_fma_f64 v[57:58], v[47:48], v[57:58], s[36:37]
	v_fma_f64 v[57:58], v[47:48], v[57:58], s[38:39]
	s_delay_alu instid0(VALU_DEP_1) | instskip(NEXT) | instid1(VALU_DEP_1)
	v_fma_f64 v[57:58], v[47:48], v[57:58], s[40:41]
	v_fma_f64 v[57:58], v[61:62], v[57:58], v[59:60]
	s_delay_alu instid0(VALU_DEP_1) | instskip(SKIP_1) | instid1(VALU_DEP_2)
	v_fma_f64 v[26:27], v[47:48], v[57:58], -v[26:27]
	v_fma_f64 v[57:58], v[47:48], s[98:99], s[96:97]
	v_fma_f64 v[20:21], v[61:62], s[4:5], v[26:27]
	s_delay_alu instid0(VALU_DEP_2) | instskip(NEXT) | instid1(VALU_DEP_2)
	v_fma_f64 v[57:58], v[47:48], v[57:58], s[100:101]
	v_add_f64 v[20:21], v[24:25], -v[20:21]
	s_delay_alu instid0(VALU_DEP_2) | instskip(SKIP_2) | instid1(VALU_DEP_2)
	v_fma_f64 v[57:58], v[47:48], v[57:58], s[102:103]
	v_and_b32_e32 v24, 1, v19
	v_lshlrev_b32_e32 v19, 30, v19
	v_cmp_eq_u32_e64 s4, 0, v24
	v_xor_b32_e32 v17, 0x80000000, v21
	v_fma_f64 v[57:58], v[47:48], v[57:58], s[28:29]
	v_xor_b32_e32 v21, v46, v16
	v_dual_cndmask_b32 v16, 0, v45 :: v_dual_and_b32 v19, 0x80000000, v19
	s_delay_alu instid0(VALU_DEP_3) | instskip(SKIP_1) | instid1(VALU_DEP_1)
	v_fma_f64 v[57:58], v[47:48], v[57:58], s[42:43]
	v_mul_f64 v[47:48], v[47:48], v[47:48]
	v_fma_f64 v[47:48], v[47:48], v[57:58], v[51:52]
	s_delay_alu instid0(VALU_DEP_1) | instskip(NEXT) | instid1(VALU_DEP_1)
	v_add_f64 v[22:23], v[53:54], v[47:48]
	v_cndmask_b32_e64 v17, v17, v23, s4
	s_delay_alu instid0(VALU_DEP_2) | instskip(NEXT) | instid1(VALU_DEP_2)
	v_cndmask_b32_e64 v20, v20, v22, s4
	v_xor_b32_e32 v22, v17, v19
	v_cndmask_b32_e32 v17, 0x7ff80000, v21, vcc_lo
	s_delay_alu instid0(VALU_DEP_3) | instskip(NEXT) | instid1(VALU_DEP_3)
	v_cndmask_b32_e32 v19, 0, v20, vcc_lo
	v_cndmask_b32_e32 v20, 0x7ff80000, v22, vcc_lo
	s_delay_alu instid0(VALU_DEP_1)
	v_mul_f64 v[16:17], v[16:17], v[19:20]
.LBB156_281:                            ;   in Loop: Header=BB156_161 Depth=1
	s_or_b32 exec_lo, exec_lo, s48
	s_delay_alu instid0(VALU_DEP_1) | instskip(SKIP_2) | instid1(VALU_DEP_3)
	v_bfi_b32 v19, 0x7fffffff, 0, v17
	v_add_co_u32 v14, vcc_lo, v14, 0
	v_add_co_ci_u32_e32 v15, vcc_lo, -2.0, v15, vcc_lo
	v_dual_mov_b32 v16, v18 :: v_dual_mov_b32 v17, v19
.LBB156_282:                            ;   in Loop: Header=BB156_161 Depth=1
	s_or_b32 exec_lo, exec_lo, s47
.LBB156_283:                            ;   in Loop: Header=BB156_161 Depth=1
	s_delay_alu instid0(SALU_CYCLE_1) | instskip(SKIP_2) | instid1(VALU_DEP_1)
	s_or_b32 exec_lo, exec_lo, s45
	v_and_b32_e32 v23, 0x7fffffff, v11
	s_mov_b32 s4, exec_lo
	v_cmpx_gt_u32_e32 0x7ff00000, v23
	s_xor_b32 s45, exec_lo, s4
	s_cbranch_execz .LBB156_294
; %bb.284:                              ;   in Loop: Header=BB156_161 Depth=1
	v_cmp_class_f64_e64 s4, v[12:13], 0x1f8
	s_delay_alu instid0(VALU_DEP_1) | instskip(NEXT) | instid1(SALU_CYCLE_1)
	s_and_saveexec_b32 s13, s4
	s_xor_b32 s47, exec_lo, s13
	s_cbranch_execz .LBB156_313
; %bb.285:                              ;   in Loop: Header=BB156_161 Depth=1
	s_mov_b32 s4, exec_lo
	v_cmpx_gt_u32_e32 0x40360000, v23
	s_xor_b32 s48, exec_lo, s4
	s_cbranch_execz .LBB156_291
; %bb.286:                              ;   in Loop: Header=BB156_161 Depth=1
	v_cmp_ngt_f64_e64 s4, 0x41d00000, |v[12:13]|
                                        ; implicit-def: $vgpr24
                                        ; implicit-def: $vgpr19_vgpr20
                                        ; implicit-def: $vgpr21_vgpr22
	s_delay_alu instid0(VALU_DEP_1) | instskip(NEXT) | instid1(SALU_CYCLE_1)
	s_and_saveexec_b32 s13, s4
	s_xor_b32 s4, exec_lo, s13
	s_cbranch_execz .LBB156_288
; %bb.287:                              ;   in Loop: Header=BB156_161 Depth=1
	v_ldexp_f64 v[19:20], |v[12:13]|, 0xffffff80
	v_cmp_le_f64_e64 vcc_lo, 0x7b000000, |v[12:13]|
	v_trig_preop_f64 v[21:22], |v[12:13]|, 0
	v_and_b32_e32 v24, 0x7fffffff, v13
	v_trig_preop_f64 v[26:27], |v[12:13]|, 1
	v_trig_preop_f64 v[46:47], |v[12:13]|, 2
	s_mov_b32 s16, s18
	s_mov_b32 s13, s21
	v_cndmask_b32_e32 v19, v12, v19, vcc_lo
	v_cndmask_b32_e32 v20, v24, v20, vcc_lo
	s_delay_alu instid0(VALU_DEP_1) | instskip(SKIP_2) | instid1(VALU_DEP_3)
	v_mul_f64 v[24:25], v[21:22], v[19:20]
	v_mul_f64 v[44:45], v[26:27], v[19:20]
	;; [unrolled: 1-line block ×3, first 2 shown]
	v_fma_f64 v[21:22], v[21:22], v[19:20], -v[24:25]
	s_delay_alu instid0(VALU_DEP_3) | instskip(NEXT) | instid1(VALU_DEP_3)
	v_fma_f64 v[26:27], v[26:27], v[19:20], -v[44:45]
	v_fma_f64 v[19:20], v[46:47], v[19:20], -v[48:49]
	s_delay_alu instid0(VALU_DEP_3) | instskip(NEXT) | instid1(VALU_DEP_1)
	v_add_f64 v[46:47], v[44:45], v[21:22]
	v_add_f64 v[50:51], v[46:47], -v[44:45]
	s_delay_alu instid0(VALU_DEP_1) | instskip(SKIP_1) | instid1(VALU_DEP_1)
	v_add_f64 v[21:22], v[21:22], -v[50:51]
	v_add_f64 v[50:51], v[46:47], -v[50:51]
	v_add_f64 v[44:45], v[44:45], -v[50:51]
	v_add_f64 v[50:51], v[24:25], v[46:47]
	s_delay_alu instid0(VALU_DEP_2) | instskip(NEXT) | instid1(VALU_DEP_2)
	v_add_f64 v[21:22], v[21:22], v[44:45]
	v_add_f64 v[24:25], v[50:51], -v[24:25]
	v_add_f64 v[44:45], v[48:49], v[26:27]
	v_ldexp_f64 v[50:51], v[50:51], -2
	s_delay_alu instid0(VALU_DEP_3) | instskip(NEXT) | instid1(VALU_DEP_3)
	v_add_f64 v[24:25], v[46:47], -v[24:25]
	v_add_f64 v[46:47], v[44:45], -v[48:49]
	s_delay_alu instid0(VALU_DEP_3) | instskip(SKIP_1) | instid1(VALU_DEP_3)
	v_cmp_neq_f64_e64 vcc_lo, 0x7ff00000, |v[50:51]|
	v_fract_f64_e32 v[50:51], v[50:51]
	v_add_f64 v[26:27], v[26:27], -v[46:47]
	v_add_f64 v[46:47], v[44:45], -v[46:47]
	s_delay_alu instid0(VALU_DEP_3) | instskip(NEXT) | instid1(VALU_DEP_2)
	v_dual_cndmask_b32 v51, 0, v51 :: v_dual_cndmask_b32 v50, 0, v50
	v_add_f64 v[46:47], v[48:49], -v[46:47]
	v_add_f64 v[48:49], v[44:45], v[21:22]
	s_delay_alu instid0(VALU_DEP_2) | instskip(NEXT) | instid1(VALU_DEP_2)
	v_add_f64 v[26:27], v[26:27], v[46:47]
	v_add_f64 v[52:53], v[48:49], -v[44:45]
	v_add_f64 v[46:47], v[24:25], v[48:49]
	s_delay_alu instid0(VALU_DEP_2) | instskip(SKIP_1) | instid1(VALU_DEP_3)
	v_add_f64 v[21:22], v[21:22], -v[52:53]
	v_add_f64 v[52:53], v[48:49], -v[52:53]
	;; [unrolled: 1-line block ×3, first 2 shown]
	s_delay_alu instid0(VALU_DEP_2) | instskip(NEXT) | instid1(VALU_DEP_2)
	v_add_f64 v[44:45], v[44:45], -v[52:53]
	v_add_f64 v[24:25], v[48:49], -v[24:25]
	s_delay_alu instid0(VALU_DEP_2) | instskip(SKIP_1) | instid1(VALU_DEP_2)
	v_add_f64 v[21:22], v[21:22], v[44:45]
	v_ldexp_f64 v[44:45], v[50:51], 2
	v_add_f64 v[21:22], v[26:27], v[21:22]
	s_delay_alu instid0(VALU_DEP_2) | instskip(NEXT) | instid1(VALU_DEP_2)
	v_add_f64 v[50:51], v[46:47], v[44:45]
	v_add_f64 v[20:21], v[19:20], v[21:22]
	s_delay_alu instid0(VALU_DEP_2) | instskip(NEXT) | instid1(VALU_DEP_2)
	v_cmp_gt_f64_e32 vcc_lo, 0, v[50:51]
	v_add_f64 v[20:21], v[24:25], v[20:21]
	v_cndmask_b32_e64 v19, 0, 0x40100000, vcc_lo
	s_delay_alu instid0(VALU_DEP_1) | instskip(NEXT) | instid1(VALU_DEP_1)
	v_add_f64 v[26:27], v[44:45], v[18:19]
	v_add_f64 v[44:45], v[46:47], v[26:27]
	s_delay_alu instid0(VALU_DEP_1) | instskip(NEXT) | instid1(VALU_DEP_1)
	v_cvt_i32_f64_e32 v48, v[44:45]
	v_cvt_f64_i32_e32 v[44:45], v48
	s_delay_alu instid0(VALU_DEP_1) | instskip(NEXT) | instid1(VALU_DEP_1)
	v_add_f64 v[26:27], v[26:27], -v[44:45]
	v_add_f64 v[24:25], v[46:47], v[26:27]
	s_delay_alu instid0(VALU_DEP_1) | instskip(SKIP_1) | instid1(VALU_DEP_2)
	v_add_f64 v[26:27], v[24:25], -v[26:27]
	v_cmp_le_f64_e32 vcc_lo, 0.5, v[24:25]
	v_add_f64 v[26:27], v[46:47], -v[26:27]
	v_cndmask_b32_e64 v19, 0, 0x3ff00000, vcc_lo
	s_delay_alu instid0(VALU_DEP_1) | instskip(NEXT) | instid1(VALU_DEP_3)
	v_add_f64 v[24:25], v[24:25], -v[18:19]
	v_add_f64 v[19:20], v[20:21], v[26:27]
	s_delay_alu instid0(VALU_DEP_1) | instskip(NEXT) | instid1(VALU_DEP_1)
	v_add_f64 v[21:22], v[24:25], v[19:20]
	v_add_f64 v[24:25], v[21:22], -v[24:25]
	s_delay_alu instid0(VALU_DEP_1) | instskip(SKIP_1) | instid1(VALU_DEP_1)
	v_add_f64 v[19:20], v[19:20], -v[24:25]
	v_mul_f64 v[24:25], v[21:22], s[16:17]
	v_fma_f64 v[26:27], v[21:22], s[16:17], -v[24:25]
	s_delay_alu instid0(VALU_DEP_1) | instskip(NEXT) | instid1(VALU_DEP_1)
	v_fma_f64 v[21:22], v[21:22], s[12:13], v[26:27]
	v_fma_f64 v[21:22], v[19:20], s[16:17], v[21:22]
	s_delay_alu instid0(VALU_DEP_1) | instskip(NEXT) | instid1(VALU_DEP_1)
	v_add_f64 v[19:20], v[24:25], v[21:22]
	v_add_f64 v[24:25], v[19:20], -v[24:25]
	s_delay_alu instid0(VALU_DEP_1)
	v_add_f64 v[21:22], v[21:22], -v[24:25]
	v_add_co_ci_u32_e32 v24, vcc_lo, 0, v48, vcc_lo
.LBB156_288:                            ;   in Loop: Header=BB156_161 Depth=1
	s_and_not1_saveexec_b32 s4, s4
	s_cbranch_execz .LBB156_290
; %bb.289:                              ;   in Loop: Header=BB156_161 Depth=1
	v_mul_f64 v[19:20], |v[12:13]|, s[22:23]
	s_mov_b32 s20, s24
	s_delay_alu instid0(VALU_DEP_1) | instskip(NEXT) | instid1(VALU_DEP_1)
	v_rndne_f64_e32 v[24:25], v[19:20]
	v_fma_f64 v[19:20], v[24:25], s[18:19], |v[12:13]|
	v_mul_f64 v[21:22], v[24:25], s[24:25]
	s_delay_alu instid0(VALU_DEP_2) | instskip(NEXT) | instid1(VALU_DEP_2)
	v_fma_f64 v[44:45], v[24:25], s[24:25], v[19:20]
	v_add_f64 v[26:27], v[19:20], v[21:22]
	s_delay_alu instid0(VALU_DEP_1) | instskip(NEXT) | instid1(VALU_DEP_3)
	v_add_f64 v[19:20], v[19:20], -v[26:27]
	v_add_f64 v[26:27], v[26:27], -v[44:45]
	s_delay_alu instid0(VALU_DEP_2) | instskip(SKIP_1) | instid1(VALU_DEP_2)
	v_add_f64 v[19:20], v[19:20], v[21:22]
	v_fma_f64 v[21:22], v[24:25], s[20:21], v[21:22]
	v_add_f64 v[19:20], v[26:27], v[19:20]
	s_delay_alu instid0(VALU_DEP_1) | instskip(NEXT) | instid1(VALU_DEP_1)
	v_add_f64 v[19:20], v[19:20], -v[21:22]
	v_fma_f64 v[21:22], v[24:25], s[26:27], v[19:20]
	v_cvt_i32_f64_e32 v24, v[24:25]
	s_delay_alu instid0(VALU_DEP_2) | instskip(NEXT) | instid1(VALU_DEP_1)
	v_add_f64 v[19:20], v[44:45], v[21:22]
	v_add_f64 v[26:27], v[19:20], -v[44:45]
	s_delay_alu instid0(VALU_DEP_1)
	v_add_f64 v[21:22], v[21:22], -v[26:27]
.LBB156_290:                            ;   in Loop: Header=BB156_161 Depth=1
	s_or_b32 exec_lo, exec_lo, s4
	v_add_f64 v[25:26], |v[10:11]|, s[58:59]
	s_mov_b32 s60, s58
	s_mov_b32 s64, s66
	;; [unrolled: 1-line block ×5, first 2 shown]
	v_cmp_nge_f64_e64 vcc_lo, |v[10:11]|, s[94:95]
	v_cmp_gt_f64_e64 s4, 0x3e400000, |v[10:11]|
	s_mov_b32 s50, 0xa9a29f71
	s_mov_b32 s52, 0xc751c08c
	;; [unrolled: 1-line block ×4, first 2 shown]
	s_delay_alu instid0(VALU_DEP_3) | instskip(NEXT) | instid1(VALU_DEP_1)
	v_add_f64 v[44:45], v[25:26], -|v[10:11]|
	v_add_f64 v[46:47], v[44:45], -v[25:26]
	v_add_f64 v[44:45], v[44:45], s[60:61]
	s_delay_alu instid0(VALU_DEP_2) | instskip(NEXT) | instid1(VALU_DEP_1)
	v_add_f64 v[46:47], |v[10:11]|, v[46:47]
	v_add_f64 v[44:45], v[46:47], -v[44:45]
	s_delay_alu instid0(VALU_DEP_1) | instskip(NEXT) | instid1(VALU_DEP_1)
	v_add_f64 v[44:45], v[44:45], s[62:63]
	v_add_f64 v[46:47], v[25:26], v[44:45]
	s_delay_alu instid0(VALU_DEP_1) | instskip(NEXT) | instid1(VALU_DEP_1)
	v_add_f64 v[25:26], v[25:26], -v[46:47]
	v_add_f64 v[25:26], v[44:45], v[25:26]
	v_mul_f64 v[44:45], v[46:47], s[64:65]
	s_delay_alu instid0(VALU_DEP_1) | instskip(NEXT) | instid1(VALU_DEP_1)
	v_rndne_f64_e32 v[44:45], v[44:45]
	v_fma_f64 v[46:47], v[44:45], s[68:69], v[46:47]
	v_cvt_i32_f64_e32 v12, v[44:45]
	s_delay_alu instid0(VALU_DEP_2) | instskip(NEXT) | instid1(VALU_DEP_1)
	v_add_f64 v[48:49], v[25:26], v[46:47]
	v_add_f64 v[46:47], v[46:47], -v[48:49]
	s_delay_alu instid0(VALU_DEP_1) | instskip(SKIP_1) | instid1(VALU_DEP_1)
	v_add_f64 v[25:26], v[25:26], v[46:47]
	v_mul_f64 v[46:47], v[44:45], s[70:71]
	v_add_f64 v[50:51], v[48:49], v[46:47]
	s_delay_alu instid0(VALU_DEP_1) | instskip(NEXT) | instid1(VALU_DEP_1)
	v_add_f64 v[48:49], v[48:49], -v[50:51]
	v_add_f64 v[46:47], v[48:49], v[46:47]
	s_delay_alu instid0(VALU_DEP_1) | instskip(NEXT) | instid1(VALU_DEP_1)
	v_add_f64 v[25:26], v[25:26], v[46:47]
	v_add_f64 v[46:47], v[50:51], v[25:26]
	s_delay_alu instid0(VALU_DEP_1) | instskip(NEXT) | instid1(VALU_DEP_1)
	v_add_f64 v[48:49], v[50:51], -v[46:47]
	v_add_f64 v[25:26], v[25:26], v[48:49]
	v_mul_f64 v[48:49], v[44:45], s[72:73]
	s_delay_alu instid0(VALU_DEP_1) | instskip(NEXT) | instid1(VALU_DEP_1)
	v_add_f64 v[50:51], v[46:47], v[48:49]
	v_add_f64 v[46:47], v[46:47], -v[50:51]
	s_delay_alu instid0(VALU_DEP_1) | instskip(NEXT) | instid1(VALU_DEP_1)
	v_add_f64 v[46:47], v[46:47], v[48:49]
	v_add_f64 v[25:26], v[25:26], v[46:47]
	s_delay_alu instid0(VALU_DEP_1) | instskip(NEXT) | instid1(VALU_DEP_1)
	v_add_f64 v[46:47], v[50:51], v[25:26]
	v_add_f64 v[48:49], v[50:51], -v[46:47]
	s_delay_alu instid0(VALU_DEP_1) | instskip(SKIP_1) | instid1(VALU_DEP_2)
	v_add_f64 v[25:26], v[25:26], v[48:49]
	v_mul_f64 v[48:49], v[46:47], v[46:47]
	v_add_f64 v[52:53], v[25:26], v[25:26]
	s_delay_alu instid0(VALU_DEP_2) | instskip(NEXT) | instid1(VALU_DEP_1)
	v_fma_f64 v[50:51], v[46:47], v[46:47], -v[48:49]
	v_fma_f64 v[50:51], v[46:47], v[52:53], v[50:51]
	s_delay_alu instid0(VALU_DEP_1) | instskip(NEXT) | instid1(VALU_DEP_1)
	v_add_f64 v[52:53], v[48:49], v[50:51]
	v_add_f64 v[48:49], v[52:53], -v[48:49]
	s_delay_alu instid0(VALU_DEP_1) | instskip(SKIP_1) | instid1(VALU_DEP_1)
	v_add_f64 v[48:49], v[50:51], -v[48:49]
	v_fma_f64 v[50:51], v[46:47], s[76:77], s[74:75]
	v_fma_f64 v[50:51], v[46:47], v[50:51], s[78:79]
	s_delay_alu instid0(VALU_DEP_1) | instskip(NEXT) | instid1(VALU_DEP_1)
	v_fma_f64 v[50:51], v[46:47], v[50:51], s[80:81]
	v_fma_f64 v[50:51], v[46:47], v[50:51], s[82:83]
	s_delay_alu instid0(VALU_DEP_1) | instskip(NEXT) | instid1(VALU_DEP_1)
	;; [unrolled: 3-line block ×4, first 2 shown]
	v_fma_f64 v[50:51], v[46:47], v[50:51], s[92:93]
	v_mul_f64 v[54:55], v[52:53], v[50:51]
	s_delay_alu instid0(VALU_DEP_1) | instskip(NEXT) | instid1(VALU_DEP_1)
	v_fma_f64 v[52:53], v[52:53], v[50:51], -v[54:55]
	v_fma_f64 v[48:49], v[48:49], v[50:51], v[52:53]
	s_delay_alu instid0(VALU_DEP_1) | instskip(NEXT) | instid1(VALU_DEP_1)
	v_add_f64 v[50:51], v[54:55], v[48:49]
	v_add_f64 v[52:53], v[50:51], -v[54:55]
	s_delay_alu instid0(VALU_DEP_1) | instskip(SKIP_1) | instid1(VALU_DEP_2)
	v_add_f64 v[48:49], v[48:49], -v[52:53]
	v_add_f64 v[52:53], v[46:47], v[50:51]
	v_add_f64 v[25:26], v[25:26], v[48:49]
	s_delay_alu instid0(VALU_DEP_2) | instskip(NEXT) | instid1(VALU_DEP_1)
	v_add_f64 v[46:47], v[52:53], -v[46:47]
	v_add_f64 v[46:47], v[50:51], -v[46:47]
	s_delay_alu instid0(VALU_DEP_1) | instskip(NEXT) | instid1(VALU_DEP_1)
	v_add_f64 v[25:26], v[25:26], v[46:47]
	v_add_f64 v[46:47], v[52:53], v[25:26]
	s_delay_alu instid0(VALU_DEP_1) | instskip(NEXT) | instid1(VALU_DEP_1)
	v_add_f64 v[48:49], v[46:47], -v[52:53]
	v_add_f64 v[25:26], v[25:26], -v[48:49]
	v_add_f64 v[48:49], v[46:47], 1.0
	s_delay_alu instid0(VALU_DEP_1) | instskip(NEXT) | instid1(VALU_DEP_1)
	v_add_f64 v[50:51], v[48:49], -1.0
	v_add_f64 v[46:47], v[46:47], -v[50:51]
	s_delay_alu instid0(VALU_DEP_1) | instskip(NEXT) | instid1(VALU_DEP_1)
	v_add_f64 v[25:26], v[25:26], v[46:47]
	v_add_f64 v[44:45], v[48:49], v[25:26]
	s_delay_alu instid0(VALU_DEP_1) | instskip(SKIP_1) | instid1(VALU_DEP_2)
	v_add_f64 v[46:47], v[44:45], -v[48:49]
	v_ldexp_f64 v[44:45], v[44:45], v12
	v_add_f64 v[25:26], v[25:26], -v[46:47]
	s_delay_alu instid0(VALU_DEP_2) | instskip(NEXT) | instid1(VALU_DEP_1)
	v_rcp_f64_e32 v[48:49], v[44:45]
	v_ldexp_f64 v[25:26], v[25:26], v12
	s_waitcnt_depctr 0xfff
	v_fma_f64 v[50:51], -v[44:45], v[48:49], 1.0
	s_delay_alu instid0(VALU_DEP_1) | instskip(NEXT) | instid1(VALU_DEP_1)
	v_fma_f64 v[48:49], v[50:51], v[48:49], v[48:49]
	v_fma_f64 v[46:47], -v[44:45], v[48:49], 1.0
	s_delay_alu instid0(VALU_DEP_1) | instskip(NEXT) | instid1(VALU_DEP_1)
	v_fma_f64 v[46:47], v[46:47], v[48:49], v[48:49]
	v_mul_f64 v[48:49], v[44:45], v[46:47]
	s_delay_alu instid0(VALU_DEP_1) | instskip(NEXT) | instid1(VALU_DEP_1)
	v_fma_f64 v[50:51], v[46:47], v[44:45], -v[48:49]
	v_fma_f64 v[50:51], v[46:47], v[25:26], v[50:51]
	s_delay_alu instid0(VALU_DEP_1) | instskip(NEXT) | instid1(VALU_DEP_1)
	v_add_f64 v[52:53], v[48:49], v[50:51]
	v_add_f64 v[48:49], v[52:53], -v[48:49]
	s_delay_alu instid0(VALU_DEP_1) | instskip(SKIP_1) | instid1(VALU_DEP_1)
	v_add_f64 v[48:49], v[48:49], -v[50:51]
	v_add_f64 v[50:51], -v[52:53], 1.0
	v_add_f64 v[54:55], -v[50:51], 1.0
	s_delay_alu instid0(VALU_DEP_1) | instskip(NEXT) | instid1(VALU_DEP_1)
	v_add_f64 v[52:53], v[54:55], -v[52:53]
	v_add_f64 v[48:49], v[48:49], v[52:53]
	s_delay_alu instid0(VALU_DEP_1) | instskip(NEXT) | instid1(VALU_DEP_1)
	v_add_f64 v[52:53], v[50:51], v[48:49]
	v_add_f64 v[50:51], v[50:51], -v[52:53]
	s_delay_alu instid0(VALU_DEP_1) | instskip(SKIP_1) | instid1(VALU_DEP_1)
	v_add_f64 v[48:49], v[48:49], v[50:51]
	v_mul_f64 v[50:51], v[46:47], v[52:53]
	v_mul_f64 v[54:55], v[44:45], v[50:51]
	s_delay_alu instid0(VALU_DEP_1) | instskip(NEXT) | instid1(VALU_DEP_1)
	v_fma_f64 v[56:57], v[50:51], v[44:45], -v[54:55]
	v_fma_f64 v[56:57], v[50:51], v[25:26], v[56:57]
	s_delay_alu instid0(VALU_DEP_1) | instskip(NEXT) | instid1(VALU_DEP_1)
	v_add_f64 v[58:59], v[54:55], v[56:57]
	v_add_f64 v[60:61], v[52:53], -v[58:59]
	v_add_f64 v[54:55], v[58:59], -v[54:55]
	s_delay_alu instid0(VALU_DEP_2) | instskip(NEXT) | instid1(VALU_DEP_2)
	v_add_f64 v[52:53], v[52:53], -v[60:61]
	v_add_f64 v[54:55], v[54:55], -v[56:57]
	s_delay_alu instid0(VALU_DEP_2) | instskip(NEXT) | instid1(VALU_DEP_1)
	v_add_f64 v[52:53], v[52:53], -v[58:59]
	v_add_f64 v[48:49], v[48:49], v[52:53]
	v_add_f64 v[52:53], v[46:47], v[50:51]
	s_delay_alu instid0(VALU_DEP_2) | instskip(NEXT) | instid1(VALU_DEP_2)
	v_add_f64 v[48:49], v[54:55], v[48:49]
	v_add_f64 v[54:55], v[52:53], -v[46:47]
	s_delay_alu instid0(VALU_DEP_2) | instskip(NEXT) | instid1(VALU_DEP_2)
	v_add_f64 v[48:49], v[60:61], v[48:49]
	v_add_f64 v[50:51], v[50:51], -v[54:55]
	s_delay_alu instid0(VALU_DEP_2) | instskip(NEXT) | instid1(VALU_DEP_1)
	v_mul_f64 v[46:47], v[46:47], v[48:49]
	v_add_f64 v[46:47], v[50:51], v[46:47]
	s_delay_alu instid0(VALU_DEP_1) | instskip(NEXT) | instid1(VALU_DEP_1)
	v_add_f64 v[48:49], v[52:53], v[46:47]
	v_add_f64 v[50:51], v[48:49], -v[52:53]
	v_ldexp_f64 v[48:49], v[48:49], -2
	s_delay_alu instid0(VALU_DEP_2) | instskip(NEXT) | instid1(VALU_DEP_2)
	v_add_f64 v[46:47], v[46:47], -v[50:51]
	v_add_f64 v[52:53], v[44:45], -v[48:49]
	s_delay_alu instid0(VALU_DEP_1) | instskip(NEXT) | instid1(VALU_DEP_1)
	v_add_f64 v[44:45], v[44:45], -v[52:53]
	v_add_f64 v[44:45], v[44:45], -v[48:49]
	s_delay_alu instid0(VALU_DEP_1) | instskip(SKIP_1) | instid1(VALU_DEP_1)
	v_add_f64 v[25:26], v[25:26], v[44:45]
	v_ldexp_f64 v[44:45], v[46:47], -2
	v_add_f64 v[25:26], v[25:26], -v[44:45]
	s_delay_alu instid0(VALU_DEP_1) | instskip(NEXT) | instid1(VALU_DEP_1)
	v_add_f64 v[25:26], v[52:53], v[25:26]
	v_cndmask_b32_e32 v12, 0x7ff00000, v26, vcc_lo
	s_delay_alu instid0(VALU_DEP_2) | instskip(NEXT) | instid1(VALU_DEP_2)
	v_cndmask_b32_e32 v25, 0, v25, vcc_lo
	v_cndmask_b32_e64 v12, v12, v23, s4
	s_delay_alu instid0(VALU_DEP_2) | instskip(NEXT) | instid1(VALU_DEP_2)
	v_cndmask_b32_e64 v10, v25, v10, s4
	v_bfi_b32 v11, 0x7fffffff, v12, v11
	s_delay_alu instid0(VALU_DEP_1) | instskip(NEXT) | instid1(VALU_DEP_1)
	v_fma_f64 v[25:26], v[10:11], v[10:11], 1.0
	v_cmp_gt_f64_e32 vcc_lo, 0x10000000, v[25:26]
	v_cndmask_b32_e64 v12, 0, 1, vcc_lo
	s_delay_alu instid0(VALU_DEP_1) | instskip(NEXT) | instid1(VALU_DEP_1)
	v_lshlrev_b32_e32 v12, 8, v12
	v_ldexp_f64 v[25:26], v[25:26], v12
	v_and_b32_e32 v23, 0x80000000, v13
	v_mul_f64 v[12:13], v[19:20], v[19:20]
	s_delay_alu instid0(VALU_DEP_3) | instskip(SKIP_3) | instid1(VALU_DEP_1)
	v_rsq_f64_e32 v[44:45], v[25:26]
	s_waitcnt_depctr 0xfff
	v_mul_f64 v[46:47], v[25:26], v[44:45]
	v_mul_f64 v[44:45], v[44:45], 0.5
	v_fma_f64 v[48:49], -v[44:45], v[46:47], 0.5
	s_delay_alu instid0(VALU_DEP_1) | instskip(SKIP_1) | instid1(VALU_DEP_2)
	v_fma_f64 v[46:47], v[46:47], v[48:49], v[46:47]
	v_fma_f64 v[44:45], v[44:45], v[48:49], v[44:45]
	v_fma_f64 v[48:49], -v[46:47], v[46:47], v[25:26]
	s_delay_alu instid0(VALU_DEP_1) | instskip(NEXT) | instid1(VALU_DEP_1)
	v_fma_f64 v[46:47], v[48:49], v[44:45], v[46:47]
	v_fma_f64 v[48:49], -v[46:47], v[46:47], v[25:26]
	s_delay_alu instid0(VALU_DEP_1) | instskip(SKIP_2) | instid1(VALU_DEP_1)
	v_fma_f64 v[44:45], v[48:49], v[44:45], v[46:47]
	v_add_f64 v[46:47], v[21:22], v[21:22]
	v_fma_f64 v[48:49], v[19:20], v[19:20], -v[12:13]
	v_fma_f64 v[46:47], v[19:20], v[46:47], v[48:49]
	s_delay_alu instid0(VALU_DEP_1) | instskip(NEXT) | instid1(VALU_DEP_1)
	v_add_f64 v[12:13], v[12:13], v[46:47]
	v_fma_f64 v[46:47], v[12:13], s[52:53], s[50:51]
	s_mov_b32 s50, 0x90a8aae0
	s_mov_b32 s51, 0x3f17746f
	s_delay_alu instid0(VALU_DEP_1) | instid1(SALU_CYCLE_1)
	v_fma_f64 v[46:47], v[12:13], v[46:47], s[50:51]
	s_mov_b32 s50, 0xa6fbf144
	s_mov_b32 s51, 0xbefbb44d
	s_delay_alu instid0(VALU_DEP_1) | instid1(SALU_CYCLE_1)
	;; [unrolled: 4-line block ×10, first 2 shown]
	v_fma_f64 v[46:47], v[12:13], v[46:47], s[50:51]
	s_delay_alu instid0(VALU_DEP_1) | instskip(NEXT) | instid1(VALU_DEP_1)
	v_fma_f64 v[46:47], v[12:13], v[46:47], s[54:55]
	v_fma_f64 v[46:47], v[12:13], v[46:47], s[56:57]
	s_delay_alu instid0(VALU_DEP_1) | instskip(NEXT) | instid1(VALU_DEP_1)
	v_mul_f64 v[12:13], v[12:13], v[46:47]
	v_mul_f64 v[46:47], v[19:20], v[12:13]
	s_delay_alu instid0(VALU_DEP_1) | instskip(NEXT) | instid1(VALU_DEP_1)
	v_fma_f64 v[12:13], v[19:20], v[12:13], -v[46:47]
	v_add_f64 v[12:13], v[21:22], v[12:13]
	v_add_f64 v[21:22], v[19:20], v[46:47]
	s_delay_alu instid0(VALU_DEP_1) | instskip(NEXT) | instid1(VALU_DEP_1)
	v_add_f64 v[19:20], v[21:22], -v[19:20]
	v_add_f64 v[19:20], v[46:47], -v[19:20]
	s_delay_alu instid0(VALU_DEP_1) | instskip(NEXT) | instid1(VALU_DEP_1)
	v_add_f64 v[12:13], v[12:13], v[19:20]
	v_add_f64 v[19:20], v[21:22], v[12:13]
	s_delay_alu instid0(VALU_DEP_1) | instskip(SKIP_1) | instid1(VALU_DEP_1)
	v_rcp_f64_e32 v[46:47], v[19:20]
	v_add_f64 v[21:22], v[19:20], -v[21:22]
	v_add_f64 v[12:13], v[12:13], -v[21:22]
	s_waitcnt_depctr 0xfff
	v_fma_f64 v[48:49], -v[19:20], v[46:47], 1.0
	s_delay_alu instid0(VALU_DEP_1) | instskip(NEXT) | instid1(VALU_DEP_1)
	v_fma_f64 v[46:47], v[48:49], v[46:47], v[46:47]
	v_fma_f64 v[48:49], -v[19:20], v[46:47], 1.0
	s_delay_alu instid0(VALU_DEP_1) | instskip(NEXT) | instid1(VALU_DEP_1)
	v_fma_f64 v[46:47], v[48:49], v[46:47], v[46:47]
	v_mul_f64 v[21:22], v[19:20], v[46:47]
	s_delay_alu instid0(VALU_DEP_1) | instskip(NEXT) | instid1(VALU_DEP_1)
	v_fma_f64 v[48:49], v[46:47], v[19:20], -v[21:22]
	v_fma_f64 v[12:13], v[46:47], v[12:13], v[48:49]
	s_delay_alu instid0(VALU_DEP_1) | instskip(NEXT) | instid1(VALU_DEP_1)
	v_add_f64 v[48:49], v[21:22], v[12:13]
	v_add_f64 v[21:22], v[48:49], -v[21:22]
	s_delay_alu instid0(VALU_DEP_1) | instskip(SKIP_1) | instid1(VALU_DEP_1)
	v_add_f64 v[12:13], v[21:22], -v[12:13]
	v_add_f64 v[21:22], -v[48:49], 1.0
	v_add_f64 v[50:51], -v[21:22], 1.0
	s_delay_alu instid0(VALU_DEP_1) | instskip(NEXT) | instid1(VALU_DEP_1)
	v_add_f64 v[48:49], v[50:51], -v[48:49]
	v_add_f64 v[12:13], v[12:13], v[48:49]
	s_delay_alu instid0(VALU_DEP_1) | instskip(SKIP_1) | instid1(VALU_DEP_1)
	v_add_f64 v[12:13], v[21:22], v[12:13]
	v_and_b32_e32 v21, 1, v24
	v_cmp_eq_u32_e64 s4, 0, v21
	s_delay_alu instid0(VALU_DEP_3) | instskip(NEXT) | instid1(VALU_DEP_1)
	v_mul_f64 v[12:13], v[46:47], v[12:13]
	v_add_f64 v[12:13], v[46:47], v[12:13]
	s_delay_alu instid0(VALU_DEP_1) | instskip(NEXT) | instid1(VALU_DEP_2)
	v_xor_b32_e32 v13, 0x80000000, v13
	v_cndmask_b32_e64 v12, v12, v19, s4
	s_delay_alu instid0(VALU_DEP_2) | instskip(SKIP_2) | instid1(VALU_DEP_2)
	v_cndmask_b32_e64 v13, v13, v20, s4
	v_cndmask_b32_e64 v20, 0, 0xffffff80, vcc_lo
	v_cmp_class_f64_e64 vcc_lo, v[25:26], 0x260
	v_ldexp_f64 v[19:20], v[44:45], v20
	s_delay_alu instid0(VALU_DEP_1) | instskip(SKIP_1) | instid1(VALU_DEP_3)
	v_cndmask_b32_e32 v20, v20, v26, vcc_lo
	v_xor_b32_e32 v13, v13, v23
	v_cndmask_b32_e32 v19, v19, v25, vcc_lo
	s_delay_alu instid0(VALU_DEP_2) | instskip(NEXT) | instid1(VALU_DEP_1)
	v_fma_f64 v[21:22], v[12:13], v[12:13], 1.0
	v_mul_f64 v[23:24], v[10:11], v[21:22]
	s_delay_alu instid0(VALU_DEP_3) | instskip(NEXT) | instid1(VALU_DEP_2)
	v_mul_f64 v[19:20], v[19:20], v[21:22]
	v_fma_f64 v[21:22], v[10:11], v[23:24], 1.0
	s_delay_alu instid0(VALU_DEP_2) | instskip(NEXT) | instid1(VALU_DEP_1)
	v_mul_f64 v[10:11], v[10:11], v[19:20]
	v_div_scale_f64 v[19:20], null, v[21:22], v[21:22], v[10:11]
	s_delay_alu instid0(VALU_DEP_1) | instskip(SKIP_2) | instid1(VALU_DEP_1)
	v_rcp_f64_e32 v[23:24], v[19:20]
	s_waitcnt_depctr 0xfff
	v_fma_f64 v[25:26], -v[19:20], v[23:24], 1.0
	v_fma_f64 v[23:24], v[23:24], v[25:26], v[23:24]
	s_delay_alu instid0(VALU_DEP_1) | instskip(NEXT) | instid1(VALU_DEP_1)
	v_fma_f64 v[25:26], -v[19:20], v[23:24], 1.0
	v_fma_f64 v[23:24], v[23:24], v[25:26], v[23:24]
	v_div_scale_f64 v[25:26], vcc_lo, v[10:11], v[21:22], v[10:11]
	s_delay_alu instid0(VALU_DEP_1) | instskip(NEXT) | instid1(VALU_DEP_1)
	v_mul_f64 v[44:45], v[25:26], v[23:24]
	v_fma_f64 v[19:20], -v[19:20], v[44:45], v[25:26]
	s_delay_alu instid0(VALU_DEP_1) | instskip(SKIP_1) | instid1(VALU_DEP_2)
	v_div_fmas_f64 v[19:20], v[19:20], v[23:24], v[44:45]
	v_div_scale_f64 v[23:24], null, v[21:22], v[21:22], v[12:13]
	v_div_fixup_f64 v[10:11], v[19:20], v[21:22], v[10:11]
	s_delay_alu instid0(VALU_DEP_2) | instskip(SKIP_2) | instid1(VALU_DEP_1)
	v_rcp_f64_e32 v[25:26], v[23:24]
	s_waitcnt_depctr 0xfff
	v_fma_f64 v[44:45], -v[23:24], v[25:26], 1.0
	v_fma_f64 v[25:26], v[25:26], v[44:45], v[25:26]
	s_delay_alu instid0(VALU_DEP_1) | instskip(NEXT) | instid1(VALU_DEP_1)
	v_fma_f64 v[44:45], -v[23:24], v[25:26], 1.0
	v_fma_f64 v[25:26], v[25:26], v[44:45], v[25:26]
	v_div_scale_f64 v[44:45], vcc_lo, v[12:13], v[21:22], v[12:13]
	s_delay_alu instid0(VALU_DEP_1) | instskip(NEXT) | instid1(VALU_DEP_1)
	v_mul_f64 v[46:47], v[44:45], v[25:26]
	v_fma_f64 v[23:24], -v[23:24], v[46:47], v[44:45]
	s_delay_alu instid0(VALU_DEP_1) | instskip(NEXT) | instid1(VALU_DEP_1)
	v_div_fmas_f64 v[23:24], v[23:24], v[25:26], v[46:47]
	v_div_fixup_f64 v[12:13], v[23:24], v[21:22], v[12:13]
.LBB156_291:                            ;   in Loop: Header=BB156_161 Depth=1
	s_and_not1_saveexec_b32 s60, s48
	s_cbranch_execz .LBB156_312
; %bb.292:                              ;   in Loop: Header=BB156_161 Depth=1
	s_delay_alu instid0(VALU_DEP_1) | instskip(NEXT) | instid1(VALU_DEP_1)
	v_cmp_ngt_f64_e64 s4, 0x41d00000, |v[12:13]|
                                        ; implicit-def: $vgpr44
                                        ; implicit-def: $vgpr20_vgpr21
                                        ; implicit-def: $vgpr22_vgpr23
	s_and_saveexec_b32 s13, s4
	s_delay_alu instid0(SALU_CYCLE_1)
	s_xor_b32 s20, exec_lo, s13
	s_cbranch_execz .LBB156_301
; %bb.293:                              ;   in Loop: Header=BB156_161 Depth=1
	v_ldexp_f64 v[19:20], |v[12:13]|, 0xffffff80
	v_cmp_le_f64_e64 vcc_lo, 0x7b000000, |v[12:13]|
	v_trig_preop_f64 v[21:22], |v[12:13]|, 0
	v_and_b32_e32 v23, 0x7fffffff, v13
	v_trig_preop_f64 v[25:26], |v[12:13]|, 1
	v_trig_preop_f64 v[46:47], |v[12:13]|, 2
	s_mov_b32 s16, s18
	s_mov_b32 s13, s21
	v_dual_cndmask_b32 v20, v23, v20 :: v_dual_cndmask_b32 v19, v12, v19
	s_delay_alu instid0(VALU_DEP_1) | instskip(NEXT) | instid1(VALU_DEP_4)
	v_mul_f64 v[23:24], v[21:22], v[19:20]
	v_mul_f64 v[44:45], v[25:26], v[19:20]
	s_delay_alu instid0(VALU_DEP_4) | instskip(NEXT) | instid1(VALU_DEP_3)
	v_mul_f64 v[48:49], v[46:47], v[19:20]
	v_fma_f64 v[21:22], v[21:22], v[19:20], -v[23:24]
	s_delay_alu instid0(VALU_DEP_3) | instskip(NEXT) | instid1(VALU_DEP_3)
	v_fma_f64 v[25:26], v[25:26], v[19:20], -v[44:45]
	v_fma_f64 v[19:20], v[46:47], v[19:20], -v[48:49]
	s_delay_alu instid0(VALU_DEP_3) | instskip(NEXT) | instid1(VALU_DEP_1)
	v_add_f64 v[46:47], v[44:45], v[21:22]
	v_add_f64 v[50:51], v[46:47], -v[44:45]
	s_delay_alu instid0(VALU_DEP_1) | instskip(SKIP_1) | instid1(VALU_DEP_1)
	v_add_f64 v[21:22], v[21:22], -v[50:51]
	v_add_f64 v[50:51], v[46:47], -v[50:51]
	;; [unrolled: 1-line block ×3, first 2 shown]
	v_add_f64 v[50:51], v[23:24], v[46:47]
	s_delay_alu instid0(VALU_DEP_2) | instskip(NEXT) | instid1(VALU_DEP_2)
	v_add_f64 v[21:22], v[21:22], v[44:45]
	v_add_f64 v[23:24], v[50:51], -v[23:24]
	v_add_f64 v[44:45], v[48:49], v[25:26]
	v_ldexp_f64 v[50:51], v[50:51], -2
	s_delay_alu instid0(VALU_DEP_3) | instskip(NEXT) | instid1(VALU_DEP_3)
	v_add_f64 v[23:24], v[46:47], -v[23:24]
	v_add_f64 v[46:47], v[44:45], -v[48:49]
	s_delay_alu instid0(VALU_DEP_3) | instskip(SKIP_1) | instid1(VALU_DEP_3)
	v_cmp_neq_f64_e64 vcc_lo, 0x7ff00000, |v[50:51]|
	v_fract_f64_e32 v[50:51], v[50:51]
	v_add_f64 v[25:26], v[25:26], -v[46:47]
	v_add_f64 v[46:47], v[44:45], -v[46:47]
	s_delay_alu instid0(VALU_DEP_3) | instskip(NEXT) | instid1(VALU_DEP_2)
	v_dual_cndmask_b32 v51, 0, v51 :: v_dual_cndmask_b32 v50, 0, v50
	v_add_f64 v[46:47], v[48:49], -v[46:47]
	v_add_f64 v[48:49], v[44:45], v[21:22]
	s_delay_alu instid0(VALU_DEP_2) | instskip(NEXT) | instid1(VALU_DEP_2)
	v_add_f64 v[25:26], v[25:26], v[46:47]
	v_add_f64 v[52:53], v[48:49], -v[44:45]
	v_add_f64 v[46:47], v[23:24], v[48:49]
	s_delay_alu instid0(VALU_DEP_2) | instskip(SKIP_1) | instid1(VALU_DEP_3)
	v_add_f64 v[21:22], v[21:22], -v[52:53]
	v_add_f64 v[52:53], v[48:49], -v[52:53]
	;; [unrolled: 1-line block ×3, first 2 shown]
	s_delay_alu instid0(VALU_DEP_2) | instskip(NEXT) | instid1(VALU_DEP_2)
	v_add_f64 v[44:45], v[44:45], -v[52:53]
	v_add_f64 v[23:24], v[48:49], -v[23:24]
	s_delay_alu instid0(VALU_DEP_2) | instskip(SKIP_1) | instid1(VALU_DEP_2)
	v_add_f64 v[21:22], v[21:22], v[44:45]
	v_ldexp_f64 v[44:45], v[50:51], 2
	v_add_f64 v[21:22], v[25:26], v[21:22]
	s_delay_alu instid0(VALU_DEP_2) | instskip(NEXT) | instid1(VALU_DEP_2)
	v_add_f64 v[50:51], v[46:47], v[44:45]
	v_add_f64 v[20:21], v[19:20], v[21:22]
	s_delay_alu instid0(VALU_DEP_2) | instskip(NEXT) | instid1(VALU_DEP_2)
	v_cmp_gt_f64_e32 vcc_lo, 0, v[50:51]
	v_add_f64 v[20:21], v[23:24], v[20:21]
	v_cndmask_b32_e64 v19, 0, 0x40100000, vcc_lo
	s_delay_alu instid0(VALU_DEP_1) | instskip(NEXT) | instid1(VALU_DEP_1)
	v_add_f64 v[25:26], v[44:45], v[18:19]
	v_add_f64 v[44:45], v[46:47], v[25:26]
	s_delay_alu instid0(VALU_DEP_1) | instskip(NEXT) | instid1(VALU_DEP_1)
	v_cvt_i32_f64_e32 v48, v[44:45]
	v_cvt_f64_i32_e32 v[44:45], v48
	s_delay_alu instid0(VALU_DEP_1) | instskip(NEXT) | instid1(VALU_DEP_1)
	v_add_f64 v[25:26], v[25:26], -v[44:45]
	v_add_f64 v[22:23], v[46:47], v[25:26]
	s_delay_alu instid0(VALU_DEP_1) | instskip(SKIP_1) | instid1(VALU_DEP_2)
	v_add_f64 v[24:25], v[22:23], -v[25:26]
	v_cmp_le_f64_e32 vcc_lo, 0.5, v[22:23]
	v_add_f64 v[24:25], v[46:47], -v[24:25]
	v_cndmask_b32_e64 v19, 0, 0x3ff00000, vcc_lo
	v_add_co_ci_u32_e32 v44, vcc_lo, 0, v48, vcc_lo
	s_delay_alu instid0(VALU_DEP_2) | instskip(NEXT) | instid1(VALU_DEP_4)
	v_add_f64 v[22:23], v[22:23], -v[18:19]
	v_add_f64 v[19:20], v[20:21], v[24:25]
	s_delay_alu instid0(VALU_DEP_1) | instskip(NEXT) | instid1(VALU_DEP_1)
	v_add_f64 v[24:25], v[22:23], v[19:20]
	v_add_f64 v[21:22], v[24:25], -v[22:23]
	s_delay_alu instid0(VALU_DEP_1) | instskip(SKIP_1) | instid1(VALU_DEP_1)
	v_add_f64 v[19:20], v[19:20], -v[21:22]
	v_mul_f64 v[22:23], v[24:25], s[16:17]
	v_fma_f64 v[26:27], v[24:25], s[16:17], -v[22:23]
	s_delay_alu instid0(VALU_DEP_1) | instskip(NEXT) | instid1(VALU_DEP_1)
	v_fma_f64 v[24:25], v[24:25], s[12:13], v[26:27]
	v_fma_f64 v[24:25], v[19:20], s[16:17], v[24:25]
	s_delay_alu instid0(VALU_DEP_1) | instskip(NEXT) | instid1(VALU_DEP_1)
	v_add_f64 v[20:21], v[22:23], v[24:25]
	v_add_f64 v[22:23], v[20:21], -v[22:23]
	s_delay_alu instid0(VALU_DEP_1)
	v_add_f64 v[22:23], v[24:25], -v[22:23]
	s_and_not1_saveexec_b32 s13, s20
	s_cbranch_execz .LBB156_303
	s_branch .LBB156_302
.LBB156_294:                            ;   in Loop: Header=BB156_161 Depth=1
	s_and_not1_saveexec_b32 s45, s45
	s_cbranch_execz .LBB156_316
.LBB156_295:                            ;   in Loop: Header=BB156_161 Depth=1
	s_delay_alu instid0(VALU_DEP_1) | instskip(SKIP_1) | instid1(VALU_DEP_1)
	v_and_or_b32 v19, 0xfffff, v11, v10
	s_mov_b32 s4, exec_lo
	v_cmpx_ne_u32_e32 0, v19
	s_xor_b32 s4, exec_lo, s4
; %bb.296:                              ;   in Loop: Header=BB156_161 Depth=1
	v_mul_f64 v[19:20], v[12:13], v[10:11]
	v_cmp_eq_f64_e32 vcc_lo, 0, v[12:13]
	s_delay_alu instid0(VALU_DEP_2)
	v_dual_cndmask_b32 v13, v20, v13 :: v_dual_cndmask_b32 v12, v19, v12
; %bb.297:                              ;   in Loop: Header=BB156_161 Depth=1
	s_and_not1_saveexec_b32 s47, s4
	s_cbranch_execz .LBB156_324
; %bb.298:                              ;   in Loop: Header=BB156_161 Depth=1
	s_mov_b32 s48, exec_lo
	s_delay_alu instid0(VALU_DEP_1)
	v_cmpx_neq_f64_e64 0x7ff00000, |v[12:13]|
	s_cbranch_execz .LBB156_323
; %bb.299:                              ;   in Loop: Header=BB156_161 Depth=1
	v_cmp_ngt_f64_e64 s4, 0x41d00000, |v[12:13]|
                                        ; implicit-def: $vgpr44
                                        ; implicit-def: $vgpr20_vgpr21
                                        ; implicit-def: $vgpr22_vgpr23
	s_delay_alu instid0(VALU_DEP_1) | instskip(NEXT) | instid1(SALU_CYCLE_1)
	s_and_saveexec_b32 s13, s4
	s_xor_b32 s20, exec_lo, s13
	s_cbranch_execz .LBB156_305
; %bb.300:                              ;   in Loop: Header=BB156_161 Depth=1
	v_ldexp_f64 v[19:20], |v[12:13]|, 0xffffff80
	v_cmp_le_f64_e64 vcc_lo, 0x7b000000, |v[12:13]|
	v_trig_preop_f64 v[21:22], |v[12:13]|, 0
	v_and_b32_e32 v23, 0x7fffffff, v13
	v_trig_preop_f64 v[25:26], |v[12:13]|, 1
	v_trig_preop_f64 v[46:47], |v[12:13]|, 2
	s_mov_b32 s16, s18
	s_mov_b32 s13, s21
	v_dual_cndmask_b32 v20, v23, v20 :: v_dual_cndmask_b32 v19, v12, v19
	s_delay_alu instid0(VALU_DEP_1) | instskip(NEXT) | instid1(VALU_DEP_4)
	v_mul_f64 v[23:24], v[21:22], v[19:20]
	v_mul_f64 v[44:45], v[25:26], v[19:20]
	s_delay_alu instid0(VALU_DEP_4) | instskip(NEXT) | instid1(VALU_DEP_3)
	v_mul_f64 v[48:49], v[46:47], v[19:20]
	v_fma_f64 v[21:22], v[21:22], v[19:20], -v[23:24]
	s_delay_alu instid0(VALU_DEP_3) | instskip(NEXT) | instid1(VALU_DEP_3)
	v_fma_f64 v[25:26], v[25:26], v[19:20], -v[44:45]
	v_fma_f64 v[19:20], v[46:47], v[19:20], -v[48:49]
	s_delay_alu instid0(VALU_DEP_3) | instskip(NEXT) | instid1(VALU_DEP_1)
	v_add_f64 v[46:47], v[44:45], v[21:22]
	v_add_f64 v[50:51], v[46:47], -v[44:45]
	s_delay_alu instid0(VALU_DEP_1) | instskip(SKIP_1) | instid1(VALU_DEP_1)
	v_add_f64 v[21:22], v[21:22], -v[50:51]
	v_add_f64 v[50:51], v[46:47], -v[50:51]
	;; [unrolled: 1-line block ×3, first 2 shown]
	v_add_f64 v[50:51], v[23:24], v[46:47]
	s_delay_alu instid0(VALU_DEP_2) | instskip(NEXT) | instid1(VALU_DEP_2)
	v_add_f64 v[21:22], v[21:22], v[44:45]
	v_add_f64 v[23:24], v[50:51], -v[23:24]
	v_add_f64 v[44:45], v[48:49], v[25:26]
	v_ldexp_f64 v[50:51], v[50:51], -2
	s_delay_alu instid0(VALU_DEP_3) | instskip(NEXT) | instid1(VALU_DEP_3)
	v_add_f64 v[23:24], v[46:47], -v[23:24]
	v_add_f64 v[46:47], v[44:45], -v[48:49]
	s_delay_alu instid0(VALU_DEP_3) | instskip(SKIP_1) | instid1(VALU_DEP_3)
	v_cmp_neq_f64_e64 vcc_lo, 0x7ff00000, |v[50:51]|
	v_fract_f64_e32 v[50:51], v[50:51]
	v_add_f64 v[25:26], v[25:26], -v[46:47]
	v_add_f64 v[46:47], v[44:45], -v[46:47]
	s_delay_alu instid0(VALU_DEP_3) | instskip(NEXT) | instid1(VALU_DEP_2)
	v_dual_cndmask_b32 v51, 0, v51 :: v_dual_cndmask_b32 v50, 0, v50
	v_add_f64 v[46:47], v[48:49], -v[46:47]
	v_add_f64 v[48:49], v[44:45], v[21:22]
	s_delay_alu instid0(VALU_DEP_2) | instskip(NEXT) | instid1(VALU_DEP_2)
	v_add_f64 v[25:26], v[25:26], v[46:47]
	v_add_f64 v[52:53], v[48:49], -v[44:45]
	v_add_f64 v[46:47], v[23:24], v[48:49]
	s_delay_alu instid0(VALU_DEP_2) | instskip(SKIP_1) | instid1(VALU_DEP_3)
	v_add_f64 v[21:22], v[21:22], -v[52:53]
	v_add_f64 v[52:53], v[48:49], -v[52:53]
	;; [unrolled: 1-line block ×3, first 2 shown]
	s_delay_alu instid0(VALU_DEP_2) | instskip(NEXT) | instid1(VALU_DEP_2)
	v_add_f64 v[44:45], v[44:45], -v[52:53]
	v_add_f64 v[23:24], v[48:49], -v[23:24]
	s_delay_alu instid0(VALU_DEP_2) | instskip(SKIP_1) | instid1(VALU_DEP_2)
	v_add_f64 v[21:22], v[21:22], v[44:45]
	v_ldexp_f64 v[44:45], v[50:51], 2
	v_add_f64 v[21:22], v[25:26], v[21:22]
	s_delay_alu instid0(VALU_DEP_2) | instskip(NEXT) | instid1(VALU_DEP_2)
	v_add_f64 v[50:51], v[46:47], v[44:45]
	v_add_f64 v[20:21], v[19:20], v[21:22]
	s_delay_alu instid0(VALU_DEP_2) | instskip(NEXT) | instid1(VALU_DEP_2)
	v_cmp_gt_f64_e32 vcc_lo, 0, v[50:51]
	v_add_f64 v[20:21], v[23:24], v[20:21]
	v_cndmask_b32_e64 v19, 0, 0x40100000, vcc_lo
	s_delay_alu instid0(VALU_DEP_1) | instskip(NEXT) | instid1(VALU_DEP_1)
	v_add_f64 v[25:26], v[44:45], v[18:19]
	v_add_f64 v[44:45], v[46:47], v[25:26]
	s_delay_alu instid0(VALU_DEP_1) | instskip(NEXT) | instid1(VALU_DEP_1)
	v_cvt_i32_f64_e32 v48, v[44:45]
	v_cvt_f64_i32_e32 v[44:45], v48
	s_delay_alu instid0(VALU_DEP_1) | instskip(NEXT) | instid1(VALU_DEP_1)
	v_add_f64 v[25:26], v[25:26], -v[44:45]
	v_add_f64 v[22:23], v[46:47], v[25:26]
	s_delay_alu instid0(VALU_DEP_1) | instskip(SKIP_1) | instid1(VALU_DEP_2)
	v_add_f64 v[24:25], v[22:23], -v[25:26]
	v_cmp_le_f64_e32 vcc_lo, 0.5, v[22:23]
	v_add_f64 v[24:25], v[46:47], -v[24:25]
	v_cndmask_b32_e64 v19, 0, 0x3ff00000, vcc_lo
	v_add_co_ci_u32_e32 v44, vcc_lo, 0, v48, vcc_lo
	s_delay_alu instid0(VALU_DEP_2) | instskip(NEXT) | instid1(VALU_DEP_4)
	v_add_f64 v[22:23], v[22:23], -v[18:19]
	v_add_f64 v[19:20], v[20:21], v[24:25]
	s_delay_alu instid0(VALU_DEP_1) | instskip(NEXT) | instid1(VALU_DEP_1)
	v_add_f64 v[24:25], v[22:23], v[19:20]
	v_add_f64 v[21:22], v[24:25], -v[22:23]
	s_delay_alu instid0(VALU_DEP_1) | instskip(SKIP_1) | instid1(VALU_DEP_1)
	v_add_f64 v[19:20], v[19:20], -v[21:22]
	v_mul_f64 v[22:23], v[24:25], s[16:17]
	v_fma_f64 v[26:27], v[24:25], s[16:17], -v[22:23]
	s_delay_alu instid0(VALU_DEP_1) | instskip(NEXT) | instid1(VALU_DEP_1)
	v_fma_f64 v[24:25], v[24:25], s[12:13], v[26:27]
	v_fma_f64 v[24:25], v[19:20], s[16:17], v[24:25]
	s_delay_alu instid0(VALU_DEP_1) | instskip(NEXT) | instid1(VALU_DEP_1)
	v_add_f64 v[20:21], v[22:23], v[24:25]
	v_add_f64 v[22:23], v[20:21], -v[22:23]
	s_delay_alu instid0(VALU_DEP_1)
	v_add_f64 v[22:23], v[24:25], -v[22:23]
	s_and_not1_saveexec_b32 s13, s20
	s_cbranch_execz .LBB156_307
	s_branch .LBB156_306
.LBB156_301:                            ;   in Loop: Header=BB156_161 Depth=1
	s_and_not1_saveexec_b32 s13, s20
	s_cbranch_execz .LBB156_303
.LBB156_302:                            ;   in Loop: Header=BB156_161 Depth=1
	v_mul_f64 v[19:20], |v[12:13]|, s[22:23]
	s_mov_b32 s20, s24
	s_delay_alu instid0(VALU_DEP_1) | instskip(NEXT) | instid1(VALU_DEP_1)
	v_rndne_f64_e32 v[24:25], v[19:20]
	v_fma_f64 v[19:20], v[24:25], s[18:19], |v[12:13]|
	v_mul_f64 v[21:22], v[24:25], s[24:25]
	s_delay_alu instid0(VALU_DEP_2) | instskip(NEXT) | instid1(VALU_DEP_2)
	v_fma_f64 v[44:45], v[24:25], s[24:25], v[19:20]
	v_add_f64 v[26:27], v[19:20], v[21:22]
	s_delay_alu instid0(VALU_DEP_1) | instskip(NEXT) | instid1(VALU_DEP_3)
	v_add_f64 v[19:20], v[19:20], -v[26:27]
	v_add_f64 v[26:27], v[26:27], -v[44:45]
	s_delay_alu instid0(VALU_DEP_2) | instskip(SKIP_1) | instid1(VALU_DEP_2)
	v_add_f64 v[19:20], v[19:20], v[21:22]
	v_fma_f64 v[21:22], v[24:25], s[20:21], v[21:22]
	v_add_f64 v[19:20], v[26:27], v[19:20]
	s_delay_alu instid0(VALU_DEP_1) | instskip(NEXT) | instid1(VALU_DEP_1)
	v_add_f64 v[19:20], v[19:20], -v[21:22]
	v_fma_f64 v[22:23], v[24:25], s[26:27], v[19:20]
	s_delay_alu instid0(VALU_DEP_1) | instskip(NEXT) | instid1(VALU_DEP_1)
	v_add_f64 v[20:21], v[44:45], v[22:23]
	v_add_f64 v[26:27], v[20:21], -v[44:45]
	v_cvt_i32_f64_e32 v44, v[24:25]
	s_delay_alu instid0(VALU_DEP_2)
	v_add_f64 v[22:23], v[22:23], -v[26:27]
.LBB156_303:                            ;   in Loop: Header=BB156_161 Depth=1
	s_or_b32 exec_lo, exec_lo, s13
                                        ; implicit-def: $vgpr19
                                        ; implicit-def: $vgpr24_vgpr25
                                        ; implicit-def: $vgpr26_vgpr27
	s_and_saveexec_b32 s13, s4
	s_delay_alu instid0(SALU_CYCLE_1)
	s_xor_b32 s4, exec_lo, s13
	s_cbranch_execz .LBB156_309
; %bb.304:                              ;   in Loop: Header=BB156_161 Depth=1
	v_ldexp_f64 v[24:25], |v[12:13]|, 0xffffff80
	v_cmp_le_f64_e64 vcc_lo, 0x7b000000, |v[12:13]|
	v_trig_preop_f64 v[26:27], |v[12:13]|, 0
	v_and_b32_e32 v19, 0x7fffffff, v13
	v_trig_preop_f64 v[47:48], |v[12:13]|, 1
	v_trig_preop_f64 v[51:52], |v[12:13]|, 2
	s_mov_b32 s16, s18
	s_mov_b32 s13, s21
	v_dual_cndmask_b32 v24, v12, v24 :: v_dual_cndmask_b32 v25, v19, v25
	s_delay_alu instid0(VALU_DEP_1) | instskip(NEXT) | instid1(VALU_DEP_4)
	v_mul_f64 v[45:46], v[26:27], v[24:25]
	v_mul_f64 v[49:50], v[47:48], v[24:25]
	s_delay_alu instid0(VALU_DEP_4) | instskip(NEXT) | instid1(VALU_DEP_3)
	v_mul_f64 v[53:54], v[51:52], v[24:25]
	v_fma_f64 v[26:27], v[26:27], v[24:25], -v[45:46]
	s_delay_alu instid0(VALU_DEP_3) | instskip(NEXT) | instid1(VALU_DEP_3)
	v_fma_f64 v[47:48], v[47:48], v[24:25], -v[49:50]
	v_fma_f64 v[24:25], v[51:52], v[24:25], -v[53:54]
	s_delay_alu instid0(VALU_DEP_3) | instskip(NEXT) | instid1(VALU_DEP_1)
	v_add_f64 v[51:52], v[49:50], v[26:27]
	v_add_f64 v[55:56], v[51:52], -v[49:50]
	s_delay_alu instid0(VALU_DEP_1) | instskip(SKIP_1) | instid1(VALU_DEP_1)
	v_add_f64 v[26:27], v[26:27], -v[55:56]
	v_add_f64 v[55:56], v[51:52], -v[55:56]
	;; [unrolled: 1-line block ×3, first 2 shown]
	v_add_f64 v[55:56], v[45:46], v[51:52]
	s_delay_alu instid0(VALU_DEP_2) | instskip(NEXT) | instid1(VALU_DEP_2)
	v_add_f64 v[26:27], v[26:27], v[49:50]
	v_add_f64 v[45:46], v[55:56], -v[45:46]
	v_add_f64 v[49:50], v[53:54], v[47:48]
	v_ldexp_f64 v[55:56], v[55:56], -2
	s_delay_alu instid0(VALU_DEP_3) | instskip(NEXT) | instid1(VALU_DEP_3)
	v_add_f64 v[45:46], v[51:52], -v[45:46]
	v_add_f64 v[51:52], v[49:50], -v[53:54]
	s_delay_alu instid0(VALU_DEP_3) | instskip(SKIP_1) | instid1(VALU_DEP_3)
	v_cmp_neq_f64_e64 vcc_lo, 0x7ff00000, |v[55:56]|
	v_fract_f64_e32 v[55:56], v[55:56]
	v_add_f64 v[47:48], v[47:48], -v[51:52]
	v_add_f64 v[51:52], v[49:50], -v[51:52]
	s_delay_alu instid0(VALU_DEP_3) | instskip(NEXT) | instid1(VALU_DEP_2)
	v_dual_cndmask_b32 v56, 0, v56 :: v_dual_cndmask_b32 v55, 0, v55
	v_add_f64 v[51:52], v[53:54], -v[51:52]
	v_add_f64 v[53:54], v[49:50], v[26:27]
	s_delay_alu instid0(VALU_DEP_2) | instskip(NEXT) | instid1(VALU_DEP_2)
	v_add_f64 v[47:48], v[47:48], v[51:52]
	v_add_f64 v[57:58], v[53:54], -v[49:50]
	v_add_f64 v[51:52], v[45:46], v[53:54]
	s_delay_alu instid0(VALU_DEP_2) | instskip(SKIP_1) | instid1(VALU_DEP_3)
	v_add_f64 v[26:27], v[26:27], -v[57:58]
	v_add_f64 v[57:58], v[53:54], -v[57:58]
	;; [unrolled: 1-line block ×3, first 2 shown]
	s_delay_alu instid0(VALU_DEP_2) | instskip(NEXT) | instid1(VALU_DEP_2)
	v_add_f64 v[49:50], v[49:50], -v[57:58]
	v_add_f64 v[45:46], v[53:54], -v[45:46]
	s_delay_alu instid0(VALU_DEP_2) | instskip(SKIP_1) | instid1(VALU_DEP_2)
	v_add_f64 v[26:27], v[26:27], v[49:50]
	v_ldexp_f64 v[49:50], v[55:56], 2
	v_add_f64 v[26:27], v[47:48], v[26:27]
	s_delay_alu instid0(VALU_DEP_2) | instskip(NEXT) | instid1(VALU_DEP_2)
	v_add_f64 v[55:56], v[51:52], v[49:50]
	v_add_f64 v[24:25], v[24:25], v[26:27]
	s_delay_alu instid0(VALU_DEP_2) | instskip(NEXT) | instid1(VALU_DEP_2)
	v_cmp_gt_f64_e32 vcc_lo, 0, v[55:56]
	v_add_f64 v[24:25], v[45:46], v[24:25]
	v_cndmask_b32_e64 v19, 0, 0x40100000, vcc_lo
	s_delay_alu instid0(VALU_DEP_1) | instskip(NEXT) | instid1(VALU_DEP_1)
	v_add_f64 v[26:27], v[49:50], v[18:19]
	v_add_f64 v[47:48], v[51:52], v[26:27]
	s_delay_alu instid0(VALU_DEP_1) | instskip(NEXT) | instid1(VALU_DEP_1)
	v_cvt_i32_f64_e32 v49, v[47:48]
	v_cvt_f64_i32_e32 v[47:48], v49
	s_delay_alu instid0(VALU_DEP_1) | instskip(NEXT) | instid1(VALU_DEP_1)
	v_add_f64 v[26:27], v[26:27], -v[47:48]
	v_add_f64 v[45:46], v[51:52], v[26:27]
	s_delay_alu instid0(VALU_DEP_1) | instskip(SKIP_1) | instid1(VALU_DEP_2)
	v_add_f64 v[26:27], v[45:46], -v[26:27]
	v_cmp_le_f64_e32 vcc_lo, 0.5, v[45:46]
	v_add_f64 v[26:27], v[51:52], -v[26:27]
	v_cndmask_b32_e64 v19, 0, 0x3ff00000, vcc_lo
	s_delay_alu instid0(VALU_DEP_1) | instskip(SKIP_1) | instid1(VALU_DEP_4)
	v_add_f64 v[45:46], v[45:46], -v[18:19]
	v_add_co_ci_u32_e32 v19, vcc_lo, 0, v49, vcc_lo
	v_add_f64 v[24:25], v[24:25], v[26:27]
	s_delay_alu instid0(VALU_DEP_1) | instskip(NEXT) | instid1(VALU_DEP_1)
	v_add_f64 v[26:27], v[45:46], v[24:25]
	v_add_f64 v[45:46], v[26:27], -v[45:46]
	s_delay_alu instid0(VALU_DEP_1) | instskip(SKIP_1) | instid1(VALU_DEP_1)
	v_add_f64 v[24:25], v[24:25], -v[45:46]
	v_mul_f64 v[45:46], v[26:27], s[16:17]
	v_fma_f64 v[47:48], v[26:27], s[16:17], -v[45:46]
	s_delay_alu instid0(VALU_DEP_1) | instskip(NEXT) | instid1(VALU_DEP_1)
	v_fma_f64 v[26:27], v[26:27], s[12:13], v[47:48]
	v_fma_f64 v[26:27], v[24:25], s[16:17], v[26:27]
	s_delay_alu instid0(VALU_DEP_1) | instskip(NEXT) | instid1(VALU_DEP_1)
	v_add_f64 v[24:25], v[45:46], v[26:27]
	v_add_f64 v[45:46], v[24:25], -v[45:46]
	s_delay_alu instid0(VALU_DEP_1)
	v_add_f64 v[26:27], v[26:27], -v[45:46]
	s_and_not1_saveexec_b32 s4, s4
	s_cbranch_execnz .LBB156_310
	s_branch .LBB156_311
.LBB156_305:                            ;   in Loop: Header=BB156_161 Depth=1
	s_and_not1_saveexec_b32 s13, s20
	s_cbranch_execz .LBB156_307
.LBB156_306:                            ;   in Loop: Header=BB156_161 Depth=1
	v_mul_f64 v[19:20], |v[12:13]|, s[22:23]
	s_mov_b32 s20, s24
	s_delay_alu instid0(VALU_DEP_1) | instskip(NEXT) | instid1(VALU_DEP_1)
	v_rndne_f64_e32 v[24:25], v[19:20]
	v_fma_f64 v[19:20], v[24:25], s[18:19], |v[12:13]|
	v_mul_f64 v[21:22], v[24:25], s[24:25]
	s_delay_alu instid0(VALU_DEP_2) | instskip(NEXT) | instid1(VALU_DEP_2)
	v_fma_f64 v[44:45], v[24:25], s[24:25], v[19:20]
	v_add_f64 v[26:27], v[19:20], v[21:22]
	s_delay_alu instid0(VALU_DEP_1) | instskip(NEXT) | instid1(VALU_DEP_3)
	v_add_f64 v[19:20], v[19:20], -v[26:27]
	v_add_f64 v[26:27], v[26:27], -v[44:45]
	s_delay_alu instid0(VALU_DEP_2) | instskip(SKIP_1) | instid1(VALU_DEP_2)
	v_add_f64 v[19:20], v[19:20], v[21:22]
	v_fma_f64 v[21:22], v[24:25], s[20:21], v[21:22]
	v_add_f64 v[19:20], v[26:27], v[19:20]
	s_delay_alu instid0(VALU_DEP_1) | instskip(NEXT) | instid1(VALU_DEP_1)
	v_add_f64 v[19:20], v[19:20], -v[21:22]
	v_fma_f64 v[22:23], v[24:25], s[26:27], v[19:20]
	s_delay_alu instid0(VALU_DEP_1) | instskip(NEXT) | instid1(VALU_DEP_1)
	v_add_f64 v[20:21], v[44:45], v[22:23]
	v_add_f64 v[26:27], v[20:21], -v[44:45]
	v_cvt_i32_f64_e32 v44, v[24:25]
	s_delay_alu instid0(VALU_DEP_2)
	v_add_f64 v[22:23], v[22:23], -v[26:27]
.LBB156_307:                            ;   in Loop: Header=BB156_161 Depth=1
	s_or_b32 exec_lo, exec_lo, s13
                                        ; implicit-def: $vgpr19
                                        ; implicit-def: $vgpr24_vgpr25
                                        ; implicit-def: $vgpr26_vgpr27
	s_and_saveexec_b32 s13, s4
	s_delay_alu instid0(SALU_CYCLE_1)
	s_xor_b32 s4, exec_lo, s13
	s_cbranch_execz .LBB156_320
; %bb.308:                              ;   in Loop: Header=BB156_161 Depth=1
	v_ldexp_f64 v[24:25], |v[12:13]|, 0xffffff80
	v_cmp_le_f64_e64 vcc_lo, 0x7b000000, |v[12:13]|
	v_trig_preop_f64 v[26:27], |v[12:13]|, 0
	v_and_b32_e32 v19, 0x7fffffff, v13
	v_trig_preop_f64 v[47:48], |v[12:13]|, 1
	v_trig_preop_f64 v[51:52], |v[12:13]|, 2
	s_mov_b32 s16, s18
	s_mov_b32 s13, s21
	v_dual_cndmask_b32 v24, v12, v24 :: v_dual_cndmask_b32 v25, v19, v25
	s_delay_alu instid0(VALU_DEP_1) | instskip(NEXT) | instid1(VALU_DEP_4)
	v_mul_f64 v[45:46], v[26:27], v[24:25]
	v_mul_f64 v[49:50], v[47:48], v[24:25]
	s_delay_alu instid0(VALU_DEP_4) | instskip(NEXT) | instid1(VALU_DEP_3)
	v_mul_f64 v[53:54], v[51:52], v[24:25]
	v_fma_f64 v[26:27], v[26:27], v[24:25], -v[45:46]
	s_delay_alu instid0(VALU_DEP_3) | instskip(NEXT) | instid1(VALU_DEP_3)
	v_fma_f64 v[47:48], v[47:48], v[24:25], -v[49:50]
	v_fma_f64 v[24:25], v[51:52], v[24:25], -v[53:54]
	s_delay_alu instid0(VALU_DEP_3) | instskip(NEXT) | instid1(VALU_DEP_1)
	v_add_f64 v[51:52], v[49:50], v[26:27]
	v_add_f64 v[55:56], v[51:52], -v[49:50]
	s_delay_alu instid0(VALU_DEP_1) | instskip(SKIP_1) | instid1(VALU_DEP_1)
	v_add_f64 v[26:27], v[26:27], -v[55:56]
	v_add_f64 v[55:56], v[51:52], -v[55:56]
	;; [unrolled: 1-line block ×3, first 2 shown]
	v_add_f64 v[55:56], v[45:46], v[51:52]
	s_delay_alu instid0(VALU_DEP_2) | instskip(NEXT) | instid1(VALU_DEP_2)
	v_add_f64 v[26:27], v[26:27], v[49:50]
	v_add_f64 v[45:46], v[55:56], -v[45:46]
	v_add_f64 v[49:50], v[53:54], v[47:48]
	v_ldexp_f64 v[55:56], v[55:56], -2
	s_delay_alu instid0(VALU_DEP_3) | instskip(NEXT) | instid1(VALU_DEP_3)
	v_add_f64 v[45:46], v[51:52], -v[45:46]
	v_add_f64 v[51:52], v[49:50], -v[53:54]
	s_delay_alu instid0(VALU_DEP_3) | instskip(SKIP_1) | instid1(VALU_DEP_3)
	v_cmp_neq_f64_e64 vcc_lo, 0x7ff00000, |v[55:56]|
	v_fract_f64_e32 v[55:56], v[55:56]
	v_add_f64 v[47:48], v[47:48], -v[51:52]
	v_add_f64 v[51:52], v[49:50], -v[51:52]
	s_delay_alu instid0(VALU_DEP_3) | instskip(NEXT) | instid1(VALU_DEP_2)
	v_dual_cndmask_b32 v56, 0, v56 :: v_dual_cndmask_b32 v55, 0, v55
	v_add_f64 v[51:52], v[53:54], -v[51:52]
	v_add_f64 v[53:54], v[49:50], v[26:27]
	s_delay_alu instid0(VALU_DEP_2) | instskip(NEXT) | instid1(VALU_DEP_2)
	v_add_f64 v[47:48], v[47:48], v[51:52]
	v_add_f64 v[57:58], v[53:54], -v[49:50]
	v_add_f64 v[51:52], v[45:46], v[53:54]
	s_delay_alu instid0(VALU_DEP_2) | instskip(SKIP_1) | instid1(VALU_DEP_3)
	v_add_f64 v[26:27], v[26:27], -v[57:58]
	v_add_f64 v[57:58], v[53:54], -v[57:58]
	;; [unrolled: 1-line block ×3, first 2 shown]
	s_delay_alu instid0(VALU_DEP_2) | instskip(NEXT) | instid1(VALU_DEP_2)
	v_add_f64 v[49:50], v[49:50], -v[57:58]
	v_add_f64 v[45:46], v[53:54], -v[45:46]
	s_delay_alu instid0(VALU_DEP_2) | instskip(SKIP_1) | instid1(VALU_DEP_2)
	v_add_f64 v[26:27], v[26:27], v[49:50]
	v_ldexp_f64 v[49:50], v[55:56], 2
	v_add_f64 v[26:27], v[47:48], v[26:27]
	s_delay_alu instid0(VALU_DEP_2) | instskip(NEXT) | instid1(VALU_DEP_2)
	v_add_f64 v[55:56], v[51:52], v[49:50]
	v_add_f64 v[24:25], v[24:25], v[26:27]
	s_delay_alu instid0(VALU_DEP_2) | instskip(NEXT) | instid1(VALU_DEP_2)
	v_cmp_gt_f64_e32 vcc_lo, 0, v[55:56]
	v_add_f64 v[24:25], v[45:46], v[24:25]
	v_cndmask_b32_e64 v19, 0, 0x40100000, vcc_lo
	s_delay_alu instid0(VALU_DEP_1) | instskip(NEXT) | instid1(VALU_DEP_1)
	v_add_f64 v[26:27], v[49:50], v[18:19]
	v_add_f64 v[47:48], v[51:52], v[26:27]
	s_delay_alu instid0(VALU_DEP_1) | instskip(NEXT) | instid1(VALU_DEP_1)
	v_cvt_i32_f64_e32 v49, v[47:48]
	v_cvt_f64_i32_e32 v[47:48], v49
	s_delay_alu instid0(VALU_DEP_1) | instskip(NEXT) | instid1(VALU_DEP_1)
	v_add_f64 v[26:27], v[26:27], -v[47:48]
	v_add_f64 v[45:46], v[51:52], v[26:27]
	s_delay_alu instid0(VALU_DEP_1) | instskip(SKIP_1) | instid1(VALU_DEP_2)
	v_add_f64 v[26:27], v[45:46], -v[26:27]
	v_cmp_le_f64_e32 vcc_lo, 0.5, v[45:46]
	v_add_f64 v[26:27], v[51:52], -v[26:27]
	v_cndmask_b32_e64 v19, 0, 0x3ff00000, vcc_lo
	s_delay_alu instid0(VALU_DEP_1) | instskip(SKIP_1) | instid1(VALU_DEP_4)
	v_add_f64 v[45:46], v[45:46], -v[18:19]
	v_add_co_ci_u32_e32 v19, vcc_lo, 0, v49, vcc_lo
	v_add_f64 v[24:25], v[24:25], v[26:27]
	s_delay_alu instid0(VALU_DEP_1) | instskip(NEXT) | instid1(VALU_DEP_1)
	v_add_f64 v[26:27], v[45:46], v[24:25]
	v_add_f64 v[45:46], v[26:27], -v[45:46]
	s_delay_alu instid0(VALU_DEP_1) | instskip(SKIP_1) | instid1(VALU_DEP_1)
	v_add_f64 v[24:25], v[24:25], -v[45:46]
	v_mul_f64 v[45:46], v[26:27], s[16:17]
	v_fma_f64 v[47:48], v[26:27], s[16:17], -v[45:46]
	s_delay_alu instid0(VALU_DEP_1) | instskip(NEXT) | instid1(VALU_DEP_1)
	v_fma_f64 v[26:27], v[26:27], s[12:13], v[47:48]
	v_fma_f64 v[26:27], v[24:25], s[16:17], v[26:27]
	s_delay_alu instid0(VALU_DEP_1) | instskip(NEXT) | instid1(VALU_DEP_1)
	v_add_f64 v[24:25], v[45:46], v[26:27]
	v_add_f64 v[45:46], v[24:25], -v[45:46]
	s_delay_alu instid0(VALU_DEP_1)
	v_add_f64 v[26:27], v[26:27], -v[45:46]
	s_and_not1_saveexec_b32 s4, s4
	s_cbranch_execnz .LBB156_321
	s_branch .LBB156_322
.LBB156_309:                            ;   in Loop: Header=BB156_161 Depth=1
	s_and_not1_saveexec_b32 s4, s4
	s_cbranch_execz .LBB156_311
.LBB156_310:                            ;   in Loop: Header=BB156_161 Depth=1
	v_mul_f64 v[24:25], |v[12:13]|, s[22:23]
	s_mov_b32 s20, s24
	s_delay_alu instid0(VALU_DEP_1) | instskip(NEXT) | instid1(VALU_DEP_1)
	v_rndne_f64_e32 v[45:46], v[24:25]
	v_fma_f64 v[24:25], v[45:46], s[18:19], |v[12:13]|
	v_mul_f64 v[26:27], v[45:46], s[24:25]
	v_cvt_i32_f64_e32 v19, v[45:46]
	s_delay_alu instid0(VALU_DEP_3) | instskip(NEXT) | instid1(VALU_DEP_3)
	v_fma_f64 v[49:50], v[45:46], s[24:25], v[24:25]
	v_add_f64 v[47:48], v[24:25], v[26:27]
	s_delay_alu instid0(VALU_DEP_1) | instskip(NEXT) | instid1(VALU_DEP_3)
	v_add_f64 v[24:25], v[24:25], -v[47:48]
	v_add_f64 v[47:48], v[47:48], -v[49:50]
	s_delay_alu instid0(VALU_DEP_2) | instskip(SKIP_1) | instid1(VALU_DEP_2)
	v_add_f64 v[24:25], v[24:25], v[26:27]
	v_fma_f64 v[26:27], v[45:46], s[20:21], v[26:27]
	v_add_f64 v[24:25], v[47:48], v[24:25]
	s_delay_alu instid0(VALU_DEP_1) | instskip(NEXT) | instid1(VALU_DEP_1)
	v_add_f64 v[24:25], v[24:25], -v[26:27]
	v_fma_f64 v[26:27], v[45:46], s[26:27], v[24:25]
	s_delay_alu instid0(VALU_DEP_1) | instskip(NEXT) | instid1(VALU_DEP_1)
	v_add_f64 v[24:25], v[49:50], v[26:27]
	v_add_f64 v[47:48], v[24:25], -v[49:50]
	s_delay_alu instid0(VALU_DEP_1)
	v_add_f64 v[26:27], v[26:27], -v[47:48]
.LBB156_311:                            ;   in Loop: Header=BB156_161 Depth=1
	s_or_b32 exec_lo, exec_lo, s4
	v_mul_f64 v[45:46], v[20:21], v[20:21]
	s_delay_alu instid0(VALU_DEP_2) | instskip(NEXT) | instid1(VALU_DEP_3)
	v_mul_f64 v[53:54], v[22:23], 0.5
	v_mul_f64 v[59:60], v[26:27], 0.5
	s_mov_b32 s4, s42
	s_mov_b32 s87, s41
	;; [unrolled: 1-line block ×3, first 2 shown]
	s_delay_alu instid0(VALU_DEP_3) | instskip(SKIP_1) | instid1(VALU_DEP_2)
	v_mul_f64 v[47:48], v[45:46], 0.5
	v_mul_f64 v[55:56], v[20:21], -v[45:46]
	v_add_f64 v[49:50], -v[47:48], 1.0
	s_delay_alu instid0(VALU_DEP_1) | instskip(NEXT) | instid1(VALU_DEP_1)
	v_add_f64 v[51:52], -v[49:50], 1.0
	v_add_f64 v[47:48], v[51:52], -v[47:48]
	v_fma_f64 v[51:52], v[45:46], s[34:35], s[30:31]
	s_delay_alu instid0(VALU_DEP_2) | instskip(NEXT) | instid1(VALU_DEP_2)
	v_fma_f64 v[47:48], v[20:21], -v[22:23], v[47:48]
	v_fma_f64 v[51:52], v[45:46], v[51:52], s[36:37]
	s_delay_alu instid0(VALU_DEP_1) | instskip(NEXT) | instid1(VALU_DEP_1)
	v_fma_f64 v[51:52], v[45:46], v[51:52], s[38:39]
	v_fma_f64 v[51:52], v[45:46], v[51:52], s[40:41]
	s_delay_alu instid0(VALU_DEP_1) | instskip(NEXT) | instid1(VALU_DEP_1)
	v_fma_f64 v[51:52], v[55:56], v[51:52], v[53:54]
	v_fma_f64 v[22:23], v[45:46], v[51:52], -v[22:23]
	v_fma_f64 v[51:52], v[45:46], s[98:99], s[96:97]
	s_delay_alu instid0(VALU_DEP_2) | instskip(NEXT) | instid1(VALU_DEP_2)
	v_fma_f64 v[22:23], v[55:56], s[4:5], v[22:23]
	v_fma_f64 v[51:52], v[45:46], v[51:52], s[100:101]
	s_delay_alu instid0(VALU_DEP_2) | instskip(NEXT) | instid1(VALU_DEP_2)
	v_add_f64 v[20:21], v[20:21], -v[22:23]
	v_fma_f64 v[51:52], v[45:46], v[51:52], s[102:103]
	s_delay_alu instid0(VALU_DEP_1) | instskip(NEXT) | instid1(VALU_DEP_1)
	v_fma_f64 v[51:52], v[45:46], v[51:52], s[28:29]
	v_fma_f64 v[51:52], v[45:46], v[51:52], s[42:43]
	v_mul_f64 v[45:46], v[45:46], v[45:46]
	s_delay_alu instid0(VALU_DEP_1) | instskip(SKIP_1) | instid1(VALU_DEP_2)
	v_fma_f64 v[45:46], v[45:46], v[51:52], v[47:48]
	v_mul_f64 v[47:48], v[24:25], v[24:25]
	v_add_f64 v[45:46], v[49:50], v[45:46]
	s_delay_alu instid0(VALU_DEP_2) | instskip(SKIP_2) | instid1(VALU_DEP_1)
	v_mul_f64 v[51:52], v[47:48], 0.5
	v_mul_f64 v[61:62], v[24:25], -v[47:48]
	v_and_b32_e32 v12, 1, v44
	v_cmp_eq_u32_e32 vcc_lo, 0, v12
	v_cndmask_b32_e32 v21, v46, v21, vcc_lo
	v_add_f64 v[53:54], -v[51:52], 1.0
	v_cndmask_b32_e32 v12, v45, v20, vcc_lo
	s_delay_alu instid0(VALU_DEP_2) | instskip(NEXT) | instid1(VALU_DEP_1)
	v_add_f64 v[57:58], -v[53:54], 1.0
	v_add_f64 v[51:52], v[57:58], -v[51:52]
	v_fma_f64 v[57:58], v[47:48], s[34:35], s[30:31]
	s_delay_alu instid0(VALU_DEP_2) | instskip(NEXT) | instid1(VALU_DEP_2)
	v_fma_f64 v[51:52], v[24:25], -v[26:27], v[51:52]
	v_fma_f64 v[57:58], v[47:48], v[57:58], s[36:37]
	s_delay_alu instid0(VALU_DEP_1) | instskip(NEXT) | instid1(VALU_DEP_1)
	v_fma_f64 v[57:58], v[47:48], v[57:58], s[38:39]
	v_fma_f64 v[57:58], v[47:48], v[57:58], s[40:41]
	s_delay_alu instid0(VALU_DEP_1) | instskip(NEXT) | instid1(VALU_DEP_1)
	v_fma_f64 v[57:58], v[61:62], v[57:58], v[59:60]
	v_fma_f64 v[26:27], v[47:48], v[57:58], -v[26:27]
	v_fma_f64 v[57:58], v[47:48], s[98:99], s[96:97]
	s_delay_alu instid0(VALU_DEP_2) | instskip(NEXT) | instid1(VALU_DEP_2)
	v_fma_f64 v[26:27], v[61:62], s[4:5], v[26:27]
	v_fma_f64 v[57:58], v[47:48], v[57:58], s[100:101]
	s_delay_alu instid0(VALU_DEP_2) | instskip(NEXT) | instid1(VALU_DEP_2)
	v_add_f64 v[22:23], v[24:25], -v[26:27]
	v_fma_f64 v[57:58], v[47:48], v[57:58], s[102:103]
	s_delay_alu instid0(VALU_DEP_1) | instskip(NEXT) | instid1(VALU_DEP_1)
	v_fma_f64 v[57:58], v[47:48], v[57:58], s[28:29]
	v_fma_f64 v[57:58], v[47:48], v[57:58], s[42:43]
	v_mul_f64 v[47:48], v[47:48], v[47:48]
	s_delay_alu instid0(VALU_DEP_1) | instskip(NEXT) | instid1(VALU_DEP_1)
	v_fma_f64 v[47:48], v[47:48], v[57:58], v[51:52]
	v_add_f64 v[24:25], v[53:54], v[47:48]
	v_lshlrev_b32_e32 v20, 30, v44
	s_delay_alu instid0(VALU_DEP_1) | instskip(SKIP_2) | instid1(VALU_DEP_3)
	v_xor_b32_e32 v13, v20, v13
	v_and_b32_e32 v20, 1, v19
	v_lshlrev_b32_e32 v19, 30, v19
	v_and_b32_e32 v13, 0x80000000, v13
	s_delay_alu instid0(VALU_DEP_3) | instskip(NEXT) | instid1(VALU_DEP_3)
	v_cmp_eq_u32_e32 vcc_lo, 0, v20
	v_and_b32_e32 v19, 0x80000000, v19
	s_delay_alu instid0(VALU_DEP_3) | instskip(SKIP_1) | instid1(VALU_DEP_2)
	v_xor_b32_e32 v13, v21, v13
	v_xor_b32_e32 v21, 0x80000000, v23
	v_mul_f64 v[12:13], v[12:13], 4.0
	v_cndmask_b32_e32 v20, v22, v24, vcc_lo
	v_mul_f64 v[22:23], |v[10:11]|, s[66:67]
	s_delay_alu instid0(VALU_DEP_4) | instskip(SKIP_1) | instid1(VALU_DEP_2)
	v_cndmask_b32_e32 v21, v21, v25, vcc_lo
	v_cmp_nlt_f64_e64 vcc_lo, 0x4090cc00, |v[10:11]|
	v_xor_b32_e32 v21, v21, v19
	s_delay_alu instid0(VALU_DEP_1) | instskip(SKIP_1) | instid1(VALU_DEP_1)
	v_mul_f64 v[12:13], v[12:13], v[20:21]
	v_rndne_f64_e32 v[22:23], v[22:23]
	v_fma_f64 v[24:25], v[22:23], s[58:59], -|v[10:11]|
	v_cvt_i32_f64_e32 v19, v[22:23]
	s_delay_alu instid0(VALU_DEP_2) | instskip(NEXT) | instid1(VALU_DEP_1)
	v_fma_f64 v[24:25], v[22:23], s[62:63], v[24:25]
	v_fma_f64 v[26:27], v[24:25], s[76:77], s[74:75]
	s_delay_alu instid0(VALU_DEP_1) | instskip(NEXT) | instid1(VALU_DEP_1)
	v_fma_f64 v[26:27], v[24:25], v[26:27], s[78:79]
	v_fma_f64 v[26:27], v[24:25], v[26:27], s[80:81]
	s_delay_alu instid0(VALU_DEP_1) | instskip(NEXT) | instid1(VALU_DEP_1)
	;; [unrolled: 3-line block ×5, first 2 shown]
	v_fma_f64 v[26:27], v[24:25], v[26:27], 1.0
	v_fma_f64 v[24:25], v[24:25], v[26:27], 1.0
	s_delay_alu instid0(VALU_DEP_1) | instskip(NEXT) | instid1(VALU_DEP_1)
	v_ldexp_f64 v[22:23], v[24:25], v19
	v_dual_cndmask_b32 v20, 0, v23 :: v_dual_cndmask_b32 v19, 0, v22
	s_delay_alu instid0(VALU_DEP_1) | instskip(NEXT) | instid1(VALU_DEP_1)
	v_mul_f64 v[12:13], v[19:20], v[12:13]
	v_mul_f64 v[12:13], v[19:20], v[12:13]
	v_bfi_b32 v19, 0x7fffffff, s49, v11
	s_delay_alu instid0(VALU_DEP_1)
	v_dual_mov_b32 v10, v18 :: v_dual_mov_b32 v11, v19
.LBB156_312:                            ;   in Loop: Header=BB156_161 Depth=1
	s_or_b32 exec_lo, exec_lo, s60
.LBB156_313:                            ;   in Loop: Header=BB156_161 Depth=1
	s_and_not1_saveexec_b32 s4, s47
; %bb.314:                              ;   in Loop: Header=BB156_161 Depth=1
	s_delay_alu instid0(VALU_DEP_1) | instskip(NEXT) | instid1(VALU_DEP_1)
	v_add_f64 v[12:13], v[12:13], -v[12:13]
	v_dual_mov_b32 v10, v12 :: v_dual_mov_b32 v11, v13
; %bb.315:                              ;   in Loop: Header=BB156_161 Depth=1
	s_or_b32 exec_lo, exec_lo, s4
	s_and_not1_saveexec_b32 s45, s45
	s_cbranch_execnz .LBB156_295
.LBB156_316:                            ;   in Loop: Header=BB156_161 Depth=1
	s_or_b32 exec_lo, exec_lo, s45
	s_and_saveexec_b32 s4, s0
	s_delay_alu instid0(SALU_CYCLE_1)
	s_xor_b32 s0, exec_lo, s4
	s_cbranch_execz .LBB156_325
.LBB156_317:                            ;   in Loop: Header=BB156_161 Depth=1
	v_add_co_u32 v19, vcc_lo, v29, s6
	v_add_co_ci_u32_e32 v20, vcc_lo, s7, v41, vcc_lo
	global_store_b128 v[19:20], v[6:9], off offset:-8
	s_or_b32 exec_lo, exec_lo, s0
	s_and_saveexec_b32 s0, s1
	s_cbranch_execnz .LBB156_326
.LBB156_318:                            ;   in Loop: Header=BB156_161 Depth=1
	s_or_b32 exec_lo, exec_lo, s0
	s_and_saveexec_b32 s0, s2
	s_cbranch_execz .LBB156_327
.LBB156_319:                            ;   in Loop: Header=BB156_161 Depth=1
	v_add_co_u32 v2, vcc_lo, v37, s6
	v_add_co_ci_u32_e32 v3, vcc_lo, s7, v39, vcc_lo
	global_store_b128 v[2:3], v[14:17], off offset:-8
	s_or_b32 exec_lo, exec_lo, s0
	s_and_saveexec_b32 s0, s3
	s_cbranch_execz .LBB156_160
	s_branch .LBB156_328
.LBB156_320:                            ;   in Loop: Header=BB156_161 Depth=1
	s_and_not1_saveexec_b32 s4, s4
	s_cbranch_execz .LBB156_322
.LBB156_321:                            ;   in Loop: Header=BB156_161 Depth=1
	v_mul_f64 v[24:25], |v[12:13]|, s[22:23]
	s_mov_b32 s20, s24
	s_delay_alu instid0(VALU_DEP_1) | instskip(NEXT) | instid1(VALU_DEP_1)
	v_rndne_f64_e32 v[45:46], v[24:25]
	v_fma_f64 v[24:25], v[45:46], s[18:19], |v[12:13]|
	v_mul_f64 v[26:27], v[45:46], s[24:25]
	v_cvt_i32_f64_e32 v19, v[45:46]
	s_delay_alu instid0(VALU_DEP_3) | instskip(NEXT) | instid1(VALU_DEP_3)
	v_fma_f64 v[49:50], v[45:46], s[24:25], v[24:25]
	v_add_f64 v[47:48], v[24:25], v[26:27]
	s_delay_alu instid0(VALU_DEP_1) | instskip(NEXT) | instid1(VALU_DEP_3)
	v_add_f64 v[24:25], v[24:25], -v[47:48]
	v_add_f64 v[47:48], v[47:48], -v[49:50]
	s_delay_alu instid0(VALU_DEP_2) | instskip(SKIP_1) | instid1(VALU_DEP_2)
	v_add_f64 v[24:25], v[24:25], v[26:27]
	v_fma_f64 v[26:27], v[45:46], s[20:21], v[26:27]
	v_add_f64 v[24:25], v[47:48], v[24:25]
	s_delay_alu instid0(VALU_DEP_1) | instskip(NEXT) | instid1(VALU_DEP_1)
	v_add_f64 v[24:25], v[24:25], -v[26:27]
	v_fma_f64 v[26:27], v[45:46], s[26:27], v[24:25]
	s_delay_alu instid0(VALU_DEP_1) | instskip(NEXT) | instid1(VALU_DEP_1)
	v_add_f64 v[24:25], v[49:50], v[26:27]
	v_add_f64 v[47:48], v[24:25], -v[49:50]
	s_delay_alu instid0(VALU_DEP_1)
	v_add_f64 v[26:27], v[26:27], -v[47:48]
.LBB156_322:                            ;   in Loop: Header=BB156_161 Depth=1
	s_or_b32 exec_lo, exec_lo, s4
	v_mul_f64 v[45:46], v[20:21], v[20:21]
	s_delay_alu instid0(VALU_DEP_2) | instskip(NEXT) | instid1(VALU_DEP_3)
	v_mul_f64 v[53:54], v[22:23], 0.5
	v_mul_f64 v[59:60], v[26:27], 0.5
	s_mov_b32 s4, s42
	s_delay_alu instid0(VALU_DEP_3) | instskip(SKIP_1) | instid1(VALU_DEP_2)
	v_mul_f64 v[47:48], v[45:46], 0.5
	v_mul_f64 v[55:56], v[20:21], -v[45:46]
	v_add_f64 v[49:50], -v[47:48], 1.0
	s_delay_alu instid0(VALU_DEP_1) | instskip(NEXT) | instid1(VALU_DEP_1)
	v_add_f64 v[51:52], -v[49:50], 1.0
	v_add_f64 v[47:48], v[51:52], -v[47:48]
	v_fma_f64 v[51:52], v[45:46], s[34:35], s[30:31]
	s_delay_alu instid0(VALU_DEP_2) | instskip(NEXT) | instid1(VALU_DEP_2)
	v_fma_f64 v[47:48], v[20:21], -v[22:23], v[47:48]
	v_fma_f64 v[51:52], v[45:46], v[51:52], s[36:37]
	s_delay_alu instid0(VALU_DEP_1) | instskip(NEXT) | instid1(VALU_DEP_1)
	v_fma_f64 v[51:52], v[45:46], v[51:52], s[38:39]
	v_fma_f64 v[51:52], v[45:46], v[51:52], s[40:41]
	s_delay_alu instid0(VALU_DEP_1) | instskip(NEXT) | instid1(VALU_DEP_1)
	v_fma_f64 v[51:52], v[55:56], v[51:52], v[53:54]
	v_fma_f64 v[22:23], v[45:46], v[51:52], -v[22:23]
	v_fma_f64 v[51:52], v[45:46], s[98:99], s[96:97]
	s_delay_alu instid0(VALU_DEP_2) | instskip(NEXT) | instid1(VALU_DEP_2)
	v_fma_f64 v[22:23], v[55:56], s[4:5], v[22:23]
	v_fma_f64 v[51:52], v[45:46], v[51:52], s[100:101]
	s_delay_alu instid0(VALU_DEP_2) | instskip(NEXT) | instid1(VALU_DEP_2)
	v_add_f64 v[20:21], v[20:21], -v[22:23]
	v_fma_f64 v[51:52], v[45:46], v[51:52], s[102:103]
	v_and_b32_e32 v22, 1, v44
	s_delay_alu instid0(VALU_DEP_1) | instskip(NEXT) | instid1(VALU_DEP_3)
	v_cmp_eq_u32_e32 vcc_lo, 0, v22
	v_fma_f64 v[51:52], v[45:46], v[51:52], s[28:29]
	s_delay_alu instid0(VALU_DEP_1) | instskip(SKIP_1) | instid1(VALU_DEP_1)
	v_fma_f64 v[51:52], v[45:46], v[51:52], s[42:43]
	v_mul_f64 v[45:46], v[45:46], v[45:46]
	v_fma_f64 v[45:46], v[45:46], v[51:52], v[47:48]
	v_mul_f64 v[47:48], v[24:25], v[24:25]
	s_delay_alu instid0(VALU_DEP_2) | instskip(NEXT) | instid1(VALU_DEP_2)
	v_add_f64 v[45:46], v[49:50], v[45:46]
	v_mul_f64 v[51:52], v[47:48], 0.5
	v_mul_f64 v[61:62], v[24:25], -v[47:48]
	s_delay_alu instid0(VALU_DEP_3) | instskip(NEXT) | instid1(VALU_DEP_3)
	v_dual_cndmask_b32 v45, v45, v20 :: v_dual_cndmask_b32 v46, v46, v21
	v_add_f64 v[53:54], -v[51:52], 1.0
	v_cmp_class_f64_e64 vcc_lo, v[12:13], 0x1f8
	v_lshlrev_b32_e32 v12, 30, v44
	s_delay_alu instid0(VALU_DEP_1) | instskip(NEXT) | instid1(VALU_DEP_1)
	v_xor_b32_e32 v12, v12, v13
	v_and_b32_e32 v12, 0x80000000, v12
	v_add_f64 v[57:58], -v[53:54], 1.0
	s_delay_alu instid0(VALU_DEP_1) | instskip(SKIP_1) | instid1(VALU_DEP_2)
	v_add_f64 v[51:52], v[57:58], -v[51:52]
	v_fma_f64 v[57:58], v[47:48], s[34:35], s[30:31]
	v_fma_f64 v[51:52], v[24:25], -v[26:27], v[51:52]
	s_delay_alu instid0(VALU_DEP_2) | instskip(NEXT) | instid1(VALU_DEP_1)
	v_fma_f64 v[57:58], v[47:48], v[57:58], s[36:37]
	v_fma_f64 v[57:58], v[47:48], v[57:58], s[38:39]
	s_delay_alu instid0(VALU_DEP_1) | instskip(NEXT) | instid1(VALU_DEP_1)
	v_fma_f64 v[57:58], v[47:48], v[57:58], s[40:41]
	v_fma_f64 v[57:58], v[61:62], v[57:58], v[59:60]
	s_delay_alu instid0(VALU_DEP_1) | instskip(SKIP_1) | instid1(VALU_DEP_2)
	v_fma_f64 v[26:27], v[47:48], v[57:58], -v[26:27]
	v_fma_f64 v[57:58], v[47:48], s[98:99], s[96:97]
	v_fma_f64 v[20:21], v[61:62], s[4:5], v[26:27]
	s_delay_alu instid0(VALU_DEP_2) | instskip(NEXT) | instid1(VALU_DEP_2)
	v_fma_f64 v[57:58], v[47:48], v[57:58], s[100:101]
	v_add_f64 v[20:21], v[24:25], -v[20:21]
	s_delay_alu instid0(VALU_DEP_2) | instskip(SKIP_2) | instid1(VALU_DEP_2)
	v_fma_f64 v[57:58], v[47:48], v[57:58], s[102:103]
	v_and_b32_e32 v24, 1, v19
	v_lshlrev_b32_e32 v19, 30, v19
	v_cmp_eq_u32_e64 s4, 0, v24
	v_xor_b32_e32 v13, 0x80000000, v21
	v_fma_f64 v[57:58], v[47:48], v[57:58], s[28:29]
	v_xor_b32_e32 v21, v46, v12
	v_dual_cndmask_b32 v12, 0, v45 :: v_dual_and_b32 v19, 0x80000000, v19
	s_delay_alu instid0(VALU_DEP_3) | instskip(SKIP_1) | instid1(VALU_DEP_1)
	v_fma_f64 v[57:58], v[47:48], v[57:58], s[42:43]
	v_mul_f64 v[47:48], v[47:48], v[47:48]
	v_fma_f64 v[47:48], v[47:48], v[57:58], v[51:52]
	s_delay_alu instid0(VALU_DEP_1) | instskip(NEXT) | instid1(VALU_DEP_1)
	v_add_f64 v[22:23], v[53:54], v[47:48]
	v_cndmask_b32_e64 v13, v13, v23, s4
	s_delay_alu instid0(VALU_DEP_2) | instskip(NEXT) | instid1(VALU_DEP_2)
	v_cndmask_b32_e64 v20, v20, v22, s4
	v_xor_b32_e32 v22, v13, v19
	v_cndmask_b32_e32 v13, 0x7ff80000, v21, vcc_lo
	s_delay_alu instid0(VALU_DEP_3) | instskip(NEXT) | instid1(VALU_DEP_3)
	v_cndmask_b32_e32 v19, 0, v20, vcc_lo
	v_cndmask_b32_e32 v20, 0x7ff80000, v22, vcc_lo
	s_delay_alu instid0(VALU_DEP_1)
	v_mul_f64 v[12:13], v[12:13], v[19:20]
.LBB156_323:                            ;   in Loop: Header=BB156_161 Depth=1
	s_or_b32 exec_lo, exec_lo, s48
	s_delay_alu instid0(VALU_DEP_1) | instskip(SKIP_2) | instid1(VALU_DEP_3)
	v_bfi_b32 v19, 0x7fffffff, 0, v13
	v_add_co_u32 v10, vcc_lo, v10, 0
	v_add_co_ci_u32_e32 v11, vcc_lo, -2.0, v11, vcc_lo
	v_dual_mov_b32 v12, v18 :: v_dual_mov_b32 v13, v19
.LBB156_324:                            ;   in Loop: Header=BB156_161 Depth=1
	s_or_b32 exec_lo, exec_lo, s47
	s_delay_alu instid0(SALU_CYCLE_1) | instskip(SKIP_1) | instid1(SALU_CYCLE_1)
	s_or_b32 exec_lo, exec_lo, s45
	s_and_saveexec_b32 s4, s0
	s_xor_b32 s0, exec_lo, s4
	s_cbranch_execnz .LBB156_317
.LBB156_325:                            ;   in Loop: Header=BB156_161 Depth=1
	s_or_b32 exec_lo, exec_lo, s0
	s_and_saveexec_b32 s0, s1
	s_cbranch_execz .LBB156_318
.LBB156_326:                            ;   in Loop: Header=BB156_161 Depth=1
	v_add_co_u32 v6, vcc_lo, v34, s6
	v_add_co_ci_u32_e32 v7, vcc_lo, s7, v42, vcc_lo
	global_store_b128 v[6:7], v[2:5], off
	s_or_b32 exec_lo, exec_lo, s0
	s_and_saveexec_b32 s0, s2
	s_cbranch_execnz .LBB156_319
.LBB156_327:                            ;   in Loop: Header=BB156_161 Depth=1
	s_or_b32 exec_lo, exec_lo, s0
	s_and_saveexec_b32 s0, s3
	s_cbranch_execz .LBB156_160
.LBB156_328:                            ;   in Loop: Header=BB156_161 Depth=1
	v_add_co_u32 v2, vcc_lo, v31, s6
	v_add_co_ci_u32_e32 v3, vcc_lo, s7, v33, vcc_lo
	global_store_b128 v[2:3], v[10:13], off offset:-8
	s_branch .LBB156_160
.LBB156_329:
	s_nop 0
	s_sendmsg sendmsg(MSG_DEALLOC_VGPRS)
	s_endpgm
	.section	.rodata,"a",@progbits
	.p2align	6, 0x0
	.amdhsa_kernel _ZN2at6native12_GLOBAL__N_125multi_tensor_apply_kernelINS1_18TensorListMetadataILi2EEENS1_14UnaryOpFunctorIN3c107complexIdEELi2ELi1ELi1EEEJNS0_4TanhIS8_EEEEEvT_T0_DpT1_
		.amdhsa_group_segment_fixed_size 0
		.amdhsa_private_segment_fixed_size 0
		.amdhsa_kernarg_size 3408
		.amdhsa_user_sgpr_count 15
		.amdhsa_user_sgpr_dispatch_ptr 0
		.amdhsa_user_sgpr_queue_ptr 0
		.amdhsa_user_sgpr_kernarg_segment_ptr 1
		.amdhsa_user_sgpr_dispatch_id 0
		.amdhsa_user_sgpr_private_segment_size 0
		.amdhsa_wavefront_size32 1
		.amdhsa_uses_dynamic_stack 0
		.amdhsa_enable_private_segment 0
		.amdhsa_system_sgpr_workgroup_id_x 1
		.amdhsa_system_sgpr_workgroup_id_y 0
		.amdhsa_system_sgpr_workgroup_id_z 0
		.amdhsa_system_sgpr_workgroup_info 0
		.amdhsa_system_vgpr_workitem_id 0
		.amdhsa_next_free_vgpr 64
		.amdhsa_next_free_sgpr 105
		.amdhsa_reserve_vcc 1
		.amdhsa_float_round_mode_32 0
		.amdhsa_float_round_mode_16_64 0
		.amdhsa_float_denorm_mode_32 3
		.amdhsa_float_denorm_mode_16_64 3
		.amdhsa_dx10_clamp 1
		.amdhsa_ieee_mode 1
		.amdhsa_fp16_overflow 0
		.amdhsa_workgroup_processor_mode 1
		.amdhsa_memory_ordered 1
		.amdhsa_forward_progress 0
		.amdhsa_shared_vgpr_count 0
		.amdhsa_exception_fp_ieee_invalid_op 0
		.amdhsa_exception_fp_denorm_src 0
		.amdhsa_exception_fp_ieee_div_zero 0
		.amdhsa_exception_fp_ieee_overflow 0
		.amdhsa_exception_fp_ieee_underflow 0
		.amdhsa_exception_fp_ieee_inexact 0
		.amdhsa_exception_int_div_zero 0
	.end_amdhsa_kernel
	.section	.text._ZN2at6native12_GLOBAL__N_125multi_tensor_apply_kernelINS1_18TensorListMetadataILi2EEENS1_14UnaryOpFunctorIN3c107complexIdEELi2ELi1ELi1EEEJNS0_4TanhIS8_EEEEEvT_T0_DpT1_,"axG",@progbits,_ZN2at6native12_GLOBAL__N_125multi_tensor_apply_kernelINS1_18TensorListMetadataILi2EEENS1_14UnaryOpFunctorIN3c107complexIdEELi2ELi1ELi1EEEJNS0_4TanhIS8_EEEEEvT_T0_DpT1_,comdat
.Lfunc_end156:
	.size	_ZN2at6native12_GLOBAL__N_125multi_tensor_apply_kernelINS1_18TensorListMetadataILi2EEENS1_14UnaryOpFunctorIN3c107complexIdEELi2ELi1ELi1EEEJNS0_4TanhIS8_EEEEEvT_T0_DpT1_, .Lfunc_end156-_ZN2at6native12_GLOBAL__N_125multi_tensor_apply_kernelINS1_18TensorListMetadataILi2EEENS1_14UnaryOpFunctorIN3c107complexIdEELi2ELi1ELi1EEEJNS0_4TanhIS8_EEEEEvT_T0_DpT1_
                                        ; -- End function
	.section	.AMDGPU.csdata,"",@progbits
; Kernel info:
; codeLenInByte = 70140
; NumSgprs: 107
; NumVgprs: 64
; ScratchSize: 0
; MemoryBound: 1
; FloatMode: 240
; IeeeMode: 1
; LDSByteSize: 0 bytes/workgroup (compile time only)
; SGPRBlocks: 13
; VGPRBlocks: 7
; NumSGPRsForWavesPerEU: 107
; NumVGPRsForWavesPerEU: 64
; Occupancy: 16
; WaveLimiterHint : 0
; COMPUTE_PGM_RSRC2:SCRATCH_EN: 0
; COMPUTE_PGM_RSRC2:USER_SGPR: 15
; COMPUTE_PGM_RSRC2:TRAP_HANDLER: 0
; COMPUTE_PGM_RSRC2:TGID_X_EN: 1
; COMPUTE_PGM_RSRC2:TGID_Y_EN: 0
; COMPUTE_PGM_RSRC2:TGID_Z_EN: 0
; COMPUTE_PGM_RSRC2:TIDIG_COMP_CNT: 0
	.section	.text._ZN2at6native12_GLOBAL__N_125multi_tensor_apply_kernelINS1_18TensorListMetadataILi2EEENS1_14UnaryOpFunctorIN3c107complexIfEELi2ELi1ELi1EEEJNS0_4TanhIS8_EEEEEvT_T0_DpT1_,"axG",@progbits,_ZN2at6native12_GLOBAL__N_125multi_tensor_apply_kernelINS1_18TensorListMetadataILi2EEENS1_14UnaryOpFunctorIN3c107complexIfEELi2ELi1ELi1EEEJNS0_4TanhIS8_EEEEEvT_T0_DpT1_,comdat
	.globl	_ZN2at6native12_GLOBAL__N_125multi_tensor_apply_kernelINS1_18TensorListMetadataILi2EEENS1_14UnaryOpFunctorIN3c107complexIfEELi2ELi1ELi1EEEJNS0_4TanhIS8_EEEEEvT_T0_DpT1_ ; -- Begin function _ZN2at6native12_GLOBAL__N_125multi_tensor_apply_kernelINS1_18TensorListMetadataILi2EEENS1_14UnaryOpFunctorIN3c107complexIfEELi2ELi1ELi1EEEJNS0_4TanhIS8_EEEEEvT_T0_DpT1_
	.p2align	8
	.type	_ZN2at6native12_GLOBAL__N_125multi_tensor_apply_kernelINS1_18TensorListMetadataILi2EEENS1_14UnaryOpFunctorIN3c107complexIfEELi2ELi1ELi1EEEJNS0_4TanhIS8_EEEEEvT_T0_DpT1_,@function
_ZN2at6native12_GLOBAL__N_125multi_tensor_apply_kernelINS1_18TensorListMetadataILi2EEENS1_14UnaryOpFunctorIN3c107complexIfEELi2ELi1ELi1EEEJNS0_4TanhIS8_EEEEEvT_T0_DpT1_: ; @_ZN2at6native12_GLOBAL__N_125multi_tensor_apply_kernelINS1_18TensorListMetadataILi2EEENS1_14UnaryOpFunctorIN3c107complexIfEELi2ELi1ELi1EEEJNS0_4TanhIS8_EEEEEvT_T0_DpT1_
; %bb.0:
	v_mov_b32_e32 v1, s15
	s_add_u32 s2, s0, s15
	s_mul_hi_u32 s3, s15, 3
	s_mul_i32 s15, s15, 3
	s_addc_u32 s4, s1, 0
	global_load_u8 v1, v1, s[0:1] offset:1536
	s_add_u32 s2, s2, s15
	s_addc_u32 s3, s4, s3
	s_mov_b32 s19, 0
	s_load_b32 s2, s[2:3], 0x740
	s_mov_b32 s21, s19
	s_mov_b32 s23, s19
	s_waitcnt vmcnt(0)
	v_readfirstlane_b32 s5, v1
	s_delay_alu instid0(VALU_DEP_1)
	s_lshl_b32 s3, s5, 3
	s_clause 0x2
	s_load_b64 s[6:7], s[0:1], s3 offset:0x0
	s_load_b64 s[16:17], s[0:1], s3 offset:0x200
	s_load_b64 s[10:11], s[0:1], s3 offset:0x400
	s_waitcnt lgkmcnt(0)
	s_ashr_i32 s3, s2, 31
	s_delay_alu instid0(SALU_CYCLE_1) | instskip(NEXT) | instid1(SALU_CYCLE_1)
	s_lshl_b64 s[8:9], s[2:3], 19
	s_add_u32 s5, s6, s8
	s_addc_u32 s12, s7, s9
	s_add_u32 s13, s16, s8
	s_addc_u32 s14, s17, s9
	s_and_b32 s20, s5, 31
	s_and_b32 s22, s10, 3
	;; [unrolled: 1-line block ×3, first 2 shown]
	s_or_b64 s[20:21], s[20:21], s[22:23]
	s_lshl_b64 s[2:3], s[2:3], 16
	s_or_b64 s[18:19], s[18:19], s[20:21]
	s_sub_u32 s10, s10, s2
	s_subb_u32 s11, s11, s3
	s_cmp_eq_u64 s[18:19], 0
	s_mov_b32 s2, -1
	s_cbranch_scc0 .LBB157_157
; %bb.1:
	v_dual_mov_b32 v14, 0 :: v_dual_lshlrev_b32 v13, 2, v0
	s_mov_b32 s15, exec_lo
	s_delay_alu instid0(VALU_DEP_1)
	v_cmpx_gt_i64_e64 s[10:11], v[13:14]
	s_cbranch_execz .LBB157_156
; %bb.2:
	s_load_b32 s2, s[0:1], 0xc5c
	s_mov_b32 s18, 0
	s_mov_b32 s21, 0x7fffff
	;; [unrolled: 1-line block ×7, first 2 shown]
	s_waitcnt lgkmcnt(0)
	s_and_b32 s2, s2, 0xffff
	s_delay_alu instid0(SALU_CYCLE_1) | instskip(SKIP_3) | instid1(VALU_DEP_2)
	v_add_lshl_u32 v13, v0, s2, 2
	v_dual_mov_b32 v16, v14 :: v_dual_lshlrev_b32 v17, 5, v0
	s_lshl_b32 s19, s2, 2
	s_lshl_b32 s20, s2, 5
	v_mov_b32_e32 v15, v13
	s_branch .LBB157_7
.LBB157_3:                              ;   in Loop: Header=BB157_7 Depth=1
	s_or_b32 exec_lo, exec_lo, s2
	v_mul_f32_e32 v12, v2, v2
	v_and_b32_e32 v18, 1, v11
	v_dual_mul_f32 v20, v13, v13 :: v_dual_and_b32 v23, 1, v19
	v_lshlrev_b32_e32 v11, 30, v11
	s_delay_alu instid0(VALU_DEP_4) | instskip(SKIP_2) | instid1(VALU_DEP_3)
	v_fmaak_f32 v21, s25, v12, 0x3c0881c4
	v_dual_fmaak_f32 v22, s26, v12, 0xbab64f3b :: v_dual_lshlrev_b32 v19, 30, v19
	v_cmp_eq_u32_e32 vcc_lo, 0, v18
	v_fmaak_f32 v21, v12, v21, 0xbe2aaa9d
	s_delay_alu instid0(VALU_DEP_1) | instskip(NEXT) | instid1(VALU_DEP_1)
	v_dual_fmaak_f32 v24, s25, v20, 0x3c0881c4 :: v_dual_mul_f32 v21, v12, v21
	v_fmaak_f32 v24, v20, v24, 0xbe2aaa9d
	v_fmaak_f32 v25, s26, v20, 0xbab64f3b
	s_delay_alu instid0(VALU_DEP_3) | instskip(NEXT) | instid1(VALU_DEP_3)
	v_dual_fmac_f32 v2, v2, v21 :: v_dual_and_b32 v11, 0x80000000, v11
	v_mul_f32_e32 v24, v20, v24
	v_fmaak_f32 v22, v12, v22, 0x3d2aabf7
	s_delay_alu instid0(VALU_DEP_4) | instskip(NEXT) | instid1(VALU_DEP_4)
	v_fmaak_f32 v25, v20, v25, 0x3d2aabf7
	v_xor_b32_e32 v1, v1, v11
	s_delay_alu instid0(VALU_DEP_3) | instskip(NEXT) | instid1(VALU_DEP_3)
	v_dual_fmac_f32 v13, v13, v24 :: v_dual_fmaak_f32 v22, v12, v22, 0xbf000004
	v_fmaak_f32 v25, v20, v25, 0xbf000004
	s_delay_alu instid0(VALU_DEP_2) | instskip(NEXT) | instid1(VALU_DEP_2)
	v_fma_f32 v12, v12, v22, 1.0
	v_fma_f32 v11, v20, v25, 1.0
	s_delay_alu instid0(VALU_DEP_2) | instskip(SKIP_2) | instid1(VALU_DEP_3)
	v_cndmask_b32_e32 v2, v12, v2, vcc_lo
	v_cmp_eq_u32_e32 vcc_lo, 0, v23
	v_and_b32_e32 v12, 0x80000000, v19
	v_xor3_b32 v1, v1, v2, v4
	v_cndmask_b32_e64 v11, -v13, v11, vcc_lo
	v_cmp_class_f32_e64 vcc_lo, v4, 0x1f8
	s_delay_alu instid0(VALU_DEP_2) | instskip(NEXT) | instid1(VALU_DEP_1)
	v_xor_b32_e32 v2, v12, v11
	v_mul_f32_e32 v1, v1, v2
	s_delay_alu instid0(VALU_DEP_1)
	v_cndmask_b32_e32 v4, 0x7fc00000, v1, vcc_lo
.LBB157_4:                              ;   in Loop: Header=BB157_7 Depth=1
	s_or_b32 exec_lo, exec_lo, s29
	v_add_nc_u32_e32 v3, -2.0, v3
	s_delay_alu instid0(VALU_DEP_2)
	v_bfi_b32 v12, 0x7fffffff, 0, v4
.LBB157_5:                              ;   in Loop: Header=BB157_7 Depth=1
	s_or_b32 exec_lo, exec_lo, s28
	s_delay_alu instid0(VALU_DEP_2)
	v_mov_b32_e32 v11, v3
.LBB157_6:                              ;   in Loop: Header=BB157_7 Depth=1
	s_or_b32 exec_lo, exec_lo, s27
	v_cmp_le_i64_e32 vcc_lo, s[10:11], v[15:16]
	v_cmp_lt_u64_e64 s2, 0xffff, v[15:16]
	v_add_co_u32 v1, s3, s13, v17
	s_delay_alu instid0(VALU_DEP_1)
	v_add_co_ci_u32_e64 v2, null, s14, 0, s3
	s_clause 0x1
	global_store_b128 v[1:2], v[5:8], off
	global_store_b128 v[1:2], v[9:12], off offset:16
	s_or_b32 s2, vcc_lo, s2
	s_add_u32 s5, s5, s20
	v_add_co_u32 v15, vcc_lo, v15, s19
	s_addc_u32 s12, s12, 0
	s_add_u32 s13, s13, s20
	v_add_co_ci_u32_e32 v16, vcc_lo, 0, v16, vcc_lo
	s_addc_u32 s14, s14, 0
	s_and_b32 s2, exec_lo, s2
	s_delay_alu instid0(SALU_CYCLE_1) | instskip(NEXT) | instid1(SALU_CYCLE_1)
	s_or_b32 s18, s2, s18
	s_and_not1_b32 exec_lo, exec_lo, s18
	s_cbranch_execz .LBB157_156
.LBB157_7:                              ; =>This Inner Loop Header: Depth=1
	v_add_co_u32 v1, s2, s5, v17
	s_delay_alu instid0(VALU_DEP_1)
	v_add_co_ci_u32_e64 v2, null, s12, 0, s2
                                        ; implicit-def: $vgpr6
	s_mov_b32 s2, exec_lo
	s_clause 0x1
	global_load_b128 v[9:12], v[1:2], off
	global_load_b128 v[1:4], v[1:2], off offset:16
	s_waitcnt vmcnt(1)
	v_and_b32_e32 v5, 0x7fffffff, v9
	s_delay_alu instid0(VALU_DEP_1)
	v_cmpx_gt_u32_e32 0x7f800000, v5
	s_xor_b32 s27, exec_lo, s2
	s_cbranch_execz .LBB157_29
; %bb.8:                                ;   in Loop: Header=BB157_7 Depth=1
	v_cmp_class_f32_e64 s2, v10, 0x1f8
                                        ; implicit-def: $vgpr6
	s_delay_alu instid0(VALU_DEP_1) | instskip(NEXT) | instid1(SALU_CYCLE_1)
	s_and_saveexec_b32 s3, s2
	s_xor_b32 s28, exec_lo, s3
	s_cbranch_execz .LBB157_26
; %bb.9:                                ;   in Loop: Header=BB157_7 Depth=1
	v_and_b32_e32 v7, 0x7fffffff, v10
                                        ; implicit-def: $vgpr6
	s_mov_b32 s2, exec_lo
	v_cmpx_gt_u32_e32 0x41300000, v5
	s_xor_b32 s29, exec_lo, s2
	s_cbranch_execz .LBB157_15
; %bb.10:                               ;   in Loop: Header=BB157_7 Depth=1
                                        ; implicit-def: $vgpr5
                                        ; implicit-def: $vgpr6
	s_mov_b32 s3, exec_lo
	v_cmpx_ngt_f32_e64 0x48000000, |v10|
	s_xor_b32 s30, exec_lo, s3
	s_cbranch_execz .LBB157_12
; %bb.11:                               ;   in Loop: Header=BB157_7 Depth=1
	v_and_or_b32 v8, v7, s21, 0x800000
	s_delay_alu instid0(VALU_DEP_1) | instskip(NEXT) | instid1(VALU_DEP_1)
	v_mad_u64_u32 v[5:6], null, 0xfe5163ab, v8, 0
	v_mov_b32_e32 v13, v6
	v_lshrrev_b32_e32 v6, 23, v7
	s_delay_alu instid0(VALU_DEP_1) | instskip(NEXT) | instid1(VALU_DEP_3)
	v_add_nc_u32_e32 v6, 0xffffff88, v6
	v_mad_u64_u32 v[18:19], null, 0x3c439041, v8, v[13:14]
	s_delay_alu instid0(VALU_DEP_2) | instskip(SKIP_1) | instid1(VALU_DEP_1)
	v_cmp_lt_u32_e32 vcc_lo, 63, v6
	v_cndmask_b32_e64 v23, 0, 0xffffffc0, vcc_lo
	v_add_nc_u32_e32 v6, v23, v6
	s_delay_alu instid0(VALU_DEP_1) | instskip(NEXT) | instid1(VALU_DEP_1)
	v_cmp_lt_u32_e64 s2, 31, v6
	v_cndmask_b32_e64 v24, 0, 0xffffffe0, s2
	s_delay_alu instid0(VALU_DEP_1) | instskip(NEXT) | instid1(VALU_DEP_1)
	v_dual_mov_b32 v13, v19 :: v_dual_add_nc_u32 v6, v24, v6
	v_mad_u64_u32 v[19:20], null, 0xdb629599, v8, v[13:14]
	s_delay_alu instid0(VALU_DEP_2) | instskip(NEXT) | instid1(VALU_DEP_2)
	v_cmp_lt_u32_e64 s3, 31, v6
	v_mov_b32_e32 v13, v20
	s_delay_alu instid0(VALU_DEP_3) | instskip(NEXT) | instid1(VALU_DEP_2)
	v_cndmask_b32_e32 v5, v19, v5, vcc_lo
	v_mad_u64_u32 v[20:21], null, 0xf534ddc0, v8, v[13:14]
	s_delay_alu instid0(VALU_DEP_1) | instskip(NEXT) | instid1(VALU_DEP_1)
	v_mov_b32_e32 v13, v21
	v_mad_u64_u32 v[21:22], null, 0xfc2757d1, v8, v[13:14]
	s_delay_alu instid0(VALU_DEP_1) | instskip(NEXT) | instid1(VALU_DEP_1)
	v_mov_b32_e32 v13, v22
	;; [unrolled: 3-line block ×3, first 2 shown]
	v_mad_u64_u32 v[23:24], null, 0xa2f9836e, v8, v[13:14]
	v_cndmask_b32_e64 v8, 0, 0xffffffe0, s3
	s_delay_alu instid0(VALU_DEP_1) | instskip(NEXT) | instid1(VALU_DEP_3)
	v_dual_cndmask_b32 v13, v22, v20 :: v_dual_add_nc_u32 v6, v8, v6
	v_dual_cndmask_b32 v8, v20, v18 :: v_dual_cndmask_b32 v23, v23, v21
	s_delay_alu instid0(VALU_DEP_4) | instskip(NEXT) | instid1(VALU_DEP_3)
	v_dual_cndmask_b32 v22, v24, v22 :: v_dual_cndmask_b32 v21, v21, v19
	v_cmp_eq_u32_e64 s4, 0, v6
	s_delay_alu instid0(VALU_DEP_3) | instskip(NEXT) | instid1(VALU_DEP_4)
	v_cndmask_b32_e64 v5, v8, v5, s2
	v_cndmask_b32_e64 v18, v23, v13, s2
	s_delay_alu instid0(VALU_DEP_4) | instskip(SKIP_3) | instid1(VALU_DEP_4)
	v_cndmask_b32_e64 v20, v22, v23, s2
	v_cndmask_b32_e64 v13, v13, v21, s2
	v_sub_nc_u32_e32 v22, 32, v6
	v_cndmask_b32_e64 v21, v21, v8, s2
	v_cndmask_b32_e64 v20, v20, v18, s3
	s_delay_alu instid0(VALU_DEP_4) | instskip(NEXT) | instid1(VALU_DEP_3)
	v_cndmask_b32_e64 v18, v18, v13, s3
	v_cndmask_b32_e64 v13, v13, v21, s3
	;; [unrolled: 1-line block ×3, first 2 shown]
	s_delay_alu instid0(VALU_DEP_3) | instskip(NEXT) | instid1(VALU_DEP_3)
	v_alignbit_b32 v23, v20, v18, v22
	v_alignbit_b32 v24, v18, v13, v22
	s_delay_alu instid0(VALU_DEP_3) | instskip(NEXT) | instid1(VALU_DEP_3)
	v_alignbit_b32 v22, v13, v5, v22
	v_cndmask_b32_e64 v6, v23, v20, s4
	s_delay_alu instid0(VALU_DEP_3) | instskip(NEXT) | instid1(VALU_DEP_3)
	v_cndmask_b32_e64 v18, v24, v18, s4
	v_cndmask_b32_e64 v13, v22, v13, s4
	s_delay_alu instid0(VALU_DEP_3) | instskip(NEXT) | instid1(VALU_DEP_3)
	v_bfe_u32 v19, v6, 29, 1
	v_alignbit_b32 v8, v6, v18, 30
	s_delay_alu instid0(VALU_DEP_3) | instskip(SKIP_1) | instid1(VALU_DEP_4)
	v_alignbit_b32 v18, v18, v13, 30
	v_alignbit_b32 v5, v13, v5, 30
	v_sub_nc_u32_e32 v20, 0, v19
	s_delay_alu instid0(VALU_DEP_1) | instskip(SKIP_3) | instid1(VALU_DEP_4)
	v_xor_b32_e32 v21, v8, v20
	v_cmp_ne_u32_e32 vcc_lo, v8, v20
	v_xor_b32_e32 v13, v18, v20
	v_xor_b32_e32 v5, v5, v20
	v_clz_i32_u32_e32 v23, v21
	s_delay_alu instid0(VALU_DEP_1) | instskip(NEXT) | instid1(VALU_DEP_1)
	v_add_nc_u32_e32 v22, 1, v23
	v_cndmask_b32_e32 v8, 33, v22, vcc_lo
	s_delay_alu instid0(VALU_DEP_1) | instskip(NEXT) | instid1(VALU_DEP_1)
	v_sub_nc_u32_e32 v18, 32, v8
	v_alignbit_b32 v20, v21, v13, v18
	v_alignbit_b32 v5, v13, v5, v18
	v_lshrrev_b32_e32 v13, 29, v6
	s_delay_alu instid0(VALU_DEP_2) | instskip(NEXT) | instid1(VALU_DEP_2)
	v_alignbit_b32 v18, v20, v5, 9
	v_lshlrev_b32_e32 v13, 31, v13
	v_alignbit_b32 v20, v8, v20, 9
	s_delay_alu instid0(VALU_DEP_3) | instskip(NEXT) | instid1(VALU_DEP_2)
	v_clz_i32_u32_e32 v21, v18
	v_or_b32_e32 v20, v20, v13
	v_or_b32_e32 v13, 0x33800000, v13
	s_delay_alu instid0(VALU_DEP_3) | instskip(NEXT) | instid1(VALU_DEP_3)
	v_min_u32_e32 v21, 32, v21
	v_xor_b32_e32 v20, 1.0, v20
	s_delay_alu instid0(VALU_DEP_2) | instskip(SKIP_1) | instid1(VALU_DEP_3)
	v_sub_nc_u32_e32 v22, 31, v21
	v_add_lshl_u32 v8, v21, v8, 23
	v_mul_f32_e32 v21, 0x3fc90fda, v20
	s_delay_alu instid0(VALU_DEP_3) | instskip(NEXT) | instid1(VALU_DEP_3)
	v_alignbit_b32 v5, v18, v5, v22
	v_sub_nc_u32_e32 v8, v13, v8
	s_delay_alu instid0(VALU_DEP_3) | instskip(NEXT) | instid1(VALU_DEP_3)
	v_fma_f32 v13, 0x3fc90fda, v20, -v21
	v_lshrrev_b32_e32 v5, 9, v5
	s_delay_alu instid0(VALU_DEP_2) | instskip(NEXT) | instid1(VALU_DEP_2)
	v_fmac_f32_e32 v13, 0x33a22168, v20
	v_or_b32_e32 v5, v8, v5
	s_delay_alu instid0(VALU_DEP_1) | instskip(SKIP_1) | instid1(VALU_DEP_2)
	v_fmac_f32_e32 v13, 0x3fc90fda, v5
	v_lshrrev_b32_e32 v5, 30, v6
	v_add_f32_e32 v6, v21, v13
	s_delay_alu instid0(VALU_DEP_2)
	v_add_nc_u32_e32 v5, v19, v5
.LBB157_12:                             ;   in Loop: Header=BB157_7 Depth=1
	s_and_not1_saveexec_b32 s2, s30
; %bb.13:                               ;   in Loop: Header=BB157_7 Depth=1
	v_mul_f32_e64 v5, 0x3f22f983, |v10|
	s_delay_alu instid0(VALU_DEP_1) | instskip(NEXT) | instid1(VALU_DEP_1)
	v_rndne_f32_e32 v5, v5
	v_fma_f32 v6, 0xbfc90fda, v5, |v10|
	s_delay_alu instid0(VALU_DEP_1) | instskip(NEXT) | instid1(VALU_DEP_1)
	v_fmac_f32_e32 v6, 0xb3a22168, v5
	v_fmac_f32_e32 v6, 0xa7c234c4, v5
	v_cvt_i32_f32_e32 v5, v5
; %bb.14:                               ;   in Loop: Header=BB157_7 Depth=1
	s_or_b32 exec_lo, exec_lo, s2
	v_add_f32_e64 v8, 0xbf317218, |v9|
	v_cmp_nlt_f32_e64 vcc_lo, 0x42b2d4fc, |v9|
	v_cmp_gt_f32_e64 s2, 0x39800000, |v9|
	v_and_b32_e32 v5, 1, v5
	s_delay_alu instid0(VALU_DEP_4) | instskip(NEXT) | instid1(VALU_DEP_1)
	v_sub_f32_e64 v13, v8, |v9|
	v_dual_sub_f32 v18, v13, v8 :: v_dual_add_f32 v13, 0x3f317218, v13
	s_delay_alu instid0(VALU_DEP_1) | instskip(NEXT) | instid1(VALU_DEP_1)
	v_add_f32_e64 v18, |v9|, v18
	v_sub_f32_e32 v13, v18, v13
	s_delay_alu instid0(VALU_DEP_1) | instskip(NEXT) | instid1(VALU_DEP_1)
	v_add_f32_e32 v13, 0x3102e308, v13
	v_add_f32_e32 v18, v8, v13
	s_delay_alu instid0(VALU_DEP_1) | instskip(NEXT) | instid1(VALU_DEP_1)
	v_sub_f32_e32 v8, v8, v18
	v_dual_mul_f32 v19, 0x3fb8aa3b, v18 :: v_dual_add_f32 v8, v13, v8
	s_delay_alu instid0(VALU_DEP_1) | instskip(NEXT) | instid1(VALU_DEP_1)
	v_rndne_f32_e32 v19, v19
	v_mul_f32_e32 v13, 0x35bfbc00, v19
	v_fmac_f32_e32 v18, 0xbf317200, v19
	s_delay_alu instid0(VALU_DEP_1) | instskip(NEXT) | instid1(VALU_DEP_1)
	v_add_f32_e32 v20, v8, v18
	v_dual_sub_f32 v21, v20, v13 :: v_dual_sub_f32 v18, v18, v20
	s_delay_alu instid0(VALU_DEP_1) | instskip(NEXT) | instid1(VALU_DEP_1)
	v_sub_f32_e32 v20, v20, v21
	v_sub_f32_e32 v13, v20, v13
	s_delay_alu instid0(VALU_DEP_3) | instskip(NEXT) | instid1(VALU_DEP_1)
	v_add_f32_e32 v8, v8, v18
	v_dual_add_f32 v8, v8, v13 :: v_dual_mul_f32 v13, 0x2ea39ef3, v19
	s_delay_alu instid0(VALU_DEP_1) | instskip(NEXT) | instid1(VALU_DEP_1)
	v_add_f32_e32 v18, v21, v8
	v_dual_sub_f32 v20, v18, v13 :: v_dual_sub_f32 v21, v21, v18
	s_delay_alu instid0(VALU_DEP_1) | instskip(NEXT) | instid1(VALU_DEP_2)
	v_sub_f32_e32 v18, v18, v20
	v_add_f32_e32 v8, v8, v21
	s_delay_alu instid0(VALU_DEP_2) | instskip(NEXT) | instid1(VALU_DEP_1)
	v_sub_f32_e32 v13, v18, v13
	v_add_f32_e32 v8, v8, v13
	s_delay_alu instid0(VALU_DEP_1) | instskip(NEXT) | instid1(VALU_DEP_1)
	v_add_f32_e32 v13, v20, v8
	v_sub_f32_e32 v18, v20, v13
	v_mul_f32_e32 v20, v13, v13
	s_delay_alu instid0(VALU_DEP_2) | instskip(SKIP_1) | instid1(VALU_DEP_3)
	v_add_f32_e32 v8, v8, v18
	v_fmaak_f32 v18, s24, v13, 0x3c091de6
	v_fma_f32 v21, v13, v13, -v20
	s_delay_alu instid0(VALU_DEP_3) | instskip(NEXT) | instid1(VALU_DEP_3)
	v_add_f32_e32 v22, v8, v8
	v_fmaak_f32 v18, v13, v18, 0x3d2aadcc
	s_delay_alu instid0(VALU_DEP_2) | instskip(NEXT) | instid1(VALU_DEP_2)
	v_fmac_f32_e32 v21, v13, v22
	v_fmaak_f32 v18, v13, v18, 0x3e2aaa47
	s_delay_alu instid0(VALU_DEP_2) | instskip(NEXT) | instid1(VALU_DEP_2)
	v_add_f32_e32 v22, v20, v21
	v_fmaak_f32 v18, v13, v18, 0x3efffffc
	s_delay_alu instid0(VALU_DEP_2) | instskip(NEXT) | instid1(VALU_DEP_1)
	v_sub_f32_e32 v20, v22, v20
	v_dual_mul_f32 v23, v18, v22 :: v_dual_sub_f32 v20, v21, v20
	s_delay_alu instid0(VALU_DEP_1) | instskip(NEXT) | instid1(VALU_DEP_1)
	v_fma_f32 v21, v22, v18, -v23
	v_fmac_f32_e32 v21, v20, v18
	s_delay_alu instid0(VALU_DEP_1) | instskip(NEXT) | instid1(VALU_DEP_1)
	v_add_f32_e32 v18, v23, v21
	v_sub_f32_e32 v22, v18, v23
	v_add_f32_e32 v20, v13, v18
	s_delay_alu instid0(VALU_DEP_2) | instskip(NEXT) | instid1(VALU_DEP_2)
	v_sub_f32_e32 v21, v21, v22
	v_sub_f32_e32 v13, v20, v13
	s_delay_alu instid0(VALU_DEP_1) | instskip(NEXT) | instid1(VALU_DEP_3)
	v_sub_f32_e32 v13, v18, v13
	v_add_f32_e32 v8, v8, v21
	s_delay_alu instid0(VALU_DEP_1) | instskip(NEXT) | instid1(VALU_DEP_1)
	v_add_f32_e32 v8, v8, v13
	v_add_f32_e32 v13, v20, v8
	s_delay_alu instid0(VALU_DEP_1) | instskip(NEXT) | instid1(VALU_DEP_1)
	v_add_f32_e32 v18, 1.0, v13
	v_dual_sub_f32 v20, v13, v20 :: v_dual_add_f32 v21, -1.0, v18
	s_delay_alu instid0(VALU_DEP_1) | instskip(NEXT) | instid1(VALU_DEP_1)
	v_dual_sub_f32 v8, v8, v20 :: v_dual_sub_f32 v13, v13, v21
	v_add_f32_e32 v8, v8, v13
	v_cvt_i32_f32_e32 v13, v19
	s_delay_alu instid0(VALU_DEP_2) | instskip(NEXT) | instid1(VALU_DEP_1)
	v_add_f32_e32 v19, v18, v8
	v_ldexp_f32 v20, v19, v13
	s_delay_alu instid0(VALU_DEP_1) | instskip(SKIP_1) | instid1(VALU_DEP_1)
	v_rcp_f32_e32 v21, v20
	v_sub_f32_e32 v18, v19, v18
	v_sub_f32_e32 v8, v8, v18
	s_waitcnt_depctr 0xfff
	v_mul_f32_e32 v18, v20, v21
	v_ldexp_f32 v8, v8, v13
	s_delay_alu instid0(VALU_DEP_2) | instskip(NEXT) | instid1(VALU_DEP_1)
	v_fma_f32 v13, v21, v20, -v18
	v_fmac_f32_e32 v13, v21, v8
	s_delay_alu instid0(VALU_DEP_1) | instskip(NEXT) | instid1(VALU_DEP_1)
	v_add_f32_e32 v19, v18, v13
	v_sub_f32_e32 v22, 1.0, v19
	v_sub_f32_e32 v18, v19, v18
	s_delay_alu instid0(VALU_DEP_2) | instskip(NEXT) | instid1(VALU_DEP_1)
	v_sub_f32_e32 v23, 1.0, v22
	v_dual_sub_f32 v13, v18, v13 :: v_dual_sub_f32 v18, v23, v19
	s_delay_alu instid0(VALU_DEP_1) | instskip(NEXT) | instid1(VALU_DEP_1)
	v_add_f32_e32 v13, v13, v18
	v_add_f32_e32 v18, v22, v13
	s_delay_alu instid0(VALU_DEP_1) | instskip(NEXT) | instid1(VALU_DEP_1)
	v_mul_f32_e32 v19, v21, v18
	v_dual_sub_f32 v22, v22, v18 :: v_dual_mul_f32 v23, v20, v19
	s_delay_alu instid0(VALU_DEP_1) | instskip(NEXT) | instid1(VALU_DEP_2)
	v_add_f32_e32 v13, v13, v22
	v_fma_f32 v24, v19, v20, -v23
	s_delay_alu instid0(VALU_DEP_1) | instskip(NEXT) | instid1(VALU_DEP_1)
	v_fmac_f32_e32 v24, v19, v8
	v_add_f32_e32 v25, v23, v24
	s_delay_alu instid0(VALU_DEP_1) | instskip(SKIP_1) | instid1(VALU_DEP_2)
	v_sub_f32_e32 v26, v18, v25
	v_sub_f32_e32 v22, v25, v23
	;; [unrolled: 1-line block ×3, first 2 shown]
	s_delay_alu instid0(VALU_DEP_2) | instskip(NEXT) | instid1(VALU_DEP_2)
	v_sub_f32_e32 v22, v22, v24
	v_sub_f32_e32 v18, v18, v25
	s_delay_alu instid0(VALU_DEP_1) | instskip(NEXT) | instid1(VALU_DEP_1)
	v_add_f32_e32 v13, v13, v18
	v_dual_add_f32 v18, v21, v19 :: v_dual_add_f32 v13, v22, v13
	s_delay_alu instid0(VALU_DEP_1) | instskip(NEXT) | instid1(VALU_DEP_2)
	v_sub_f32_e32 v22, v18, v21
	v_add_f32_e32 v13, v26, v13
	s_delay_alu instid0(VALU_DEP_2) | instskip(NEXT) | instid1(VALU_DEP_2)
	v_sub_f32_e32 v19, v19, v22
	v_mul_f32_e32 v13, v21, v13
	s_delay_alu instid0(VALU_DEP_1) | instskip(NEXT) | instid1(VALU_DEP_1)
	v_add_f32_e32 v13, v19, v13
	v_add_f32_e32 v19, v18, v13
	s_delay_alu instid0(VALU_DEP_1) | instskip(SKIP_1) | instid1(VALU_DEP_1)
	v_ldexp_f32 v21, v19, -2
	v_sub_f32_e32 v18, v19, v18
	v_dual_sub_f32 v22, v20, v21 :: v_dual_sub_f32 v13, v13, v18
	s_delay_alu instid0(VALU_DEP_1) | instskip(NEXT) | instid1(VALU_DEP_2)
	v_sub_f32_e32 v19, v20, v22
	v_ldexp_f32 v13, v13, -2
	s_delay_alu instid0(VALU_DEP_2) | instskip(NEXT) | instid1(VALU_DEP_1)
	v_sub_f32_e32 v18, v19, v21
	v_add_f32_e32 v8, v8, v18
	s_delay_alu instid0(VALU_DEP_1) | instskip(NEXT) | instid1(VALU_DEP_1)
	v_dual_sub_f32 v8, v8, v13 :: v_dual_mul_f32 v13, v6, v6
	v_add_f32_e32 v8, v22, v8
	s_delay_alu instid0(VALU_DEP_2) | instskip(SKIP_1) | instid1(VALU_DEP_3)
	v_fmaak_f32 v18, s23, v13, 0xbf039337
	v_fmaak_f32 v19, s22, v13, 0x3ec54587
	v_cndmask_b32_e32 v8, 0x7f800000, v8, vcc_lo
	s_delay_alu instid0(VALU_DEP_3) | instskip(NEXT) | instid1(VALU_DEP_2)
	v_fmaak_f32 v18, v13, v18, 0x3f93f425
	v_cndmask_b32_e64 v8, v8, |v9|, s2
	s_delay_alu instid0(VALU_DEP_2) | instskip(NEXT) | instid1(VALU_DEP_1)
	v_rcp_f32_e32 v18, v18
	v_bfi_b32 v8, 0x7fffffff, v8, v9
	s_delay_alu instid0(VALU_DEP_1) | instskip(SKIP_3) | instid1(VALU_DEP_2)
	v_fma_f32 v20, v8, v8, 1.0
	s_waitcnt_depctr 0xfff
	v_dual_mul_f32 v18, v19, v18 :: v_dual_mul_f32 v19, 0x4f800000, v20
	v_cmp_gt_f32_e32 vcc_lo, 0xf800000, v20
	v_dual_mul_f32 v13, v13, v18 :: v_dual_cndmask_b32 v18, v20, v19
	s_delay_alu instid0(VALU_DEP_1) | instskip(NEXT) | instid1(VALU_DEP_2)
	v_fma_f32 v19, v13, v6, v6
	v_sqrt_f32_e32 v20, v18
	s_delay_alu instid0(VALU_DEP_1) | instskip(SKIP_1) | instid1(VALU_DEP_1)
	v_rcp_f32_e32 v21, v19
	v_sub_f32_e32 v22, v19, v6
	v_fma_f32 v6, v13, v6, -v22
	s_waitcnt_depctr 0xfff
	v_add_nc_u32_e32 v23, -1, v20
	v_fma_f32 v13, v19, -v21, 1.0
	v_add_nc_u32_e32 v22, 1, v20
	s_delay_alu instid0(VALU_DEP_3) | instskip(NEXT) | instid1(VALU_DEP_3)
	v_fma_f32 v24, -v23, v20, v18
	v_fma_f32 v6, v6, -v21, v13
	s_delay_alu instid0(VALU_DEP_3) | instskip(NEXT) | instid1(VALU_DEP_3)
	v_fma_f32 v13, -v22, v20, v18
	v_cmp_ge_f32_e64 s2, 0, v24
	s_delay_alu instid0(VALU_DEP_3) | instskip(NEXT) | instid1(VALU_DEP_2)
	v_fma_f32 v6, v6, -v21, -v21
	v_cndmask_b32_e64 v20, v20, v23, s2
	s_delay_alu instid0(VALU_DEP_4) | instskip(NEXT) | instid1(VALU_DEP_1)
	v_cmp_lt_f32_e64 s2, 0, v13
	v_cndmask_b32_e64 v13, v20, v22, s2
	v_cmp_eq_u32_e64 s2, 0, v5
	s_delay_alu instid0(VALU_DEP_1) | instskip(NEXT) | instid1(VALU_DEP_3)
	v_cndmask_b32_e64 v5, v6, v19, s2
	v_mul_f32_e32 v6, 0x37800000, v13
	s_delay_alu instid0(VALU_DEP_2) | instskip(NEXT) | instid1(VALU_DEP_2)
	v_xor3_b32 v7, v7, v5, v10
	v_cndmask_b32_e32 v5, v13, v6, vcc_lo
	v_cmp_class_f32_e64 vcc_lo, v18, 0x260
	s_delay_alu instid0(VALU_DEP_3) | instskip(NEXT) | instid1(VALU_DEP_3)
	v_fma_f32 v6, v7, v7, 1.0
	v_cndmask_b32_e32 v5, v5, v18, vcc_lo
	s_delay_alu instid0(VALU_DEP_2) | instskip(NEXT) | instid1(VALU_DEP_2)
	v_mul_f32_e32 v13, v8, v6
	v_mul_f32_e32 v5, v5, v6
	s_delay_alu instid0(VALU_DEP_2) | instskip(NEXT) | instid1(VALU_DEP_2)
	v_fma_f32 v6, v8, v13, 1.0
	v_mul_f32_e32 v5, v8, v5
	s_delay_alu instid0(VALU_DEP_2) | instskip(NEXT) | instid1(VALU_DEP_2)
	v_div_scale_f32 v13, null, v6, v6, v7
	v_div_scale_f32 v8, null, v6, v6, v5
	v_div_scale_f32 v22, vcc_lo, v5, v6, v5
	s_delay_alu instid0(VALU_DEP_3) | instskip(NEXT) | instid1(VALU_DEP_2)
	v_rcp_f32_e32 v19, v13
	v_rcp_f32_e32 v18, v8
	s_waitcnt_depctr 0xfff
	v_fma_f32 v21, -v13, v19, 1.0
	v_fma_f32 v20, -v8, v18, 1.0
	s_delay_alu instid0(VALU_DEP_1) | instskip(SKIP_1) | instid1(VALU_DEP_2)
	v_dual_fmac_f32 v19, v21, v19 :: v_dual_fmac_f32 v18, v20, v18
	v_div_scale_f32 v20, s2, v7, v6, v7
	v_mul_f32_e32 v21, v22, v18
	s_delay_alu instid0(VALU_DEP_2) | instskip(NEXT) | instid1(VALU_DEP_2)
	v_mul_f32_e32 v23, v20, v19
	v_fma_f32 v24, -v8, v21, v22
	s_delay_alu instid0(VALU_DEP_2) | instskip(NEXT) | instid1(VALU_DEP_2)
	v_fma_f32 v25, -v13, v23, v20
	v_fmac_f32_e32 v21, v24, v18
	s_delay_alu instid0(VALU_DEP_2) | instskip(NEXT) | instid1(VALU_DEP_2)
	v_fmac_f32_e32 v23, v25, v19
	v_fma_f32 v8, -v8, v21, v22
	s_delay_alu instid0(VALU_DEP_2) | instskip(NEXT) | instid1(VALU_DEP_2)
	v_fma_f32 v13, -v13, v23, v20
	v_div_fmas_f32 v8, v8, v18, v21
	s_mov_b32 vcc_lo, s2
	s_delay_alu instid0(VALU_DEP_2) | instskip(NEXT) | instid1(VALU_DEP_2)
	v_div_fmas_f32 v13, v13, v19, v23
	v_div_fixup_f32 v5, v8, v6, v5
	s_delay_alu instid0(VALU_DEP_2)
	v_div_fixup_f32 v6, v13, v6, v7
                                        ; implicit-def: $vgpr7
.LBB157_15:                             ;   in Loop: Header=BB157_7 Depth=1
	s_and_not1_saveexec_b32 s29, s29
	s_cbranch_execz .LBB157_18
; %bb.16:                               ;   in Loop: Header=BB157_7 Depth=1
	v_lshrrev_b32_e32 v5, 23, v7
	v_cmp_ngt_f32_e64 s30, 0x48000000, |v10|
	v_and_or_b32 v8, v7, s21, 0x800000
                                        ; implicit-def: $vgpr6
	s_delay_alu instid0(VALU_DEP_3) | instskip(NEXT) | instid1(VALU_DEP_3)
	v_add_nc_u32_e32 v18, 0xffffff88, v5
                                        ; implicit-def: $vgpr5
	s_and_saveexec_b32 s2, s30
	s_delay_alu instid0(SALU_CYCLE_1)
	s_xor_b32 s31, exec_lo, s2
	s_cbranch_execz .LBB157_19
; %bb.17:                               ;   in Loop: Header=BB157_7 Depth=1
	v_mad_u64_u32 v[5:6], null, 0xfe5163ab, v8, 0
	v_cmp_lt_u32_e32 vcc_lo, 63, v18
	s_delay_alu instid0(VALU_DEP_2) | instskip(SKIP_1) | instid1(VALU_DEP_1)
	v_mov_b32_e32 v13, v6
	v_cndmask_b32_e64 v6, 0, 0xffffffc0, vcc_lo
	v_add_nc_u32_e32 v6, v6, v18
	s_delay_alu instid0(VALU_DEP_1) | instskip(NEXT) | instid1(VALU_DEP_1)
	v_cmp_lt_u32_e64 s2, 31, v6
	v_cndmask_b32_e64 v25, 0, 0xffffffe0, s2
	s_delay_alu instid0(VALU_DEP_1) | instskip(SKIP_1) | instid1(VALU_DEP_2)
	v_add_nc_u32_e32 v6, v25, v6
	v_mad_u64_u32 v[19:20], null, 0x3c439041, v8, v[13:14]
	v_cmp_lt_u32_e64 s3, 31, v6
	s_delay_alu instid0(VALU_DEP_2) | instskip(NEXT) | instid1(VALU_DEP_1)
	v_mov_b32_e32 v13, v20
	v_mad_u64_u32 v[20:21], null, 0xdb629599, v8, v[13:14]
	s_delay_alu instid0(VALU_DEP_1) | instskip(NEXT) | instid1(VALU_DEP_2)
	v_mov_b32_e32 v13, v21
	v_cndmask_b32_e32 v5, v20, v5, vcc_lo
	s_delay_alu instid0(VALU_DEP_2) | instskip(NEXT) | instid1(VALU_DEP_1)
	v_mad_u64_u32 v[21:22], null, 0xf534ddc0, v8, v[13:14]
	v_mov_b32_e32 v13, v22
	s_delay_alu instid0(VALU_DEP_1) | instskip(NEXT) | instid1(VALU_DEP_1)
	v_mad_u64_u32 v[22:23], null, 0xfc2757d1, v8, v[13:14]
	v_mov_b32_e32 v13, v23
	s_delay_alu instid0(VALU_DEP_1) | instskip(NEXT) | instid1(VALU_DEP_1)
	v_mad_u64_u32 v[23:24], null, 0x4e441529, v8, v[13:14]
	v_dual_mov_b32 v13, v24 :: v_dual_cndmask_b32 v26, v23, v21
	s_delay_alu instid0(VALU_DEP_1) | instskip(SKIP_1) | instid1(VALU_DEP_1)
	v_mad_u64_u32 v[24:25], null, 0xa2f9836e, v8, v[13:14]
	v_cndmask_b32_e64 v13, 0, 0xffffffe0, s3
	v_add_nc_u32_e32 v6, v13, v6
	s_delay_alu instid0(VALU_DEP_3) | instskip(SKIP_1) | instid1(VALU_DEP_3)
	v_dual_cndmask_b32 v24, v24, v22 :: v_dual_cndmask_b32 v23, v25, v23
	v_dual_cndmask_b32 v22, v22, v20 :: v_dual_cndmask_b32 v13, v21, v19
	v_cmp_eq_u32_e64 s4, 0, v6
	s_delay_alu instid0(VALU_DEP_3) | instskip(NEXT) | instid1(VALU_DEP_4)
	v_cndmask_b32_e64 v19, v24, v26, s2
	v_cndmask_b32_e64 v21, v23, v24, s2
	s_delay_alu instid0(VALU_DEP_4)
	v_cndmask_b32_e64 v23, v26, v22, s2
	v_sub_nc_u32_e32 v24, 32, v6
	v_cndmask_b32_e64 v22, v22, v13, s2
	v_cndmask_b32_e64 v5, v13, v5, s2
	;; [unrolled: 1-line block ×4, first 2 shown]
	s_delay_alu instid0(VALU_DEP_4) | instskip(NEXT) | instid1(VALU_DEP_4)
	v_cndmask_b32_e64 v23, v23, v22, s3
	v_cndmask_b32_e64 v5, v22, v5, s3
	s_delay_alu instid0(VALU_DEP_3) | instskip(NEXT) | instid1(VALU_DEP_3)
	v_alignbit_b32 v25, v21, v19, v24
	v_alignbit_b32 v26, v19, v23, v24
	s_delay_alu instid0(VALU_DEP_3) | instskip(NEXT) | instid1(VALU_DEP_3)
	v_alignbit_b32 v24, v23, v5, v24
	v_cndmask_b32_e64 v6, v25, v21, s4
	s_delay_alu instid0(VALU_DEP_3) | instskip(NEXT) | instid1(VALU_DEP_3)
	v_cndmask_b32_e64 v19, v26, v19, s4
	v_cndmask_b32_e64 v23, v24, v23, s4
	s_delay_alu instid0(VALU_DEP_3) | instskip(NEXT) | instid1(VALU_DEP_3)
	v_bfe_u32 v20, v6, 29, 1
	v_alignbit_b32 v13, v6, v19, 30
	s_delay_alu instid0(VALU_DEP_3) | instskip(SKIP_1) | instid1(VALU_DEP_4)
	v_alignbit_b32 v19, v19, v23, 30
	v_alignbit_b32 v5, v23, v5, 30
	v_sub_nc_u32_e32 v21, 0, v20
	s_delay_alu instid0(VALU_DEP_1) | instskip(SKIP_3) | instid1(VALU_DEP_4)
	v_xor_b32_e32 v22, v13, v21
	v_cmp_ne_u32_e32 vcc_lo, v13, v21
	v_xor_b32_e32 v19, v19, v21
	v_xor_b32_e32 v5, v5, v21
	v_clz_i32_u32_e32 v25, v22
	s_delay_alu instid0(VALU_DEP_1) | instskip(NEXT) | instid1(VALU_DEP_1)
	v_add_nc_u32_e32 v24, 1, v25
	v_cndmask_b32_e32 v13, 33, v24, vcc_lo
	s_delay_alu instid0(VALU_DEP_1) | instskip(NEXT) | instid1(VALU_DEP_1)
	v_sub_nc_u32_e32 v23, 32, v13
	v_alignbit_b32 v21, v22, v19, v23
	v_alignbit_b32 v5, v19, v5, v23
	v_lshrrev_b32_e32 v19, 29, v6
	v_lshrrev_b32_e32 v6, 30, v6
	s_delay_alu instid0(VALU_DEP_3) | instskip(NEXT) | instid1(VALU_DEP_3)
	v_alignbit_b32 v22, v21, v5, 9
	v_lshlrev_b32_e32 v19, 31, v19
	s_delay_alu instid0(VALU_DEP_3) | instskip(SKIP_1) | instid1(VALU_DEP_4)
	v_add_nc_u32_e32 v6, v20, v6
	v_alignbit_b32 v21, v13, v21, 9
	v_clz_i32_u32_e32 v23, v22
	s_delay_alu instid0(VALU_DEP_2) | instskip(SKIP_1) | instid1(VALU_DEP_3)
	v_or_b32_e32 v21, v21, v19
	v_or_b32_e32 v19, 0x33800000, v19
	v_min_u32_e32 v23, 32, v23
	s_delay_alu instid0(VALU_DEP_3) | instskip(NEXT) | instid1(VALU_DEP_2)
	v_xor_b32_e32 v21, 1.0, v21
	v_sub_nc_u32_e32 v24, 31, v23
	v_add_lshl_u32 v13, v23, v13, 23
	s_delay_alu instid0(VALU_DEP_3) | instskip(NEXT) | instid1(VALU_DEP_3)
	v_mul_f32_e32 v23, 0x3fc90fda, v21
	v_alignbit_b32 v5, v22, v5, v24
	s_delay_alu instid0(VALU_DEP_3) | instskip(NEXT) | instid1(VALU_DEP_3)
	v_sub_nc_u32_e32 v13, v19, v13
	v_fma_f32 v19, 0x3fc90fda, v21, -v23
	s_delay_alu instid0(VALU_DEP_3) | instskip(NEXT) | instid1(VALU_DEP_2)
	v_lshrrev_b32_e32 v5, 9, v5
	v_fmac_f32_e32 v19, 0x33a22168, v21
	s_delay_alu instid0(VALU_DEP_2) | instskip(NEXT) | instid1(VALU_DEP_1)
	v_or_b32_e32 v5, v13, v5
	v_fmac_f32_e32 v19, 0x3fc90fda, v5
	s_delay_alu instid0(VALU_DEP_1)
	v_add_f32_e32 v5, v23, v19
	s_and_not1_saveexec_b32 s2, s31
	s_branch .LBB157_20
.LBB157_18:                             ;   in Loop: Header=BB157_7 Depth=1
	s_or_b32 exec_lo, exec_lo, s29
	s_and_not1_saveexec_b32 s2, s28
	s_cbranch_execnz .LBB157_27
	s_branch .LBB157_28
.LBB157_19:                             ;   in Loop: Header=BB157_7 Depth=1
	s_and_not1_saveexec_b32 s2, s31
.LBB157_20:                             ;   in Loop: Header=BB157_7 Depth=1
	v_mul_f32_e64 v5, 0x3f22f983, |v10|
	s_delay_alu instid0(VALU_DEP_1) | instskip(NEXT) | instid1(VALU_DEP_1)
	v_rndne_f32_e32 v6, v5
	v_fma_f32 v5, 0xbfc90fda, v6, |v10|
	s_delay_alu instid0(VALU_DEP_1) | instskip(NEXT) | instid1(VALU_DEP_1)
	v_fmac_f32_e32 v5, 0xb3a22168, v6
	v_fmac_f32_e32 v5, 0xa7c234c4, v6
	v_cvt_i32_f32_e32 v6, v6
; %bb.21:                               ;   in Loop: Header=BB157_7 Depth=1
	s_or_b32 exec_lo, exec_lo, s2
                                        ; implicit-def: $vgpr19
                                        ; implicit-def: $vgpr13
	s_and_saveexec_b32 s2, s30
	s_delay_alu instid0(SALU_CYCLE_1)
	s_xor_b32 s30, exec_lo, s2
	s_cbranch_execz .LBB157_23
; %bb.22:                               ;   in Loop: Header=BB157_7 Depth=1
	v_mad_u64_u32 v[19:20], null, 0xfe5163ab, v8, 0
	v_cmp_lt_u32_e32 vcc_lo, 63, v18
	v_cndmask_b32_e64 v25, 0, 0xffffffc0, vcc_lo
	s_delay_alu instid0(VALU_DEP_1) | instskip(NEXT) | instid1(VALU_DEP_1)
	v_dual_mov_b32 v13, v20 :: v_dual_add_nc_u32 v18, v25, v18
	v_mad_u64_u32 v[20:21], null, 0x3c439041, v8, v[13:14]
	s_delay_alu instid0(VALU_DEP_2) | instskip(NEXT) | instid1(VALU_DEP_1)
	v_cmp_lt_u32_e64 s2, 31, v18
	v_cndmask_b32_e64 v26, 0, 0xffffffe0, s2
	s_delay_alu instid0(VALU_DEP_1) | instskip(NEXT) | instid1(VALU_DEP_1)
	v_dual_mov_b32 v13, v21 :: v_dual_add_nc_u32 v18, v26, v18
	v_mad_u64_u32 v[21:22], null, 0xdb629599, v8, v[13:14]
	s_delay_alu instid0(VALU_DEP_2) | instskip(NEXT) | instid1(VALU_DEP_2)
	v_cmp_lt_u32_e64 s3, 31, v18
	v_mov_b32_e32 v13, v22
	s_delay_alu instid0(VALU_DEP_3) | instskip(NEXT) | instid1(VALU_DEP_2)
	v_cndmask_b32_e32 v19, v21, v19, vcc_lo
	v_mad_u64_u32 v[22:23], null, 0xf534ddc0, v8, v[13:14]
	s_delay_alu instid0(VALU_DEP_1) | instskip(NEXT) | instid1(VALU_DEP_1)
	v_mov_b32_e32 v13, v23
	v_mad_u64_u32 v[23:24], null, 0xfc2757d1, v8, v[13:14]
	s_delay_alu instid0(VALU_DEP_1) | instskip(NEXT) | instid1(VALU_DEP_1)
	v_mov_b32_e32 v13, v24
	;; [unrolled: 3-line block ×3, first 2 shown]
	v_mad_u64_u32 v[25:26], null, 0xa2f9836e, v8, v[13:14]
	v_cndmask_b32_e64 v8, 0, 0xffffffe0, s3
	s_delay_alu instid0(VALU_DEP_4) | instskip(NEXT) | instid1(VALU_DEP_2)
	v_cndmask_b32_e32 v13, v24, v22, vcc_lo
	v_dual_cndmask_b32 v25, v25, v23 :: v_dual_add_nc_u32 v8, v8, v18
	s_delay_alu instid0(VALU_DEP_4) | instskip(SKIP_1) | instid1(VALU_DEP_3)
	v_dual_cndmask_b32 v24, v26, v24 :: v_dual_cndmask_b32 v23, v23, v21
	v_cndmask_b32_e32 v18, v22, v20, vcc_lo
	v_cmp_eq_u32_e64 s4, 0, v8
	s_delay_alu instid0(VALU_DEP_4) | instskip(NEXT) | instid1(VALU_DEP_4)
	v_cndmask_b32_e64 v20, v25, v13, s2
	v_cndmask_b32_e64 v22, v24, v25, s2
	;; [unrolled: 1-line block ×3, first 2 shown]
	v_sub_nc_u32_e32 v24, 32, v8
	v_cndmask_b32_e64 v23, v23, v18, s2
	v_cndmask_b32_e64 v18, v18, v19, s2
	v_cndmask_b32_e64 v22, v22, v20, s3
	v_cndmask_b32_e64 v20, v20, v13, s3
	s_delay_alu instid0(VALU_DEP_4) | instskip(NEXT) | instid1(VALU_DEP_4)
	v_cndmask_b32_e64 v13, v13, v23, s3
	v_cndmask_b32_e64 v18, v23, v18, s3
	s_delay_alu instid0(VALU_DEP_3) | instskip(NEXT) | instid1(VALU_DEP_3)
	v_alignbit_b32 v25, v22, v20, v24
	v_alignbit_b32 v26, v20, v13, v24
	s_delay_alu instid0(VALU_DEP_3) | instskip(NEXT) | instid1(VALU_DEP_3)
	v_alignbit_b32 v24, v13, v18, v24
	v_cndmask_b32_e64 v8, v25, v22, s4
	s_delay_alu instid0(VALU_DEP_3) | instskip(NEXT) | instid1(VALU_DEP_3)
	v_cndmask_b32_e64 v20, v26, v20, s4
	v_cndmask_b32_e64 v13, v24, v13, s4
	s_delay_alu instid0(VALU_DEP_3) | instskip(NEXT) | instid1(VALU_DEP_3)
	v_bfe_u32 v21, v8, 29, 1
	v_alignbit_b32 v19, v8, v20, 30
	s_delay_alu instid0(VALU_DEP_3) | instskip(SKIP_1) | instid1(VALU_DEP_4)
	v_alignbit_b32 v20, v20, v13, 30
	v_alignbit_b32 v13, v13, v18, 30
	v_sub_nc_u32_e32 v22, 0, v21
	s_delay_alu instid0(VALU_DEP_1) | instskip(SKIP_3) | instid1(VALU_DEP_4)
	v_xor_b32_e32 v23, v19, v22
	v_cmp_ne_u32_e32 vcc_lo, v19, v22
	v_xor_b32_e32 v18, v20, v22
	v_xor_b32_e32 v13, v13, v22
	v_clz_i32_u32_e32 v25, v23
	s_delay_alu instid0(VALU_DEP_1) | instskip(NEXT) | instid1(VALU_DEP_1)
	v_add_nc_u32_e32 v24, 1, v25
	v_cndmask_b32_e32 v19, 33, v24, vcc_lo
	s_delay_alu instid0(VALU_DEP_1) | instskip(NEXT) | instid1(VALU_DEP_1)
	v_sub_nc_u32_e32 v20, 32, v19
	v_alignbit_b32 v22, v23, v18, v20
	v_alignbit_b32 v13, v18, v13, v20
	v_lshrrev_b32_e32 v18, 29, v8
	v_lshrrev_b32_e32 v8, 30, v8
	s_delay_alu instid0(VALU_DEP_3) | instskip(NEXT) | instid1(VALU_DEP_3)
	v_alignbit_b32 v20, v22, v13, 9
	v_lshlrev_b32_e32 v18, 31, v18
	v_alignbit_b32 v22, v19, v22, 9
	s_delay_alu instid0(VALU_DEP_3) | instskip(NEXT) | instid1(VALU_DEP_2)
	v_clz_i32_u32_e32 v23, v20
	v_or_b32_e32 v22, v22, v18
	v_or_b32_e32 v18, 0x33800000, v18
	s_delay_alu instid0(VALU_DEP_3) | instskip(NEXT) | instid1(VALU_DEP_3)
	v_min_u32_e32 v23, 32, v23
	v_xor_b32_e32 v22, 1.0, v22
	s_delay_alu instid0(VALU_DEP_2) | instskip(SKIP_1) | instid1(VALU_DEP_3)
	v_sub_nc_u32_e32 v24, 31, v23
	v_add_lshl_u32 v19, v23, v19, 23
	v_mul_f32_e32 v23, 0x3fc90fda, v22
	s_delay_alu instid0(VALU_DEP_3) | instskip(NEXT) | instid1(VALU_DEP_3)
	v_alignbit_b32 v13, v20, v13, v24
	v_sub_nc_u32_e32 v18, v18, v19
	s_delay_alu instid0(VALU_DEP_3) | instskip(NEXT) | instid1(VALU_DEP_3)
	v_fma_f32 v19, 0x3fc90fda, v22, -v23
	v_lshrrev_b32_e32 v13, 9, v13
	s_delay_alu instid0(VALU_DEP_2) | instskip(NEXT) | instid1(VALU_DEP_2)
	v_fmac_f32_e32 v19, 0x33a22168, v22
	v_or_b32_e32 v13, v18, v13
	s_delay_alu instid0(VALU_DEP_1) | instskip(NEXT) | instid1(VALU_DEP_1)
	v_fmac_f32_e32 v19, 0x3fc90fda, v13
	v_add_f32_e32 v13, v23, v19
	v_add_nc_u32_e32 v19, v21, v8
	s_and_not1_saveexec_b32 s2, s30
	s_cbranch_execnz .LBB157_24
	s_branch .LBB157_25
.LBB157_23:                             ;   in Loop: Header=BB157_7 Depth=1
	s_and_not1_saveexec_b32 s2, s30
.LBB157_24:                             ;   in Loop: Header=BB157_7 Depth=1
	v_mul_f32_e64 v8, 0x3f22f983, |v10|
	s_delay_alu instid0(VALU_DEP_1) | instskip(NEXT) | instid1(VALU_DEP_1)
	v_rndne_f32_e32 v8, v8
	v_fma_f32 v13, 0xbfc90fda, v8, |v10|
	v_cvt_i32_f32_e32 v19, v8
	s_delay_alu instid0(VALU_DEP_2) | instskip(NEXT) | instid1(VALU_DEP_1)
	v_fmac_f32_e32 v13, 0xb3a22168, v8
	v_fmac_f32_e32 v13, 0xa7c234c4, v8
.LBB157_25:                             ;   in Loop: Header=BB157_7 Depth=1
	s_or_b32 exec_lo, exec_lo, s2
	s_delay_alu instid0(VALU_DEP_1) | instskip(SKIP_2) | instid1(VALU_DEP_3)
	v_mul_f32_e32 v23, v13, v13
	v_mul_f32_e32 v8, v5, v5
	v_mul_f32_e64 v20, 0xbfb8aa3b, |v9|
	v_dual_fmaak_f32 v27, s26, v23, 0xbab64f3b :: v_dual_and_b32 v18, 1, v6
	s_delay_alu instid0(VALU_DEP_3) | instskip(NEXT) | instid1(VALU_DEP_3)
	v_dual_fmaak_f32 v21, s25, v8, 0x3c0881c4 :: v_dual_lshlrev_b32 v6, 30, v6
	v_rndne_f32_e32 v24, v20
	v_fma_f32 v25, 0xbfb8aa3b, |v9|, -v20
	s_delay_alu instid0(VALU_DEP_4) | instskip(NEXT) | instid1(VALU_DEP_4)
	v_cmp_eq_u32_e32 vcc_lo, 0, v18
	v_fmaak_f32 v21, v8, v21, 0xbe2aaa9d
	v_fmaak_f32 v22, s26, v8, 0xbab64f3b
	v_and_b32_e32 v6, 0x80000000, v6
	v_and_b32_e32 v18, 1, v19
	v_fma_f32 v25, 0xb2a5705f, |v9|, v25
	v_mul_f32_e32 v21, v8, v21
	v_fmaak_f32 v22, v8, v22, 0x3d2aabf7
	v_fmaak_f32 v26, s25, v23, 0x3c0881c4
	v_lshlrev_b32_e32 v19, 30, v19
	v_xor_b32_e32 v6, v7, v6
	s_delay_alu instid0(VALU_DEP_4) | instskip(SKIP_2) | instid1(VALU_DEP_3)
	v_dual_fmac_f32 v5, v5, v21 :: v_dual_fmaak_f32 v22, v8, v22, 0xbf000004
	v_dual_sub_f32 v20, v20, v24 :: v_dual_fmaak_f32 v21, v23, v27, 0x3d2aabf7
	v_cvt_i32_f32_e32 v7, v24
	v_fma_f32 v8, v8, v22, 1.0
	s_delay_alu instid0(VALU_DEP_1) | instskip(NEXT) | instid1(VALU_DEP_4)
	v_dual_fmaak_f32 v26, v23, v26, 0xbe2aaa9d :: v_dual_cndmask_b32 v5, v8, v5
	v_fmaak_f32 v8, v23, v21, 0xbf000004
	v_cmp_eq_u32_e32 vcc_lo, 0, v18
	s_delay_alu instid0(VALU_DEP_3) | instskip(NEXT) | instid1(VALU_DEP_3)
	v_xor3_b32 v5, v6, v5, v10
	v_fma_f32 v8, v23, v8, 1.0
	s_delay_alu instid0(VALU_DEP_2) | instskip(NEXT) | instid1(VALU_DEP_1)
	v_dual_mul_f32 v5, 4.0, v5 :: v_dual_mul_f32 v22, v23, v26
	v_dual_add_f32 v20, v20, v25 :: v_dual_fmac_f32 v13, v13, v22
	s_delay_alu instid0(VALU_DEP_1)
	v_exp_f32_e32 v20, v20
	s_waitcnt_depctr 0xfff
	v_ldexp_f32 v6, v20, v7
	v_cndmask_b32_e64 v7, -v13, v8, vcc_lo
	v_and_b32_e32 v8, 0x80000000, v19
	v_cmp_nlt_f32_e64 vcc_lo, 0x42ce8ed0, |v9|
	s_delay_alu instid0(VALU_DEP_2) | instskip(SKIP_2) | instid1(VALU_DEP_2)
	v_xor_b32_e32 v7, v8, v7
	v_cndmask_b32_e32 v6, 0, v6, vcc_lo
	v_cmp_ngt_f32_e64 vcc_lo, 0xc2b17218, |v9|
	v_dual_mul_f32 v5, v5, v7 :: v_dual_cndmask_b32 v6, 0x7f800000, v6
	s_delay_alu instid0(VALU_DEP_1) | instskip(SKIP_1) | instid1(VALU_DEP_2)
	v_mul_f32_e32 v7, v6, v5
	v_bfi_b32 v5, 0x7fffffff, 1.0, v9
	v_mul_f32_e32 v6, v6, v7
	s_or_b32 exec_lo, exec_lo, s29
.LBB157_26:                             ;   in Loop: Header=BB157_7 Depth=1
	s_and_not1_saveexec_b32 s2, s28
.LBB157_27:                             ;   in Loop: Header=BB157_7 Depth=1
	v_sub_f32_e32 v6, v10, v10
	s_delay_alu instid0(VALU_DEP_1)
	v_mov_b32_e32 v5, v6
.LBB157_28:                             ;   in Loop: Header=BB157_7 Depth=1
	s_or_b32 exec_lo, exec_lo, s2
.LBB157_29:                             ;   in Loop: Header=BB157_7 Depth=1
	s_and_not1_saveexec_b32 s27, s27
	s_cbranch_execz .LBB157_45
; %bb.30:                               ;   in Loop: Header=BB157_7 Depth=1
	v_and_b32_e32 v5, 0x7fffff, v9
	s_mov_b32 s2, exec_lo
                                        ; implicit-def: $vgpr6
	s_delay_alu instid0(VALU_DEP_1)
	v_cmpx_ne_u32_e32 0, v5
	s_xor_b32 s2, exec_lo, s2
; %bb.31:                               ;   in Loop: Header=BB157_7 Depth=1
	v_mul_f32_e32 v5, v9, v10
	v_cmp_eq_f32_e32 vcc_lo, 0, v10
	s_delay_alu instid0(VALU_DEP_2)
	v_cndmask_b32_e32 v6, v5, v10, vcc_lo
; %bb.32:                               ;   in Loop: Header=BB157_7 Depth=1
	s_and_not1_saveexec_b32 s28, s2
	s_cbranch_execz .LBB157_44
; %bb.33:                               ;   in Loop: Header=BB157_7 Depth=1
	s_mov_b32 s29, exec_lo
	v_cmpx_neq_f32_e64 0x7f800000, |v10|
	s_cbranch_execz .LBB157_43
; %bb.34:                               ;   in Loop: Header=BB157_7 Depth=1
	v_and_b32_e32 v5, 0x7fffffff, v10
	v_cmp_ngt_f32_e64 s30, 0x48000000, |v10|
                                        ; implicit-def: $vgpr7
	s_delay_alu instid0(VALU_DEP_2) | instskip(SKIP_1) | instid1(VALU_DEP_2)
	v_lshrrev_b32_e32 v6, 23, v5
	v_and_or_b32 v8, v5, s21, 0x800000
	v_add_nc_u32_e32 v18, 0xffffff88, v6
                                        ; implicit-def: $vgpr6
	s_delay_alu instid0(VALU_DEP_4) | instskip(NEXT) | instid1(SALU_CYCLE_1)
	s_and_saveexec_b32 s2, s30
	s_xor_b32 s31, exec_lo, s2
	s_cbranch_execz .LBB157_36
; %bb.35:                               ;   in Loop: Header=BB157_7 Depth=1
	v_mad_u64_u32 v[6:7], null, 0xfe5163ab, v8, 0
	v_cmp_lt_u32_e32 vcc_lo, 63, v18
	s_delay_alu instid0(VALU_DEP_2) | instskip(SKIP_1) | instid1(VALU_DEP_2)
	v_mov_b32_e32 v13, v7
	v_cndmask_b32_e64 v7, 0, 0xffffffc0, vcc_lo
	v_mad_u64_u32 v[19:20], null, 0x3c439041, v8, v[13:14]
	s_delay_alu instid0(VALU_DEP_2) | instskip(NEXT) | instid1(VALU_DEP_1)
	v_add_nc_u32_e32 v7, v7, v18
	v_cmp_lt_u32_e64 s2, 31, v7
	s_delay_alu instid0(VALU_DEP_3) | instskip(NEXT) | instid1(VALU_DEP_2)
	v_mov_b32_e32 v13, v20
	v_cndmask_b32_e64 v25, 0, 0xffffffe0, s2
	s_delay_alu instid0(VALU_DEP_2) | instskip(NEXT) | instid1(VALU_DEP_2)
	v_mad_u64_u32 v[20:21], null, 0xdb629599, v8, v[13:14]
	v_add_nc_u32_e32 v7, v25, v7
	s_delay_alu instid0(VALU_DEP_2) | instskip(NEXT) | instid1(VALU_DEP_2)
	v_mov_b32_e32 v13, v21
	v_cmp_lt_u32_e64 s3, 31, v7
	s_delay_alu instid0(VALU_DEP_4) | instskip(NEXT) | instid1(VALU_DEP_3)
	v_cndmask_b32_e32 v6, v20, v6, vcc_lo
	v_mad_u64_u32 v[21:22], null, 0xf534ddc0, v8, v[13:14]
	s_delay_alu instid0(VALU_DEP_1) | instskip(NEXT) | instid1(VALU_DEP_1)
	v_mov_b32_e32 v13, v22
	v_mad_u64_u32 v[22:23], null, 0xfc2757d1, v8, v[13:14]
	s_delay_alu instid0(VALU_DEP_1) | instskip(NEXT) | instid1(VALU_DEP_1)
	v_mov_b32_e32 v13, v23
	v_mad_u64_u32 v[23:24], null, 0x4e441529, v8, v[13:14]
	s_delay_alu instid0(VALU_DEP_1) | instskip(NEXT) | instid1(VALU_DEP_1)
	v_dual_mov_b32 v13, v24 :: v_dual_cndmask_b32 v26, v23, v21
	v_mad_u64_u32 v[24:25], null, 0xa2f9836e, v8, v[13:14]
	v_cndmask_b32_e64 v13, 0, 0xffffffe0, s3
	s_delay_alu instid0(VALU_DEP_1) | instskip(NEXT) | instid1(VALU_DEP_3)
	v_dual_cndmask_b32 v24, v24, v22 :: v_dual_add_nc_u32 v7, v13, v7
	v_dual_cndmask_b32 v23, v25, v23 :: v_dual_cndmask_b32 v22, v22, v20
	v_cndmask_b32_e32 v13, v21, v19, vcc_lo
	s_delay_alu instid0(VALU_DEP_3) | instskip(NEXT) | instid1(VALU_DEP_4)
	v_cmp_eq_u32_e64 s4, 0, v7
	v_cndmask_b32_e64 v19, v24, v26, s2
	s_delay_alu instid0(VALU_DEP_4)
	v_cndmask_b32_e64 v21, v23, v24, s2
	v_cndmask_b32_e64 v23, v26, v22, s2
	v_sub_nc_u32_e32 v24, 32, v7
	v_cndmask_b32_e64 v22, v22, v13, s2
	v_cndmask_b32_e64 v6, v13, v6, s2
	;; [unrolled: 1-line block ×4, first 2 shown]
	s_delay_alu instid0(VALU_DEP_4) | instskip(NEXT) | instid1(VALU_DEP_4)
	v_cndmask_b32_e64 v23, v23, v22, s3
	v_cndmask_b32_e64 v6, v22, v6, s3
	s_delay_alu instid0(VALU_DEP_3) | instskip(NEXT) | instid1(VALU_DEP_3)
	v_alignbit_b32 v25, v21, v19, v24
	v_alignbit_b32 v26, v19, v23, v24
	s_delay_alu instid0(VALU_DEP_3) | instskip(NEXT) | instid1(VALU_DEP_3)
	v_alignbit_b32 v24, v23, v6, v24
	v_cndmask_b32_e64 v7, v25, v21, s4
	s_delay_alu instid0(VALU_DEP_3) | instskip(NEXT) | instid1(VALU_DEP_3)
	v_cndmask_b32_e64 v19, v26, v19, s4
	v_cndmask_b32_e64 v23, v24, v23, s4
	s_delay_alu instid0(VALU_DEP_3) | instskip(NEXT) | instid1(VALU_DEP_3)
	v_bfe_u32 v20, v7, 29, 1
	v_alignbit_b32 v13, v7, v19, 30
	s_delay_alu instid0(VALU_DEP_3) | instskip(SKIP_1) | instid1(VALU_DEP_4)
	v_alignbit_b32 v19, v19, v23, 30
	v_alignbit_b32 v6, v23, v6, 30
	v_sub_nc_u32_e32 v21, 0, v20
	s_delay_alu instid0(VALU_DEP_1) | instskip(SKIP_3) | instid1(VALU_DEP_4)
	v_xor_b32_e32 v22, v13, v21
	v_cmp_ne_u32_e32 vcc_lo, v13, v21
	v_xor_b32_e32 v19, v19, v21
	v_xor_b32_e32 v6, v6, v21
	v_clz_i32_u32_e32 v25, v22
	s_delay_alu instid0(VALU_DEP_1) | instskip(NEXT) | instid1(VALU_DEP_1)
	v_add_nc_u32_e32 v24, 1, v25
	v_cndmask_b32_e32 v13, 33, v24, vcc_lo
	s_delay_alu instid0(VALU_DEP_1) | instskip(NEXT) | instid1(VALU_DEP_1)
	v_sub_nc_u32_e32 v23, 32, v13
	v_alignbit_b32 v21, v22, v19, v23
	v_alignbit_b32 v6, v19, v6, v23
	v_lshrrev_b32_e32 v19, 29, v7
	v_lshrrev_b32_e32 v7, 30, v7
	s_delay_alu instid0(VALU_DEP_3) | instskip(NEXT) | instid1(VALU_DEP_3)
	v_alignbit_b32 v22, v21, v6, 9
	v_lshlrev_b32_e32 v19, 31, v19
	v_alignbit_b32 v21, v13, v21, 9
	s_delay_alu instid0(VALU_DEP_4) | instskip(NEXT) | instid1(VALU_DEP_4)
	v_add_nc_u32_e32 v7, v20, v7
	v_clz_i32_u32_e32 v23, v22
	s_delay_alu instid0(VALU_DEP_3) | instskip(SKIP_1) | instid1(VALU_DEP_3)
	v_or_b32_e32 v21, v21, v19
	v_or_b32_e32 v19, 0x33800000, v19
	v_min_u32_e32 v23, 32, v23
	s_delay_alu instid0(VALU_DEP_3) | instskip(NEXT) | instid1(VALU_DEP_2)
	v_xor_b32_e32 v21, 1.0, v21
	v_sub_nc_u32_e32 v24, 31, v23
	v_add_lshl_u32 v13, v23, v13, 23
	s_delay_alu instid0(VALU_DEP_3) | instskip(NEXT) | instid1(VALU_DEP_3)
	v_mul_f32_e32 v23, 0x3fc90fda, v21
	v_alignbit_b32 v6, v22, v6, v24
	s_delay_alu instid0(VALU_DEP_3) | instskip(NEXT) | instid1(VALU_DEP_3)
	v_sub_nc_u32_e32 v13, v19, v13
	v_fma_f32 v19, 0x3fc90fda, v21, -v23
	s_delay_alu instid0(VALU_DEP_3) | instskip(NEXT) | instid1(VALU_DEP_2)
	v_lshrrev_b32_e32 v6, 9, v6
	v_fmac_f32_e32 v19, 0x33a22168, v21
	s_delay_alu instid0(VALU_DEP_2) | instskip(NEXT) | instid1(VALU_DEP_1)
	v_or_b32_e32 v6, v13, v6
	v_fmac_f32_e32 v19, 0x3fc90fda, v6
	s_delay_alu instid0(VALU_DEP_1)
	v_add_f32_e32 v6, v23, v19
.LBB157_36:                             ;   in Loop: Header=BB157_7 Depth=1
	s_or_saveexec_b32 s2, s31
	v_mul_f32_e64 v13, 0x3f22f983, |v10|
	s_delay_alu instid0(VALU_DEP_1)
	v_rndne_f32_e32 v20, v13
	s_xor_b32 exec_lo, exec_lo, s2
; %bb.37:                               ;   in Loop: Header=BB157_7 Depth=1
	s_delay_alu instid0(VALU_DEP_1) | instskip(SKIP_1) | instid1(VALU_DEP_2)
	v_fma_f32 v6, 0xbfc90fda, v20, |v10|
	v_cvt_i32_f32_e32 v7, v20
	v_fmac_f32_e32 v6, 0xb3a22168, v20
	s_delay_alu instid0(VALU_DEP_1)
	v_fmac_f32_e32 v6, 0xa7c234c4, v20
; %bb.38:                               ;   in Loop: Header=BB157_7 Depth=1
	s_or_b32 exec_lo, exec_lo, s2
                                        ; implicit-def: $vgpr19
                                        ; implicit-def: $vgpr13
	s_and_saveexec_b32 s2, s30
	s_delay_alu instid0(SALU_CYCLE_1)
	s_xor_b32 s30, exec_lo, s2
	s_cbranch_execz .LBB157_40
; %bb.39:                               ;   in Loop: Header=BB157_7 Depth=1
	v_mad_u64_u32 v[19:20], null, 0xfe5163ab, v8, 0
	v_cmp_lt_u32_e32 vcc_lo, 63, v18
	v_cndmask_b32_e64 v25, 0, 0xffffffc0, vcc_lo
	s_delay_alu instid0(VALU_DEP_1) | instskip(NEXT) | instid1(VALU_DEP_1)
	v_dual_mov_b32 v13, v20 :: v_dual_add_nc_u32 v18, v25, v18
	v_mad_u64_u32 v[20:21], null, 0x3c439041, v8, v[13:14]
	s_delay_alu instid0(VALU_DEP_2) | instskip(NEXT) | instid1(VALU_DEP_1)
	v_cmp_lt_u32_e64 s2, 31, v18
	v_cndmask_b32_e64 v26, 0, 0xffffffe0, s2
	s_delay_alu instid0(VALU_DEP_1) | instskip(NEXT) | instid1(VALU_DEP_1)
	v_dual_mov_b32 v13, v21 :: v_dual_add_nc_u32 v18, v26, v18
	v_mad_u64_u32 v[21:22], null, 0xdb629599, v8, v[13:14]
	s_delay_alu instid0(VALU_DEP_2) | instskip(NEXT) | instid1(VALU_DEP_2)
	v_cmp_lt_u32_e64 s3, 31, v18
	v_mov_b32_e32 v13, v22
	s_delay_alu instid0(VALU_DEP_3) | instskip(NEXT) | instid1(VALU_DEP_2)
	v_cndmask_b32_e32 v19, v21, v19, vcc_lo
	v_mad_u64_u32 v[22:23], null, 0xf534ddc0, v8, v[13:14]
	s_delay_alu instid0(VALU_DEP_1) | instskip(NEXT) | instid1(VALU_DEP_1)
	v_mov_b32_e32 v13, v23
	v_mad_u64_u32 v[23:24], null, 0xfc2757d1, v8, v[13:14]
	s_delay_alu instid0(VALU_DEP_1) | instskip(NEXT) | instid1(VALU_DEP_1)
	v_mov_b32_e32 v13, v24
	;; [unrolled: 3-line block ×3, first 2 shown]
	v_mad_u64_u32 v[25:26], null, 0xa2f9836e, v8, v[13:14]
	v_cndmask_b32_e64 v8, 0, 0xffffffe0, s3
	s_delay_alu instid0(VALU_DEP_4) | instskip(NEXT) | instid1(VALU_DEP_2)
	v_cndmask_b32_e32 v13, v24, v22, vcc_lo
	v_dual_cndmask_b32 v25, v25, v23 :: v_dual_add_nc_u32 v8, v8, v18
	s_delay_alu instid0(VALU_DEP_4) | instskip(SKIP_1) | instid1(VALU_DEP_3)
	v_dual_cndmask_b32 v24, v26, v24 :: v_dual_cndmask_b32 v23, v23, v21
	v_cndmask_b32_e32 v18, v22, v20, vcc_lo
	v_cmp_eq_u32_e64 s4, 0, v8
	s_delay_alu instid0(VALU_DEP_4) | instskip(NEXT) | instid1(VALU_DEP_4)
	v_cndmask_b32_e64 v20, v25, v13, s2
	v_cndmask_b32_e64 v22, v24, v25, s2
	;; [unrolled: 1-line block ×3, first 2 shown]
	v_sub_nc_u32_e32 v24, 32, v8
	v_cndmask_b32_e64 v23, v23, v18, s2
	v_cndmask_b32_e64 v18, v18, v19, s2
	;; [unrolled: 1-line block ×4, first 2 shown]
	s_delay_alu instid0(VALU_DEP_4) | instskip(NEXT) | instid1(VALU_DEP_4)
	v_cndmask_b32_e64 v13, v13, v23, s3
	v_cndmask_b32_e64 v18, v23, v18, s3
	s_delay_alu instid0(VALU_DEP_3) | instskip(NEXT) | instid1(VALU_DEP_3)
	v_alignbit_b32 v25, v22, v20, v24
	v_alignbit_b32 v26, v20, v13, v24
	s_delay_alu instid0(VALU_DEP_3) | instskip(NEXT) | instid1(VALU_DEP_3)
	v_alignbit_b32 v24, v13, v18, v24
	v_cndmask_b32_e64 v8, v25, v22, s4
	s_delay_alu instid0(VALU_DEP_3) | instskip(NEXT) | instid1(VALU_DEP_3)
	v_cndmask_b32_e64 v20, v26, v20, s4
	v_cndmask_b32_e64 v13, v24, v13, s4
	s_delay_alu instid0(VALU_DEP_3) | instskip(NEXT) | instid1(VALU_DEP_3)
	v_bfe_u32 v21, v8, 29, 1
	v_alignbit_b32 v19, v8, v20, 30
	s_delay_alu instid0(VALU_DEP_3) | instskip(SKIP_1) | instid1(VALU_DEP_4)
	v_alignbit_b32 v20, v20, v13, 30
	v_alignbit_b32 v13, v13, v18, 30
	v_sub_nc_u32_e32 v22, 0, v21
	s_delay_alu instid0(VALU_DEP_1) | instskip(SKIP_3) | instid1(VALU_DEP_4)
	v_xor_b32_e32 v23, v19, v22
	v_cmp_ne_u32_e32 vcc_lo, v19, v22
	v_xor_b32_e32 v18, v20, v22
	v_xor_b32_e32 v13, v13, v22
	v_clz_i32_u32_e32 v25, v23
	s_delay_alu instid0(VALU_DEP_1) | instskip(NEXT) | instid1(VALU_DEP_1)
	v_add_nc_u32_e32 v24, 1, v25
	v_cndmask_b32_e32 v19, 33, v24, vcc_lo
	s_delay_alu instid0(VALU_DEP_1) | instskip(NEXT) | instid1(VALU_DEP_1)
	v_sub_nc_u32_e32 v20, 32, v19
	v_alignbit_b32 v22, v23, v18, v20
	v_alignbit_b32 v13, v18, v13, v20
	v_lshrrev_b32_e32 v18, 29, v8
	v_lshrrev_b32_e32 v8, 30, v8
	s_delay_alu instid0(VALU_DEP_3) | instskip(NEXT) | instid1(VALU_DEP_3)
	v_alignbit_b32 v20, v22, v13, 9
	v_lshlrev_b32_e32 v18, 31, v18
	v_alignbit_b32 v22, v19, v22, 9
	s_delay_alu instid0(VALU_DEP_3) | instskip(NEXT) | instid1(VALU_DEP_2)
	v_clz_i32_u32_e32 v23, v20
	v_or_b32_e32 v22, v22, v18
	v_or_b32_e32 v18, 0x33800000, v18
	s_delay_alu instid0(VALU_DEP_3) | instskip(NEXT) | instid1(VALU_DEP_3)
	v_min_u32_e32 v23, 32, v23
	v_xor_b32_e32 v22, 1.0, v22
	s_delay_alu instid0(VALU_DEP_2) | instskip(SKIP_1) | instid1(VALU_DEP_3)
	v_sub_nc_u32_e32 v24, 31, v23
	v_add_lshl_u32 v19, v23, v19, 23
	v_mul_f32_e32 v23, 0x3fc90fda, v22
	s_delay_alu instid0(VALU_DEP_3) | instskip(NEXT) | instid1(VALU_DEP_3)
	v_alignbit_b32 v13, v20, v13, v24
	v_sub_nc_u32_e32 v18, v18, v19
	s_delay_alu instid0(VALU_DEP_3) | instskip(NEXT) | instid1(VALU_DEP_3)
	v_fma_f32 v19, 0x3fc90fda, v22, -v23
                                        ; implicit-def: $vgpr20
	v_lshrrev_b32_e32 v13, 9, v13
	s_delay_alu instid0(VALU_DEP_2) | instskip(NEXT) | instid1(VALU_DEP_2)
	v_fmac_f32_e32 v19, 0x33a22168, v22
	v_or_b32_e32 v13, v18, v13
	s_delay_alu instid0(VALU_DEP_1) | instskip(NEXT) | instid1(VALU_DEP_1)
	v_fmac_f32_e32 v19, 0x3fc90fda, v13
	v_add_f32_e32 v13, v23, v19
	v_add_nc_u32_e32 v19, v21, v8
	s_and_not1_saveexec_b32 s2, s30
	s_cbranch_execnz .LBB157_41
	s_branch .LBB157_42
.LBB157_40:                             ;   in Loop: Header=BB157_7 Depth=1
	s_and_not1_saveexec_b32 s2, s30
.LBB157_41:                             ;   in Loop: Header=BB157_7 Depth=1
	v_fma_f32 v13, 0xbfc90fda, v20, |v10|
	v_cvt_i32_f32_e32 v19, v20
	s_delay_alu instid0(VALU_DEP_2) | instskip(NEXT) | instid1(VALU_DEP_1)
	v_fmac_f32_e32 v13, 0xb3a22168, v20
	v_fmac_f32_e32 v13, 0xa7c234c4, v20
.LBB157_42:                             ;   in Loop: Header=BB157_7 Depth=1
	s_or_b32 exec_lo, exec_lo, s2
	v_mul_f32_e32 v8, v6, v6
	v_and_b32_e32 v18, 1, v7
	s_delay_alu instid0(VALU_DEP_3) | instskip(SKIP_1) | instid1(VALU_DEP_4)
	v_dual_mul_f32 v20, v13, v13 :: v_dual_and_b32 v23, 1, v19
	v_lshlrev_b32_e32 v7, 30, v7
	v_fmaak_f32 v21, s25, v8, 0x3c0881c4
	v_dual_fmaak_f32 v22, s26, v8, 0xbab64f3b :: v_dual_lshlrev_b32 v19, 30, v19
	v_cmp_eq_u32_e32 vcc_lo, 0, v18
	s_delay_alu instid0(VALU_DEP_3) | instskip(NEXT) | instid1(VALU_DEP_1)
	v_fmaak_f32 v21, v8, v21, 0xbe2aaa9d
	v_dual_fmaak_f32 v24, s25, v20, 0x3c0881c4 :: v_dual_mul_f32 v21, v8, v21
	s_delay_alu instid0(VALU_DEP_1) | instskip(SKIP_1) | instid1(VALU_DEP_3)
	v_fmaak_f32 v24, v20, v24, 0xbe2aaa9d
	v_fmaak_f32 v25, s26, v20, 0xbab64f3b
	v_dual_fmac_f32 v6, v6, v21 :: v_dual_and_b32 v7, 0x80000000, v7
	s_delay_alu instid0(VALU_DEP_3) | instskip(SKIP_1) | instid1(VALU_DEP_4)
	v_mul_f32_e32 v24, v20, v24
	v_fmaak_f32 v22, v8, v22, 0x3d2aabf7
	v_fmaak_f32 v25, v20, v25, 0x3d2aabf7
	s_delay_alu instid0(VALU_DEP_4) | instskip(NEXT) | instid1(VALU_DEP_3)
	v_xor_b32_e32 v5, v5, v7
	v_dual_fmac_f32 v13, v13, v24 :: v_dual_fmaak_f32 v22, v8, v22, 0xbf000004
	s_delay_alu instid0(VALU_DEP_3) | instskip(NEXT) | instid1(VALU_DEP_2)
	v_fmaak_f32 v25, v20, v25, 0xbf000004
	v_fma_f32 v8, v8, v22, 1.0
	s_delay_alu instid0(VALU_DEP_2) | instskip(NEXT) | instid1(VALU_DEP_2)
	v_fma_f32 v7, v20, v25, 1.0
	v_cndmask_b32_e32 v6, v8, v6, vcc_lo
	v_cmp_eq_u32_e32 vcc_lo, 0, v23
	v_and_b32_e32 v8, 0x80000000, v19
	s_delay_alu instid0(VALU_DEP_3) | instskip(SKIP_2) | instid1(VALU_DEP_2)
	v_xor3_b32 v5, v5, v6, v10
	v_cndmask_b32_e64 v7, -v13, v7, vcc_lo
	v_cmp_class_f32_e64 vcc_lo, v10, 0x1f8
	v_xor_b32_e32 v6, v8, v7
	s_delay_alu instid0(VALU_DEP_1) | instskip(NEXT) | instid1(VALU_DEP_1)
	v_mul_f32_e32 v5, v5, v6
	v_cndmask_b32_e32 v10, 0x7fc00000, v5, vcc_lo
.LBB157_43:                             ;   in Loop: Header=BB157_7 Depth=1
	s_or_b32 exec_lo, exec_lo, s29
	v_add_nc_u32_e32 v9, -2.0, v9
	s_delay_alu instid0(VALU_DEP_2)
	v_bfi_b32 v6, 0x7fffffff, 0, v10
.LBB157_44:                             ;   in Loop: Header=BB157_7 Depth=1
	s_or_b32 exec_lo, exec_lo, s28
	s_delay_alu instid0(VALU_DEP_2)
	v_mov_b32_e32 v5, v9
.LBB157_45:                             ;   in Loop: Header=BB157_7 Depth=1
	s_or_b32 exec_lo, exec_lo, s27
	v_and_b32_e32 v7, 0x7fffffff, v11
	s_mov_b32 s2, exec_lo
	s_delay_alu instid0(VALU_DEP_1)
	v_cmpx_gt_u32_e32 0x7f800000, v7
	s_xor_b32 s27, exec_lo, s2
	s_cbranch_execz .LBB157_67
; %bb.46:                               ;   in Loop: Header=BB157_7 Depth=1
	v_cmp_class_f32_e64 s2, v12, 0x1f8
	s_delay_alu instid0(VALU_DEP_1) | instskip(NEXT) | instid1(SALU_CYCLE_1)
	s_and_saveexec_b32 s3, s2
	s_xor_b32 s28, exec_lo, s3
	s_cbranch_execz .LBB157_64
; %bb.47:                               ;   in Loop: Header=BB157_7 Depth=1
	v_and_b32_e32 v9, 0x7fffffff, v12
	s_mov_b32 s2, exec_lo
	v_cmpx_gt_u32_e32 0x41300000, v7
	s_xor_b32 s29, exec_lo, s2
	s_cbranch_execz .LBB157_53
; %bb.48:                               ;   in Loop: Header=BB157_7 Depth=1
                                        ; implicit-def: $vgpr7
                                        ; implicit-def: $vgpr8
	s_mov_b32 s3, exec_lo
	v_cmpx_ngt_f32_e64 0x48000000, |v12|
	s_xor_b32 s30, exec_lo, s3
	s_cbranch_execz .LBB157_50
; %bb.49:                               ;   in Loop: Header=BB157_7 Depth=1
	v_and_or_b32 v10, v9, s21, 0x800000
	s_delay_alu instid0(VALU_DEP_1) | instskip(NEXT) | instid1(VALU_DEP_1)
	v_mad_u64_u32 v[7:8], null, 0xfe5163ab, v10, 0
	v_mov_b32_e32 v13, v8
	v_lshrrev_b32_e32 v8, 23, v9
	s_delay_alu instid0(VALU_DEP_1) | instskip(NEXT) | instid1(VALU_DEP_3)
	v_add_nc_u32_e32 v8, 0xffffff88, v8
	v_mad_u64_u32 v[18:19], null, 0x3c439041, v10, v[13:14]
	s_delay_alu instid0(VALU_DEP_2) | instskip(SKIP_1) | instid1(VALU_DEP_1)
	v_cmp_lt_u32_e32 vcc_lo, 63, v8
	v_cndmask_b32_e64 v23, 0, 0xffffffc0, vcc_lo
	v_add_nc_u32_e32 v8, v23, v8
	s_delay_alu instid0(VALU_DEP_1) | instskip(NEXT) | instid1(VALU_DEP_1)
	v_cmp_lt_u32_e64 s2, 31, v8
	v_cndmask_b32_e64 v24, 0, 0xffffffe0, s2
	s_delay_alu instid0(VALU_DEP_1) | instskip(NEXT) | instid1(VALU_DEP_1)
	v_dual_mov_b32 v13, v19 :: v_dual_add_nc_u32 v8, v24, v8
	v_mad_u64_u32 v[19:20], null, 0xdb629599, v10, v[13:14]
	s_delay_alu instid0(VALU_DEP_2) | instskip(NEXT) | instid1(VALU_DEP_2)
	v_cmp_lt_u32_e64 s3, 31, v8
	v_mov_b32_e32 v13, v20
	s_delay_alu instid0(VALU_DEP_3) | instskip(NEXT) | instid1(VALU_DEP_2)
	v_cndmask_b32_e32 v7, v19, v7, vcc_lo
	v_mad_u64_u32 v[20:21], null, 0xf534ddc0, v10, v[13:14]
	s_delay_alu instid0(VALU_DEP_1) | instskip(NEXT) | instid1(VALU_DEP_1)
	v_mov_b32_e32 v13, v21
	v_mad_u64_u32 v[21:22], null, 0xfc2757d1, v10, v[13:14]
	s_delay_alu instid0(VALU_DEP_1) | instskip(NEXT) | instid1(VALU_DEP_1)
	v_mov_b32_e32 v13, v22
	;; [unrolled: 3-line block ×3, first 2 shown]
	v_mad_u64_u32 v[23:24], null, 0xa2f9836e, v10, v[13:14]
	v_cndmask_b32_e64 v10, 0, 0xffffffe0, s3
	s_delay_alu instid0(VALU_DEP_4) | instskip(NEXT) | instid1(VALU_DEP_2)
	v_cndmask_b32_e32 v13, v22, v20, vcc_lo
	v_dual_cndmask_b32 v23, v23, v21 :: v_dual_add_nc_u32 v8, v10, v8
	s_delay_alu instid0(VALU_DEP_4) | instskip(SKIP_1) | instid1(VALU_DEP_3)
	v_dual_cndmask_b32 v22, v24, v22 :: v_dual_cndmask_b32 v21, v21, v19
	v_cndmask_b32_e32 v10, v20, v18, vcc_lo
	v_cmp_eq_u32_e64 s4, 0, v8
	s_delay_alu instid0(VALU_DEP_4) | instskip(NEXT) | instid1(VALU_DEP_4)
	v_cndmask_b32_e64 v18, v23, v13, s2
	v_cndmask_b32_e64 v20, v22, v23, s2
	v_cndmask_b32_e64 v13, v13, v21, s2
	v_sub_nc_u32_e32 v22, 32, v8
	v_cndmask_b32_e64 v21, v21, v10, s2
	v_cndmask_b32_e64 v7, v10, v7, s2
	;; [unrolled: 1-line block ×4, first 2 shown]
	s_delay_alu instid0(VALU_DEP_4) | instskip(NEXT) | instid1(VALU_DEP_4)
	v_cndmask_b32_e64 v13, v13, v21, s3
	v_cndmask_b32_e64 v7, v21, v7, s3
	s_delay_alu instid0(VALU_DEP_3) | instskip(NEXT) | instid1(VALU_DEP_3)
	v_alignbit_b32 v23, v20, v18, v22
	v_alignbit_b32 v24, v18, v13, v22
	s_delay_alu instid0(VALU_DEP_3) | instskip(NEXT) | instid1(VALU_DEP_3)
	v_alignbit_b32 v22, v13, v7, v22
	v_cndmask_b32_e64 v8, v23, v20, s4
	s_delay_alu instid0(VALU_DEP_3) | instskip(NEXT) | instid1(VALU_DEP_3)
	v_cndmask_b32_e64 v18, v24, v18, s4
	v_cndmask_b32_e64 v13, v22, v13, s4
	s_delay_alu instid0(VALU_DEP_3) | instskip(NEXT) | instid1(VALU_DEP_3)
	v_bfe_u32 v19, v8, 29, 1
	v_alignbit_b32 v10, v8, v18, 30
	s_delay_alu instid0(VALU_DEP_3) | instskip(SKIP_1) | instid1(VALU_DEP_4)
	v_alignbit_b32 v18, v18, v13, 30
	v_alignbit_b32 v7, v13, v7, 30
	v_sub_nc_u32_e32 v20, 0, v19
	s_delay_alu instid0(VALU_DEP_1) | instskip(SKIP_3) | instid1(VALU_DEP_4)
	v_xor_b32_e32 v21, v10, v20
	v_cmp_ne_u32_e32 vcc_lo, v10, v20
	v_xor_b32_e32 v13, v18, v20
	v_xor_b32_e32 v7, v7, v20
	v_clz_i32_u32_e32 v23, v21
	s_delay_alu instid0(VALU_DEP_1) | instskip(NEXT) | instid1(VALU_DEP_1)
	v_add_nc_u32_e32 v22, 1, v23
	v_cndmask_b32_e32 v10, 33, v22, vcc_lo
	s_delay_alu instid0(VALU_DEP_1) | instskip(NEXT) | instid1(VALU_DEP_1)
	v_sub_nc_u32_e32 v18, 32, v10
	v_alignbit_b32 v20, v21, v13, v18
	v_alignbit_b32 v7, v13, v7, v18
	v_lshrrev_b32_e32 v13, 29, v8
	s_delay_alu instid0(VALU_DEP_2) | instskip(NEXT) | instid1(VALU_DEP_2)
	v_alignbit_b32 v18, v20, v7, 9
	v_lshlrev_b32_e32 v13, 31, v13
	v_alignbit_b32 v20, v10, v20, 9
	s_delay_alu instid0(VALU_DEP_3) | instskip(NEXT) | instid1(VALU_DEP_2)
	v_clz_i32_u32_e32 v21, v18
	v_or_b32_e32 v20, v20, v13
	v_or_b32_e32 v13, 0x33800000, v13
	s_delay_alu instid0(VALU_DEP_3) | instskip(NEXT) | instid1(VALU_DEP_3)
	v_min_u32_e32 v21, 32, v21
	v_xor_b32_e32 v20, 1.0, v20
	s_delay_alu instid0(VALU_DEP_2) | instskip(SKIP_1) | instid1(VALU_DEP_3)
	v_sub_nc_u32_e32 v22, 31, v21
	v_add_lshl_u32 v10, v21, v10, 23
	v_mul_f32_e32 v21, 0x3fc90fda, v20
	s_delay_alu instid0(VALU_DEP_3) | instskip(NEXT) | instid1(VALU_DEP_3)
	v_alignbit_b32 v7, v18, v7, v22
	v_sub_nc_u32_e32 v10, v13, v10
	s_delay_alu instid0(VALU_DEP_3) | instskip(NEXT) | instid1(VALU_DEP_3)
	v_fma_f32 v13, 0x3fc90fda, v20, -v21
	v_lshrrev_b32_e32 v7, 9, v7
	s_delay_alu instid0(VALU_DEP_2) | instskip(NEXT) | instid1(VALU_DEP_2)
	v_fmac_f32_e32 v13, 0x33a22168, v20
	v_or_b32_e32 v7, v10, v7
	s_delay_alu instid0(VALU_DEP_1) | instskip(SKIP_1) | instid1(VALU_DEP_1)
	v_fmac_f32_e32 v13, 0x3fc90fda, v7
	v_lshrrev_b32_e32 v7, 30, v8
	v_dual_add_f32 v8, v21, v13 :: v_dual_add_nc_u32 v7, v19, v7
.LBB157_50:                             ;   in Loop: Header=BB157_7 Depth=1
	s_and_not1_saveexec_b32 s2, s30
; %bb.51:                               ;   in Loop: Header=BB157_7 Depth=1
	v_mul_f32_e64 v7, 0x3f22f983, |v12|
	s_delay_alu instid0(VALU_DEP_1) | instskip(NEXT) | instid1(VALU_DEP_1)
	v_rndne_f32_e32 v7, v7
	v_fma_f32 v8, 0xbfc90fda, v7, |v12|
	s_delay_alu instid0(VALU_DEP_1) | instskip(NEXT) | instid1(VALU_DEP_1)
	v_fmac_f32_e32 v8, 0xb3a22168, v7
	v_fmac_f32_e32 v8, 0xa7c234c4, v7
	v_cvt_i32_f32_e32 v7, v7
; %bb.52:                               ;   in Loop: Header=BB157_7 Depth=1
	s_or_b32 exec_lo, exec_lo, s2
	v_add_f32_e64 v10, 0xbf317218, |v11|
	v_cmp_nlt_f32_e64 vcc_lo, 0x42b2d4fc, |v11|
	v_cmp_gt_f32_e64 s2, 0x39800000, |v11|
	v_and_b32_e32 v7, 1, v7
	s_delay_alu instid0(VALU_DEP_4) | instskip(NEXT) | instid1(VALU_DEP_1)
	v_sub_f32_e64 v13, v10, |v11|
	v_dual_sub_f32 v18, v13, v10 :: v_dual_add_f32 v13, 0x3f317218, v13
	s_delay_alu instid0(VALU_DEP_1) | instskip(NEXT) | instid1(VALU_DEP_1)
	v_add_f32_e64 v18, |v11|, v18
	v_sub_f32_e32 v13, v18, v13
	s_delay_alu instid0(VALU_DEP_1) | instskip(NEXT) | instid1(VALU_DEP_1)
	v_add_f32_e32 v13, 0x3102e308, v13
	v_add_f32_e32 v18, v10, v13
	s_delay_alu instid0(VALU_DEP_1) | instskip(SKIP_1) | instid1(VALU_DEP_2)
	v_mul_f32_e32 v19, 0x3fb8aa3b, v18
	v_sub_f32_e32 v10, v10, v18
	v_rndne_f32_e32 v19, v19
	s_delay_alu instid0(VALU_DEP_1) | instskip(SKIP_1) | instid1(VALU_DEP_1)
	v_dual_add_f32 v10, v13, v10 :: v_dual_mul_f32 v13, 0x35bfbc00, v19
	v_fmac_f32_e32 v18, 0xbf317200, v19
	v_add_f32_e32 v20, v10, v18
	s_delay_alu instid0(VALU_DEP_1) | instskip(NEXT) | instid1(VALU_DEP_1)
	v_dual_sub_f32 v21, v20, v13 :: v_dual_sub_f32 v18, v18, v20
	v_sub_f32_e32 v20, v20, v21
	s_delay_alu instid0(VALU_DEP_1) | instskip(NEXT) | instid1(VALU_DEP_1)
	v_dual_add_f32 v10, v10, v18 :: v_dual_sub_f32 v13, v20, v13
	v_dual_add_f32 v10, v10, v13 :: v_dual_mul_f32 v13, 0x2ea39ef3, v19
	s_delay_alu instid0(VALU_DEP_1) | instskip(NEXT) | instid1(VALU_DEP_1)
	v_add_f32_e32 v18, v21, v10
	v_dual_sub_f32 v20, v18, v13 :: v_dual_sub_f32 v21, v21, v18
	s_delay_alu instid0(VALU_DEP_1) | instskip(NEXT) | instid1(VALU_DEP_2)
	v_sub_f32_e32 v18, v18, v20
	v_add_f32_e32 v10, v10, v21
	s_delay_alu instid0(VALU_DEP_2) | instskip(NEXT) | instid1(VALU_DEP_1)
	v_sub_f32_e32 v13, v18, v13
	v_add_f32_e32 v10, v10, v13
	s_delay_alu instid0(VALU_DEP_1) | instskip(NEXT) | instid1(VALU_DEP_1)
	v_add_f32_e32 v13, v20, v10
	v_sub_f32_e32 v18, v20, v13
	s_delay_alu instid0(VALU_DEP_1) | instskip(SKIP_1) | instid1(VALU_DEP_2)
	v_add_f32_e32 v10, v10, v18
	v_fmaak_f32 v18, s24, v13, 0x3c091de6
	v_add_f32_e32 v22, v10, v10
	s_delay_alu instid0(VALU_DEP_2) | instskip(NEXT) | instid1(VALU_DEP_1)
	v_fmaak_f32 v18, v13, v18, 0x3d2aadcc
	v_fmaak_f32 v18, v13, v18, 0x3e2aaa47
	s_delay_alu instid0(VALU_DEP_1) | instskip(SKIP_1) | instid1(VALU_DEP_1)
	v_fmaak_f32 v18, v13, v18, 0x3efffffc
	v_mul_f32_e32 v20, v13, v13
	v_fma_f32 v21, v13, v13, -v20
	s_delay_alu instid0(VALU_DEP_1) | instskip(NEXT) | instid1(VALU_DEP_1)
	v_fmac_f32_e32 v21, v13, v22
	v_add_f32_e32 v22, v20, v21
	s_delay_alu instid0(VALU_DEP_1) | instskip(SKIP_1) | instid1(VALU_DEP_1)
	v_mul_f32_e32 v23, v18, v22
	v_sub_f32_e32 v20, v22, v20
	v_sub_f32_e32 v20, v21, v20
	s_delay_alu instid0(VALU_DEP_3) | instskip(NEXT) | instid1(VALU_DEP_1)
	v_fma_f32 v21, v22, v18, -v23
	v_fmac_f32_e32 v21, v20, v18
	s_delay_alu instid0(VALU_DEP_1) | instskip(NEXT) | instid1(VALU_DEP_1)
	v_add_f32_e32 v18, v23, v21
	v_add_f32_e32 v20, v13, v18
	s_delay_alu instid0(VALU_DEP_1) | instskip(NEXT) | instid1(VALU_DEP_1)
	v_dual_sub_f32 v22, v18, v23 :: v_dual_sub_f32 v13, v20, v13
	v_sub_f32_e32 v21, v21, v22
	s_delay_alu instid0(VALU_DEP_2) | instskip(NEXT) | instid1(VALU_DEP_2)
	v_sub_f32_e32 v13, v18, v13
	v_add_f32_e32 v10, v10, v21
	s_delay_alu instid0(VALU_DEP_1) | instskip(NEXT) | instid1(VALU_DEP_1)
	v_add_f32_e32 v10, v10, v13
	v_add_f32_e32 v13, v20, v10
	s_delay_alu instid0(VALU_DEP_1) | instskip(NEXT) | instid1(VALU_DEP_1)
	v_add_f32_e32 v18, 1.0, v13
	v_dual_sub_f32 v20, v13, v20 :: v_dual_add_f32 v21, -1.0, v18
	s_delay_alu instid0(VALU_DEP_1) | instskip(NEXT) | instid1(VALU_DEP_1)
	v_dual_sub_f32 v10, v10, v20 :: v_dual_sub_f32 v13, v13, v21
	v_add_f32_e32 v10, v10, v13
	v_cvt_i32_f32_e32 v13, v19
	s_delay_alu instid0(VALU_DEP_2) | instskip(NEXT) | instid1(VALU_DEP_1)
	v_add_f32_e32 v19, v18, v10
	v_ldexp_f32 v20, v19, v13
	v_sub_f32_e32 v18, v19, v18
	s_delay_alu instid0(VALU_DEP_2) | instskip(NEXT) | instid1(VALU_DEP_1)
	v_rcp_f32_e32 v21, v20
	v_sub_f32_e32 v10, v10, v18
	s_delay_alu instid0(VALU_DEP_1) | instskip(SKIP_2) | instid1(VALU_DEP_1)
	v_ldexp_f32 v10, v10, v13
	s_waitcnt_depctr 0xfff
	v_mul_f32_e32 v18, v20, v21
	v_fma_f32 v13, v21, v20, -v18
	s_delay_alu instid0(VALU_DEP_1) | instskip(NEXT) | instid1(VALU_DEP_1)
	v_fmac_f32_e32 v13, v21, v10
	v_add_f32_e32 v19, v18, v13
	s_delay_alu instid0(VALU_DEP_1) | instskip(NEXT) | instid1(VALU_DEP_1)
	v_sub_f32_e32 v18, v19, v18
	v_dual_sub_f32 v22, 1.0, v19 :: v_dual_sub_f32 v13, v18, v13
	s_delay_alu instid0(VALU_DEP_1) | instskip(NEXT) | instid1(VALU_DEP_1)
	v_sub_f32_e32 v23, 1.0, v22
	v_sub_f32_e32 v18, v23, v19
	s_delay_alu instid0(VALU_DEP_1) | instskip(NEXT) | instid1(VALU_DEP_1)
	v_add_f32_e32 v13, v13, v18
	v_add_f32_e32 v18, v22, v13
	s_delay_alu instid0(VALU_DEP_1) | instskip(NEXT) | instid1(VALU_DEP_1)
	v_mul_f32_e32 v19, v21, v18
	v_dual_sub_f32 v22, v22, v18 :: v_dual_mul_f32 v23, v20, v19
	s_delay_alu instid0(VALU_DEP_1) | instskip(NEXT) | instid1(VALU_DEP_2)
	v_add_f32_e32 v13, v13, v22
	v_fma_f32 v24, v19, v20, -v23
	s_delay_alu instid0(VALU_DEP_1) | instskip(NEXT) | instid1(VALU_DEP_1)
	v_fmac_f32_e32 v24, v19, v10
	v_add_f32_e32 v25, v23, v24
	s_delay_alu instid0(VALU_DEP_1) | instskip(SKIP_1) | instid1(VALU_DEP_2)
	v_sub_f32_e32 v26, v18, v25
	v_sub_f32_e32 v22, v25, v23
	;; [unrolled: 1-line block ×3, first 2 shown]
	s_delay_alu instid0(VALU_DEP_2) | instskip(NEXT) | instid1(VALU_DEP_2)
	v_sub_f32_e32 v22, v22, v24
	v_sub_f32_e32 v18, v18, v25
	s_delay_alu instid0(VALU_DEP_1) | instskip(NEXT) | instid1(VALU_DEP_1)
	v_add_f32_e32 v13, v13, v18
	v_dual_add_f32 v18, v21, v19 :: v_dual_add_f32 v13, v22, v13
	s_delay_alu instid0(VALU_DEP_1) | instskip(NEXT) | instid1(VALU_DEP_2)
	v_sub_f32_e32 v22, v18, v21
	v_add_f32_e32 v13, v26, v13
	s_delay_alu instid0(VALU_DEP_2) | instskip(NEXT) | instid1(VALU_DEP_2)
	v_sub_f32_e32 v19, v19, v22
	v_mul_f32_e32 v13, v21, v13
	s_delay_alu instid0(VALU_DEP_1) | instskip(NEXT) | instid1(VALU_DEP_1)
	v_add_f32_e32 v13, v19, v13
	v_add_f32_e32 v19, v18, v13
	s_delay_alu instid0(VALU_DEP_1) | instskip(SKIP_1) | instid1(VALU_DEP_1)
	v_ldexp_f32 v21, v19, -2
	v_sub_f32_e32 v18, v19, v18
	v_dual_sub_f32 v22, v20, v21 :: v_dual_sub_f32 v13, v13, v18
	s_delay_alu instid0(VALU_DEP_1) | instskip(NEXT) | instid1(VALU_DEP_2)
	v_sub_f32_e32 v19, v20, v22
	v_ldexp_f32 v13, v13, -2
	s_delay_alu instid0(VALU_DEP_2) | instskip(NEXT) | instid1(VALU_DEP_1)
	v_sub_f32_e32 v18, v19, v21
	v_add_f32_e32 v10, v10, v18
	s_delay_alu instid0(VALU_DEP_1) | instskip(NEXT) | instid1(VALU_DEP_1)
	v_dual_sub_f32 v10, v10, v13 :: v_dual_mul_f32 v13, v8, v8
	v_add_f32_e32 v10, v22, v10
	s_delay_alu instid0(VALU_DEP_2) | instskip(NEXT) | instid1(VALU_DEP_2)
	v_fmaak_f32 v18, s23, v13, 0xbf039337
	v_cndmask_b32_e32 v10, 0x7f800000, v10, vcc_lo
	s_delay_alu instid0(VALU_DEP_2) | instskip(NEXT) | instid1(VALU_DEP_2)
	v_fmaak_f32 v18, v13, v18, 0x3f93f425
	v_cndmask_b32_e64 v10, v10, |v11|, s2
	s_delay_alu instid0(VALU_DEP_2) | instskip(NEXT) | instid1(VALU_DEP_1)
	v_rcp_f32_e32 v18, v18
	v_bfi_b32 v10, 0x7fffffff, v10, v11
	v_fmaak_f32 v11, s22, v13, 0x3ec54587
	s_delay_alu instid0(VALU_DEP_2) | instskip(SKIP_3) | instid1(VALU_DEP_2)
	v_fma_f32 v19, v10, v10, 1.0
	s_waitcnt_depctr 0xfff
	v_dual_mul_f32 v11, v11, v18 :: v_dual_mul_f32 v18, 0x4f800000, v19
	v_cmp_gt_f32_e32 vcc_lo, 0xf800000, v19
	v_mul_f32_e32 v11, v13, v11
	s_delay_alu instid0(VALU_DEP_3) | instskip(NEXT) | instid1(VALU_DEP_2)
	v_cndmask_b32_e32 v13, v19, v18, vcc_lo
	v_fma_f32 v18, v11, v8, v8
	s_delay_alu instid0(VALU_DEP_2) | instskip(NEXT) | instid1(VALU_DEP_1)
	v_sqrt_f32_e32 v19, v13
	v_rcp_f32_e32 v20, v18
	v_sub_f32_e32 v21, v18, v8
	s_delay_alu instid0(VALU_DEP_1) | instskip(SKIP_4) | instid1(VALU_DEP_3)
	v_fma_f32 v8, v11, v8, -v21
	s_waitcnt_depctr 0xfff
	v_add_nc_u32_e32 v22, -1, v19
	v_fma_f32 v11, v18, -v20, 1.0
	v_add_nc_u32_e32 v21, 1, v19
	v_fma_f32 v23, -v22, v19, v13
	s_delay_alu instid0(VALU_DEP_3) | instskip(NEXT) | instid1(VALU_DEP_3)
	v_fma_f32 v8, v8, -v20, v11
	v_fma_f32 v11, -v21, v19, v13
	s_delay_alu instid0(VALU_DEP_3) | instskip(NEXT) | instid1(VALU_DEP_3)
	v_cmp_ge_f32_e64 s2, 0, v23
	v_fma_f32 v8, v8, -v20, -v20
	s_delay_alu instid0(VALU_DEP_2) | instskip(NEXT) | instid1(VALU_DEP_4)
	v_cndmask_b32_e64 v19, v19, v22, s2
	v_cmp_lt_f32_e64 s2, 0, v11
	s_delay_alu instid0(VALU_DEP_1) | instskip(SKIP_1) | instid1(VALU_DEP_1)
	v_cndmask_b32_e64 v11, v19, v21, s2
	v_cmp_eq_u32_e64 s2, 0, v7
	v_cndmask_b32_e64 v7, v8, v18, s2
	s_delay_alu instid0(VALU_DEP_3) | instskip(NEXT) | instid1(VALU_DEP_2)
	v_mul_f32_e32 v8, 0x37800000, v11
	v_xor3_b32 v9, v9, v7, v12
	s_delay_alu instid0(VALU_DEP_2) | instskip(SKIP_1) | instid1(VALU_DEP_3)
	v_cndmask_b32_e32 v7, v11, v8, vcc_lo
	v_cmp_class_f32_e64 vcc_lo, v13, 0x260
	v_fma_f32 v8, v9, v9, 1.0
	s_delay_alu instid0(VALU_DEP_3) | instskip(NEXT) | instid1(VALU_DEP_2)
	v_cndmask_b32_e32 v7, v7, v13, vcc_lo
	v_mul_f32_e32 v11, v10, v8
	s_delay_alu instid0(VALU_DEP_2) | instskip(NEXT) | instid1(VALU_DEP_2)
	v_mul_f32_e32 v7, v7, v8
	v_fma_f32 v8, v10, v11, 1.0
	s_delay_alu instid0(VALU_DEP_2) | instskip(NEXT) | instid1(VALU_DEP_2)
	v_mul_f32_e32 v7, v10, v7
	v_div_scale_f32 v11, null, v8, v8, v9
	s_delay_alu instid0(VALU_DEP_2) | instskip(SKIP_1) | instid1(VALU_DEP_3)
	v_div_scale_f32 v10, null, v8, v8, v7
	v_div_scale_f32 v20, vcc_lo, v7, v8, v7
	v_rcp_f32_e32 v13, v11
	s_delay_alu instid0(VALU_DEP_2) | instskip(SKIP_3) | instid1(VALU_DEP_1)
	v_rcp_f32_e32 v12, v10
	s_waitcnt_depctr 0xfff
	v_fma_f32 v19, -v11, v13, 1.0
	v_fma_f32 v18, -v10, v12, 1.0
	v_dual_fmac_f32 v13, v19, v13 :: v_dual_fmac_f32 v12, v18, v12
	v_div_scale_f32 v18, s2, v9, v8, v9
	s_delay_alu instid0(VALU_DEP_2) | instskip(NEXT) | instid1(VALU_DEP_2)
	v_mul_f32_e32 v19, v20, v12
	v_mul_f32_e32 v21, v18, v13
	s_delay_alu instid0(VALU_DEP_2) | instskip(NEXT) | instid1(VALU_DEP_2)
	v_fma_f32 v22, -v10, v19, v20
	v_fma_f32 v23, -v11, v21, v18
	s_delay_alu instid0(VALU_DEP_2) | instskip(NEXT) | instid1(VALU_DEP_2)
	v_fmac_f32_e32 v19, v22, v12
	v_fmac_f32_e32 v21, v23, v13
	s_delay_alu instid0(VALU_DEP_2) | instskip(NEXT) | instid1(VALU_DEP_2)
	v_fma_f32 v10, -v10, v19, v20
	v_fma_f32 v11, -v11, v21, v18
	s_delay_alu instid0(VALU_DEP_2) | instskip(SKIP_1) | instid1(VALU_DEP_2)
	v_div_fmas_f32 v10, v10, v12, v19
	s_mov_b32 vcc_lo, s2
	v_div_fmas_f32 v11, v11, v13, v21
	s_delay_alu instid0(VALU_DEP_2) | instskip(NEXT) | instid1(VALU_DEP_2)
	v_div_fixup_f32 v7, v10, v8, v7
	v_div_fixup_f32 v8, v11, v8, v9
                                        ; implicit-def: $vgpr9_vgpr10_vgpr11_vgpr12
                                        ; implicit-def: $vgpr9
.LBB157_53:                             ;   in Loop: Header=BB157_7 Depth=1
	s_and_not1_saveexec_b32 s29, s29
	s_cbranch_execz .LBB157_63
; %bb.54:                               ;   in Loop: Header=BB157_7 Depth=1
	v_lshrrev_b32_e32 v7, 23, v9
	v_cmp_ngt_f32_e64 s30, 0x48000000, |v12|
	v_and_or_b32 v8, v9, s21, 0x800000
                                        ; implicit-def: $vgpr10
	s_delay_alu instid0(VALU_DEP_3) | instskip(NEXT) | instid1(VALU_DEP_3)
	v_add_nc_u32_e32 v18, 0xffffff88, v7
                                        ; implicit-def: $vgpr7
	s_and_saveexec_b32 s2, s30
	s_delay_alu instid0(SALU_CYCLE_1)
	s_xor_b32 s31, exec_lo, s2
	s_cbranch_execz .LBB157_56
; %bb.55:                               ;   in Loop: Header=BB157_7 Depth=1
	v_mad_u64_u32 v[19:20], null, 0xfe5163ab, v8, 0
	v_cmp_lt_u32_e32 vcc_lo, 63, v18
	v_cndmask_b32_e64 v7, 0, 0xffffffc0, vcc_lo
	s_delay_alu instid0(VALU_DEP_3) | instskip(NEXT) | instid1(VALU_DEP_2)
	v_mov_b32_e32 v13, v20
	v_add_nc_u32_e32 v7, v7, v18
	s_delay_alu instid0(VALU_DEP_2) | instskip(NEXT) | instid1(VALU_DEP_2)
	v_mad_u64_u32 v[20:21], null, 0x3c439041, v8, v[13:14]
	v_cmp_lt_u32_e64 s2, 31, v7
	s_delay_alu instid0(VALU_DEP_2) | instskip(NEXT) | instid1(VALU_DEP_2)
	v_mov_b32_e32 v13, v21
	v_cndmask_b32_e64 v10, 0, 0xffffffe0, s2
	s_delay_alu instid0(VALU_DEP_2) | instskip(NEXT) | instid1(VALU_DEP_2)
	v_mad_u64_u32 v[21:22], null, 0xdb629599, v8, v[13:14]
	v_add_nc_u32_e32 v7, v10, v7
	s_delay_alu instid0(VALU_DEP_1) | instskip(NEXT) | instid1(VALU_DEP_3)
	v_cmp_lt_u32_e64 s3, 31, v7
	v_mov_b32_e32 v13, v22
	s_delay_alu instid0(VALU_DEP_4) | instskip(NEXT) | instid1(VALU_DEP_3)
	v_cndmask_b32_e32 v19, v21, v19, vcc_lo
	v_cndmask_b32_e64 v10, 0, 0xffffffe0, s3
	s_delay_alu instid0(VALU_DEP_3) | instskip(NEXT) | instid1(VALU_DEP_2)
	v_mad_u64_u32 v[22:23], null, 0xf534ddc0, v8, v[13:14]
	v_add_nc_u32_e32 v7, v10, v7
	s_delay_alu instid0(VALU_DEP_2) | instskip(NEXT) | instid1(VALU_DEP_2)
	v_dual_mov_b32 v13, v23 :: v_dual_cndmask_b32 v10, v22, v20
	v_cmp_eq_u32_e64 s4, 0, v7
	s_delay_alu instid0(VALU_DEP_2) | instskip(NEXT) | instid1(VALU_DEP_1)
	v_mad_u64_u32 v[23:24], null, 0xfc2757d1, v8, v[13:14]
	v_mov_b32_e32 v13, v24
	s_delay_alu instid0(VALU_DEP_1) | instskip(NEXT) | instid1(VALU_DEP_1)
	v_mad_u64_u32 v[24:25], null, 0x4e441529, v8, v[13:14]
	v_mov_b32_e32 v13, v25
	s_delay_alu instid0(VALU_DEP_1) | instskip(NEXT) | instid1(VALU_DEP_3)
	v_mad_u64_u32 v[25:26], null, 0xa2f9836e, v8, v[13:14]
	v_cndmask_b32_e32 v13, v24, v22, vcc_lo
	s_delay_alu instid0(VALU_DEP_2) | instskip(SKIP_1) | instid1(VALU_DEP_2)
	v_dual_cndmask_b32 v25, v25, v23 :: v_dual_cndmask_b32 v24, v26, v24
	v_cndmask_b32_e32 v23, v23, v21, vcc_lo
	v_cndmask_b32_e64 v20, v25, v13, s2
	s_delay_alu instid0(VALU_DEP_3) | instskip(NEXT) | instid1(VALU_DEP_3)
	v_cndmask_b32_e64 v22, v24, v25, s2
	v_cndmask_b32_e64 v13, v13, v23, s2
	v_sub_nc_u32_e32 v24, 32, v7
	v_cndmask_b32_e64 v23, v23, v10, s2
	v_cndmask_b32_e64 v10, v10, v19, s2
	;; [unrolled: 1-line block ×4, first 2 shown]
	s_delay_alu instid0(VALU_DEP_4) | instskip(NEXT) | instid1(VALU_DEP_4)
	v_cndmask_b32_e64 v13, v13, v23, s3
	v_cndmask_b32_e64 v10, v23, v10, s3
	s_delay_alu instid0(VALU_DEP_3) | instskip(NEXT) | instid1(VALU_DEP_3)
	v_alignbit_b32 v25, v22, v20, v24
	v_alignbit_b32 v26, v20, v13, v24
	s_delay_alu instid0(VALU_DEP_3) | instskip(NEXT) | instid1(VALU_DEP_3)
	v_alignbit_b32 v24, v13, v10, v24
	v_cndmask_b32_e64 v7, v25, v22, s4
	s_delay_alu instid0(VALU_DEP_3) | instskip(NEXT) | instid1(VALU_DEP_3)
	v_cndmask_b32_e64 v20, v26, v20, s4
	v_cndmask_b32_e64 v13, v24, v13, s4
	s_delay_alu instid0(VALU_DEP_3) | instskip(NEXT) | instid1(VALU_DEP_3)
	v_bfe_u32 v21, v7, 29, 1
	v_alignbit_b32 v19, v7, v20, 30
	s_delay_alu instid0(VALU_DEP_3) | instskip(SKIP_1) | instid1(VALU_DEP_4)
	v_alignbit_b32 v20, v20, v13, 30
	v_alignbit_b32 v10, v13, v10, 30
	v_sub_nc_u32_e32 v22, 0, v21
	s_delay_alu instid0(VALU_DEP_1) | instskip(SKIP_3) | instid1(VALU_DEP_4)
	v_xor_b32_e32 v23, v19, v22
	v_cmp_ne_u32_e32 vcc_lo, v19, v22
	v_xor_b32_e32 v13, v20, v22
	v_xor_b32_e32 v10, v10, v22
	v_clz_i32_u32_e32 v25, v23
	s_delay_alu instid0(VALU_DEP_1) | instskip(NEXT) | instid1(VALU_DEP_1)
	v_add_nc_u32_e32 v24, 1, v25
	v_cndmask_b32_e32 v19, 33, v24, vcc_lo
	s_delay_alu instid0(VALU_DEP_1) | instskip(NEXT) | instid1(VALU_DEP_1)
	v_sub_nc_u32_e32 v20, 32, v19
	v_alignbit_b32 v22, v23, v13, v20
	v_alignbit_b32 v10, v13, v10, v20
	v_lshrrev_b32_e32 v13, 29, v7
	s_delay_alu instid0(VALU_DEP_2) | instskip(NEXT) | instid1(VALU_DEP_2)
	v_alignbit_b32 v20, v22, v10, 9
	v_lshlrev_b32_e32 v13, 31, v13
	v_alignbit_b32 v22, v19, v22, 9
	s_delay_alu instid0(VALU_DEP_3) | instskip(NEXT) | instid1(VALU_DEP_2)
	v_clz_i32_u32_e32 v23, v20
	v_or_b32_e32 v22, v22, v13
	v_or_b32_e32 v13, 0x33800000, v13
	s_delay_alu instid0(VALU_DEP_3) | instskip(NEXT) | instid1(VALU_DEP_3)
	v_min_u32_e32 v23, 32, v23
	v_xor_b32_e32 v22, 1.0, v22
	s_delay_alu instid0(VALU_DEP_2) | instskip(SKIP_1) | instid1(VALU_DEP_3)
	v_sub_nc_u32_e32 v24, 31, v23
	v_add_lshl_u32 v19, v23, v19, 23
	v_mul_f32_e32 v23, 0x3fc90fda, v22
	s_delay_alu instid0(VALU_DEP_3) | instskip(NEXT) | instid1(VALU_DEP_3)
	v_alignbit_b32 v10, v20, v10, v24
	v_sub_nc_u32_e32 v13, v13, v19
	s_delay_alu instid0(VALU_DEP_3) | instskip(NEXT) | instid1(VALU_DEP_3)
	v_fma_f32 v19, 0x3fc90fda, v22, -v23
	v_lshrrev_b32_e32 v10, 9, v10
	s_delay_alu instid0(VALU_DEP_2) | instskip(NEXT) | instid1(VALU_DEP_2)
	v_fmac_f32_e32 v19, 0x33a22168, v22
	v_or_b32_e32 v10, v13, v10
	s_delay_alu instid0(VALU_DEP_1) | instskip(SKIP_1) | instid1(VALU_DEP_1)
	v_fmac_f32_e32 v19, 0x3fc90fda, v10
	v_lshrrev_b32_e32 v10, 30, v7
	v_dual_add_f32 v7, v23, v19 :: v_dual_add_nc_u32 v10, v21, v10
	s_and_not1_saveexec_b32 s2, s31
	s_branch .LBB157_57
.LBB157_56:                             ;   in Loop: Header=BB157_7 Depth=1
	s_and_not1_saveexec_b32 s2, s31
.LBB157_57:                             ;   in Loop: Header=BB157_7 Depth=1
	v_mul_f32_e64 v7, 0x3f22f983, |v12|
	s_delay_alu instid0(VALU_DEP_1) | instskip(NEXT) | instid1(VALU_DEP_1)
	v_rndne_f32_e32 v10, v7
	v_fma_f32 v7, 0xbfc90fda, v10, |v12|
	s_delay_alu instid0(VALU_DEP_1) | instskip(NEXT) | instid1(VALU_DEP_1)
	v_fmac_f32_e32 v7, 0xb3a22168, v10
	v_fmac_f32_e32 v7, 0xa7c234c4, v10
	v_cvt_i32_f32_e32 v10, v10
; %bb.58:                               ;   in Loop: Header=BB157_7 Depth=1
	s_or_b32 exec_lo, exec_lo, s2
                                        ; implicit-def: $vgpr19
                                        ; implicit-def: $vgpr13
	s_and_saveexec_b32 s2, s30
	s_delay_alu instid0(SALU_CYCLE_1)
	s_xor_b32 s30, exec_lo, s2
	s_cbranch_execz .LBB157_60
; %bb.59:                               ;   in Loop: Header=BB157_7 Depth=1
	v_mad_u64_u32 v[19:20], null, 0xfe5163ab, v8, 0
	v_cmp_lt_u32_e32 vcc_lo, 63, v18
	v_cndmask_b32_e64 v25, 0, 0xffffffc0, vcc_lo
	s_delay_alu instid0(VALU_DEP_1) | instskip(NEXT) | instid1(VALU_DEP_1)
	v_dual_mov_b32 v13, v20 :: v_dual_add_nc_u32 v18, v25, v18
	v_mad_u64_u32 v[20:21], null, 0x3c439041, v8, v[13:14]
	s_delay_alu instid0(VALU_DEP_2) | instskip(NEXT) | instid1(VALU_DEP_1)
	v_cmp_lt_u32_e64 s2, 31, v18
	v_cndmask_b32_e64 v26, 0, 0xffffffe0, s2
	s_delay_alu instid0(VALU_DEP_1) | instskip(NEXT) | instid1(VALU_DEP_1)
	v_dual_mov_b32 v13, v21 :: v_dual_add_nc_u32 v18, v26, v18
	v_mad_u64_u32 v[21:22], null, 0xdb629599, v8, v[13:14]
	s_delay_alu instid0(VALU_DEP_2) | instskip(NEXT) | instid1(VALU_DEP_2)
	v_cmp_lt_u32_e64 s3, 31, v18
	v_mov_b32_e32 v13, v22
	s_delay_alu instid0(VALU_DEP_3) | instskip(NEXT) | instid1(VALU_DEP_2)
	v_cndmask_b32_e32 v19, v21, v19, vcc_lo
	v_mad_u64_u32 v[22:23], null, 0xf534ddc0, v8, v[13:14]
	s_delay_alu instid0(VALU_DEP_1) | instskip(NEXT) | instid1(VALU_DEP_1)
	v_mov_b32_e32 v13, v23
	v_mad_u64_u32 v[23:24], null, 0xfc2757d1, v8, v[13:14]
	s_delay_alu instid0(VALU_DEP_1) | instskip(NEXT) | instid1(VALU_DEP_1)
	v_mov_b32_e32 v13, v24
	;; [unrolled: 3-line block ×3, first 2 shown]
	v_mad_u64_u32 v[25:26], null, 0xa2f9836e, v8, v[13:14]
	v_cndmask_b32_e64 v8, 0, 0xffffffe0, s3
	s_delay_alu instid0(VALU_DEP_4) | instskip(NEXT) | instid1(VALU_DEP_2)
	v_cndmask_b32_e32 v13, v24, v22, vcc_lo
	v_dual_cndmask_b32 v25, v25, v23 :: v_dual_add_nc_u32 v8, v8, v18
	s_delay_alu instid0(VALU_DEP_4) | instskip(SKIP_1) | instid1(VALU_DEP_3)
	v_dual_cndmask_b32 v24, v26, v24 :: v_dual_cndmask_b32 v23, v23, v21
	v_cndmask_b32_e32 v18, v22, v20, vcc_lo
	v_cmp_eq_u32_e64 s4, 0, v8
	s_delay_alu instid0(VALU_DEP_4) | instskip(NEXT) | instid1(VALU_DEP_4)
	v_cndmask_b32_e64 v20, v25, v13, s2
	v_cndmask_b32_e64 v22, v24, v25, s2
	;; [unrolled: 1-line block ×3, first 2 shown]
	v_sub_nc_u32_e32 v24, 32, v8
	v_cndmask_b32_e64 v23, v23, v18, s2
	v_cndmask_b32_e64 v18, v18, v19, s2
	;; [unrolled: 1-line block ×4, first 2 shown]
	s_delay_alu instid0(VALU_DEP_4) | instskip(NEXT) | instid1(VALU_DEP_4)
	v_cndmask_b32_e64 v13, v13, v23, s3
	v_cndmask_b32_e64 v18, v23, v18, s3
	s_delay_alu instid0(VALU_DEP_3) | instskip(NEXT) | instid1(VALU_DEP_3)
	v_alignbit_b32 v25, v22, v20, v24
	v_alignbit_b32 v26, v20, v13, v24
	s_delay_alu instid0(VALU_DEP_3) | instskip(NEXT) | instid1(VALU_DEP_3)
	v_alignbit_b32 v24, v13, v18, v24
	v_cndmask_b32_e64 v8, v25, v22, s4
	s_delay_alu instid0(VALU_DEP_3) | instskip(NEXT) | instid1(VALU_DEP_3)
	v_cndmask_b32_e64 v20, v26, v20, s4
	v_cndmask_b32_e64 v13, v24, v13, s4
	s_delay_alu instid0(VALU_DEP_3) | instskip(NEXT) | instid1(VALU_DEP_3)
	v_bfe_u32 v21, v8, 29, 1
	v_alignbit_b32 v19, v8, v20, 30
	s_delay_alu instid0(VALU_DEP_3) | instskip(SKIP_1) | instid1(VALU_DEP_4)
	v_alignbit_b32 v20, v20, v13, 30
	v_alignbit_b32 v13, v13, v18, 30
	v_sub_nc_u32_e32 v22, 0, v21
	s_delay_alu instid0(VALU_DEP_1) | instskip(SKIP_3) | instid1(VALU_DEP_4)
	v_xor_b32_e32 v23, v19, v22
	v_cmp_ne_u32_e32 vcc_lo, v19, v22
	v_xor_b32_e32 v18, v20, v22
	v_xor_b32_e32 v13, v13, v22
	v_clz_i32_u32_e32 v25, v23
	s_delay_alu instid0(VALU_DEP_1) | instskip(NEXT) | instid1(VALU_DEP_1)
	v_add_nc_u32_e32 v24, 1, v25
	v_cndmask_b32_e32 v19, 33, v24, vcc_lo
	s_delay_alu instid0(VALU_DEP_1) | instskip(NEXT) | instid1(VALU_DEP_1)
	v_sub_nc_u32_e32 v20, 32, v19
	v_alignbit_b32 v22, v23, v18, v20
	v_alignbit_b32 v13, v18, v13, v20
	v_lshrrev_b32_e32 v18, 29, v8
	v_lshrrev_b32_e32 v8, 30, v8
	s_delay_alu instid0(VALU_DEP_3) | instskip(NEXT) | instid1(VALU_DEP_3)
	v_alignbit_b32 v20, v22, v13, 9
	v_lshlrev_b32_e32 v18, 31, v18
	v_alignbit_b32 v22, v19, v22, 9
	s_delay_alu instid0(VALU_DEP_3) | instskip(NEXT) | instid1(VALU_DEP_2)
	v_clz_i32_u32_e32 v23, v20
	v_or_b32_e32 v22, v22, v18
	v_or_b32_e32 v18, 0x33800000, v18
	s_delay_alu instid0(VALU_DEP_3) | instskip(NEXT) | instid1(VALU_DEP_3)
	v_min_u32_e32 v23, 32, v23
	v_xor_b32_e32 v22, 1.0, v22
	s_delay_alu instid0(VALU_DEP_2) | instskip(SKIP_1) | instid1(VALU_DEP_3)
	v_sub_nc_u32_e32 v24, 31, v23
	v_add_lshl_u32 v19, v23, v19, 23
	v_mul_f32_e32 v23, 0x3fc90fda, v22
	s_delay_alu instid0(VALU_DEP_3) | instskip(NEXT) | instid1(VALU_DEP_3)
	v_alignbit_b32 v13, v20, v13, v24
	v_sub_nc_u32_e32 v18, v18, v19
	s_delay_alu instid0(VALU_DEP_3) | instskip(NEXT) | instid1(VALU_DEP_3)
	v_fma_f32 v19, 0x3fc90fda, v22, -v23
	v_lshrrev_b32_e32 v13, 9, v13
	s_delay_alu instid0(VALU_DEP_2) | instskip(NEXT) | instid1(VALU_DEP_2)
	v_fmac_f32_e32 v19, 0x33a22168, v22
	v_or_b32_e32 v13, v18, v13
	s_delay_alu instid0(VALU_DEP_1) | instskip(NEXT) | instid1(VALU_DEP_1)
	v_fmac_f32_e32 v19, 0x3fc90fda, v13
	v_add_f32_e32 v13, v23, v19
	v_add_nc_u32_e32 v19, v21, v8
	s_and_not1_saveexec_b32 s2, s30
	s_cbranch_execnz .LBB157_61
	s_branch .LBB157_62
.LBB157_60:                             ;   in Loop: Header=BB157_7 Depth=1
	s_and_not1_saveexec_b32 s2, s30
.LBB157_61:                             ;   in Loop: Header=BB157_7 Depth=1
	v_mul_f32_e64 v8, 0x3f22f983, |v12|
	s_delay_alu instid0(VALU_DEP_1) | instskip(NEXT) | instid1(VALU_DEP_1)
	v_rndne_f32_e32 v8, v8
	v_fma_f32 v13, 0xbfc90fda, v8, |v12|
	v_cvt_i32_f32_e32 v19, v8
	s_delay_alu instid0(VALU_DEP_2) | instskip(NEXT) | instid1(VALU_DEP_1)
	v_fmac_f32_e32 v13, 0xb3a22168, v8
	v_fmac_f32_e32 v13, 0xa7c234c4, v8
.LBB157_62:                             ;   in Loop: Header=BB157_7 Depth=1
	s_or_b32 exec_lo, exec_lo, s2
	s_delay_alu instid0(VALU_DEP_1) | instskip(SKIP_2) | instid1(VALU_DEP_3)
	v_dual_mul_f32 v8, v7, v7 :: v_dual_mul_f32 v23, v13, v13
	v_and_b32_e32 v18, 1, v10
	v_mul_f32_e64 v20, 0xbfb8aa3b, |v11|
	v_dual_fmaak_f32 v21, s25, v8, 0x3c0881c4 :: v_dual_lshlrev_b32 v10, 30, v10
	s_delay_alu instid0(VALU_DEP_4) | instskip(NEXT) | instid1(VALU_DEP_3)
	v_fmaak_f32 v26, s25, v23, 0x3c0881c4
	v_rndne_f32_e32 v24, v20
	v_fma_f32 v25, 0xbfb8aa3b, |v11|, -v20
	s_delay_alu instid0(VALU_DEP_4) | instskip(SKIP_1) | instid1(VALU_DEP_4)
	v_fmaak_f32 v21, v8, v21, 0xbe2aaa9d
	v_dual_fmaak_f32 v22, s26, v8, 0xbab64f3b :: v_dual_fmaak_f32 v27, s26, v23, 0xbab64f3b
	v_sub_f32_e32 v20, v20, v24
	s_delay_alu instid0(VALU_DEP_4) | instskip(NEXT) | instid1(VALU_DEP_4)
	v_fma_f32 v25, 0xb2a5705f, |v11|, v25
	v_mul_f32_e32 v21, v8, v21
	s_delay_alu instid0(VALU_DEP_4)
	v_fmaak_f32 v22, v8, v22, 0x3d2aabf7
	v_and_b32_e32 v10, 0x80000000, v10
	v_cmp_eq_u32_e32 vcc_lo, 0, v18
	v_add_f32_e32 v20, v20, v25
	v_fmac_f32_e32 v7, v7, v21
	v_fmaak_f32 v21, v23, v27, 0x3d2aabf7
	v_fmaak_f32 v22, v8, v22, 0xbf000004
	v_and_b32_e32 v18, 1, v19
	v_exp_f32_e32 v20, v20
	v_lshlrev_b32_e32 v19, 30, v19
	v_xor_b32_e32 v9, v9, v10
	v_fma_f32 v8, v8, v22, 1.0
	v_fmaak_f32 v26, v23, v26, 0xbe2aaa9d
	v_cvt_i32_f32_e32 v10, v24
	s_delay_alu instid0(VALU_DEP_3) | instskip(SKIP_1) | instid1(VALU_DEP_2)
	v_dual_cndmask_b32 v7, v8, v7 :: v_dual_fmaak_f32 v8, v23, v21, 0xbf000004
	v_cmp_eq_u32_e32 vcc_lo, 0, v18
	v_xor3_b32 v7, v9, v7, v12
	s_delay_alu instid0(TRANS32_DEP_1) | instid1(VALU_DEP_4)
	v_ldexp_f32 v9, v20, v10
	v_mul_f32_e32 v22, v23, v26
	v_fma_f32 v8, v23, v8, 1.0
	s_delay_alu instid0(VALU_DEP_4) | instskip(NEXT) | instid1(VALU_DEP_3)
	v_mul_f32_e32 v7, 4.0, v7
	v_dual_fmac_f32 v13, v13, v22 :: v_dual_and_b32 v10, 0x80000000, v19
	s_delay_alu instid0(VALU_DEP_1) | instskip(SKIP_1) | instid1(VALU_DEP_2)
	v_cndmask_b32_e64 v8, -v13, v8, vcc_lo
	v_cmp_nlt_f32_e64 vcc_lo, 0x42ce8ed0, |v11|
	v_xor_b32_e32 v8, v10, v8
	v_cndmask_b32_e32 v9, 0, v9, vcc_lo
	v_cmp_ngt_f32_e64 vcc_lo, 0xc2b17218, |v11|
	s_delay_alu instid0(VALU_DEP_3) | instskip(NEXT) | instid1(VALU_DEP_3)
	v_mul_f32_e32 v7, v7, v8
	v_cndmask_b32_e32 v9, 0x7f800000, v9, vcc_lo
	s_delay_alu instid0(VALU_DEP_1) | instskip(SKIP_1) | instid1(VALU_DEP_2)
	v_mul_f32_e32 v8, v9, v7
	v_bfi_b32 v7, 0x7fffffff, 1.0, v11
	v_mul_f32_e32 v8, v9, v8
.LBB157_63:                             ;   in Loop: Header=BB157_7 Depth=1
	s_or_b32 exec_lo, exec_lo, s29
                                        ; implicit-def: $vgpr9_vgpr10_vgpr11_vgpr12
.LBB157_64:                             ;   in Loop: Header=BB157_7 Depth=1
	s_and_not1_saveexec_b32 s2, s28
; %bb.65:                               ;   in Loop: Header=BB157_7 Depth=1
	v_sub_f32_e32 v8, v12, v12
	s_delay_alu instid0(VALU_DEP_1)
	v_mov_b32_e32 v7, v8
; %bb.66:                               ;   in Loop: Header=BB157_7 Depth=1
	s_or_b32 exec_lo, exec_lo, s2
                                        ; implicit-def: $vgpr11
.LBB157_67:                             ;   in Loop: Header=BB157_7 Depth=1
	s_and_not1_saveexec_b32 s27, s27
	s_cbranch_execz .LBB157_83
; %bb.68:                               ;   in Loop: Header=BB157_7 Depth=1
	v_and_b32_e32 v7, 0x7fffff, v11
	s_mov_b32 s2, exec_lo
	s_delay_alu instid0(VALU_DEP_1)
	v_cmpx_ne_u32_e32 0, v7
	s_xor_b32 s2, exec_lo, s2
; %bb.69:                               ;   in Loop: Header=BB157_7 Depth=1
	v_mul_f32_e32 v7, v11, v12
	v_cmp_eq_f32_e32 vcc_lo, 0, v12
	s_delay_alu instid0(VALU_DEP_2)
	v_cndmask_b32_e32 v8, v7, v12, vcc_lo
; %bb.70:                               ;   in Loop: Header=BB157_7 Depth=1
	s_and_not1_saveexec_b32 s28, s2
	s_cbranch_execz .LBB157_82
; %bb.71:                               ;   in Loop: Header=BB157_7 Depth=1
	s_mov_b32 s29, exec_lo
	v_cmpx_neq_f32_e64 0x7f800000, |v12|
	s_cbranch_execz .LBB157_81
; %bb.72:                               ;   in Loop: Header=BB157_7 Depth=1
	v_and_b32_e32 v7, 0x7fffffff, v12
	v_cmp_ngt_f32_e64 s30, 0x48000000, |v12|
                                        ; implicit-def: $vgpr9
	s_delay_alu instid0(VALU_DEP_2) | instskip(SKIP_1) | instid1(VALU_DEP_2)
	v_lshrrev_b32_e32 v8, 23, v7
	v_and_or_b32 v10, v7, s21, 0x800000
	v_add_nc_u32_e32 v18, 0xffffff88, v8
                                        ; implicit-def: $vgpr8
	s_delay_alu instid0(VALU_DEP_4) | instskip(NEXT) | instid1(SALU_CYCLE_1)
	s_and_saveexec_b32 s2, s30
	s_xor_b32 s31, exec_lo, s2
	s_cbranch_execz .LBB157_74
; %bb.73:                               ;   in Loop: Header=BB157_7 Depth=1
	v_mad_u64_u32 v[8:9], null, 0xfe5163ab, v10, 0
	v_cmp_lt_u32_e32 vcc_lo, 63, v18
	s_delay_alu instid0(VALU_DEP_2) | instskip(SKIP_1) | instid1(VALU_DEP_2)
	v_mov_b32_e32 v13, v9
	v_cndmask_b32_e64 v9, 0, 0xffffffc0, vcc_lo
	v_mad_u64_u32 v[19:20], null, 0x3c439041, v10, v[13:14]
	s_delay_alu instid0(VALU_DEP_2) | instskip(NEXT) | instid1(VALU_DEP_1)
	v_add_nc_u32_e32 v9, v9, v18
	v_cmp_lt_u32_e64 s2, 31, v9
	s_delay_alu instid0(VALU_DEP_3) | instskip(NEXT) | instid1(VALU_DEP_2)
	v_mov_b32_e32 v13, v20
	v_cndmask_b32_e64 v25, 0, 0xffffffe0, s2
	s_delay_alu instid0(VALU_DEP_2) | instskip(NEXT) | instid1(VALU_DEP_2)
	v_mad_u64_u32 v[20:21], null, 0xdb629599, v10, v[13:14]
	v_add_nc_u32_e32 v9, v25, v9
	s_delay_alu instid0(VALU_DEP_2) | instskip(NEXT) | instid1(VALU_DEP_2)
	v_mov_b32_e32 v13, v21
	v_cmp_lt_u32_e64 s3, 31, v9
	s_delay_alu instid0(VALU_DEP_4) | instskip(NEXT) | instid1(VALU_DEP_3)
	v_cndmask_b32_e32 v8, v20, v8, vcc_lo
	v_mad_u64_u32 v[21:22], null, 0xf534ddc0, v10, v[13:14]
	s_delay_alu instid0(VALU_DEP_1) | instskip(NEXT) | instid1(VALU_DEP_1)
	v_mov_b32_e32 v13, v22
	v_mad_u64_u32 v[22:23], null, 0xfc2757d1, v10, v[13:14]
	s_delay_alu instid0(VALU_DEP_1) | instskip(NEXT) | instid1(VALU_DEP_1)
	v_mov_b32_e32 v13, v23
	v_mad_u64_u32 v[23:24], null, 0x4e441529, v10, v[13:14]
	s_delay_alu instid0(VALU_DEP_1) | instskip(NEXT) | instid1(VALU_DEP_1)
	v_dual_mov_b32 v13, v24 :: v_dual_cndmask_b32 v26, v23, v21
	v_mad_u64_u32 v[24:25], null, 0xa2f9836e, v10, v[13:14]
	v_cndmask_b32_e64 v13, 0, 0xffffffe0, s3
	s_delay_alu instid0(VALU_DEP_1) | instskip(NEXT) | instid1(VALU_DEP_3)
	v_dual_cndmask_b32 v24, v24, v22 :: v_dual_add_nc_u32 v9, v13, v9
	v_dual_cndmask_b32 v23, v25, v23 :: v_dual_cndmask_b32 v22, v22, v20
	v_cndmask_b32_e32 v13, v21, v19, vcc_lo
	s_delay_alu instid0(VALU_DEP_3) | instskip(NEXT) | instid1(VALU_DEP_4)
	v_cmp_eq_u32_e64 s4, 0, v9
	v_cndmask_b32_e64 v19, v24, v26, s2
	s_delay_alu instid0(VALU_DEP_4)
	v_cndmask_b32_e64 v21, v23, v24, s2
	v_cndmask_b32_e64 v23, v26, v22, s2
	v_sub_nc_u32_e32 v24, 32, v9
	v_cndmask_b32_e64 v22, v22, v13, s2
	v_cndmask_b32_e64 v8, v13, v8, s2
	;; [unrolled: 1-line block ×4, first 2 shown]
	s_delay_alu instid0(VALU_DEP_4) | instskip(NEXT) | instid1(VALU_DEP_4)
	v_cndmask_b32_e64 v23, v23, v22, s3
	v_cndmask_b32_e64 v8, v22, v8, s3
	s_delay_alu instid0(VALU_DEP_3) | instskip(NEXT) | instid1(VALU_DEP_3)
	v_alignbit_b32 v25, v21, v19, v24
	v_alignbit_b32 v26, v19, v23, v24
	s_delay_alu instid0(VALU_DEP_3) | instskip(NEXT) | instid1(VALU_DEP_3)
	v_alignbit_b32 v24, v23, v8, v24
	v_cndmask_b32_e64 v9, v25, v21, s4
	s_delay_alu instid0(VALU_DEP_3) | instskip(NEXT) | instid1(VALU_DEP_3)
	v_cndmask_b32_e64 v19, v26, v19, s4
	v_cndmask_b32_e64 v23, v24, v23, s4
	s_delay_alu instid0(VALU_DEP_3) | instskip(NEXT) | instid1(VALU_DEP_3)
	v_bfe_u32 v20, v9, 29, 1
	v_alignbit_b32 v13, v9, v19, 30
	s_delay_alu instid0(VALU_DEP_3) | instskip(SKIP_1) | instid1(VALU_DEP_4)
	v_alignbit_b32 v19, v19, v23, 30
	v_alignbit_b32 v8, v23, v8, 30
	v_sub_nc_u32_e32 v21, 0, v20
	s_delay_alu instid0(VALU_DEP_1) | instskip(SKIP_3) | instid1(VALU_DEP_4)
	v_xor_b32_e32 v22, v13, v21
	v_cmp_ne_u32_e32 vcc_lo, v13, v21
	v_xor_b32_e32 v19, v19, v21
	v_xor_b32_e32 v8, v8, v21
	v_clz_i32_u32_e32 v25, v22
	s_delay_alu instid0(VALU_DEP_1) | instskip(NEXT) | instid1(VALU_DEP_1)
	v_add_nc_u32_e32 v24, 1, v25
	v_cndmask_b32_e32 v13, 33, v24, vcc_lo
	s_delay_alu instid0(VALU_DEP_1) | instskip(NEXT) | instid1(VALU_DEP_1)
	v_sub_nc_u32_e32 v23, 32, v13
	v_alignbit_b32 v21, v22, v19, v23
	v_alignbit_b32 v8, v19, v8, v23
	v_lshrrev_b32_e32 v19, 29, v9
	v_lshrrev_b32_e32 v9, 30, v9
	s_delay_alu instid0(VALU_DEP_3) | instskip(NEXT) | instid1(VALU_DEP_3)
	v_alignbit_b32 v22, v21, v8, 9
	v_lshlrev_b32_e32 v19, 31, v19
	v_alignbit_b32 v21, v13, v21, 9
	s_delay_alu instid0(VALU_DEP_4) | instskip(NEXT) | instid1(VALU_DEP_4)
	v_add_nc_u32_e32 v9, v20, v9
	v_clz_i32_u32_e32 v23, v22
	s_delay_alu instid0(VALU_DEP_3) | instskip(SKIP_1) | instid1(VALU_DEP_3)
	v_or_b32_e32 v21, v21, v19
	v_or_b32_e32 v19, 0x33800000, v19
	v_min_u32_e32 v23, 32, v23
	s_delay_alu instid0(VALU_DEP_3) | instskip(NEXT) | instid1(VALU_DEP_2)
	v_xor_b32_e32 v21, 1.0, v21
	v_sub_nc_u32_e32 v24, 31, v23
	v_add_lshl_u32 v13, v23, v13, 23
	s_delay_alu instid0(VALU_DEP_3) | instskip(NEXT) | instid1(VALU_DEP_3)
	v_mul_f32_e32 v23, 0x3fc90fda, v21
	v_alignbit_b32 v8, v22, v8, v24
	s_delay_alu instid0(VALU_DEP_3) | instskip(NEXT) | instid1(VALU_DEP_3)
	v_sub_nc_u32_e32 v13, v19, v13
	v_fma_f32 v19, 0x3fc90fda, v21, -v23
	s_delay_alu instid0(VALU_DEP_3) | instskip(NEXT) | instid1(VALU_DEP_2)
	v_lshrrev_b32_e32 v8, 9, v8
	v_fmac_f32_e32 v19, 0x33a22168, v21
	s_delay_alu instid0(VALU_DEP_2) | instskip(NEXT) | instid1(VALU_DEP_1)
	v_or_b32_e32 v8, v13, v8
	v_fmac_f32_e32 v19, 0x3fc90fda, v8
	s_delay_alu instid0(VALU_DEP_1)
	v_add_f32_e32 v8, v23, v19
.LBB157_74:                             ;   in Loop: Header=BB157_7 Depth=1
	s_or_saveexec_b32 s2, s31
	v_mul_f32_e64 v13, 0x3f22f983, |v12|
	s_delay_alu instid0(VALU_DEP_1)
	v_rndne_f32_e32 v20, v13
	s_xor_b32 exec_lo, exec_lo, s2
; %bb.75:                               ;   in Loop: Header=BB157_7 Depth=1
	s_delay_alu instid0(VALU_DEP_1) | instskip(SKIP_1) | instid1(VALU_DEP_2)
	v_fma_f32 v8, 0xbfc90fda, v20, |v12|
	v_cvt_i32_f32_e32 v9, v20
	v_fmac_f32_e32 v8, 0xb3a22168, v20
	s_delay_alu instid0(VALU_DEP_1)
	v_fmac_f32_e32 v8, 0xa7c234c4, v20
; %bb.76:                               ;   in Loop: Header=BB157_7 Depth=1
	s_or_b32 exec_lo, exec_lo, s2
                                        ; implicit-def: $vgpr19
                                        ; implicit-def: $vgpr13
	s_and_saveexec_b32 s2, s30
	s_delay_alu instid0(SALU_CYCLE_1)
	s_xor_b32 s30, exec_lo, s2
	s_cbranch_execz .LBB157_78
; %bb.77:                               ;   in Loop: Header=BB157_7 Depth=1
	v_mad_u64_u32 v[19:20], null, 0xfe5163ab, v10, 0
	v_cmp_lt_u32_e32 vcc_lo, 63, v18
	v_cndmask_b32_e64 v25, 0, 0xffffffc0, vcc_lo
	s_delay_alu instid0(VALU_DEP_1) | instskip(NEXT) | instid1(VALU_DEP_1)
	v_dual_mov_b32 v13, v20 :: v_dual_add_nc_u32 v18, v25, v18
	v_mad_u64_u32 v[20:21], null, 0x3c439041, v10, v[13:14]
	s_delay_alu instid0(VALU_DEP_2) | instskip(NEXT) | instid1(VALU_DEP_1)
	v_cmp_lt_u32_e64 s2, 31, v18
	v_cndmask_b32_e64 v26, 0, 0xffffffe0, s2
	s_delay_alu instid0(VALU_DEP_1) | instskip(NEXT) | instid1(VALU_DEP_1)
	v_dual_mov_b32 v13, v21 :: v_dual_add_nc_u32 v18, v26, v18
	v_mad_u64_u32 v[21:22], null, 0xdb629599, v10, v[13:14]
	s_delay_alu instid0(VALU_DEP_2) | instskip(NEXT) | instid1(VALU_DEP_2)
	v_cmp_lt_u32_e64 s3, 31, v18
	v_mov_b32_e32 v13, v22
	s_delay_alu instid0(VALU_DEP_3) | instskip(NEXT) | instid1(VALU_DEP_2)
	v_cndmask_b32_e32 v19, v21, v19, vcc_lo
	v_mad_u64_u32 v[22:23], null, 0xf534ddc0, v10, v[13:14]
	s_delay_alu instid0(VALU_DEP_1) | instskip(NEXT) | instid1(VALU_DEP_1)
	v_mov_b32_e32 v13, v23
	v_mad_u64_u32 v[23:24], null, 0xfc2757d1, v10, v[13:14]
	s_delay_alu instid0(VALU_DEP_1) | instskip(NEXT) | instid1(VALU_DEP_1)
	v_mov_b32_e32 v13, v24
	;; [unrolled: 3-line block ×3, first 2 shown]
	v_mad_u64_u32 v[25:26], null, 0xa2f9836e, v10, v[13:14]
	v_cndmask_b32_e64 v10, 0, 0xffffffe0, s3
	s_delay_alu instid0(VALU_DEP_4) | instskip(NEXT) | instid1(VALU_DEP_2)
	v_cndmask_b32_e32 v13, v24, v22, vcc_lo
	v_add_nc_u32_e32 v10, v10, v18
	s_delay_alu instid0(VALU_DEP_4) | instskip(SKIP_1) | instid1(VALU_DEP_3)
	v_dual_cndmask_b32 v18, v22, v20 :: v_dual_cndmask_b32 v25, v25, v23
	v_dual_cndmask_b32 v24, v26, v24 :: v_dual_cndmask_b32 v23, v23, v21
	v_cmp_eq_u32_e64 s4, 0, v10
	s_delay_alu instid0(VALU_DEP_3) | instskip(NEXT) | instid1(VALU_DEP_3)
	v_cndmask_b32_e64 v20, v25, v13, s2
	v_cndmask_b32_e64 v22, v24, v25, s2
	s_delay_alu instid0(VALU_DEP_4)
	v_cndmask_b32_e64 v13, v13, v23, s2
	v_sub_nc_u32_e32 v24, 32, v10
	v_cndmask_b32_e64 v23, v23, v18, s2
	v_cndmask_b32_e64 v18, v18, v19, s2
	;; [unrolled: 1-line block ×4, first 2 shown]
	s_delay_alu instid0(VALU_DEP_4) | instskip(NEXT) | instid1(VALU_DEP_4)
	v_cndmask_b32_e64 v13, v13, v23, s3
	v_cndmask_b32_e64 v18, v23, v18, s3
	s_delay_alu instid0(VALU_DEP_3) | instskip(NEXT) | instid1(VALU_DEP_3)
	v_alignbit_b32 v25, v22, v20, v24
	v_alignbit_b32 v26, v20, v13, v24
	s_delay_alu instid0(VALU_DEP_3) | instskip(NEXT) | instid1(VALU_DEP_3)
	v_alignbit_b32 v24, v13, v18, v24
	v_cndmask_b32_e64 v10, v25, v22, s4
	s_delay_alu instid0(VALU_DEP_3) | instskip(NEXT) | instid1(VALU_DEP_3)
	v_cndmask_b32_e64 v20, v26, v20, s4
	v_cndmask_b32_e64 v13, v24, v13, s4
	s_delay_alu instid0(VALU_DEP_3) | instskip(NEXT) | instid1(VALU_DEP_3)
	v_bfe_u32 v21, v10, 29, 1
	v_alignbit_b32 v19, v10, v20, 30
	s_delay_alu instid0(VALU_DEP_3) | instskip(SKIP_1) | instid1(VALU_DEP_4)
	v_alignbit_b32 v20, v20, v13, 30
	v_alignbit_b32 v13, v13, v18, 30
	v_sub_nc_u32_e32 v22, 0, v21
	s_delay_alu instid0(VALU_DEP_1) | instskip(SKIP_3) | instid1(VALU_DEP_4)
	v_xor_b32_e32 v23, v19, v22
	v_cmp_ne_u32_e32 vcc_lo, v19, v22
	v_xor_b32_e32 v18, v20, v22
	v_xor_b32_e32 v13, v13, v22
	v_clz_i32_u32_e32 v25, v23
	s_delay_alu instid0(VALU_DEP_1) | instskip(NEXT) | instid1(VALU_DEP_1)
	v_add_nc_u32_e32 v24, 1, v25
	v_cndmask_b32_e32 v19, 33, v24, vcc_lo
	s_delay_alu instid0(VALU_DEP_1) | instskip(NEXT) | instid1(VALU_DEP_1)
	v_sub_nc_u32_e32 v20, 32, v19
	v_alignbit_b32 v22, v23, v18, v20
	v_alignbit_b32 v13, v18, v13, v20
	v_lshrrev_b32_e32 v18, 29, v10
	v_lshrrev_b32_e32 v10, 30, v10
	s_delay_alu instid0(VALU_DEP_3) | instskip(NEXT) | instid1(VALU_DEP_3)
	v_alignbit_b32 v20, v22, v13, 9
	v_lshlrev_b32_e32 v18, 31, v18
	v_alignbit_b32 v22, v19, v22, 9
	s_delay_alu instid0(VALU_DEP_3) | instskip(NEXT) | instid1(VALU_DEP_2)
	v_clz_i32_u32_e32 v23, v20
	v_or_b32_e32 v22, v22, v18
	v_or_b32_e32 v18, 0x33800000, v18
	s_delay_alu instid0(VALU_DEP_3) | instskip(NEXT) | instid1(VALU_DEP_3)
	v_min_u32_e32 v23, 32, v23
	v_xor_b32_e32 v22, 1.0, v22
	s_delay_alu instid0(VALU_DEP_2) | instskip(SKIP_1) | instid1(VALU_DEP_3)
	v_sub_nc_u32_e32 v24, 31, v23
	v_add_lshl_u32 v19, v23, v19, 23
	v_mul_f32_e32 v23, 0x3fc90fda, v22
	s_delay_alu instid0(VALU_DEP_3) | instskip(NEXT) | instid1(VALU_DEP_3)
	v_alignbit_b32 v13, v20, v13, v24
	v_sub_nc_u32_e32 v18, v18, v19
	s_delay_alu instid0(VALU_DEP_3) | instskip(NEXT) | instid1(VALU_DEP_3)
	v_fma_f32 v19, 0x3fc90fda, v22, -v23
                                        ; implicit-def: $vgpr20
	v_lshrrev_b32_e32 v13, 9, v13
	s_delay_alu instid0(VALU_DEP_2) | instskip(NEXT) | instid1(VALU_DEP_2)
	v_fmac_f32_e32 v19, 0x33a22168, v22
	v_or_b32_e32 v13, v18, v13
	s_delay_alu instid0(VALU_DEP_1) | instskip(NEXT) | instid1(VALU_DEP_1)
	v_fmac_f32_e32 v19, 0x3fc90fda, v13
	v_add_f32_e32 v13, v23, v19
	v_add_nc_u32_e32 v19, v21, v10
	s_and_not1_saveexec_b32 s2, s30
	s_cbranch_execnz .LBB157_79
	s_branch .LBB157_80
.LBB157_78:                             ;   in Loop: Header=BB157_7 Depth=1
	s_and_not1_saveexec_b32 s2, s30
.LBB157_79:                             ;   in Loop: Header=BB157_7 Depth=1
	v_fma_f32 v13, 0xbfc90fda, v20, |v12|
	v_cvt_i32_f32_e32 v19, v20
	s_delay_alu instid0(VALU_DEP_2) | instskip(NEXT) | instid1(VALU_DEP_1)
	v_fmac_f32_e32 v13, 0xb3a22168, v20
	v_fmac_f32_e32 v13, 0xa7c234c4, v20
.LBB157_80:                             ;   in Loop: Header=BB157_7 Depth=1
	s_or_b32 exec_lo, exec_lo, s2
	v_mul_f32_e32 v10, v8, v8
	s_delay_alu instid0(VALU_DEP_2) | instskip(SKIP_2) | instid1(VALU_DEP_4)
	v_dual_mul_f32 v20, v13, v13 :: v_dual_and_b32 v23, 1, v19
	v_and_b32_e32 v18, 1, v9
	v_lshlrev_b32_e32 v9, 30, v9
	v_fmaak_f32 v21, s25, v10, 0x3c0881c4
	s_delay_alu instid0(VALU_DEP_4) | instskip(SKIP_1) | instid1(VALU_DEP_3)
	v_dual_fmaak_f32 v22, s26, v10, 0xbab64f3b :: v_dual_fmaak_f32 v25, s26, v20, 0xbab64f3b
	v_dual_fmaak_f32 v24, s25, v20, 0x3c0881c4 :: v_dual_lshlrev_b32 v19, 30, v19
	v_fmaak_f32 v21, v10, v21, 0xbe2aaa9d
	s_delay_alu instid0(VALU_DEP_3) | instskip(NEXT) | instid1(VALU_DEP_3)
	v_dual_fmaak_f32 v22, v10, v22, 0x3d2aabf7 :: v_dual_fmaak_f32 v25, v20, v25, 0x3d2aabf7
	v_fmaak_f32 v24, v20, v24, 0xbe2aaa9d
	v_cmp_eq_u32_e32 vcc_lo, 0, v18
	s_delay_alu instid0(VALU_DEP_4) | instskip(NEXT) | instid1(VALU_DEP_4)
	v_mul_f32_e32 v21, v10, v21
	v_dual_fmaak_f32 v22, v10, v22, 0xbf000004 :: v_dual_fmaak_f32 v25, v20, v25, 0xbf000004
	s_delay_alu instid0(VALU_DEP_4) | instskip(NEXT) | instid1(VALU_DEP_3)
	v_mul_f32_e32 v24, v20, v24
	v_fmac_f32_e32 v8, v8, v21
	s_delay_alu instid0(VALU_DEP_3) | instskip(NEXT) | instid1(VALU_DEP_3)
	v_fma_f32 v10, v10, v22, 1.0
	v_fmac_f32_e32 v13, v13, v24
	s_delay_alu instid0(VALU_DEP_2) | instskip(SKIP_1) | instid1(VALU_DEP_2)
	v_dual_cndmask_b32 v8, v10, v8 :: v_dual_and_b32 v9, 0x80000000, v9
	v_cmp_eq_u32_e32 vcc_lo, 0, v23
	v_xor_b32_e32 v7, v7, v9
	v_fma_f32 v9, v20, v25, 1.0
	s_delay_alu instid0(VALU_DEP_2) | instskip(SKIP_1) | instid1(VALU_DEP_3)
	v_xor3_b32 v7, v7, v8, v12
	v_and_b32_e32 v10, 0x80000000, v19
	v_cndmask_b32_e64 v9, -v13, v9, vcc_lo
	v_cmp_class_f32_e64 vcc_lo, v12, 0x1f8
	s_delay_alu instid0(VALU_DEP_2) | instskip(NEXT) | instid1(VALU_DEP_1)
	v_xor_b32_e32 v8, v10, v9
	v_mul_f32_e32 v7, v7, v8
	s_delay_alu instid0(VALU_DEP_1)
	v_cndmask_b32_e32 v12, 0x7fc00000, v7, vcc_lo
.LBB157_81:                             ;   in Loop: Header=BB157_7 Depth=1
	s_or_b32 exec_lo, exec_lo, s29
	v_add_nc_u32_e32 v11, -2.0, v11
	s_delay_alu instid0(VALU_DEP_2)
	v_bfi_b32 v8, 0x7fffffff, 0, v12
.LBB157_82:                             ;   in Loop: Header=BB157_7 Depth=1
	s_or_b32 exec_lo, exec_lo, s28
	s_delay_alu instid0(VALU_DEP_2)
	v_mov_b32_e32 v7, v11
.LBB157_83:                             ;   in Loop: Header=BB157_7 Depth=1
	s_or_b32 exec_lo, exec_lo, s27
	s_waitcnt vmcnt(0)
	v_and_b32_e32 v9, 0x7fffffff, v1
                                        ; implicit-def: $vgpr10
	s_mov_b32 s2, exec_lo
	s_delay_alu instid0(VALU_DEP_1)
	v_cmpx_gt_u32_e32 0x7f800000, v9
	s_xor_b32 s27, exec_lo, s2
	s_cbranch_execz .LBB157_105
; %bb.84:                               ;   in Loop: Header=BB157_7 Depth=1
	v_cmp_class_f32_e64 s2, v2, 0x1f8
                                        ; implicit-def: $vgpr10
	s_delay_alu instid0(VALU_DEP_1) | instskip(NEXT) | instid1(SALU_CYCLE_1)
	s_and_saveexec_b32 s3, s2
	s_xor_b32 s28, exec_lo, s3
	s_cbranch_execz .LBB157_102
; %bb.85:                               ;   in Loop: Header=BB157_7 Depth=1
	v_and_b32_e32 v11, 0x7fffffff, v2
                                        ; implicit-def: $vgpr10
	s_mov_b32 s2, exec_lo
	v_cmpx_gt_u32_e32 0x41300000, v9
	s_xor_b32 s29, exec_lo, s2
	s_cbranch_execz .LBB157_91
; %bb.86:                               ;   in Loop: Header=BB157_7 Depth=1
                                        ; implicit-def: $vgpr9
                                        ; implicit-def: $vgpr10
	s_mov_b32 s3, exec_lo
	v_cmpx_ngt_f32_e64 0x48000000, |v2|
	s_xor_b32 s30, exec_lo, s3
	s_cbranch_execz .LBB157_88
; %bb.87:                               ;   in Loop: Header=BB157_7 Depth=1
	v_and_or_b32 v12, v11, s21, 0x800000
	s_delay_alu instid0(VALU_DEP_1) | instskip(NEXT) | instid1(VALU_DEP_1)
	v_mad_u64_u32 v[9:10], null, 0xfe5163ab, v12, 0
	v_mov_b32_e32 v13, v10
	v_lshrrev_b32_e32 v10, 23, v11
	s_delay_alu instid0(VALU_DEP_1) | instskip(NEXT) | instid1(VALU_DEP_3)
	v_add_nc_u32_e32 v10, 0xffffff88, v10
	v_mad_u64_u32 v[18:19], null, 0x3c439041, v12, v[13:14]
	s_delay_alu instid0(VALU_DEP_2) | instskip(SKIP_1) | instid1(VALU_DEP_1)
	v_cmp_lt_u32_e32 vcc_lo, 63, v10
	v_cndmask_b32_e64 v23, 0, 0xffffffc0, vcc_lo
	v_add_nc_u32_e32 v10, v23, v10
	s_delay_alu instid0(VALU_DEP_1) | instskip(NEXT) | instid1(VALU_DEP_1)
	v_cmp_lt_u32_e64 s2, 31, v10
	v_cndmask_b32_e64 v24, 0, 0xffffffe0, s2
	s_delay_alu instid0(VALU_DEP_1) | instskip(NEXT) | instid1(VALU_DEP_1)
	v_dual_mov_b32 v13, v19 :: v_dual_add_nc_u32 v10, v24, v10
	v_mad_u64_u32 v[19:20], null, 0xdb629599, v12, v[13:14]
	s_delay_alu instid0(VALU_DEP_2) | instskip(NEXT) | instid1(VALU_DEP_2)
	v_cmp_lt_u32_e64 s3, 31, v10
	v_mov_b32_e32 v13, v20
	s_delay_alu instid0(VALU_DEP_3) | instskip(NEXT) | instid1(VALU_DEP_2)
	v_cndmask_b32_e32 v9, v19, v9, vcc_lo
	v_mad_u64_u32 v[20:21], null, 0xf534ddc0, v12, v[13:14]
	s_delay_alu instid0(VALU_DEP_1) | instskip(NEXT) | instid1(VALU_DEP_1)
	v_mov_b32_e32 v13, v21
	v_mad_u64_u32 v[21:22], null, 0xfc2757d1, v12, v[13:14]
	s_delay_alu instid0(VALU_DEP_1) | instskip(NEXT) | instid1(VALU_DEP_1)
	v_mov_b32_e32 v13, v22
	;; [unrolled: 3-line block ×3, first 2 shown]
	v_mad_u64_u32 v[23:24], null, 0xa2f9836e, v12, v[13:14]
	v_cndmask_b32_e64 v12, 0, 0xffffffe0, s3
	s_delay_alu instid0(VALU_DEP_1) | instskip(NEXT) | instid1(VALU_DEP_3)
	v_dual_cndmask_b32 v13, v22, v20 :: v_dual_add_nc_u32 v10, v12, v10
	v_dual_cndmask_b32 v12, v20, v18 :: v_dual_cndmask_b32 v23, v23, v21
	s_delay_alu instid0(VALU_DEP_4) | instskip(NEXT) | instid1(VALU_DEP_3)
	v_dual_cndmask_b32 v22, v24, v22 :: v_dual_cndmask_b32 v21, v21, v19
	v_cmp_eq_u32_e64 s4, 0, v10
	s_delay_alu instid0(VALU_DEP_3) | instskip(NEXT) | instid1(VALU_DEP_4)
	v_cndmask_b32_e64 v9, v12, v9, s2
	v_cndmask_b32_e64 v18, v23, v13, s2
	s_delay_alu instid0(VALU_DEP_4) | instskip(SKIP_3) | instid1(VALU_DEP_4)
	v_cndmask_b32_e64 v20, v22, v23, s2
	v_cndmask_b32_e64 v13, v13, v21, s2
	v_sub_nc_u32_e32 v22, 32, v10
	v_cndmask_b32_e64 v21, v21, v12, s2
	v_cndmask_b32_e64 v20, v20, v18, s3
	s_delay_alu instid0(VALU_DEP_4) | instskip(NEXT) | instid1(VALU_DEP_3)
	v_cndmask_b32_e64 v18, v18, v13, s3
	v_cndmask_b32_e64 v13, v13, v21, s3
	;; [unrolled: 1-line block ×3, first 2 shown]
	s_delay_alu instid0(VALU_DEP_3) | instskip(NEXT) | instid1(VALU_DEP_3)
	v_alignbit_b32 v23, v20, v18, v22
	v_alignbit_b32 v24, v18, v13, v22
	s_delay_alu instid0(VALU_DEP_3) | instskip(NEXT) | instid1(VALU_DEP_3)
	v_alignbit_b32 v22, v13, v9, v22
	v_cndmask_b32_e64 v10, v23, v20, s4
	s_delay_alu instid0(VALU_DEP_3) | instskip(NEXT) | instid1(VALU_DEP_3)
	v_cndmask_b32_e64 v18, v24, v18, s4
	v_cndmask_b32_e64 v13, v22, v13, s4
	s_delay_alu instid0(VALU_DEP_3) | instskip(NEXT) | instid1(VALU_DEP_3)
	v_bfe_u32 v19, v10, 29, 1
	v_alignbit_b32 v12, v10, v18, 30
	s_delay_alu instid0(VALU_DEP_3) | instskip(SKIP_1) | instid1(VALU_DEP_4)
	v_alignbit_b32 v18, v18, v13, 30
	v_alignbit_b32 v9, v13, v9, 30
	v_sub_nc_u32_e32 v20, 0, v19
	s_delay_alu instid0(VALU_DEP_1) | instskip(SKIP_3) | instid1(VALU_DEP_4)
	v_xor_b32_e32 v21, v12, v20
	v_cmp_ne_u32_e32 vcc_lo, v12, v20
	v_xor_b32_e32 v13, v18, v20
	v_xor_b32_e32 v9, v9, v20
	v_clz_i32_u32_e32 v23, v21
	s_delay_alu instid0(VALU_DEP_1) | instskip(NEXT) | instid1(VALU_DEP_1)
	v_add_nc_u32_e32 v22, 1, v23
	v_cndmask_b32_e32 v12, 33, v22, vcc_lo
	s_delay_alu instid0(VALU_DEP_1) | instskip(NEXT) | instid1(VALU_DEP_1)
	v_sub_nc_u32_e32 v18, 32, v12
	v_alignbit_b32 v20, v21, v13, v18
	v_alignbit_b32 v9, v13, v9, v18
	v_lshrrev_b32_e32 v13, 29, v10
	s_delay_alu instid0(VALU_DEP_2) | instskip(NEXT) | instid1(VALU_DEP_2)
	v_alignbit_b32 v18, v20, v9, 9
	v_lshlrev_b32_e32 v13, 31, v13
	v_alignbit_b32 v20, v12, v20, 9
	s_delay_alu instid0(VALU_DEP_3) | instskip(NEXT) | instid1(VALU_DEP_2)
	v_clz_i32_u32_e32 v21, v18
	v_or_b32_e32 v20, v20, v13
	v_or_b32_e32 v13, 0x33800000, v13
	s_delay_alu instid0(VALU_DEP_3) | instskip(NEXT) | instid1(VALU_DEP_3)
	v_min_u32_e32 v21, 32, v21
	v_xor_b32_e32 v20, 1.0, v20
	s_delay_alu instid0(VALU_DEP_2) | instskip(SKIP_1) | instid1(VALU_DEP_3)
	v_sub_nc_u32_e32 v22, 31, v21
	v_add_lshl_u32 v12, v21, v12, 23
	v_mul_f32_e32 v21, 0x3fc90fda, v20
	s_delay_alu instid0(VALU_DEP_3) | instskip(NEXT) | instid1(VALU_DEP_3)
	v_alignbit_b32 v9, v18, v9, v22
	v_sub_nc_u32_e32 v12, v13, v12
	s_delay_alu instid0(VALU_DEP_3) | instskip(NEXT) | instid1(VALU_DEP_3)
	v_fma_f32 v13, 0x3fc90fda, v20, -v21
	v_lshrrev_b32_e32 v9, 9, v9
	s_delay_alu instid0(VALU_DEP_2) | instskip(NEXT) | instid1(VALU_DEP_2)
	v_fmac_f32_e32 v13, 0x33a22168, v20
	v_or_b32_e32 v9, v12, v9
	s_delay_alu instid0(VALU_DEP_1) | instskip(SKIP_1) | instid1(VALU_DEP_2)
	v_fmac_f32_e32 v13, 0x3fc90fda, v9
	v_lshrrev_b32_e32 v9, 30, v10
	v_add_f32_e32 v10, v21, v13
	s_delay_alu instid0(VALU_DEP_2)
	v_add_nc_u32_e32 v9, v19, v9
.LBB157_88:                             ;   in Loop: Header=BB157_7 Depth=1
	s_and_not1_saveexec_b32 s2, s30
; %bb.89:                               ;   in Loop: Header=BB157_7 Depth=1
	v_mul_f32_e64 v9, 0x3f22f983, |v2|
	s_delay_alu instid0(VALU_DEP_1) | instskip(NEXT) | instid1(VALU_DEP_1)
	v_rndne_f32_e32 v9, v9
	v_fma_f32 v10, 0xbfc90fda, v9, |v2|
	s_delay_alu instid0(VALU_DEP_1) | instskip(NEXT) | instid1(VALU_DEP_1)
	v_fmac_f32_e32 v10, 0xb3a22168, v9
	v_fmac_f32_e32 v10, 0xa7c234c4, v9
	v_cvt_i32_f32_e32 v9, v9
; %bb.90:                               ;   in Loop: Header=BB157_7 Depth=1
	s_or_b32 exec_lo, exec_lo, s2
	v_add_f32_e64 v12, 0xbf317218, |v1|
	v_cmp_nlt_f32_e64 vcc_lo, 0x42b2d4fc, |v1|
	v_cmp_gt_f32_e64 s2, 0x39800000, |v1|
	v_and_b32_e32 v9, 1, v9
	s_delay_alu instid0(VALU_DEP_4) | instskip(NEXT) | instid1(VALU_DEP_1)
	v_sub_f32_e64 v13, v12, |v1|
	v_dual_sub_f32 v18, v13, v12 :: v_dual_add_f32 v13, 0x3f317218, v13
	s_delay_alu instid0(VALU_DEP_1) | instskip(NEXT) | instid1(VALU_DEP_1)
	v_add_f32_e64 v18, |v1|, v18
	v_sub_f32_e32 v13, v18, v13
	s_delay_alu instid0(VALU_DEP_1) | instskip(NEXT) | instid1(VALU_DEP_1)
	v_add_f32_e32 v13, 0x3102e308, v13
	v_add_f32_e32 v18, v12, v13
	s_delay_alu instid0(VALU_DEP_1) | instskip(NEXT) | instid1(VALU_DEP_1)
	v_sub_f32_e32 v12, v12, v18
	v_dual_mul_f32 v19, 0x3fb8aa3b, v18 :: v_dual_add_f32 v12, v13, v12
	s_delay_alu instid0(VALU_DEP_1) | instskip(NEXT) | instid1(VALU_DEP_1)
	v_rndne_f32_e32 v19, v19
	v_mul_f32_e32 v13, 0x35bfbc00, v19
	v_fmac_f32_e32 v18, 0xbf317200, v19
	s_delay_alu instid0(VALU_DEP_1) | instskip(NEXT) | instid1(VALU_DEP_1)
	v_add_f32_e32 v20, v12, v18
	v_dual_sub_f32 v21, v20, v13 :: v_dual_sub_f32 v18, v18, v20
	s_delay_alu instid0(VALU_DEP_1) | instskip(NEXT) | instid1(VALU_DEP_1)
	v_sub_f32_e32 v20, v20, v21
	v_sub_f32_e32 v13, v20, v13
	s_delay_alu instid0(VALU_DEP_3) | instskip(NEXT) | instid1(VALU_DEP_1)
	v_add_f32_e32 v12, v12, v18
	v_dual_add_f32 v12, v12, v13 :: v_dual_mul_f32 v13, 0x2ea39ef3, v19
	s_delay_alu instid0(VALU_DEP_1) | instskip(NEXT) | instid1(VALU_DEP_1)
	v_add_f32_e32 v18, v21, v12
	v_dual_sub_f32 v20, v18, v13 :: v_dual_sub_f32 v21, v21, v18
	s_delay_alu instid0(VALU_DEP_1) | instskip(NEXT) | instid1(VALU_DEP_2)
	v_sub_f32_e32 v18, v18, v20
	v_add_f32_e32 v12, v12, v21
	s_delay_alu instid0(VALU_DEP_2) | instskip(NEXT) | instid1(VALU_DEP_1)
	v_sub_f32_e32 v13, v18, v13
	v_add_f32_e32 v12, v12, v13
	s_delay_alu instid0(VALU_DEP_1) | instskip(NEXT) | instid1(VALU_DEP_1)
	v_add_f32_e32 v13, v20, v12
	v_sub_f32_e32 v18, v20, v13
	v_mul_f32_e32 v20, v13, v13
	s_delay_alu instid0(VALU_DEP_2) | instskip(SKIP_1) | instid1(VALU_DEP_3)
	v_add_f32_e32 v12, v12, v18
	v_fmaak_f32 v18, s24, v13, 0x3c091de6
	v_fma_f32 v21, v13, v13, -v20
	s_delay_alu instid0(VALU_DEP_3) | instskip(NEXT) | instid1(VALU_DEP_3)
	v_add_f32_e32 v22, v12, v12
	v_fmaak_f32 v18, v13, v18, 0x3d2aadcc
	s_delay_alu instid0(VALU_DEP_2) | instskip(NEXT) | instid1(VALU_DEP_2)
	v_fmac_f32_e32 v21, v13, v22
	v_fmaak_f32 v18, v13, v18, 0x3e2aaa47
	s_delay_alu instid0(VALU_DEP_2) | instskip(NEXT) | instid1(VALU_DEP_2)
	v_add_f32_e32 v22, v20, v21
	v_fmaak_f32 v18, v13, v18, 0x3efffffc
	s_delay_alu instid0(VALU_DEP_2) | instskip(NEXT) | instid1(VALU_DEP_1)
	v_sub_f32_e32 v20, v22, v20
	v_dual_mul_f32 v23, v18, v22 :: v_dual_sub_f32 v20, v21, v20
	s_delay_alu instid0(VALU_DEP_1) | instskip(NEXT) | instid1(VALU_DEP_1)
	v_fma_f32 v21, v22, v18, -v23
	v_fmac_f32_e32 v21, v20, v18
	s_delay_alu instid0(VALU_DEP_1) | instskip(NEXT) | instid1(VALU_DEP_1)
	v_add_f32_e32 v18, v23, v21
	v_sub_f32_e32 v22, v18, v23
	v_add_f32_e32 v20, v13, v18
	s_delay_alu instid0(VALU_DEP_2) | instskip(NEXT) | instid1(VALU_DEP_2)
	v_sub_f32_e32 v21, v21, v22
	v_sub_f32_e32 v13, v20, v13
	s_delay_alu instid0(VALU_DEP_1) | instskip(NEXT) | instid1(VALU_DEP_3)
	v_sub_f32_e32 v13, v18, v13
	v_add_f32_e32 v12, v12, v21
	s_delay_alu instid0(VALU_DEP_1) | instskip(NEXT) | instid1(VALU_DEP_1)
	v_add_f32_e32 v12, v12, v13
	v_add_f32_e32 v13, v20, v12
	s_delay_alu instid0(VALU_DEP_1) | instskip(NEXT) | instid1(VALU_DEP_1)
	v_add_f32_e32 v18, 1.0, v13
	v_dual_sub_f32 v20, v13, v20 :: v_dual_add_f32 v21, -1.0, v18
	s_delay_alu instid0(VALU_DEP_1) | instskip(NEXT) | instid1(VALU_DEP_1)
	v_dual_sub_f32 v12, v12, v20 :: v_dual_sub_f32 v13, v13, v21
	v_add_f32_e32 v12, v12, v13
	v_cvt_i32_f32_e32 v13, v19
	s_delay_alu instid0(VALU_DEP_2) | instskip(NEXT) | instid1(VALU_DEP_1)
	v_add_f32_e32 v19, v18, v12
	v_ldexp_f32 v20, v19, v13
	s_delay_alu instid0(VALU_DEP_1) | instskip(SKIP_1) | instid1(VALU_DEP_1)
	v_rcp_f32_e32 v21, v20
	v_sub_f32_e32 v18, v19, v18
	v_sub_f32_e32 v12, v12, v18
	s_waitcnt_depctr 0xfff
	v_mul_f32_e32 v18, v20, v21
	v_ldexp_f32 v12, v12, v13
	s_delay_alu instid0(VALU_DEP_2) | instskip(NEXT) | instid1(VALU_DEP_1)
	v_fma_f32 v13, v21, v20, -v18
	v_fmac_f32_e32 v13, v21, v12
	s_delay_alu instid0(VALU_DEP_1) | instskip(NEXT) | instid1(VALU_DEP_1)
	v_add_f32_e32 v19, v18, v13
	v_sub_f32_e32 v22, 1.0, v19
	v_sub_f32_e32 v18, v19, v18
	s_delay_alu instid0(VALU_DEP_2) | instskip(NEXT) | instid1(VALU_DEP_1)
	v_sub_f32_e32 v23, 1.0, v22
	v_dual_sub_f32 v13, v18, v13 :: v_dual_sub_f32 v18, v23, v19
	s_delay_alu instid0(VALU_DEP_1) | instskip(NEXT) | instid1(VALU_DEP_1)
	v_add_f32_e32 v13, v13, v18
	v_add_f32_e32 v18, v22, v13
	s_delay_alu instid0(VALU_DEP_1) | instskip(NEXT) | instid1(VALU_DEP_1)
	v_mul_f32_e32 v19, v21, v18
	v_dual_sub_f32 v22, v22, v18 :: v_dual_mul_f32 v23, v20, v19
	s_delay_alu instid0(VALU_DEP_1) | instskip(NEXT) | instid1(VALU_DEP_2)
	v_add_f32_e32 v13, v13, v22
	v_fma_f32 v24, v19, v20, -v23
	s_delay_alu instid0(VALU_DEP_1) | instskip(NEXT) | instid1(VALU_DEP_1)
	v_fmac_f32_e32 v24, v19, v12
	v_add_f32_e32 v25, v23, v24
	s_delay_alu instid0(VALU_DEP_1) | instskip(SKIP_1) | instid1(VALU_DEP_2)
	v_sub_f32_e32 v26, v18, v25
	v_sub_f32_e32 v22, v25, v23
	v_sub_f32_e32 v18, v18, v26
	s_delay_alu instid0(VALU_DEP_2) | instskip(NEXT) | instid1(VALU_DEP_2)
	v_sub_f32_e32 v22, v22, v24
	v_sub_f32_e32 v18, v18, v25
	s_delay_alu instid0(VALU_DEP_1) | instskip(NEXT) | instid1(VALU_DEP_1)
	v_add_f32_e32 v13, v13, v18
	v_dual_add_f32 v18, v21, v19 :: v_dual_add_f32 v13, v22, v13
	s_delay_alu instid0(VALU_DEP_1) | instskip(NEXT) | instid1(VALU_DEP_2)
	v_sub_f32_e32 v22, v18, v21
	v_add_f32_e32 v13, v26, v13
	s_delay_alu instid0(VALU_DEP_2) | instskip(NEXT) | instid1(VALU_DEP_2)
	v_sub_f32_e32 v19, v19, v22
	v_mul_f32_e32 v13, v21, v13
	s_delay_alu instid0(VALU_DEP_1) | instskip(NEXT) | instid1(VALU_DEP_1)
	v_add_f32_e32 v13, v19, v13
	v_add_f32_e32 v19, v18, v13
	s_delay_alu instid0(VALU_DEP_1) | instskip(SKIP_1) | instid1(VALU_DEP_1)
	v_ldexp_f32 v21, v19, -2
	v_sub_f32_e32 v18, v19, v18
	v_dual_sub_f32 v22, v20, v21 :: v_dual_sub_f32 v13, v13, v18
	s_delay_alu instid0(VALU_DEP_1) | instskip(NEXT) | instid1(VALU_DEP_2)
	v_sub_f32_e32 v19, v20, v22
	v_ldexp_f32 v13, v13, -2
	s_delay_alu instid0(VALU_DEP_2) | instskip(NEXT) | instid1(VALU_DEP_1)
	v_sub_f32_e32 v18, v19, v21
	v_add_f32_e32 v12, v12, v18
	s_delay_alu instid0(VALU_DEP_1) | instskip(NEXT) | instid1(VALU_DEP_1)
	v_dual_sub_f32 v12, v12, v13 :: v_dual_mul_f32 v13, v10, v10
	v_add_f32_e32 v12, v22, v12
	s_delay_alu instid0(VALU_DEP_2) | instskip(SKIP_1) | instid1(VALU_DEP_3)
	v_fmaak_f32 v18, s23, v13, 0xbf039337
	v_fmaak_f32 v19, s22, v13, 0x3ec54587
	v_cndmask_b32_e32 v12, 0x7f800000, v12, vcc_lo
	s_delay_alu instid0(VALU_DEP_3) | instskip(NEXT) | instid1(VALU_DEP_2)
	v_fmaak_f32 v18, v13, v18, 0x3f93f425
	v_cndmask_b32_e64 v12, v12, |v1|, s2
	s_delay_alu instid0(VALU_DEP_2) | instskip(NEXT) | instid1(VALU_DEP_1)
	v_rcp_f32_e32 v18, v18
	v_bfi_b32 v12, 0x7fffffff, v12, v1
	s_delay_alu instid0(VALU_DEP_1) | instskip(SKIP_3) | instid1(VALU_DEP_2)
	v_fma_f32 v20, v12, v12, 1.0
	s_waitcnt_depctr 0xfff
	v_dual_mul_f32 v18, v19, v18 :: v_dual_mul_f32 v19, 0x4f800000, v20
	v_cmp_gt_f32_e32 vcc_lo, 0xf800000, v20
	v_dual_mul_f32 v13, v13, v18 :: v_dual_cndmask_b32 v18, v20, v19
	s_delay_alu instid0(VALU_DEP_1) | instskip(NEXT) | instid1(VALU_DEP_2)
	v_fma_f32 v19, v13, v10, v10
	v_sqrt_f32_e32 v20, v18
	s_delay_alu instid0(VALU_DEP_1) | instskip(SKIP_1) | instid1(VALU_DEP_1)
	v_rcp_f32_e32 v21, v19
	v_sub_f32_e32 v22, v19, v10
	v_fma_f32 v10, v13, v10, -v22
	s_waitcnt_depctr 0xfff
	v_add_nc_u32_e32 v23, -1, v20
	v_fma_f32 v13, v19, -v21, 1.0
	v_add_nc_u32_e32 v22, 1, v20
	s_delay_alu instid0(VALU_DEP_3) | instskip(NEXT) | instid1(VALU_DEP_3)
	v_fma_f32 v24, -v23, v20, v18
	v_fma_f32 v10, v10, -v21, v13
	s_delay_alu instid0(VALU_DEP_3) | instskip(NEXT) | instid1(VALU_DEP_3)
	v_fma_f32 v13, -v22, v20, v18
	v_cmp_ge_f32_e64 s2, 0, v24
	s_delay_alu instid0(VALU_DEP_3) | instskip(NEXT) | instid1(VALU_DEP_2)
	v_fma_f32 v10, v10, -v21, -v21
	v_cndmask_b32_e64 v20, v20, v23, s2
	s_delay_alu instid0(VALU_DEP_4) | instskip(NEXT) | instid1(VALU_DEP_1)
	v_cmp_lt_f32_e64 s2, 0, v13
	v_cndmask_b32_e64 v13, v20, v22, s2
	v_cmp_eq_u32_e64 s2, 0, v9
	s_delay_alu instid0(VALU_DEP_1) | instskip(NEXT) | instid1(VALU_DEP_3)
	v_cndmask_b32_e64 v9, v10, v19, s2
	v_mul_f32_e32 v10, 0x37800000, v13
	s_delay_alu instid0(VALU_DEP_2) | instskip(NEXT) | instid1(VALU_DEP_2)
	v_xor3_b32 v11, v11, v9, v2
	v_cndmask_b32_e32 v9, v13, v10, vcc_lo
	v_cmp_class_f32_e64 vcc_lo, v18, 0x260
	s_delay_alu instid0(VALU_DEP_3) | instskip(NEXT) | instid1(VALU_DEP_3)
	v_fma_f32 v10, v11, v11, 1.0
	v_cndmask_b32_e32 v9, v9, v18, vcc_lo
	s_delay_alu instid0(VALU_DEP_2) | instskip(NEXT) | instid1(VALU_DEP_2)
	v_mul_f32_e32 v13, v12, v10
	v_mul_f32_e32 v9, v9, v10
	s_delay_alu instid0(VALU_DEP_2) | instskip(NEXT) | instid1(VALU_DEP_2)
	v_fma_f32 v10, v12, v13, 1.0
	v_mul_f32_e32 v9, v12, v9
	s_delay_alu instid0(VALU_DEP_2) | instskip(NEXT) | instid1(VALU_DEP_2)
	v_div_scale_f32 v13, null, v10, v10, v11
	v_div_scale_f32 v12, null, v10, v10, v9
	v_div_scale_f32 v22, vcc_lo, v9, v10, v9
	s_delay_alu instid0(VALU_DEP_3) | instskip(NEXT) | instid1(VALU_DEP_2)
	v_rcp_f32_e32 v19, v13
	v_rcp_f32_e32 v18, v12
	s_waitcnt_depctr 0xfff
	v_fma_f32 v21, -v13, v19, 1.0
	v_fma_f32 v20, -v12, v18, 1.0
	s_delay_alu instid0(VALU_DEP_1) | instskip(SKIP_1) | instid1(VALU_DEP_2)
	v_dual_fmac_f32 v19, v21, v19 :: v_dual_fmac_f32 v18, v20, v18
	v_div_scale_f32 v20, s2, v11, v10, v11
	v_mul_f32_e32 v21, v22, v18
	s_delay_alu instid0(VALU_DEP_2) | instskip(NEXT) | instid1(VALU_DEP_2)
	v_mul_f32_e32 v23, v20, v19
	v_fma_f32 v24, -v12, v21, v22
	s_delay_alu instid0(VALU_DEP_2) | instskip(NEXT) | instid1(VALU_DEP_2)
	v_fma_f32 v25, -v13, v23, v20
	v_fmac_f32_e32 v21, v24, v18
	s_delay_alu instid0(VALU_DEP_2) | instskip(NEXT) | instid1(VALU_DEP_2)
	v_fmac_f32_e32 v23, v25, v19
	v_fma_f32 v12, -v12, v21, v22
	s_delay_alu instid0(VALU_DEP_2) | instskip(NEXT) | instid1(VALU_DEP_2)
	v_fma_f32 v13, -v13, v23, v20
	v_div_fmas_f32 v12, v12, v18, v21
	s_mov_b32 vcc_lo, s2
	s_delay_alu instid0(VALU_DEP_2) | instskip(NEXT) | instid1(VALU_DEP_2)
	v_div_fmas_f32 v13, v13, v19, v23
	v_div_fixup_f32 v9, v12, v10, v9
	s_delay_alu instid0(VALU_DEP_2)
	v_div_fixup_f32 v10, v13, v10, v11
                                        ; implicit-def: $vgpr11
.LBB157_91:                             ;   in Loop: Header=BB157_7 Depth=1
	s_and_not1_saveexec_b32 s29, s29
	s_cbranch_execz .LBB157_101
; %bb.92:                               ;   in Loop: Header=BB157_7 Depth=1
	v_lshrrev_b32_e32 v9, 23, v11
	v_cmp_ngt_f32_e64 s30, 0x48000000, |v2|
	v_and_or_b32 v10, v11, s21, 0x800000
                                        ; implicit-def: $vgpr12
	s_delay_alu instid0(VALU_DEP_3) | instskip(NEXT) | instid1(VALU_DEP_3)
	v_add_nc_u32_e32 v18, 0xffffff88, v9
                                        ; implicit-def: $vgpr9
	s_and_saveexec_b32 s2, s30
	s_delay_alu instid0(SALU_CYCLE_1)
	s_xor_b32 s31, exec_lo, s2
	s_cbranch_execz .LBB157_94
; %bb.93:                               ;   in Loop: Header=BB157_7 Depth=1
	v_mad_u64_u32 v[12:13], null, 0xfe5163ab, v10, 0
	v_cmp_lt_u32_e32 vcc_lo, 63, v18
	v_cndmask_b32_e64 v9, 0, 0xffffffc0, vcc_lo
	s_delay_alu instid0(VALU_DEP_3) | instskip(NEXT) | instid1(VALU_DEP_2)
	v_mad_u64_u32 v[19:20], null, 0x3c439041, v10, v[13:14]
	v_add_nc_u32_e32 v9, v9, v18
	s_delay_alu instid0(VALU_DEP_2) | instskip(NEXT) | instid1(VALU_DEP_2)
	v_mov_b32_e32 v13, v20
	v_cmp_lt_u32_e64 s2, 31, v9
	s_delay_alu instid0(VALU_DEP_2) | instskip(NEXT) | instid1(VALU_DEP_2)
	v_mad_u64_u32 v[20:21], null, 0xdb629599, v10, v[13:14]
	v_cndmask_b32_e64 v25, 0, 0xffffffe0, s2
	s_delay_alu instid0(VALU_DEP_1) | instskip(NEXT) | instid1(VALU_DEP_3)
	v_add_nc_u32_e32 v9, v25, v9
	v_dual_mov_b32 v13, v21 :: v_dual_cndmask_b32 v12, v20, v12
	s_delay_alu instid0(VALU_DEP_2) | instskip(NEXT) | instid1(VALU_DEP_2)
	v_cmp_lt_u32_e64 s3, 31, v9
	v_mad_u64_u32 v[21:22], null, 0xf534ddc0, v10, v[13:14]
	s_delay_alu instid0(VALU_DEP_1) | instskip(NEXT) | instid1(VALU_DEP_1)
	v_mov_b32_e32 v13, v22
	v_mad_u64_u32 v[22:23], null, 0xfc2757d1, v10, v[13:14]
	s_delay_alu instid0(VALU_DEP_1) | instskip(NEXT) | instid1(VALU_DEP_1)
	v_mov_b32_e32 v13, v23
	v_mad_u64_u32 v[23:24], null, 0x4e441529, v10, v[13:14]
	s_delay_alu instid0(VALU_DEP_1) | instskip(NEXT) | instid1(VALU_DEP_1)
	v_dual_mov_b32 v13, v24 :: v_dual_cndmask_b32 v26, v23, v21
	v_mad_u64_u32 v[24:25], null, 0xa2f9836e, v10, v[13:14]
	v_cndmask_b32_e64 v13, 0, 0xffffffe0, s3
	s_delay_alu instid0(VALU_DEP_1) | instskip(NEXT) | instid1(VALU_DEP_3)
	v_dual_cndmask_b32 v24, v24, v22 :: v_dual_add_nc_u32 v9, v13, v9
	v_dual_cndmask_b32 v23, v25, v23 :: v_dual_cndmask_b32 v22, v22, v20
	v_cndmask_b32_e32 v13, v21, v19, vcc_lo
	s_delay_alu instid0(VALU_DEP_3) | instskip(NEXT) | instid1(VALU_DEP_4)
	v_cmp_eq_u32_e64 s4, 0, v9
	v_cndmask_b32_e64 v19, v24, v26, s2
	s_delay_alu instid0(VALU_DEP_4)
	v_cndmask_b32_e64 v21, v23, v24, s2
	v_cndmask_b32_e64 v23, v26, v22, s2
	v_sub_nc_u32_e32 v24, 32, v9
	v_cndmask_b32_e64 v22, v22, v13, s2
	v_cndmask_b32_e64 v12, v13, v12, s2
	;; [unrolled: 1-line block ×4, first 2 shown]
	s_delay_alu instid0(VALU_DEP_4) | instskip(NEXT) | instid1(VALU_DEP_4)
	v_cndmask_b32_e64 v23, v23, v22, s3
	v_cndmask_b32_e64 v12, v22, v12, s3
	s_delay_alu instid0(VALU_DEP_3) | instskip(NEXT) | instid1(VALU_DEP_3)
	v_alignbit_b32 v25, v21, v19, v24
	v_alignbit_b32 v26, v19, v23, v24
	s_delay_alu instid0(VALU_DEP_3) | instskip(NEXT) | instid1(VALU_DEP_3)
	v_alignbit_b32 v24, v23, v12, v24
	v_cndmask_b32_e64 v9, v25, v21, s4
	s_delay_alu instid0(VALU_DEP_3) | instskip(NEXT) | instid1(VALU_DEP_3)
	v_cndmask_b32_e64 v19, v26, v19, s4
	v_cndmask_b32_e64 v23, v24, v23, s4
	s_delay_alu instid0(VALU_DEP_3) | instskip(NEXT) | instid1(VALU_DEP_3)
	v_bfe_u32 v20, v9, 29, 1
	v_alignbit_b32 v13, v9, v19, 30
	s_delay_alu instid0(VALU_DEP_3) | instskip(SKIP_1) | instid1(VALU_DEP_4)
	v_alignbit_b32 v19, v19, v23, 30
	v_alignbit_b32 v12, v23, v12, 30
	v_sub_nc_u32_e32 v21, 0, v20
	s_delay_alu instid0(VALU_DEP_1) | instskip(SKIP_3) | instid1(VALU_DEP_4)
	v_xor_b32_e32 v22, v13, v21
	v_cmp_ne_u32_e32 vcc_lo, v13, v21
	v_xor_b32_e32 v19, v19, v21
	v_xor_b32_e32 v12, v12, v21
	v_clz_i32_u32_e32 v25, v22
	s_delay_alu instid0(VALU_DEP_1) | instskip(NEXT) | instid1(VALU_DEP_1)
	v_add_nc_u32_e32 v24, 1, v25
	v_cndmask_b32_e32 v13, 33, v24, vcc_lo
	s_delay_alu instid0(VALU_DEP_1) | instskip(NEXT) | instid1(VALU_DEP_1)
	v_sub_nc_u32_e32 v23, 32, v13
	v_alignbit_b32 v21, v22, v19, v23
	v_alignbit_b32 v12, v19, v12, v23
	v_lshrrev_b32_e32 v19, 29, v9
	s_delay_alu instid0(VALU_DEP_2) | instskip(NEXT) | instid1(VALU_DEP_2)
	v_alignbit_b32 v22, v21, v12, 9
	v_lshlrev_b32_e32 v19, 31, v19
	v_alignbit_b32 v21, v13, v21, 9
	s_delay_alu instid0(VALU_DEP_3) | instskip(NEXT) | instid1(VALU_DEP_2)
	v_clz_i32_u32_e32 v23, v22
	v_or_b32_e32 v21, v21, v19
	v_or_b32_e32 v19, 0x33800000, v19
	s_delay_alu instid0(VALU_DEP_3) | instskip(NEXT) | instid1(VALU_DEP_3)
	v_min_u32_e32 v23, 32, v23
	v_xor_b32_e32 v21, 1.0, v21
	s_delay_alu instid0(VALU_DEP_2) | instskip(SKIP_1) | instid1(VALU_DEP_3)
	v_sub_nc_u32_e32 v24, 31, v23
	v_add_lshl_u32 v13, v23, v13, 23
	v_mul_f32_e32 v23, 0x3fc90fda, v21
	s_delay_alu instid0(VALU_DEP_3) | instskip(NEXT) | instid1(VALU_DEP_3)
	v_alignbit_b32 v12, v22, v12, v24
	v_sub_nc_u32_e32 v13, v19, v13
	s_delay_alu instid0(VALU_DEP_3) | instskip(NEXT) | instid1(VALU_DEP_3)
	v_fma_f32 v19, 0x3fc90fda, v21, -v23
	v_lshrrev_b32_e32 v12, 9, v12
	s_delay_alu instid0(VALU_DEP_2) | instskip(NEXT) | instid1(VALU_DEP_2)
	v_fmac_f32_e32 v19, 0x33a22168, v21
	v_or_b32_e32 v12, v13, v12
	s_delay_alu instid0(VALU_DEP_1) | instskip(SKIP_1) | instid1(VALU_DEP_1)
	v_fmac_f32_e32 v19, 0x3fc90fda, v12
	v_lshrrev_b32_e32 v12, 30, v9
	v_dual_add_f32 v9, v23, v19 :: v_dual_add_nc_u32 v12, v20, v12
	s_and_not1_saveexec_b32 s2, s31
	s_branch .LBB157_95
.LBB157_94:                             ;   in Loop: Header=BB157_7 Depth=1
	s_and_not1_saveexec_b32 s2, s31
.LBB157_95:                             ;   in Loop: Header=BB157_7 Depth=1
	v_mul_f32_e64 v9, 0x3f22f983, |v2|
	s_delay_alu instid0(VALU_DEP_1) | instskip(NEXT) | instid1(VALU_DEP_1)
	v_rndne_f32_e32 v12, v9
	v_fma_f32 v9, 0xbfc90fda, v12, |v2|
	s_delay_alu instid0(VALU_DEP_1) | instskip(NEXT) | instid1(VALU_DEP_1)
	v_fmac_f32_e32 v9, 0xb3a22168, v12
	v_fmac_f32_e32 v9, 0xa7c234c4, v12
	v_cvt_i32_f32_e32 v12, v12
; %bb.96:                               ;   in Loop: Header=BB157_7 Depth=1
	s_or_b32 exec_lo, exec_lo, s2
                                        ; implicit-def: $vgpr19
                                        ; implicit-def: $vgpr13
	s_and_saveexec_b32 s2, s30
	s_delay_alu instid0(SALU_CYCLE_1)
	s_xor_b32 s30, exec_lo, s2
	s_cbranch_execz .LBB157_98
; %bb.97:                               ;   in Loop: Header=BB157_7 Depth=1
	v_mad_u64_u32 v[19:20], null, 0xfe5163ab, v10, 0
	v_cmp_lt_u32_e32 vcc_lo, 63, v18
	v_cndmask_b32_e64 v25, 0, 0xffffffc0, vcc_lo
	s_delay_alu instid0(VALU_DEP_1) | instskip(NEXT) | instid1(VALU_DEP_1)
	v_dual_mov_b32 v13, v20 :: v_dual_add_nc_u32 v18, v25, v18
	v_mad_u64_u32 v[20:21], null, 0x3c439041, v10, v[13:14]
	s_delay_alu instid0(VALU_DEP_2) | instskip(NEXT) | instid1(VALU_DEP_1)
	v_cmp_lt_u32_e64 s2, 31, v18
	v_cndmask_b32_e64 v26, 0, 0xffffffe0, s2
	s_delay_alu instid0(VALU_DEP_1) | instskip(NEXT) | instid1(VALU_DEP_1)
	v_dual_mov_b32 v13, v21 :: v_dual_add_nc_u32 v18, v26, v18
	v_mad_u64_u32 v[21:22], null, 0xdb629599, v10, v[13:14]
	s_delay_alu instid0(VALU_DEP_2) | instskip(NEXT) | instid1(VALU_DEP_2)
	v_cmp_lt_u32_e64 s3, 31, v18
	v_mov_b32_e32 v13, v22
	s_delay_alu instid0(VALU_DEP_3) | instskip(NEXT) | instid1(VALU_DEP_2)
	v_cndmask_b32_e32 v19, v21, v19, vcc_lo
	v_mad_u64_u32 v[22:23], null, 0xf534ddc0, v10, v[13:14]
	s_delay_alu instid0(VALU_DEP_1) | instskip(NEXT) | instid1(VALU_DEP_1)
	v_mov_b32_e32 v13, v23
	v_mad_u64_u32 v[23:24], null, 0xfc2757d1, v10, v[13:14]
	s_delay_alu instid0(VALU_DEP_1) | instskip(NEXT) | instid1(VALU_DEP_1)
	v_mov_b32_e32 v13, v24
	;; [unrolled: 3-line block ×3, first 2 shown]
	v_mad_u64_u32 v[25:26], null, 0xa2f9836e, v10, v[13:14]
	v_cndmask_b32_e64 v10, 0, 0xffffffe0, s3
	s_delay_alu instid0(VALU_DEP_4) | instskip(NEXT) | instid1(VALU_DEP_2)
	v_cndmask_b32_e32 v13, v24, v22, vcc_lo
	v_add_nc_u32_e32 v10, v10, v18
	s_delay_alu instid0(VALU_DEP_4) | instskip(SKIP_1) | instid1(VALU_DEP_3)
	v_dual_cndmask_b32 v18, v22, v20 :: v_dual_cndmask_b32 v25, v25, v23
	v_dual_cndmask_b32 v24, v26, v24 :: v_dual_cndmask_b32 v23, v23, v21
	v_cmp_eq_u32_e64 s4, 0, v10
	s_delay_alu instid0(VALU_DEP_3) | instskip(NEXT) | instid1(VALU_DEP_3)
	v_cndmask_b32_e64 v20, v25, v13, s2
	v_cndmask_b32_e64 v22, v24, v25, s2
	s_delay_alu instid0(VALU_DEP_4)
	v_cndmask_b32_e64 v13, v13, v23, s2
	v_sub_nc_u32_e32 v24, 32, v10
	v_cndmask_b32_e64 v23, v23, v18, s2
	v_cndmask_b32_e64 v18, v18, v19, s2
	;; [unrolled: 1-line block ×4, first 2 shown]
	s_delay_alu instid0(VALU_DEP_4) | instskip(NEXT) | instid1(VALU_DEP_4)
	v_cndmask_b32_e64 v13, v13, v23, s3
	v_cndmask_b32_e64 v18, v23, v18, s3
	s_delay_alu instid0(VALU_DEP_3) | instskip(NEXT) | instid1(VALU_DEP_3)
	v_alignbit_b32 v25, v22, v20, v24
	v_alignbit_b32 v26, v20, v13, v24
	s_delay_alu instid0(VALU_DEP_3) | instskip(NEXT) | instid1(VALU_DEP_3)
	v_alignbit_b32 v24, v13, v18, v24
	v_cndmask_b32_e64 v10, v25, v22, s4
	s_delay_alu instid0(VALU_DEP_3) | instskip(NEXT) | instid1(VALU_DEP_3)
	v_cndmask_b32_e64 v20, v26, v20, s4
	v_cndmask_b32_e64 v13, v24, v13, s4
	s_delay_alu instid0(VALU_DEP_3) | instskip(NEXT) | instid1(VALU_DEP_3)
	v_bfe_u32 v21, v10, 29, 1
	v_alignbit_b32 v19, v10, v20, 30
	s_delay_alu instid0(VALU_DEP_3) | instskip(SKIP_1) | instid1(VALU_DEP_4)
	v_alignbit_b32 v20, v20, v13, 30
	v_alignbit_b32 v13, v13, v18, 30
	v_sub_nc_u32_e32 v22, 0, v21
	s_delay_alu instid0(VALU_DEP_1) | instskip(SKIP_3) | instid1(VALU_DEP_4)
	v_xor_b32_e32 v23, v19, v22
	v_cmp_ne_u32_e32 vcc_lo, v19, v22
	v_xor_b32_e32 v18, v20, v22
	v_xor_b32_e32 v13, v13, v22
	v_clz_i32_u32_e32 v25, v23
	s_delay_alu instid0(VALU_DEP_1) | instskip(NEXT) | instid1(VALU_DEP_1)
	v_add_nc_u32_e32 v24, 1, v25
	v_cndmask_b32_e32 v19, 33, v24, vcc_lo
	s_delay_alu instid0(VALU_DEP_1) | instskip(NEXT) | instid1(VALU_DEP_1)
	v_sub_nc_u32_e32 v20, 32, v19
	v_alignbit_b32 v22, v23, v18, v20
	v_alignbit_b32 v13, v18, v13, v20
	v_lshrrev_b32_e32 v18, 29, v10
	v_lshrrev_b32_e32 v10, 30, v10
	s_delay_alu instid0(VALU_DEP_3) | instskip(NEXT) | instid1(VALU_DEP_3)
	v_alignbit_b32 v20, v22, v13, 9
	v_lshlrev_b32_e32 v18, 31, v18
	v_alignbit_b32 v22, v19, v22, 9
	s_delay_alu instid0(VALU_DEP_3) | instskip(NEXT) | instid1(VALU_DEP_2)
	v_clz_i32_u32_e32 v23, v20
	v_or_b32_e32 v22, v22, v18
	v_or_b32_e32 v18, 0x33800000, v18
	s_delay_alu instid0(VALU_DEP_3) | instskip(NEXT) | instid1(VALU_DEP_3)
	v_min_u32_e32 v23, 32, v23
	v_xor_b32_e32 v22, 1.0, v22
	s_delay_alu instid0(VALU_DEP_2) | instskip(SKIP_1) | instid1(VALU_DEP_3)
	v_sub_nc_u32_e32 v24, 31, v23
	v_add_lshl_u32 v19, v23, v19, 23
	v_mul_f32_e32 v23, 0x3fc90fda, v22
	s_delay_alu instid0(VALU_DEP_3) | instskip(NEXT) | instid1(VALU_DEP_3)
	v_alignbit_b32 v13, v20, v13, v24
	v_sub_nc_u32_e32 v18, v18, v19
	s_delay_alu instid0(VALU_DEP_3) | instskip(NEXT) | instid1(VALU_DEP_3)
	v_fma_f32 v19, 0x3fc90fda, v22, -v23
	v_lshrrev_b32_e32 v13, 9, v13
	s_delay_alu instid0(VALU_DEP_2) | instskip(NEXT) | instid1(VALU_DEP_2)
	v_fmac_f32_e32 v19, 0x33a22168, v22
	v_or_b32_e32 v13, v18, v13
	s_delay_alu instid0(VALU_DEP_1) | instskip(NEXT) | instid1(VALU_DEP_1)
	v_fmac_f32_e32 v19, 0x3fc90fda, v13
	v_add_f32_e32 v13, v23, v19
	v_add_nc_u32_e32 v19, v21, v10
	s_and_not1_saveexec_b32 s2, s30
	s_cbranch_execnz .LBB157_99
	s_branch .LBB157_100
.LBB157_98:                             ;   in Loop: Header=BB157_7 Depth=1
	s_and_not1_saveexec_b32 s2, s30
.LBB157_99:                             ;   in Loop: Header=BB157_7 Depth=1
	v_mul_f32_e64 v10, 0x3f22f983, |v2|
	s_delay_alu instid0(VALU_DEP_1) | instskip(NEXT) | instid1(VALU_DEP_1)
	v_rndne_f32_e32 v10, v10
	v_fma_f32 v13, 0xbfc90fda, v10, |v2|
	v_cvt_i32_f32_e32 v19, v10
	s_delay_alu instid0(VALU_DEP_2) | instskip(NEXT) | instid1(VALU_DEP_1)
	v_fmac_f32_e32 v13, 0xb3a22168, v10
	v_fmac_f32_e32 v13, 0xa7c234c4, v10
.LBB157_100:                            ;   in Loop: Header=BB157_7 Depth=1
	s_or_b32 exec_lo, exec_lo, s2
	s_delay_alu instid0(VALU_DEP_1) | instskip(SKIP_2) | instid1(VALU_DEP_3)
	v_mul_f32_e32 v23, v13, v13
	v_mul_f32_e32 v10, v9, v9
	v_mul_f32_e64 v20, 0xbfb8aa3b, |v1|
	v_dual_fmaak_f32 v27, s26, v23, 0xbab64f3b :: v_dual_and_b32 v18, 1, v12
	s_delay_alu instid0(VALU_DEP_3) | instskip(NEXT) | instid1(VALU_DEP_3)
	v_dual_fmaak_f32 v21, s25, v10, 0x3c0881c4 :: v_dual_lshlrev_b32 v12, 30, v12
	v_rndne_f32_e32 v24, v20
	v_fma_f32 v25, 0xbfb8aa3b, |v1|, -v20
	s_delay_alu instid0(VALU_DEP_4) | instskip(NEXT) | instid1(VALU_DEP_4)
	v_cmp_eq_u32_e32 vcc_lo, 0, v18
	v_fmaak_f32 v21, v10, v21, 0xbe2aaa9d
	v_fmaak_f32 v22, s26, v10, 0xbab64f3b
	v_and_b32_e32 v18, 1, v19
	v_fma_f32 v25, 0xb2a5705f, |v1|, v25
	s_delay_alu instid0(VALU_DEP_4) | instskip(NEXT) | instid1(VALU_DEP_4)
	v_dual_mul_f32 v21, v10, v21 :: v_dual_and_b32 v12, 0x80000000, v12
	v_fmaak_f32 v22, v10, v22, 0x3d2aabf7
	v_fmaak_f32 v26, s25, v23, 0x3c0881c4
	v_dual_sub_f32 v20, v20, v24 :: v_dual_lshlrev_b32 v19, 30, v19
	s_delay_alu instid0(VALU_DEP_4) | instskip(SKIP_4) | instid1(VALU_DEP_3)
	v_fmac_f32_e32 v9, v9, v21
	v_fmaak_f32 v21, v23, v27, 0x3d2aabf7
	v_fmaak_f32 v22, v10, v22, 0xbf000004
	v_xor_b32_e32 v11, v11, v12
	v_cvt_i32_f32_e32 v12, v24
	v_fma_f32 v10, v10, v22, 1.0
	s_delay_alu instid0(VALU_DEP_1) | instskip(NEXT) | instid1(VALU_DEP_1)
	v_dual_fmaak_f32 v26, v23, v26, 0xbe2aaa9d :: v_dual_cndmask_b32 v9, v10, v9
	v_mul_f32_e32 v22, v23, v26
	v_add_f32_e32 v20, v20, v25
	v_fmaak_f32 v10, v23, v21, 0xbf000004
	v_cmp_eq_u32_e32 vcc_lo, 0, v18
	v_xor3_b32 v9, v11, v9, v2
	v_fmac_f32_e32 v13, v13, v22
	v_exp_f32_e32 v20, v20
	v_fma_f32 v10, v23, v10, 1.0
	s_delay_alu instid0(VALU_DEP_3) | instskip(NEXT) | instid1(VALU_DEP_2)
	v_mul_f32_e32 v9, 4.0, v9
	v_cndmask_b32_e64 v10, -v13, v10, vcc_lo
	v_cmp_nlt_f32_e64 vcc_lo, 0x42ce8ed0, |v1|
	s_waitcnt_depctr 0xfff
	v_ldexp_f32 v11, v20, v12
	v_and_b32_e32 v12, 0x80000000, v19
	s_delay_alu instid0(VALU_DEP_2) | instskip(NEXT) | instid1(VALU_DEP_2)
	v_cndmask_b32_e32 v11, 0, v11, vcc_lo
	v_xor_b32_e32 v10, v12, v10
	v_cmp_ngt_f32_e64 vcc_lo, 0xc2b17218, |v1|
	s_delay_alu instid0(VALU_DEP_2) | instskip(NEXT) | instid1(VALU_DEP_4)
	v_mul_f32_e32 v9, v9, v10
	v_cndmask_b32_e32 v11, 0x7f800000, v11, vcc_lo
	s_delay_alu instid0(VALU_DEP_1) | instskip(SKIP_1) | instid1(VALU_DEP_2)
	v_mul_f32_e32 v10, v11, v9
	v_bfi_b32 v9, 0x7fffffff, 1.0, v1
	v_mul_f32_e32 v10, v11, v10
.LBB157_101:                            ;   in Loop: Header=BB157_7 Depth=1
	s_or_b32 exec_lo, exec_lo, s29
.LBB157_102:                            ;   in Loop: Header=BB157_7 Depth=1
	s_and_not1_saveexec_b32 s2, s28
; %bb.103:                              ;   in Loop: Header=BB157_7 Depth=1
	v_sub_f32_e32 v10, v2, v2
	s_delay_alu instid0(VALU_DEP_1)
	v_mov_b32_e32 v9, v10
; %bb.104:                              ;   in Loop: Header=BB157_7 Depth=1
	s_or_b32 exec_lo, exec_lo, s2
.LBB157_105:                            ;   in Loop: Header=BB157_7 Depth=1
	s_and_not1_saveexec_b32 s27, s27
	s_cbranch_execz .LBB157_121
; %bb.106:                              ;   in Loop: Header=BB157_7 Depth=1
	v_and_b32_e32 v9, 0x7fffff, v1
	s_mov_b32 s2, exec_lo
                                        ; implicit-def: $vgpr10
	s_delay_alu instid0(VALU_DEP_1)
	v_cmpx_ne_u32_e32 0, v9
	s_xor_b32 s2, exec_lo, s2
; %bb.107:                              ;   in Loop: Header=BB157_7 Depth=1
	v_mul_f32_e32 v9, v1, v2
	v_cmp_eq_f32_e32 vcc_lo, 0, v2
	s_delay_alu instid0(VALU_DEP_2)
	v_cndmask_b32_e32 v10, v9, v2, vcc_lo
; %bb.108:                              ;   in Loop: Header=BB157_7 Depth=1
	s_and_not1_saveexec_b32 s28, s2
	s_cbranch_execz .LBB157_120
; %bb.109:                              ;   in Loop: Header=BB157_7 Depth=1
	s_mov_b32 s29, exec_lo
	v_cmpx_neq_f32_e64 0x7f800000, |v2|
	s_cbranch_execz .LBB157_119
; %bb.110:                              ;   in Loop: Header=BB157_7 Depth=1
	v_and_b32_e32 v9, 0x7fffffff, v2
	v_cmp_ngt_f32_e64 s30, 0x48000000, |v2|
                                        ; implicit-def: $vgpr11
	s_delay_alu instid0(VALU_DEP_2) | instskip(SKIP_1) | instid1(VALU_DEP_2)
	v_lshrrev_b32_e32 v10, 23, v9
	v_and_or_b32 v12, v9, s21, 0x800000
	v_add_nc_u32_e32 v18, 0xffffff88, v10
                                        ; implicit-def: $vgpr10
	s_delay_alu instid0(VALU_DEP_4) | instskip(NEXT) | instid1(SALU_CYCLE_1)
	s_and_saveexec_b32 s2, s30
	s_xor_b32 s31, exec_lo, s2
	s_cbranch_execz .LBB157_112
; %bb.111:                              ;   in Loop: Header=BB157_7 Depth=1
	v_mad_u64_u32 v[10:11], null, 0xfe5163ab, v12, 0
	v_cmp_lt_u32_e32 vcc_lo, 63, v18
	s_delay_alu instid0(VALU_DEP_2) | instskip(SKIP_1) | instid1(VALU_DEP_2)
	v_mov_b32_e32 v13, v11
	v_cndmask_b32_e64 v11, 0, 0xffffffc0, vcc_lo
	v_mad_u64_u32 v[19:20], null, 0x3c439041, v12, v[13:14]
	s_delay_alu instid0(VALU_DEP_2) | instskip(NEXT) | instid1(VALU_DEP_1)
	v_add_nc_u32_e32 v11, v11, v18
	v_cmp_lt_u32_e64 s2, 31, v11
	s_delay_alu instid0(VALU_DEP_3) | instskip(NEXT) | instid1(VALU_DEP_2)
	v_mov_b32_e32 v13, v20
	v_cndmask_b32_e64 v25, 0, 0xffffffe0, s2
	s_delay_alu instid0(VALU_DEP_2) | instskip(NEXT) | instid1(VALU_DEP_2)
	v_mad_u64_u32 v[20:21], null, 0xdb629599, v12, v[13:14]
	v_add_nc_u32_e32 v11, v25, v11
	s_delay_alu instid0(VALU_DEP_2) | instskip(NEXT) | instid1(VALU_DEP_2)
	v_mov_b32_e32 v13, v21
	v_cmp_lt_u32_e64 s3, 31, v11
	s_delay_alu instid0(VALU_DEP_4) | instskip(NEXT) | instid1(VALU_DEP_3)
	v_cndmask_b32_e32 v10, v20, v10, vcc_lo
	v_mad_u64_u32 v[21:22], null, 0xf534ddc0, v12, v[13:14]
	s_delay_alu instid0(VALU_DEP_1) | instskip(NEXT) | instid1(VALU_DEP_1)
	v_mov_b32_e32 v13, v22
	v_mad_u64_u32 v[22:23], null, 0xfc2757d1, v12, v[13:14]
	s_delay_alu instid0(VALU_DEP_1) | instskip(NEXT) | instid1(VALU_DEP_1)
	v_mov_b32_e32 v13, v23
	v_mad_u64_u32 v[23:24], null, 0x4e441529, v12, v[13:14]
	s_delay_alu instid0(VALU_DEP_1) | instskip(NEXT) | instid1(VALU_DEP_1)
	v_dual_mov_b32 v13, v24 :: v_dual_cndmask_b32 v26, v23, v21
	v_mad_u64_u32 v[24:25], null, 0xa2f9836e, v12, v[13:14]
	v_cndmask_b32_e64 v13, 0, 0xffffffe0, s3
	s_delay_alu instid0(VALU_DEP_1) | instskip(NEXT) | instid1(VALU_DEP_3)
	v_dual_cndmask_b32 v24, v24, v22 :: v_dual_add_nc_u32 v11, v13, v11
	v_dual_cndmask_b32 v23, v25, v23 :: v_dual_cndmask_b32 v22, v22, v20
	v_cndmask_b32_e32 v13, v21, v19, vcc_lo
	s_delay_alu instid0(VALU_DEP_3) | instskip(NEXT) | instid1(VALU_DEP_4)
	v_cmp_eq_u32_e64 s4, 0, v11
	v_cndmask_b32_e64 v19, v24, v26, s2
	s_delay_alu instid0(VALU_DEP_4)
	v_cndmask_b32_e64 v21, v23, v24, s2
	v_cndmask_b32_e64 v23, v26, v22, s2
	v_sub_nc_u32_e32 v24, 32, v11
	v_cndmask_b32_e64 v22, v22, v13, s2
	v_cndmask_b32_e64 v10, v13, v10, s2
	;; [unrolled: 1-line block ×4, first 2 shown]
	s_delay_alu instid0(VALU_DEP_4) | instskip(NEXT) | instid1(VALU_DEP_4)
	v_cndmask_b32_e64 v23, v23, v22, s3
	v_cndmask_b32_e64 v10, v22, v10, s3
	s_delay_alu instid0(VALU_DEP_3) | instskip(NEXT) | instid1(VALU_DEP_3)
	v_alignbit_b32 v25, v21, v19, v24
	v_alignbit_b32 v26, v19, v23, v24
	s_delay_alu instid0(VALU_DEP_3) | instskip(NEXT) | instid1(VALU_DEP_3)
	v_alignbit_b32 v24, v23, v10, v24
	v_cndmask_b32_e64 v11, v25, v21, s4
	s_delay_alu instid0(VALU_DEP_3) | instskip(NEXT) | instid1(VALU_DEP_3)
	v_cndmask_b32_e64 v19, v26, v19, s4
	v_cndmask_b32_e64 v23, v24, v23, s4
	s_delay_alu instid0(VALU_DEP_3) | instskip(NEXT) | instid1(VALU_DEP_3)
	v_bfe_u32 v20, v11, 29, 1
	v_alignbit_b32 v13, v11, v19, 30
	s_delay_alu instid0(VALU_DEP_3) | instskip(SKIP_1) | instid1(VALU_DEP_4)
	v_alignbit_b32 v19, v19, v23, 30
	v_alignbit_b32 v10, v23, v10, 30
	v_sub_nc_u32_e32 v21, 0, v20
	s_delay_alu instid0(VALU_DEP_1) | instskip(SKIP_3) | instid1(VALU_DEP_4)
	v_xor_b32_e32 v22, v13, v21
	v_cmp_ne_u32_e32 vcc_lo, v13, v21
	v_xor_b32_e32 v19, v19, v21
	v_xor_b32_e32 v10, v10, v21
	v_clz_i32_u32_e32 v25, v22
	s_delay_alu instid0(VALU_DEP_1) | instskip(NEXT) | instid1(VALU_DEP_1)
	v_add_nc_u32_e32 v24, 1, v25
	v_cndmask_b32_e32 v13, 33, v24, vcc_lo
	s_delay_alu instid0(VALU_DEP_1) | instskip(NEXT) | instid1(VALU_DEP_1)
	v_sub_nc_u32_e32 v23, 32, v13
	v_alignbit_b32 v21, v22, v19, v23
	v_alignbit_b32 v10, v19, v10, v23
	v_lshrrev_b32_e32 v19, 29, v11
	v_lshrrev_b32_e32 v11, 30, v11
	s_delay_alu instid0(VALU_DEP_3) | instskip(NEXT) | instid1(VALU_DEP_3)
	v_alignbit_b32 v22, v21, v10, 9
	v_lshlrev_b32_e32 v19, 31, v19
	v_alignbit_b32 v21, v13, v21, 9
	s_delay_alu instid0(VALU_DEP_4) | instskip(NEXT) | instid1(VALU_DEP_4)
	v_add_nc_u32_e32 v11, v20, v11
	v_clz_i32_u32_e32 v23, v22
	s_delay_alu instid0(VALU_DEP_3) | instskip(SKIP_1) | instid1(VALU_DEP_3)
	v_or_b32_e32 v21, v21, v19
	v_or_b32_e32 v19, 0x33800000, v19
	v_min_u32_e32 v23, 32, v23
	s_delay_alu instid0(VALU_DEP_3) | instskip(NEXT) | instid1(VALU_DEP_2)
	v_xor_b32_e32 v21, 1.0, v21
	v_sub_nc_u32_e32 v24, 31, v23
	v_add_lshl_u32 v13, v23, v13, 23
	s_delay_alu instid0(VALU_DEP_3) | instskip(NEXT) | instid1(VALU_DEP_3)
	v_mul_f32_e32 v23, 0x3fc90fda, v21
	v_alignbit_b32 v10, v22, v10, v24
	s_delay_alu instid0(VALU_DEP_3) | instskip(NEXT) | instid1(VALU_DEP_3)
	v_sub_nc_u32_e32 v13, v19, v13
	v_fma_f32 v19, 0x3fc90fda, v21, -v23
	s_delay_alu instid0(VALU_DEP_3) | instskip(NEXT) | instid1(VALU_DEP_2)
	v_lshrrev_b32_e32 v10, 9, v10
	v_fmac_f32_e32 v19, 0x33a22168, v21
	s_delay_alu instid0(VALU_DEP_2) | instskip(NEXT) | instid1(VALU_DEP_1)
	v_or_b32_e32 v10, v13, v10
	v_fmac_f32_e32 v19, 0x3fc90fda, v10
	s_delay_alu instid0(VALU_DEP_1)
	v_add_f32_e32 v10, v23, v19
.LBB157_112:                            ;   in Loop: Header=BB157_7 Depth=1
	s_or_saveexec_b32 s2, s31
	v_mul_f32_e64 v13, 0x3f22f983, |v2|
	s_delay_alu instid0(VALU_DEP_1)
	v_rndne_f32_e32 v20, v13
	s_xor_b32 exec_lo, exec_lo, s2
; %bb.113:                              ;   in Loop: Header=BB157_7 Depth=1
	s_delay_alu instid0(VALU_DEP_1) | instskip(SKIP_1) | instid1(VALU_DEP_2)
	v_fma_f32 v10, 0xbfc90fda, v20, |v2|
	v_cvt_i32_f32_e32 v11, v20
	v_fmac_f32_e32 v10, 0xb3a22168, v20
	s_delay_alu instid0(VALU_DEP_1)
	v_fmac_f32_e32 v10, 0xa7c234c4, v20
; %bb.114:                              ;   in Loop: Header=BB157_7 Depth=1
	s_or_b32 exec_lo, exec_lo, s2
                                        ; implicit-def: $vgpr19
                                        ; implicit-def: $vgpr13
	s_and_saveexec_b32 s2, s30
	s_delay_alu instid0(SALU_CYCLE_1)
	s_xor_b32 s30, exec_lo, s2
	s_cbranch_execz .LBB157_116
; %bb.115:                              ;   in Loop: Header=BB157_7 Depth=1
	v_mad_u64_u32 v[19:20], null, 0xfe5163ab, v12, 0
	v_cmp_lt_u32_e32 vcc_lo, 63, v18
	v_cndmask_b32_e64 v25, 0, 0xffffffc0, vcc_lo
	s_delay_alu instid0(VALU_DEP_1) | instskip(NEXT) | instid1(VALU_DEP_1)
	v_dual_mov_b32 v13, v20 :: v_dual_add_nc_u32 v18, v25, v18
	v_mad_u64_u32 v[20:21], null, 0x3c439041, v12, v[13:14]
	s_delay_alu instid0(VALU_DEP_2) | instskip(NEXT) | instid1(VALU_DEP_1)
	v_cmp_lt_u32_e64 s2, 31, v18
	v_cndmask_b32_e64 v26, 0, 0xffffffe0, s2
	s_delay_alu instid0(VALU_DEP_1) | instskip(NEXT) | instid1(VALU_DEP_1)
	v_dual_mov_b32 v13, v21 :: v_dual_add_nc_u32 v18, v26, v18
	v_mad_u64_u32 v[21:22], null, 0xdb629599, v12, v[13:14]
	s_delay_alu instid0(VALU_DEP_2) | instskip(NEXT) | instid1(VALU_DEP_2)
	v_cmp_lt_u32_e64 s3, 31, v18
	v_mov_b32_e32 v13, v22
	s_delay_alu instid0(VALU_DEP_3) | instskip(NEXT) | instid1(VALU_DEP_2)
	v_cndmask_b32_e32 v19, v21, v19, vcc_lo
	v_mad_u64_u32 v[22:23], null, 0xf534ddc0, v12, v[13:14]
	s_delay_alu instid0(VALU_DEP_1) | instskip(NEXT) | instid1(VALU_DEP_1)
	v_mov_b32_e32 v13, v23
	v_mad_u64_u32 v[23:24], null, 0xfc2757d1, v12, v[13:14]
	s_delay_alu instid0(VALU_DEP_1) | instskip(NEXT) | instid1(VALU_DEP_1)
	v_mov_b32_e32 v13, v24
	;; [unrolled: 3-line block ×3, first 2 shown]
	v_mad_u64_u32 v[25:26], null, 0xa2f9836e, v12, v[13:14]
	v_cndmask_b32_e64 v12, 0, 0xffffffe0, s3
	s_delay_alu instid0(VALU_DEP_4) | instskip(NEXT) | instid1(VALU_DEP_2)
	v_cndmask_b32_e32 v13, v24, v22, vcc_lo
	v_dual_cndmask_b32 v25, v25, v23 :: v_dual_add_nc_u32 v12, v12, v18
	s_delay_alu instid0(VALU_DEP_4) | instskip(SKIP_1) | instid1(VALU_DEP_3)
	v_dual_cndmask_b32 v24, v26, v24 :: v_dual_cndmask_b32 v23, v23, v21
	v_cndmask_b32_e32 v18, v22, v20, vcc_lo
	v_cmp_eq_u32_e64 s4, 0, v12
	s_delay_alu instid0(VALU_DEP_4) | instskip(NEXT) | instid1(VALU_DEP_4)
	v_cndmask_b32_e64 v20, v25, v13, s2
	v_cndmask_b32_e64 v22, v24, v25, s2
	;; [unrolled: 1-line block ×3, first 2 shown]
	v_sub_nc_u32_e32 v24, 32, v12
	v_cndmask_b32_e64 v23, v23, v18, s2
	v_cndmask_b32_e64 v18, v18, v19, s2
	;; [unrolled: 1-line block ×4, first 2 shown]
	s_delay_alu instid0(VALU_DEP_4) | instskip(NEXT) | instid1(VALU_DEP_4)
	v_cndmask_b32_e64 v13, v13, v23, s3
	v_cndmask_b32_e64 v18, v23, v18, s3
	s_delay_alu instid0(VALU_DEP_3) | instskip(NEXT) | instid1(VALU_DEP_3)
	v_alignbit_b32 v25, v22, v20, v24
	v_alignbit_b32 v26, v20, v13, v24
	s_delay_alu instid0(VALU_DEP_3) | instskip(NEXT) | instid1(VALU_DEP_3)
	v_alignbit_b32 v24, v13, v18, v24
	v_cndmask_b32_e64 v12, v25, v22, s4
	s_delay_alu instid0(VALU_DEP_3) | instskip(NEXT) | instid1(VALU_DEP_3)
	v_cndmask_b32_e64 v20, v26, v20, s4
	v_cndmask_b32_e64 v13, v24, v13, s4
	s_delay_alu instid0(VALU_DEP_3) | instskip(NEXT) | instid1(VALU_DEP_3)
	v_bfe_u32 v21, v12, 29, 1
	v_alignbit_b32 v19, v12, v20, 30
	s_delay_alu instid0(VALU_DEP_3) | instskip(SKIP_1) | instid1(VALU_DEP_4)
	v_alignbit_b32 v20, v20, v13, 30
	v_alignbit_b32 v13, v13, v18, 30
	v_sub_nc_u32_e32 v22, 0, v21
	s_delay_alu instid0(VALU_DEP_1) | instskip(SKIP_3) | instid1(VALU_DEP_4)
	v_xor_b32_e32 v23, v19, v22
	v_cmp_ne_u32_e32 vcc_lo, v19, v22
	v_xor_b32_e32 v18, v20, v22
	v_xor_b32_e32 v13, v13, v22
	v_clz_i32_u32_e32 v25, v23
	s_delay_alu instid0(VALU_DEP_1) | instskip(NEXT) | instid1(VALU_DEP_1)
	v_add_nc_u32_e32 v24, 1, v25
	v_cndmask_b32_e32 v19, 33, v24, vcc_lo
	s_delay_alu instid0(VALU_DEP_1) | instskip(NEXT) | instid1(VALU_DEP_1)
	v_sub_nc_u32_e32 v20, 32, v19
	v_alignbit_b32 v22, v23, v18, v20
	v_alignbit_b32 v13, v18, v13, v20
	v_lshrrev_b32_e32 v18, 29, v12
	v_lshrrev_b32_e32 v12, 30, v12
	s_delay_alu instid0(VALU_DEP_3) | instskip(NEXT) | instid1(VALU_DEP_3)
	v_alignbit_b32 v20, v22, v13, 9
	v_lshlrev_b32_e32 v18, 31, v18
	v_alignbit_b32 v22, v19, v22, 9
	s_delay_alu instid0(VALU_DEP_3) | instskip(NEXT) | instid1(VALU_DEP_2)
	v_clz_i32_u32_e32 v23, v20
	v_or_b32_e32 v22, v22, v18
	v_or_b32_e32 v18, 0x33800000, v18
	s_delay_alu instid0(VALU_DEP_3) | instskip(NEXT) | instid1(VALU_DEP_3)
	v_min_u32_e32 v23, 32, v23
	v_xor_b32_e32 v22, 1.0, v22
	s_delay_alu instid0(VALU_DEP_2) | instskip(SKIP_1) | instid1(VALU_DEP_3)
	v_sub_nc_u32_e32 v24, 31, v23
	v_add_lshl_u32 v19, v23, v19, 23
	v_mul_f32_e32 v23, 0x3fc90fda, v22
	s_delay_alu instid0(VALU_DEP_3) | instskip(NEXT) | instid1(VALU_DEP_3)
	v_alignbit_b32 v13, v20, v13, v24
	v_sub_nc_u32_e32 v18, v18, v19
	s_delay_alu instid0(VALU_DEP_3) | instskip(NEXT) | instid1(VALU_DEP_3)
	v_fma_f32 v19, 0x3fc90fda, v22, -v23
                                        ; implicit-def: $vgpr20
	v_lshrrev_b32_e32 v13, 9, v13
	s_delay_alu instid0(VALU_DEP_2) | instskip(NEXT) | instid1(VALU_DEP_2)
	v_fmac_f32_e32 v19, 0x33a22168, v22
	v_or_b32_e32 v13, v18, v13
	s_delay_alu instid0(VALU_DEP_1) | instskip(NEXT) | instid1(VALU_DEP_1)
	v_fmac_f32_e32 v19, 0x3fc90fda, v13
	v_add_f32_e32 v13, v23, v19
	v_add_nc_u32_e32 v19, v21, v12
	s_and_not1_saveexec_b32 s2, s30
	s_cbranch_execnz .LBB157_117
	s_branch .LBB157_118
.LBB157_116:                            ;   in Loop: Header=BB157_7 Depth=1
	s_and_not1_saveexec_b32 s2, s30
.LBB157_117:                            ;   in Loop: Header=BB157_7 Depth=1
	v_fma_f32 v13, 0xbfc90fda, v20, |v2|
	v_cvt_i32_f32_e32 v19, v20
	s_delay_alu instid0(VALU_DEP_2) | instskip(NEXT) | instid1(VALU_DEP_1)
	v_fmac_f32_e32 v13, 0xb3a22168, v20
	v_fmac_f32_e32 v13, 0xa7c234c4, v20
.LBB157_118:                            ;   in Loop: Header=BB157_7 Depth=1
	s_or_b32 exec_lo, exec_lo, s2
	v_mul_f32_e32 v12, v10, v10
	v_and_b32_e32 v18, 1, v11
	s_delay_alu instid0(VALU_DEP_3) | instskip(SKIP_1) | instid1(VALU_DEP_4)
	v_dual_mul_f32 v20, v13, v13 :: v_dual_and_b32 v23, 1, v19
	v_lshlrev_b32_e32 v11, 30, v11
	v_fmaak_f32 v21, s25, v12, 0x3c0881c4
	v_dual_fmaak_f32 v22, s26, v12, 0xbab64f3b :: v_dual_lshlrev_b32 v19, 30, v19
	v_cmp_eq_u32_e32 vcc_lo, 0, v18
	s_delay_alu instid0(VALU_DEP_3) | instskip(NEXT) | instid1(VALU_DEP_1)
	v_fmaak_f32 v21, v12, v21, 0xbe2aaa9d
	v_dual_fmaak_f32 v24, s25, v20, 0x3c0881c4 :: v_dual_mul_f32 v21, v12, v21
	s_delay_alu instid0(VALU_DEP_1) | instskip(SKIP_1) | instid1(VALU_DEP_3)
	v_fmaak_f32 v24, v20, v24, 0xbe2aaa9d
	v_fmaak_f32 v25, s26, v20, 0xbab64f3b
	v_dual_fmac_f32 v10, v10, v21 :: v_dual_and_b32 v11, 0x80000000, v11
	s_delay_alu instid0(VALU_DEP_3) | instskip(SKIP_1) | instid1(VALU_DEP_4)
	v_mul_f32_e32 v24, v20, v24
	v_fmaak_f32 v22, v12, v22, 0x3d2aabf7
	v_fmaak_f32 v25, v20, v25, 0x3d2aabf7
	s_delay_alu instid0(VALU_DEP_4) | instskip(NEXT) | instid1(VALU_DEP_3)
	v_xor_b32_e32 v9, v9, v11
	v_dual_fmac_f32 v13, v13, v24 :: v_dual_fmaak_f32 v22, v12, v22, 0xbf000004
	s_delay_alu instid0(VALU_DEP_3) | instskip(NEXT) | instid1(VALU_DEP_2)
	v_fmaak_f32 v25, v20, v25, 0xbf000004
	v_fma_f32 v12, v12, v22, 1.0
	s_delay_alu instid0(VALU_DEP_2) | instskip(NEXT) | instid1(VALU_DEP_2)
	v_fma_f32 v11, v20, v25, 1.0
	v_cndmask_b32_e32 v10, v12, v10, vcc_lo
	v_cmp_eq_u32_e32 vcc_lo, 0, v23
	v_and_b32_e32 v12, 0x80000000, v19
	s_delay_alu instid0(VALU_DEP_3) | instskip(SKIP_2) | instid1(VALU_DEP_2)
	v_xor3_b32 v9, v9, v10, v2
	v_cndmask_b32_e64 v11, -v13, v11, vcc_lo
	v_cmp_class_f32_e64 vcc_lo, v2, 0x1f8
	v_xor_b32_e32 v10, v12, v11
	s_delay_alu instid0(VALU_DEP_1) | instskip(NEXT) | instid1(VALU_DEP_1)
	v_mul_f32_e32 v9, v9, v10
	v_cndmask_b32_e32 v2, 0x7fc00000, v9, vcc_lo
.LBB157_119:                            ;   in Loop: Header=BB157_7 Depth=1
	s_or_b32 exec_lo, exec_lo, s29
	v_add_nc_u32_e32 v1, -2.0, v1
	s_delay_alu instid0(VALU_DEP_2)
	v_bfi_b32 v10, 0x7fffffff, 0, v2
.LBB157_120:                            ;   in Loop: Header=BB157_7 Depth=1
	s_or_b32 exec_lo, exec_lo, s28
	s_delay_alu instid0(VALU_DEP_2)
	v_mov_b32_e32 v9, v1
.LBB157_121:                            ;   in Loop: Header=BB157_7 Depth=1
	s_or_b32 exec_lo, exec_lo, s27
	v_and_b32_e32 v2, 0x7fffffff, v3
	s_mov_b32 s2, exec_lo
	s_delay_alu instid0(VALU_DEP_1)
	v_cmpx_gt_u32_e32 0x7f800000, v2
	s_xor_b32 s27, exec_lo, s2
	s_cbranch_execz .LBB157_143
; %bb.122:                              ;   in Loop: Header=BB157_7 Depth=1
	v_cmp_class_f32_e64 s2, v4, 0x1f8
	s_delay_alu instid0(VALU_DEP_1) | instskip(NEXT) | instid1(SALU_CYCLE_1)
	s_and_saveexec_b32 s3, s2
	s_xor_b32 s28, exec_lo, s3
	s_cbranch_execz .LBB157_140
; %bb.123:                              ;   in Loop: Header=BB157_7 Depth=1
	v_and_b32_e32 v1, 0x7fffffff, v4
	s_mov_b32 s2, exec_lo
	v_cmpx_gt_u32_e32 0x41300000, v2
	s_xor_b32 s29, exec_lo, s2
	s_cbranch_execz .LBB157_129
; %bb.124:                              ;   in Loop: Header=BB157_7 Depth=1
                                        ; implicit-def: $vgpr2
                                        ; implicit-def: $vgpr11
	s_mov_b32 s3, exec_lo
	v_cmpx_ngt_f32_e64 0x48000000, |v4|
	s_xor_b32 s30, exec_lo, s3
	s_cbranch_execz .LBB157_126
; %bb.125:                              ;   in Loop: Header=BB157_7 Depth=1
	v_and_or_b32 v2, v1, s21, 0x800000
	s_delay_alu instid0(VALU_DEP_1) | instskip(NEXT) | instid1(VALU_DEP_1)
	v_mad_u64_u32 v[11:12], null, 0xfe5163ab, v2, 0
	v_mov_b32_e32 v13, v12
	v_lshrrev_b32_e32 v12, 23, v1
	s_delay_alu instid0(VALU_DEP_1) | instskip(NEXT) | instid1(VALU_DEP_3)
	v_add_nc_u32_e32 v12, 0xffffff88, v12
	v_mad_u64_u32 v[18:19], null, 0x3c439041, v2, v[13:14]
	s_delay_alu instid0(VALU_DEP_2) | instskip(SKIP_1) | instid1(VALU_DEP_1)
	v_cmp_lt_u32_e32 vcc_lo, 63, v12
	v_cndmask_b32_e64 v23, 0, 0xffffffc0, vcc_lo
	v_add_nc_u32_e32 v12, v23, v12
	s_delay_alu instid0(VALU_DEP_1) | instskip(NEXT) | instid1(VALU_DEP_1)
	v_cmp_lt_u32_e64 s2, 31, v12
	v_cndmask_b32_e64 v24, 0, 0xffffffe0, s2
	s_delay_alu instid0(VALU_DEP_1) | instskip(NEXT) | instid1(VALU_DEP_1)
	v_dual_mov_b32 v13, v19 :: v_dual_add_nc_u32 v12, v24, v12
	v_mad_u64_u32 v[19:20], null, 0xdb629599, v2, v[13:14]
	s_delay_alu instid0(VALU_DEP_2) | instskip(NEXT) | instid1(VALU_DEP_2)
	v_cmp_lt_u32_e64 s3, 31, v12
	v_mov_b32_e32 v13, v20
	s_delay_alu instid0(VALU_DEP_3) | instskip(NEXT) | instid1(VALU_DEP_2)
	v_cndmask_b32_e32 v11, v19, v11, vcc_lo
	v_mad_u64_u32 v[20:21], null, 0xf534ddc0, v2, v[13:14]
	s_delay_alu instid0(VALU_DEP_1) | instskip(NEXT) | instid1(VALU_DEP_1)
	v_mov_b32_e32 v13, v21
	v_mad_u64_u32 v[21:22], null, 0xfc2757d1, v2, v[13:14]
	s_delay_alu instid0(VALU_DEP_1) | instskip(NEXT) | instid1(VALU_DEP_1)
	v_mov_b32_e32 v13, v22
	;; [unrolled: 3-line block ×3, first 2 shown]
	v_mad_u64_u32 v[23:24], null, 0xa2f9836e, v2, v[13:14]
	v_cndmask_b32_e64 v2, 0, 0xffffffe0, s3
	s_delay_alu instid0(VALU_DEP_4) | instskip(NEXT) | instid1(VALU_DEP_2)
	v_cndmask_b32_e32 v13, v22, v20, vcc_lo
	v_dual_cndmask_b32 v23, v23, v21 :: v_dual_add_nc_u32 v2, v2, v12
	s_delay_alu instid0(VALU_DEP_4) | instskip(SKIP_1) | instid1(VALU_DEP_3)
	v_dual_cndmask_b32 v22, v24, v22 :: v_dual_cndmask_b32 v21, v21, v19
	v_cndmask_b32_e32 v12, v20, v18, vcc_lo
	v_cmp_eq_u32_e64 s4, 0, v2
	s_delay_alu instid0(VALU_DEP_4) | instskip(NEXT) | instid1(VALU_DEP_4)
	v_cndmask_b32_e64 v18, v23, v13, s2
	v_cndmask_b32_e64 v20, v22, v23, s2
	;; [unrolled: 1-line block ×3, first 2 shown]
	v_sub_nc_u32_e32 v22, 32, v2
	v_cndmask_b32_e64 v21, v21, v12, s2
	v_cndmask_b32_e64 v11, v12, v11, s2
	;; [unrolled: 1-line block ×4, first 2 shown]
	s_delay_alu instid0(VALU_DEP_4) | instskip(NEXT) | instid1(VALU_DEP_4)
	v_cndmask_b32_e64 v13, v13, v21, s3
	v_cndmask_b32_e64 v11, v21, v11, s3
	s_delay_alu instid0(VALU_DEP_3) | instskip(NEXT) | instid1(VALU_DEP_3)
	v_alignbit_b32 v23, v20, v18, v22
	v_alignbit_b32 v24, v18, v13, v22
	s_delay_alu instid0(VALU_DEP_3) | instskip(NEXT) | instid1(VALU_DEP_3)
	v_alignbit_b32 v22, v13, v11, v22
	v_cndmask_b32_e64 v2, v23, v20, s4
	s_delay_alu instid0(VALU_DEP_3) | instskip(NEXT) | instid1(VALU_DEP_3)
	v_cndmask_b32_e64 v18, v24, v18, s4
	v_cndmask_b32_e64 v13, v22, v13, s4
	s_delay_alu instid0(VALU_DEP_3) | instskip(NEXT) | instid1(VALU_DEP_3)
	v_bfe_u32 v19, v2, 29, 1
	v_alignbit_b32 v12, v2, v18, 30
	s_delay_alu instid0(VALU_DEP_3) | instskip(SKIP_1) | instid1(VALU_DEP_4)
	v_alignbit_b32 v18, v18, v13, 30
	v_alignbit_b32 v11, v13, v11, 30
	v_sub_nc_u32_e32 v20, 0, v19
	s_delay_alu instid0(VALU_DEP_1) | instskip(SKIP_3) | instid1(VALU_DEP_4)
	v_xor_b32_e32 v21, v12, v20
	v_cmp_ne_u32_e32 vcc_lo, v12, v20
	v_xor_b32_e32 v13, v18, v20
	v_xor_b32_e32 v11, v11, v20
	v_clz_i32_u32_e32 v23, v21
	s_delay_alu instid0(VALU_DEP_1) | instskip(NEXT) | instid1(VALU_DEP_1)
	v_add_nc_u32_e32 v22, 1, v23
	v_cndmask_b32_e32 v12, 33, v22, vcc_lo
	s_delay_alu instid0(VALU_DEP_1) | instskip(NEXT) | instid1(VALU_DEP_1)
	v_sub_nc_u32_e32 v18, 32, v12
	v_alignbit_b32 v20, v21, v13, v18
	v_alignbit_b32 v11, v13, v11, v18
	v_lshrrev_b32_e32 v13, 29, v2
	v_lshrrev_b32_e32 v2, 30, v2
	s_delay_alu instid0(VALU_DEP_3) | instskip(NEXT) | instid1(VALU_DEP_3)
	v_alignbit_b32 v18, v20, v11, 9
	v_lshlrev_b32_e32 v13, 31, v13
	v_alignbit_b32 v20, v12, v20, 9
	s_delay_alu instid0(VALU_DEP_4) | instskip(NEXT) | instid1(VALU_DEP_4)
	v_add_nc_u32_e32 v2, v19, v2
	v_clz_i32_u32_e32 v21, v18
	s_delay_alu instid0(VALU_DEP_3) | instskip(SKIP_1) | instid1(VALU_DEP_3)
	v_or_b32_e32 v20, v20, v13
	v_or_b32_e32 v13, 0x33800000, v13
	v_min_u32_e32 v21, 32, v21
	s_delay_alu instid0(VALU_DEP_3) | instskip(NEXT) | instid1(VALU_DEP_2)
	v_xor_b32_e32 v20, 1.0, v20
	v_sub_nc_u32_e32 v22, 31, v21
	v_add_lshl_u32 v12, v21, v12, 23
	s_delay_alu instid0(VALU_DEP_3) | instskip(NEXT) | instid1(VALU_DEP_3)
	v_mul_f32_e32 v21, 0x3fc90fda, v20
	v_alignbit_b32 v11, v18, v11, v22
	s_delay_alu instid0(VALU_DEP_3) | instskip(NEXT) | instid1(VALU_DEP_3)
	v_sub_nc_u32_e32 v12, v13, v12
	v_fma_f32 v13, 0x3fc90fda, v20, -v21
	s_delay_alu instid0(VALU_DEP_3) | instskip(NEXT) | instid1(VALU_DEP_2)
	v_lshrrev_b32_e32 v11, 9, v11
	v_fmac_f32_e32 v13, 0x33a22168, v20
	s_delay_alu instid0(VALU_DEP_2) | instskip(NEXT) | instid1(VALU_DEP_1)
	v_or_b32_e32 v11, v12, v11
	v_fmac_f32_e32 v13, 0x3fc90fda, v11
	s_delay_alu instid0(VALU_DEP_1)
	v_add_f32_e32 v11, v21, v13
.LBB157_126:                            ;   in Loop: Header=BB157_7 Depth=1
	s_and_not1_saveexec_b32 s2, s30
; %bb.127:                              ;   in Loop: Header=BB157_7 Depth=1
	v_mul_f32_e64 v2, 0x3f22f983, |v4|
	s_delay_alu instid0(VALU_DEP_1) | instskip(NEXT) | instid1(VALU_DEP_1)
	v_rndne_f32_e32 v2, v2
	v_fma_f32 v11, 0xbfc90fda, v2, |v4|
	s_delay_alu instid0(VALU_DEP_1) | instskip(NEXT) | instid1(VALU_DEP_1)
	v_fmac_f32_e32 v11, 0xb3a22168, v2
	v_fmac_f32_e32 v11, 0xa7c234c4, v2
	v_cvt_i32_f32_e32 v2, v2
; %bb.128:                              ;   in Loop: Header=BB157_7 Depth=1
	s_or_b32 exec_lo, exec_lo, s2
	v_add_f32_e64 v12, 0xbf317218, |v3|
	v_cmp_nlt_f32_e64 vcc_lo, 0x42b2d4fc, |v3|
	v_cmp_gt_f32_e64 s2, 0x39800000, |v3|
	v_and_b32_e32 v2, 1, v2
	s_delay_alu instid0(VALU_DEP_4) | instskip(NEXT) | instid1(VALU_DEP_1)
	v_sub_f32_e64 v13, v12, |v3|
	v_dual_sub_f32 v18, v13, v12 :: v_dual_add_f32 v13, 0x3f317218, v13
	s_delay_alu instid0(VALU_DEP_1) | instskip(NEXT) | instid1(VALU_DEP_1)
	v_add_f32_e64 v18, |v3|, v18
	v_sub_f32_e32 v13, v18, v13
	s_delay_alu instid0(VALU_DEP_1) | instskip(NEXT) | instid1(VALU_DEP_1)
	v_add_f32_e32 v13, 0x3102e308, v13
	v_add_f32_e32 v18, v12, v13
	s_delay_alu instid0(VALU_DEP_1) | instskip(NEXT) | instid1(VALU_DEP_1)
	v_sub_f32_e32 v12, v12, v18
	v_dual_mul_f32 v19, 0x3fb8aa3b, v18 :: v_dual_add_f32 v12, v13, v12
	s_delay_alu instid0(VALU_DEP_1) | instskip(NEXT) | instid1(VALU_DEP_1)
	v_rndne_f32_e32 v19, v19
	v_mul_f32_e32 v13, 0x35bfbc00, v19
	v_fmac_f32_e32 v18, 0xbf317200, v19
	s_delay_alu instid0(VALU_DEP_1) | instskip(NEXT) | instid1(VALU_DEP_1)
	v_add_f32_e32 v20, v12, v18
	v_dual_sub_f32 v21, v20, v13 :: v_dual_sub_f32 v18, v18, v20
	s_delay_alu instid0(VALU_DEP_1) | instskip(NEXT) | instid1(VALU_DEP_1)
	v_sub_f32_e32 v20, v20, v21
	v_sub_f32_e32 v13, v20, v13
	s_delay_alu instid0(VALU_DEP_3) | instskip(NEXT) | instid1(VALU_DEP_1)
	v_add_f32_e32 v12, v12, v18
	v_dual_add_f32 v12, v12, v13 :: v_dual_mul_f32 v13, 0x2ea39ef3, v19
	s_delay_alu instid0(VALU_DEP_1) | instskip(NEXT) | instid1(VALU_DEP_1)
	v_add_f32_e32 v18, v21, v12
	v_dual_sub_f32 v20, v18, v13 :: v_dual_sub_f32 v21, v21, v18
	s_delay_alu instid0(VALU_DEP_1) | instskip(NEXT) | instid1(VALU_DEP_2)
	v_sub_f32_e32 v18, v18, v20
	v_add_f32_e32 v12, v12, v21
	s_delay_alu instid0(VALU_DEP_2) | instskip(NEXT) | instid1(VALU_DEP_1)
	v_sub_f32_e32 v13, v18, v13
	v_add_f32_e32 v12, v12, v13
	s_delay_alu instid0(VALU_DEP_1) | instskip(NEXT) | instid1(VALU_DEP_1)
	v_add_f32_e32 v13, v20, v12
	v_sub_f32_e32 v18, v20, v13
	v_mul_f32_e32 v20, v13, v13
	s_delay_alu instid0(VALU_DEP_2) | instskip(SKIP_1) | instid1(VALU_DEP_3)
	v_add_f32_e32 v12, v12, v18
	v_fmaak_f32 v18, s24, v13, 0x3c091de6
	v_fma_f32 v21, v13, v13, -v20
	s_delay_alu instid0(VALU_DEP_3) | instskip(NEXT) | instid1(VALU_DEP_3)
	v_add_f32_e32 v22, v12, v12
	v_fmaak_f32 v18, v13, v18, 0x3d2aadcc
	s_delay_alu instid0(VALU_DEP_2) | instskip(NEXT) | instid1(VALU_DEP_2)
	v_fmac_f32_e32 v21, v13, v22
	v_fmaak_f32 v18, v13, v18, 0x3e2aaa47
	s_delay_alu instid0(VALU_DEP_2) | instskip(NEXT) | instid1(VALU_DEP_2)
	v_add_f32_e32 v22, v20, v21
	v_fmaak_f32 v18, v13, v18, 0x3efffffc
	s_delay_alu instid0(VALU_DEP_2) | instskip(NEXT) | instid1(VALU_DEP_1)
	v_sub_f32_e32 v20, v22, v20
	v_dual_mul_f32 v23, v18, v22 :: v_dual_sub_f32 v20, v21, v20
	s_delay_alu instid0(VALU_DEP_1) | instskip(NEXT) | instid1(VALU_DEP_1)
	v_fma_f32 v21, v22, v18, -v23
	v_fmac_f32_e32 v21, v20, v18
	s_delay_alu instid0(VALU_DEP_1) | instskip(NEXT) | instid1(VALU_DEP_1)
	v_add_f32_e32 v18, v23, v21
	v_sub_f32_e32 v22, v18, v23
	v_add_f32_e32 v20, v13, v18
	s_delay_alu instid0(VALU_DEP_2) | instskip(NEXT) | instid1(VALU_DEP_2)
	v_sub_f32_e32 v21, v21, v22
	v_sub_f32_e32 v13, v20, v13
	s_delay_alu instid0(VALU_DEP_1) | instskip(NEXT) | instid1(VALU_DEP_3)
	v_sub_f32_e32 v13, v18, v13
	v_add_f32_e32 v12, v12, v21
	s_delay_alu instid0(VALU_DEP_1) | instskip(NEXT) | instid1(VALU_DEP_1)
	v_add_f32_e32 v12, v12, v13
	v_add_f32_e32 v13, v20, v12
	s_delay_alu instid0(VALU_DEP_1) | instskip(NEXT) | instid1(VALU_DEP_1)
	v_add_f32_e32 v18, 1.0, v13
	v_dual_sub_f32 v20, v13, v20 :: v_dual_add_f32 v21, -1.0, v18
	s_delay_alu instid0(VALU_DEP_1) | instskip(NEXT) | instid1(VALU_DEP_1)
	v_dual_sub_f32 v12, v12, v20 :: v_dual_sub_f32 v13, v13, v21
	v_add_f32_e32 v12, v12, v13
	v_cvt_i32_f32_e32 v13, v19
	s_delay_alu instid0(VALU_DEP_2) | instskip(NEXT) | instid1(VALU_DEP_1)
	v_add_f32_e32 v19, v18, v12
	v_ldexp_f32 v20, v19, v13
	s_delay_alu instid0(VALU_DEP_1) | instskip(SKIP_1) | instid1(VALU_DEP_1)
	v_rcp_f32_e32 v21, v20
	v_sub_f32_e32 v18, v19, v18
	v_sub_f32_e32 v12, v12, v18
	s_waitcnt_depctr 0xfff
	v_mul_f32_e32 v18, v20, v21
	v_ldexp_f32 v12, v12, v13
	s_delay_alu instid0(VALU_DEP_2) | instskip(NEXT) | instid1(VALU_DEP_1)
	v_fma_f32 v13, v21, v20, -v18
	v_fmac_f32_e32 v13, v21, v12
	s_delay_alu instid0(VALU_DEP_1) | instskip(NEXT) | instid1(VALU_DEP_1)
	v_add_f32_e32 v19, v18, v13
	v_sub_f32_e32 v22, 1.0, v19
	v_sub_f32_e32 v18, v19, v18
	s_delay_alu instid0(VALU_DEP_2) | instskip(NEXT) | instid1(VALU_DEP_1)
	v_sub_f32_e32 v23, 1.0, v22
	v_dual_sub_f32 v13, v18, v13 :: v_dual_sub_f32 v18, v23, v19
	s_delay_alu instid0(VALU_DEP_1) | instskip(NEXT) | instid1(VALU_DEP_1)
	v_add_f32_e32 v13, v13, v18
	v_add_f32_e32 v18, v22, v13
	s_delay_alu instid0(VALU_DEP_1) | instskip(NEXT) | instid1(VALU_DEP_1)
	v_mul_f32_e32 v19, v21, v18
	v_dual_sub_f32 v22, v22, v18 :: v_dual_mul_f32 v23, v20, v19
	s_delay_alu instid0(VALU_DEP_1) | instskip(NEXT) | instid1(VALU_DEP_2)
	v_add_f32_e32 v13, v13, v22
	v_fma_f32 v24, v19, v20, -v23
	s_delay_alu instid0(VALU_DEP_1) | instskip(NEXT) | instid1(VALU_DEP_1)
	v_fmac_f32_e32 v24, v19, v12
	v_add_f32_e32 v25, v23, v24
	s_delay_alu instid0(VALU_DEP_1) | instskip(SKIP_1) | instid1(VALU_DEP_2)
	v_sub_f32_e32 v26, v18, v25
	v_sub_f32_e32 v22, v25, v23
	;; [unrolled: 1-line block ×3, first 2 shown]
	s_delay_alu instid0(VALU_DEP_2) | instskip(NEXT) | instid1(VALU_DEP_2)
	v_sub_f32_e32 v22, v22, v24
	v_sub_f32_e32 v18, v18, v25
	s_delay_alu instid0(VALU_DEP_1) | instskip(NEXT) | instid1(VALU_DEP_1)
	v_add_f32_e32 v13, v13, v18
	v_dual_add_f32 v18, v21, v19 :: v_dual_add_f32 v13, v22, v13
	s_delay_alu instid0(VALU_DEP_1) | instskip(NEXT) | instid1(VALU_DEP_2)
	v_sub_f32_e32 v22, v18, v21
	v_add_f32_e32 v13, v26, v13
	s_delay_alu instid0(VALU_DEP_2) | instskip(NEXT) | instid1(VALU_DEP_2)
	v_sub_f32_e32 v19, v19, v22
	v_mul_f32_e32 v13, v21, v13
	s_delay_alu instid0(VALU_DEP_1) | instskip(NEXT) | instid1(VALU_DEP_1)
	v_add_f32_e32 v13, v19, v13
	v_add_f32_e32 v19, v18, v13
	s_delay_alu instid0(VALU_DEP_1) | instskip(SKIP_1) | instid1(VALU_DEP_1)
	v_ldexp_f32 v21, v19, -2
	v_sub_f32_e32 v18, v19, v18
	v_dual_sub_f32 v22, v20, v21 :: v_dual_sub_f32 v13, v13, v18
	s_delay_alu instid0(VALU_DEP_1) | instskip(NEXT) | instid1(VALU_DEP_2)
	v_sub_f32_e32 v19, v20, v22
	v_ldexp_f32 v13, v13, -2
	s_delay_alu instid0(VALU_DEP_2) | instskip(NEXT) | instid1(VALU_DEP_1)
	v_sub_f32_e32 v18, v19, v21
	v_add_f32_e32 v12, v12, v18
	s_delay_alu instid0(VALU_DEP_1) | instskip(NEXT) | instid1(VALU_DEP_1)
	v_dual_sub_f32 v12, v12, v13 :: v_dual_mul_f32 v13, v11, v11
	v_add_f32_e32 v12, v22, v12
	s_delay_alu instid0(VALU_DEP_2) | instskip(NEXT) | instid1(VALU_DEP_2)
	v_fmaak_f32 v18, s23, v13, 0xbf039337
	v_cndmask_b32_e32 v12, 0x7f800000, v12, vcc_lo
	s_delay_alu instid0(VALU_DEP_2) | instskip(NEXT) | instid1(VALU_DEP_2)
	v_fmaak_f32 v18, v13, v18, 0x3f93f425
	v_cndmask_b32_e64 v12, v12, |v3|, s2
	s_delay_alu instid0(VALU_DEP_2) | instskip(NEXT) | instid1(VALU_DEP_1)
	v_rcp_f32_e32 v18, v18
	v_bfi_b32 v3, 0x7fffffff, v12, v3
	v_fmaak_f32 v12, s22, v13, 0x3ec54587
	s_delay_alu instid0(VALU_DEP_2) | instskip(SKIP_4) | instid1(VALU_DEP_2)
	v_fma_f32 v19, v3, v3, 1.0
	s_waitcnt_depctr 0xfff
	v_mul_f32_e32 v12, v12, v18
	v_mul_f32_e32 v18, 0x4f800000, v19
	v_cmp_gt_f32_e32 vcc_lo, 0xf800000, v19
	v_dual_mul_f32 v12, v13, v12 :: v_dual_cndmask_b32 v13, v19, v18
	s_delay_alu instid0(VALU_DEP_1) | instskip(NEXT) | instid1(VALU_DEP_2)
	v_fma_f32 v18, v12, v11, v11
	v_sqrt_f32_e32 v19, v13
	s_delay_alu instid0(VALU_DEP_1) | instskip(SKIP_1) | instid1(VALU_DEP_1)
	v_rcp_f32_e32 v20, v18
	v_sub_f32_e32 v21, v18, v11
	v_fma_f32 v11, v12, v11, -v21
	s_waitcnt_depctr 0xfff
	v_add_nc_u32_e32 v22, -1, v19
	v_fma_f32 v12, v18, -v20, 1.0
	v_add_nc_u32_e32 v21, 1, v19
	s_delay_alu instid0(VALU_DEP_3) | instskip(NEXT) | instid1(VALU_DEP_3)
	v_fma_f32 v23, -v22, v19, v13
	v_fma_f32 v11, v11, -v20, v12
	s_delay_alu instid0(VALU_DEP_3) | instskip(NEXT) | instid1(VALU_DEP_3)
	v_fma_f32 v12, -v21, v19, v13
	v_cmp_ge_f32_e64 s2, 0, v23
	s_delay_alu instid0(VALU_DEP_3) | instskip(NEXT) | instid1(VALU_DEP_2)
	v_fma_f32 v11, v11, -v20, -v20
	v_cndmask_b32_e64 v19, v19, v22, s2
	s_delay_alu instid0(VALU_DEP_4) | instskip(NEXT) | instid1(VALU_DEP_1)
	v_cmp_lt_f32_e64 s2, 0, v12
	v_cndmask_b32_e64 v12, v19, v21, s2
	v_cmp_eq_u32_e64 s2, 0, v2
	s_delay_alu instid0(VALU_DEP_1) | instskip(NEXT) | instid1(VALU_DEP_3)
	v_cndmask_b32_e64 v2, v11, v18, s2
	v_mul_f32_e32 v11, 0x37800000, v12
	s_delay_alu instid0(VALU_DEP_2) | instskip(NEXT) | instid1(VALU_DEP_2)
	v_xor3_b32 v1, v1, v2, v4
	v_cndmask_b32_e32 v2, v12, v11, vcc_lo
	v_cmp_class_f32_e64 vcc_lo, v13, 0x260
	s_delay_alu instid0(VALU_DEP_3) | instskip(NEXT) | instid1(VALU_DEP_1)
	v_fma_f32 v4, v1, v1, 1.0
	v_dual_cndmask_b32 v2, v2, v13 :: v_dual_mul_f32 v11, v3, v4
	s_delay_alu instid0(VALU_DEP_1) | instskip(NEXT) | instid1(VALU_DEP_2)
	v_mul_f32_e32 v2, v2, v4
	v_fma_f32 v4, v3, v11, 1.0
	s_delay_alu instid0(VALU_DEP_2) | instskip(NEXT) | instid1(VALU_DEP_2)
	v_mul_f32_e32 v2, v3, v2
	v_div_scale_f32 v11, null, v4, v4, v1
	s_delay_alu instid0(VALU_DEP_2) | instskip(SKIP_1) | instid1(VALU_DEP_3)
	v_div_scale_f32 v3, null, v4, v4, v2
	v_div_scale_f32 v20, vcc_lo, v2, v4, v2
	v_rcp_f32_e32 v13, v11
	s_delay_alu instid0(VALU_DEP_2) | instskip(SKIP_3) | instid1(VALU_DEP_1)
	v_rcp_f32_e32 v12, v3
	s_waitcnt_depctr 0xfff
	v_fma_f32 v19, -v11, v13, 1.0
	v_fma_f32 v18, -v3, v12, 1.0
	v_dual_fmac_f32 v13, v19, v13 :: v_dual_fmac_f32 v12, v18, v12
	v_div_scale_f32 v18, s2, v1, v4, v1
	s_delay_alu instid0(VALU_DEP_2) | instskip(NEXT) | instid1(VALU_DEP_2)
	v_mul_f32_e32 v19, v20, v12
	v_mul_f32_e32 v21, v18, v13
	s_delay_alu instid0(VALU_DEP_2) | instskip(NEXT) | instid1(VALU_DEP_2)
	v_fma_f32 v22, -v3, v19, v20
	v_fma_f32 v23, -v11, v21, v18
	s_delay_alu instid0(VALU_DEP_2) | instskip(NEXT) | instid1(VALU_DEP_2)
	v_fmac_f32_e32 v19, v22, v12
	v_fmac_f32_e32 v21, v23, v13
	s_delay_alu instid0(VALU_DEP_2) | instskip(NEXT) | instid1(VALU_DEP_2)
	v_fma_f32 v3, -v3, v19, v20
	v_fma_f32 v11, -v11, v21, v18
	s_delay_alu instid0(VALU_DEP_2) | instskip(SKIP_1) | instid1(VALU_DEP_2)
	v_div_fmas_f32 v3, v3, v12, v19
	s_mov_b32 vcc_lo, s2
	v_div_fmas_f32 v12, v11, v13, v21
	s_delay_alu instid0(VALU_DEP_2) | instskip(NEXT) | instid1(VALU_DEP_2)
	v_div_fixup_f32 v11, v3, v4, v2
	v_div_fixup_f32 v12, v12, v4, v1
                                        ; implicit-def: $vgpr1_vgpr2_vgpr3_vgpr4
                                        ; implicit-def: $vgpr1
.LBB157_129:                            ;   in Loop: Header=BB157_7 Depth=1
	s_and_not1_saveexec_b32 s29, s29
	s_cbranch_execz .LBB157_139
; %bb.130:                              ;   in Loop: Header=BB157_7 Depth=1
	v_lshrrev_b32_e32 v2, 23, v1
	v_cmp_ngt_f32_e64 s30, 0x48000000, |v4|
	v_and_or_b32 v11, v1, s21, 0x800000
                                        ; implicit-def: $vgpr12
	s_delay_alu instid0(VALU_DEP_3) | instskip(NEXT) | instid1(VALU_DEP_3)
	v_add_nc_u32_e32 v18, 0xffffff88, v2
                                        ; implicit-def: $vgpr2
	s_and_saveexec_b32 s2, s30
	s_delay_alu instid0(SALU_CYCLE_1)
	s_xor_b32 s31, exec_lo, s2
	s_cbranch_execz .LBB157_132
; %bb.131:                              ;   in Loop: Header=BB157_7 Depth=1
	v_mad_u64_u32 v[12:13], null, 0xfe5163ab, v11, 0
	v_cmp_lt_u32_e32 vcc_lo, 63, v18
	v_cndmask_b32_e64 v2, 0, 0xffffffc0, vcc_lo
	s_delay_alu instid0(VALU_DEP_3) | instskip(NEXT) | instid1(VALU_DEP_1)
	v_mad_u64_u32 v[19:20], null, 0x3c439041, v11, v[13:14]
	v_dual_mov_b32 v13, v20 :: v_dual_add_nc_u32 v2, v2, v18
	s_delay_alu instid0(VALU_DEP_1) | instskip(NEXT) | instid1(VALU_DEP_2)
	v_cmp_lt_u32_e64 s2, 31, v2
	v_mad_u64_u32 v[20:21], null, 0xdb629599, v11, v[13:14]
	s_delay_alu instid0(VALU_DEP_2) | instskip(NEXT) | instid1(VALU_DEP_1)
	v_cndmask_b32_e64 v25, 0, 0xffffffe0, s2
	v_add_nc_u32_e32 v2, v25, v2
	s_delay_alu instid0(VALU_DEP_3) | instskip(NEXT) | instid1(VALU_DEP_2)
	v_dual_mov_b32 v13, v21 :: v_dual_cndmask_b32 v12, v20, v12
	v_cmp_lt_u32_e64 s3, 31, v2
	s_delay_alu instid0(VALU_DEP_2) | instskip(NEXT) | instid1(VALU_DEP_1)
	v_mad_u64_u32 v[21:22], null, 0xf534ddc0, v11, v[13:14]
	v_mov_b32_e32 v13, v22
	s_delay_alu instid0(VALU_DEP_1) | instskip(NEXT) | instid1(VALU_DEP_1)
	v_mad_u64_u32 v[22:23], null, 0xfc2757d1, v11, v[13:14]
	v_mov_b32_e32 v13, v23
	s_delay_alu instid0(VALU_DEP_1) | instskip(NEXT) | instid1(VALU_DEP_1)
	v_mad_u64_u32 v[23:24], null, 0x4e441529, v11, v[13:14]
	v_dual_mov_b32 v13, v24 :: v_dual_cndmask_b32 v26, v23, v21
	s_delay_alu instid0(VALU_DEP_1) | instskip(SKIP_1) | instid1(VALU_DEP_1)
	v_mad_u64_u32 v[24:25], null, 0xa2f9836e, v11, v[13:14]
	v_cndmask_b32_e64 v13, 0, 0xffffffe0, s3
	v_add_nc_u32_e32 v2, v13, v2
	s_delay_alu instid0(VALU_DEP_3) | instskip(SKIP_1) | instid1(VALU_DEP_3)
	v_dual_cndmask_b32 v24, v24, v22 :: v_dual_cndmask_b32 v23, v25, v23
	v_dual_cndmask_b32 v22, v22, v20 :: v_dual_cndmask_b32 v13, v21, v19
	v_cmp_eq_u32_e64 s4, 0, v2
	s_delay_alu instid0(VALU_DEP_3) | instskip(NEXT) | instid1(VALU_DEP_4)
	v_cndmask_b32_e64 v19, v24, v26, s2
	v_cndmask_b32_e64 v21, v23, v24, s2
	s_delay_alu instid0(VALU_DEP_4)
	v_cndmask_b32_e64 v23, v26, v22, s2
	v_sub_nc_u32_e32 v24, 32, v2
	v_cndmask_b32_e64 v22, v22, v13, s2
	v_cndmask_b32_e64 v12, v13, v12, s2
	;; [unrolled: 1-line block ×4, first 2 shown]
	s_delay_alu instid0(VALU_DEP_4) | instskip(NEXT) | instid1(VALU_DEP_4)
	v_cndmask_b32_e64 v23, v23, v22, s3
	v_cndmask_b32_e64 v12, v22, v12, s3
	s_delay_alu instid0(VALU_DEP_3) | instskip(NEXT) | instid1(VALU_DEP_3)
	v_alignbit_b32 v25, v21, v19, v24
	v_alignbit_b32 v26, v19, v23, v24
	s_delay_alu instid0(VALU_DEP_3) | instskip(NEXT) | instid1(VALU_DEP_3)
	v_alignbit_b32 v24, v23, v12, v24
	v_cndmask_b32_e64 v2, v25, v21, s4
	s_delay_alu instid0(VALU_DEP_3) | instskip(NEXT) | instid1(VALU_DEP_3)
	v_cndmask_b32_e64 v19, v26, v19, s4
	v_cndmask_b32_e64 v23, v24, v23, s4
	s_delay_alu instid0(VALU_DEP_3) | instskip(NEXT) | instid1(VALU_DEP_3)
	v_bfe_u32 v20, v2, 29, 1
	v_alignbit_b32 v13, v2, v19, 30
	s_delay_alu instid0(VALU_DEP_3) | instskip(SKIP_1) | instid1(VALU_DEP_4)
	v_alignbit_b32 v19, v19, v23, 30
	v_alignbit_b32 v12, v23, v12, 30
	v_sub_nc_u32_e32 v21, 0, v20
	s_delay_alu instid0(VALU_DEP_1) | instskip(SKIP_3) | instid1(VALU_DEP_4)
	v_xor_b32_e32 v22, v13, v21
	v_cmp_ne_u32_e32 vcc_lo, v13, v21
	v_xor_b32_e32 v19, v19, v21
	v_xor_b32_e32 v12, v12, v21
	v_clz_i32_u32_e32 v25, v22
	s_delay_alu instid0(VALU_DEP_1) | instskip(NEXT) | instid1(VALU_DEP_1)
	v_add_nc_u32_e32 v24, 1, v25
	v_cndmask_b32_e32 v13, 33, v24, vcc_lo
	s_delay_alu instid0(VALU_DEP_1) | instskip(NEXT) | instid1(VALU_DEP_1)
	v_sub_nc_u32_e32 v23, 32, v13
	v_alignbit_b32 v21, v22, v19, v23
	v_alignbit_b32 v12, v19, v12, v23
	v_lshrrev_b32_e32 v19, 29, v2
	s_delay_alu instid0(VALU_DEP_2) | instskip(NEXT) | instid1(VALU_DEP_2)
	v_alignbit_b32 v22, v21, v12, 9
	v_lshlrev_b32_e32 v19, 31, v19
	v_alignbit_b32 v21, v13, v21, 9
	s_delay_alu instid0(VALU_DEP_3) | instskip(NEXT) | instid1(VALU_DEP_2)
	v_clz_i32_u32_e32 v23, v22
	v_or_b32_e32 v21, v21, v19
	v_or_b32_e32 v19, 0x33800000, v19
	s_delay_alu instid0(VALU_DEP_3) | instskip(NEXT) | instid1(VALU_DEP_3)
	v_min_u32_e32 v23, 32, v23
	v_xor_b32_e32 v21, 1.0, v21
	s_delay_alu instid0(VALU_DEP_2) | instskip(SKIP_1) | instid1(VALU_DEP_3)
	v_sub_nc_u32_e32 v24, 31, v23
	v_add_lshl_u32 v13, v23, v13, 23
	v_mul_f32_e32 v23, 0x3fc90fda, v21
	s_delay_alu instid0(VALU_DEP_3) | instskip(NEXT) | instid1(VALU_DEP_3)
	v_alignbit_b32 v12, v22, v12, v24
	v_sub_nc_u32_e32 v13, v19, v13
	s_delay_alu instid0(VALU_DEP_3) | instskip(NEXT) | instid1(VALU_DEP_3)
	v_fma_f32 v19, 0x3fc90fda, v21, -v23
	v_lshrrev_b32_e32 v12, 9, v12
	s_delay_alu instid0(VALU_DEP_2) | instskip(NEXT) | instid1(VALU_DEP_2)
	v_fmac_f32_e32 v19, 0x33a22168, v21
	v_or_b32_e32 v12, v13, v12
	s_delay_alu instid0(VALU_DEP_1) | instskip(SKIP_1) | instid1(VALU_DEP_1)
	v_fmac_f32_e32 v19, 0x3fc90fda, v12
	v_lshrrev_b32_e32 v12, 30, v2
	v_add_nc_u32_e32 v12, v20, v12
	s_delay_alu instid0(VALU_DEP_3)
	v_add_f32_e32 v2, v23, v19
	s_and_not1_saveexec_b32 s2, s31
	s_branch .LBB157_133
.LBB157_132:                            ;   in Loop: Header=BB157_7 Depth=1
	s_and_not1_saveexec_b32 s2, s31
.LBB157_133:                            ;   in Loop: Header=BB157_7 Depth=1
	v_mul_f32_e64 v2, 0x3f22f983, |v4|
	s_delay_alu instid0(VALU_DEP_1) | instskip(NEXT) | instid1(VALU_DEP_1)
	v_rndne_f32_e32 v12, v2
	v_fma_f32 v2, 0xbfc90fda, v12, |v4|
	s_delay_alu instid0(VALU_DEP_1) | instskip(NEXT) | instid1(VALU_DEP_1)
	v_fmac_f32_e32 v2, 0xb3a22168, v12
	v_fmac_f32_e32 v2, 0xa7c234c4, v12
	v_cvt_i32_f32_e32 v12, v12
; %bb.134:                              ;   in Loop: Header=BB157_7 Depth=1
	s_or_b32 exec_lo, exec_lo, s2
                                        ; implicit-def: $vgpr19
                                        ; implicit-def: $vgpr13
	s_and_saveexec_b32 s2, s30
	s_delay_alu instid0(SALU_CYCLE_1)
	s_xor_b32 s30, exec_lo, s2
	s_cbranch_execz .LBB157_136
; %bb.135:                              ;   in Loop: Header=BB157_7 Depth=1
	v_mad_u64_u32 v[19:20], null, 0xfe5163ab, v11, 0
	v_cmp_lt_u32_e32 vcc_lo, 63, v18
	v_cndmask_b32_e64 v25, 0, 0xffffffc0, vcc_lo
	s_delay_alu instid0(VALU_DEP_1) | instskip(NEXT) | instid1(VALU_DEP_1)
	v_dual_mov_b32 v13, v20 :: v_dual_add_nc_u32 v18, v25, v18
	v_mad_u64_u32 v[20:21], null, 0x3c439041, v11, v[13:14]
	s_delay_alu instid0(VALU_DEP_2) | instskip(NEXT) | instid1(VALU_DEP_1)
	v_cmp_lt_u32_e64 s2, 31, v18
	v_cndmask_b32_e64 v26, 0, 0xffffffe0, s2
	s_delay_alu instid0(VALU_DEP_1) | instskip(NEXT) | instid1(VALU_DEP_1)
	v_dual_mov_b32 v13, v21 :: v_dual_add_nc_u32 v18, v26, v18
	v_mad_u64_u32 v[21:22], null, 0xdb629599, v11, v[13:14]
	s_delay_alu instid0(VALU_DEP_2) | instskip(NEXT) | instid1(VALU_DEP_2)
	v_cmp_lt_u32_e64 s3, 31, v18
	v_mov_b32_e32 v13, v22
	s_delay_alu instid0(VALU_DEP_3) | instskip(NEXT) | instid1(VALU_DEP_2)
	v_cndmask_b32_e32 v19, v21, v19, vcc_lo
	v_mad_u64_u32 v[22:23], null, 0xf534ddc0, v11, v[13:14]
	s_delay_alu instid0(VALU_DEP_1) | instskip(NEXT) | instid1(VALU_DEP_1)
	v_mov_b32_e32 v13, v23
	v_mad_u64_u32 v[23:24], null, 0xfc2757d1, v11, v[13:14]
	s_delay_alu instid0(VALU_DEP_1) | instskip(NEXT) | instid1(VALU_DEP_1)
	v_mov_b32_e32 v13, v24
	;; [unrolled: 3-line block ×3, first 2 shown]
	v_mad_u64_u32 v[25:26], null, 0xa2f9836e, v11, v[13:14]
	v_cndmask_b32_e64 v11, 0, 0xffffffe0, s3
	s_delay_alu instid0(VALU_DEP_4) | instskip(NEXT) | instid1(VALU_DEP_2)
	v_cndmask_b32_e32 v13, v24, v22, vcc_lo
	v_add_nc_u32_e32 v11, v11, v18
	s_delay_alu instid0(VALU_DEP_4) | instskip(SKIP_1) | instid1(VALU_DEP_3)
	v_dual_cndmask_b32 v25, v25, v23 :: v_dual_cndmask_b32 v24, v26, v24
	v_dual_cndmask_b32 v23, v23, v21 :: v_dual_cndmask_b32 v18, v22, v20
	v_cmp_eq_u32_e64 s4, 0, v11
	s_delay_alu instid0(VALU_DEP_3) | instskip(NEXT) | instid1(VALU_DEP_4)
	v_cndmask_b32_e64 v20, v25, v13, s2
	v_cndmask_b32_e64 v22, v24, v25, s2
	s_delay_alu instid0(VALU_DEP_4)
	v_cndmask_b32_e64 v13, v13, v23, s2
	v_sub_nc_u32_e32 v24, 32, v11
	v_cndmask_b32_e64 v23, v23, v18, s2
	v_cndmask_b32_e64 v18, v18, v19, s2
	;; [unrolled: 1-line block ×4, first 2 shown]
	s_delay_alu instid0(VALU_DEP_4) | instskip(NEXT) | instid1(VALU_DEP_4)
	v_cndmask_b32_e64 v13, v13, v23, s3
	v_cndmask_b32_e64 v18, v23, v18, s3
	s_delay_alu instid0(VALU_DEP_3) | instskip(NEXT) | instid1(VALU_DEP_3)
	v_alignbit_b32 v25, v22, v20, v24
	v_alignbit_b32 v26, v20, v13, v24
	s_delay_alu instid0(VALU_DEP_3) | instskip(NEXT) | instid1(VALU_DEP_3)
	v_alignbit_b32 v24, v13, v18, v24
	v_cndmask_b32_e64 v11, v25, v22, s4
	s_delay_alu instid0(VALU_DEP_3) | instskip(NEXT) | instid1(VALU_DEP_3)
	v_cndmask_b32_e64 v20, v26, v20, s4
	v_cndmask_b32_e64 v13, v24, v13, s4
	s_delay_alu instid0(VALU_DEP_3) | instskip(NEXT) | instid1(VALU_DEP_3)
	v_bfe_u32 v21, v11, 29, 1
	v_alignbit_b32 v19, v11, v20, 30
	s_delay_alu instid0(VALU_DEP_3) | instskip(SKIP_1) | instid1(VALU_DEP_4)
	v_alignbit_b32 v20, v20, v13, 30
	v_alignbit_b32 v13, v13, v18, 30
	v_sub_nc_u32_e32 v22, 0, v21
	s_delay_alu instid0(VALU_DEP_1) | instskip(SKIP_3) | instid1(VALU_DEP_4)
	v_xor_b32_e32 v23, v19, v22
	v_cmp_ne_u32_e32 vcc_lo, v19, v22
	v_xor_b32_e32 v18, v20, v22
	v_xor_b32_e32 v13, v13, v22
	v_clz_i32_u32_e32 v25, v23
	s_delay_alu instid0(VALU_DEP_1) | instskip(NEXT) | instid1(VALU_DEP_1)
	v_add_nc_u32_e32 v24, 1, v25
	v_cndmask_b32_e32 v19, 33, v24, vcc_lo
	s_delay_alu instid0(VALU_DEP_1) | instskip(NEXT) | instid1(VALU_DEP_1)
	v_sub_nc_u32_e32 v20, 32, v19
	v_alignbit_b32 v22, v23, v18, v20
	v_alignbit_b32 v13, v18, v13, v20
	v_lshrrev_b32_e32 v18, 29, v11
	v_lshrrev_b32_e32 v11, 30, v11
	s_delay_alu instid0(VALU_DEP_3) | instskip(NEXT) | instid1(VALU_DEP_3)
	v_alignbit_b32 v20, v22, v13, 9
	v_lshlrev_b32_e32 v18, 31, v18
	v_alignbit_b32 v22, v19, v22, 9
	s_delay_alu instid0(VALU_DEP_3) | instskip(NEXT) | instid1(VALU_DEP_2)
	v_clz_i32_u32_e32 v23, v20
	v_or_b32_e32 v22, v22, v18
	v_or_b32_e32 v18, 0x33800000, v18
	s_delay_alu instid0(VALU_DEP_3) | instskip(NEXT) | instid1(VALU_DEP_3)
	v_min_u32_e32 v23, 32, v23
	v_xor_b32_e32 v22, 1.0, v22
	s_delay_alu instid0(VALU_DEP_2) | instskip(SKIP_1) | instid1(VALU_DEP_3)
	v_sub_nc_u32_e32 v24, 31, v23
	v_add_lshl_u32 v19, v23, v19, 23
	v_mul_f32_e32 v23, 0x3fc90fda, v22
	s_delay_alu instid0(VALU_DEP_3) | instskip(NEXT) | instid1(VALU_DEP_3)
	v_alignbit_b32 v13, v20, v13, v24
	v_sub_nc_u32_e32 v18, v18, v19
	s_delay_alu instid0(VALU_DEP_3) | instskip(NEXT) | instid1(VALU_DEP_3)
	v_fma_f32 v19, 0x3fc90fda, v22, -v23
	v_lshrrev_b32_e32 v13, 9, v13
	s_delay_alu instid0(VALU_DEP_2) | instskip(NEXT) | instid1(VALU_DEP_2)
	v_fmac_f32_e32 v19, 0x33a22168, v22
	v_or_b32_e32 v13, v18, v13
	s_delay_alu instid0(VALU_DEP_1) | instskip(NEXT) | instid1(VALU_DEP_1)
	v_fmac_f32_e32 v19, 0x3fc90fda, v13
	v_add_f32_e32 v13, v23, v19
	v_add_nc_u32_e32 v19, v21, v11
	s_and_not1_saveexec_b32 s2, s30
	s_cbranch_execnz .LBB157_137
	s_branch .LBB157_138
.LBB157_136:                            ;   in Loop: Header=BB157_7 Depth=1
	s_and_not1_saveexec_b32 s2, s30
.LBB157_137:                            ;   in Loop: Header=BB157_7 Depth=1
	v_mul_f32_e64 v11, 0x3f22f983, |v4|
	s_delay_alu instid0(VALU_DEP_1) | instskip(NEXT) | instid1(VALU_DEP_1)
	v_rndne_f32_e32 v11, v11
	v_fma_f32 v13, 0xbfc90fda, v11, |v4|
	v_cvt_i32_f32_e32 v19, v11
	s_delay_alu instid0(VALU_DEP_2) | instskip(NEXT) | instid1(VALU_DEP_1)
	v_fmac_f32_e32 v13, 0xb3a22168, v11
	v_fmac_f32_e32 v13, 0xa7c234c4, v11
.LBB157_138:                            ;   in Loop: Header=BB157_7 Depth=1
	s_or_b32 exec_lo, exec_lo, s2
	v_dual_mul_f32 v11, v2, v2 :: v_dual_and_b32 v18, 1, v12
	v_mul_f32_e64 v20, 0xbfb8aa3b, |v3|
	s_delay_alu instid0(VALU_DEP_3) | instskip(NEXT) | instid1(VALU_DEP_3)
	v_dual_mul_f32 v23, v13, v13 :: v_dual_lshlrev_b32 v12, 30, v12
	v_fmaak_f32 v21, s25, v11, 0x3c0881c4
	v_fmaak_f32 v22, s26, v11, 0xbab64f3b
	s_delay_alu instid0(VALU_DEP_4)
	v_rndne_f32_e32 v24, v20
	v_fma_f32 v25, 0xbfb8aa3b, |v3|, -v20
	v_cmp_eq_u32_e32 vcc_lo, 0, v18
	v_fmaak_f32 v21, v11, v21, 0xbe2aaa9d
	v_fmaak_f32 v22, v11, v22, 0x3d2aabf7
	v_sub_f32_e32 v20, v20, v24
	v_fmaak_f32 v26, s25, v23, 0x3c0881c4
	v_fma_f32 v25, 0xb2a5705f, |v3|, v25
	v_dual_mul_f32 v21, v11, v21 :: v_dual_and_b32 v18, 1, v19
	v_dual_fmaak_f32 v22, v11, v22, 0xbf000004 :: v_dual_lshlrev_b32 v19, 30, v19
	s_delay_alu instid0(VALU_DEP_3) | instskip(NEXT) | instid1(VALU_DEP_3)
	v_dual_fmaak_f32 v27, s26, v23, 0xbab64f3b :: v_dual_add_f32 v20, v20, v25
	v_fmac_f32_e32 v2, v2, v21
	v_and_b32_e32 v12, 0x80000000, v12
	s_delay_alu instid0(VALU_DEP_4) | instskip(NEXT) | instid1(VALU_DEP_4)
	v_fma_f32 v11, v11, v22, 1.0
	v_fmaak_f32 v21, v23, v27, 0x3d2aabf7
	v_exp_f32_e32 v20, v20
	s_delay_alu instid0(VALU_DEP_3) | instskip(NEXT) | instid1(VALU_DEP_3)
	v_xor_b32_e32 v1, v1, v12
	v_cndmask_b32_e32 v2, v11, v2, vcc_lo
	v_cvt_i32_f32_e32 v12, v24
	v_cmp_eq_u32_e32 vcc_lo, 0, v18
	s_delay_alu instid0(VALU_DEP_3) | instskip(SKIP_4) | instid1(VALU_DEP_2)
	v_xor3_b32 v1, v1, v2, v4
	s_waitcnt_depctr 0xfff
	v_ldexp_f32 v2, v20, v12
	v_fmaak_f32 v11, v23, v21, 0xbf000004
	v_dual_mul_f32 v1, 4.0, v1 :: v_dual_fmaak_f32 v26, v23, v26, 0xbe2aaa9d
	v_fma_f32 v11, v23, v11, 1.0
	s_delay_alu instid0(VALU_DEP_2) | instskip(NEXT) | instid1(VALU_DEP_1)
	v_mul_f32_e32 v22, v23, v26
	v_fmac_f32_e32 v13, v13, v22
	s_delay_alu instid0(VALU_DEP_1) | instskip(SKIP_2) | instid1(VALU_DEP_2)
	v_cndmask_b32_e64 v4, -v13, v11, vcc_lo
	v_and_b32_e32 v11, 0x80000000, v19
	v_cmp_nlt_f32_e64 vcc_lo, 0x42ce8ed0, |v3|
	v_xor_b32_e32 v4, v11, v4
	v_cndmask_b32_e32 v2, 0, v2, vcc_lo
	v_cmp_ngt_f32_e64 vcc_lo, 0xc2b17218, |v3|
	v_bfi_b32 v11, 0x7fffffff, 1.0, v3
	s_delay_alu instid0(VALU_DEP_3) | instskip(NEXT) | instid1(VALU_DEP_1)
	v_dual_mul_f32 v1, v1, v4 :: v_dual_cndmask_b32 v2, 0x7f800000, v2
	v_mul_f32_e32 v1, v2, v1
	s_delay_alu instid0(VALU_DEP_1)
	v_mul_f32_e32 v12, v2, v1
.LBB157_139:                            ;   in Loop: Header=BB157_7 Depth=1
	s_or_b32 exec_lo, exec_lo, s29
                                        ; implicit-def: $vgpr1_vgpr2_vgpr3_vgpr4
.LBB157_140:                            ;   in Loop: Header=BB157_7 Depth=1
	s_and_not1_saveexec_b32 s2, s28
; %bb.141:                              ;   in Loop: Header=BB157_7 Depth=1
	v_sub_f32_e32 v12, v4, v4
	s_delay_alu instid0(VALU_DEP_1)
	v_mov_b32_e32 v11, v12
; %bb.142:                              ;   in Loop: Header=BB157_7 Depth=1
	s_or_b32 exec_lo, exec_lo, s2
                                        ; implicit-def: $vgpr3
.LBB157_143:                            ;   in Loop: Header=BB157_7 Depth=1
	s_and_not1_saveexec_b32 s27, s27
	s_cbranch_execz .LBB157_6
; %bb.144:                              ;   in Loop: Header=BB157_7 Depth=1
	v_and_b32_e32 v1, 0x7fffff, v3
	s_mov_b32 s2, exec_lo
	s_delay_alu instid0(VALU_DEP_1)
	v_cmpx_ne_u32_e32 0, v1
	s_xor_b32 s2, exec_lo, s2
; %bb.145:                              ;   in Loop: Header=BB157_7 Depth=1
	v_mul_f32_e32 v1, v3, v4
	v_cmp_eq_f32_e32 vcc_lo, 0, v4
	s_delay_alu instid0(VALU_DEP_2)
	v_cndmask_b32_e32 v12, v1, v4, vcc_lo
; %bb.146:                              ;   in Loop: Header=BB157_7 Depth=1
	s_and_not1_saveexec_b32 s28, s2
	s_cbranch_execz .LBB157_5
; %bb.147:                              ;   in Loop: Header=BB157_7 Depth=1
	s_mov_b32 s29, exec_lo
	v_cmpx_neq_f32_e64 0x7f800000, |v4|
	s_cbranch_execz .LBB157_4
; %bb.148:                              ;   in Loop: Header=BB157_7 Depth=1
	v_and_b32_e32 v1, 0x7fffffff, v4
	v_cmp_ngt_f32_e64 s30, 0x48000000, |v4|
                                        ; implicit-def: $vgpr11
	s_delay_alu instid0(VALU_DEP_2) | instskip(SKIP_1) | instid1(VALU_DEP_2)
	v_lshrrev_b32_e32 v2, 23, v1
	v_and_or_b32 v12, v1, s21, 0x800000
	v_add_nc_u32_e32 v18, 0xffffff88, v2
                                        ; implicit-def: $vgpr2
	s_delay_alu instid0(VALU_DEP_4) | instskip(NEXT) | instid1(SALU_CYCLE_1)
	s_and_saveexec_b32 s2, s30
	s_xor_b32 s31, exec_lo, s2
	s_cbranch_execz .LBB157_150
; %bb.149:                              ;   in Loop: Header=BB157_7 Depth=1
	s_delay_alu instid0(VALU_DEP_1) | instskip(SKIP_2) | instid1(VALU_DEP_1)
	v_cmp_lt_u32_e32 vcc_lo, 63, v18
	v_mad_u64_u32 v[19:20], null, 0xfe5163ab, v12, 0
	v_cndmask_b32_e64 v2, 0, 0xffffffc0, vcc_lo
	v_dual_mov_b32 v13, v20 :: v_dual_add_nc_u32 v2, v2, v18
	s_delay_alu instid0(VALU_DEP_1) | instskip(NEXT) | instid1(VALU_DEP_2)
	v_mad_u64_u32 v[20:21], null, 0x3c439041, v12, v[13:14]
	v_cmp_lt_u32_e64 s2, 31, v2
	s_delay_alu instid0(VALU_DEP_1) | instskip(NEXT) | instid1(VALU_DEP_1)
	v_cndmask_b32_e64 v11, 0, 0xffffffe0, s2
	v_dual_mov_b32 v13, v21 :: v_dual_add_nc_u32 v2, v11, v2
	s_delay_alu instid0(VALU_DEP_1) | instskip(NEXT) | instid1(VALU_DEP_2)
	v_mad_u64_u32 v[21:22], null, 0xdb629599, v12, v[13:14]
	v_cmp_lt_u32_e64 s3, 31, v2
	s_delay_alu instid0(VALU_DEP_2) | instskip(NEXT) | instid1(VALU_DEP_2)
	v_cndmask_b32_e32 v19, v21, v19, vcc_lo
	v_cndmask_b32_e64 v11, 0, 0xffffffe0, s3
	s_delay_alu instid0(VALU_DEP_1) | instskip(NEXT) | instid1(VALU_DEP_1)
	v_dual_mov_b32 v13, v22 :: v_dual_add_nc_u32 v2, v11, v2
	v_mad_u64_u32 v[22:23], null, 0xf534ddc0, v12, v[13:14]
	s_delay_alu instid0(VALU_DEP_2) | instskip(NEXT) | instid1(VALU_DEP_2)
	v_cmp_eq_u32_e64 s4, 0, v2
	v_mov_b32_e32 v13, v23
	s_delay_alu instid0(VALU_DEP_3) | instskip(NEXT) | instid1(VALU_DEP_2)
	v_cndmask_b32_e32 v11, v22, v20, vcc_lo
	v_mad_u64_u32 v[23:24], null, 0xfc2757d1, v12, v[13:14]
	s_delay_alu instid0(VALU_DEP_1) | instskip(NEXT) | instid1(VALU_DEP_1)
	v_mov_b32_e32 v13, v24
	v_mad_u64_u32 v[24:25], null, 0x4e441529, v12, v[13:14]
	s_delay_alu instid0(VALU_DEP_1) | instskip(NEXT) | instid1(VALU_DEP_1)
	v_mov_b32_e32 v13, v25
	v_mad_u64_u32 v[25:26], null, 0xa2f9836e, v12, v[13:14]
	s_delay_alu instid0(VALU_DEP_3) | instskip(NEXT) | instid1(VALU_DEP_2)
	v_cndmask_b32_e32 v13, v24, v22, vcc_lo
	v_dual_cndmask_b32 v25, v25, v23 :: v_dual_cndmask_b32 v24, v26, v24
	v_cndmask_b32_e32 v23, v23, v21, vcc_lo
	s_delay_alu instid0(VALU_DEP_2) | instskip(NEXT) | instid1(VALU_DEP_3)
	v_cndmask_b32_e64 v20, v25, v13, s2
	v_cndmask_b32_e64 v22, v24, v25, s2
	s_delay_alu instid0(VALU_DEP_3)
	v_cndmask_b32_e64 v13, v13, v23, s2
	v_sub_nc_u32_e32 v24, 32, v2
	v_cndmask_b32_e64 v23, v23, v11, s2
	v_cndmask_b32_e64 v11, v11, v19, s2
	;; [unrolled: 1-line block ×4, first 2 shown]
	s_delay_alu instid0(VALU_DEP_4) | instskip(NEXT) | instid1(VALU_DEP_4)
	v_cndmask_b32_e64 v13, v13, v23, s3
	v_cndmask_b32_e64 v11, v23, v11, s3
	s_delay_alu instid0(VALU_DEP_3) | instskip(NEXT) | instid1(VALU_DEP_3)
	v_alignbit_b32 v25, v22, v20, v24
	v_alignbit_b32 v26, v20, v13, v24
	s_delay_alu instid0(VALU_DEP_3) | instskip(NEXT) | instid1(VALU_DEP_3)
	v_alignbit_b32 v24, v13, v11, v24
	v_cndmask_b32_e64 v2, v25, v22, s4
	s_delay_alu instid0(VALU_DEP_3) | instskip(NEXT) | instid1(VALU_DEP_3)
	v_cndmask_b32_e64 v20, v26, v20, s4
	v_cndmask_b32_e64 v13, v24, v13, s4
	s_delay_alu instid0(VALU_DEP_3) | instskip(NEXT) | instid1(VALU_DEP_3)
	v_bfe_u32 v21, v2, 29, 1
	v_alignbit_b32 v19, v2, v20, 30
	s_delay_alu instid0(VALU_DEP_3) | instskip(SKIP_1) | instid1(VALU_DEP_4)
	v_alignbit_b32 v20, v20, v13, 30
	v_alignbit_b32 v11, v13, v11, 30
	v_sub_nc_u32_e32 v22, 0, v21
	s_delay_alu instid0(VALU_DEP_1) | instskip(SKIP_3) | instid1(VALU_DEP_4)
	v_xor_b32_e32 v23, v19, v22
	v_cmp_ne_u32_e32 vcc_lo, v19, v22
	v_xor_b32_e32 v13, v20, v22
	v_xor_b32_e32 v11, v11, v22
	v_clz_i32_u32_e32 v25, v23
	s_delay_alu instid0(VALU_DEP_1) | instskip(NEXT) | instid1(VALU_DEP_1)
	v_add_nc_u32_e32 v24, 1, v25
	v_cndmask_b32_e32 v19, 33, v24, vcc_lo
	s_delay_alu instid0(VALU_DEP_1) | instskip(NEXT) | instid1(VALU_DEP_1)
	v_sub_nc_u32_e32 v20, 32, v19
	v_alignbit_b32 v22, v23, v13, v20
	v_alignbit_b32 v11, v13, v11, v20
	v_lshrrev_b32_e32 v13, 29, v2
	s_delay_alu instid0(VALU_DEP_2) | instskip(NEXT) | instid1(VALU_DEP_2)
	v_alignbit_b32 v20, v22, v11, 9
	v_lshlrev_b32_e32 v13, 31, v13
	v_alignbit_b32 v22, v19, v22, 9
	s_delay_alu instid0(VALU_DEP_3) | instskip(NEXT) | instid1(VALU_DEP_2)
	v_clz_i32_u32_e32 v23, v20
	v_or_b32_e32 v22, v22, v13
	v_or_b32_e32 v13, 0x33800000, v13
	s_delay_alu instid0(VALU_DEP_3) | instskip(NEXT) | instid1(VALU_DEP_3)
	v_min_u32_e32 v23, 32, v23
	v_xor_b32_e32 v22, 1.0, v22
	s_delay_alu instid0(VALU_DEP_2) | instskip(SKIP_1) | instid1(VALU_DEP_3)
	v_sub_nc_u32_e32 v24, 31, v23
	v_add_lshl_u32 v19, v23, v19, 23
	v_mul_f32_e32 v23, 0x3fc90fda, v22
	s_delay_alu instid0(VALU_DEP_3) | instskip(NEXT) | instid1(VALU_DEP_3)
	v_alignbit_b32 v11, v20, v11, v24
	v_sub_nc_u32_e32 v13, v13, v19
	s_delay_alu instid0(VALU_DEP_3) | instskip(NEXT) | instid1(VALU_DEP_3)
	v_fma_f32 v19, 0x3fc90fda, v22, -v23
	v_lshrrev_b32_e32 v11, 9, v11
	s_delay_alu instid0(VALU_DEP_2) | instskip(NEXT) | instid1(VALU_DEP_2)
	v_fmac_f32_e32 v19, 0x33a22168, v22
	v_or_b32_e32 v11, v13, v11
	s_delay_alu instid0(VALU_DEP_1) | instskip(SKIP_1) | instid1(VALU_DEP_2)
	v_fmac_f32_e32 v19, 0x3fc90fda, v11
	v_lshrrev_b32_e32 v11, 30, v2
	v_add_f32_e32 v2, v23, v19
	s_delay_alu instid0(VALU_DEP_2)
	v_add_nc_u32_e32 v11, v21, v11
.LBB157_150:                            ;   in Loop: Header=BB157_7 Depth=1
	s_or_saveexec_b32 s2, s31
	v_mul_f32_e64 v13, 0x3f22f983, |v4|
	s_delay_alu instid0(VALU_DEP_1)
	v_rndne_f32_e32 v20, v13
	s_xor_b32 exec_lo, exec_lo, s2
; %bb.151:                              ;   in Loop: Header=BB157_7 Depth=1
	s_delay_alu instid0(VALU_DEP_1) | instskip(SKIP_1) | instid1(VALU_DEP_2)
	v_fma_f32 v2, 0xbfc90fda, v20, |v4|
	v_cvt_i32_f32_e32 v11, v20
	v_fmac_f32_e32 v2, 0xb3a22168, v20
	s_delay_alu instid0(VALU_DEP_1)
	v_fmac_f32_e32 v2, 0xa7c234c4, v20
; %bb.152:                              ;   in Loop: Header=BB157_7 Depth=1
	s_or_b32 exec_lo, exec_lo, s2
                                        ; implicit-def: $vgpr19
                                        ; implicit-def: $vgpr13
	s_and_saveexec_b32 s2, s30
	s_delay_alu instid0(SALU_CYCLE_1)
	s_xor_b32 s30, exec_lo, s2
	s_cbranch_execz .LBB157_154
; %bb.153:                              ;   in Loop: Header=BB157_7 Depth=1
	v_mad_u64_u32 v[19:20], null, 0xfe5163ab, v12, 0
	v_cmp_lt_u32_e32 vcc_lo, 63, v18
	v_cndmask_b32_e64 v25, 0, 0xffffffc0, vcc_lo
	s_delay_alu instid0(VALU_DEP_1) | instskip(NEXT) | instid1(VALU_DEP_1)
	v_dual_mov_b32 v13, v20 :: v_dual_add_nc_u32 v18, v25, v18
	v_mad_u64_u32 v[20:21], null, 0x3c439041, v12, v[13:14]
	s_delay_alu instid0(VALU_DEP_2) | instskip(NEXT) | instid1(VALU_DEP_1)
	v_cmp_lt_u32_e64 s2, 31, v18
	v_cndmask_b32_e64 v26, 0, 0xffffffe0, s2
	s_delay_alu instid0(VALU_DEP_1) | instskip(NEXT) | instid1(VALU_DEP_1)
	v_dual_mov_b32 v13, v21 :: v_dual_add_nc_u32 v18, v26, v18
	v_mad_u64_u32 v[21:22], null, 0xdb629599, v12, v[13:14]
	s_delay_alu instid0(VALU_DEP_2) | instskip(NEXT) | instid1(VALU_DEP_2)
	v_cmp_lt_u32_e64 s3, 31, v18
	v_mov_b32_e32 v13, v22
	s_delay_alu instid0(VALU_DEP_3) | instskip(NEXT) | instid1(VALU_DEP_2)
	v_cndmask_b32_e32 v19, v21, v19, vcc_lo
	v_mad_u64_u32 v[22:23], null, 0xf534ddc0, v12, v[13:14]
	s_delay_alu instid0(VALU_DEP_1) | instskip(NEXT) | instid1(VALU_DEP_1)
	v_mov_b32_e32 v13, v23
	v_mad_u64_u32 v[23:24], null, 0xfc2757d1, v12, v[13:14]
	s_delay_alu instid0(VALU_DEP_1) | instskip(NEXT) | instid1(VALU_DEP_1)
	v_mov_b32_e32 v13, v24
	;; [unrolled: 3-line block ×3, first 2 shown]
	v_mad_u64_u32 v[25:26], null, 0xa2f9836e, v12, v[13:14]
	v_cndmask_b32_e64 v12, 0, 0xffffffe0, s3
	s_delay_alu instid0(VALU_DEP_4) | instskip(NEXT) | instid1(VALU_DEP_2)
	v_cndmask_b32_e32 v13, v24, v22, vcc_lo
	v_dual_cndmask_b32 v25, v25, v23 :: v_dual_add_nc_u32 v12, v12, v18
	s_delay_alu instid0(VALU_DEP_4) | instskip(SKIP_1) | instid1(VALU_DEP_3)
	v_dual_cndmask_b32 v24, v26, v24 :: v_dual_cndmask_b32 v23, v23, v21
	v_cndmask_b32_e32 v18, v22, v20, vcc_lo
	v_cmp_eq_u32_e64 s4, 0, v12
	s_delay_alu instid0(VALU_DEP_4) | instskip(NEXT) | instid1(VALU_DEP_4)
	v_cndmask_b32_e64 v20, v25, v13, s2
	v_cndmask_b32_e64 v22, v24, v25, s2
	;; [unrolled: 1-line block ×3, first 2 shown]
	v_sub_nc_u32_e32 v24, 32, v12
	v_cndmask_b32_e64 v23, v23, v18, s2
	v_cndmask_b32_e64 v18, v18, v19, s2
	;; [unrolled: 1-line block ×4, first 2 shown]
	s_delay_alu instid0(VALU_DEP_4) | instskip(NEXT) | instid1(VALU_DEP_4)
	v_cndmask_b32_e64 v13, v13, v23, s3
	v_cndmask_b32_e64 v18, v23, v18, s3
	s_delay_alu instid0(VALU_DEP_3) | instskip(NEXT) | instid1(VALU_DEP_3)
	v_alignbit_b32 v25, v22, v20, v24
	v_alignbit_b32 v26, v20, v13, v24
	s_delay_alu instid0(VALU_DEP_3) | instskip(NEXT) | instid1(VALU_DEP_3)
	v_alignbit_b32 v24, v13, v18, v24
	v_cndmask_b32_e64 v12, v25, v22, s4
	s_delay_alu instid0(VALU_DEP_3) | instskip(NEXT) | instid1(VALU_DEP_3)
	v_cndmask_b32_e64 v20, v26, v20, s4
	v_cndmask_b32_e64 v13, v24, v13, s4
	s_delay_alu instid0(VALU_DEP_3) | instskip(NEXT) | instid1(VALU_DEP_3)
	v_bfe_u32 v21, v12, 29, 1
	v_alignbit_b32 v19, v12, v20, 30
	s_delay_alu instid0(VALU_DEP_3) | instskip(SKIP_1) | instid1(VALU_DEP_4)
	v_alignbit_b32 v20, v20, v13, 30
	v_alignbit_b32 v13, v13, v18, 30
	v_sub_nc_u32_e32 v22, 0, v21
	s_delay_alu instid0(VALU_DEP_1) | instskip(SKIP_3) | instid1(VALU_DEP_4)
	v_xor_b32_e32 v23, v19, v22
	v_cmp_ne_u32_e32 vcc_lo, v19, v22
	v_xor_b32_e32 v18, v20, v22
	v_xor_b32_e32 v13, v13, v22
	v_clz_i32_u32_e32 v25, v23
	s_delay_alu instid0(VALU_DEP_1) | instskip(NEXT) | instid1(VALU_DEP_1)
	v_add_nc_u32_e32 v24, 1, v25
	v_cndmask_b32_e32 v19, 33, v24, vcc_lo
	s_delay_alu instid0(VALU_DEP_1) | instskip(NEXT) | instid1(VALU_DEP_1)
	v_sub_nc_u32_e32 v20, 32, v19
	v_alignbit_b32 v22, v23, v18, v20
	v_alignbit_b32 v13, v18, v13, v20
	v_lshrrev_b32_e32 v18, 29, v12
	v_lshrrev_b32_e32 v12, 30, v12
	s_delay_alu instid0(VALU_DEP_3) | instskip(NEXT) | instid1(VALU_DEP_3)
	v_alignbit_b32 v20, v22, v13, 9
	v_lshlrev_b32_e32 v18, 31, v18
	v_alignbit_b32 v22, v19, v22, 9
	s_delay_alu instid0(VALU_DEP_3) | instskip(NEXT) | instid1(VALU_DEP_2)
	v_clz_i32_u32_e32 v23, v20
	v_or_b32_e32 v22, v22, v18
	v_or_b32_e32 v18, 0x33800000, v18
	s_delay_alu instid0(VALU_DEP_3) | instskip(NEXT) | instid1(VALU_DEP_3)
	v_min_u32_e32 v23, 32, v23
	v_xor_b32_e32 v22, 1.0, v22
	s_delay_alu instid0(VALU_DEP_2) | instskip(SKIP_1) | instid1(VALU_DEP_3)
	v_sub_nc_u32_e32 v24, 31, v23
	v_add_lshl_u32 v19, v23, v19, 23
	v_mul_f32_e32 v23, 0x3fc90fda, v22
	s_delay_alu instid0(VALU_DEP_3) | instskip(NEXT) | instid1(VALU_DEP_3)
	v_alignbit_b32 v13, v20, v13, v24
	v_sub_nc_u32_e32 v18, v18, v19
	s_delay_alu instid0(VALU_DEP_3) | instskip(NEXT) | instid1(VALU_DEP_3)
	v_fma_f32 v19, 0x3fc90fda, v22, -v23
                                        ; implicit-def: $vgpr20
	v_lshrrev_b32_e32 v13, 9, v13
	s_delay_alu instid0(VALU_DEP_2) | instskip(NEXT) | instid1(VALU_DEP_2)
	v_fmac_f32_e32 v19, 0x33a22168, v22
	v_or_b32_e32 v13, v18, v13
	s_delay_alu instid0(VALU_DEP_1) | instskip(NEXT) | instid1(VALU_DEP_1)
	v_fmac_f32_e32 v19, 0x3fc90fda, v13
	v_add_f32_e32 v13, v23, v19
	v_add_nc_u32_e32 v19, v21, v12
	s_and_not1_saveexec_b32 s2, s30
	s_cbranch_execz .LBB157_3
	s_branch .LBB157_155
.LBB157_154:                            ;   in Loop: Header=BB157_7 Depth=1
	s_and_not1_saveexec_b32 s2, s30
	s_cbranch_execz .LBB157_3
.LBB157_155:                            ;   in Loop: Header=BB157_7 Depth=1
	v_fma_f32 v13, 0xbfc90fda, v20, |v4|
	v_cvt_i32_f32_e32 v19, v20
	s_delay_alu instid0(VALU_DEP_2) | instskip(NEXT) | instid1(VALU_DEP_1)
	v_fmac_f32_e32 v13, 0xb3a22168, v20
	v_fmac_f32_e32 v13, 0xa7c234c4, v20
	s_branch .LBB157_3
.LBB157_156:
	s_or_b32 exec_lo, exec_lo, s15
	s_mov_b32 s2, 0
.LBB157_157:
	s_delay_alu instid0(SALU_CYCLE_1)
	s_and_not1_b32 vcc_lo, exec_lo, s2
	s_cbranch_vccnz .LBB157_329
; %bb.158:
	v_cmp_lt_i64_e64 s2, s[10:11], 1
	s_delay_alu instid0(VALU_DEP_1)
	s_and_b32 vcc_lo, exec_lo, s2
	s_cbranch_vccnz .LBB157_329
; %bb.159:
	s_load_b32 s0, s[0:1], 0xc5c
	v_mov_b32_e32 v1, 0
	v_lshl_or_b32 v2, v0, 3, 4
	v_cmp_gt_u64_e64 s1, 0x10000, s[10:11]
	s_mov_b32 s13, 0
	s_mov_b32 s22, 0xbc8cedd3
	v_mov_b32_e32 v3, v1
	v_add_co_u32 v12, s2, s6, v2
	s_delay_alu instid0(VALU_DEP_1) | instskip(SKIP_1) | instid1(VALU_DEP_1)
	v_add_co_ci_u32_e64 v13, null, s7, 0, s2
	v_add_co_u32 v14, s2, s16, v2
	v_add_co_ci_u32_e64 v15, null, s17, 0, s2
	s_mov_b32 s23, 0x3c971480
	s_mov_b32 s24, 0x3ab42872
	;; [unrolled: 1-line block ×4, first 2 shown]
	s_waitcnt lgkmcnt(0)
	s_and_b32 s18, s0, 0xffff
	s_and_b32 s0, s1, exec_lo
	v_add_lshl_u32 v6, v0, s18, 3
	v_mad_u64_u32 v[4:5], null, s18, 24, v[2:3]
	s_cselect_b32 s15, s11, 0
	s_cselect_b32 s14, s10, 0x10000
	s_delay_alu instid0(VALU_DEP_2) | instskip(NEXT) | instid1(VALU_DEP_1)
	v_add_co_u32 v16, s0, s16, v6
	v_add_co_ci_u32_e64 v17, null, s17, 0, s0
	v_add_co_u32 v20, s0, s6, v6
	s_delay_alu instid0(VALU_DEP_1)
	v_add_co_ci_u32_e64 v21, null, s7, 0, s0
	s_lshl_b32 s0, s18, 4
	v_add_co_u32 v18, vcc_lo, s6, v4
	v_add_co_u32 v2, s0, v2, s0
	v_add_co_ci_u32_e32 v19, vcc_lo, s7, v5, vcc_lo
	v_add_co_ci_u32_e64 v3, null, 0, 0, s0
	v_add_co_u32 v22, vcc_lo, s16, v4
	v_add_co_ci_u32_e32 v23, vcc_lo, s17, v5, vcc_lo
	v_add_co_u32 v24, vcc_lo, s6, v2
	s_delay_alu instid0(VALU_DEP_4)
	v_add_co_ci_u32_e32 v25, vcc_lo, s7, v3, vcc_lo
	v_add_co_u32 v26, vcc_lo, s16, v2
	v_add_co_ci_u32_e32 v27, vcc_lo, s17, v3, vcc_lo
	v_dual_mov_b32 v3, v1 :: v_dual_mov_b32 v2, v0
	s_lshl_b32 s12, s18, 2
	s_lshl_b32 s19, s18, 1
	s_mul_i32 s20, s18, 3
	s_lshl_b32 s21, s18, 5
	s_mov_b32 s7, 0x7fffff
	s_mov_b64 s[16:17], s[12:13]
	s_branch .LBB157_161
.LBB157_160:                            ;   in Loop: Header=BB157_161 Depth=1
	s_or_b32 exec_lo, exec_lo, s0
	v_add_co_u32 v2, vcc_lo, v2, s12
	v_add_co_ci_u32_e32 v3, vcc_lo, 0, v3, vcc_lo
	v_add_co_u32 v12, vcc_lo, v12, s21
	v_add_co_ci_u32_e32 v13, vcc_lo, 0, v13, vcc_lo
	v_add_co_u32 v14, vcc_lo, v14, s21
	v_add_co_ci_u32_e32 v15, vcc_lo, 0, v15, vcc_lo
	v_add_co_u32 v16, vcc_lo, v16, s21
	v_add_co_ci_u32_e32 v17, vcc_lo, 0, v17, vcc_lo
	v_add_co_u32 v18, vcc_lo, v18, s21
	v_add_co_ci_u32_e32 v19, vcc_lo, 0, v19, vcc_lo
	v_add_co_u32 v20, vcc_lo, v20, s21
	v_add_co_ci_u32_e32 v21, vcc_lo, 0, v21, vcc_lo
	v_add_co_u32 v22, vcc_lo, v22, s21
	v_add_co_ci_u32_e32 v23, vcc_lo, 0, v23, vcc_lo
	v_cmp_ge_i64_e64 s0, s[16:17], s[10:11]
	v_cmp_lt_u64_e64 s1, 0xffff, s[16:17]
	v_add_co_u32 v24, vcc_lo, v24, s21
	v_add_co_ci_u32_e32 v25, vcc_lo, 0, v25, vcc_lo
	v_add_co_u32 v26, vcc_lo, v26, s21
	v_add_co_ci_u32_e32 v27, vcc_lo, 0, v27, vcc_lo
	s_or_b32 s0, s0, s1
	s_add_u32 s16, s16, s12
	s_addc_u32 s17, s17, 0
	s_and_b32 vcc_lo, exec_lo, s0
	s_cbranch_vccnz .LBB157_329
.LBB157_161:                            ; =>This Inner Loop Header: Depth=1
	v_cmp_gt_u64_e64 s0, s[14:15], v[2:3]
	v_dual_mov_b32 v7, 0 :: v_dual_mov_b32 v6, 0
	s_delay_alu instid0(VALU_DEP_2)
	s_and_saveexec_b32 s1, s0
	s_cbranch_execz .LBB157_163
; %bb.162:                              ;   in Loop: Header=BB157_161 Depth=1
	v_add_co_u32 v4, vcc_lo, v12, s8
	v_add_co_ci_u32_e32 v5, vcc_lo, s9, v13, vcc_lo
	global_load_b64 v[6:7], v[4:5], off offset:-4
.LBB157_163:                            ;   in Loop: Header=BB157_161 Depth=1
	s_or_b32 exec_lo, exec_lo, s1
	v_add_co_u32 v8, vcc_lo, s18, v2
	v_add_co_ci_u32_e32 v9, vcc_lo, 0, v3, vcc_lo
	v_mov_b32_e32 v5, 0
	s_delay_alu instid0(VALU_DEP_2) | instskip(SKIP_1) | instid1(VALU_DEP_2)
	v_cmp_gt_u64_e64 s1, s[14:15], v[8:9]
	v_dual_mov_b32 v8, 0 :: v_dual_mov_b32 v9, 0
	s_and_saveexec_b32 s2, s1
	s_cbranch_execz .LBB157_165
; %bb.164:                              ;   in Loop: Header=BB157_161 Depth=1
	v_add_co_u32 v8, vcc_lo, v20, s8
	v_add_co_ci_u32_e32 v9, vcc_lo, s9, v21, vcc_lo
	global_load_b64 v[8:9], v[8:9], off
.LBB157_165:                            ;   in Loop: Header=BB157_161 Depth=1
	s_or_b32 exec_lo, exec_lo, s2
	v_add_co_u32 v10, vcc_lo, s19, v2
	v_add_co_ci_u32_e32 v11, vcc_lo, 0, v3, vcc_lo
	v_mov_b32_e32 v4, 0
	s_delay_alu instid0(VALU_DEP_2) | instskip(NEXT) | instid1(VALU_DEP_1)
	v_cmp_gt_u64_e64 s2, s[14:15], v[10:11]
	s_and_saveexec_b32 s3, s2
	s_cbranch_execz .LBB157_167
; %bb.166:                              ;   in Loop: Header=BB157_161 Depth=1
	v_add_co_u32 v4, vcc_lo, v24, s8
	v_add_co_ci_u32_e32 v5, vcc_lo, s9, v25, vcc_lo
	global_load_b64 v[4:5], v[4:5], off offset:-4
.LBB157_167:                            ;   in Loop: Header=BB157_161 Depth=1
	s_or_b32 exec_lo, exec_lo, s3
	v_add_co_u32 v10, vcc_lo, s20, v2
	v_add_co_ci_u32_e32 v11, vcc_lo, 0, v3, vcc_lo
	s_delay_alu instid0(VALU_DEP_1) | instskip(SKIP_1) | instid1(VALU_DEP_2)
	v_cmp_gt_u64_e64 s3, s[14:15], v[10:11]
	v_dual_mov_b32 v11, 0 :: v_dual_mov_b32 v10, 0
	s_and_saveexec_b32 s4, s3
	s_cbranch_execz .LBB157_169
; %bb.168:                              ;   in Loop: Header=BB157_161 Depth=1
	v_add_co_u32 v10, vcc_lo, v18, s8
	v_add_co_ci_u32_e32 v11, vcc_lo, s9, v19, vcc_lo
	global_load_b64 v[10:11], v[10:11], off offset:-4
.LBB157_169:                            ;   in Loop: Header=BB157_161 Depth=1
	s_or_b32 exec_lo, exec_lo, s4
	s_waitcnt vmcnt(0)
	v_and_b32_e32 v0, 0x7fffffff, v6
	s_mov_b32 s4, exec_lo
	s_delay_alu instid0(VALU_DEP_1)
	v_cmpx_gt_u32_e32 0x7f800000, v0
	s_xor_b32 s13, exec_lo, s4
	s_cbranch_execz .LBB157_190
; %bb.170:                              ;   in Loop: Header=BB157_161 Depth=1
	v_cmp_class_f32_e64 s4, v7, 0x1f8
	s_delay_alu instid0(VALU_DEP_1) | instskip(NEXT) | instid1(SALU_CYCLE_1)
	s_and_saveexec_b32 s5, s4
	s_xor_b32 s27, exec_lo, s5
	s_cbranch_execz .LBB157_187
; %bb.171:                              ;   in Loop: Header=BB157_161 Depth=1
	v_and_b32_e32 v28, 0x7fffffff, v7
	s_mov_b32 s4, exec_lo
	v_cmpx_gt_u32_e32 0x41300000, v0
	s_xor_b32 s28, exec_lo, s4
	s_cbranch_execz .LBB157_177
; %bb.172:                              ;   in Loop: Header=BB157_161 Depth=1
                                        ; implicit-def: $vgpr0
                                        ; implicit-def: $vgpr29
	s_mov_b32 s5, exec_lo
	v_cmpx_ngt_f32_e64 0x48000000, |v7|
	s_xor_b32 s29, exec_lo, s5
	s_cbranch_execz .LBB157_174
; %bb.173:                              ;   in Loop: Header=BB157_161 Depth=1
	v_and_or_b32 v37, v28, s7, 0x800000
	v_lshrrev_b32_e32 v34, 23, v28
	s_delay_alu instid0(VALU_DEP_2) | instskip(NEXT) | instid1(VALU_DEP_2)
	v_mad_u64_u32 v[29:30], null, 0xfe5163ab, v37, 0
	v_add_nc_u32_e32 v35, 0xffffff88, v34
	s_delay_alu instid0(VALU_DEP_1) | instskip(NEXT) | instid1(VALU_DEP_3)
	v_cmp_lt_u32_e32 vcc_lo, 63, v35
	v_mov_b32_e32 v0, v30
	v_cndmask_b32_e64 v36, 0, 0xffffffc0, vcc_lo
	s_delay_alu instid0(VALU_DEP_2) | instskip(NEXT) | instid1(VALU_DEP_2)
	v_mad_u64_u32 v[30:31], null, 0x3c439041, v37, v[0:1]
	v_add_nc_u32_e32 v36, v36, v35
	s_delay_alu instid0(VALU_DEP_2) | instskip(NEXT) | instid1(VALU_DEP_2)
	v_mov_b32_e32 v0, v31
	v_cmp_lt_u32_e64 s4, 31, v36
	s_delay_alu instid0(VALU_DEP_2) | instskip(NEXT) | instid1(VALU_DEP_2)
	v_mad_u64_u32 v[31:32], null, 0xdb629599, v37, v[0:1]
	v_cndmask_b32_e64 v38, 0, 0xffffffe0, s4
	s_delay_alu instid0(VALU_DEP_1) | instskip(NEXT) | instid1(VALU_DEP_3)
	v_add_nc_u32_e32 v38, v38, v36
	v_dual_mov_b32 v0, v32 :: v_dual_cndmask_b32 v29, v31, v29
	s_delay_alu instid0(VALU_DEP_2) | instskip(NEXT) | instid1(VALU_DEP_2)
	v_cmp_lt_u32_e64 s5, 31, v38
	v_mad_u64_u32 v[32:33], null, 0xf534ddc0, v37, v[0:1]
	s_delay_alu instid0(VALU_DEP_1) | instskip(NEXT) | instid1(VALU_DEP_2)
	v_mov_b32_e32 v0, v33
	v_cndmask_b32_e32 v30, v32, v30, vcc_lo
	s_delay_alu instid0(VALU_DEP_2) | instskip(NEXT) | instid1(VALU_DEP_2)
	v_mad_u64_u32 v[33:34], null, 0xfc2757d1, v37, v[0:1]
	v_cndmask_b32_e64 v29, v30, v29, s4
	s_delay_alu instid0(VALU_DEP_2) | instskip(NEXT) | instid1(VALU_DEP_1)
	v_mov_b32_e32 v0, v34
	v_mad_u64_u32 v[34:35], null, 0x4e441529, v37, v[0:1]
	s_delay_alu instid0(VALU_DEP_1) | instskip(NEXT) | instid1(VALU_DEP_1)
	v_mov_b32_e32 v0, v35
	v_mad_u64_u32 v[35:36], null, 0xa2f9836e, v37, v[0:1]
	v_cndmask_b32_e64 v0, 0, 0xffffffe0, s5
	s_delay_alu instid0(VALU_DEP_1) | instskip(NEXT) | instid1(VALU_DEP_3)
	v_dual_cndmask_b32 v37, v34, v32 :: v_dual_add_nc_u32 v0, v0, v38
	v_dual_cndmask_b32 v35, v35, v33 :: v_dual_cndmask_b32 v34, v36, v34
	v_cndmask_b32_e32 v33, v33, v31, vcc_lo
	s_delay_alu instid0(VALU_DEP_3) | instskip(NEXT) | instid1(VALU_DEP_3)
	v_sub_nc_u32_e32 v36, 32, v0
	v_cndmask_b32_e64 v32, v35, v37, s4
	s_delay_alu instid0(VALU_DEP_4) | instskip(NEXT) | instid1(VALU_DEP_4)
	v_cndmask_b32_e64 v34, v34, v35, s4
	v_cndmask_b32_e64 v35, v37, v33, s4
	;; [unrolled: 1-line block ×3, first 2 shown]
	v_cmp_eq_u32_e64 s6, 0, v0
	s_delay_alu instid0(VALU_DEP_4) | instskip(NEXT) | instid1(VALU_DEP_4)
	v_cndmask_b32_e64 v34, v34, v32, s5
	v_cndmask_b32_e64 v32, v32, v35, s5
	s_delay_alu instid0(VALU_DEP_4) | instskip(SKIP_1) | instid1(VALU_DEP_3)
	v_cndmask_b32_e64 v35, v35, v33, s5
	v_cndmask_b32_e64 v29, v33, v29, s5
	v_alignbit_b32 v37, v34, v32, v36
	s_delay_alu instid0(VALU_DEP_3) | instskip(NEXT) | instid1(VALU_DEP_3)
	v_alignbit_b32 v38, v32, v35, v36
	v_alignbit_b32 v36, v35, v29, v36
	s_delay_alu instid0(VALU_DEP_3) | instskip(NEXT) | instid1(VALU_DEP_3)
	v_cndmask_b32_e64 v0, v37, v34, s6
	v_cndmask_b32_e64 v31, v38, v32, s6
	s_delay_alu instid0(VALU_DEP_3) | instskip(NEXT) | instid1(VALU_DEP_3)
	v_cndmask_b32_e64 v35, v36, v35, s6
	v_bfe_u32 v32, v0, 29, 1
	s_delay_alu instid0(VALU_DEP_3) | instskip(NEXT) | instid1(VALU_DEP_3)
	v_alignbit_b32 v30, v0, v31, 30
	v_alignbit_b32 v31, v31, v35, 30
	;; [unrolled: 1-line block ×3, first 2 shown]
	s_delay_alu instid0(VALU_DEP_4) | instskip(NEXT) | instid1(VALU_DEP_1)
	v_sub_nc_u32_e32 v34, 0, v32
	v_xor_b32_e32 v33, v30, v34
	v_cmp_ne_u32_e32 vcc_lo, v30, v34
	v_xor_b32_e32 v31, v31, v34
	v_xor_b32_e32 v29, v29, v34
	s_delay_alu instid0(VALU_DEP_4) | instskip(NEXT) | instid1(VALU_DEP_1)
	v_clz_i32_u32_e32 v37, v33
	v_add_nc_u32_e32 v36, 1, v37
	s_delay_alu instid0(VALU_DEP_1) | instskip(NEXT) | instid1(VALU_DEP_1)
	v_cndmask_b32_e32 v30, 33, v36, vcc_lo
	v_sub_nc_u32_e32 v35, 32, v30
	s_delay_alu instid0(VALU_DEP_1) | instskip(SKIP_3) | instid1(VALU_DEP_3)
	v_alignbit_b32 v33, v33, v31, v35
	v_alignbit_b32 v29, v31, v29, v35
	v_lshrrev_b32_e32 v31, 29, v0
	v_lshrrev_b32_e32 v0, 30, v0
	v_alignbit_b32 v34, v33, v29, 9
	s_delay_alu instid0(VALU_DEP_3) | instskip(SKIP_1) | instid1(VALU_DEP_4)
	v_lshlrev_b32_e32 v31, 31, v31
	v_alignbit_b32 v33, v30, v33, 9
	v_add_nc_u32_e32 v0, v32, v0
	s_delay_alu instid0(VALU_DEP_4) | instskip(NEXT) | instid1(VALU_DEP_3)
	v_clz_i32_u32_e32 v35, v34
	v_or_b32_e32 v33, v33, v31
	v_or_b32_e32 v31, 0x33800000, v31
	s_delay_alu instid0(VALU_DEP_3) | instskip(NEXT) | instid1(VALU_DEP_3)
	v_min_u32_e32 v35, 32, v35
	v_xor_b32_e32 v33, 1.0, v33
	s_delay_alu instid0(VALU_DEP_2) | instskip(SKIP_1) | instid1(VALU_DEP_3)
	v_sub_nc_u32_e32 v36, 31, v35
	v_add_lshl_u32 v30, v35, v30, 23
	v_mul_f32_e32 v35, 0x3fc90fda, v33
	s_delay_alu instid0(VALU_DEP_3) | instskip(NEXT) | instid1(VALU_DEP_3)
	v_alignbit_b32 v29, v34, v29, v36
	v_sub_nc_u32_e32 v30, v31, v30
	s_delay_alu instid0(VALU_DEP_3) | instskip(NEXT) | instid1(VALU_DEP_3)
	v_fma_f32 v31, 0x3fc90fda, v33, -v35
	v_lshrrev_b32_e32 v29, 9, v29
	s_delay_alu instid0(VALU_DEP_2) | instskip(NEXT) | instid1(VALU_DEP_2)
	v_fmac_f32_e32 v31, 0x33a22168, v33
	v_or_b32_e32 v29, v30, v29
	s_delay_alu instid0(VALU_DEP_1) | instskip(NEXT) | instid1(VALU_DEP_1)
	v_fmac_f32_e32 v31, 0x3fc90fda, v29
	v_add_f32_e32 v29, v35, v31
.LBB157_174:                            ;   in Loop: Header=BB157_161 Depth=1
	s_and_not1_saveexec_b32 s4, s29
; %bb.175:                              ;   in Loop: Header=BB157_161 Depth=1
	v_mul_f32_e64 v0, 0x3f22f983, |v7|
	s_delay_alu instid0(VALU_DEP_1) | instskip(NEXT) | instid1(VALU_DEP_1)
	v_rndne_f32_e32 v0, v0
	v_fma_f32 v29, 0xbfc90fda, v0, |v7|
	s_delay_alu instid0(VALU_DEP_1) | instskip(NEXT) | instid1(VALU_DEP_1)
	v_fmac_f32_e32 v29, 0xb3a22168, v0
	v_fmac_f32_e32 v29, 0xa7c234c4, v0
	v_cvt_i32_f32_e32 v0, v0
; %bb.176:                              ;   in Loop: Header=BB157_161 Depth=1
	s_or_b32 exec_lo, exec_lo, s4
	v_add_f32_e64 v30, 0xbf317218, |v6|
	v_cmp_nlt_f32_e64 vcc_lo, 0x42b2d4fc, |v6|
	v_cmp_gt_f32_e64 s4, 0x39800000, |v6|
	v_and_b32_e32 v0, 1, v0
	s_delay_alu instid0(VALU_DEP_4) | instskip(NEXT) | instid1(VALU_DEP_1)
	v_sub_f32_e64 v31, v30, |v6|
	v_dual_sub_f32 v32, v31, v30 :: v_dual_add_f32 v31, 0x3f317218, v31
	s_delay_alu instid0(VALU_DEP_1) | instskip(NEXT) | instid1(VALU_DEP_1)
	v_add_f32_e64 v32, |v6|, v32
	v_sub_f32_e32 v31, v32, v31
	s_delay_alu instid0(VALU_DEP_1) | instskip(NEXT) | instid1(VALU_DEP_1)
	v_add_f32_e32 v31, 0x3102e308, v31
	v_add_f32_e32 v32, v30, v31
	s_delay_alu instid0(VALU_DEP_1) | instskip(NEXT) | instid1(VALU_DEP_1)
	v_sub_f32_e32 v30, v30, v32
	v_dual_mul_f32 v33, 0x3fb8aa3b, v32 :: v_dual_add_f32 v30, v31, v30
	s_delay_alu instid0(VALU_DEP_1) | instskip(NEXT) | instid1(VALU_DEP_1)
	v_rndne_f32_e32 v33, v33
	v_mul_f32_e32 v31, 0x35bfbc00, v33
	v_fmac_f32_e32 v32, 0xbf317200, v33
	s_delay_alu instid0(VALU_DEP_1) | instskip(NEXT) | instid1(VALU_DEP_1)
	v_add_f32_e32 v34, v30, v32
	v_dual_sub_f32 v35, v34, v31 :: v_dual_sub_f32 v32, v32, v34
	s_delay_alu instid0(VALU_DEP_1) | instskip(NEXT) | instid1(VALU_DEP_1)
	v_sub_f32_e32 v34, v34, v35
	v_sub_f32_e32 v31, v34, v31
	s_delay_alu instid0(VALU_DEP_3) | instskip(NEXT) | instid1(VALU_DEP_1)
	v_add_f32_e32 v30, v30, v32
	v_dual_add_f32 v30, v30, v31 :: v_dual_mul_f32 v31, 0x2ea39ef3, v33
	s_delay_alu instid0(VALU_DEP_1) | instskip(NEXT) | instid1(VALU_DEP_1)
	v_add_f32_e32 v32, v35, v30
	v_dual_sub_f32 v34, v32, v31 :: v_dual_sub_f32 v35, v35, v32
	s_delay_alu instid0(VALU_DEP_1) | instskip(NEXT) | instid1(VALU_DEP_2)
	v_sub_f32_e32 v32, v32, v34
	v_add_f32_e32 v30, v30, v35
	s_delay_alu instid0(VALU_DEP_2) | instskip(NEXT) | instid1(VALU_DEP_1)
	v_sub_f32_e32 v31, v32, v31
	v_add_f32_e32 v30, v30, v31
	s_delay_alu instid0(VALU_DEP_1) | instskip(NEXT) | instid1(VALU_DEP_1)
	v_add_f32_e32 v31, v34, v30
	v_sub_f32_e32 v32, v34, v31
	v_mul_f32_e32 v34, v31, v31
	s_delay_alu instid0(VALU_DEP_2) | instskip(SKIP_1) | instid1(VALU_DEP_3)
	v_add_f32_e32 v30, v30, v32
	v_fmaak_f32 v32, s24, v31, 0x3c091de6
	v_fma_f32 v35, v31, v31, -v34
	s_delay_alu instid0(VALU_DEP_3) | instskip(NEXT) | instid1(VALU_DEP_3)
	v_add_f32_e32 v36, v30, v30
	v_fmaak_f32 v32, v31, v32, 0x3d2aadcc
	s_delay_alu instid0(VALU_DEP_2) | instskip(NEXT) | instid1(VALU_DEP_2)
	v_fmac_f32_e32 v35, v31, v36
	v_fmaak_f32 v32, v31, v32, 0x3e2aaa47
	s_delay_alu instid0(VALU_DEP_2) | instskip(NEXT) | instid1(VALU_DEP_2)
	v_add_f32_e32 v36, v34, v35
	v_fmaak_f32 v32, v31, v32, 0x3efffffc
	s_delay_alu instid0(VALU_DEP_2) | instskip(NEXT) | instid1(VALU_DEP_1)
	v_sub_f32_e32 v34, v36, v34
	v_dual_mul_f32 v37, v32, v36 :: v_dual_sub_f32 v34, v35, v34
	s_delay_alu instid0(VALU_DEP_1) | instskip(NEXT) | instid1(VALU_DEP_1)
	v_fma_f32 v35, v36, v32, -v37
	v_fmac_f32_e32 v35, v34, v32
	s_delay_alu instid0(VALU_DEP_1) | instskip(NEXT) | instid1(VALU_DEP_1)
	v_add_f32_e32 v32, v37, v35
	v_sub_f32_e32 v36, v32, v37
	v_add_f32_e32 v34, v31, v32
	s_delay_alu instid0(VALU_DEP_2) | instskip(NEXT) | instid1(VALU_DEP_2)
	v_sub_f32_e32 v35, v35, v36
	v_sub_f32_e32 v31, v34, v31
	s_delay_alu instid0(VALU_DEP_1) | instskip(NEXT) | instid1(VALU_DEP_3)
	v_sub_f32_e32 v31, v32, v31
	v_add_f32_e32 v30, v30, v35
	s_delay_alu instid0(VALU_DEP_1) | instskip(NEXT) | instid1(VALU_DEP_1)
	v_add_f32_e32 v30, v30, v31
	v_add_f32_e32 v31, v34, v30
	s_delay_alu instid0(VALU_DEP_1) | instskip(NEXT) | instid1(VALU_DEP_1)
	v_add_f32_e32 v32, 1.0, v31
	v_dual_sub_f32 v34, v31, v34 :: v_dual_add_f32 v35, -1.0, v32
	s_delay_alu instid0(VALU_DEP_1) | instskip(NEXT) | instid1(VALU_DEP_1)
	v_dual_sub_f32 v30, v30, v34 :: v_dual_sub_f32 v31, v31, v35
	v_add_f32_e32 v30, v30, v31
	v_cvt_i32_f32_e32 v31, v33
	s_delay_alu instid0(VALU_DEP_2) | instskip(NEXT) | instid1(VALU_DEP_1)
	v_add_f32_e32 v33, v32, v30
	v_ldexp_f32 v34, v33, v31
	s_delay_alu instid0(VALU_DEP_1) | instskip(SKIP_1) | instid1(VALU_DEP_1)
	v_rcp_f32_e32 v35, v34
	v_sub_f32_e32 v32, v33, v32
	v_sub_f32_e32 v30, v30, v32
	s_waitcnt_depctr 0xfff
	v_mul_f32_e32 v32, v34, v35
	v_ldexp_f32 v30, v30, v31
	s_delay_alu instid0(VALU_DEP_2) | instskip(NEXT) | instid1(VALU_DEP_1)
	v_fma_f32 v31, v35, v34, -v32
	v_fmac_f32_e32 v31, v35, v30
	s_delay_alu instid0(VALU_DEP_1) | instskip(NEXT) | instid1(VALU_DEP_1)
	v_add_f32_e32 v33, v32, v31
	v_sub_f32_e32 v36, 1.0, v33
	v_sub_f32_e32 v32, v33, v32
	s_delay_alu instid0(VALU_DEP_2) | instskip(NEXT) | instid1(VALU_DEP_1)
	v_sub_f32_e32 v37, 1.0, v36
	v_dual_sub_f32 v31, v32, v31 :: v_dual_sub_f32 v32, v37, v33
	s_delay_alu instid0(VALU_DEP_1) | instskip(NEXT) | instid1(VALU_DEP_1)
	v_add_f32_e32 v31, v31, v32
	v_add_f32_e32 v32, v36, v31
	s_delay_alu instid0(VALU_DEP_1) | instskip(NEXT) | instid1(VALU_DEP_1)
	v_mul_f32_e32 v33, v35, v32
	v_dual_sub_f32 v36, v36, v32 :: v_dual_mul_f32 v37, v34, v33
	s_delay_alu instid0(VALU_DEP_1) | instskip(NEXT) | instid1(VALU_DEP_2)
	v_add_f32_e32 v31, v31, v36
	v_fma_f32 v38, v33, v34, -v37
	s_delay_alu instid0(VALU_DEP_1) | instskip(NEXT) | instid1(VALU_DEP_1)
	v_fmac_f32_e32 v38, v33, v30
	v_add_f32_e32 v39, v37, v38
	s_delay_alu instid0(VALU_DEP_1) | instskip(SKIP_1) | instid1(VALU_DEP_2)
	v_sub_f32_e32 v40, v32, v39
	v_sub_f32_e32 v36, v39, v37
	;; [unrolled: 1-line block ×3, first 2 shown]
	s_delay_alu instid0(VALU_DEP_2) | instskip(NEXT) | instid1(VALU_DEP_2)
	v_sub_f32_e32 v36, v36, v38
	v_sub_f32_e32 v32, v32, v39
	s_delay_alu instid0(VALU_DEP_1) | instskip(NEXT) | instid1(VALU_DEP_1)
	v_add_f32_e32 v31, v31, v32
	v_dual_add_f32 v32, v35, v33 :: v_dual_add_f32 v31, v36, v31
	s_delay_alu instid0(VALU_DEP_1) | instskip(NEXT) | instid1(VALU_DEP_2)
	v_sub_f32_e32 v36, v32, v35
	v_add_f32_e32 v31, v40, v31
	s_delay_alu instid0(VALU_DEP_2) | instskip(NEXT) | instid1(VALU_DEP_2)
	v_sub_f32_e32 v33, v33, v36
	v_mul_f32_e32 v31, v35, v31
	s_delay_alu instid0(VALU_DEP_1) | instskip(NEXT) | instid1(VALU_DEP_1)
	v_add_f32_e32 v31, v33, v31
	v_add_f32_e32 v33, v32, v31
	s_delay_alu instid0(VALU_DEP_1) | instskip(SKIP_1) | instid1(VALU_DEP_1)
	v_ldexp_f32 v35, v33, -2
	v_sub_f32_e32 v32, v33, v32
	v_dual_sub_f32 v36, v34, v35 :: v_dual_sub_f32 v31, v31, v32
	s_delay_alu instid0(VALU_DEP_1) | instskip(NEXT) | instid1(VALU_DEP_2)
	v_sub_f32_e32 v33, v34, v36
	v_ldexp_f32 v31, v31, -2
	s_delay_alu instid0(VALU_DEP_2) | instskip(NEXT) | instid1(VALU_DEP_1)
	v_sub_f32_e32 v32, v33, v35
	v_add_f32_e32 v30, v30, v32
	s_delay_alu instid0(VALU_DEP_1) | instskip(NEXT) | instid1(VALU_DEP_1)
	v_dual_sub_f32 v30, v30, v31 :: v_dual_mul_f32 v31, v29, v29
	v_add_f32_e32 v30, v36, v30
	s_delay_alu instid0(VALU_DEP_2) | instskip(NEXT) | instid1(VALU_DEP_2)
	v_fmaak_f32 v32, s23, v31, 0xbf039337
	v_cndmask_b32_e32 v30, 0x7f800000, v30, vcc_lo
	s_delay_alu instid0(VALU_DEP_2) | instskip(NEXT) | instid1(VALU_DEP_2)
	v_fmaak_f32 v32, v31, v32, 0x3f93f425
	v_cndmask_b32_e64 v30, v30, |v6|, s4
	s_delay_alu instid0(VALU_DEP_2) | instskip(NEXT) | instid1(VALU_DEP_1)
	v_rcp_f32_e32 v32, v32
	v_bfi_b32 v6, 0x7fffffff, v30, v6
	v_fmaak_f32 v30, s22, v31, 0x3ec54587
	s_delay_alu instid0(VALU_DEP_2) | instskip(SKIP_4) | instid1(VALU_DEP_2)
	v_fma_f32 v33, v6, v6, 1.0
	s_waitcnt_depctr 0xfff
	v_mul_f32_e32 v30, v30, v32
	v_mul_f32_e32 v32, 0x4f800000, v33
	v_cmp_gt_f32_e32 vcc_lo, 0xf800000, v33
	v_dual_mul_f32 v30, v31, v30 :: v_dual_cndmask_b32 v31, v33, v32
	s_delay_alu instid0(VALU_DEP_1) | instskip(NEXT) | instid1(VALU_DEP_2)
	v_fma_f32 v32, v30, v29, v29
	v_sqrt_f32_e32 v33, v31
	s_delay_alu instid0(VALU_DEP_1) | instskip(SKIP_1) | instid1(VALU_DEP_1)
	v_rcp_f32_e32 v34, v32
	v_sub_f32_e32 v35, v32, v29
	v_fma_f32 v29, v30, v29, -v35
	s_waitcnt_depctr 0xfff
	v_add_nc_u32_e32 v36, -1, v33
	v_fma_f32 v30, v32, -v34, 1.0
	v_add_nc_u32_e32 v35, 1, v33
	s_delay_alu instid0(VALU_DEP_3) | instskip(NEXT) | instid1(VALU_DEP_3)
	v_fma_f32 v37, -v36, v33, v31
	v_fma_f32 v29, v29, -v34, v30
	s_delay_alu instid0(VALU_DEP_3) | instskip(NEXT) | instid1(VALU_DEP_3)
	v_fma_f32 v30, -v35, v33, v31
	v_cmp_ge_f32_e64 s4, 0, v37
	s_delay_alu instid0(VALU_DEP_3) | instskip(NEXT) | instid1(VALU_DEP_2)
	v_fma_f32 v29, v29, -v34, -v34
	v_cndmask_b32_e64 v33, v33, v36, s4
	s_delay_alu instid0(VALU_DEP_4) | instskip(NEXT) | instid1(VALU_DEP_1)
	v_cmp_lt_f32_e64 s4, 0, v30
	v_cndmask_b32_e64 v30, v33, v35, s4
	v_cmp_eq_u32_e64 s4, 0, v0
	s_delay_alu instid0(VALU_DEP_1) | instskip(NEXT) | instid1(VALU_DEP_3)
	v_cndmask_b32_e64 v0, v29, v32, s4
	v_mul_f32_e32 v29, 0x37800000, v30
	s_delay_alu instid0(VALU_DEP_2) | instskip(NEXT) | instid1(VALU_DEP_2)
	v_xor3_b32 v0, v28, v0, v7
	v_cndmask_b32_e32 v7, v30, v29, vcc_lo
	v_cmp_class_f32_e64 vcc_lo, v31, 0x260
	s_delay_alu instid0(VALU_DEP_3) | instskip(NEXT) | instid1(VALU_DEP_3)
	v_fma_f32 v28, v0, v0, 1.0
	v_cndmask_b32_e32 v7, v7, v31, vcc_lo
	s_delay_alu instid0(VALU_DEP_2) | instskip(NEXT) | instid1(VALU_DEP_2)
	v_mul_f32_e32 v29, v6, v28
	v_mul_f32_e32 v7, v7, v28
	s_delay_alu instid0(VALU_DEP_2) | instskip(NEXT) | instid1(VALU_DEP_2)
	v_fma_f32 v28, v6, v29, 1.0
	v_mul_f32_e32 v6, v6, v7
	s_delay_alu instid0(VALU_DEP_2) | instskip(NEXT) | instid1(VALU_DEP_2)
	v_div_scale_f32 v29, null, v28, v28, v0
	v_div_scale_f32 v7, null, v28, v28, v6
	v_div_scale_f32 v34, vcc_lo, v6, v28, v6
	s_delay_alu instid0(VALU_DEP_3) | instskip(NEXT) | instid1(VALU_DEP_2)
	v_rcp_f32_e32 v31, v29
	v_rcp_f32_e32 v30, v7
	s_waitcnt_depctr 0xfff
	v_fma_f32 v33, -v29, v31, 1.0
	v_fma_f32 v32, -v7, v30, 1.0
	s_delay_alu instid0(VALU_DEP_1) | instskip(SKIP_1) | instid1(VALU_DEP_2)
	v_dual_fmac_f32 v31, v33, v31 :: v_dual_fmac_f32 v30, v32, v30
	v_div_scale_f32 v32, s4, v0, v28, v0
	v_mul_f32_e32 v33, v34, v30
	s_delay_alu instid0(VALU_DEP_2) | instskip(NEXT) | instid1(VALU_DEP_2)
	v_mul_f32_e32 v35, v32, v31
	v_fma_f32 v36, -v7, v33, v34
	s_delay_alu instid0(VALU_DEP_2) | instskip(NEXT) | instid1(VALU_DEP_2)
	v_fma_f32 v37, -v29, v35, v32
	v_fmac_f32_e32 v33, v36, v30
	s_delay_alu instid0(VALU_DEP_2) | instskip(NEXT) | instid1(VALU_DEP_2)
	v_fmac_f32_e32 v35, v37, v31
	v_fma_f32 v7, -v7, v33, v34
	s_delay_alu instid0(VALU_DEP_2) | instskip(NEXT) | instid1(VALU_DEP_2)
	v_fma_f32 v29, -v29, v35, v32
	v_div_fmas_f32 v7, v7, v30, v33
	s_mov_b32 vcc_lo, s4
	s_delay_alu instid0(VALU_DEP_2) | instskip(NEXT) | instid1(VALU_DEP_2)
	v_div_fmas_f32 v29, v29, v31, v35
	v_div_fixup_f32 v6, v7, v28, v6
	s_delay_alu instid0(VALU_DEP_2)
	v_div_fixup_f32 v7, v29, v28, v0
                                        ; implicit-def: $vgpr28
.LBB157_177:                            ;   in Loop: Header=BB157_161 Depth=1
	s_and_not1_saveexec_b32 s28, s28
	s_cbranch_execz .LBB157_197
; %bb.178:                              ;   in Loop: Header=BB157_161 Depth=1
	s_delay_alu instid0(VALU_DEP_1) | instskip(NEXT) | instid1(VALU_DEP_1)
	v_cmp_ngt_f32_e64 s29, 0x48000000, |v7|
                                        ; implicit-def: $vgpr30
                                        ; implicit-def: $vgpr29
	s_and_saveexec_b32 s4, s29
	s_delay_alu instid0(SALU_CYCLE_1)
	s_xor_b32 s30, exec_lo, s4
	s_cbranch_execz .LBB157_180
; %bb.179:                              ;   in Loop: Header=BB157_161 Depth=1
	v_and_or_b32 v37, v28, s7, 0x800000
	v_lshrrev_b32_e32 v34, 23, v28
	s_delay_alu instid0(VALU_DEP_2) | instskip(NEXT) | instid1(VALU_DEP_2)
	v_mad_u64_u32 v[29:30], null, 0xfe5163ab, v37, 0
	v_add_nc_u32_e32 v35, 0xffffff88, v34
	s_delay_alu instid0(VALU_DEP_1) | instskip(NEXT) | instid1(VALU_DEP_3)
	v_cmp_lt_u32_e32 vcc_lo, 63, v35
	v_mov_b32_e32 v0, v30
	v_cndmask_b32_e64 v36, 0, 0xffffffc0, vcc_lo
	s_delay_alu instid0(VALU_DEP_2) | instskip(NEXT) | instid1(VALU_DEP_2)
	v_mad_u64_u32 v[30:31], null, 0x3c439041, v37, v[0:1]
	v_add_nc_u32_e32 v36, v36, v35
	s_delay_alu instid0(VALU_DEP_2) | instskip(NEXT) | instid1(VALU_DEP_2)
	v_mov_b32_e32 v0, v31
	v_cmp_lt_u32_e64 s4, 31, v36
	s_delay_alu instid0(VALU_DEP_2) | instskip(NEXT) | instid1(VALU_DEP_2)
	v_mad_u64_u32 v[31:32], null, 0xdb629599, v37, v[0:1]
	v_cndmask_b32_e64 v38, 0, 0xffffffe0, s4
	s_delay_alu instid0(VALU_DEP_1) | instskip(NEXT) | instid1(VALU_DEP_3)
	v_add_nc_u32_e32 v38, v38, v36
	v_dual_mov_b32 v0, v32 :: v_dual_cndmask_b32 v29, v31, v29
	s_delay_alu instid0(VALU_DEP_2) | instskip(NEXT) | instid1(VALU_DEP_2)
	v_cmp_lt_u32_e64 s5, 31, v38
	v_mad_u64_u32 v[32:33], null, 0xf534ddc0, v37, v[0:1]
	s_delay_alu instid0(VALU_DEP_1) | instskip(NEXT) | instid1(VALU_DEP_2)
	v_mov_b32_e32 v0, v33
	v_cndmask_b32_e32 v30, v32, v30, vcc_lo
	s_delay_alu instid0(VALU_DEP_2) | instskip(NEXT) | instid1(VALU_DEP_2)
	v_mad_u64_u32 v[33:34], null, 0xfc2757d1, v37, v[0:1]
	v_cndmask_b32_e64 v29, v30, v29, s4
	s_delay_alu instid0(VALU_DEP_2) | instskip(NEXT) | instid1(VALU_DEP_1)
	v_mov_b32_e32 v0, v34
	v_mad_u64_u32 v[34:35], null, 0x4e441529, v37, v[0:1]
	s_delay_alu instid0(VALU_DEP_1) | instskip(NEXT) | instid1(VALU_DEP_1)
	v_mov_b32_e32 v0, v35
	v_mad_u64_u32 v[35:36], null, 0xa2f9836e, v37, v[0:1]
	v_cndmask_b32_e64 v0, 0, 0xffffffe0, s5
	s_delay_alu instid0(VALU_DEP_1) | instskip(NEXT) | instid1(VALU_DEP_3)
	v_dual_cndmask_b32 v37, v34, v32 :: v_dual_add_nc_u32 v0, v0, v38
	v_dual_cndmask_b32 v35, v35, v33 :: v_dual_cndmask_b32 v34, v36, v34
	v_cndmask_b32_e32 v33, v33, v31, vcc_lo
	s_delay_alu instid0(VALU_DEP_3) | instskip(NEXT) | instid1(VALU_DEP_3)
	v_sub_nc_u32_e32 v36, 32, v0
	v_cndmask_b32_e64 v32, v35, v37, s4
	s_delay_alu instid0(VALU_DEP_4) | instskip(NEXT) | instid1(VALU_DEP_4)
	v_cndmask_b32_e64 v34, v34, v35, s4
	v_cndmask_b32_e64 v35, v37, v33, s4
	;; [unrolled: 1-line block ×3, first 2 shown]
	v_cmp_eq_u32_e64 s6, 0, v0
	s_delay_alu instid0(VALU_DEP_4) | instskip(NEXT) | instid1(VALU_DEP_4)
	v_cndmask_b32_e64 v34, v34, v32, s5
	v_cndmask_b32_e64 v32, v32, v35, s5
	s_delay_alu instid0(VALU_DEP_4) | instskip(SKIP_1) | instid1(VALU_DEP_3)
	v_cndmask_b32_e64 v35, v35, v33, s5
	v_cndmask_b32_e64 v29, v33, v29, s5
	v_alignbit_b32 v37, v34, v32, v36
	s_delay_alu instid0(VALU_DEP_3) | instskip(NEXT) | instid1(VALU_DEP_3)
	v_alignbit_b32 v38, v32, v35, v36
	v_alignbit_b32 v36, v35, v29, v36
	s_delay_alu instid0(VALU_DEP_3) | instskip(NEXT) | instid1(VALU_DEP_3)
	v_cndmask_b32_e64 v0, v37, v34, s6
	v_cndmask_b32_e64 v31, v38, v32, s6
	s_delay_alu instid0(VALU_DEP_3) | instskip(NEXT) | instid1(VALU_DEP_3)
	v_cndmask_b32_e64 v35, v36, v35, s6
	v_bfe_u32 v32, v0, 29, 1
	s_delay_alu instid0(VALU_DEP_3) | instskip(NEXT) | instid1(VALU_DEP_3)
	v_alignbit_b32 v30, v0, v31, 30
	v_alignbit_b32 v31, v31, v35, 30
	;; [unrolled: 1-line block ×3, first 2 shown]
	s_delay_alu instid0(VALU_DEP_4) | instskip(NEXT) | instid1(VALU_DEP_1)
	v_sub_nc_u32_e32 v34, 0, v32
	v_xor_b32_e32 v33, v30, v34
	v_cmp_ne_u32_e32 vcc_lo, v30, v34
	v_xor_b32_e32 v31, v31, v34
	v_xor_b32_e32 v29, v29, v34
	s_delay_alu instid0(VALU_DEP_4) | instskip(NEXT) | instid1(VALU_DEP_1)
	v_clz_i32_u32_e32 v37, v33
	v_add_nc_u32_e32 v36, 1, v37
	s_delay_alu instid0(VALU_DEP_1) | instskip(NEXT) | instid1(VALU_DEP_1)
	v_cndmask_b32_e32 v30, 33, v36, vcc_lo
	v_sub_nc_u32_e32 v35, 32, v30
	s_delay_alu instid0(VALU_DEP_1) | instskip(SKIP_3) | instid1(VALU_DEP_3)
	v_alignbit_b32 v33, v33, v31, v35
	v_alignbit_b32 v29, v31, v29, v35
	v_lshrrev_b32_e32 v31, 29, v0
	v_lshrrev_b32_e32 v0, 30, v0
	v_alignbit_b32 v34, v33, v29, 9
	s_delay_alu instid0(VALU_DEP_3) | instskip(SKIP_1) | instid1(VALU_DEP_3)
	v_lshlrev_b32_e32 v31, 31, v31
	v_alignbit_b32 v33, v30, v33, 9
	v_clz_i32_u32_e32 v35, v34
	s_delay_alu instid0(VALU_DEP_2) | instskip(SKIP_1) | instid1(VALU_DEP_3)
	v_or_b32_e32 v33, v33, v31
	v_or_b32_e32 v31, 0x33800000, v31
	v_min_u32_e32 v35, 32, v35
	s_delay_alu instid0(VALU_DEP_3) | instskip(NEXT) | instid1(VALU_DEP_2)
	v_xor_b32_e32 v33, 1.0, v33
	v_sub_nc_u32_e32 v36, 31, v35
	v_add_lshl_u32 v30, v35, v30, 23
	s_delay_alu instid0(VALU_DEP_3) | instskip(NEXT) | instid1(VALU_DEP_3)
	v_mul_f32_e32 v35, 0x3fc90fda, v33
	v_alignbit_b32 v29, v34, v29, v36
	s_delay_alu instid0(VALU_DEP_3) | instskip(NEXT) | instid1(VALU_DEP_3)
	v_sub_nc_u32_e32 v30, v31, v30
	v_fma_f32 v31, 0x3fc90fda, v33, -v35
	s_delay_alu instid0(VALU_DEP_3) | instskip(NEXT) | instid1(VALU_DEP_2)
	v_lshrrev_b32_e32 v29, 9, v29
	v_fmac_f32_e32 v31, 0x33a22168, v33
	s_delay_alu instid0(VALU_DEP_2) | instskip(NEXT) | instid1(VALU_DEP_1)
	v_or_b32_e32 v29, v30, v29
	v_dual_fmac_f32 v31, 0x3fc90fda, v29 :: v_dual_add_nc_u32 v30, v32, v0
	s_delay_alu instid0(VALU_DEP_1)
	v_add_f32_e32 v29, v35, v31
	s_and_not1_saveexec_b32 s4, s30
	s_branch .LBB157_181
.LBB157_180:                            ;   in Loop: Header=BB157_161 Depth=1
	s_and_not1_saveexec_b32 s4, s30
.LBB157_181:                            ;   in Loop: Header=BB157_161 Depth=1
	v_mul_f32_e64 v0, 0x3f22f983, |v7|
	s_delay_alu instid0(VALU_DEP_1) | instskip(NEXT) | instid1(VALU_DEP_1)
	v_rndne_f32_e32 v0, v0
	v_fma_f32 v29, 0xbfc90fda, v0, |v7|
	v_cvt_i32_f32_e32 v30, v0
	s_delay_alu instid0(VALU_DEP_2) | instskip(NEXT) | instid1(VALU_DEP_1)
	v_fmac_f32_e32 v29, 0xb3a22168, v0
	v_fmac_f32_e32 v29, 0xa7c234c4, v0
; %bb.182:                              ;   in Loop: Header=BB157_161 Depth=1
	s_or_b32 exec_lo, exec_lo, s4
                                        ; implicit-def: $vgpr31
                                        ; implicit-def: $vgpr0
	s_and_saveexec_b32 s4, s29
	s_delay_alu instid0(SALU_CYCLE_1)
	s_xor_b32 s29, exec_lo, s4
	s_cbranch_execz .LBB157_184
; %bb.183:                              ;   in Loop: Header=BB157_161 Depth=1
	v_and_or_b32 v39, v28, s7, 0x800000
	v_lshrrev_b32_e32 v36, 23, v28
	s_delay_alu instid0(VALU_DEP_2) | instskip(NEXT) | instid1(VALU_DEP_2)
	v_mad_u64_u32 v[31:32], null, 0xfe5163ab, v39, 0
	v_add_nc_u32_e32 v37, 0xffffff88, v36
	s_delay_alu instid0(VALU_DEP_1) | instskip(NEXT) | instid1(VALU_DEP_3)
	v_cmp_lt_u32_e32 vcc_lo, 63, v37
	v_mov_b32_e32 v0, v32
	v_cndmask_b32_e64 v38, 0, 0xffffffc0, vcc_lo
	s_delay_alu instid0(VALU_DEP_2) | instskip(NEXT) | instid1(VALU_DEP_2)
	v_mad_u64_u32 v[32:33], null, 0x3c439041, v39, v[0:1]
	v_add_nc_u32_e32 v38, v38, v37
	s_delay_alu instid0(VALU_DEP_2) | instskip(NEXT) | instid1(VALU_DEP_2)
	v_mov_b32_e32 v0, v33
	v_cmp_lt_u32_e64 s4, 31, v38
	s_delay_alu instid0(VALU_DEP_2) | instskip(NEXT) | instid1(VALU_DEP_2)
	v_mad_u64_u32 v[33:34], null, 0xdb629599, v39, v[0:1]
	v_cndmask_b32_e64 v40, 0, 0xffffffe0, s4
	s_delay_alu instid0(VALU_DEP_1) | instskip(NEXT) | instid1(VALU_DEP_3)
	v_add_nc_u32_e32 v40, v40, v38
	v_dual_mov_b32 v0, v34 :: v_dual_cndmask_b32 v31, v33, v31
	s_delay_alu instid0(VALU_DEP_2) | instskip(NEXT) | instid1(VALU_DEP_2)
	v_cmp_lt_u32_e64 s5, 31, v40
	v_mad_u64_u32 v[34:35], null, 0xf534ddc0, v39, v[0:1]
	s_delay_alu instid0(VALU_DEP_1) | instskip(NEXT) | instid1(VALU_DEP_2)
	v_mov_b32_e32 v0, v35
	v_cndmask_b32_e32 v32, v34, v32, vcc_lo
	s_delay_alu instid0(VALU_DEP_2) | instskip(NEXT) | instid1(VALU_DEP_2)
	v_mad_u64_u32 v[35:36], null, 0xfc2757d1, v39, v[0:1]
	v_cndmask_b32_e64 v31, v32, v31, s4
	s_delay_alu instid0(VALU_DEP_2) | instskip(NEXT) | instid1(VALU_DEP_1)
	v_mov_b32_e32 v0, v36
	v_mad_u64_u32 v[36:37], null, 0x4e441529, v39, v[0:1]
	s_delay_alu instid0(VALU_DEP_1) | instskip(NEXT) | instid1(VALU_DEP_1)
	v_mov_b32_e32 v0, v37
	v_mad_u64_u32 v[37:38], null, 0xa2f9836e, v39, v[0:1]
	v_cndmask_b32_e64 v0, 0, 0xffffffe0, s5
	s_delay_alu instid0(VALU_DEP_4) | instskip(NEXT) | instid1(VALU_DEP_2)
	v_cndmask_b32_e32 v39, v36, v34, vcc_lo
	v_dual_cndmask_b32 v37, v37, v35 :: v_dual_add_nc_u32 v0, v0, v40
	s_delay_alu instid0(VALU_DEP_4) | instskip(NEXT) | instid1(VALU_DEP_2)
	v_dual_cndmask_b32 v36, v38, v36 :: v_dual_cndmask_b32 v35, v35, v33
	v_sub_nc_u32_e32 v38, 32, v0
	s_delay_alu instid0(VALU_DEP_3) | instskip(NEXT) | instid1(VALU_DEP_3)
	v_cndmask_b32_e64 v34, v37, v39, s4
	v_cndmask_b32_e64 v36, v36, v37, s4
	s_delay_alu instid0(VALU_DEP_4) | instskip(SKIP_2) | instid1(VALU_DEP_4)
	v_cndmask_b32_e64 v37, v39, v35, s4
	v_cndmask_b32_e64 v35, v35, v32, s4
	v_cmp_eq_u32_e64 s6, 0, v0
	v_cndmask_b32_e64 v36, v36, v34, s5
	s_delay_alu instid0(VALU_DEP_4) | instskip(NEXT) | instid1(VALU_DEP_4)
	v_cndmask_b32_e64 v34, v34, v37, s5
	v_cndmask_b32_e64 v37, v37, v35, s5
	;; [unrolled: 1-line block ×3, first 2 shown]
	s_delay_alu instid0(VALU_DEP_3) | instskip(NEXT) | instid1(VALU_DEP_3)
	v_alignbit_b32 v39, v36, v34, v38
	v_alignbit_b32 v40, v34, v37, v38
	s_delay_alu instid0(VALU_DEP_3) | instskip(NEXT) | instid1(VALU_DEP_3)
	v_alignbit_b32 v38, v37, v31, v38
	v_cndmask_b32_e64 v0, v39, v36, s6
	s_delay_alu instid0(VALU_DEP_3) | instskip(NEXT) | instid1(VALU_DEP_3)
	v_cndmask_b32_e64 v33, v40, v34, s6
	v_cndmask_b32_e64 v37, v38, v37, s6
	s_delay_alu instid0(VALU_DEP_3) | instskip(NEXT) | instid1(VALU_DEP_3)
	v_bfe_u32 v34, v0, 29, 1
	v_alignbit_b32 v32, v0, v33, 30
	s_delay_alu instid0(VALU_DEP_3) | instskip(SKIP_1) | instid1(VALU_DEP_4)
	v_alignbit_b32 v33, v33, v37, 30
	v_alignbit_b32 v31, v37, v31, 30
	v_sub_nc_u32_e32 v36, 0, v34
	s_delay_alu instid0(VALU_DEP_1) | instskip(SKIP_3) | instid1(VALU_DEP_4)
	v_xor_b32_e32 v35, v32, v36
	v_cmp_ne_u32_e32 vcc_lo, v32, v36
	v_xor_b32_e32 v33, v33, v36
	v_xor_b32_e32 v31, v31, v36
	v_clz_i32_u32_e32 v39, v35
	s_delay_alu instid0(VALU_DEP_1) | instskip(NEXT) | instid1(VALU_DEP_1)
	v_add_nc_u32_e32 v38, 1, v39
	v_cndmask_b32_e32 v32, 33, v38, vcc_lo
	s_delay_alu instid0(VALU_DEP_1) | instskip(NEXT) | instid1(VALU_DEP_1)
	v_sub_nc_u32_e32 v37, 32, v32
	v_alignbit_b32 v35, v35, v33, v37
	v_alignbit_b32 v31, v33, v31, v37
	v_lshrrev_b32_e32 v33, 29, v0
	s_delay_alu instid0(VALU_DEP_2) | instskip(NEXT) | instid1(VALU_DEP_2)
	v_alignbit_b32 v36, v35, v31, 9
	v_lshlrev_b32_e32 v33, 31, v33
	v_alignbit_b32 v35, v32, v35, 9
	s_delay_alu instid0(VALU_DEP_3) | instskip(NEXT) | instid1(VALU_DEP_2)
	v_clz_i32_u32_e32 v37, v36
	v_or_b32_e32 v35, v35, v33
	v_or_b32_e32 v33, 0x33800000, v33
	s_delay_alu instid0(VALU_DEP_3) | instskip(NEXT) | instid1(VALU_DEP_3)
	v_min_u32_e32 v37, 32, v37
	v_xor_b32_e32 v35, 1.0, v35
	s_delay_alu instid0(VALU_DEP_2) | instskip(SKIP_1) | instid1(VALU_DEP_3)
	v_sub_nc_u32_e32 v38, 31, v37
	v_add_lshl_u32 v32, v37, v32, 23
	v_mul_f32_e32 v37, 0x3fc90fda, v35
	s_delay_alu instid0(VALU_DEP_3) | instskip(NEXT) | instid1(VALU_DEP_3)
	v_alignbit_b32 v31, v36, v31, v38
	v_sub_nc_u32_e32 v32, v33, v32
	s_delay_alu instid0(VALU_DEP_3) | instskip(NEXT) | instid1(VALU_DEP_3)
	v_fma_f32 v33, 0x3fc90fda, v35, -v37
	v_lshrrev_b32_e32 v31, 9, v31
	s_delay_alu instid0(VALU_DEP_2) | instskip(NEXT) | instid1(VALU_DEP_2)
	v_fmac_f32_e32 v33, 0x33a22168, v35
	v_or_b32_e32 v31, v32, v31
	s_delay_alu instid0(VALU_DEP_1) | instskip(SKIP_1) | instid1(VALU_DEP_1)
	v_fmac_f32_e32 v33, 0x3fc90fda, v31
	v_lshrrev_b32_e32 v31, 30, v0
	v_dual_add_f32 v0, v37, v33 :: v_dual_add_nc_u32 v31, v34, v31
	s_and_not1_saveexec_b32 s4, s29
	s_cbranch_execnz .LBB157_185
	s_branch .LBB157_186
.LBB157_184:                            ;   in Loop: Header=BB157_161 Depth=1
	s_and_not1_saveexec_b32 s4, s29
.LBB157_185:                            ;   in Loop: Header=BB157_161 Depth=1
	v_mul_f32_e64 v0, 0x3f22f983, |v7|
	s_delay_alu instid0(VALU_DEP_1) | instskip(NEXT) | instid1(VALU_DEP_1)
	v_rndne_f32_e32 v31, v0
	v_fma_f32 v0, 0xbfc90fda, v31, |v7|
	s_delay_alu instid0(VALU_DEP_1) | instskip(NEXT) | instid1(VALU_DEP_1)
	v_fmac_f32_e32 v0, 0xb3a22168, v31
	v_fmac_f32_e32 v0, 0xa7c234c4, v31
	v_cvt_i32_f32_e32 v31, v31
.LBB157_186:                            ;   in Loop: Header=BB157_161 Depth=1
	s_or_b32 exec_lo, exec_lo, s4
	v_mul_f32_e64 v34, 0xbfb8aa3b, |v6|
	v_dual_mul_f32 v32, v29, v29 :: v_dual_and_b32 v33, 1, v30
	v_lshlrev_b32_e32 v30, 30, v30
	s_delay_alu instid0(VALU_DEP_3) | instskip(NEXT) | instid1(VALU_DEP_3)
	v_rndne_f32_e32 v38, v34
	v_fmaak_f32 v35, s25, v32, 0x3c0881c4
	v_mul_f32_e32 v37, v0, v0
	v_fma_f32 v39, 0xbfb8aa3b, |v6|, -v34
	v_cmp_eq_u32_e32 vcc_lo, 0, v33
	v_dual_sub_f32 v34, v34, v38 :: v_dual_and_b32 v33, 1, v31
	s_delay_alu instid0(VALU_DEP_4) | instskip(SKIP_3) | instid1(VALU_DEP_4)
	v_fmaak_f32 v40, s25, v37, 0x3c0881c4
	v_fmaak_f32 v35, v32, v35, 0xbe2aaa9d
	v_fma_f32 v39, 0xb2a5705f, |v6|, v39
	v_fmaak_f32 v41, s26, v37, 0xbab64f3b
	v_dual_fmaak_f32 v40, v37, v40, 0xbe2aaa9d :: v_dual_lshlrev_b32 v31, 30, v31
	s_delay_alu instid0(VALU_DEP_4) | instskip(NEXT) | instid1(VALU_DEP_4)
	v_dual_fmaak_f32 v36, s26, v32, 0xbab64f3b :: v_dual_mul_f32 v35, v32, v35
	v_add_f32_e32 v34, v34, v39
	s_delay_alu instid0(VALU_DEP_2) | instskip(NEXT) | instid1(VALU_DEP_2)
	v_dual_fmaak_f32 v36, v32, v36, 0x3d2aabf7 :: v_dual_fmac_f32 v29, v29, v35
	v_exp_f32_e32 v34, v34
	s_delay_alu instid0(VALU_DEP_1) | instskip(NEXT) | instid1(VALU_DEP_1)
	v_fmaak_f32 v36, v32, v36, 0xbf000004
	v_fma_f32 v32, v32, v36, 1.0
	v_and_b32_e32 v30, 0x80000000, v30
	s_delay_alu instid0(VALU_DEP_2) | instskip(NEXT) | instid1(VALU_DEP_2)
	v_dual_mul_f32 v36, v37, v40 :: v_dual_cndmask_b32 v29, v32, v29
	v_xor_b32_e32 v28, v28, v30
	v_cvt_i32_f32_e32 v30, v38
	v_cmp_eq_u32_e32 vcc_lo, 0, v33
	s_delay_alu instid0(VALU_DEP_3) | instskip(SKIP_3) | instid1(VALU_DEP_2)
	v_xor3_b32 v7, v28, v29, v7
	v_and_b32_e32 v29, 0x80000000, v31
	v_dual_fmaak_f32 v35, v37, v41, 0x3d2aabf7 :: v_dual_fmac_f32 v0, v0, v36
	v_ldexp_f32 v28, v34, v30
	v_fmaak_f32 v32, v37, v35, 0xbf000004
	s_delay_alu instid0(VALU_DEP_1) | instskip(NEXT) | instid1(VALU_DEP_1)
	v_fma_f32 v32, v37, v32, 1.0
	v_cndmask_b32_e64 v0, -v0, v32, vcc_lo
	v_cmp_nlt_f32_e64 vcc_lo, 0x42ce8ed0, |v6|
	v_mul_f32_e32 v7, 4.0, v7
	s_delay_alu instid0(VALU_DEP_3) | instskip(SKIP_3) | instid1(VALU_DEP_4)
	v_xor_b32_e32 v0, v29, v0
	v_cndmask_b32_e32 v28, 0, v28, vcc_lo
	v_cmp_ngt_f32_e64 vcc_lo, 0xc2b17218, |v6|
	v_bfi_b32 v6, 0x7fffffff, 1.0, v6
	v_mul_f32_e32 v0, v7, v0
	s_delay_alu instid0(VALU_DEP_4) | instskip(NEXT) | instid1(VALU_DEP_1)
	v_cndmask_b32_e32 v28, 0x7f800000, v28, vcc_lo
	v_mul_f32_e32 v0, v28, v0
	s_delay_alu instid0(VALU_DEP_1)
	v_mul_f32_e32 v7, v28, v0
	s_or_b32 exec_lo, exec_lo, s28
.LBB157_187:                            ;   in Loop: Header=BB157_161 Depth=1
	s_and_not1_saveexec_b32 s4, s27
.LBB157_188:                            ;   in Loop: Header=BB157_161 Depth=1
	s_delay_alu instid0(VALU_DEP_1) | instskip(NEXT) | instid1(VALU_DEP_1)
	v_sub_f32_e32 v7, v7, v7
	v_mov_b32_e32 v6, v7
.LBB157_189:                            ;   in Loop: Header=BB157_161 Depth=1
	s_or_b32 exec_lo, exec_lo, s4
.LBB157_190:                            ;   in Loop: Header=BB157_161 Depth=1
	s_and_not1_saveexec_b32 s13, s13
	s_cbranch_execz .LBB157_207
; %bb.191:                              ;   in Loop: Header=BB157_161 Depth=1
	s_delay_alu instid0(VALU_DEP_1) | instskip(SKIP_1) | instid1(VALU_DEP_1)
	v_and_b32_e32 v0, 0x7fffff, v6
	s_mov_b32 s4, exec_lo
	v_cmpx_ne_u32_e32 0, v0
	s_xor_b32 s4, exec_lo, s4
; %bb.192:                              ;   in Loop: Header=BB157_161 Depth=1
	v_mul_f32_e32 v0, v7, v6
	v_cmp_eq_f32_e32 vcc_lo, 0, v7
	s_delay_alu instid0(VALU_DEP_2)
	v_cndmask_b32_e32 v7, v0, v7, vcc_lo
; %bb.193:                              ;   in Loop: Header=BB157_161 Depth=1
	s_and_not1_saveexec_b32 s27, s4
	s_cbranch_execz .LBB157_206
; %bb.194:                              ;   in Loop: Header=BB157_161 Depth=1
	s_mov_b32 s28, exec_lo
	s_delay_alu instid0(VALU_DEP_1)
	v_cmpx_neq_f32_e64 0x7f800000, |v7|
	s_cbranch_execz .LBB157_205
; %bb.195:                              ;   in Loop: Header=BB157_161 Depth=1
	v_and_b32_e32 v28, 0x7fffffff, v7
	v_cmp_ngt_f32_e64 s29, 0x48000000, |v7|
                                        ; implicit-def: $vgpr30
                                        ; implicit-def: $vgpr29
	s_delay_alu instid0(VALU_DEP_1) | instskip(NEXT) | instid1(SALU_CYCLE_1)
	s_and_saveexec_b32 s4, s29
	s_xor_b32 s30, exec_lo, s4
	s_cbranch_execz .LBB157_198
; %bb.196:                              ;   in Loop: Header=BB157_161 Depth=1
	v_and_or_b32 v37, v28, s7, 0x800000
	v_lshrrev_b32_e32 v34, 23, v28
	s_delay_alu instid0(VALU_DEP_2) | instskip(NEXT) | instid1(VALU_DEP_2)
	v_mad_u64_u32 v[29:30], null, 0xfe5163ab, v37, 0
	v_add_nc_u32_e32 v35, 0xffffff88, v34
	s_delay_alu instid0(VALU_DEP_1) | instskip(NEXT) | instid1(VALU_DEP_3)
	v_cmp_lt_u32_e32 vcc_lo, 63, v35
	v_mov_b32_e32 v0, v30
	v_cndmask_b32_e64 v36, 0, 0xffffffc0, vcc_lo
	s_delay_alu instid0(VALU_DEP_2) | instskip(NEXT) | instid1(VALU_DEP_2)
	v_mad_u64_u32 v[30:31], null, 0x3c439041, v37, v[0:1]
	v_add_nc_u32_e32 v36, v36, v35
	s_delay_alu instid0(VALU_DEP_2) | instskip(NEXT) | instid1(VALU_DEP_2)
	v_mov_b32_e32 v0, v31
	v_cmp_lt_u32_e64 s4, 31, v36
	s_delay_alu instid0(VALU_DEP_2) | instskip(NEXT) | instid1(VALU_DEP_2)
	v_mad_u64_u32 v[31:32], null, 0xdb629599, v37, v[0:1]
	v_cndmask_b32_e64 v38, 0, 0xffffffe0, s4
	s_delay_alu instid0(VALU_DEP_1) | instskip(NEXT) | instid1(VALU_DEP_3)
	v_add_nc_u32_e32 v38, v38, v36
	v_dual_mov_b32 v0, v32 :: v_dual_cndmask_b32 v29, v31, v29
	s_delay_alu instid0(VALU_DEP_2) | instskip(NEXT) | instid1(VALU_DEP_2)
	v_cmp_lt_u32_e64 s5, 31, v38
	v_mad_u64_u32 v[32:33], null, 0xf534ddc0, v37, v[0:1]
	s_delay_alu instid0(VALU_DEP_1) | instskip(NEXT) | instid1(VALU_DEP_2)
	v_mov_b32_e32 v0, v33
	v_cndmask_b32_e32 v30, v32, v30, vcc_lo
	s_delay_alu instid0(VALU_DEP_2) | instskip(NEXT) | instid1(VALU_DEP_2)
	v_mad_u64_u32 v[33:34], null, 0xfc2757d1, v37, v[0:1]
	v_cndmask_b32_e64 v29, v30, v29, s4
	s_delay_alu instid0(VALU_DEP_2) | instskip(NEXT) | instid1(VALU_DEP_1)
	v_mov_b32_e32 v0, v34
	v_mad_u64_u32 v[34:35], null, 0x4e441529, v37, v[0:1]
	s_delay_alu instid0(VALU_DEP_1) | instskip(NEXT) | instid1(VALU_DEP_1)
	v_mov_b32_e32 v0, v35
	v_mad_u64_u32 v[35:36], null, 0xa2f9836e, v37, v[0:1]
	v_cndmask_b32_e64 v0, 0, 0xffffffe0, s5
	s_delay_alu instid0(VALU_DEP_1) | instskip(NEXT) | instid1(VALU_DEP_3)
	v_dual_cndmask_b32 v37, v34, v32 :: v_dual_add_nc_u32 v0, v0, v38
	v_dual_cndmask_b32 v35, v35, v33 :: v_dual_cndmask_b32 v34, v36, v34
	v_cndmask_b32_e32 v33, v33, v31, vcc_lo
	s_delay_alu instid0(VALU_DEP_3) | instskip(NEXT) | instid1(VALU_DEP_3)
	v_sub_nc_u32_e32 v36, 32, v0
	v_cndmask_b32_e64 v32, v35, v37, s4
	s_delay_alu instid0(VALU_DEP_4) | instskip(NEXT) | instid1(VALU_DEP_4)
	v_cndmask_b32_e64 v34, v34, v35, s4
	v_cndmask_b32_e64 v35, v37, v33, s4
	;; [unrolled: 1-line block ×3, first 2 shown]
	v_cmp_eq_u32_e64 s6, 0, v0
	s_delay_alu instid0(VALU_DEP_4) | instskip(NEXT) | instid1(VALU_DEP_4)
	v_cndmask_b32_e64 v34, v34, v32, s5
	v_cndmask_b32_e64 v32, v32, v35, s5
	s_delay_alu instid0(VALU_DEP_4) | instskip(SKIP_1) | instid1(VALU_DEP_3)
	v_cndmask_b32_e64 v35, v35, v33, s5
	v_cndmask_b32_e64 v29, v33, v29, s5
	v_alignbit_b32 v37, v34, v32, v36
	s_delay_alu instid0(VALU_DEP_3) | instskip(NEXT) | instid1(VALU_DEP_3)
	v_alignbit_b32 v38, v32, v35, v36
	v_alignbit_b32 v36, v35, v29, v36
	s_delay_alu instid0(VALU_DEP_3) | instskip(NEXT) | instid1(VALU_DEP_3)
	v_cndmask_b32_e64 v0, v37, v34, s6
	v_cndmask_b32_e64 v31, v38, v32, s6
	s_delay_alu instid0(VALU_DEP_3) | instskip(NEXT) | instid1(VALU_DEP_3)
	v_cndmask_b32_e64 v35, v36, v35, s6
	v_bfe_u32 v32, v0, 29, 1
	s_delay_alu instid0(VALU_DEP_3) | instskip(NEXT) | instid1(VALU_DEP_3)
	v_alignbit_b32 v30, v0, v31, 30
	v_alignbit_b32 v31, v31, v35, 30
	;; [unrolled: 1-line block ×3, first 2 shown]
	s_delay_alu instid0(VALU_DEP_4) | instskip(NEXT) | instid1(VALU_DEP_1)
	v_sub_nc_u32_e32 v34, 0, v32
	v_xor_b32_e32 v33, v30, v34
	v_cmp_ne_u32_e32 vcc_lo, v30, v34
	v_xor_b32_e32 v31, v31, v34
	v_xor_b32_e32 v29, v29, v34
	s_delay_alu instid0(VALU_DEP_4) | instskip(NEXT) | instid1(VALU_DEP_1)
	v_clz_i32_u32_e32 v37, v33
	v_add_nc_u32_e32 v36, 1, v37
	s_delay_alu instid0(VALU_DEP_1) | instskip(NEXT) | instid1(VALU_DEP_1)
	v_cndmask_b32_e32 v30, 33, v36, vcc_lo
	v_sub_nc_u32_e32 v35, 32, v30
	s_delay_alu instid0(VALU_DEP_1) | instskip(SKIP_3) | instid1(VALU_DEP_3)
	v_alignbit_b32 v33, v33, v31, v35
	v_alignbit_b32 v29, v31, v29, v35
	v_lshrrev_b32_e32 v31, 29, v0
	v_lshrrev_b32_e32 v0, 30, v0
	v_alignbit_b32 v34, v33, v29, 9
	s_delay_alu instid0(VALU_DEP_3) | instskip(SKIP_1) | instid1(VALU_DEP_3)
	v_lshlrev_b32_e32 v31, 31, v31
	v_alignbit_b32 v33, v30, v33, 9
	v_clz_i32_u32_e32 v35, v34
	s_delay_alu instid0(VALU_DEP_2) | instskip(SKIP_1) | instid1(VALU_DEP_3)
	v_or_b32_e32 v33, v33, v31
	v_or_b32_e32 v31, 0x33800000, v31
	v_min_u32_e32 v35, 32, v35
	s_delay_alu instid0(VALU_DEP_3) | instskip(NEXT) | instid1(VALU_DEP_2)
	v_xor_b32_e32 v33, 1.0, v33
	v_sub_nc_u32_e32 v36, 31, v35
	v_add_lshl_u32 v30, v35, v30, 23
	s_delay_alu instid0(VALU_DEP_3) | instskip(NEXT) | instid1(VALU_DEP_3)
	v_mul_f32_e32 v35, 0x3fc90fda, v33
	v_alignbit_b32 v29, v34, v29, v36
	s_delay_alu instid0(VALU_DEP_3) | instskip(NEXT) | instid1(VALU_DEP_3)
	v_sub_nc_u32_e32 v30, v31, v30
	v_fma_f32 v31, 0x3fc90fda, v33, -v35
	s_delay_alu instid0(VALU_DEP_3) | instskip(NEXT) | instid1(VALU_DEP_2)
	v_lshrrev_b32_e32 v29, 9, v29
	v_fmac_f32_e32 v31, 0x33a22168, v33
	s_delay_alu instid0(VALU_DEP_2) | instskip(NEXT) | instid1(VALU_DEP_1)
	v_or_b32_e32 v29, v30, v29
	v_dual_fmac_f32 v31, 0x3fc90fda, v29 :: v_dual_add_nc_u32 v30, v32, v0
	s_delay_alu instid0(VALU_DEP_1)
	v_add_f32_e32 v29, v35, v31
	s_and_not1_saveexec_b32 s4, s30
	s_branch .LBB157_199
.LBB157_197:                            ;   in Loop: Header=BB157_161 Depth=1
	s_or_b32 exec_lo, exec_lo, s28
	s_and_not1_saveexec_b32 s4, s27
	s_cbranch_execnz .LBB157_188
	s_branch .LBB157_189
.LBB157_198:                            ;   in Loop: Header=BB157_161 Depth=1
	s_and_not1_saveexec_b32 s4, s30
.LBB157_199:                            ;   in Loop: Header=BB157_161 Depth=1
	v_mul_f32_e64 v0, 0x3f22f983, |v7|
	s_delay_alu instid0(VALU_DEP_1) | instskip(NEXT) | instid1(VALU_DEP_1)
	v_rndne_f32_e32 v0, v0
	v_fma_f32 v29, 0xbfc90fda, v0, |v7|
	v_cvt_i32_f32_e32 v30, v0
	s_delay_alu instid0(VALU_DEP_2) | instskip(NEXT) | instid1(VALU_DEP_1)
	v_fmac_f32_e32 v29, 0xb3a22168, v0
	v_fmac_f32_e32 v29, 0xa7c234c4, v0
; %bb.200:                              ;   in Loop: Header=BB157_161 Depth=1
	s_or_b32 exec_lo, exec_lo, s4
                                        ; implicit-def: $vgpr31
                                        ; implicit-def: $vgpr0
	s_and_saveexec_b32 s4, s29
	s_delay_alu instid0(SALU_CYCLE_1)
	s_xor_b32 s29, exec_lo, s4
	s_cbranch_execz .LBB157_202
; %bb.201:                              ;   in Loop: Header=BB157_161 Depth=1
	v_and_or_b32 v39, v28, s7, 0x800000
	v_lshrrev_b32_e32 v36, 23, v28
	s_delay_alu instid0(VALU_DEP_2) | instskip(NEXT) | instid1(VALU_DEP_2)
	v_mad_u64_u32 v[31:32], null, 0xfe5163ab, v39, 0
	v_add_nc_u32_e32 v37, 0xffffff88, v36
	s_delay_alu instid0(VALU_DEP_1) | instskip(NEXT) | instid1(VALU_DEP_3)
	v_cmp_lt_u32_e32 vcc_lo, 63, v37
	v_mov_b32_e32 v0, v32
	v_cndmask_b32_e64 v38, 0, 0xffffffc0, vcc_lo
	s_delay_alu instid0(VALU_DEP_2) | instskip(NEXT) | instid1(VALU_DEP_2)
	v_mad_u64_u32 v[32:33], null, 0x3c439041, v39, v[0:1]
	v_add_nc_u32_e32 v38, v38, v37
	s_delay_alu instid0(VALU_DEP_2) | instskip(NEXT) | instid1(VALU_DEP_2)
	v_mov_b32_e32 v0, v33
	v_cmp_lt_u32_e64 s4, 31, v38
	s_delay_alu instid0(VALU_DEP_2) | instskip(NEXT) | instid1(VALU_DEP_2)
	v_mad_u64_u32 v[33:34], null, 0xdb629599, v39, v[0:1]
	v_cndmask_b32_e64 v40, 0, 0xffffffe0, s4
	s_delay_alu instid0(VALU_DEP_1) | instskip(NEXT) | instid1(VALU_DEP_3)
	v_add_nc_u32_e32 v40, v40, v38
	v_dual_mov_b32 v0, v34 :: v_dual_cndmask_b32 v31, v33, v31
	s_delay_alu instid0(VALU_DEP_2) | instskip(NEXT) | instid1(VALU_DEP_2)
	v_cmp_lt_u32_e64 s5, 31, v40
	v_mad_u64_u32 v[34:35], null, 0xf534ddc0, v39, v[0:1]
	s_delay_alu instid0(VALU_DEP_1) | instskip(NEXT) | instid1(VALU_DEP_2)
	v_mov_b32_e32 v0, v35
	v_cndmask_b32_e32 v32, v34, v32, vcc_lo
	s_delay_alu instid0(VALU_DEP_2) | instskip(NEXT) | instid1(VALU_DEP_2)
	v_mad_u64_u32 v[35:36], null, 0xfc2757d1, v39, v[0:1]
	v_cndmask_b32_e64 v31, v32, v31, s4
	s_delay_alu instid0(VALU_DEP_2) | instskip(NEXT) | instid1(VALU_DEP_1)
	v_mov_b32_e32 v0, v36
	v_mad_u64_u32 v[36:37], null, 0x4e441529, v39, v[0:1]
	s_delay_alu instid0(VALU_DEP_1) | instskip(NEXT) | instid1(VALU_DEP_1)
	v_mov_b32_e32 v0, v37
	v_mad_u64_u32 v[37:38], null, 0xa2f9836e, v39, v[0:1]
	v_cndmask_b32_e64 v0, 0, 0xffffffe0, s5
	s_delay_alu instid0(VALU_DEP_4) | instskip(NEXT) | instid1(VALU_DEP_2)
	v_cndmask_b32_e32 v39, v36, v34, vcc_lo
	v_dual_cndmask_b32 v37, v37, v35 :: v_dual_add_nc_u32 v0, v0, v40
	s_delay_alu instid0(VALU_DEP_4) | instskip(NEXT) | instid1(VALU_DEP_2)
	v_dual_cndmask_b32 v36, v38, v36 :: v_dual_cndmask_b32 v35, v35, v33
	v_sub_nc_u32_e32 v38, 32, v0
	s_delay_alu instid0(VALU_DEP_3) | instskip(NEXT) | instid1(VALU_DEP_3)
	v_cndmask_b32_e64 v34, v37, v39, s4
	v_cndmask_b32_e64 v36, v36, v37, s4
	s_delay_alu instid0(VALU_DEP_4) | instskip(SKIP_2) | instid1(VALU_DEP_4)
	v_cndmask_b32_e64 v37, v39, v35, s4
	v_cndmask_b32_e64 v35, v35, v32, s4
	v_cmp_eq_u32_e64 s6, 0, v0
	v_cndmask_b32_e64 v36, v36, v34, s5
	s_delay_alu instid0(VALU_DEP_4) | instskip(NEXT) | instid1(VALU_DEP_4)
	v_cndmask_b32_e64 v34, v34, v37, s5
	v_cndmask_b32_e64 v37, v37, v35, s5
	;; [unrolled: 1-line block ×3, first 2 shown]
	s_delay_alu instid0(VALU_DEP_3) | instskip(NEXT) | instid1(VALU_DEP_3)
	v_alignbit_b32 v39, v36, v34, v38
	v_alignbit_b32 v40, v34, v37, v38
	s_delay_alu instid0(VALU_DEP_3) | instskip(NEXT) | instid1(VALU_DEP_3)
	v_alignbit_b32 v38, v37, v31, v38
	v_cndmask_b32_e64 v0, v39, v36, s6
	s_delay_alu instid0(VALU_DEP_3) | instskip(NEXT) | instid1(VALU_DEP_3)
	v_cndmask_b32_e64 v33, v40, v34, s6
	v_cndmask_b32_e64 v37, v38, v37, s6
	s_delay_alu instid0(VALU_DEP_3) | instskip(NEXT) | instid1(VALU_DEP_3)
	v_bfe_u32 v34, v0, 29, 1
	v_alignbit_b32 v32, v0, v33, 30
	s_delay_alu instid0(VALU_DEP_3) | instskip(SKIP_1) | instid1(VALU_DEP_4)
	v_alignbit_b32 v33, v33, v37, 30
	v_alignbit_b32 v31, v37, v31, 30
	v_sub_nc_u32_e32 v36, 0, v34
	s_delay_alu instid0(VALU_DEP_1) | instskip(SKIP_3) | instid1(VALU_DEP_4)
	v_xor_b32_e32 v35, v32, v36
	v_cmp_ne_u32_e32 vcc_lo, v32, v36
	v_xor_b32_e32 v33, v33, v36
	v_xor_b32_e32 v31, v31, v36
	v_clz_i32_u32_e32 v39, v35
	s_delay_alu instid0(VALU_DEP_1) | instskip(NEXT) | instid1(VALU_DEP_1)
	v_add_nc_u32_e32 v38, 1, v39
	v_cndmask_b32_e32 v32, 33, v38, vcc_lo
	s_delay_alu instid0(VALU_DEP_1) | instskip(NEXT) | instid1(VALU_DEP_1)
	v_sub_nc_u32_e32 v37, 32, v32
	v_alignbit_b32 v35, v35, v33, v37
	v_alignbit_b32 v31, v33, v31, v37
	v_lshrrev_b32_e32 v33, 29, v0
	s_delay_alu instid0(VALU_DEP_2) | instskip(NEXT) | instid1(VALU_DEP_2)
	v_alignbit_b32 v36, v35, v31, 9
	v_lshlrev_b32_e32 v33, 31, v33
	v_alignbit_b32 v35, v32, v35, 9
	s_delay_alu instid0(VALU_DEP_3) | instskip(NEXT) | instid1(VALU_DEP_2)
	v_clz_i32_u32_e32 v37, v36
	v_or_b32_e32 v35, v35, v33
	v_or_b32_e32 v33, 0x33800000, v33
	s_delay_alu instid0(VALU_DEP_3) | instskip(NEXT) | instid1(VALU_DEP_3)
	v_min_u32_e32 v37, 32, v37
	v_xor_b32_e32 v35, 1.0, v35
	s_delay_alu instid0(VALU_DEP_2) | instskip(SKIP_1) | instid1(VALU_DEP_3)
	v_sub_nc_u32_e32 v38, 31, v37
	v_add_lshl_u32 v32, v37, v32, 23
	v_mul_f32_e32 v37, 0x3fc90fda, v35
	s_delay_alu instid0(VALU_DEP_3) | instskip(NEXT) | instid1(VALU_DEP_3)
	v_alignbit_b32 v31, v36, v31, v38
	v_sub_nc_u32_e32 v32, v33, v32
	s_delay_alu instid0(VALU_DEP_3) | instskip(NEXT) | instid1(VALU_DEP_3)
	v_fma_f32 v33, 0x3fc90fda, v35, -v37
	v_lshrrev_b32_e32 v31, 9, v31
	s_delay_alu instid0(VALU_DEP_2) | instskip(NEXT) | instid1(VALU_DEP_2)
	v_fmac_f32_e32 v33, 0x33a22168, v35
	v_or_b32_e32 v31, v32, v31
	s_delay_alu instid0(VALU_DEP_1) | instskip(SKIP_1) | instid1(VALU_DEP_1)
	v_fmac_f32_e32 v33, 0x3fc90fda, v31
	v_lshrrev_b32_e32 v31, 30, v0
	v_dual_add_f32 v0, v37, v33 :: v_dual_add_nc_u32 v31, v34, v31
	s_and_not1_saveexec_b32 s4, s29
	s_cbranch_execnz .LBB157_203
	s_branch .LBB157_204
.LBB157_202:                            ;   in Loop: Header=BB157_161 Depth=1
	s_and_not1_saveexec_b32 s4, s29
.LBB157_203:                            ;   in Loop: Header=BB157_161 Depth=1
	v_mul_f32_e64 v0, 0x3f22f983, |v7|
	s_delay_alu instid0(VALU_DEP_1) | instskip(NEXT) | instid1(VALU_DEP_1)
	v_rndne_f32_e32 v31, v0
	v_fma_f32 v0, 0xbfc90fda, v31, |v7|
	s_delay_alu instid0(VALU_DEP_1) | instskip(NEXT) | instid1(VALU_DEP_1)
	v_fmac_f32_e32 v0, 0xb3a22168, v31
	v_fmac_f32_e32 v0, 0xa7c234c4, v31
	v_cvt_i32_f32_e32 v31, v31
.LBB157_204:                            ;   in Loop: Header=BB157_161 Depth=1
	s_or_b32 exec_lo, exec_lo, s4
	v_dual_mul_f32 v32, v29, v29 :: v_dual_and_b32 v33, 1, v30
	s_delay_alu instid0(VALU_DEP_2) | instskip(NEXT) | instid1(VALU_DEP_2)
	v_dual_mul_f32 v34, v0, v0 :: v_dual_and_b32 v37, 1, v31
	v_dual_fmaak_f32 v35, s25, v32, 0x3c0881c4 :: v_dual_lshlrev_b32 v30, 30, v30
	s_delay_alu instid0(VALU_DEP_2) | instskip(SKIP_1) | instid1(VALU_DEP_3)
	v_dual_fmaak_f32 v36, s26, v32, 0xbab64f3b :: v_dual_fmaak_f32 v39, s26, v34, 0xbab64f3b
	v_dual_fmaak_f32 v38, s25, v34, 0x3c0881c4 :: v_dual_lshlrev_b32 v31, 30, v31
	v_fmaak_f32 v35, v32, v35, 0xbe2aaa9d
	s_delay_alu instid0(VALU_DEP_3) | instskip(NEXT) | instid1(VALU_DEP_3)
	v_dual_fmaak_f32 v36, v32, v36, 0x3d2aabf7 :: v_dual_fmaak_f32 v39, v34, v39, 0x3d2aabf7
	v_fmaak_f32 v38, v34, v38, 0xbe2aaa9d
	v_cmp_eq_u32_e32 vcc_lo, 0, v33
	s_delay_alu instid0(VALU_DEP_4) | instskip(NEXT) | instid1(VALU_DEP_4)
	v_dual_mul_f32 v35, v32, v35 :: v_dual_and_b32 v30, 0x80000000, v30
	v_dual_fmaak_f32 v36, v32, v36, 0xbf000004 :: v_dual_fmaak_f32 v39, v34, v39, 0xbf000004
	s_delay_alu instid0(VALU_DEP_2) | instskip(NEXT) | instid1(VALU_DEP_3)
	v_dual_mul_f32 v38, v34, v38 :: v_dual_fmac_f32 v29, v29, v35
	v_xor_b32_e32 v28, v28, v30
	s_delay_alu instid0(VALU_DEP_3) | instskip(NEXT) | instid1(VALU_DEP_4)
	v_fma_f32 v32, v32, v36, 1.0
	v_fma_f32 v30, v34, v39, 1.0
	s_delay_alu instid0(VALU_DEP_4) | instskip(NEXT) | instid1(VALU_DEP_3)
	v_dual_fmac_f32 v0, v0, v38 :: v_dual_and_b32 v31, 0x80000000, v31
	v_cndmask_b32_e32 v29, v32, v29, vcc_lo
	v_cmp_eq_u32_e32 vcc_lo, 0, v37
	s_delay_alu instid0(VALU_DEP_2) | instskip(NEXT) | instid1(VALU_DEP_4)
	v_xor3_b32 v28, v28, v29, v7
	v_cndmask_b32_e64 v0, -v0, v30, vcc_lo
	v_cmp_class_f32_e64 vcc_lo, v7, 0x1f8
	s_delay_alu instid0(VALU_DEP_2) | instskip(NEXT) | instid1(VALU_DEP_1)
	v_xor_b32_e32 v0, v31, v0
	v_mul_f32_e32 v0, v28, v0
	s_delay_alu instid0(VALU_DEP_1)
	v_cndmask_b32_e32 v7, 0x7fc00000, v0, vcc_lo
.LBB157_205:                            ;   in Loop: Header=BB157_161 Depth=1
	s_or_b32 exec_lo, exec_lo, s28
	v_add_nc_u32_e32 v6, -2.0, v6
	s_delay_alu instid0(VALU_DEP_2)
	v_bfi_b32 v7, 0x7fffffff, 0, v7
.LBB157_206:                            ;   in Loop: Header=BB157_161 Depth=1
	s_or_b32 exec_lo, exec_lo, s27
.LBB157_207:                            ;   in Loop: Header=BB157_161 Depth=1
	s_delay_alu instid0(SALU_CYCLE_1) | instskip(SKIP_2) | instid1(VALU_DEP_1)
	s_or_b32 exec_lo, exec_lo, s13
	v_and_b32_e32 v0, 0x7fffffff, v8
	s_mov_b32 s4, exec_lo
	v_cmpx_gt_u32_e32 0x7f800000, v0
	s_xor_b32 s13, exec_lo, s4
	s_cbranch_execz .LBB157_229
; %bb.208:                              ;   in Loop: Header=BB157_161 Depth=1
	v_cmp_class_f32_e64 s4, v9, 0x1f8
	s_delay_alu instid0(VALU_DEP_1) | instskip(NEXT) | instid1(SALU_CYCLE_1)
	s_and_saveexec_b32 s5, s4
	s_xor_b32 s27, exec_lo, s5
	s_cbranch_execz .LBB157_226
; %bb.209:                              ;   in Loop: Header=BB157_161 Depth=1
	v_and_b32_e32 v28, 0x7fffffff, v9
	s_mov_b32 s4, exec_lo
	v_cmpx_gt_u32_e32 0x41300000, v0
	s_xor_b32 s28, exec_lo, s4
	s_cbranch_execz .LBB157_215
; %bb.210:                              ;   in Loop: Header=BB157_161 Depth=1
                                        ; implicit-def: $vgpr0
                                        ; implicit-def: $vgpr29
	s_mov_b32 s5, exec_lo
	v_cmpx_ngt_f32_e64 0x48000000, |v9|
	s_xor_b32 s29, exec_lo, s5
	s_cbranch_execz .LBB157_212
; %bb.211:                              ;   in Loop: Header=BB157_161 Depth=1
	v_and_or_b32 v37, v28, s7, 0x800000
	v_lshrrev_b32_e32 v34, 23, v28
	s_delay_alu instid0(VALU_DEP_2) | instskip(NEXT) | instid1(VALU_DEP_2)
	v_mad_u64_u32 v[29:30], null, 0xfe5163ab, v37, 0
	v_add_nc_u32_e32 v35, 0xffffff88, v34
	s_delay_alu instid0(VALU_DEP_1) | instskip(NEXT) | instid1(VALU_DEP_3)
	v_cmp_lt_u32_e32 vcc_lo, 63, v35
	v_mov_b32_e32 v0, v30
	v_cndmask_b32_e64 v36, 0, 0xffffffc0, vcc_lo
	s_delay_alu instid0(VALU_DEP_2) | instskip(NEXT) | instid1(VALU_DEP_2)
	v_mad_u64_u32 v[30:31], null, 0x3c439041, v37, v[0:1]
	v_add_nc_u32_e32 v36, v36, v35
	s_delay_alu instid0(VALU_DEP_2) | instskip(NEXT) | instid1(VALU_DEP_2)
	v_mov_b32_e32 v0, v31
	v_cmp_lt_u32_e64 s4, 31, v36
	s_delay_alu instid0(VALU_DEP_2) | instskip(NEXT) | instid1(VALU_DEP_2)
	v_mad_u64_u32 v[31:32], null, 0xdb629599, v37, v[0:1]
	v_cndmask_b32_e64 v38, 0, 0xffffffe0, s4
	s_delay_alu instid0(VALU_DEP_1) | instskip(NEXT) | instid1(VALU_DEP_3)
	v_add_nc_u32_e32 v38, v38, v36
	v_dual_mov_b32 v0, v32 :: v_dual_cndmask_b32 v29, v31, v29
	s_delay_alu instid0(VALU_DEP_2) | instskip(NEXT) | instid1(VALU_DEP_2)
	v_cmp_lt_u32_e64 s5, 31, v38
	v_mad_u64_u32 v[32:33], null, 0xf534ddc0, v37, v[0:1]
	s_delay_alu instid0(VALU_DEP_1) | instskip(NEXT) | instid1(VALU_DEP_2)
	v_mov_b32_e32 v0, v33
	v_cndmask_b32_e32 v30, v32, v30, vcc_lo
	s_delay_alu instid0(VALU_DEP_2) | instskip(NEXT) | instid1(VALU_DEP_2)
	v_mad_u64_u32 v[33:34], null, 0xfc2757d1, v37, v[0:1]
	v_cndmask_b32_e64 v29, v30, v29, s4
	s_delay_alu instid0(VALU_DEP_2) | instskip(NEXT) | instid1(VALU_DEP_1)
	v_mov_b32_e32 v0, v34
	v_mad_u64_u32 v[34:35], null, 0x4e441529, v37, v[0:1]
	s_delay_alu instid0(VALU_DEP_1) | instskip(NEXT) | instid1(VALU_DEP_1)
	v_mov_b32_e32 v0, v35
	v_mad_u64_u32 v[35:36], null, 0xa2f9836e, v37, v[0:1]
	v_cndmask_b32_e64 v0, 0, 0xffffffe0, s5
	s_delay_alu instid0(VALU_DEP_1) | instskip(NEXT) | instid1(VALU_DEP_3)
	v_dual_cndmask_b32 v37, v34, v32 :: v_dual_add_nc_u32 v0, v0, v38
	v_dual_cndmask_b32 v35, v35, v33 :: v_dual_cndmask_b32 v34, v36, v34
	v_cndmask_b32_e32 v33, v33, v31, vcc_lo
	s_delay_alu instid0(VALU_DEP_3) | instskip(NEXT) | instid1(VALU_DEP_3)
	v_sub_nc_u32_e32 v36, 32, v0
	v_cndmask_b32_e64 v32, v35, v37, s4
	s_delay_alu instid0(VALU_DEP_4) | instskip(NEXT) | instid1(VALU_DEP_4)
	v_cndmask_b32_e64 v34, v34, v35, s4
	v_cndmask_b32_e64 v35, v37, v33, s4
	;; [unrolled: 1-line block ×3, first 2 shown]
	v_cmp_eq_u32_e64 s6, 0, v0
	s_delay_alu instid0(VALU_DEP_4) | instskip(NEXT) | instid1(VALU_DEP_4)
	v_cndmask_b32_e64 v34, v34, v32, s5
	v_cndmask_b32_e64 v32, v32, v35, s5
	s_delay_alu instid0(VALU_DEP_4) | instskip(SKIP_1) | instid1(VALU_DEP_3)
	v_cndmask_b32_e64 v35, v35, v33, s5
	v_cndmask_b32_e64 v29, v33, v29, s5
	v_alignbit_b32 v37, v34, v32, v36
	s_delay_alu instid0(VALU_DEP_3) | instskip(NEXT) | instid1(VALU_DEP_3)
	v_alignbit_b32 v38, v32, v35, v36
	v_alignbit_b32 v36, v35, v29, v36
	s_delay_alu instid0(VALU_DEP_3) | instskip(NEXT) | instid1(VALU_DEP_3)
	v_cndmask_b32_e64 v0, v37, v34, s6
	v_cndmask_b32_e64 v31, v38, v32, s6
	s_delay_alu instid0(VALU_DEP_3) | instskip(NEXT) | instid1(VALU_DEP_3)
	v_cndmask_b32_e64 v35, v36, v35, s6
	v_bfe_u32 v32, v0, 29, 1
	s_delay_alu instid0(VALU_DEP_3) | instskip(NEXT) | instid1(VALU_DEP_3)
	v_alignbit_b32 v30, v0, v31, 30
	v_alignbit_b32 v31, v31, v35, 30
	;; [unrolled: 1-line block ×3, first 2 shown]
	s_delay_alu instid0(VALU_DEP_4) | instskip(NEXT) | instid1(VALU_DEP_1)
	v_sub_nc_u32_e32 v34, 0, v32
	v_xor_b32_e32 v33, v30, v34
	v_cmp_ne_u32_e32 vcc_lo, v30, v34
	v_xor_b32_e32 v31, v31, v34
	v_xor_b32_e32 v29, v29, v34
	s_delay_alu instid0(VALU_DEP_4) | instskip(NEXT) | instid1(VALU_DEP_1)
	v_clz_i32_u32_e32 v37, v33
	v_add_nc_u32_e32 v36, 1, v37
	s_delay_alu instid0(VALU_DEP_1) | instskip(NEXT) | instid1(VALU_DEP_1)
	v_cndmask_b32_e32 v30, 33, v36, vcc_lo
	v_sub_nc_u32_e32 v35, 32, v30
	s_delay_alu instid0(VALU_DEP_1) | instskip(SKIP_3) | instid1(VALU_DEP_3)
	v_alignbit_b32 v33, v33, v31, v35
	v_alignbit_b32 v29, v31, v29, v35
	v_lshrrev_b32_e32 v31, 29, v0
	v_lshrrev_b32_e32 v0, 30, v0
	v_alignbit_b32 v34, v33, v29, 9
	s_delay_alu instid0(VALU_DEP_3) | instskip(SKIP_1) | instid1(VALU_DEP_4)
	v_lshlrev_b32_e32 v31, 31, v31
	v_alignbit_b32 v33, v30, v33, 9
	v_add_nc_u32_e32 v0, v32, v0
	s_delay_alu instid0(VALU_DEP_4) | instskip(NEXT) | instid1(VALU_DEP_3)
	v_clz_i32_u32_e32 v35, v34
	v_or_b32_e32 v33, v33, v31
	v_or_b32_e32 v31, 0x33800000, v31
	s_delay_alu instid0(VALU_DEP_3) | instskip(NEXT) | instid1(VALU_DEP_3)
	v_min_u32_e32 v35, 32, v35
	v_xor_b32_e32 v33, 1.0, v33
	s_delay_alu instid0(VALU_DEP_2) | instskip(SKIP_1) | instid1(VALU_DEP_3)
	v_sub_nc_u32_e32 v36, 31, v35
	v_add_lshl_u32 v30, v35, v30, 23
	v_mul_f32_e32 v35, 0x3fc90fda, v33
	s_delay_alu instid0(VALU_DEP_3) | instskip(NEXT) | instid1(VALU_DEP_3)
	v_alignbit_b32 v29, v34, v29, v36
	v_sub_nc_u32_e32 v30, v31, v30
	s_delay_alu instid0(VALU_DEP_3) | instskip(NEXT) | instid1(VALU_DEP_3)
	v_fma_f32 v31, 0x3fc90fda, v33, -v35
	v_lshrrev_b32_e32 v29, 9, v29
	s_delay_alu instid0(VALU_DEP_2) | instskip(NEXT) | instid1(VALU_DEP_2)
	v_fmac_f32_e32 v31, 0x33a22168, v33
	v_or_b32_e32 v29, v30, v29
	s_delay_alu instid0(VALU_DEP_1) | instskip(NEXT) | instid1(VALU_DEP_1)
	v_fmac_f32_e32 v31, 0x3fc90fda, v29
	v_add_f32_e32 v29, v35, v31
.LBB157_212:                            ;   in Loop: Header=BB157_161 Depth=1
	s_and_not1_saveexec_b32 s4, s29
; %bb.213:                              ;   in Loop: Header=BB157_161 Depth=1
	v_mul_f32_e64 v0, 0x3f22f983, |v9|
	s_delay_alu instid0(VALU_DEP_1) | instskip(NEXT) | instid1(VALU_DEP_1)
	v_rndne_f32_e32 v0, v0
	v_fma_f32 v29, 0xbfc90fda, v0, |v9|
	s_delay_alu instid0(VALU_DEP_1) | instskip(NEXT) | instid1(VALU_DEP_1)
	v_fmac_f32_e32 v29, 0xb3a22168, v0
	v_fmac_f32_e32 v29, 0xa7c234c4, v0
	v_cvt_i32_f32_e32 v0, v0
; %bb.214:                              ;   in Loop: Header=BB157_161 Depth=1
	s_or_b32 exec_lo, exec_lo, s4
	v_add_f32_e64 v30, 0xbf317218, |v8|
	v_cmp_nlt_f32_e64 vcc_lo, 0x42b2d4fc, |v8|
	v_cmp_gt_f32_e64 s4, 0x39800000, |v8|
	v_and_b32_e32 v0, 1, v0
	s_delay_alu instid0(VALU_DEP_4) | instskip(NEXT) | instid1(VALU_DEP_1)
	v_sub_f32_e64 v31, v30, |v8|
	v_dual_sub_f32 v32, v31, v30 :: v_dual_add_f32 v31, 0x3f317218, v31
	s_delay_alu instid0(VALU_DEP_1) | instskip(NEXT) | instid1(VALU_DEP_1)
	v_add_f32_e64 v32, |v8|, v32
	v_sub_f32_e32 v31, v32, v31
	s_delay_alu instid0(VALU_DEP_1) | instskip(NEXT) | instid1(VALU_DEP_1)
	v_add_f32_e32 v31, 0x3102e308, v31
	v_add_f32_e32 v32, v30, v31
	s_delay_alu instid0(VALU_DEP_1) | instskip(NEXT) | instid1(VALU_DEP_1)
	v_sub_f32_e32 v30, v30, v32
	v_dual_mul_f32 v33, 0x3fb8aa3b, v32 :: v_dual_add_f32 v30, v31, v30
	s_delay_alu instid0(VALU_DEP_1) | instskip(NEXT) | instid1(VALU_DEP_1)
	v_rndne_f32_e32 v33, v33
	v_mul_f32_e32 v31, 0x35bfbc00, v33
	v_fmac_f32_e32 v32, 0xbf317200, v33
	s_delay_alu instid0(VALU_DEP_1) | instskip(NEXT) | instid1(VALU_DEP_1)
	v_add_f32_e32 v34, v30, v32
	v_dual_sub_f32 v35, v34, v31 :: v_dual_sub_f32 v32, v32, v34
	s_delay_alu instid0(VALU_DEP_1) | instskip(NEXT) | instid1(VALU_DEP_1)
	v_sub_f32_e32 v34, v34, v35
	v_sub_f32_e32 v31, v34, v31
	s_delay_alu instid0(VALU_DEP_3) | instskip(NEXT) | instid1(VALU_DEP_1)
	v_add_f32_e32 v30, v30, v32
	v_dual_add_f32 v30, v30, v31 :: v_dual_mul_f32 v31, 0x2ea39ef3, v33
	s_delay_alu instid0(VALU_DEP_1) | instskip(NEXT) | instid1(VALU_DEP_1)
	v_add_f32_e32 v32, v35, v30
	v_dual_sub_f32 v34, v32, v31 :: v_dual_sub_f32 v35, v35, v32
	s_delay_alu instid0(VALU_DEP_1) | instskip(NEXT) | instid1(VALU_DEP_2)
	v_sub_f32_e32 v32, v32, v34
	v_add_f32_e32 v30, v30, v35
	s_delay_alu instid0(VALU_DEP_2) | instskip(NEXT) | instid1(VALU_DEP_1)
	v_sub_f32_e32 v31, v32, v31
	v_add_f32_e32 v30, v30, v31
	s_delay_alu instid0(VALU_DEP_1) | instskip(NEXT) | instid1(VALU_DEP_1)
	v_add_f32_e32 v31, v34, v30
	v_sub_f32_e32 v32, v34, v31
	v_mul_f32_e32 v34, v31, v31
	s_delay_alu instid0(VALU_DEP_2) | instskip(SKIP_1) | instid1(VALU_DEP_3)
	v_add_f32_e32 v30, v30, v32
	v_fmaak_f32 v32, s24, v31, 0x3c091de6
	v_fma_f32 v35, v31, v31, -v34
	s_delay_alu instid0(VALU_DEP_3) | instskip(NEXT) | instid1(VALU_DEP_3)
	v_add_f32_e32 v36, v30, v30
	v_fmaak_f32 v32, v31, v32, 0x3d2aadcc
	s_delay_alu instid0(VALU_DEP_2) | instskip(NEXT) | instid1(VALU_DEP_2)
	v_fmac_f32_e32 v35, v31, v36
	v_fmaak_f32 v32, v31, v32, 0x3e2aaa47
	s_delay_alu instid0(VALU_DEP_2) | instskip(NEXT) | instid1(VALU_DEP_2)
	v_add_f32_e32 v36, v34, v35
	v_fmaak_f32 v32, v31, v32, 0x3efffffc
	s_delay_alu instid0(VALU_DEP_2) | instskip(NEXT) | instid1(VALU_DEP_1)
	v_sub_f32_e32 v34, v36, v34
	v_dual_mul_f32 v37, v32, v36 :: v_dual_sub_f32 v34, v35, v34
	s_delay_alu instid0(VALU_DEP_1) | instskip(NEXT) | instid1(VALU_DEP_1)
	v_fma_f32 v35, v36, v32, -v37
	v_fmac_f32_e32 v35, v34, v32
	s_delay_alu instid0(VALU_DEP_1) | instskip(NEXT) | instid1(VALU_DEP_1)
	v_add_f32_e32 v32, v37, v35
	v_sub_f32_e32 v36, v32, v37
	v_add_f32_e32 v34, v31, v32
	s_delay_alu instid0(VALU_DEP_2) | instskip(NEXT) | instid1(VALU_DEP_2)
	v_sub_f32_e32 v35, v35, v36
	v_sub_f32_e32 v31, v34, v31
	s_delay_alu instid0(VALU_DEP_1) | instskip(NEXT) | instid1(VALU_DEP_3)
	v_sub_f32_e32 v31, v32, v31
	v_add_f32_e32 v30, v30, v35
	s_delay_alu instid0(VALU_DEP_1) | instskip(NEXT) | instid1(VALU_DEP_1)
	v_add_f32_e32 v30, v30, v31
	v_add_f32_e32 v31, v34, v30
	s_delay_alu instid0(VALU_DEP_1) | instskip(NEXT) | instid1(VALU_DEP_1)
	v_add_f32_e32 v32, 1.0, v31
	v_dual_sub_f32 v34, v31, v34 :: v_dual_add_f32 v35, -1.0, v32
	s_delay_alu instid0(VALU_DEP_1) | instskip(NEXT) | instid1(VALU_DEP_1)
	v_dual_sub_f32 v30, v30, v34 :: v_dual_sub_f32 v31, v31, v35
	v_add_f32_e32 v30, v30, v31
	v_cvt_i32_f32_e32 v31, v33
	s_delay_alu instid0(VALU_DEP_2) | instskip(NEXT) | instid1(VALU_DEP_1)
	v_add_f32_e32 v33, v32, v30
	v_ldexp_f32 v34, v33, v31
	s_delay_alu instid0(VALU_DEP_1) | instskip(SKIP_1) | instid1(VALU_DEP_1)
	v_rcp_f32_e32 v35, v34
	v_sub_f32_e32 v32, v33, v32
	v_sub_f32_e32 v30, v30, v32
	s_waitcnt_depctr 0xfff
	v_mul_f32_e32 v32, v34, v35
	v_ldexp_f32 v30, v30, v31
	s_delay_alu instid0(VALU_DEP_2) | instskip(NEXT) | instid1(VALU_DEP_1)
	v_fma_f32 v31, v35, v34, -v32
	v_fmac_f32_e32 v31, v35, v30
	s_delay_alu instid0(VALU_DEP_1) | instskip(NEXT) | instid1(VALU_DEP_1)
	v_add_f32_e32 v33, v32, v31
	v_sub_f32_e32 v36, 1.0, v33
	v_sub_f32_e32 v32, v33, v32
	s_delay_alu instid0(VALU_DEP_2) | instskip(NEXT) | instid1(VALU_DEP_1)
	v_sub_f32_e32 v37, 1.0, v36
	v_dual_sub_f32 v31, v32, v31 :: v_dual_sub_f32 v32, v37, v33
	s_delay_alu instid0(VALU_DEP_1) | instskip(NEXT) | instid1(VALU_DEP_1)
	v_add_f32_e32 v31, v31, v32
	v_add_f32_e32 v32, v36, v31
	s_delay_alu instid0(VALU_DEP_1) | instskip(NEXT) | instid1(VALU_DEP_1)
	v_mul_f32_e32 v33, v35, v32
	v_dual_sub_f32 v36, v36, v32 :: v_dual_mul_f32 v37, v34, v33
	s_delay_alu instid0(VALU_DEP_1) | instskip(NEXT) | instid1(VALU_DEP_2)
	v_add_f32_e32 v31, v31, v36
	v_fma_f32 v38, v33, v34, -v37
	s_delay_alu instid0(VALU_DEP_1) | instskip(NEXT) | instid1(VALU_DEP_1)
	v_fmac_f32_e32 v38, v33, v30
	v_add_f32_e32 v39, v37, v38
	s_delay_alu instid0(VALU_DEP_1) | instskip(SKIP_1) | instid1(VALU_DEP_2)
	v_sub_f32_e32 v40, v32, v39
	v_sub_f32_e32 v36, v39, v37
	;; [unrolled: 1-line block ×3, first 2 shown]
	s_delay_alu instid0(VALU_DEP_2) | instskip(NEXT) | instid1(VALU_DEP_2)
	v_sub_f32_e32 v36, v36, v38
	v_sub_f32_e32 v32, v32, v39
	s_delay_alu instid0(VALU_DEP_1) | instskip(NEXT) | instid1(VALU_DEP_1)
	v_add_f32_e32 v31, v31, v32
	v_dual_add_f32 v32, v35, v33 :: v_dual_add_f32 v31, v36, v31
	s_delay_alu instid0(VALU_DEP_1) | instskip(NEXT) | instid1(VALU_DEP_2)
	v_sub_f32_e32 v36, v32, v35
	v_add_f32_e32 v31, v40, v31
	s_delay_alu instid0(VALU_DEP_2) | instskip(NEXT) | instid1(VALU_DEP_2)
	v_sub_f32_e32 v33, v33, v36
	v_mul_f32_e32 v31, v35, v31
	s_delay_alu instid0(VALU_DEP_1) | instskip(NEXT) | instid1(VALU_DEP_1)
	v_add_f32_e32 v31, v33, v31
	v_add_f32_e32 v33, v32, v31
	s_delay_alu instid0(VALU_DEP_1) | instskip(SKIP_1) | instid1(VALU_DEP_1)
	v_ldexp_f32 v35, v33, -2
	v_sub_f32_e32 v32, v33, v32
	v_dual_sub_f32 v36, v34, v35 :: v_dual_sub_f32 v31, v31, v32
	s_delay_alu instid0(VALU_DEP_1) | instskip(NEXT) | instid1(VALU_DEP_2)
	v_sub_f32_e32 v33, v34, v36
	v_ldexp_f32 v31, v31, -2
	s_delay_alu instid0(VALU_DEP_2) | instskip(NEXT) | instid1(VALU_DEP_1)
	v_sub_f32_e32 v32, v33, v35
	v_add_f32_e32 v30, v30, v32
	s_delay_alu instid0(VALU_DEP_1) | instskip(NEXT) | instid1(VALU_DEP_1)
	v_dual_sub_f32 v30, v30, v31 :: v_dual_mul_f32 v31, v29, v29
	v_add_f32_e32 v30, v36, v30
	s_delay_alu instid0(VALU_DEP_2) | instskip(NEXT) | instid1(VALU_DEP_2)
	v_fmaak_f32 v32, s23, v31, 0xbf039337
	v_cndmask_b32_e32 v30, 0x7f800000, v30, vcc_lo
	s_delay_alu instid0(VALU_DEP_2) | instskip(NEXT) | instid1(VALU_DEP_2)
	v_fmaak_f32 v32, v31, v32, 0x3f93f425
	v_cndmask_b32_e64 v30, v30, |v8|, s4
	s_delay_alu instid0(VALU_DEP_2) | instskip(NEXT) | instid1(VALU_DEP_1)
	v_rcp_f32_e32 v32, v32
	v_bfi_b32 v8, 0x7fffffff, v30, v8
	v_fmaak_f32 v30, s22, v31, 0x3ec54587
	s_delay_alu instid0(VALU_DEP_2) | instskip(SKIP_4) | instid1(VALU_DEP_2)
	v_fma_f32 v33, v8, v8, 1.0
	s_waitcnt_depctr 0xfff
	v_mul_f32_e32 v30, v30, v32
	v_mul_f32_e32 v32, 0x4f800000, v33
	v_cmp_gt_f32_e32 vcc_lo, 0xf800000, v33
	v_dual_mul_f32 v30, v31, v30 :: v_dual_cndmask_b32 v31, v33, v32
	s_delay_alu instid0(VALU_DEP_1) | instskip(NEXT) | instid1(VALU_DEP_2)
	v_fma_f32 v32, v30, v29, v29
	v_sqrt_f32_e32 v33, v31
	s_delay_alu instid0(VALU_DEP_1) | instskip(SKIP_1) | instid1(VALU_DEP_1)
	v_rcp_f32_e32 v34, v32
	v_sub_f32_e32 v35, v32, v29
	v_fma_f32 v29, v30, v29, -v35
	s_waitcnt_depctr 0xfff
	v_add_nc_u32_e32 v36, -1, v33
	v_fma_f32 v30, v32, -v34, 1.0
	v_add_nc_u32_e32 v35, 1, v33
	s_delay_alu instid0(VALU_DEP_3) | instskip(NEXT) | instid1(VALU_DEP_3)
	v_fma_f32 v37, -v36, v33, v31
	v_fma_f32 v29, v29, -v34, v30
	s_delay_alu instid0(VALU_DEP_3) | instskip(NEXT) | instid1(VALU_DEP_3)
	v_fma_f32 v30, -v35, v33, v31
	v_cmp_ge_f32_e64 s4, 0, v37
	s_delay_alu instid0(VALU_DEP_3) | instskip(NEXT) | instid1(VALU_DEP_2)
	v_fma_f32 v29, v29, -v34, -v34
	v_cndmask_b32_e64 v33, v33, v36, s4
	s_delay_alu instid0(VALU_DEP_4) | instskip(NEXT) | instid1(VALU_DEP_1)
	v_cmp_lt_f32_e64 s4, 0, v30
	v_cndmask_b32_e64 v30, v33, v35, s4
	v_cmp_eq_u32_e64 s4, 0, v0
	s_delay_alu instid0(VALU_DEP_1) | instskip(NEXT) | instid1(VALU_DEP_3)
	v_cndmask_b32_e64 v0, v29, v32, s4
	v_mul_f32_e32 v29, 0x37800000, v30
	s_delay_alu instid0(VALU_DEP_2) | instskip(NEXT) | instid1(VALU_DEP_2)
	v_xor3_b32 v0, v28, v0, v9
	v_cndmask_b32_e32 v9, v30, v29, vcc_lo
	v_cmp_class_f32_e64 vcc_lo, v31, 0x260
	s_delay_alu instid0(VALU_DEP_3) | instskip(NEXT) | instid1(VALU_DEP_3)
	v_fma_f32 v28, v0, v0, 1.0
	v_cndmask_b32_e32 v9, v9, v31, vcc_lo
	s_delay_alu instid0(VALU_DEP_2) | instskip(NEXT) | instid1(VALU_DEP_2)
	v_mul_f32_e32 v29, v8, v28
	v_mul_f32_e32 v9, v9, v28
	s_delay_alu instid0(VALU_DEP_2) | instskip(NEXT) | instid1(VALU_DEP_2)
	v_fma_f32 v28, v8, v29, 1.0
	v_mul_f32_e32 v8, v8, v9
	s_delay_alu instid0(VALU_DEP_2) | instskip(NEXT) | instid1(VALU_DEP_2)
	v_div_scale_f32 v29, null, v28, v28, v0
	v_div_scale_f32 v9, null, v28, v28, v8
	v_div_scale_f32 v34, vcc_lo, v8, v28, v8
	s_delay_alu instid0(VALU_DEP_3) | instskip(NEXT) | instid1(VALU_DEP_2)
	v_rcp_f32_e32 v31, v29
	v_rcp_f32_e32 v30, v9
	s_waitcnt_depctr 0xfff
	v_fma_f32 v33, -v29, v31, 1.0
	v_fma_f32 v32, -v9, v30, 1.0
	s_delay_alu instid0(VALU_DEP_1) | instskip(SKIP_1) | instid1(VALU_DEP_2)
	v_dual_fmac_f32 v31, v33, v31 :: v_dual_fmac_f32 v30, v32, v30
	v_div_scale_f32 v32, s4, v0, v28, v0
	v_mul_f32_e32 v33, v34, v30
	s_delay_alu instid0(VALU_DEP_2) | instskip(NEXT) | instid1(VALU_DEP_2)
	v_mul_f32_e32 v35, v32, v31
	v_fma_f32 v36, -v9, v33, v34
	s_delay_alu instid0(VALU_DEP_2) | instskip(NEXT) | instid1(VALU_DEP_2)
	v_fma_f32 v37, -v29, v35, v32
	v_fmac_f32_e32 v33, v36, v30
	s_delay_alu instid0(VALU_DEP_2) | instskip(NEXT) | instid1(VALU_DEP_2)
	v_fmac_f32_e32 v35, v37, v31
	v_fma_f32 v9, -v9, v33, v34
	s_delay_alu instid0(VALU_DEP_2) | instskip(NEXT) | instid1(VALU_DEP_2)
	v_fma_f32 v29, -v29, v35, v32
	v_div_fmas_f32 v9, v9, v30, v33
	s_mov_b32 vcc_lo, s4
	s_delay_alu instid0(VALU_DEP_2) | instskip(NEXT) | instid1(VALU_DEP_2)
	v_div_fmas_f32 v29, v29, v31, v35
	v_div_fixup_f32 v8, v9, v28, v8
	s_delay_alu instid0(VALU_DEP_2)
	v_div_fixup_f32 v9, v29, v28, v0
                                        ; implicit-def: $vgpr28
.LBB157_215:                            ;   in Loop: Header=BB157_161 Depth=1
	s_and_not1_saveexec_b32 s28, s28
	s_cbranch_execz .LBB157_225
; %bb.216:                              ;   in Loop: Header=BB157_161 Depth=1
	s_delay_alu instid0(VALU_DEP_1) | instskip(NEXT) | instid1(VALU_DEP_1)
	v_cmp_ngt_f32_e64 s29, 0x48000000, |v9|
                                        ; implicit-def: $vgpr30
                                        ; implicit-def: $vgpr29
	s_and_saveexec_b32 s4, s29
	s_delay_alu instid0(SALU_CYCLE_1)
	s_xor_b32 s30, exec_lo, s4
	s_cbranch_execz .LBB157_218
; %bb.217:                              ;   in Loop: Header=BB157_161 Depth=1
	v_and_or_b32 v37, v28, s7, 0x800000
	v_lshrrev_b32_e32 v34, 23, v28
	s_delay_alu instid0(VALU_DEP_2) | instskip(NEXT) | instid1(VALU_DEP_2)
	v_mad_u64_u32 v[29:30], null, 0xfe5163ab, v37, 0
	v_add_nc_u32_e32 v35, 0xffffff88, v34
	s_delay_alu instid0(VALU_DEP_1) | instskip(NEXT) | instid1(VALU_DEP_3)
	v_cmp_lt_u32_e32 vcc_lo, 63, v35
	v_mov_b32_e32 v0, v30
	v_cndmask_b32_e64 v36, 0, 0xffffffc0, vcc_lo
	s_delay_alu instid0(VALU_DEP_2) | instskip(NEXT) | instid1(VALU_DEP_2)
	v_mad_u64_u32 v[30:31], null, 0x3c439041, v37, v[0:1]
	v_add_nc_u32_e32 v36, v36, v35
	s_delay_alu instid0(VALU_DEP_2) | instskip(NEXT) | instid1(VALU_DEP_2)
	v_mov_b32_e32 v0, v31
	v_cmp_lt_u32_e64 s4, 31, v36
	s_delay_alu instid0(VALU_DEP_2) | instskip(NEXT) | instid1(VALU_DEP_2)
	v_mad_u64_u32 v[31:32], null, 0xdb629599, v37, v[0:1]
	v_cndmask_b32_e64 v38, 0, 0xffffffe0, s4
	s_delay_alu instid0(VALU_DEP_1) | instskip(NEXT) | instid1(VALU_DEP_3)
	v_add_nc_u32_e32 v38, v38, v36
	v_dual_mov_b32 v0, v32 :: v_dual_cndmask_b32 v29, v31, v29
	s_delay_alu instid0(VALU_DEP_2) | instskip(NEXT) | instid1(VALU_DEP_2)
	v_cmp_lt_u32_e64 s5, 31, v38
	v_mad_u64_u32 v[32:33], null, 0xf534ddc0, v37, v[0:1]
	s_delay_alu instid0(VALU_DEP_1) | instskip(NEXT) | instid1(VALU_DEP_2)
	v_mov_b32_e32 v0, v33
	v_cndmask_b32_e32 v30, v32, v30, vcc_lo
	s_delay_alu instid0(VALU_DEP_2) | instskip(NEXT) | instid1(VALU_DEP_2)
	v_mad_u64_u32 v[33:34], null, 0xfc2757d1, v37, v[0:1]
	v_cndmask_b32_e64 v29, v30, v29, s4
	s_delay_alu instid0(VALU_DEP_2) | instskip(NEXT) | instid1(VALU_DEP_1)
	v_mov_b32_e32 v0, v34
	v_mad_u64_u32 v[34:35], null, 0x4e441529, v37, v[0:1]
	s_delay_alu instid0(VALU_DEP_1) | instskip(NEXT) | instid1(VALU_DEP_1)
	v_mov_b32_e32 v0, v35
	v_mad_u64_u32 v[35:36], null, 0xa2f9836e, v37, v[0:1]
	v_cndmask_b32_e64 v0, 0, 0xffffffe0, s5
	s_delay_alu instid0(VALU_DEP_1) | instskip(NEXT) | instid1(VALU_DEP_3)
	v_dual_cndmask_b32 v37, v34, v32 :: v_dual_add_nc_u32 v0, v0, v38
	v_dual_cndmask_b32 v35, v35, v33 :: v_dual_cndmask_b32 v34, v36, v34
	v_cndmask_b32_e32 v33, v33, v31, vcc_lo
	s_delay_alu instid0(VALU_DEP_3) | instskip(NEXT) | instid1(VALU_DEP_3)
	v_sub_nc_u32_e32 v36, 32, v0
	v_cndmask_b32_e64 v32, v35, v37, s4
	s_delay_alu instid0(VALU_DEP_4) | instskip(NEXT) | instid1(VALU_DEP_4)
	v_cndmask_b32_e64 v34, v34, v35, s4
	v_cndmask_b32_e64 v35, v37, v33, s4
	;; [unrolled: 1-line block ×3, first 2 shown]
	v_cmp_eq_u32_e64 s6, 0, v0
	s_delay_alu instid0(VALU_DEP_4) | instskip(NEXT) | instid1(VALU_DEP_4)
	v_cndmask_b32_e64 v34, v34, v32, s5
	v_cndmask_b32_e64 v32, v32, v35, s5
	s_delay_alu instid0(VALU_DEP_4) | instskip(SKIP_1) | instid1(VALU_DEP_3)
	v_cndmask_b32_e64 v35, v35, v33, s5
	v_cndmask_b32_e64 v29, v33, v29, s5
	v_alignbit_b32 v37, v34, v32, v36
	s_delay_alu instid0(VALU_DEP_3) | instskip(NEXT) | instid1(VALU_DEP_3)
	v_alignbit_b32 v38, v32, v35, v36
	v_alignbit_b32 v36, v35, v29, v36
	s_delay_alu instid0(VALU_DEP_3) | instskip(NEXT) | instid1(VALU_DEP_3)
	v_cndmask_b32_e64 v0, v37, v34, s6
	v_cndmask_b32_e64 v31, v38, v32, s6
	s_delay_alu instid0(VALU_DEP_3) | instskip(NEXT) | instid1(VALU_DEP_3)
	v_cndmask_b32_e64 v35, v36, v35, s6
	v_bfe_u32 v32, v0, 29, 1
	s_delay_alu instid0(VALU_DEP_3) | instskip(NEXT) | instid1(VALU_DEP_3)
	v_alignbit_b32 v30, v0, v31, 30
	v_alignbit_b32 v31, v31, v35, 30
	;; [unrolled: 1-line block ×3, first 2 shown]
	s_delay_alu instid0(VALU_DEP_4) | instskip(NEXT) | instid1(VALU_DEP_1)
	v_sub_nc_u32_e32 v34, 0, v32
	v_xor_b32_e32 v33, v30, v34
	v_cmp_ne_u32_e32 vcc_lo, v30, v34
	v_xor_b32_e32 v31, v31, v34
	v_xor_b32_e32 v29, v29, v34
	s_delay_alu instid0(VALU_DEP_4) | instskip(NEXT) | instid1(VALU_DEP_1)
	v_clz_i32_u32_e32 v37, v33
	v_add_nc_u32_e32 v36, 1, v37
	s_delay_alu instid0(VALU_DEP_1) | instskip(NEXT) | instid1(VALU_DEP_1)
	v_cndmask_b32_e32 v30, 33, v36, vcc_lo
	v_sub_nc_u32_e32 v35, 32, v30
	s_delay_alu instid0(VALU_DEP_1) | instskip(SKIP_3) | instid1(VALU_DEP_3)
	v_alignbit_b32 v33, v33, v31, v35
	v_alignbit_b32 v29, v31, v29, v35
	v_lshrrev_b32_e32 v31, 29, v0
	v_lshrrev_b32_e32 v0, 30, v0
	v_alignbit_b32 v34, v33, v29, 9
	s_delay_alu instid0(VALU_DEP_3) | instskip(SKIP_1) | instid1(VALU_DEP_3)
	v_lshlrev_b32_e32 v31, 31, v31
	v_alignbit_b32 v33, v30, v33, 9
	v_clz_i32_u32_e32 v35, v34
	s_delay_alu instid0(VALU_DEP_2) | instskip(SKIP_1) | instid1(VALU_DEP_3)
	v_or_b32_e32 v33, v33, v31
	v_or_b32_e32 v31, 0x33800000, v31
	v_min_u32_e32 v35, 32, v35
	s_delay_alu instid0(VALU_DEP_3) | instskip(NEXT) | instid1(VALU_DEP_2)
	v_xor_b32_e32 v33, 1.0, v33
	v_sub_nc_u32_e32 v36, 31, v35
	v_add_lshl_u32 v30, v35, v30, 23
	s_delay_alu instid0(VALU_DEP_3) | instskip(NEXT) | instid1(VALU_DEP_3)
	v_mul_f32_e32 v35, 0x3fc90fda, v33
	v_alignbit_b32 v29, v34, v29, v36
	s_delay_alu instid0(VALU_DEP_3) | instskip(NEXT) | instid1(VALU_DEP_3)
	v_sub_nc_u32_e32 v30, v31, v30
	v_fma_f32 v31, 0x3fc90fda, v33, -v35
	s_delay_alu instid0(VALU_DEP_3) | instskip(NEXT) | instid1(VALU_DEP_2)
	v_lshrrev_b32_e32 v29, 9, v29
	v_fmac_f32_e32 v31, 0x33a22168, v33
	s_delay_alu instid0(VALU_DEP_2) | instskip(NEXT) | instid1(VALU_DEP_1)
	v_or_b32_e32 v29, v30, v29
	v_dual_fmac_f32 v31, 0x3fc90fda, v29 :: v_dual_add_nc_u32 v30, v32, v0
	s_delay_alu instid0(VALU_DEP_1)
	v_add_f32_e32 v29, v35, v31
	s_and_not1_saveexec_b32 s4, s30
	s_branch .LBB157_219
.LBB157_218:                            ;   in Loop: Header=BB157_161 Depth=1
	s_and_not1_saveexec_b32 s4, s30
.LBB157_219:                            ;   in Loop: Header=BB157_161 Depth=1
	v_mul_f32_e64 v0, 0x3f22f983, |v9|
	s_delay_alu instid0(VALU_DEP_1) | instskip(NEXT) | instid1(VALU_DEP_1)
	v_rndne_f32_e32 v0, v0
	v_fma_f32 v29, 0xbfc90fda, v0, |v9|
	v_cvt_i32_f32_e32 v30, v0
	s_delay_alu instid0(VALU_DEP_2) | instskip(NEXT) | instid1(VALU_DEP_1)
	v_fmac_f32_e32 v29, 0xb3a22168, v0
	v_fmac_f32_e32 v29, 0xa7c234c4, v0
; %bb.220:                              ;   in Loop: Header=BB157_161 Depth=1
	s_or_b32 exec_lo, exec_lo, s4
                                        ; implicit-def: $vgpr31
                                        ; implicit-def: $vgpr0
	s_and_saveexec_b32 s4, s29
	s_delay_alu instid0(SALU_CYCLE_1)
	s_xor_b32 s29, exec_lo, s4
	s_cbranch_execz .LBB157_222
; %bb.221:                              ;   in Loop: Header=BB157_161 Depth=1
	v_and_or_b32 v39, v28, s7, 0x800000
	v_lshrrev_b32_e32 v36, 23, v28
	s_delay_alu instid0(VALU_DEP_2) | instskip(NEXT) | instid1(VALU_DEP_2)
	v_mad_u64_u32 v[31:32], null, 0xfe5163ab, v39, 0
	v_add_nc_u32_e32 v37, 0xffffff88, v36
	s_delay_alu instid0(VALU_DEP_1) | instskip(NEXT) | instid1(VALU_DEP_3)
	v_cmp_lt_u32_e32 vcc_lo, 63, v37
	v_mov_b32_e32 v0, v32
	v_cndmask_b32_e64 v38, 0, 0xffffffc0, vcc_lo
	s_delay_alu instid0(VALU_DEP_2) | instskip(NEXT) | instid1(VALU_DEP_2)
	v_mad_u64_u32 v[32:33], null, 0x3c439041, v39, v[0:1]
	v_add_nc_u32_e32 v38, v38, v37
	s_delay_alu instid0(VALU_DEP_2) | instskip(NEXT) | instid1(VALU_DEP_2)
	v_mov_b32_e32 v0, v33
	v_cmp_lt_u32_e64 s4, 31, v38
	s_delay_alu instid0(VALU_DEP_2) | instskip(NEXT) | instid1(VALU_DEP_2)
	v_mad_u64_u32 v[33:34], null, 0xdb629599, v39, v[0:1]
	v_cndmask_b32_e64 v40, 0, 0xffffffe0, s4
	s_delay_alu instid0(VALU_DEP_1) | instskip(NEXT) | instid1(VALU_DEP_3)
	v_add_nc_u32_e32 v40, v40, v38
	v_dual_mov_b32 v0, v34 :: v_dual_cndmask_b32 v31, v33, v31
	s_delay_alu instid0(VALU_DEP_2) | instskip(NEXT) | instid1(VALU_DEP_2)
	v_cmp_lt_u32_e64 s5, 31, v40
	v_mad_u64_u32 v[34:35], null, 0xf534ddc0, v39, v[0:1]
	s_delay_alu instid0(VALU_DEP_1) | instskip(NEXT) | instid1(VALU_DEP_2)
	v_mov_b32_e32 v0, v35
	v_cndmask_b32_e32 v32, v34, v32, vcc_lo
	s_delay_alu instid0(VALU_DEP_2) | instskip(NEXT) | instid1(VALU_DEP_2)
	v_mad_u64_u32 v[35:36], null, 0xfc2757d1, v39, v[0:1]
	v_cndmask_b32_e64 v31, v32, v31, s4
	s_delay_alu instid0(VALU_DEP_2) | instskip(NEXT) | instid1(VALU_DEP_1)
	v_mov_b32_e32 v0, v36
	v_mad_u64_u32 v[36:37], null, 0x4e441529, v39, v[0:1]
	s_delay_alu instid0(VALU_DEP_1) | instskip(NEXT) | instid1(VALU_DEP_1)
	v_mov_b32_e32 v0, v37
	v_mad_u64_u32 v[37:38], null, 0xa2f9836e, v39, v[0:1]
	v_cndmask_b32_e64 v0, 0, 0xffffffe0, s5
	s_delay_alu instid0(VALU_DEP_4) | instskip(NEXT) | instid1(VALU_DEP_2)
	v_cndmask_b32_e32 v39, v36, v34, vcc_lo
	v_dual_cndmask_b32 v37, v37, v35 :: v_dual_add_nc_u32 v0, v0, v40
	s_delay_alu instid0(VALU_DEP_4) | instskip(NEXT) | instid1(VALU_DEP_2)
	v_dual_cndmask_b32 v36, v38, v36 :: v_dual_cndmask_b32 v35, v35, v33
	v_sub_nc_u32_e32 v38, 32, v0
	s_delay_alu instid0(VALU_DEP_3) | instskip(NEXT) | instid1(VALU_DEP_3)
	v_cndmask_b32_e64 v34, v37, v39, s4
	v_cndmask_b32_e64 v36, v36, v37, s4
	s_delay_alu instid0(VALU_DEP_4) | instskip(SKIP_2) | instid1(VALU_DEP_4)
	v_cndmask_b32_e64 v37, v39, v35, s4
	v_cndmask_b32_e64 v35, v35, v32, s4
	v_cmp_eq_u32_e64 s6, 0, v0
	v_cndmask_b32_e64 v36, v36, v34, s5
	s_delay_alu instid0(VALU_DEP_4) | instskip(NEXT) | instid1(VALU_DEP_4)
	v_cndmask_b32_e64 v34, v34, v37, s5
	v_cndmask_b32_e64 v37, v37, v35, s5
	;; [unrolled: 1-line block ×3, first 2 shown]
	s_delay_alu instid0(VALU_DEP_3) | instskip(NEXT) | instid1(VALU_DEP_3)
	v_alignbit_b32 v39, v36, v34, v38
	v_alignbit_b32 v40, v34, v37, v38
	s_delay_alu instid0(VALU_DEP_3) | instskip(NEXT) | instid1(VALU_DEP_3)
	v_alignbit_b32 v38, v37, v31, v38
	v_cndmask_b32_e64 v0, v39, v36, s6
	s_delay_alu instid0(VALU_DEP_3) | instskip(NEXT) | instid1(VALU_DEP_3)
	v_cndmask_b32_e64 v33, v40, v34, s6
	v_cndmask_b32_e64 v37, v38, v37, s6
	s_delay_alu instid0(VALU_DEP_3) | instskip(NEXT) | instid1(VALU_DEP_3)
	v_bfe_u32 v34, v0, 29, 1
	v_alignbit_b32 v32, v0, v33, 30
	s_delay_alu instid0(VALU_DEP_3) | instskip(SKIP_1) | instid1(VALU_DEP_4)
	v_alignbit_b32 v33, v33, v37, 30
	v_alignbit_b32 v31, v37, v31, 30
	v_sub_nc_u32_e32 v36, 0, v34
	s_delay_alu instid0(VALU_DEP_1) | instskip(SKIP_3) | instid1(VALU_DEP_4)
	v_xor_b32_e32 v35, v32, v36
	v_cmp_ne_u32_e32 vcc_lo, v32, v36
	v_xor_b32_e32 v33, v33, v36
	v_xor_b32_e32 v31, v31, v36
	v_clz_i32_u32_e32 v39, v35
	s_delay_alu instid0(VALU_DEP_1) | instskip(NEXT) | instid1(VALU_DEP_1)
	v_add_nc_u32_e32 v38, 1, v39
	v_cndmask_b32_e32 v32, 33, v38, vcc_lo
	s_delay_alu instid0(VALU_DEP_1) | instskip(NEXT) | instid1(VALU_DEP_1)
	v_sub_nc_u32_e32 v37, 32, v32
	v_alignbit_b32 v35, v35, v33, v37
	v_alignbit_b32 v31, v33, v31, v37
	v_lshrrev_b32_e32 v33, 29, v0
	s_delay_alu instid0(VALU_DEP_2) | instskip(NEXT) | instid1(VALU_DEP_2)
	v_alignbit_b32 v36, v35, v31, 9
	v_lshlrev_b32_e32 v33, 31, v33
	v_alignbit_b32 v35, v32, v35, 9
	s_delay_alu instid0(VALU_DEP_3) | instskip(NEXT) | instid1(VALU_DEP_2)
	v_clz_i32_u32_e32 v37, v36
	v_or_b32_e32 v35, v35, v33
	v_or_b32_e32 v33, 0x33800000, v33
	s_delay_alu instid0(VALU_DEP_3) | instskip(NEXT) | instid1(VALU_DEP_3)
	v_min_u32_e32 v37, 32, v37
	v_xor_b32_e32 v35, 1.0, v35
	s_delay_alu instid0(VALU_DEP_2) | instskip(SKIP_1) | instid1(VALU_DEP_3)
	v_sub_nc_u32_e32 v38, 31, v37
	v_add_lshl_u32 v32, v37, v32, 23
	v_mul_f32_e32 v37, 0x3fc90fda, v35
	s_delay_alu instid0(VALU_DEP_3) | instskip(NEXT) | instid1(VALU_DEP_3)
	v_alignbit_b32 v31, v36, v31, v38
	v_sub_nc_u32_e32 v32, v33, v32
	s_delay_alu instid0(VALU_DEP_3) | instskip(NEXT) | instid1(VALU_DEP_3)
	v_fma_f32 v33, 0x3fc90fda, v35, -v37
	v_lshrrev_b32_e32 v31, 9, v31
	s_delay_alu instid0(VALU_DEP_2) | instskip(NEXT) | instid1(VALU_DEP_2)
	v_fmac_f32_e32 v33, 0x33a22168, v35
	v_or_b32_e32 v31, v32, v31
	s_delay_alu instid0(VALU_DEP_1) | instskip(SKIP_1) | instid1(VALU_DEP_1)
	v_fmac_f32_e32 v33, 0x3fc90fda, v31
	v_lshrrev_b32_e32 v31, 30, v0
	v_dual_add_f32 v0, v37, v33 :: v_dual_add_nc_u32 v31, v34, v31
	s_and_not1_saveexec_b32 s4, s29
	s_cbranch_execnz .LBB157_223
	s_branch .LBB157_224
.LBB157_222:                            ;   in Loop: Header=BB157_161 Depth=1
	s_and_not1_saveexec_b32 s4, s29
.LBB157_223:                            ;   in Loop: Header=BB157_161 Depth=1
	v_mul_f32_e64 v0, 0x3f22f983, |v9|
	s_delay_alu instid0(VALU_DEP_1) | instskip(NEXT) | instid1(VALU_DEP_1)
	v_rndne_f32_e32 v31, v0
	v_fma_f32 v0, 0xbfc90fda, v31, |v9|
	s_delay_alu instid0(VALU_DEP_1) | instskip(NEXT) | instid1(VALU_DEP_1)
	v_fmac_f32_e32 v0, 0xb3a22168, v31
	v_fmac_f32_e32 v0, 0xa7c234c4, v31
	v_cvt_i32_f32_e32 v31, v31
.LBB157_224:                            ;   in Loop: Header=BB157_161 Depth=1
	s_or_b32 exec_lo, exec_lo, s4
	v_mul_f32_e64 v34, 0xbfb8aa3b, |v8|
	v_dual_mul_f32 v32, v29, v29 :: v_dual_and_b32 v33, 1, v30
	v_lshlrev_b32_e32 v30, 30, v30
	s_delay_alu instid0(VALU_DEP_3) | instskip(NEXT) | instid1(VALU_DEP_3)
	v_rndne_f32_e32 v38, v34
	v_fmaak_f32 v35, s25, v32, 0x3c0881c4
	v_mul_f32_e32 v37, v0, v0
	v_fma_f32 v39, 0xbfb8aa3b, |v8|, -v34
	v_cmp_eq_u32_e32 vcc_lo, 0, v33
	v_dual_sub_f32 v34, v34, v38 :: v_dual_and_b32 v33, 1, v31
	s_delay_alu instid0(VALU_DEP_4) | instskip(SKIP_3) | instid1(VALU_DEP_4)
	v_fmaak_f32 v40, s25, v37, 0x3c0881c4
	v_fmaak_f32 v35, v32, v35, 0xbe2aaa9d
	v_fma_f32 v39, 0xb2a5705f, |v8|, v39
	v_fmaak_f32 v41, s26, v37, 0xbab64f3b
	v_dual_fmaak_f32 v40, v37, v40, 0xbe2aaa9d :: v_dual_lshlrev_b32 v31, 30, v31
	s_delay_alu instid0(VALU_DEP_4) | instskip(NEXT) | instid1(VALU_DEP_4)
	v_dual_fmaak_f32 v36, s26, v32, 0xbab64f3b :: v_dual_mul_f32 v35, v32, v35
	v_add_f32_e32 v34, v34, v39
	s_delay_alu instid0(VALU_DEP_2) | instskip(NEXT) | instid1(VALU_DEP_2)
	v_dual_fmaak_f32 v36, v32, v36, 0x3d2aabf7 :: v_dual_fmac_f32 v29, v29, v35
	v_exp_f32_e32 v34, v34
	s_delay_alu instid0(VALU_DEP_1) | instskip(NEXT) | instid1(VALU_DEP_1)
	v_fmaak_f32 v36, v32, v36, 0xbf000004
	v_fma_f32 v32, v32, v36, 1.0
	v_and_b32_e32 v30, 0x80000000, v30
	s_delay_alu instid0(VALU_DEP_2) | instskip(NEXT) | instid1(VALU_DEP_2)
	v_dual_mul_f32 v36, v37, v40 :: v_dual_cndmask_b32 v29, v32, v29
	v_xor_b32_e32 v28, v28, v30
	v_cvt_i32_f32_e32 v30, v38
	v_cmp_eq_u32_e32 vcc_lo, 0, v33
	s_delay_alu instid0(VALU_DEP_3) | instskip(SKIP_3) | instid1(VALU_DEP_2)
	v_xor3_b32 v9, v28, v29, v9
	v_and_b32_e32 v29, 0x80000000, v31
	v_dual_fmaak_f32 v35, v37, v41, 0x3d2aabf7 :: v_dual_fmac_f32 v0, v0, v36
	v_ldexp_f32 v28, v34, v30
	v_dual_mul_f32 v9, 4.0, v9 :: v_dual_fmaak_f32 v32, v37, v35, 0xbf000004
	s_delay_alu instid0(VALU_DEP_1) | instskip(NEXT) | instid1(VALU_DEP_1)
	v_fma_f32 v32, v37, v32, 1.0
	v_cndmask_b32_e64 v0, -v0, v32, vcc_lo
	v_cmp_nlt_f32_e64 vcc_lo, 0x42ce8ed0, |v8|
	s_delay_alu instid0(VALU_DEP_2) | instskip(SKIP_3) | instid1(VALU_DEP_4)
	v_xor_b32_e32 v0, v29, v0
	v_cndmask_b32_e32 v28, 0, v28, vcc_lo
	v_cmp_ngt_f32_e64 vcc_lo, 0xc2b17218, |v8|
	v_bfi_b32 v8, 0x7fffffff, 1.0, v8
	v_mul_f32_e32 v0, v9, v0
	s_delay_alu instid0(VALU_DEP_4) | instskip(NEXT) | instid1(VALU_DEP_1)
	v_cndmask_b32_e32 v28, 0x7f800000, v28, vcc_lo
	v_mul_f32_e32 v0, v28, v0
	s_delay_alu instid0(VALU_DEP_1)
	v_mul_f32_e32 v9, v28, v0
.LBB157_225:                            ;   in Loop: Header=BB157_161 Depth=1
	s_or_b32 exec_lo, exec_lo, s28
.LBB157_226:                            ;   in Loop: Header=BB157_161 Depth=1
	s_and_not1_saveexec_b32 s4, s27
; %bb.227:                              ;   in Loop: Header=BB157_161 Depth=1
	s_delay_alu instid0(VALU_DEP_1) | instskip(NEXT) | instid1(VALU_DEP_1)
	v_sub_f32_e32 v9, v9, v9
	v_mov_b32_e32 v8, v9
; %bb.228:                              ;   in Loop: Header=BB157_161 Depth=1
	s_or_b32 exec_lo, exec_lo, s4
.LBB157_229:                            ;   in Loop: Header=BB157_161 Depth=1
	s_and_not1_saveexec_b32 s13, s13
	s_cbranch_execz .LBB157_245
; %bb.230:                              ;   in Loop: Header=BB157_161 Depth=1
	s_delay_alu instid0(VALU_DEP_1) | instskip(SKIP_1) | instid1(VALU_DEP_1)
	v_and_b32_e32 v0, 0x7fffff, v8
	s_mov_b32 s4, exec_lo
	v_cmpx_ne_u32_e32 0, v0
	s_xor_b32 s4, exec_lo, s4
; %bb.231:                              ;   in Loop: Header=BB157_161 Depth=1
	v_mul_f32_e32 v0, v9, v8
	v_cmp_eq_f32_e32 vcc_lo, 0, v9
	s_delay_alu instid0(VALU_DEP_2)
	v_cndmask_b32_e32 v9, v0, v9, vcc_lo
; %bb.232:                              ;   in Loop: Header=BB157_161 Depth=1
	s_and_not1_saveexec_b32 s27, s4
	s_cbranch_execz .LBB157_244
; %bb.233:                              ;   in Loop: Header=BB157_161 Depth=1
	s_mov_b32 s28, exec_lo
	s_delay_alu instid0(VALU_DEP_1)
	v_cmpx_neq_f32_e64 0x7f800000, |v9|
	s_cbranch_execz .LBB157_243
; %bb.234:                              ;   in Loop: Header=BB157_161 Depth=1
	v_and_b32_e32 v28, 0x7fffffff, v9
	v_cmp_ngt_f32_e64 s29, 0x48000000, |v9|
                                        ; implicit-def: $vgpr30
                                        ; implicit-def: $vgpr29
	s_delay_alu instid0(VALU_DEP_1) | instskip(NEXT) | instid1(SALU_CYCLE_1)
	s_and_saveexec_b32 s4, s29
	s_xor_b32 s30, exec_lo, s4
	s_cbranch_execz .LBB157_236
; %bb.235:                              ;   in Loop: Header=BB157_161 Depth=1
	v_and_or_b32 v37, v28, s7, 0x800000
	v_lshrrev_b32_e32 v34, 23, v28
	s_delay_alu instid0(VALU_DEP_2) | instskip(NEXT) | instid1(VALU_DEP_2)
	v_mad_u64_u32 v[29:30], null, 0xfe5163ab, v37, 0
	v_add_nc_u32_e32 v35, 0xffffff88, v34
	s_delay_alu instid0(VALU_DEP_1) | instskip(NEXT) | instid1(VALU_DEP_3)
	v_cmp_lt_u32_e32 vcc_lo, 63, v35
	v_mov_b32_e32 v0, v30
	v_cndmask_b32_e64 v36, 0, 0xffffffc0, vcc_lo
	s_delay_alu instid0(VALU_DEP_2) | instskip(NEXT) | instid1(VALU_DEP_2)
	v_mad_u64_u32 v[30:31], null, 0x3c439041, v37, v[0:1]
	v_add_nc_u32_e32 v36, v36, v35
	s_delay_alu instid0(VALU_DEP_2) | instskip(NEXT) | instid1(VALU_DEP_2)
	v_mov_b32_e32 v0, v31
	v_cmp_lt_u32_e64 s4, 31, v36
	s_delay_alu instid0(VALU_DEP_2) | instskip(NEXT) | instid1(VALU_DEP_2)
	v_mad_u64_u32 v[31:32], null, 0xdb629599, v37, v[0:1]
	v_cndmask_b32_e64 v38, 0, 0xffffffe0, s4
	s_delay_alu instid0(VALU_DEP_1) | instskip(NEXT) | instid1(VALU_DEP_3)
	v_add_nc_u32_e32 v38, v38, v36
	v_dual_mov_b32 v0, v32 :: v_dual_cndmask_b32 v29, v31, v29
	s_delay_alu instid0(VALU_DEP_2) | instskip(NEXT) | instid1(VALU_DEP_2)
	v_cmp_lt_u32_e64 s5, 31, v38
	v_mad_u64_u32 v[32:33], null, 0xf534ddc0, v37, v[0:1]
	s_delay_alu instid0(VALU_DEP_1) | instskip(NEXT) | instid1(VALU_DEP_2)
	v_mov_b32_e32 v0, v33
	v_cndmask_b32_e32 v30, v32, v30, vcc_lo
	s_delay_alu instid0(VALU_DEP_2) | instskip(NEXT) | instid1(VALU_DEP_2)
	v_mad_u64_u32 v[33:34], null, 0xfc2757d1, v37, v[0:1]
	v_cndmask_b32_e64 v29, v30, v29, s4
	s_delay_alu instid0(VALU_DEP_2) | instskip(NEXT) | instid1(VALU_DEP_1)
	v_mov_b32_e32 v0, v34
	v_mad_u64_u32 v[34:35], null, 0x4e441529, v37, v[0:1]
	s_delay_alu instid0(VALU_DEP_1) | instskip(NEXT) | instid1(VALU_DEP_1)
	v_mov_b32_e32 v0, v35
	v_mad_u64_u32 v[35:36], null, 0xa2f9836e, v37, v[0:1]
	v_cndmask_b32_e64 v0, 0, 0xffffffe0, s5
	s_delay_alu instid0(VALU_DEP_1) | instskip(NEXT) | instid1(VALU_DEP_3)
	v_dual_cndmask_b32 v37, v34, v32 :: v_dual_add_nc_u32 v0, v0, v38
	v_dual_cndmask_b32 v35, v35, v33 :: v_dual_cndmask_b32 v34, v36, v34
	v_cndmask_b32_e32 v33, v33, v31, vcc_lo
	s_delay_alu instid0(VALU_DEP_3) | instskip(NEXT) | instid1(VALU_DEP_3)
	v_sub_nc_u32_e32 v36, 32, v0
	v_cndmask_b32_e64 v32, v35, v37, s4
	s_delay_alu instid0(VALU_DEP_4) | instskip(NEXT) | instid1(VALU_DEP_4)
	v_cndmask_b32_e64 v34, v34, v35, s4
	v_cndmask_b32_e64 v35, v37, v33, s4
	;; [unrolled: 1-line block ×3, first 2 shown]
	v_cmp_eq_u32_e64 s6, 0, v0
	s_delay_alu instid0(VALU_DEP_4) | instskip(NEXT) | instid1(VALU_DEP_4)
	v_cndmask_b32_e64 v34, v34, v32, s5
	v_cndmask_b32_e64 v32, v32, v35, s5
	s_delay_alu instid0(VALU_DEP_4) | instskip(SKIP_1) | instid1(VALU_DEP_3)
	v_cndmask_b32_e64 v35, v35, v33, s5
	v_cndmask_b32_e64 v29, v33, v29, s5
	v_alignbit_b32 v37, v34, v32, v36
	s_delay_alu instid0(VALU_DEP_3) | instskip(NEXT) | instid1(VALU_DEP_3)
	v_alignbit_b32 v38, v32, v35, v36
	v_alignbit_b32 v36, v35, v29, v36
	s_delay_alu instid0(VALU_DEP_3) | instskip(NEXT) | instid1(VALU_DEP_3)
	v_cndmask_b32_e64 v0, v37, v34, s6
	v_cndmask_b32_e64 v31, v38, v32, s6
	s_delay_alu instid0(VALU_DEP_3) | instskip(NEXT) | instid1(VALU_DEP_3)
	v_cndmask_b32_e64 v35, v36, v35, s6
	v_bfe_u32 v32, v0, 29, 1
	s_delay_alu instid0(VALU_DEP_3) | instskip(NEXT) | instid1(VALU_DEP_3)
	v_alignbit_b32 v30, v0, v31, 30
	v_alignbit_b32 v31, v31, v35, 30
	;; [unrolled: 1-line block ×3, first 2 shown]
	s_delay_alu instid0(VALU_DEP_4) | instskip(NEXT) | instid1(VALU_DEP_1)
	v_sub_nc_u32_e32 v34, 0, v32
	v_xor_b32_e32 v33, v30, v34
	v_cmp_ne_u32_e32 vcc_lo, v30, v34
	v_xor_b32_e32 v31, v31, v34
	v_xor_b32_e32 v29, v29, v34
	s_delay_alu instid0(VALU_DEP_4) | instskip(NEXT) | instid1(VALU_DEP_1)
	v_clz_i32_u32_e32 v37, v33
	v_add_nc_u32_e32 v36, 1, v37
	s_delay_alu instid0(VALU_DEP_1) | instskip(NEXT) | instid1(VALU_DEP_1)
	v_cndmask_b32_e32 v30, 33, v36, vcc_lo
	v_sub_nc_u32_e32 v35, 32, v30
	s_delay_alu instid0(VALU_DEP_1) | instskip(SKIP_3) | instid1(VALU_DEP_3)
	v_alignbit_b32 v33, v33, v31, v35
	v_alignbit_b32 v29, v31, v29, v35
	v_lshrrev_b32_e32 v31, 29, v0
	v_lshrrev_b32_e32 v0, 30, v0
	v_alignbit_b32 v34, v33, v29, 9
	s_delay_alu instid0(VALU_DEP_3) | instskip(SKIP_1) | instid1(VALU_DEP_3)
	v_lshlrev_b32_e32 v31, 31, v31
	v_alignbit_b32 v33, v30, v33, 9
	v_clz_i32_u32_e32 v35, v34
	s_delay_alu instid0(VALU_DEP_2) | instskip(SKIP_1) | instid1(VALU_DEP_3)
	v_or_b32_e32 v33, v33, v31
	v_or_b32_e32 v31, 0x33800000, v31
	v_min_u32_e32 v35, 32, v35
	s_delay_alu instid0(VALU_DEP_3) | instskip(NEXT) | instid1(VALU_DEP_2)
	v_xor_b32_e32 v33, 1.0, v33
	v_sub_nc_u32_e32 v36, 31, v35
	v_add_lshl_u32 v30, v35, v30, 23
	s_delay_alu instid0(VALU_DEP_3) | instskip(NEXT) | instid1(VALU_DEP_3)
	v_mul_f32_e32 v35, 0x3fc90fda, v33
	v_alignbit_b32 v29, v34, v29, v36
	s_delay_alu instid0(VALU_DEP_3) | instskip(NEXT) | instid1(VALU_DEP_3)
	v_sub_nc_u32_e32 v30, v31, v30
	v_fma_f32 v31, 0x3fc90fda, v33, -v35
	s_delay_alu instid0(VALU_DEP_3) | instskip(NEXT) | instid1(VALU_DEP_2)
	v_lshrrev_b32_e32 v29, 9, v29
	v_fmac_f32_e32 v31, 0x33a22168, v33
	s_delay_alu instid0(VALU_DEP_2) | instskip(NEXT) | instid1(VALU_DEP_1)
	v_or_b32_e32 v29, v30, v29
	v_dual_fmac_f32 v31, 0x3fc90fda, v29 :: v_dual_add_nc_u32 v30, v32, v0
	s_delay_alu instid0(VALU_DEP_1)
	v_add_f32_e32 v29, v35, v31
	s_and_not1_saveexec_b32 s4, s30
	s_branch .LBB157_237
.LBB157_236:                            ;   in Loop: Header=BB157_161 Depth=1
	s_and_not1_saveexec_b32 s4, s30
.LBB157_237:                            ;   in Loop: Header=BB157_161 Depth=1
	v_mul_f32_e64 v0, 0x3f22f983, |v9|
	s_delay_alu instid0(VALU_DEP_1) | instskip(NEXT) | instid1(VALU_DEP_1)
	v_rndne_f32_e32 v0, v0
	v_fma_f32 v29, 0xbfc90fda, v0, |v9|
	v_cvt_i32_f32_e32 v30, v0
	s_delay_alu instid0(VALU_DEP_2) | instskip(NEXT) | instid1(VALU_DEP_1)
	v_fmac_f32_e32 v29, 0xb3a22168, v0
	v_fmac_f32_e32 v29, 0xa7c234c4, v0
; %bb.238:                              ;   in Loop: Header=BB157_161 Depth=1
	s_or_b32 exec_lo, exec_lo, s4
                                        ; implicit-def: $vgpr31
                                        ; implicit-def: $vgpr0
	s_and_saveexec_b32 s4, s29
	s_delay_alu instid0(SALU_CYCLE_1)
	s_xor_b32 s29, exec_lo, s4
	s_cbranch_execz .LBB157_240
; %bb.239:                              ;   in Loop: Header=BB157_161 Depth=1
	v_and_or_b32 v39, v28, s7, 0x800000
	v_lshrrev_b32_e32 v36, 23, v28
	s_delay_alu instid0(VALU_DEP_2) | instskip(NEXT) | instid1(VALU_DEP_2)
	v_mad_u64_u32 v[31:32], null, 0xfe5163ab, v39, 0
	v_add_nc_u32_e32 v37, 0xffffff88, v36
	s_delay_alu instid0(VALU_DEP_1) | instskip(NEXT) | instid1(VALU_DEP_3)
	v_cmp_lt_u32_e32 vcc_lo, 63, v37
	v_mov_b32_e32 v0, v32
	v_cndmask_b32_e64 v38, 0, 0xffffffc0, vcc_lo
	s_delay_alu instid0(VALU_DEP_2) | instskip(NEXT) | instid1(VALU_DEP_2)
	v_mad_u64_u32 v[32:33], null, 0x3c439041, v39, v[0:1]
	v_add_nc_u32_e32 v38, v38, v37
	s_delay_alu instid0(VALU_DEP_2) | instskip(NEXT) | instid1(VALU_DEP_2)
	v_mov_b32_e32 v0, v33
	v_cmp_lt_u32_e64 s4, 31, v38
	s_delay_alu instid0(VALU_DEP_2) | instskip(NEXT) | instid1(VALU_DEP_2)
	v_mad_u64_u32 v[33:34], null, 0xdb629599, v39, v[0:1]
	v_cndmask_b32_e64 v40, 0, 0xffffffe0, s4
	s_delay_alu instid0(VALU_DEP_1) | instskip(NEXT) | instid1(VALU_DEP_3)
	v_add_nc_u32_e32 v40, v40, v38
	v_dual_mov_b32 v0, v34 :: v_dual_cndmask_b32 v31, v33, v31
	s_delay_alu instid0(VALU_DEP_2) | instskip(NEXT) | instid1(VALU_DEP_2)
	v_cmp_lt_u32_e64 s5, 31, v40
	v_mad_u64_u32 v[34:35], null, 0xf534ddc0, v39, v[0:1]
	s_delay_alu instid0(VALU_DEP_1) | instskip(NEXT) | instid1(VALU_DEP_2)
	v_mov_b32_e32 v0, v35
	v_cndmask_b32_e32 v32, v34, v32, vcc_lo
	s_delay_alu instid0(VALU_DEP_2) | instskip(NEXT) | instid1(VALU_DEP_2)
	v_mad_u64_u32 v[35:36], null, 0xfc2757d1, v39, v[0:1]
	v_cndmask_b32_e64 v31, v32, v31, s4
	s_delay_alu instid0(VALU_DEP_2) | instskip(NEXT) | instid1(VALU_DEP_1)
	v_mov_b32_e32 v0, v36
	v_mad_u64_u32 v[36:37], null, 0x4e441529, v39, v[0:1]
	s_delay_alu instid0(VALU_DEP_1) | instskip(NEXT) | instid1(VALU_DEP_1)
	v_mov_b32_e32 v0, v37
	v_mad_u64_u32 v[37:38], null, 0xa2f9836e, v39, v[0:1]
	v_cndmask_b32_e64 v0, 0, 0xffffffe0, s5
	s_delay_alu instid0(VALU_DEP_4) | instskip(NEXT) | instid1(VALU_DEP_2)
	v_cndmask_b32_e32 v39, v36, v34, vcc_lo
	v_dual_cndmask_b32 v37, v37, v35 :: v_dual_add_nc_u32 v0, v0, v40
	s_delay_alu instid0(VALU_DEP_4) | instskip(NEXT) | instid1(VALU_DEP_2)
	v_dual_cndmask_b32 v36, v38, v36 :: v_dual_cndmask_b32 v35, v35, v33
	v_sub_nc_u32_e32 v38, 32, v0
	s_delay_alu instid0(VALU_DEP_3) | instskip(NEXT) | instid1(VALU_DEP_3)
	v_cndmask_b32_e64 v34, v37, v39, s4
	v_cndmask_b32_e64 v36, v36, v37, s4
	s_delay_alu instid0(VALU_DEP_4) | instskip(SKIP_2) | instid1(VALU_DEP_4)
	v_cndmask_b32_e64 v37, v39, v35, s4
	v_cndmask_b32_e64 v35, v35, v32, s4
	v_cmp_eq_u32_e64 s6, 0, v0
	v_cndmask_b32_e64 v36, v36, v34, s5
	s_delay_alu instid0(VALU_DEP_4) | instskip(NEXT) | instid1(VALU_DEP_4)
	v_cndmask_b32_e64 v34, v34, v37, s5
	v_cndmask_b32_e64 v37, v37, v35, s5
	;; [unrolled: 1-line block ×3, first 2 shown]
	s_delay_alu instid0(VALU_DEP_3) | instskip(NEXT) | instid1(VALU_DEP_3)
	v_alignbit_b32 v39, v36, v34, v38
	v_alignbit_b32 v40, v34, v37, v38
	s_delay_alu instid0(VALU_DEP_3) | instskip(NEXT) | instid1(VALU_DEP_3)
	v_alignbit_b32 v38, v37, v31, v38
	v_cndmask_b32_e64 v0, v39, v36, s6
	s_delay_alu instid0(VALU_DEP_3) | instskip(NEXT) | instid1(VALU_DEP_3)
	v_cndmask_b32_e64 v33, v40, v34, s6
	v_cndmask_b32_e64 v37, v38, v37, s6
	s_delay_alu instid0(VALU_DEP_3) | instskip(NEXT) | instid1(VALU_DEP_3)
	v_bfe_u32 v34, v0, 29, 1
	v_alignbit_b32 v32, v0, v33, 30
	s_delay_alu instid0(VALU_DEP_3) | instskip(SKIP_1) | instid1(VALU_DEP_4)
	v_alignbit_b32 v33, v33, v37, 30
	v_alignbit_b32 v31, v37, v31, 30
	v_sub_nc_u32_e32 v36, 0, v34
	s_delay_alu instid0(VALU_DEP_1) | instskip(SKIP_3) | instid1(VALU_DEP_4)
	v_xor_b32_e32 v35, v32, v36
	v_cmp_ne_u32_e32 vcc_lo, v32, v36
	v_xor_b32_e32 v33, v33, v36
	v_xor_b32_e32 v31, v31, v36
	v_clz_i32_u32_e32 v39, v35
	s_delay_alu instid0(VALU_DEP_1) | instskip(NEXT) | instid1(VALU_DEP_1)
	v_add_nc_u32_e32 v38, 1, v39
	v_cndmask_b32_e32 v32, 33, v38, vcc_lo
	s_delay_alu instid0(VALU_DEP_1) | instskip(NEXT) | instid1(VALU_DEP_1)
	v_sub_nc_u32_e32 v37, 32, v32
	v_alignbit_b32 v35, v35, v33, v37
	v_alignbit_b32 v31, v33, v31, v37
	v_lshrrev_b32_e32 v33, 29, v0
	s_delay_alu instid0(VALU_DEP_2) | instskip(NEXT) | instid1(VALU_DEP_2)
	v_alignbit_b32 v36, v35, v31, 9
	v_lshlrev_b32_e32 v33, 31, v33
	v_alignbit_b32 v35, v32, v35, 9
	s_delay_alu instid0(VALU_DEP_3) | instskip(NEXT) | instid1(VALU_DEP_2)
	v_clz_i32_u32_e32 v37, v36
	v_or_b32_e32 v35, v35, v33
	v_or_b32_e32 v33, 0x33800000, v33
	s_delay_alu instid0(VALU_DEP_3) | instskip(NEXT) | instid1(VALU_DEP_3)
	v_min_u32_e32 v37, 32, v37
	v_xor_b32_e32 v35, 1.0, v35
	s_delay_alu instid0(VALU_DEP_2) | instskip(SKIP_1) | instid1(VALU_DEP_3)
	v_sub_nc_u32_e32 v38, 31, v37
	v_add_lshl_u32 v32, v37, v32, 23
	v_mul_f32_e32 v37, 0x3fc90fda, v35
	s_delay_alu instid0(VALU_DEP_3) | instskip(NEXT) | instid1(VALU_DEP_3)
	v_alignbit_b32 v31, v36, v31, v38
	v_sub_nc_u32_e32 v32, v33, v32
	s_delay_alu instid0(VALU_DEP_3) | instskip(NEXT) | instid1(VALU_DEP_3)
	v_fma_f32 v33, 0x3fc90fda, v35, -v37
	v_lshrrev_b32_e32 v31, 9, v31
	s_delay_alu instid0(VALU_DEP_2) | instskip(NEXT) | instid1(VALU_DEP_2)
	v_fmac_f32_e32 v33, 0x33a22168, v35
	v_or_b32_e32 v31, v32, v31
	s_delay_alu instid0(VALU_DEP_1) | instskip(SKIP_1) | instid1(VALU_DEP_1)
	v_fmac_f32_e32 v33, 0x3fc90fda, v31
	v_lshrrev_b32_e32 v31, 30, v0
	v_dual_add_f32 v0, v37, v33 :: v_dual_add_nc_u32 v31, v34, v31
	s_and_not1_saveexec_b32 s4, s29
	s_cbranch_execnz .LBB157_241
	s_branch .LBB157_242
.LBB157_240:                            ;   in Loop: Header=BB157_161 Depth=1
	s_and_not1_saveexec_b32 s4, s29
.LBB157_241:                            ;   in Loop: Header=BB157_161 Depth=1
	v_mul_f32_e64 v0, 0x3f22f983, |v9|
	s_delay_alu instid0(VALU_DEP_1) | instskip(NEXT) | instid1(VALU_DEP_1)
	v_rndne_f32_e32 v31, v0
	v_fma_f32 v0, 0xbfc90fda, v31, |v9|
	s_delay_alu instid0(VALU_DEP_1) | instskip(NEXT) | instid1(VALU_DEP_1)
	v_fmac_f32_e32 v0, 0xb3a22168, v31
	v_fmac_f32_e32 v0, 0xa7c234c4, v31
	v_cvt_i32_f32_e32 v31, v31
.LBB157_242:                            ;   in Loop: Header=BB157_161 Depth=1
	s_or_b32 exec_lo, exec_lo, s4
	v_dual_mul_f32 v32, v29, v29 :: v_dual_and_b32 v33, 1, v30
	s_delay_alu instid0(VALU_DEP_2) | instskip(NEXT) | instid1(VALU_DEP_2)
	v_dual_mul_f32 v34, v0, v0 :: v_dual_and_b32 v37, 1, v31
	v_dual_fmaak_f32 v35, s25, v32, 0x3c0881c4 :: v_dual_lshlrev_b32 v30, 30, v30
	s_delay_alu instid0(VALU_DEP_2) | instskip(SKIP_1) | instid1(VALU_DEP_3)
	v_dual_fmaak_f32 v36, s26, v32, 0xbab64f3b :: v_dual_fmaak_f32 v39, s26, v34, 0xbab64f3b
	v_dual_fmaak_f32 v38, s25, v34, 0x3c0881c4 :: v_dual_lshlrev_b32 v31, 30, v31
	v_fmaak_f32 v35, v32, v35, 0xbe2aaa9d
	s_delay_alu instid0(VALU_DEP_3) | instskip(NEXT) | instid1(VALU_DEP_3)
	v_dual_fmaak_f32 v36, v32, v36, 0x3d2aabf7 :: v_dual_fmaak_f32 v39, v34, v39, 0x3d2aabf7
	v_fmaak_f32 v38, v34, v38, 0xbe2aaa9d
	v_cmp_eq_u32_e32 vcc_lo, 0, v33
	s_delay_alu instid0(VALU_DEP_4) | instskip(NEXT) | instid1(VALU_DEP_4)
	v_dual_mul_f32 v35, v32, v35 :: v_dual_and_b32 v30, 0x80000000, v30
	v_dual_fmaak_f32 v36, v32, v36, 0xbf000004 :: v_dual_fmaak_f32 v39, v34, v39, 0xbf000004
	s_delay_alu instid0(VALU_DEP_2) | instskip(NEXT) | instid1(VALU_DEP_3)
	v_dual_mul_f32 v38, v34, v38 :: v_dual_fmac_f32 v29, v29, v35
	v_xor_b32_e32 v28, v28, v30
	s_delay_alu instid0(VALU_DEP_3) | instskip(NEXT) | instid1(VALU_DEP_4)
	v_fma_f32 v32, v32, v36, 1.0
	v_fma_f32 v30, v34, v39, 1.0
	s_delay_alu instid0(VALU_DEP_4) | instskip(NEXT) | instid1(VALU_DEP_3)
	v_dual_fmac_f32 v0, v0, v38 :: v_dual_and_b32 v31, 0x80000000, v31
	v_cndmask_b32_e32 v29, v32, v29, vcc_lo
	v_cmp_eq_u32_e32 vcc_lo, 0, v37
	s_delay_alu instid0(VALU_DEP_2) | instskip(NEXT) | instid1(VALU_DEP_4)
	v_xor3_b32 v28, v28, v29, v9
	v_cndmask_b32_e64 v0, -v0, v30, vcc_lo
	v_cmp_class_f32_e64 vcc_lo, v9, 0x1f8
	s_delay_alu instid0(VALU_DEP_2) | instskip(NEXT) | instid1(VALU_DEP_1)
	v_xor_b32_e32 v0, v31, v0
	v_mul_f32_e32 v0, v28, v0
	s_delay_alu instid0(VALU_DEP_1)
	v_cndmask_b32_e32 v9, 0x7fc00000, v0, vcc_lo
.LBB157_243:                            ;   in Loop: Header=BB157_161 Depth=1
	s_or_b32 exec_lo, exec_lo, s28
	v_add_nc_u32_e32 v8, -2.0, v8
	s_delay_alu instid0(VALU_DEP_2)
	v_bfi_b32 v9, 0x7fffffff, 0, v9
.LBB157_244:                            ;   in Loop: Header=BB157_161 Depth=1
	s_or_b32 exec_lo, exec_lo, s27
.LBB157_245:                            ;   in Loop: Header=BB157_161 Depth=1
	s_delay_alu instid0(SALU_CYCLE_1) | instskip(SKIP_2) | instid1(VALU_DEP_1)
	s_or_b32 exec_lo, exec_lo, s13
	v_and_b32_e32 v0, 0x7fffffff, v4
	s_mov_b32 s4, exec_lo
	v_cmpx_gt_u32_e32 0x7f800000, v0
	s_xor_b32 s13, exec_lo, s4
	s_cbranch_execz .LBB157_267
; %bb.246:                              ;   in Loop: Header=BB157_161 Depth=1
	v_cmp_class_f32_e64 s4, v5, 0x1f8
	s_delay_alu instid0(VALU_DEP_1) | instskip(NEXT) | instid1(SALU_CYCLE_1)
	s_and_saveexec_b32 s5, s4
	s_xor_b32 s27, exec_lo, s5
	s_cbranch_execz .LBB157_264
; %bb.247:                              ;   in Loop: Header=BB157_161 Depth=1
	v_and_b32_e32 v28, 0x7fffffff, v5
	s_mov_b32 s4, exec_lo
	v_cmpx_gt_u32_e32 0x41300000, v0
	s_xor_b32 s28, exec_lo, s4
	s_cbranch_execz .LBB157_253
; %bb.248:                              ;   in Loop: Header=BB157_161 Depth=1
                                        ; implicit-def: $vgpr0
                                        ; implicit-def: $vgpr29
	s_mov_b32 s5, exec_lo
	v_cmpx_ngt_f32_e64 0x48000000, |v5|
	s_xor_b32 s29, exec_lo, s5
	s_cbranch_execz .LBB157_250
; %bb.249:                              ;   in Loop: Header=BB157_161 Depth=1
	v_and_or_b32 v37, v28, s7, 0x800000
	v_lshrrev_b32_e32 v34, 23, v28
	s_delay_alu instid0(VALU_DEP_2) | instskip(NEXT) | instid1(VALU_DEP_2)
	v_mad_u64_u32 v[29:30], null, 0xfe5163ab, v37, 0
	v_add_nc_u32_e32 v35, 0xffffff88, v34
	s_delay_alu instid0(VALU_DEP_1) | instskip(NEXT) | instid1(VALU_DEP_3)
	v_cmp_lt_u32_e32 vcc_lo, 63, v35
	v_mov_b32_e32 v0, v30
	v_cndmask_b32_e64 v36, 0, 0xffffffc0, vcc_lo
	s_delay_alu instid0(VALU_DEP_2) | instskip(NEXT) | instid1(VALU_DEP_2)
	v_mad_u64_u32 v[30:31], null, 0x3c439041, v37, v[0:1]
	v_add_nc_u32_e32 v36, v36, v35
	s_delay_alu instid0(VALU_DEP_2) | instskip(NEXT) | instid1(VALU_DEP_2)
	v_mov_b32_e32 v0, v31
	v_cmp_lt_u32_e64 s4, 31, v36
	s_delay_alu instid0(VALU_DEP_2) | instskip(NEXT) | instid1(VALU_DEP_2)
	v_mad_u64_u32 v[31:32], null, 0xdb629599, v37, v[0:1]
	v_cndmask_b32_e64 v38, 0, 0xffffffe0, s4
	s_delay_alu instid0(VALU_DEP_1) | instskip(NEXT) | instid1(VALU_DEP_3)
	v_add_nc_u32_e32 v38, v38, v36
	v_dual_mov_b32 v0, v32 :: v_dual_cndmask_b32 v29, v31, v29
	s_delay_alu instid0(VALU_DEP_2) | instskip(NEXT) | instid1(VALU_DEP_2)
	v_cmp_lt_u32_e64 s5, 31, v38
	v_mad_u64_u32 v[32:33], null, 0xf534ddc0, v37, v[0:1]
	s_delay_alu instid0(VALU_DEP_1) | instskip(NEXT) | instid1(VALU_DEP_2)
	v_mov_b32_e32 v0, v33
	v_cndmask_b32_e32 v30, v32, v30, vcc_lo
	s_delay_alu instid0(VALU_DEP_2) | instskip(NEXT) | instid1(VALU_DEP_2)
	v_mad_u64_u32 v[33:34], null, 0xfc2757d1, v37, v[0:1]
	v_cndmask_b32_e64 v29, v30, v29, s4
	s_delay_alu instid0(VALU_DEP_2) | instskip(NEXT) | instid1(VALU_DEP_1)
	v_mov_b32_e32 v0, v34
	v_mad_u64_u32 v[34:35], null, 0x4e441529, v37, v[0:1]
	s_delay_alu instid0(VALU_DEP_1) | instskip(NEXT) | instid1(VALU_DEP_1)
	v_mov_b32_e32 v0, v35
	v_mad_u64_u32 v[35:36], null, 0xa2f9836e, v37, v[0:1]
	v_cndmask_b32_e64 v0, 0, 0xffffffe0, s5
	s_delay_alu instid0(VALU_DEP_1) | instskip(NEXT) | instid1(VALU_DEP_3)
	v_dual_cndmask_b32 v37, v34, v32 :: v_dual_add_nc_u32 v0, v0, v38
	v_dual_cndmask_b32 v35, v35, v33 :: v_dual_cndmask_b32 v34, v36, v34
	v_cndmask_b32_e32 v33, v33, v31, vcc_lo
	s_delay_alu instid0(VALU_DEP_3) | instskip(NEXT) | instid1(VALU_DEP_3)
	v_sub_nc_u32_e32 v36, 32, v0
	v_cndmask_b32_e64 v32, v35, v37, s4
	s_delay_alu instid0(VALU_DEP_4) | instskip(NEXT) | instid1(VALU_DEP_4)
	v_cndmask_b32_e64 v34, v34, v35, s4
	v_cndmask_b32_e64 v35, v37, v33, s4
	;; [unrolled: 1-line block ×3, first 2 shown]
	v_cmp_eq_u32_e64 s6, 0, v0
	s_delay_alu instid0(VALU_DEP_4) | instskip(NEXT) | instid1(VALU_DEP_4)
	v_cndmask_b32_e64 v34, v34, v32, s5
	v_cndmask_b32_e64 v32, v32, v35, s5
	s_delay_alu instid0(VALU_DEP_4) | instskip(SKIP_1) | instid1(VALU_DEP_3)
	v_cndmask_b32_e64 v35, v35, v33, s5
	v_cndmask_b32_e64 v29, v33, v29, s5
	v_alignbit_b32 v37, v34, v32, v36
	s_delay_alu instid0(VALU_DEP_3) | instskip(NEXT) | instid1(VALU_DEP_3)
	v_alignbit_b32 v38, v32, v35, v36
	v_alignbit_b32 v36, v35, v29, v36
	s_delay_alu instid0(VALU_DEP_3) | instskip(NEXT) | instid1(VALU_DEP_3)
	v_cndmask_b32_e64 v0, v37, v34, s6
	v_cndmask_b32_e64 v31, v38, v32, s6
	s_delay_alu instid0(VALU_DEP_3) | instskip(NEXT) | instid1(VALU_DEP_3)
	v_cndmask_b32_e64 v35, v36, v35, s6
	v_bfe_u32 v32, v0, 29, 1
	s_delay_alu instid0(VALU_DEP_3) | instskip(NEXT) | instid1(VALU_DEP_3)
	v_alignbit_b32 v30, v0, v31, 30
	v_alignbit_b32 v31, v31, v35, 30
	;; [unrolled: 1-line block ×3, first 2 shown]
	s_delay_alu instid0(VALU_DEP_4) | instskip(NEXT) | instid1(VALU_DEP_1)
	v_sub_nc_u32_e32 v34, 0, v32
	v_xor_b32_e32 v33, v30, v34
	v_cmp_ne_u32_e32 vcc_lo, v30, v34
	v_xor_b32_e32 v31, v31, v34
	v_xor_b32_e32 v29, v29, v34
	s_delay_alu instid0(VALU_DEP_4) | instskip(NEXT) | instid1(VALU_DEP_1)
	v_clz_i32_u32_e32 v37, v33
	v_add_nc_u32_e32 v36, 1, v37
	s_delay_alu instid0(VALU_DEP_1) | instskip(NEXT) | instid1(VALU_DEP_1)
	v_cndmask_b32_e32 v30, 33, v36, vcc_lo
	v_sub_nc_u32_e32 v35, 32, v30
	s_delay_alu instid0(VALU_DEP_1) | instskip(SKIP_3) | instid1(VALU_DEP_3)
	v_alignbit_b32 v33, v33, v31, v35
	v_alignbit_b32 v29, v31, v29, v35
	v_lshrrev_b32_e32 v31, 29, v0
	v_lshrrev_b32_e32 v0, 30, v0
	v_alignbit_b32 v34, v33, v29, 9
	s_delay_alu instid0(VALU_DEP_3) | instskip(SKIP_1) | instid1(VALU_DEP_4)
	v_lshlrev_b32_e32 v31, 31, v31
	v_alignbit_b32 v33, v30, v33, 9
	v_add_nc_u32_e32 v0, v32, v0
	s_delay_alu instid0(VALU_DEP_4) | instskip(NEXT) | instid1(VALU_DEP_3)
	v_clz_i32_u32_e32 v35, v34
	v_or_b32_e32 v33, v33, v31
	v_or_b32_e32 v31, 0x33800000, v31
	s_delay_alu instid0(VALU_DEP_3) | instskip(NEXT) | instid1(VALU_DEP_3)
	v_min_u32_e32 v35, 32, v35
	v_xor_b32_e32 v33, 1.0, v33
	s_delay_alu instid0(VALU_DEP_2) | instskip(SKIP_1) | instid1(VALU_DEP_3)
	v_sub_nc_u32_e32 v36, 31, v35
	v_add_lshl_u32 v30, v35, v30, 23
	v_mul_f32_e32 v35, 0x3fc90fda, v33
	s_delay_alu instid0(VALU_DEP_3) | instskip(NEXT) | instid1(VALU_DEP_3)
	v_alignbit_b32 v29, v34, v29, v36
	v_sub_nc_u32_e32 v30, v31, v30
	s_delay_alu instid0(VALU_DEP_3) | instskip(NEXT) | instid1(VALU_DEP_3)
	v_fma_f32 v31, 0x3fc90fda, v33, -v35
	v_lshrrev_b32_e32 v29, 9, v29
	s_delay_alu instid0(VALU_DEP_2) | instskip(NEXT) | instid1(VALU_DEP_2)
	v_fmac_f32_e32 v31, 0x33a22168, v33
	v_or_b32_e32 v29, v30, v29
	s_delay_alu instid0(VALU_DEP_1) | instskip(NEXT) | instid1(VALU_DEP_1)
	v_fmac_f32_e32 v31, 0x3fc90fda, v29
	v_add_f32_e32 v29, v35, v31
.LBB157_250:                            ;   in Loop: Header=BB157_161 Depth=1
	s_and_not1_saveexec_b32 s4, s29
; %bb.251:                              ;   in Loop: Header=BB157_161 Depth=1
	v_mul_f32_e64 v0, 0x3f22f983, |v5|
	s_delay_alu instid0(VALU_DEP_1) | instskip(NEXT) | instid1(VALU_DEP_1)
	v_rndne_f32_e32 v0, v0
	v_fma_f32 v29, 0xbfc90fda, v0, |v5|
	s_delay_alu instid0(VALU_DEP_1) | instskip(NEXT) | instid1(VALU_DEP_1)
	v_fmac_f32_e32 v29, 0xb3a22168, v0
	v_fmac_f32_e32 v29, 0xa7c234c4, v0
	v_cvt_i32_f32_e32 v0, v0
; %bb.252:                              ;   in Loop: Header=BB157_161 Depth=1
	s_or_b32 exec_lo, exec_lo, s4
	v_add_f32_e64 v30, 0xbf317218, |v4|
	v_cmp_nlt_f32_e64 vcc_lo, 0x42b2d4fc, |v4|
	v_cmp_gt_f32_e64 s4, 0x39800000, |v4|
	v_and_b32_e32 v0, 1, v0
	s_delay_alu instid0(VALU_DEP_4) | instskip(NEXT) | instid1(VALU_DEP_1)
	v_sub_f32_e64 v31, v30, |v4|
	v_dual_sub_f32 v32, v31, v30 :: v_dual_add_f32 v31, 0x3f317218, v31
	s_delay_alu instid0(VALU_DEP_1) | instskip(NEXT) | instid1(VALU_DEP_1)
	v_add_f32_e64 v32, |v4|, v32
	v_sub_f32_e32 v31, v32, v31
	s_delay_alu instid0(VALU_DEP_1) | instskip(NEXT) | instid1(VALU_DEP_1)
	v_add_f32_e32 v31, 0x3102e308, v31
	v_add_f32_e32 v32, v30, v31
	s_delay_alu instid0(VALU_DEP_1) | instskip(NEXT) | instid1(VALU_DEP_1)
	v_sub_f32_e32 v30, v30, v32
	v_dual_mul_f32 v33, 0x3fb8aa3b, v32 :: v_dual_add_f32 v30, v31, v30
	s_delay_alu instid0(VALU_DEP_1) | instskip(NEXT) | instid1(VALU_DEP_1)
	v_rndne_f32_e32 v33, v33
	v_mul_f32_e32 v31, 0x35bfbc00, v33
	v_fmac_f32_e32 v32, 0xbf317200, v33
	s_delay_alu instid0(VALU_DEP_1) | instskip(NEXT) | instid1(VALU_DEP_1)
	v_add_f32_e32 v34, v30, v32
	v_dual_sub_f32 v35, v34, v31 :: v_dual_sub_f32 v32, v32, v34
	s_delay_alu instid0(VALU_DEP_1) | instskip(NEXT) | instid1(VALU_DEP_1)
	v_sub_f32_e32 v34, v34, v35
	v_sub_f32_e32 v31, v34, v31
	s_delay_alu instid0(VALU_DEP_3) | instskip(NEXT) | instid1(VALU_DEP_1)
	v_add_f32_e32 v30, v30, v32
	v_dual_add_f32 v30, v30, v31 :: v_dual_mul_f32 v31, 0x2ea39ef3, v33
	s_delay_alu instid0(VALU_DEP_1) | instskip(NEXT) | instid1(VALU_DEP_1)
	v_add_f32_e32 v32, v35, v30
	v_dual_sub_f32 v34, v32, v31 :: v_dual_sub_f32 v35, v35, v32
	s_delay_alu instid0(VALU_DEP_1) | instskip(NEXT) | instid1(VALU_DEP_2)
	v_sub_f32_e32 v32, v32, v34
	v_add_f32_e32 v30, v30, v35
	s_delay_alu instid0(VALU_DEP_2) | instskip(NEXT) | instid1(VALU_DEP_1)
	v_sub_f32_e32 v31, v32, v31
	v_add_f32_e32 v30, v30, v31
	s_delay_alu instid0(VALU_DEP_1) | instskip(NEXT) | instid1(VALU_DEP_1)
	v_add_f32_e32 v31, v34, v30
	v_sub_f32_e32 v32, v34, v31
	v_mul_f32_e32 v34, v31, v31
	s_delay_alu instid0(VALU_DEP_2) | instskip(SKIP_1) | instid1(VALU_DEP_3)
	v_add_f32_e32 v30, v30, v32
	v_fmaak_f32 v32, s24, v31, 0x3c091de6
	v_fma_f32 v35, v31, v31, -v34
	s_delay_alu instid0(VALU_DEP_3) | instskip(NEXT) | instid1(VALU_DEP_3)
	v_add_f32_e32 v36, v30, v30
	v_fmaak_f32 v32, v31, v32, 0x3d2aadcc
	s_delay_alu instid0(VALU_DEP_2) | instskip(NEXT) | instid1(VALU_DEP_2)
	v_fmac_f32_e32 v35, v31, v36
	v_fmaak_f32 v32, v31, v32, 0x3e2aaa47
	s_delay_alu instid0(VALU_DEP_2) | instskip(NEXT) | instid1(VALU_DEP_2)
	v_add_f32_e32 v36, v34, v35
	v_fmaak_f32 v32, v31, v32, 0x3efffffc
	s_delay_alu instid0(VALU_DEP_2) | instskip(NEXT) | instid1(VALU_DEP_1)
	v_sub_f32_e32 v34, v36, v34
	v_dual_mul_f32 v37, v32, v36 :: v_dual_sub_f32 v34, v35, v34
	s_delay_alu instid0(VALU_DEP_1) | instskip(NEXT) | instid1(VALU_DEP_1)
	v_fma_f32 v35, v36, v32, -v37
	v_fmac_f32_e32 v35, v34, v32
	s_delay_alu instid0(VALU_DEP_1) | instskip(NEXT) | instid1(VALU_DEP_1)
	v_add_f32_e32 v32, v37, v35
	v_sub_f32_e32 v36, v32, v37
	v_add_f32_e32 v34, v31, v32
	s_delay_alu instid0(VALU_DEP_2) | instskip(NEXT) | instid1(VALU_DEP_2)
	v_sub_f32_e32 v35, v35, v36
	v_sub_f32_e32 v31, v34, v31
	s_delay_alu instid0(VALU_DEP_1) | instskip(NEXT) | instid1(VALU_DEP_3)
	v_sub_f32_e32 v31, v32, v31
	v_add_f32_e32 v30, v30, v35
	s_delay_alu instid0(VALU_DEP_1) | instskip(NEXT) | instid1(VALU_DEP_1)
	v_add_f32_e32 v30, v30, v31
	v_add_f32_e32 v31, v34, v30
	s_delay_alu instid0(VALU_DEP_1) | instskip(NEXT) | instid1(VALU_DEP_1)
	v_add_f32_e32 v32, 1.0, v31
	v_dual_sub_f32 v34, v31, v34 :: v_dual_add_f32 v35, -1.0, v32
	s_delay_alu instid0(VALU_DEP_1) | instskip(NEXT) | instid1(VALU_DEP_1)
	v_dual_sub_f32 v30, v30, v34 :: v_dual_sub_f32 v31, v31, v35
	v_add_f32_e32 v30, v30, v31
	v_cvt_i32_f32_e32 v31, v33
	s_delay_alu instid0(VALU_DEP_2) | instskip(NEXT) | instid1(VALU_DEP_1)
	v_add_f32_e32 v33, v32, v30
	v_ldexp_f32 v34, v33, v31
	s_delay_alu instid0(VALU_DEP_1) | instskip(SKIP_1) | instid1(VALU_DEP_1)
	v_rcp_f32_e32 v35, v34
	v_sub_f32_e32 v32, v33, v32
	v_sub_f32_e32 v30, v30, v32
	s_waitcnt_depctr 0xfff
	v_mul_f32_e32 v32, v34, v35
	v_ldexp_f32 v30, v30, v31
	s_delay_alu instid0(VALU_DEP_2) | instskip(NEXT) | instid1(VALU_DEP_1)
	v_fma_f32 v31, v35, v34, -v32
	v_fmac_f32_e32 v31, v35, v30
	s_delay_alu instid0(VALU_DEP_1) | instskip(NEXT) | instid1(VALU_DEP_1)
	v_add_f32_e32 v33, v32, v31
	v_sub_f32_e32 v36, 1.0, v33
	v_sub_f32_e32 v32, v33, v32
	s_delay_alu instid0(VALU_DEP_2) | instskip(NEXT) | instid1(VALU_DEP_1)
	v_sub_f32_e32 v37, 1.0, v36
	v_dual_sub_f32 v31, v32, v31 :: v_dual_sub_f32 v32, v37, v33
	s_delay_alu instid0(VALU_DEP_1) | instskip(NEXT) | instid1(VALU_DEP_1)
	v_add_f32_e32 v31, v31, v32
	v_add_f32_e32 v32, v36, v31
	s_delay_alu instid0(VALU_DEP_1) | instskip(NEXT) | instid1(VALU_DEP_1)
	v_mul_f32_e32 v33, v35, v32
	v_dual_sub_f32 v36, v36, v32 :: v_dual_mul_f32 v37, v34, v33
	s_delay_alu instid0(VALU_DEP_1) | instskip(NEXT) | instid1(VALU_DEP_2)
	v_add_f32_e32 v31, v31, v36
	v_fma_f32 v38, v33, v34, -v37
	s_delay_alu instid0(VALU_DEP_1) | instskip(NEXT) | instid1(VALU_DEP_1)
	v_fmac_f32_e32 v38, v33, v30
	v_add_f32_e32 v39, v37, v38
	s_delay_alu instid0(VALU_DEP_1) | instskip(SKIP_1) | instid1(VALU_DEP_2)
	v_sub_f32_e32 v40, v32, v39
	v_sub_f32_e32 v36, v39, v37
	;; [unrolled: 1-line block ×3, first 2 shown]
	s_delay_alu instid0(VALU_DEP_2) | instskip(NEXT) | instid1(VALU_DEP_2)
	v_sub_f32_e32 v36, v36, v38
	v_sub_f32_e32 v32, v32, v39
	s_delay_alu instid0(VALU_DEP_1) | instskip(NEXT) | instid1(VALU_DEP_1)
	v_add_f32_e32 v31, v31, v32
	v_dual_add_f32 v32, v35, v33 :: v_dual_add_f32 v31, v36, v31
	s_delay_alu instid0(VALU_DEP_1) | instskip(NEXT) | instid1(VALU_DEP_2)
	v_sub_f32_e32 v36, v32, v35
	v_add_f32_e32 v31, v40, v31
	s_delay_alu instid0(VALU_DEP_2) | instskip(NEXT) | instid1(VALU_DEP_2)
	v_sub_f32_e32 v33, v33, v36
	v_mul_f32_e32 v31, v35, v31
	s_delay_alu instid0(VALU_DEP_1) | instskip(NEXT) | instid1(VALU_DEP_1)
	v_add_f32_e32 v31, v33, v31
	v_add_f32_e32 v33, v32, v31
	s_delay_alu instid0(VALU_DEP_1) | instskip(SKIP_1) | instid1(VALU_DEP_1)
	v_ldexp_f32 v35, v33, -2
	v_sub_f32_e32 v32, v33, v32
	v_dual_sub_f32 v36, v34, v35 :: v_dual_sub_f32 v31, v31, v32
	s_delay_alu instid0(VALU_DEP_1) | instskip(NEXT) | instid1(VALU_DEP_2)
	v_sub_f32_e32 v33, v34, v36
	v_ldexp_f32 v31, v31, -2
	s_delay_alu instid0(VALU_DEP_2) | instskip(NEXT) | instid1(VALU_DEP_1)
	v_sub_f32_e32 v32, v33, v35
	v_add_f32_e32 v30, v30, v32
	s_delay_alu instid0(VALU_DEP_1) | instskip(NEXT) | instid1(VALU_DEP_1)
	v_dual_sub_f32 v30, v30, v31 :: v_dual_mul_f32 v31, v29, v29
	v_add_f32_e32 v30, v36, v30
	s_delay_alu instid0(VALU_DEP_2) | instskip(NEXT) | instid1(VALU_DEP_2)
	v_fmaak_f32 v32, s23, v31, 0xbf039337
	v_cndmask_b32_e32 v30, 0x7f800000, v30, vcc_lo
	s_delay_alu instid0(VALU_DEP_2) | instskip(NEXT) | instid1(VALU_DEP_2)
	v_fmaak_f32 v32, v31, v32, 0x3f93f425
	v_cndmask_b32_e64 v30, v30, |v4|, s4
	s_delay_alu instid0(VALU_DEP_2) | instskip(NEXT) | instid1(VALU_DEP_1)
	v_rcp_f32_e32 v32, v32
	v_bfi_b32 v4, 0x7fffffff, v30, v4
	v_fmaak_f32 v30, s22, v31, 0x3ec54587
	s_delay_alu instid0(VALU_DEP_2) | instskip(SKIP_4) | instid1(VALU_DEP_2)
	v_fma_f32 v33, v4, v4, 1.0
	s_waitcnt_depctr 0xfff
	v_mul_f32_e32 v30, v30, v32
	v_mul_f32_e32 v32, 0x4f800000, v33
	v_cmp_gt_f32_e32 vcc_lo, 0xf800000, v33
	v_dual_mul_f32 v30, v31, v30 :: v_dual_cndmask_b32 v31, v33, v32
	s_delay_alu instid0(VALU_DEP_1) | instskip(NEXT) | instid1(VALU_DEP_2)
	v_fma_f32 v32, v30, v29, v29
	v_sqrt_f32_e32 v33, v31
	s_delay_alu instid0(VALU_DEP_1) | instskip(SKIP_1) | instid1(VALU_DEP_1)
	v_rcp_f32_e32 v34, v32
	v_sub_f32_e32 v35, v32, v29
	v_fma_f32 v29, v30, v29, -v35
	s_waitcnt_depctr 0xfff
	v_add_nc_u32_e32 v36, -1, v33
	v_fma_f32 v30, v32, -v34, 1.0
	v_add_nc_u32_e32 v35, 1, v33
	s_delay_alu instid0(VALU_DEP_3) | instskip(NEXT) | instid1(VALU_DEP_3)
	v_fma_f32 v37, -v36, v33, v31
	v_fma_f32 v29, v29, -v34, v30
	s_delay_alu instid0(VALU_DEP_3) | instskip(NEXT) | instid1(VALU_DEP_3)
	v_fma_f32 v30, -v35, v33, v31
	v_cmp_ge_f32_e64 s4, 0, v37
	s_delay_alu instid0(VALU_DEP_3) | instskip(NEXT) | instid1(VALU_DEP_2)
	v_fma_f32 v29, v29, -v34, -v34
	v_cndmask_b32_e64 v33, v33, v36, s4
	s_delay_alu instid0(VALU_DEP_4) | instskip(NEXT) | instid1(VALU_DEP_1)
	v_cmp_lt_f32_e64 s4, 0, v30
	v_cndmask_b32_e64 v30, v33, v35, s4
	v_cmp_eq_u32_e64 s4, 0, v0
	s_delay_alu instid0(VALU_DEP_1) | instskip(NEXT) | instid1(VALU_DEP_3)
	v_cndmask_b32_e64 v0, v29, v32, s4
	v_mul_f32_e32 v29, 0x37800000, v30
	s_delay_alu instid0(VALU_DEP_2) | instskip(NEXT) | instid1(VALU_DEP_2)
	v_xor3_b32 v0, v28, v0, v5
	v_cndmask_b32_e32 v5, v30, v29, vcc_lo
	v_cmp_class_f32_e64 vcc_lo, v31, 0x260
	s_delay_alu instid0(VALU_DEP_3) | instskip(NEXT) | instid1(VALU_DEP_3)
	v_fma_f32 v28, v0, v0, 1.0
	v_cndmask_b32_e32 v5, v5, v31, vcc_lo
	s_delay_alu instid0(VALU_DEP_2) | instskip(NEXT) | instid1(VALU_DEP_2)
	v_mul_f32_e32 v29, v4, v28
	v_mul_f32_e32 v5, v5, v28
	s_delay_alu instid0(VALU_DEP_2) | instskip(NEXT) | instid1(VALU_DEP_2)
	v_fma_f32 v28, v4, v29, 1.0
	v_mul_f32_e32 v4, v4, v5
	s_delay_alu instid0(VALU_DEP_2) | instskip(NEXT) | instid1(VALU_DEP_2)
	v_div_scale_f32 v29, null, v28, v28, v0
	v_div_scale_f32 v5, null, v28, v28, v4
	v_div_scale_f32 v34, vcc_lo, v4, v28, v4
	s_delay_alu instid0(VALU_DEP_3) | instskip(NEXT) | instid1(VALU_DEP_2)
	v_rcp_f32_e32 v31, v29
	v_rcp_f32_e32 v30, v5
	s_waitcnt_depctr 0xfff
	v_fma_f32 v33, -v29, v31, 1.0
	v_fma_f32 v32, -v5, v30, 1.0
	s_delay_alu instid0(VALU_DEP_1) | instskip(SKIP_1) | instid1(VALU_DEP_2)
	v_dual_fmac_f32 v31, v33, v31 :: v_dual_fmac_f32 v30, v32, v30
	v_div_scale_f32 v32, s4, v0, v28, v0
	v_mul_f32_e32 v33, v34, v30
	s_delay_alu instid0(VALU_DEP_2) | instskip(NEXT) | instid1(VALU_DEP_2)
	v_mul_f32_e32 v35, v32, v31
	v_fma_f32 v36, -v5, v33, v34
	s_delay_alu instid0(VALU_DEP_2) | instskip(NEXT) | instid1(VALU_DEP_2)
	v_fma_f32 v37, -v29, v35, v32
	v_fmac_f32_e32 v33, v36, v30
	s_delay_alu instid0(VALU_DEP_2) | instskip(NEXT) | instid1(VALU_DEP_2)
	v_fmac_f32_e32 v35, v37, v31
	v_fma_f32 v5, -v5, v33, v34
	s_delay_alu instid0(VALU_DEP_2) | instskip(NEXT) | instid1(VALU_DEP_2)
	v_fma_f32 v29, -v29, v35, v32
	v_div_fmas_f32 v5, v5, v30, v33
	s_mov_b32 vcc_lo, s4
	s_delay_alu instid0(VALU_DEP_2) | instskip(NEXT) | instid1(VALU_DEP_2)
	v_div_fmas_f32 v29, v29, v31, v35
	v_div_fixup_f32 v4, v5, v28, v4
	s_delay_alu instid0(VALU_DEP_2)
	v_div_fixup_f32 v5, v29, v28, v0
                                        ; implicit-def: $vgpr28
.LBB157_253:                            ;   in Loop: Header=BB157_161 Depth=1
	s_and_not1_saveexec_b32 s28, s28
	s_cbranch_execz .LBB157_263
; %bb.254:                              ;   in Loop: Header=BB157_161 Depth=1
	s_delay_alu instid0(VALU_DEP_1) | instskip(NEXT) | instid1(VALU_DEP_1)
	v_cmp_ngt_f32_e64 s29, 0x48000000, |v5|
                                        ; implicit-def: $vgpr30
                                        ; implicit-def: $vgpr29
	s_and_saveexec_b32 s4, s29
	s_delay_alu instid0(SALU_CYCLE_1)
	s_xor_b32 s30, exec_lo, s4
	s_cbranch_execz .LBB157_256
; %bb.255:                              ;   in Loop: Header=BB157_161 Depth=1
	v_and_or_b32 v37, v28, s7, 0x800000
	v_lshrrev_b32_e32 v34, 23, v28
	s_delay_alu instid0(VALU_DEP_2) | instskip(NEXT) | instid1(VALU_DEP_2)
	v_mad_u64_u32 v[29:30], null, 0xfe5163ab, v37, 0
	v_add_nc_u32_e32 v35, 0xffffff88, v34
	s_delay_alu instid0(VALU_DEP_1) | instskip(NEXT) | instid1(VALU_DEP_3)
	v_cmp_lt_u32_e32 vcc_lo, 63, v35
	v_mov_b32_e32 v0, v30
	v_cndmask_b32_e64 v36, 0, 0xffffffc0, vcc_lo
	s_delay_alu instid0(VALU_DEP_2) | instskip(NEXT) | instid1(VALU_DEP_2)
	v_mad_u64_u32 v[30:31], null, 0x3c439041, v37, v[0:1]
	v_add_nc_u32_e32 v36, v36, v35
	s_delay_alu instid0(VALU_DEP_2) | instskip(NEXT) | instid1(VALU_DEP_2)
	v_mov_b32_e32 v0, v31
	v_cmp_lt_u32_e64 s4, 31, v36
	s_delay_alu instid0(VALU_DEP_2) | instskip(NEXT) | instid1(VALU_DEP_2)
	v_mad_u64_u32 v[31:32], null, 0xdb629599, v37, v[0:1]
	v_cndmask_b32_e64 v38, 0, 0xffffffe0, s4
	s_delay_alu instid0(VALU_DEP_1) | instskip(NEXT) | instid1(VALU_DEP_3)
	v_add_nc_u32_e32 v38, v38, v36
	v_dual_mov_b32 v0, v32 :: v_dual_cndmask_b32 v29, v31, v29
	s_delay_alu instid0(VALU_DEP_2) | instskip(NEXT) | instid1(VALU_DEP_2)
	v_cmp_lt_u32_e64 s5, 31, v38
	v_mad_u64_u32 v[32:33], null, 0xf534ddc0, v37, v[0:1]
	s_delay_alu instid0(VALU_DEP_1) | instskip(NEXT) | instid1(VALU_DEP_2)
	v_mov_b32_e32 v0, v33
	v_cndmask_b32_e32 v30, v32, v30, vcc_lo
	s_delay_alu instid0(VALU_DEP_2) | instskip(NEXT) | instid1(VALU_DEP_2)
	v_mad_u64_u32 v[33:34], null, 0xfc2757d1, v37, v[0:1]
	v_cndmask_b32_e64 v29, v30, v29, s4
	s_delay_alu instid0(VALU_DEP_2) | instskip(NEXT) | instid1(VALU_DEP_1)
	v_mov_b32_e32 v0, v34
	v_mad_u64_u32 v[34:35], null, 0x4e441529, v37, v[0:1]
	s_delay_alu instid0(VALU_DEP_1) | instskip(NEXT) | instid1(VALU_DEP_1)
	v_mov_b32_e32 v0, v35
	v_mad_u64_u32 v[35:36], null, 0xa2f9836e, v37, v[0:1]
	v_cndmask_b32_e64 v0, 0, 0xffffffe0, s5
	s_delay_alu instid0(VALU_DEP_1) | instskip(NEXT) | instid1(VALU_DEP_3)
	v_dual_cndmask_b32 v37, v34, v32 :: v_dual_add_nc_u32 v0, v0, v38
	v_dual_cndmask_b32 v35, v35, v33 :: v_dual_cndmask_b32 v34, v36, v34
	v_cndmask_b32_e32 v33, v33, v31, vcc_lo
	s_delay_alu instid0(VALU_DEP_3) | instskip(NEXT) | instid1(VALU_DEP_3)
	v_sub_nc_u32_e32 v36, 32, v0
	v_cndmask_b32_e64 v32, v35, v37, s4
	s_delay_alu instid0(VALU_DEP_4) | instskip(NEXT) | instid1(VALU_DEP_4)
	v_cndmask_b32_e64 v34, v34, v35, s4
	v_cndmask_b32_e64 v35, v37, v33, s4
	;; [unrolled: 1-line block ×3, first 2 shown]
	v_cmp_eq_u32_e64 s6, 0, v0
	s_delay_alu instid0(VALU_DEP_4) | instskip(NEXT) | instid1(VALU_DEP_4)
	v_cndmask_b32_e64 v34, v34, v32, s5
	v_cndmask_b32_e64 v32, v32, v35, s5
	s_delay_alu instid0(VALU_DEP_4) | instskip(SKIP_1) | instid1(VALU_DEP_3)
	v_cndmask_b32_e64 v35, v35, v33, s5
	v_cndmask_b32_e64 v29, v33, v29, s5
	v_alignbit_b32 v37, v34, v32, v36
	s_delay_alu instid0(VALU_DEP_3) | instskip(NEXT) | instid1(VALU_DEP_3)
	v_alignbit_b32 v38, v32, v35, v36
	v_alignbit_b32 v36, v35, v29, v36
	s_delay_alu instid0(VALU_DEP_3) | instskip(NEXT) | instid1(VALU_DEP_3)
	v_cndmask_b32_e64 v0, v37, v34, s6
	v_cndmask_b32_e64 v31, v38, v32, s6
	s_delay_alu instid0(VALU_DEP_3) | instskip(NEXT) | instid1(VALU_DEP_3)
	v_cndmask_b32_e64 v35, v36, v35, s6
	v_bfe_u32 v32, v0, 29, 1
	s_delay_alu instid0(VALU_DEP_3) | instskip(NEXT) | instid1(VALU_DEP_3)
	v_alignbit_b32 v30, v0, v31, 30
	v_alignbit_b32 v31, v31, v35, 30
	;; [unrolled: 1-line block ×3, first 2 shown]
	s_delay_alu instid0(VALU_DEP_4) | instskip(NEXT) | instid1(VALU_DEP_1)
	v_sub_nc_u32_e32 v34, 0, v32
	v_xor_b32_e32 v33, v30, v34
	v_cmp_ne_u32_e32 vcc_lo, v30, v34
	v_xor_b32_e32 v31, v31, v34
	v_xor_b32_e32 v29, v29, v34
	s_delay_alu instid0(VALU_DEP_4) | instskip(NEXT) | instid1(VALU_DEP_1)
	v_clz_i32_u32_e32 v37, v33
	v_add_nc_u32_e32 v36, 1, v37
	s_delay_alu instid0(VALU_DEP_1) | instskip(NEXT) | instid1(VALU_DEP_1)
	v_cndmask_b32_e32 v30, 33, v36, vcc_lo
	v_sub_nc_u32_e32 v35, 32, v30
	s_delay_alu instid0(VALU_DEP_1) | instskip(SKIP_3) | instid1(VALU_DEP_3)
	v_alignbit_b32 v33, v33, v31, v35
	v_alignbit_b32 v29, v31, v29, v35
	v_lshrrev_b32_e32 v31, 29, v0
	v_lshrrev_b32_e32 v0, 30, v0
	v_alignbit_b32 v34, v33, v29, 9
	s_delay_alu instid0(VALU_DEP_3) | instskip(SKIP_1) | instid1(VALU_DEP_3)
	v_lshlrev_b32_e32 v31, 31, v31
	v_alignbit_b32 v33, v30, v33, 9
	v_clz_i32_u32_e32 v35, v34
	s_delay_alu instid0(VALU_DEP_2) | instskip(SKIP_1) | instid1(VALU_DEP_3)
	v_or_b32_e32 v33, v33, v31
	v_or_b32_e32 v31, 0x33800000, v31
	v_min_u32_e32 v35, 32, v35
	s_delay_alu instid0(VALU_DEP_3) | instskip(NEXT) | instid1(VALU_DEP_2)
	v_xor_b32_e32 v33, 1.0, v33
	v_sub_nc_u32_e32 v36, 31, v35
	v_add_lshl_u32 v30, v35, v30, 23
	s_delay_alu instid0(VALU_DEP_3) | instskip(NEXT) | instid1(VALU_DEP_3)
	v_mul_f32_e32 v35, 0x3fc90fda, v33
	v_alignbit_b32 v29, v34, v29, v36
	s_delay_alu instid0(VALU_DEP_3) | instskip(NEXT) | instid1(VALU_DEP_3)
	v_sub_nc_u32_e32 v30, v31, v30
	v_fma_f32 v31, 0x3fc90fda, v33, -v35
	s_delay_alu instid0(VALU_DEP_3) | instskip(NEXT) | instid1(VALU_DEP_2)
	v_lshrrev_b32_e32 v29, 9, v29
	v_fmac_f32_e32 v31, 0x33a22168, v33
	s_delay_alu instid0(VALU_DEP_2) | instskip(NEXT) | instid1(VALU_DEP_1)
	v_or_b32_e32 v29, v30, v29
	v_dual_fmac_f32 v31, 0x3fc90fda, v29 :: v_dual_add_nc_u32 v30, v32, v0
	s_delay_alu instid0(VALU_DEP_1)
	v_add_f32_e32 v29, v35, v31
	s_and_not1_saveexec_b32 s4, s30
	s_branch .LBB157_257
.LBB157_256:                            ;   in Loop: Header=BB157_161 Depth=1
	s_and_not1_saveexec_b32 s4, s30
.LBB157_257:                            ;   in Loop: Header=BB157_161 Depth=1
	v_mul_f32_e64 v0, 0x3f22f983, |v5|
	s_delay_alu instid0(VALU_DEP_1) | instskip(NEXT) | instid1(VALU_DEP_1)
	v_rndne_f32_e32 v0, v0
	v_fma_f32 v29, 0xbfc90fda, v0, |v5|
	v_cvt_i32_f32_e32 v30, v0
	s_delay_alu instid0(VALU_DEP_2) | instskip(NEXT) | instid1(VALU_DEP_1)
	v_fmac_f32_e32 v29, 0xb3a22168, v0
	v_fmac_f32_e32 v29, 0xa7c234c4, v0
; %bb.258:                              ;   in Loop: Header=BB157_161 Depth=1
	s_or_b32 exec_lo, exec_lo, s4
                                        ; implicit-def: $vgpr31
                                        ; implicit-def: $vgpr0
	s_and_saveexec_b32 s4, s29
	s_delay_alu instid0(SALU_CYCLE_1)
	s_xor_b32 s29, exec_lo, s4
	s_cbranch_execz .LBB157_260
; %bb.259:                              ;   in Loop: Header=BB157_161 Depth=1
	v_and_or_b32 v39, v28, s7, 0x800000
	v_lshrrev_b32_e32 v36, 23, v28
	s_delay_alu instid0(VALU_DEP_2) | instskip(NEXT) | instid1(VALU_DEP_2)
	v_mad_u64_u32 v[31:32], null, 0xfe5163ab, v39, 0
	v_add_nc_u32_e32 v37, 0xffffff88, v36
	s_delay_alu instid0(VALU_DEP_1) | instskip(NEXT) | instid1(VALU_DEP_3)
	v_cmp_lt_u32_e32 vcc_lo, 63, v37
	v_mov_b32_e32 v0, v32
	v_cndmask_b32_e64 v38, 0, 0xffffffc0, vcc_lo
	s_delay_alu instid0(VALU_DEP_2) | instskip(NEXT) | instid1(VALU_DEP_2)
	v_mad_u64_u32 v[32:33], null, 0x3c439041, v39, v[0:1]
	v_add_nc_u32_e32 v38, v38, v37
	s_delay_alu instid0(VALU_DEP_2) | instskip(NEXT) | instid1(VALU_DEP_2)
	v_mov_b32_e32 v0, v33
	v_cmp_lt_u32_e64 s4, 31, v38
	s_delay_alu instid0(VALU_DEP_2) | instskip(NEXT) | instid1(VALU_DEP_2)
	v_mad_u64_u32 v[33:34], null, 0xdb629599, v39, v[0:1]
	v_cndmask_b32_e64 v40, 0, 0xffffffe0, s4
	s_delay_alu instid0(VALU_DEP_1) | instskip(NEXT) | instid1(VALU_DEP_3)
	v_add_nc_u32_e32 v40, v40, v38
	v_dual_mov_b32 v0, v34 :: v_dual_cndmask_b32 v31, v33, v31
	s_delay_alu instid0(VALU_DEP_2) | instskip(NEXT) | instid1(VALU_DEP_2)
	v_cmp_lt_u32_e64 s5, 31, v40
	v_mad_u64_u32 v[34:35], null, 0xf534ddc0, v39, v[0:1]
	s_delay_alu instid0(VALU_DEP_1) | instskip(NEXT) | instid1(VALU_DEP_2)
	v_mov_b32_e32 v0, v35
	v_cndmask_b32_e32 v32, v34, v32, vcc_lo
	s_delay_alu instid0(VALU_DEP_2) | instskip(NEXT) | instid1(VALU_DEP_2)
	v_mad_u64_u32 v[35:36], null, 0xfc2757d1, v39, v[0:1]
	v_cndmask_b32_e64 v31, v32, v31, s4
	s_delay_alu instid0(VALU_DEP_2) | instskip(NEXT) | instid1(VALU_DEP_1)
	v_mov_b32_e32 v0, v36
	v_mad_u64_u32 v[36:37], null, 0x4e441529, v39, v[0:1]
	s_delay_alu instid0(VALU_DEP_1) | instskip(NEXT) | instid1(VALU_DEP_1)
	v_mov_b32_e32 v0, v37
	v_mad_u64_u32 v[37:38], null, 0xa2f9836e, v39, v[0:1]
	v_cndmask_b32_e64 v0, 0, 0xffffffe0, s5
	s_delay_alu instid0(VALU_DEP_4) | instskip(NEXT) | instid1(VALU_DEP_2)
	v_cndmask_b32_e32 v39, v36, v34, vcc_lo
	v_dual_cndmask_b32 v37, v37, v35 :: v_dual_add_nc_u32 v0, v0, v40
	s_delay_alu instid0(VALU_DEP_4) | instskip(NEXT) | instid1(VALU_DEP_2)
	v_dual_cndmask_b32 v36, v38, v36 :: v_dual_cndmask_b32 v35, v35, v33
	v_sub_nc_u32_e32 v38, 32, v0
	s_delay_alu instid0(VALU_DEP_3) | instskip(NEXT) | instid1(VALU_DEP_3)
	v_cndmask_b32_e64 v34, v37, v39, s4
	v_cndmask_b32_e64 v36, v36, v37, s4
	s_delay_alu instid0(VALU_DEP_4) | instskip(SKIP_2) | instid1(VALU_DEP_4)
	v_cndmask_b32_e64 v37, v39, v35, s4
	v_cndmask_b32_e64 v35, v35, v32, s4
	v_cmp_eq_u32_e64 s6, 0, v0
	v_cndmask_b32_e64 v36, v36, v34, s5
	s_delay_alu instid0(VALU_DEP_4) | instskip(NEXT) | instid1(VALU_DEP_4)
	v_cndmask_b32_e64 v34, v34, v37, s5
	v_cndmask_b32_e64 v37, v37, v35, s5
	;; [unrolled: 1-line block ×3, first 2 shown]
	s_delay_alu instid0(VALU_DEP_3) | instskip(NEXT) | instid1(VALU_DEP_3)
	v_alignbit_b32 v39, v36, v34, v38
	v_alignbit_b32 v40, v34, v37, v38
	s_delay_alu instid0(VALU_DEP_3) | instskip(NEXT) | instid1(VALU_DEP_3)
	v_alignbit_b32 v38, v37, v31, v38
	v_cndmask_b32_e64 v0, v39, v36, s6
	s_delay_alu instid0(VALU_DEP_3) | instskip(NEXT) | instid1(VALU_DEP_3)
	v_cndmask_b32_e64 v33, v40, v34, s6
	v_cndmask_b32_e64 v37, v38, v37, s6
	s_delay_alu instid0(VALU_DEP_3) | instskip(NEXT) | instid1(VALU_DEP_3)
	v_bfe_u32 v34, v0, 29, 1
	v_alignbit_b32 v32, v0, v33, 30
	s_delay_alu instid0(VALU_DEP_3) | instskip(SKIP_1) | instid1(VALU_DEP_4)
	v_alignbit_b32 v33, v33, v37, 30
	v_alignbit_b32 v31, v37, v31, 30
	v_sub_nc_u32_e32 v36, 0, v34
	s_delay_alu instid0(VALU_DEP_1) | instskip(SKIP_3) | instid1(VALU_DEP_4)
	v_xor_b32_e32 v35, v32, v36
	v_cmp_ne_u32_e32 vcc_lo, v32, v36
	v_xor_b32_e32 v33, v33, v36
	v_xor_b32_e32 v31, v31, v36
	v_clz_i32_u32_e32 v39, v35
	s_delay_alu instid0(VALU_DEP_1) | instskip(NEXT) | instid1(VALU_DEP_1)
	v_add_nc_u32_e32 v38, 1, v39
	v_cndmask_b32_e32 v32, 33, v38, vcc_lo
	s_delay_alu instid0(VALU_DEP_1) | instskip(NEXT) | instid1(VALU_DEP_1)
	v_sub_nc_u32_e32 v37, 32, v32
	v_alignbit_b32 v35, v35, v33, v37
	v_alignbit_b32 v31, v33, v31, v37
	v_lshrrev_b32_e32 v33, 29, v0
	s_delay_alu instid0(VALU_DEP_2) | instskip(NEXT) | instid1(VALU_DEP_2)
	v_alignbit_b32 v36, v35, v31, 9
	v_lshlrev_b32_e32 v33, 31, v33
	v_alignbit_b32 v35, v32, v35, 9
	s_delay_alu instid0(VALU_DEP_3) | instskip(NEXT) | instid1(VALU_DEP_2)
	v_clz_i32_u32_e32 v37, v36
	v_or_b32_e32 v35, v35, v33
	v_or_b32_e32 v33, 0x33800000, v33
	s_delay_alu instid0(VALU_DEP_3) | instskip(NEXT) | instid1(VALU_DEP_3)
	v_min_u32_e32 v37, 32, v37
	v_xor_b32_e32 v35, 1.0, v35
	s_delay_alu instid0(VALU_DEP_2) | instskip(SKIP_1) | instid1(VALU_DEP_3)
	v_sub_nc_u32_e32 v38, 31, v37
	v_add_lshl_u32 v32, v37, v32, 23
	v_mul_f32_e32 v37, 0x3fc90fda, v35
	s_delay_alu instid0(VALU_DEP_3) | instskip(NEXT) | instid1(VALU_DEP_3)
	v_alignbit_b32 v31, v36, v31, v38
	v_sub_nc_u32_e32 v32, v33, v32
	s_delay_alu instid0(VALU_DEP_3) | instskip(NEXT) | instid1(VALU_DEP_3)
	v_fma_f32 v33, 0x3fc90fda, v35, -v37
	v_lshrrev_b32_e32 v31, 9, v31
	s_delay_alu instid0(VALU_DEP_2) | instskip(NEXT) | instid1(VALU_DEP_2)
	v_fmac_f32_e32 v33, 0x33a22168, v35
	v_or_b32_e32 v31, v32, v31
	s_delay_alu instid0(VALU_DEP_1) | instskip(SKIP_1) | instid1(VALU_DEP_1)
	v_fmac_f32_e32 v33, 0x3fc90fda, v31
	v_lshrrev_b32_e32 v31, 30, v0
	v_dual_add_f32 v0, v37, v33 :: v_dual_add_nc_u32 v31, v34, v31
	s_and_not1_saveexec_b32 s4, s29
	s_cbranch_execnz .LBB157_261
	s_branch .LBB157_262
.LBB157_260:                            ;   in Loop: Header=BB157_161 Depth=1
	s_and_not1_saveexec_b32 s4, s29
.LBB157_261:                            ;   in Loop: Header=BB157_161 Depth=1
	v_mul_f32_e64 v0, 0x3f22f983, |v5|
	s_delay_alu instid0(VALU_DEP_1) | instskip(NEXT) | instid1(VALU_DEP_1)
	v_rndne_f32_e32 v31, v0
	v_fma_f32 v0, 0xbfc90fda, v31, |v5|
	s_delay_alu instid0(VALU_DEP_1) | instskip(NEXT) | instid1(VALU_DEP_1)
	v_fmac_f32_e32 v0, 0xb3a22168, v31
	v_fmac_f32_e32 v0, 0xa7c234c4, v31
	v_cvt_i32_f32_e32 v31, v31
.LBB157_262:                            ;   in Loop: Header=BB157_161 Depth=1
	s_or_b32 exec_lo, exec_lo, s4
	v_mul_f32_e64 v34, 0xbfb8aa3b, |v4|
	v_dual_mul_f32 v32, v29, v29 :: v_dual_and_b32 v33, 1, v30
	v_lshlrev_b32_e32 v30, 30, v30
	s_delay_alu instid0(VALU_DEP_3) | instskip(NEXT) | instid1(VALU_DEP_3)
	v_rndne_f32_e32 v38, v34
	v_fmaak_f32 v35, s25, v32, 0x3c0881c4
	v_mul_f32_e32 v37, v0, v0
	v_fma_f32 v39, 0xbfb8aa3b, |v4|, -v34
	v_cmp_eq_u32_e32 vcc_lo, 0, v33
	v_dual_sub_f32 v34, v34, v38 :: v_dual_and_b32 v33, 1, v31
	s_delay_alu instid0(VALU_DEP_4) | instskip(SKIP_3) | instid1(VALU_DEP_4)
	v_fmaak_f32 v40, s25, v37, 0x3c0881c4
	v_fmaak_f32 v35, v32, v35, 0xbe2aaa9d
	v_fma_f32 v39, 0xb2a5705f, |v4|, v39
	v_fmaak_f32 v41, s26, v37, 0xbab64f3b
	v_dual_fmaak_f32 v40, v37, v40, 0xbe2aaa9d :: v_dual_lshlrev_b32 v31, 30, v31
	s_delay_alu instid0(VALU_DEP_4) | instskip(NEXT) | instid1(VALU_DEP_4)
	v_dual_fmaak_f32 v36, s26, v32, 0xbab64f3b :: v_dual_mul_f32 v35, v32, v35
	v_add_f32_e32 v34, v34, v39
	s_delay_alu instid0(VALU_DEP_2) | instskip(NEXT) | instid1(VALU_DEP_2)
	v_dual_fmaak_f32 v36, v32, v36, 0x3d2aabf7 :: v_dual_fmac_f32 v29, v29, v35
	v_exp_f32_e32 v34, v34
	s_delay_alu instid0(VALU_DEP_1) | instskip(NEXT) | instid1(VALU_DEP_1)
	v_fmaak_f32 v36, v32, v36, 0xbf000004
	v_fma_f32 v32, v32, v36, 1.0
	v_and_b32_e32 v30, 0x80000000, v30
	s_delay_alu instid0(VALU_DEP_2) | instskip(NEXT) | instid1(VALU_DEP_2)
	v_dual_mul_f32 v36, v37, v40 :: v_dual_cndmask_b32 v29, v32, v29
	v_xor_b32_e32 v28, v28, v30
	v_cvt_i32_f32_e32 v30, v38
	v_cmp_eq_u32_e32 vcc_lo, 0, v33
	s_delay_alu instid0(VALU_DEP_3) | instskip(SKIP_3) | instid1(VALU_DEP_2)
	v_xor3_b32 v5, v28, v29, v5
	v_and_b32_e32 v29, 0x80000000, v31
	v_dual_fmaak_f32 v35, v37, v41, 0x3d2aabf7 :: v_dual_fmac_f32 v0, v0, v36
	v_ldexp_f32 v28, v34, v30
	v_dual_mul_f32 v5, 4.0, v5 :: v_dual_fmaak_f32 v32, v37, v35, 0xbf000004
	s_delay_alu instid0(VALU_DEP_1) | instskip(NEXT) | instid1(VALU_DEP_1)
	v_fma_f32 v32, v37, v32, 1.0
	v_cndmask_b32_e64 v0, -v0, v32, vcc_lo
	v_cmp_nlt_f32_e64 vcc_lo, 0x42ce8ed0, |v4|
	s_delay_alu instid0(VALU_DEP_2) | instskip(SKIP_3) | instid1(VALU_DEP_4)
	v_xor_b32_e32 v0, v29, v0
	v_cndmask_b32_e32 v28, 0, v28, vcc_lo
	v_cmp_ngt_f32_e64 vcc_lo, 0xc2b17218, |v4|
	v_bfi_b32 v4, 0x7fffffff, 1.0, v4
	v_mul_f32_e32 v0, v5, v0
	s_delay_alu instid0(VALU_DEP_4) | instskip(NEXT) | instid1(VALU_DEP_1)
	v_cndmask_b32_e32 v28, 0x7f800000, v28, vcc_lo
	v_mul_f32_e32 v0, v28, v0
	s_delay_alu instid0(VALU_DEP_1)
	v_mul_f32_e32 v5, v28, v0
.LBB157_263:                            ;   in Loop: Header=BB157_161 Depth=1
	s_or_b32 exec_lo, exec_lo, s28
.LBB157_264:                            ;   in Loop: Header=BB157_161 Depth=1
	s_and_not1_saveexec_b32 s4, s27
; %bb.265:                              ;   in Loop: Header=BB157_161 Depth=1
	s_delay_alu instid0(VALU_DEP_1) | instskip(NEXT) | instid1(VALU_DEP_1)
	v_sub_f32_e32 v5, v5, v5
	v_mov_b32_e32 v4, v5
; %bb.266:                              ;   in Loop: Header=BB157_161 Depth=1
	s_or_b32 exec_lo, exec_lo, s4
.LBB157_267:                            ;   in Loop: Header=BB157_161 Depth=1
	s_and_not1_saveexec_b32 s13, s13
	s_cbranch_execz .LBB157_283
; %bb.268:                              ;   in Loop: Header=BB157_161 Depth=1
	s_delay_alu instid0(VALU_DEP_1) | instskip(SKIP_1) | instid1(VALU_DEP_1)
	v_and_b32_e32 v0, 0x7fffff, v4
	s_mov_b32 s4, exec_lo
	v_cmpx_ne_u32_e32 0, v0
	s_xor_b32 s4, exec_lo, s4
; %bb.269:                              ;   in Loop: Header=BB157_161 Depth=1
	v_mul_f32_e32 v0, v5, v4
	v_cmp_eq_f32_e32 vcc_lo, 0, v5
	s_delay_alu instid0(VALU_DEP_2)
	v_cndmask_b32_e32 v5, v0, v5, vcc_lo
; %bb.270:                              ;   in Loop: Header=BB157_161 Depth=1
	s_and_not1_saveexec_b32 s27, s4
	s_cbranch_execz .LBB157_282
; %bb.271:                              ;   in Loop: Header=BB157_161 Depth=1
	s_mov_b32 s28, exec_lo
	s_delay_alu instid0(VALU_DEP_1)
	v_cmpx_neq_f32_e64 0x7f800000, |v5|
	s_cbranch_execz .LBB157_281
; %bb.272:                              ;   in Loop: Header=BB157_161 Depth=1
	v_and_b32_e32 v28, 0x7fffffff, v5
	v_cmp_ngt_f32_e64 s29, 0x48000000, |v5|
                                        ; implicit-def: $vgpr30
                                        ; implicit-def: $vgpr29
	s_delay_alu instid0(VALU_DEP_1) | instskip(NEXT) | instid1(SALU_CYCLE_1)
	s_and_saveexec_b32 s4, s29
	s_xor_b32 s30, exec_lo, s4
	s_cbranch_execz .LBB157_274
; %bb.273:                              ;   in Loop: Header=BB157_161 Depth=1
	v_and_or_b32 v37, v28, s7, 0x800000
	v_lshrrev_b32_e32 v34, 23, v28
	s_delay_alu instid0(VALU_DEP_2) | instskip(NEXT) | instid1(VALU_DEP_2)
	v_mad_u64_u32 v[29:30], null, 0xfe5163ab, v37, 0
	v_add_nc_u32_e32 v35, 0xffffff88, v34
	s_delay_alu instid0(VALU_DEP_1) | instskip(NEXT) | instid1(VALU_DEP_3)
	v_cmp_lt_u32_e32 vcc_lo, 63, v35
	v_mov_b32_e32 v0, v30
	v_cndmask_b32_e64 v36, 0, 0xffffffc0, vcc_lo
	s_delay_alu instid0(VALU_DEP_2) | instskip(NEXT) | instid1(VALU_DEP_2)
	v_mad_u64_u32 v[30:31], null, 0x3c439041, v37, v[0:1]
	v_add_nc_u32_e32 v36, v36, v35
	s_delay_alu instid0(VALU_DEP_2) | instskip(NEXT) | instid1(VALU_DEP_2)
	v_mov_b32_e32 v0, v31
	v_cmp_lt_u32_e64 s4, 31, v36
	s_delay_alu instid0(VALU_DEP_2) | instskip(NEXT) | instid1(VALU_DEP_2)
	v_mad_u64_u32 v[31:32], null, 0xdb629599, v37, v[0:1]
	v_cndmask_b32_e64 v38, 0, 0xffffffe0, s4
	s_delay_alu instid0(VALU_DEP_1) | instskip(NEXT) | instid1(VALU_DEP_3)
	v_add_nc_u32_e32 v38, v38, v36
	v_dual_mov_b32 v0, v32 :: v_dual_cndmask_b32 v29, v31, v29
	s_delay_alu instid0(VALU_DEP_2) | instskip(NEXT) | instid1(VALU_DEP_2)
	v_cmp_lt_u32_e64 s5, 31, v38
	v_mad_u64_u32 v[32:33], null, 0xf534ddc0, v37, v[0:1]
	s_delay_alu instid0(VALU_DEP_1) | instskip(NEXT) | instid1(VALU_DEP_2)
	v_mov_b32_e32 v0, v33
	v_cndmask_b32_e32 v30, v32, v30, vcc_lo
	s_delay_alu instid0(VALU_DEP_2) | instskip(NEXT) | instid1(VALU_DEP_2)
	v_mad_u64_u32 v[33:34], null, 0xfc2757d1, v37, v[0:1]
	v_cndmask_b32_e64 v29, v30, v29, s4
	s_delay_alu instid0(VALU_DEP_2) | instskip(NEXT) | instid1(VALU_DEP_1)
	v_mov_b32_e32 v0, v34
	v_mad_u64_u32 v[34:35], null, 0x4e441529, v37, v[0:1]
	s_delay_alu instid0(VALU_DEP_1) | instskip(NEXT) | instid1(VALU_DEP_1)
	v_mov_b32_e32 v0, v35
	v_mad_u64_u32 v[35:36], null, 0xa2f9836e, v37, v[0:1]
	v_cndmask_b32_e64 v0, 0, 0xffffffe0, s5
	s_delay_alu instid0(VALU_DEP_1) | instskip(NEXT) | instid1(VALU_DEP_3)
	v_dual_cndmask_b32 v37, v34, v32 :: v_dual_add_nc_u32 v0, v0, v38
	v_dual_cndmask_b32 v35, v35, v33 :: v_dual_cndmask_b32 v34, v36, v34
	v_cndmask_b32_e32 v33, v33, v31, vcc_lo
	s_delay_alu instid0(VALU_DEP_3) | instskip(NEXT) | instid1(VALU_DEP_3)
	v_sub_nc_u32_e32 v36, 32, v0
	v_cndmask_b32_e64 v32, v35, v37, s4
	s_delay_alu instid0(VALU_DEP_4) | instskip(NEXT) | instid1(VALU_DEP_4)
	v_cndmask_b32_e64 v34, v34, v35, s4
	v_cndmask_b32_e64 v35, v37, v33, s4
	;; [unrolled: 1-line block ×3, first 2 shown]
	v_cmp_eq_u32_e64 s6, 0, v0
	s_delay_alu instid0(VALU_DEP_4) | instskip(NEXT) | instid1(VALU_DEP_4)
	v_cndmask_b32_e64 v34, v34, v32, s5
	v_cndmask_b32_e64 v32, v32, v35, s5
	s_delay_alu instid0(VALU_DEP_4) | instskip(SKIP_1) | instid1(VALU_DEP_3)
	v_cndmask_b32_e64 v35, v35, v33, s5
	v_cndmask_b32_e64 v29, v33, v29, s5
	v_alignbit_b32 v37, v34, v32, v36
	s_delay_alu instid0(VALU_DEP_3) | instskip(NEXT) | instid1(VALU_DEP_3)
	v_alignbit_b32 v38, v32, v35, v36
	v_alignbit_b32 v36, v35, v29, v36
	s_delay_alu instid0(VALU_DEP_3) | instskip(NEXT) | instid1(VALU_DEP_3)
	v_cndmask_b32_e64 v0, v37, v34, s6
	v_cndmask_b32_e64 v31, v38, v32, s6
	s_delay_alu instid0(VALU_DEP_3) | instskip(NEXT) | instid1(VALU_DEP_3)
	v_cndmask_b32_e64 v35, v36, v35, s6
	v_bfe_u32 v32, v0, 29, 1
	s_delay_alu instid0(VALU_DEP_3) | instskip(NEXT) | instid1(VALU_DEP_3)
	v_alignbit_b32 v30, v0, v31, 30
	v_alignbit_b32 v31, v31, v35, 30
	;; [unrolled: 1-line block ×3, first 2 shown]
	s_delay_alu instid0(VALU_DEP_4) | instskip(NEXT) | instid1(VALU_DEP_1)
	v_sub_nc_u32_e32 v34, 0, v32
	v_xor_b32_e32 v33, v30, v34
	v_cmp_ne_u32_e32 vcc_lo, v30, v34
	v_xor_b32_e32 v31, v31, v34
	v_xor_b32_e32 v29, v29, v34
	s_delay_alu instid0(VALU_DEP_4) | instskip(NEXT) | instid1(VALU_DEP_1)
	v_clz_i32_u32_e32 v37, v33
	v_add_nc_u32_e32 v36, 1, v37
	s_delay_alu instid0(VALU_DEP_1) | instskip(NEXT) | instid1(VALU_DEP_1)
	v_cndmask_b32_e32 v30, 33, v36, vcc_lo
	v_sub_nc_u32_e32 v35, 32, v30
	s_delay_alu instid0(VALU_DEP_1) | instskip(SKIP_3) | instid1(VALU_DEP_3)
	v_alignbit_b32 v33, v33, v31, v35
	v_alignbit_b32 v29, v31, v29, v35
	v_lshrrev_b32_e32 v31, 29, v0
	v_lshrrev_b32_e32 v0, 30, v0
	v_alignbit_b32 v34, v33, v29, 9
	s_delay_alu instid0(VALU_DEP_3) | instskip(SKIP_1) | instid1(VALU_DEP_3)
	v_lshlrev_b32_e32 v31, 31, v31
	v_alignbit_b32 v33, v30, v33, 9
	v_clz_i32_u32_e32 v35, v34
	s_delay_alu instid0(VALU_DEP_2) | instskip(SKIP_1) | instid1(VALU_DEP_3)
	v_or_b32_e32 v33, v33, v31
	v_or_b32_e32 v31, 0x33800000, v31
	v_min_u32_e32 v35, 32, v35
	s_delay_alu instid0(VALU_DEP_3) | instskip(NEXT) | instid1(VALU_DEP_2)
	v_xor_b32_e32 v33, 1.0, v33
	v_sub_nc_u32_e32 v36, 31, v35
	v_add_lshl_u32 v30, v35, v30, 23
	s_delay_alu instid0(VALU_DEP_3) | instskip(NEXT) | instid1(VALU_DEP_3)
	v_mul_f32_e32 v35, 0x3fc90fda, v33
	v_alignbit_b32 v29, v34, v29, v36
	s_delay_alu instid0(VALU_DEP_3) | instskip(NEXT) | instid1(VALU_DEP_3)
	v_sub_nc_u32_e32 v30, v31, v30
	v_fma_f32 v31, 0x3fc90fda, v33, -v35
	s_delay_alu instid0(VALU_DEP_3) | instskip(NEXT) | instid1(VALU_DEP_2)
	v_lshrrev_b32_e32 v29, 9, v29
	v_fmac_f32_e32 v31, 0x33a22168, v33
	s_delay_alu instid0(VALU_DEP_2) | instskip(NEXT) | instid1(VALU_DEP_1)
	v_or_b32_e32 v29, v30, v29
	v_dual_fmac_f32 v31, 0x3fc90fda, v29 :: v_dual_add_nc_u32 v30, v32, v0
	s_delay_alu instid0(VALU_DEP_1)
	v_add_f32_e32 v29, v35, v31
	s_and_not1_saveexec_b32 s4, s30
	s_branch .LBB157_275
.LBB157_274:                            ;   in Loop: Header=BB157_161 Depth=1
	s_and_not1_saveexec_b32 s4, s30
.LBB157_275:                            ;   in Loop: Header=BB157_161 Depth=1
	v_mul_f32_e64 v0, 0x3f22f983, |v5|
	s_delay_alu instid0(VALU_DEP_1) | instskip(NEXT) | instid1(VALU_DEP_1)
	v_rndne_f32_e32 v0, v0
	v_fma_f32 v29, 0xbfc90fda, v0, |v5|
	v_cvt_i32_f32_e32 v30, v0
	s_delay_alu instid0(VALU_DEP_2) | instskip(NEXT) | instid1(VALU_DEP_1)
	v_fmac_f32_e32 v29, 0xb3a22168, v0
	v_fmac_f32_e32 v29, 0xa7c234c4, v0
; %bb.276:                              ;   in Loop: Header=BB157_161 Depth=1
	s_or_b32 exec_lo, exec_lo, s4
                                        ; implicit-def: $vgpr31
                                        ; implicit-def: $vgpr0
	s_and_saveexec_b32 s4, s29
	s_delay_alu instid0(SALU_CYCLE_1)
	s_xor_b32 s29, exec_lo, s4
	s_cbranch_execz .LBB157_278
; %bb.277:                              ;   in Loop: Header=BB157_161 Depth=1
	v_and_or_b32 v39, v28, s7, 0x800000
	v_lshrrev_b32_e32 v36, 23, v28
	s_delay_alu instid0(VALU_DEP_2) | instskip(NEXT) | instid1(VALU_DEP_2)
	v_mad_u64_u32 v[31:32], null, 0xfe5163ab, v39, 0
	v_add_nc_u32_e32 v37, 0xffffff88, v36
	s_delay_alu instid0(VALU_DEP_1) | instskip(NEXT) | instid1(VALU_DEP_3)
	v_cmp_lt_u32_e32 vcc_lo, 63, v37
	v_mov_b32_e32 v0, v32
	v_cndmask_b32_e64 v38, 0, 0xffffffc0, vcc_lo
	s_delay_alu instid0(VALU_DEP_2) | instskip(NEXT) | instid1(VALU_DEP_2)
	v_mad_u64_u32 v[32:33], null, 0x3c439041, v39, v[0:1]
	v_add_nc_u32_e32 v38, v38, v37
	s_delay_alu instid0(VALU_DEP_2) | instskip(NEXT) | instid1(VALU_DEP_2)
	v_mov_b32_e32 v0, v33
	v_cmp_lt_u32_e64 s4, 31, v38
	s_delay_alu instid0(VALU_DEP_2) | instskip(NEXT) | instid1(VALU_DEP_2)
	v_mad_u64_u32 v[33:34], null, 0xdb629599, v39, v[0:1]
	v_cndmask_b32_e64 v40, 0, 0xffffffe0, s4
	s_delay_alu instid0(VALU_DEP_1) | instskip(NEXT) | instid1(VALU_DEP_3)
	v_add_nc_u32_e32 v40, v40, v38
	v_dual_mov_b32 v0, v34 :: v_dual_cndmask_b32 v31, v33, v31
	s_delay_alu instid0(VALU_DEP_2) | instskip(NEXT) | instid1(VALU_DEP_2)
	v_cmp_lt_u32_e64 s5, 31, v40
	v_mad_u64_u32 v[34:35], null, 0xf534ddc0, v39, v[0:1]
	s_delay_alu instid0(VALU_DEP_1) | instskip(NEXT) | instid1(VALU_DEP_2)
	v_mov_b32_e32 v0, v35
	v_cndmask_b32_e32 v32, v34, v32, vcc_lo
	s_delay_alu instid0(VALU_DEP_2) | instskip(NEXT) | instid1(VALU_DEP_2)
	v_mad_u64_u32 v[35:36], null, 0xfc2757d1, v39, v[0:1]
	v_cndmask_b32_e64 v31, v32, v31, s4
	s_delay_alu instid0(VALU_DEP_2) | instskip(NEXT) | instid1(VALU_DEP_1)
	v_mov_b32_e32 v0, v36
	v_mad_u64_u32 v[36:37], null, 0x4e441529, v39, v[0:1]
	s_delay_alu instid0(VALU_DEP_1) | instskip(NEXT) | instid1(VALU_DEP_1)
	v_mov_b32_e32 v0, v37
	v_mad_u64_u32 v[37:38], null, 0xa2f9836e, v39, v[0:1]
	v_cndmask_b32_e64 v0, 0, 0xffffffe0, s5
	s_delay_alu instid0(VALU_DEP_4) | instskip(NEXT) | instid1(VALU_DEP_2)
	v_cndmask_b32_e32 v39, v36, v34, vcc_lo
	v_dual_cndmask_b32 v37, v37, v35 :: v_dual_add_nc_u32 v0, v0, v40
	s_delay_alu instid0(VALU_DEP_4) | instskip(NEXT) | instid1(VALU_DEP_2)
	v_dual_cndmask_b32 v36, v38, v36 :: v_dual_cndmask_b32 v35, v35, v33
	v_sub_nc_u32_e32 v38, 32, v0
	s_delay_alu instid0(VALU_DEP_3) | instskip(NEXT) | instid1(VALU_DEP_3)
	v_cndmask_b32_e64 v34, v37, v39, s4
	v_cndmask_b32_e64 v36, v36, v37, s4
	s_delay_alu instid0(VALU_DEP_4) | instskip(SKIP_2) | instid1(VALU_DEP_4)
	v_cndmask_b32_e64 v37, v39, v35, s4
	v_cndmask_b32_e64 v35, v35, v32, s4
	v_cmp_eq_u32_e64 s6, 0, v0
	v_cndmask_b32_e64 v36, v36, v34, s5
	s_delay_alu instid0(VALU_DEP_4) | instskip(NEXT) | instid1(VALU_DEP_4)
	v_cndmask_b32_e64 v34, v34, v37, s5
	v_cndmask_b32_e64 v37, v37, v35, s5
	;; [unrolled: 1-line block ×3, first 2 shown]
	s_delay_alu instid0(VALU_DEP_3) | instskip(NEXT) | instid1(VALU_DEP_3)
	v_alignbit_b32 v39, v36, v34, v38
	v_alignbit_b32 v40, v34, v37, v38
	s_delay_alu instid0(VALU_DEP_3) | instskip(NEXT) | instid1(VALU_DEP_3)
	v_alignbit_b32 v38, v37, v31, v38
	v_cndmask_b32_e64 v0, v39, v36, s6
	s_delay_alu instid0(VALU_DEP_3) | instskip(NEXT) | instid1(VALU_DEP_3)
	v_cndmask_b32_e64 v33, v40, v34, s6
	v_cndmask_b32_e64 v37, v38, v37, s6
	s_delay_alu instid0(VALU_DEP_3) | instskip(NEXT) | instid1(VALU_DEP_3)
	v_bfe_u32 v34, v0, 29, 1
	v_alignbit_b32 v32, v0, v33, 30
	s_delay_alu instid0(VALU_DEP_3) | instskip(SKIP_1) | instid1(VALU_DEP_4)
	v_alignbit_b32 v33, v33, v37, 30
	v_alignbit_b32 v31, v37, v31, 30
	v_sub_nc_u32_e32 v36, 0, v34
	s_delay_alu instid0(VALU_DEP_1) | instskip(SKIP_3) | instid1(VALU_DEP_4)
	v_xor_b32_e32 v35, v32, v36
	v_cmp_ne_u32_e32 vcc_lo, v32, v36
	v_xor_b32_e32 v33, v33, v36
	v_xor_b32_e32 v31, v31, v36
	v_clz_i32_u32_e32 v39, v35
	s_delay_alu instid0(VALU_DEP_1) | instskip(NEXT) | instid1(VALU_DEP_1)
	v_add_nc_u32_e32 v38, 1, v39
	v_cndmask_b32_e32 v32, 33, v38, vcc_lo
	s_delay_alu instid0(VALU_DEP_1) | instskip(NEXT) | instid1(VALU_DEP_1)
	v_sub_nc_u32_e32 v37, 32, v32
	v_alignbit_b32 v35, v35, v33, v37
	v_alignbit_b32 v31, v33, v31, v37
	v_lshrrev_b32_e32 v33, 29, v0
	s_delay_alu instid0(VALU_DEP_2) | instskip(NEXT) | instid1(VALU_DEP_2)
	v_alignbit_b32 v36, v35, v31, 9
	v_lshlrev_b32_e32 v33, 31, v33
	v_alignbit_b32 v35, v32, v35, 9
	s_delay_alu instid0(VALU_DEP_3) | instskip(NEXT) | instid1(VALU_DEP_2)
	v_clz_i32_u32_e32 v37, v36
	v_or_b32_e32 v35, v35, v33
	v_or_b32_e32 v33, 0x33800000, v33
	s_delay_alu instid0(VALU_DEP_3) | instskip(NEXT) | instid1(VALU_DEP_3)
	v_min_u32_e32 v37, 32, v37
	v_xor_b32_e32 v35, 1.0, v35
	s_delay_alu instid0(VALU_DEP_2) | instskip(SKIP_1) | instid1(VALU_DEP_3)
	v_sub_nc_u32_e32 v38, 31, v37
	v_add_lshl_u32 v32, v37, v32, 23
	v_mul_f32_e32 v37, 0x3fc90fda, v35
	s_delay_alu instid0(VALU_DEP_3) | instskip(NEXT) | instid1(VALU_DEP_3)
	v_alignbit_b32 v31, v36, v31, v38
	v_sub_nc_u32_e32 v32, v33, v32
	s_delay_alu instid0(VALU_DEP_3) | instskip(NEXT) | instid1(VALU_DEP_3)
	v_fma_f32 v33, 0x3fc90fda, v35, -v37
	v_lshrrev_b32_e32 v31, 9, v31
	s_delay_alu instid0(VALU_DEP_2) | instskip(NEXT) | instid1(VALU_DEP_2)
	v_fmac_f32_e32 v33, 0x33a22168, v35
	v_or_b32_e32 v31, v32, v31
	s_delay_alu instid0(VALU_DEP_1) | instskip(SKIP_1) | instid1(VALU_DEP_1)
	v_fmac_f32_e32 v33, 0x3fc90fda, v31
	v_lshrrev_b32_e32 v31, 30, v0
	v_dual_add_f32 v0, v37, v33 :: v_dual_add_nc_u32 v31, v34, v31
	s_and_not1_saveexec_b32 s4, s29
	s_cbranch_execnz .LBB157_279
	s_branch .LBB157_280
.LBB157_278:                            ;   in Loop: Header=BB157_161 Depth=1
	s_and_not1_saveexec_b32 s4, s29
.LBB157_279:                            ;   in Loop: Header=BB157_161 Depth=1
	v_mul_f32_e64 v0, 0x3f22f983, |v5|
	s_delay_alu instid0(VALU_DEP_1) | instskip(NEXT) | instid1(VALU_DEP_1)
	v_rndne_f32_e32 v31, v0
	v_fma_f32 v0, 0xbfc90fda, v31, |v5|
	s_delay_alu instid0(VALU_DEP_1) | instskip(NEXT) | instid1(VALU_DEP_1)
	v_fmac_f32_e32 v0, 0xb3a22168, v31
	v_fmac_f32_e32 v0, 0xa7c234c4, v31
	v_cvt_i32_f32_e32 v31, v31
.LBB157_280:                            ;   in Loop: Header=BB157_161 Depth=1
	s_or_b32 exec_lo, exec_lo, s4
	v_dual_mul_f32 v32, v29, v29 :: v_dual_and_b32 v33, 1, v30
	s_delay_alu instid0(VALU_DEP_2) | instskip(NEXT) | instid1(VALU_DEP_2)
	v_dual_mul_f32 v34, v0, v0 :: v_dual_and_b32 v37, 1, v31
	v_dual_fmaak_f32 v35, s25, v32, 0x3c0881c4 :: v_dual_lshlrev_b32 v30, 30, v30
	s_delay_alu instid0(VALU_DEP_2) | instskip(SKIP_1) | instid1(VALU_DEP_3)
	v_dual_fmaak_f32 v36, s26, v32, 0xbab64f3b :: v_dual_fmaak_f32 v39, s26, v34, 0xbab64f3b
	v_dual_fmaak_f32 v38, s25, v34, 0x3c0881c4 :: v_dual_lshlrev_b32 v31, 30, v31
	v_fmaak_f32 v35, v32, v35, 0xbe2aaa9d
	s_delay_alu instid0(VALU_DEP_3) | instskip(NEXT) | instid1(VALU_DEP_3)
	v_dual_fmaak_f32 v36, v32, v36, 0x3d2aabf7 :: v_dual_fmaak_f32 v39, v34, v39, 0x3d2aabf7
	v_fmaak_f32 v38, v34, v38, 0xbe2aaa9d
	v_cmp_eq_u32_e32 vcc_lo, 0, v33
	s_delay_alu instid0(VALU_DEP_4) | instskip(NEXT) | instid1(VALU_DEP_4)
	v_dual_mul_f32 v35, v32, v35 :: v_dual_and_b32 v30, 0x80000000, v30
	v_dual_fmaak_f32 v36, v32, v36, 0xbf000004 :: v_dual_fmaak_f32 v39, v34, v39, 0xbf000004
	s_delay_alu instid0(VALU_DEP_2) | instskip(NEXT) | instid1(VALU_DEP_3)
	v_dual_mul_f32 v38, v34, v38 :: v_dual_fmac_f32 v29, v29, v35
	v_xor_b32_e32 v28, v28, v30
	s_delay_alu instid0(VALU_DEP_3) | instskip(NEXT) | instid1(VALU_DEP_4)
	v_fma_f32 v32, v32, v36, 1.0
	v_fma_f32 v30, v34, v39, 1.0
	s_delay_alu instid0(VALU_DEP_4) | instskip(NEXT) | instid1(VALU_DEP_3)
	v_dual_fmac_f32 v0, v0, v38 :: v_dual_and_b32 v31, 0x80000000, v31
	v_cndmask_b32_e32 v29, v32, v29, vcc_lo
	v_cmp_eq_u32_e32 vcc_lo, 0, v37
	s_delay_alu instid0(VALU_DEP_2) | instskip(NEXT) | instid1(VALU_DEP_4)
	v_xor3_b32 v28, v28, v29, v5
	v_cndmask_b32_e64 v0, -v0, v30, vcc_lo
	v_cmp_class_f32_e64 vcc_lo, v5, 0x1f8
	s_delay_alu instid0(VALU_DEP_2) | instskip(NEXT) | instid1(VALU_DEP_1)
	v_xor_b32_e32 v0, v31, v0
	v_mul_f32_e32 v0, v28, v0
	s_delay_alu instid0(VALU_DEP_1)
	v_cndmask_b32_e32 v5, 0x7fc00000, v0, vcc_lo
.LBB157_281:                            ;   in Loop: Header=BB157_161 Depth=1
	s_or_b32 exec_lo, exec_lo, s28
	v_add_nc_u32_e32 v4, -2.0, v4
	s_delay_alu instid0(VALU_DEP_2)
	v_bfi_b32 v5, 0x7fffffff, 0, v5
.LBB157_282:                            ;   in Loop: Header=BB157_161 Depth=1
	s_or_b32 exec_lo, exec_lo, s27
.LBB157_283:                            ;   in Loop: Header=BB157_161 Depth=1
	s_delay_alu instid0(SALU_CYCLE_1) | instskip(SKIP_2) | instid1(VALU_DEP_1)
	s_or_b32 exec_lo, exec_lo, s13
	v_and_b32_e32 v0, 0x7fffffff, v10
	s_mov_b32 s4, exec_lo
	v_cmpx_gt_u32_e32 0x7f800000, v0
	s_xor_b32 s13, exec_lo, s4
	s_cbranch_execz .LBB157_294
; %bb.284:                              ;   in Loop: Header=BB157_161 Depth=1
	v_cmp_class_f32_e64 s4, v11, 0x1f8
	s_delay_alu instid0(VALU_DEP_1) | instskip(NEXT) | instid1(SALU_CYCLE_1)
	s_and_saveexec_b32 s5, s4
	s_xor_b32 s27, exec_lo, s5
	s_cbranch_execz .LBB157_313
; %bb.285:                              ;   in Loop: Header=BB157_161 Depth=1
	v_and_b32_e32 v28, 0x7fffffff, v11
	s_mov_b32 s4, exec_lo
	v_cmpx_gt_u32_e32 0x41300000, v0
	s_xor_b32 s28, exec_lo, s4
	s_cbranch_execz .LBB157_291
; %bb.286:                              ;   in Loop: Header=BB157_161 Depth=1
                                        ; implicit-def: $vgpr0
                                        ; implicit-def: $vgpr29
	s_mov_b32 s5, exec_lo
	v_cmpx_ngt_f32_e64 0x48000000, |v11|
	s_xor_b32 s29, exec_lo, s5
	s_cbranch_execz .LBB157_288
; %bb.287:                              ;   in Loop: Header=BB157_161 Depth=1
	v_and_or_b32 v37, v28, s7, 0x800000
	v_lshrrev_b32_e32 v34, 23, v28
	s_delay_alu instid0(VALU_DEP_2) | instskip(NEXT) | instid1(VALU_DEP_2)
	v_mad_u64_u32 v[29:30], null, 0xfe5163ab, v37, 0
	v_add_nc_u32_e32 v35, 0xffffff88, v34
	s_delay_alu instid0(VALU_DEP_1) | instskip(NEXT) | instid1(VALU_DEP_3)
	v_cmp_lt_u32_e32 vcc_lo, 63, v35
	v_mov_b32_e32 v0, v30
	v_cndmask_b32_e64 v36, 0, 0xffffffc0, vcc_lo
	s_delay_alu instid0(VALU_DEP_2) | instskip(NEXT) | instid1(VALU_DEP_2)
	v_mad_u64_u32 v[30:31], null, 0x3c439041, v37, v[0:1]
	v_add_nc_u32_e32 v36, v36, v35
	s_delay_alu instid0(VALU_DEP_2) | instskip(NEXT) | instid1(VALU_DEP_2)
	v_mov_b32_e32 v0, v31
	v_cmp_lt_u32_e64 s4, 31, v36
	s_delay_alu instid0(VALU_DEP_2) | instskip(NEXT) | instid1(VALU_DEP_2)
	v_mad_u64_u32 v[31:32], null, 0xdb629599, v37, v[0:1]
	v_cndmask_b32_e64 v38, 0, 0xffffffe0, s4
	s_delay_alu instid0(VALU_DEP_1) | instskip(NEXT) | instid1(VALU_DEP_3)
	v_add_nc_u32_e32 v38, v38, v36
	v_dual_mov_b32 v0, v32 :: v_dual_cndmask_b32 v29, v31, v29
	s_delay_alu instid0(VALU_DEP_2) | instskip(NEXT) | instid1(VALU_DEP_2)
	v_cmp_lt_u32_e64 s5, 31, v38
	v_mad_u64_u32 v[32:33], null, 0xf534ddc0, v37, v[0:1]
	s_delay_alu instid0(VALU_DEP_1) | instskip(NEXT) | instid1(VALU_DEP_2)
	v_mov_b32_e32 v0, v33
	v_cndmask_b32_e32 v30, v32, v30, vcc_lo
	s_delay_alu instid0(VALU_DEP_2) | instskip(NEXT) | instid1(VALU_DEP_2)
	v_mad_u64_u32 v[33:34], null, 0xfc2757d1, v37, v[0:1]
	v_cndmask_b32_e64 v29, v30, v29, s4
	s_delay_alu instid0(VALU_DEP_2) | instskip(NEXT) | instid1(VALU_DEP_1)
	v_mov_b32_e32 v0, v34
	v_mad_u64_u32 v[34:35], null, 0x4e441529, v37, v[0:1]
	s_delay_alu instid0(VALU_DEP_1) | instskip(NEXT) | instid1(VALU_DEP_1)
	v_mov_b32_e32 v0, v35
	v_mad_u64_u32 v[35:36], null, 0xa2f9836e, v37, v[0:1]
	v_cndmask_b32_e64 v0, 0, 0xffffffe0, s5
	s_delay_alu instid0(VALU_DEP_1) | instskip(NEXT) | instid1(VALU_DEP_3)
	v_dual_cndmask_b32 v37, v34, v32 :: v_dual_add_nc_u32 v0, v0, v38
	v_dual_cndmask_b32 v35, v35, v33 :: v_dual_cndmask_b32 v34, v36, v34
	v_cndmask_b32_e32 v33, v33, v31, vcc_lo
	s_delay_alu instid0(VALU_DEP_3) | instskip(NEXT) | instid1(VALU_DEP_3)
	v_sub_nc_u32_e32 v36, 32, v0
	v_cndmask_b32_e64 v32, v35, v37, s4
	s_delay_alu instid0(VALU_DEP_4) | instskip(NEXT) | instid1(VALU_DEP_4)
	v_cndmask_b32_e64 v34, v34, v35, s4
	v_cndmask_b32_e64 v35, v37, v33, s4
	v_cndmask_b32_e64 v33, v33, v30, s4
	v_cmp_eq_u32_e64 s6, 0, v0
	s_delay_alu instid0(VALU_DEP_4) | instskip(NEXT) | instid1(VALU_DEP_4)
	v_cndmask_b32_e64 v34, v34, v32, s5
	v_cndmask_b32_e64 v32, v32, v35, s5
	s_delay_alu instid0(VALU_DEP_4) | instskip(SKIP_1) | instid1(VALU_DEP_3)
	v_cndmask_b32_e64 v35, v35, v33, s5
	v_cndmask_b32_e64 v29, v33, v29, s5
	v_alignbit_b32 v37, v34, v32, v36
	s_delay_alu instid0(VALU_DEP_3) | instskip(NEXT) | instid1(VALU_DEP_3)
	v_alignbit_b32 v38, v32, v35, v36
	v_alignbit_b32 v36, v35, v29, v36
	s_delay_alu instid0(VALU_DEP_3) | instskip(NEXT) | instid1(VALU_DEP_3)
	v_cndmask_b32_e64 v0, v37, v34, s6
	v_cndmask_b32_e64 v31, v38, v32, s6
	s_delay_alu instid0(VALU_DEP_3) | instskip(NEXT) | instid1(VALU_DEP_3)
	v_cndmask_b32_e64 v35, v36, v35, s6
	v_bfe_u32 v32, v0, 29, 1
	s_delay_alu instid0(VALU_DEP_3) | instskip(NEXT) | instid1(VALU_DEP_3)
	v_alignbit_b32 v30, v0, v31, 30
	v_alignbit_b32 v31, v31, v35, 30
	;; [unrolled: 1-line block ×3, first 2 shown]
	s_delay_alu instid0(VALU_DEP_4) | instskip(NEXT) | instid1(VALU_DEP_1)
	v_sub_nc_u32_e32 v34, 0, v32
	v_xor_b32_e32 v33, v30, v34
	v_cmp_ne_u32_e32 vcc_lo, v30, v34
	v_xor_b32_e32 v31, v31, v34
	v_xor_b32_e32 v29, v29, v34
	s_delay_alu instid0(VALU_DEP_4) | instskip(NEXT) | instid1(VALU_DEP_1)
	v_clz_i32_u32_e32 v37, v33
	v_add_nc_u32_e32 v36, 1, v37
	s_delay_alu instid0(VALU_DEP_1) | instskip(NEXT) | instid1(VALU_DEP_1)
	v_cndmask_b32_e32 v30, 33, v36, vcc_lo
	v_sub_nc_u32_e32 v35, 32, v30
	s_delay_alu instid0(VALU_DEP_1) | instskip(SKIP_3) | instid1(VALU_DEP_3)
	v_alignbit_b32 v33, v33, v31, v35
	v_alignbit_b32 v29, v31, v29, v35
	v_lshrrev_b32_e32 v31, 29, v0
	v_lshrrev_b32_e32 v0, 30, v0
	v_alignbit_b32 v34, v33, v29, 9
	s_delay_alu instid0(VALU_DEP_3) | instskip(SKIP_1) | instid1(VALU_DEP_4)
	v_lshlrev_b32_e32 v31, 31, v31
	v_alignbit_b32 v33, v30, v33, 9
	v_add_nc_u32_e32 v0, v32, v0
	s_delay_alu instid0(VALU_DEP_4) | instskip(NEXT) | instid1(VALU_DEP_3)
	v_clz_i32_u32_e32 v35, v34
	v_or_b32_e32 v33, v33, v31
	v_or_b32_e32 v31, 0x33800000, v31
	s_delay_alu instid0(VALU_DEP_3) | instskip(NEXT) | instid1(VALU_DEP_3)
	v_min_u32_e32 v35, 32, v35
	v_xor_b32_e32 v33, 1.0, v33
	s_delay_alu instid0(VALU_DEP_2) | instskip(SKIP_1) | instid1(VALU_DEP_3)
	v_sub_nc_u32_e32 v36, 31, v35
	v_add_lshl_u32 v30, v35, v30, 23
	v_mul_f32_e32 v35, 0x3fc90fda, v33
	s_delay_alu instid0(VALU_DEP_3) | instskip(NEXT) | instid1(VALU_DEP_3)
	v_alignbit_b32 v29, v34, v29, v36
	v_sub_nc_u32_e32 v30, v31, v30
	s_delay_alu instid0(VALU_DEP_3) | instskip(NEXT) | instid1(VALU_DEP_3)
	v_fma_f32 v31, 0x3fc90fda, v33, -v35
	v_lshrrev_b32_e32 v29, 9, v29
	s_delay_alu instid0(VALU_DEP_2) | instskip(NEXT) | instid1(VALU_DEP_2)
	v_fmac_f32_e32 v31, 0x33a22168, v33
	v_or_b32_e32 v29, v30, v29
	s_delay_alu instid0(VALU_DEP_1) | instskip(NEXT) | instid1(VALU_DEP_1)
	v_fmac_f32_e32 v31, 0x3fc90fda, v29
	v_add_f32_e32 v29, v35, v31
.LBB157_288:                            ;   in Loop: Header=BB157_161 Depth=1
	s_and_not1_saveexec_b32 s4, s29
; %bb.289:                              ;   in Loop: Header=BB157_161 Depth=1
	v_mul_f32_e64 v0, 0x3f22f983, |v11|
	s_delay_alu instid0(VALU_DEP_1) | instskip(NEXT) | instid1(VALU_DEP_1)
	v_rndne_f32_e32 v0, v0
	v_fma_f32 v29, 0xbfc90fda, v0, |v11|
	s_delay_alu instid0(VALU_DEP_1) | instskip(NEXT) | instid1(VALU_DEP_1)
	v_fmac_f32_e32 v29, 0xb3a22168, v0
	v_fmac_f32_e32 v29, 0xa7c234c4, v0
	v_cvt_i32_f32_e32 v0, v0
; %bb.290:                              ;   in Loop: Header=BB157_161 Depth=1
	s_or_b32 exec_lo, exec_lo, s4
	v_add_f32_e64 v30, 0xbf317218, |v10|
	v_cmp_nlt_f32_e64 vcc_lo, 0x42b2d4fc, |v10|
	v_cmp_gt_f32_e64 s4, 0x39800000, |v10|
	v_and_b32_e32 v0, 1, v0
	s_delay_alu instid0(VALU_DEP_4) | instskip(NEXT) | instid1(VALU_DEP_1)
	v_sub_f32_e64 v31, v30, |v10|
	v_dual_sub_f32 v32, v31, v30 :: v_dual_add_f32 v31, 0x3f317218, v31
	s_delay_alu instid0(VALU_DEP_1) | instskip(NEXT) | instid1(VALU_DEP_1)
	v_add_f32_e64 v32, |v10|, v32
	v_sub_f32_e32 v31, v32, v31
	s_delay_alu instid0(VALU_DEP_1) | instskip(NEXT) | instid1(VALU_DEP_1)
	v_add_f32_e32 v31, 0x3102e308, v31
	v_add_f32_e32 v32, v30, v31
	s_delay_alu instid0(VALU_DEP_1) | instskip(NEXT) | instid1(VALU_DEP_1)
	v_sub_f32_e32 v30, v30, v32
	v_dual_mul_f32 v33, 0x3fb8aa3b, v32 :: v_dual_add_f32 v30, v31, v30
	s_delay_alu instid0(VALU_DEP_1) | instskip(NEXT) | instid1(VALU_DEP_1)
	v_rndne_f32_e32 v33, v33
	v_mul_f32_e32 v31, 0x35bfbc00, v33
	v_fmac_f32_e32 v32, 0xbf317200, v33
	s_delay_alu instid0(VALU_DEP_1) | instskip(NEXT) | instid1(VALU_DEP_1)
	v_add_f32_e32 v34, v30, v32
	v_dual_sub_f32 v35, v34, v31 :: v_dual_sub_f32 v32, v32, v34
	s_delay_alu instid0(VALU_DEP_1) | instskip(NEXT) | instid1(VALU_DEP_1)
	v_sub_f32_e32 v34, v34, v35
	v_sub_f32_e32 v31, v34, v31
	s_delay_alu instid0(VALU_DEP_3) | instskip(NEXT) | instid1(VALU_DEP_1)
	v_add_f32_e32 v30, v30, v32
	v_dual_add_f32 v30, v30, v31 :: v_dual_mul_f32 v31, 0x2ea39ef3, v33
	s_delay_alu instid0(VALU_DEP_1) | instskip(NEXT) | instid1(VALU_DEP_1)
	v_add_f32_e32 v32, v35, v30
	v_dual_sub_f32 v34, v32, v31 :: v_dual_sub_f32 v35, v35, v32
	s_delay_alu instid0(VALU_DEP_1) | instskip(NEXT) | instid1(VALU_DEP_2)
	v_sub_f32_e32 v32, v32, v34
	v_add_f32_e32 v30, v30, v35
	s_delay_alu instid0(VALU_DEP_2) | instskip(NEXT) | instid1(VALU_DEP_1)
	v_sub_f32_e32 v31, v32, v31
	v_add_f32_e32 v30, v30, v31
	s_delay_alu instid0(VALU_DEP_1) | instskip(NEXT) | instid1(VALU_DEP_1)
	v_add_f32_e32 v31, v34, v30
	v_sub_f32_e32 v32, v34, v31
	v_mul_f32_e32 v34, v31, v31
	s_delay_alu instid0(VALU_DEP_2) | instskip(SKIP_1) | instid1(VALU_DEP_3)
	v_add_f32_e32 v30, v30, v32
	v_fmaak_f32 v32, s24, v31, 0x3c091de6
	v_fma_f32 v35, v31, v31, -v34
	s_delay_alu instid0(VALU_DEP_3) | instskip(NEXT) | instid1(VALU_DEP_3)
	v_add_f32_e32 v36, v30, v30
	v_fmaak_f32 v32, v31, v32, 0x3d2aadcc
	s_delay_alu instid0(VALU_DEP_2) | instskip(NEXT) | instid1(VALU_DEP_2)
	v_fmac_f32_e32 v35, v31, v36
	v_fmaak_f32 v32, v31, v32, 0x3e2aaa47
	s_delay_alu instid0(VALU_DEP_2) | instskip(NEXT) | instid1(VALU_DEP_2)
	v_add_f32_e32 v36, v34, v35
	v_fmaak_f32 v32, v31, v32, 0x3efffffc
	s_delay_alu instid0(VALU_DEP_2) | instskip(NEXT) | instid1(VALU_DEP_1)
	v_sub_f32_e32 v34, v36, v34
	v_dual_mul_f32 v37, v32, v36 :: v_dual_sub_f32 v34, v35, v34
	s_delay_alu instid0(VALU_DEP_1) | instskip(NEXT) | instid1(VALU_DEP_1)
	v_fma_f32 v35, v36, v32, -v37
	v_fmac_f32_e32 v35, v34, v32
	s_delay_alu instid0(VALU_DEP_1) | instskip(NEXT) | instid1(VALU_DEP_1)
	v_add_f32_e32 v32, v37, v35
	v_sub_f32_e32 v36, v32, v37
	v_add_f32_e32 v34, v31, v32
	s_delay_alu instid0(VALU_DEP_2) | instskip(NEXT) | instid1(VALU_DEP_2)
	v_sub_f32_e32 v35, v35, v36
	v_sub_f32_e32 v31, v34, v31
	s_delay_alu instid0(VALU_DEP_1) | instskip(NEXT) | instid1(VALU_DEP_3)
	v_sub_f32_e32 v31, v32, v31
	v_add_f32_e32 v30, v30, v35
	s_delay_alu instid0(VALU_DEP_1) | instskip(NEXT) | instid1(VALU_DEP_1)
	v_add_f32_e32 v30, v30, v31
	v_add_f32_e32 v31, v34, v30
	s_delay_alu instid0(VALU_DEP_1) | instskip(NEXT) | instid1(VALU_DEP_1)
	v_add_f32_e32 v32, 1.0, v31
	v_dual_sub_f32 v34, v31, v34 :: v_dual_add_f32 v35, -1.0, v32
	s_delay_alu instid0(VALU_DEP_1) | instskip(NEXT) | instid1(VALU_DEP_1)
	v_dual_sub_f32 v30, v30, v34 :: v_dual_sub_f32 v31, v31, v35
	v_add_f32_e32 v30, v30, v31
	v_cvt_i32_f32_e32 v31, v33
	s_delay_alu instid0(VALU_DEP_2) | instskip(NEXT) | instid1(VALU_DEP_1)
	v_add_f32_e32 v33, v32, v30
	v_ldexp_f32 v34, v33, v31
	s_delay_alu instid0(VALU_DEP_1) | instskip(SKIP_1) | instid1(VALU_DEP_1)
	v_rcp_f32_e32 v35, v34
	v_sub_f32_e32 v32, v33, v32
	v_sub_f32_e32 v30, v30, v32
	s_waitcnt_depctr 0xfff
	v_mul_f32_e32 v32, v34, v35
	v_ldexp_f32 v30, v30, v31
	s_delay_alu instid0(VALU_DEP_2) | instskip(NEXT) | instid1(VALU_DEP_1)
	v_fma_f32 v31, v35, v34, -v32
	v_fmac_f32_e32 v31, v35, v30
	s_delay_alu instid0(VALU_DEP_1) | instskip(NEXT) | instid1(VALU_DEP_1)
	v_add_f32_e32 v33, v32, v31
	v_sub_f32_e32 v36, 1.0, v33
	v_sub_f32_e32 v32, v33, v32
	s_delay_alu instid0(VALU_DEP_2) | instskip(NEXT) | instid1(VALU_DEP_1)
	v_sub_f32_e32 v37, 1.0, v36
	v_dual_sub_f32 v31, v32, v31 :: v_dual_sub_f32 v32, v37, v33
	s_delay_alu instid0(VALU_DEP_1) | instskip(NEXT) | instid1(VALU_DEP_1)
	v_add_f32_e32 v31, v31, v32
	v_add_f32_e32 v32, v36, v31
	s_delay_alu instid0(VALU_DEP_1) | instskip(NEXT) | instid1(VALU_DEP_1)
	v_mul_f32_e32 v33, v35, v32
	v_dual_sub_f32 v36, v36, v32 :: v_dual_mul_f32 v37, v34, v33
	s_delay_alu instid0(VALU_DEP_1) | instskip(NEXT) | instid1(VALU_DEP_2)
	v_add_f32_e32 v31, v31, v36
	v_fma_f32 v38, v33, v34, -v37
	s_delay_alu instid0(VALU_DEP_1) | instskip(NEXT) | instid1(VALU_DEP_1)
	v_fmac_f32_e32 v38, v33, v30
	v_add_f32_e32 v39, v37, v38
	s_delay_alu instid0(VALU_DEP_1) | instskip(SKIP_1) | instid1(VALU_DEP_2)
	v_sub_f32_e32 v40, v32, v39
	v_sub_f32_e32 v36, v39, v37
	;; [unrolled: 1-line block ×3, first 2 shown]
	s_delay_alu instid0(VALU_DEP_2) | instskip(NEXT) | instid1(VALU_DEP_2)
	v_sub_f32_e32 v36, v36, v38
	v_sub_f32_e32 v32, v32, v39
	s_delay_alu instid0(VALU_DEP_1) | instskip(NEXT) | instid1(VALU_DEP_1)
	v_add_f32_e32 v31, v31, v32
	v_dual_add_f32 v32, v35, v33 :: v_dual_add_f32 v31, v36, v31
	s_delay_alu instid0(VALU_DEP_1) | instskip(NEXT) | instid1(VALU_DEP_2)
	v_sub_f32_e32 v36, v32, v35
	v_add_f32_e32 v31, v40, v31
	s_delay_alu instid0(VALU_DEP_2) | instskip(NEXT) | instid1(VALU_DEP_2)
	v_sub_f32_e32 v33, v33, v36
	v_mul_f32_e32 v31, v35, v31
	s_delay_alu instid0(VALU_DEP_1) | instskip(NEXT) | instid1(VALU_DEP_1)
	v_add_f32_e32 v31, v33, v31
	v_add_f32_e32 v33, v32, v31
	s_delay_alu instid0(VALU_DEP_1) | instskip(SKIP_1) | instid1(VALU_DEP_1)
	v_ldexp_f32 v35, v33, -2
	v_sub_f32_e32 v32, v33, v32
	v_dual_sub_f32 v36, v34, v35 :: v_dual_sub_f32 v31, v31, v32
	s_delay_alu instid0(VALU_DEP_1) | instskip(NEXT) | instid1(VALU_DEP_2)
	v_sub_f32_e32 v33, v34, v36
	v_ldexp_f32 v31, v31, -2
	s_delay_alu instid0(VALU_DEP_2) | instskip(NEXT) | instid1(VALU_DEP_1)
	v_sub_f32_e32 v32, v33, v35
	v_add_f32_e32 v30, v30, v32
	s_delay_alu instid0(VALU_DEP_1) | instskip(NEXT) | instid1(VALU_DEP_1)
	v_dual_sub_f32 v30, v30, v31 :: v_dual_mul_f32 v31, v29, v29
	v_add_f32_e32 v30, v36, v30
	s_delay_alu instid0(VALU_DEP_2) | instskip(NEXT) | instid1(VALU_DEP_2)
	v_fmaak_f32 v32, s23, v31, 0xbf039337
	v_cndmask_b32_e32 v30, 0x7f800000, v30, vcc_lo
	s_delay_alu instid0(VALU_DEP_2) | instskip(NEXT) | instid1(VALU_DEP_2)
	v_fmaak_f32 v32, v31, v32, 0x3f93f425
	v_cndmask_b32_e64 v30, v30, |v10|, s4
	s_delay_alu instid0(VALU_DEP_2) | instskip(NEXT) | instid1(VALU_DEP_1)
	v_rcp_f32_e32 v32, v32
	v_bfi_b32 v10, 0x7fffffff, v30, v10
	v_fmaak_f32 v30, s22, v31, 0x3ec54587
	s_delay_alu instid0(VALU_DEP_2) | instskip(SKIP_4) | instid1(VALU_DEP_2)
	v_fma_f32 v33, v10, v10, 1.0
	s_waitcnt_depctr 0xfff
	v_mul_f32_e32 v30, v30, v32
	v_mul_f32_e32 v32, 0x4f800000, v33
	v_cmp_gt_f32_e32 vcc_lo, 0xf800000, v33
	v_dual_mul_f32 v30, v31, v30 :: v_dual_cndmask_b32 v31, v33, v32
	s_delay_alu instid0(VALU_DEP_1) | instskip(NEXT) | instid1(VALU_DEP_2)
	v_fma_f32 v32, v30, v29, v29
	v_sqrt_f32_e32 v33, v31
	s_delay_alu instid0(VALU_DEP_1) | instskip(SKIP_1) | instid1(VALU_DEP_1)
	v_rcp_f32_e32 v34, v32
	v_sub_f32_e32 v35, v32, v29
	v_fma_f32 v29, v30, v29, -v35
	s_waitcnt_depctr 0xfff
	v_add_nc_u32_e32 v36, -1, v33
	v_fma_f32 v30, v32, -v34, 1.0
	v_add_nc_u32_e32 v35, 1, v33
	s_delay_alu instid0(VALU_DEP_3) | instskip(NEXT) | instid1(VALU_DEP_3)
	v_fma_f32 v37, -v36, v33, v31
	v_fma_f32 v29, v29, -v34, v30
	s_delay_alu instid0(VALU_DEP_3) | instskip(NEXT) | instid1(VALU_DEP_3)
	v_fma_f32 v30, -v35, v33, v31
	v_cmp_ge_f32_e64 s4, 0, v37
	s_delay_alu instid0(VALU_DEP_3) | instskip(NEXT) | instid1(VALU_DEP_2)
	v_fma_f32 v29, v29, -v34, -v34
	v_cndmask_b32_e64 v33, v33, v36, s4
	s_delay_alu instid0(VALU_DEP_4) | instskip(NEXT) | instid1(VALU_DEP_1)
	v_cmp_lt_f32_e64 s4, 0, v30
	v_cndmask_b32_e64 v30, v33, v35, s4
	v_cmp_eq_u32_e64 s4, 0, v0
	s_delay_alu instid0(VALU_DEP_1) | instskip(NEXT) | instid1(VALU_DEP_3)
	v_cndmask_b32_e64 v0, v29, v32, s4
	v_mul_f32_e32 v29, 0x37800000, v30
	s_delay_alu instid0(VALU_DEP_2) | instskip(NEXT) | instid1(VALU_DEP_2)
	v_xor3_b32 v0, v28, v0, v11
	v_cndmask_b32_e32 v11, v30, v29, vcc_lo
	v_cmp_class_f32_e64 vcc_lo, v31, 0x260
	s_delay_alu instid0(VALU_DEP_3) | instskip(NEXT) | instid1(VALU_DEP_3)
	v_fma_f32 v28, v0, v0, 1.0
	v_cndmask_b32_e32 v11, v11, v31, vcc_lo
	s_delay_alu instid0(VALU_DEP_2) | instskip(NEXT) | instid1(VALU_DEP_2)
	v_mul_f32_e32 v29, v10, v28
	v_mul_f32_e32 v11, v11, v28
	s_delay_alu instid0(VALU_DEP_2) | instskip(NEXT) | instid1(VALU_DEP_2)
	v_fma_f32 v28, v10, v29, 1.0
	v_mul_f32_e32 v10, v10, v11
	s_delay_alu instid0(VALU_DEP_2) | instskip(NEXT) | instid1(VALU_DEP_2)
	v_div_scale_f32 v29, null, v28, v28, v0
	v_div_scale_f32 v11, null, v28, v28, v10
	v_div_scale_f32 v34, vcc_lo, v10, v28, v10
	s_delay_alu instid0(VALU_DEP_3) | instskip(NEXT) | instid1(VALU_DEP_2)
	v_rcp_f32_e32 v31, v29
	v_rcp_f32_e32 v30, v11
	s_waitcnt_depctr 0xfff
	v_fma_f32 v33, -v29, v31, 1.0
	v_fma_f32 v32, -v11, v30, 1.0
	s_delay_alu instid0(VALU_DEP_1) | instskip(SKIP_1) | instid1(VALU_DEP_2)
	v_dual_fmac_f32 v31, v33, v31 :: v_dual_fmac_f32 v30, v32, v30
	v_div_scale_f32 v32, s4, v0, v28, v0
	v_mul_f32_e32 v33, v34, v30
	s_delay_alu instid0(VALU_DEP_2) | instskip(NEXT) | instid1(VALU_DEP_2)
	v_mul_f32_e32 v35, v32, v31
	v_fma_f32 v36, -v11, v33, v34
	s_delay_alu instid0(VALU_DEP_2) | instskip(NEXT) | instid1(VALU_DEP_2)
	v_fma_f32 v37, -v29, v35, v32
	v_fmac_f32_e32 v33, v36, v30
	s_delay_alu instid0(VALU_DEP_2) | instskip(NEXT) | instid1(VALU_DEP_2)
	v_fmac_f32_e32 v35, v37, v31
	v_fma_f32 v11, -v11, v33, v34
	s_delay_alu instid0(VALU_DEP_2) | instskip(NEXT) | instid1(VALU_DEP_2)
	v_fma_f32 v29, -v29, v35, v32
	v_div_fmas_f32 v11, v11, v30, v33
	s_mov_b32 vcc_lo, s4
	s_delay_alu instid0(VALU_DEP_2) | instskip(NEXT) | instid1(VALU_DEP_2)
	v_div_fmas_f32 v29, v29, v31, v35
	v_div_fixup_f32 v10, v11, v28, v10
	s_delay_alu instid0(VALU_DEP_2)
	v_div_fixup_f32 v11, v29, v28, v0
                                        ; implicit-def: $vgpr28
.LBB157_291:                            ;   in Loop: Header=BB157_161 Depth=1
	s_and_not1_saveexec_b32 s28, s28
	s_cbranch_execz .LBB157_312
; %bb.292:                              ;   in Loop: Header=BB157_161 Depth=1
	s_delay_alu instid0(VALU_DEP_1) | instskip(NEXT) | instid1(VALU_DEP_1)
	v_cmp_ngt_f32_e64 s29, 0x48000000, |v11|
                                        ; implicit-def: $vgpr30
                                        ; implicit-def: $vgpr29
	s_and_saveexec_b32 s4, s29
	s_delay_alu instid0(SALU_CYCLE_1)
	s_xor_b32 s30, exec_lo, s4
	s_cbranch_execz .LBB157_301
; %bb.293:                              ;   in Loop: Header=BB157_161 Depth=1
	v_and_or_b32 v37, v28, s7, 0x800000
	v_lshrrev_b32_e32 v34, 23, v28
	s_delay_alu instid0(VALU_DEP_2) | instskip(NEXT) | instid1(VALU_DEP_2)
	v_mad_u64_u32 v[29:30], null, 0xfe5163ab, v37, 0
	v_add_nc_u32_e32 v35, 0xffffff88, v34
	s_delay_alu instid0(VALU_DEP_1) | instskip(NEXT) | instid1(VALU_DEP_3)
	v_cmp_lt_u32_e32 vcc_lo, 63, v35
	v_mov_b32_e32 v0, v30
	v_cndmask_b32_e64 v36, 0, 0xffffffc0, vcc_lo
	s_delay_alu instid0(VALU_DEP_2) | instskip(NEXT) | instid1(VALU_DEP_2)
	v_mad_u64_u32 v[30:31], null, 0x3c439041, v37, v[0:1]
	v_add_nc_u32_e32 v36, v36, v35
	s_delay_alu instid0(VALU_DEP_2) | instskip(NEXT) | instid1(VALU_DEP_2)
	v_mov_b32_e32 v0, v31
	v_cmp_lt_u32_e64 s4, 31, v36
	s_delay_alu instid0(VALU_DEP_2) | instskip(NEXT) | instid1(VALU_DEP_2)
	v_mad_u64_u32 v[31:32], null, 0xdb629599, v37, v[0:1]
	v_cndmask_b32_e64 v38, 0, 0xffffffe0, s4
	s_delay_alu instid0(VALU_DEP_1) | instskip(NEXT) | instid1(VALU_DEP_3)
	v_add_nc_u32_e32 v38, v38, v36
	v_dual_mov_b32 v0, v32 :: v_dual_cndmask_b32 v29, v31, v29
	s_delay_alu instid0(VALU_DEP_2) | instskip(NEXT) | instid1(VALU_DEP_2)
	v_cmp_lt_u32_e64 s5, 31, v38
	v_mad_u64_u32 v[32:33], null, 0xf534ddc0, v37, v[0:1]
	s_delay_alu instid0(VALU_DEP_1) | instskip(NEXT) | instid1(VALU_DEP_2)
	v_mov_b32_e32 v0, v33
	v_cndmask_b32_e32 v30, v32, v30, vcc_lo
	s_delay_alu instid0(VALU_DEP_2) | instskip(NEXT) | instid1(VALU_DEP_2)
	v_mad_u64_u32 v[33:34], null, 0xfc2757d1, v37, v[0:1]
	v_cndmask_b32_e64 v29, v30, v29, s4
	s_delay_alu instid0(VALU_DEP_2) | instskip(NEXT) | instid1(VALU_DEP_1)
	v_mov_b32_e32 v0, v34
	v_mad_u64_u32 v[34:35], null, 0x4e441529, v37, v[0:1]
	s_delay_alu instid0(VALU_DEP_1) | instskip(NEXT) | instid1(VALU_DEP_1)
	v_mov_b32_e32 v0, v35
	v_mad_u64_u32 v[35:36], null, 0xa2f9836e, v37, v[0:1]
	v_cndmask_b32_e64 v0, 0, 0xffffffe0, s5
	s_delay_alu instid0(VALU_DEP_1) | instskip(NEXT) | instid1(VALU_DEP_3)
	v_dual_cndmask_b32 v37, v34, v32 :: v_dual_add_nc_u32 v0, v0, v38
	v_dual_cndmask_b32 v35, v35, v33 :: v_dual_cndmask_b32 v34, v36, v34
	v_cndmask_b32_e32 v33, v33, v31, vcc_lo
	s_delay_alu instid0(VALU_DEP_3) | instskip(NEXT) | instid1(VALU_DEP_3)
	v_sub_nc_u32_e32 v36, 32, v0
	v_cndmask_b32_e64 v32, v35, v37, s4
	s_delay_alu instid0(VALU_DEP_4) | instskip(NEXT) | instid1(VALU_DEP_4)
	v_cndmask_b32_e64 v34, v34, v35, s4
	v_cndmask_b32_e64 v35, v37, v33, s4
	;; [unrolled: 1-line block ×3, first 2 shown]
	v_cmp_eq_u32_e64 s6, 0, v0
	s_delay_alu instid0(VALU_DEP_4) | instskip(NEXT) | instid1(VALU_DEP_4)
	v_cndmask_b32_e64 v34, v34, v32, s5
	v_cndmask_b32_e64 v32, v32, v35, s5
	s_delay_alu instid0(VALU_DEP_4) | instskip(SKIP_1) | instid1(VALU_DEP_3)
	v_cndmask_b32_e64 v35, v35, v33, s5
	v_cndmask_b32_e64 v29, v33, v29, s5
	v_alignbit_b32 v37, v34, v32, v36
	s_delay_alu instid0(VALU_DEP_3) | instskip(NEXT) | instid1(VALU_DEP_3)
	v_alignbit_b32 v38, v32, v35, v36
	v_alignbit_b32 v36, v35, v29, v36
	s_delay_alu instid0(VALU_DEP_3) | instskip(NEXT) | instid1(VALU_DEP_3)
	v_cndmask_b32_e64 v0, v37, v34, s6
	v_cndmask_b32_e64 v31, v38, v32, s6
	s_delay_alu instid0(VALU_DEP_3) | instskip(NEXT) | instid1(VALU_DEP_3)
	v_cndmask_b32_e64 v35, v36, v35, s6
	v_bfe_u32 v32, v0, 29, 1
	s_delay_alu instid0(VALU_DEP_3) | instskip(NEXT) | instid1(VALU_DEP_3)
	v_alignbit_b32 v30, v0, v31, 30
	v_alignbit_b32 v31, v31, v35, 30
	;; [unrolled: 1-line block ×3, first 2 shown]
	s_delay_alu instid0(VALU_DEP_4) | instskip(NEXT) | instid1(VALU_DEP_1)
	v_sub_nc_u32_e32 v34, 0, v32
	v_xor_b32_e32 v33, v30, v34
	v_cmp_ne_u32_e32 vcc_lo, v30, v34
	v_xor_b32_e32 v31, v31, v34
	v_xor_b32_e32 v29, v29, v34
	s_delay_alu instid0(VALU_DEP_4) | instskip(NEXT) | instid1(VALU_DEP_1)
	v_clz_i32_u32_e32 v37, v33
	v_add_nc_u32_e32 v36, 1, v37
	s_delay_alu instid0(VALU_DEP_1) | instskip(NEXT) | instid1(VALU_DEP_1)
	v_cndmask_b32_e32 v30, 33, v36, vcc_lo
	v_sub_nc_u32_e32 v35, 32, v30
	s_delay_alu instid0(VALU_DEP_1) | instskip(SKIP_3) | instid1(VALU_DEP_3)
	v_alignbit_b32 v33, v33, v31, v35
	v_alignbit_b32 v29, v31, v29, v35
	v_lshrrev_b32_e32 v31, 29, v0
	v_lshrrev_b32_e32 v0, 30, v0
	v_alignbit_b32 v34, v33, v29, 9
	s_delay_alu instid0(VALU_DEP_3) | instskip(SKIP_1) | instid1(VALU_DEP_3)
	v_lshlrev_b32_e32 v31, 31, v31
	v_alignbit_b32 v33, v30, v33, 9
	v_clz_i32_u32_e32 v35, v34
	s_delay_alu instid0(VALU_DEP_2) | instskip(SKIP_1) | instid1(VALU_DEP_3)
	v_or_b32_e32 v33, v33, v31
	v_or_b32_e32 v31, 0x33800000, v31
	v_min_u32_e32 v35, 32, v35
	s_delay_alu instid0(VALU_DEP_3) | instskip(NEXT) | instid1(VALU_DEP_2)
	v_xor_b32_e32 v33, 1.0, v33
	v_sub_nc_u32_e32 v36, 31, v35
	v_add_lshl_u32 v30, v35, v30, 23
	s_delay_alu instid0(VALU_DEP_3) | instskip(NEXT) | instid1(VALU_DEP_3)
	v_mul_f32_e32 v35, 0x3fc90fda, v33
	v_alignbit_b32 v29, v34, v29, v36
	s_delay_alu instid0(VALU_DEP_3) | instskip(NEXT) | instid1(VALU_DEP_3)
	v_sub_nc_u32_e32 v30, v31, v30
	v_fma_f32 v31, 0x3fc90fda, v33, -v35
	s_delay_alu instid0(VALU_DEP_3) | instskip(NEXT) | instid1(VALU_DEP_2)
	v_lshrrev_b32_e32 v29, 9, v29
	v_fmac_f32_e32 v31, 0x33a22168, v33
	s_delay_alu instid0(VALU_DEP_2) | instskip(NEXT) | instid1(VALU_DEP_1)
	v_or_b32_e32 v29, v30, v29
	v_dual_fmac_f32 v31, 0x3fc90fda, v29 :: v_dual_add_nc_u32 v30, v32, v0
	s_delay_alu instid0(VALU_DEP_1)
	v_add_f32_e32 v29, v35, v31
	s_and_not1_saveexec_b32 s4, s30
	s_branch .LBB157_302
.LBB157_294:                            ;   in Loop: Header=BB157_161 Depth=1
	s_and_not1_saveexec_b32 s13, s13
	s_cbranch_execz .LBB157_316
.LBB157_295:                            ;   in Loop: Header=BB157_161 Depth=1
	s_delay_alu instid0(VALU_DEP_1) | instskip(SKIP_1) | instid1(VALU_DEP_1)
	v_and_b32_e32 v0, 0x7fffff, v10
	s_mov_b32 s4, exec_lo
	v_cmpx_ne_u32_e32 0, v0
	s_xor_b32 s4, exec_lo, s4
; %bb.296:                              ;   in Loop: Header=BB157_161 Depth=1
	v_mul_f32_e32 v0, v11, v10
	v_cmp_eq_f32_e32 vcc_lo, 0, v11
	s_delay_alu instid0(VALU_DEP_2)
	v_cndmask_b32_e32 v11, v0, v11, vcc_lo
; %bb.297:                              ;   in Loop: Header=BB157_161 Depth=1
	s_and_not1_saveexec_b32 s27, s4
	s_cbranch_execz .LBB157_324
; %bb.298:                              ;   in Loop: Header=BB157_161 Depth=1
	s_mov_b32 s28, exec_lo
	s_delay_alu instid0(VALU_DEP_1)
	v_cmpx_neq_f32_e64 0x7f800000, |v11|
	s_cbranch_execz .LBB157_323
; %bb.299:                              ;   in Loop: Header=BB157_161 Depth=1
	v_and_b32_e32 v28, 0x7fffffff, v11
	v_cmp_ngt_f32_e64 s29, 0x48000000, |v11|
                                        ; implicit-def: $vgpr30
                                        ; implicit-def: $vgpr29
	s_delay_alu instid0(VALU_DEP_1) | instskip(NEXT) | instid1(SALU_CYCLE_1)
	s_and_saveexec_b32 s4, s29
	s_xor_b32 s30, exec_lo, s4
	s_cbranch_execz .LBB157_305
; %bb.300:                              ;   in Loop: Header=BB157_161 Depth=1
	v_and_or_b32 v37, v28, s7, 0x800000
	v_lshrrev_b32_e32 v34, 23, v28
	s_delay_alu instid0(VALU_DEP_2) | instskip(NEXT) | instid1(VALU_DEP_2)
	v_mad_u64_u32 v[29:30], null, 0xfe5163ab, v37, 0
	v_add_nc_u32_e32 v35, 0xffffff88, v34
	s_delay_alu instid0(VALU_DEP_1) | instskip(NEXT) | instid1(VALU_DEP_3)
	v_cmp_lt_u32_e32 vcc_lo, 63, v35
	v_mov_b32_e32 v0, v30
	v_cndmask_b32_e64 v36, 0, 0xffffffc0, vcc_lo
	s_delay_alu instid0(VALU_DEP_2) | instskip(NEXT) | instid1(VALU_DEP_2)
	v_mad_u64_u32 v[30:31], null, 0x3c439041, v37, v[0:1]
	v_add_nc_u32_e32 v36, v36, v35
	s_delay_alu instid0(VALU_DEP_2) | instskip(NEXT) | instid1(VALU_DEP_2)
	v_mov_b32_e32 v0, v31
	v_cmp_lt_u32_e64 s4, 31, v36
	s_delay_alu instid0(VALU_DEP_2) | instskip(NEXT) | instid1(VALU_DEP_2)
	v_mad_u64_u32 v[31:32], null, 0xdb629599, v37, v[0:1]
	v_cndmask_b32_e64 v38, 0, 0xffffffe0, s4
	s_delay_alu instid0(VALU_DEP_1) | instskip(NEXT) | instid1(VALU_DEP_3)
	v_add_nc_u32_e32 v38, v38, v36
	v_dual_mov_b32 v0, v32 :: v_dual_cndmask_b32 v29, v31, v29
	s_delay_alu instid0(VALU_DEP_2) | instskip(NEXT) | instid1(VALU_DEP_2)
	v_cmp_lt_u32_e64 s5, 31, v38
	v_mad_u64_u32 v[32:33], null, 0xf534ddc0, v37, v[0:1]
	s_delay_alu instid0(VALU_DEP_1) | instskip(NEXT) | instid1(VALU_DEP_2)
	v_mov_b32_e32 v0, v33
	v_cndmask_b32_e32 v30, v32, v30, vcc_lo
	s_delay_alu instid0(VALU_DEP_2) | instskip(NEXT) | instid1(VALU_DEP_2)
	v_mad_u64_u32 v[33:34], null, 0xfc2757d1, v37, v[0:1]
	v_cndmask_b32_e64 v29, v30, v29, s4
	s_delay_alu instid0(VALU_DEP_2) | instskip(NEXT) | instid1(VALU_DEP_1)
	v_mov_b32_e32 v0, v34
	v_mad_u64_u32 v[34:35], null, 0x4e441529, v37, v[0:1]
	s_delay_alu instid0(VALU_DEP_1) | instskip(NEXT) | instid1(VALU_DEP_1)
	v_mov_b32_e32 v0, v35
	v_mad_u64_u32 v[35:36], null, 0xa2f9836e, v37, v[0:1]
	v_cndmask_b32_e64 v0, 0, 0xffffffe0, s5
	s_delay_alu instid0(VALU_DEP_1) | instskip(NEXT) | instid1(VALU_DEP_3)
	v_dual_cndmask_b32 v37, v34, v32 :: v_dual_add_nc_u32 v0, v0, v38
	v_dual_cndmask_b32 v35, v35, v33 :: v_dual_cndmask_b32 v34, v36, v34
	v_cndmask_b32_e32 v33, v33, v31, vcc_lo
	s_delay_alu instid0(VALU_DEP_3) | instskip(NEXT) | instid1(VALU_DEP_3)
	v_sub_nc_u32_e32 v36, 32, v0
	v_cndmask_b32_e64 v32, v35, v37, s4
	s_delay_alu instid0(VALU_DEP_4) | instskip(NEXT) | instid1(VALU_DEP_4)
	v_cndmask_b32_e64 v34, v34, v35, s4
	v_cndmask_b32_e64 v35, v37, v33, s4
	;; [unrolled: 1-line block ×3, first 2 shown]
	v_cmp_eq_u32_e64 s6, 0, v0
	s_delay_alu instid0(VALU_DEP_4) | instskip(NEXT) | instid1(VALU_DEP_4)
	v_cndmask_b32_e64 v34, v34, v32, s5
	v_cndmask_b32_e64 v32, v32, v35, s5
	s_delay_alu instid0(VALU_DEP_4) | instskip(SKIP_1) | instid1(VALU_DEP_3)
	v_cndmask_b32_e64 v35, v35, v33, s5
	v_cndmask_b32_e64 v29, v33, v29, s5
	v_alignbit_b32 v37, v34, v32, v36
	s_delay_alu instid0(VALU_DEP_3) | instskip(NEXT) | instid1(VALU_DEP_3)
	v_alignbit_b32 v38, v32, v35, v36
	v_alignbit_b32 v36, v35, v29, v36
	s_delay_alu instid0(VALU_DEP_3) | instskip(NEXT) | instid1(VALU_DEP_3)
	v_cndmask_b32_e64 v0, v37, v34, s6
	v_cndmask_b32_e64 v31, v38, v32, s6
	s_delay_alu instid0(VALU_DEP_3) | instskip(NEXT) | instid1(VALU_DEP_3)
	v_cndmask_b32_e64 v35, v36, v35, s6
	v_bfe_u32 v32, v0, 29, 1
	s_delay_alu instid0(VALU_DEP_3) | instskip(NEXT) | instid1(VALU_DEP_3)
	v_alignbit_b32 v30, v0, v31, 30
	v_alignbit_b32 v31, v31, v35, 30
	;; [unrolled: 1-line block ×3, first 2 shown]
	s_delay_alu instid0(VALU_DEP_4) | instskip(NEXT) | instid1(VALU_DEP_1)
	v_sub_nc_u32_e32 v34, 0, v32
	v_xor_b32_e32 v33, v30, v34
	v_cmp_ne_u32_e32 vcc_lo, v30, v34
	v_xor_b32_e32 v31, v31, v34
	v_xor_b32_e32 v29, v29, v34
	s_delay_alu instid0(VALU_DEP_4) | instskip(NEXT) | instid1(VALU_DEP_1)
	v_clz_i32_u32_e32 v37, v33
	v_add_nc_u32_e32 v36, 1, v37
	s_delay_alu instid0(VALU_DEP_1) | instskip(NEXT) | instid1(VALU_DEP_1)
	v_cndmask_b32_e32 v30, 33, v36, vcc_lo
	v_sub_nc_u32_e32 v35, 32, v30
	s_delay_alu instid0(VALU_DEP_1) | instskip(SKIP_3) | instid1(VALU_DEP_3)
	v_alignbit_b32 v33, v33, v31, v35
	v_alignbit_b32 v29, v31, v29, v35
	v_lshrrev_b32_e32 v31, 29, v0
	v_lshrrev_b32_e32 v0, 30, v0
	v_alignbit_b32 v34, v33, v29, 9
	s_delay_alu instid0(VALU_DEP_3) | instskip(SKIP_1) | instid1(VALU_DEP_3)
	v_lshlrev_b32_e32 v31, 31, v31
	v_alignbit_b32 v33, v30, v33, 9
	v_clz_i32_u32_e32 v35, v34
	s_delay_alu instid0(VALU_DEP_2) | instskip(SKIP_1) | instid1(VALU_DEP_3)
	v_or_b32_e32 v33, v33, v31
	v_or_b32_e32 v31, 0x33800000, v31
	v_min_u32_e32 v35, 32, v35
	s_delay_alu instid0(VALU_DEP_3) | instskip(NEXT) | instid1(VALU_DEP_2)
	v_xor_b32_e32 v33, 1.0, v33
	v_sub_nc_u32_e32 v36, 31, v35
	v_add_lshl_u32 v30, v35, v30, 23
	s_delay_alu instid0(VALU_DEP_3) | instskip(NEXT) | instid1(VALU_DEP_3)
	v_mul_f32_e32 v35, 0x3fc90fda, v33
	v_alignbit_b32 v29, v34, v29, v36
	s_delay_alu instid0(VALU_DEP_3) | instskip(NEXT) | instid1(VALU_DEP_3)
	v_sub_nc_u32_e32 v30, v31, v30
	v_fma_f32 v31, 0x3fc90fda, v33, -v35
	s_delay_alu instid0(VALU_DEP_3) | instskip(NEXT) | instid1(VALU_DEP_2)
	v_lshrrev_b32_e32 v29, 9, v29
	v_fmac_f32_e32 v31, 0x33a22168, v33
	s_delay_alu instid0(VALU_DEP_2) | instskip(NEXT) | instid1(VALU_DEP_1)
	v_or_b32_e32 v29, v30, v29
	v_dual_fmac_f32 v31, 0x3fc90fda, v29 :: v_dual_add_nc_u32 v30, v32, v0
	s_delay_alu instid0(VALU_DEP_1)
	v_add_f32_e32 v29, v35, v31
	s_and_not1_saveexec_b32 s4, s30
	s_branch .LBB157_306
.LBB157_301:                            ;   in Loop: Header=BB157_161 Depth=1
	s_and_not1_saveexec_b32 s4, s30
.LBB157_302:                            ;   in Loop: Header=BB157_161 Depth=1
	v_mul_f32_e64 v0, 0x3f22f983, |v11|
	s_delay_alu instid0(VALU_DEP_1) | instskip(NEXT) | instid1(VALU_DEP_1)
	v_rndne_f32_e32 v0, v0
	v_fma_f32 v29, 0xbfc90fda, v0, |v11|
	v_cvt_i32_f32_e32 v30, v0
	s_delay_alu instid0(VALU_DEP_2) | instskip(NEXT) | instid1(VALU_DEP_1)
	v_fmac_f32_e32 v29, 0xb3a22168, v0
	v_fmac_f32_e32 v29, 0xa7c234c4, v0
; %bb.303:                              ;   in Loop: Header=BB157_161 Depth=1
	s_or_b32 exec_lo, exec_lo, s4
                                        ; implicit-def: $vgpr31
                                        ; implicit-def: $vgpr0
	s_and_saveexec_b32 s4, s29
	s_delay_alu instid0(SALU_CYCLE_1)
	s_xor_b32 s29, exec_lo, s4
	s_cbranch_execz .LBB157_309
; %bb.304:                              ;   in Loop: Header=BB157_161 Depth=1
	v_and_or_b32 v39, v28, s7, 0x800000
	v_lshrrev_b32_e32 v36, 23, v28
	s_delay_alu instid0(VALU_DEP_2) | instskip(NEXT) | instid1(VALU_DEP_2)
	v_mad_u64_u32 v[31:32], null, 0xfe5163ab, v39, 0
	v_add_nc_u32_e32 v37, 0xffffff88, v36
	s_delay_alu instid0(VALU_DEP_1) | instskip(NEXT) | instid1(VALU_DEP_3)
	v_cmp_lt_u32_e32 vcc_lo, 63, v37
	v_mov_b32_e32 v0, v32
	v_cndmask_b32_e64 v38, 0, 0xffffffc0, vcc_lo
	s_delay_alu instid0(VALU_DEP_2) | instskip(NEXT) | instid1(VALU_DEP_2)
	v_mad_u64_u32 v[32:33], null, 0x3c439041, v39, v[0:1]
	v_add_nc_u32_e32 v38, v38, v37
	s_delay_alu instid0(VALU_DEP_2) | instskip(NEXT) | instid1(VALU_DEP_2)
	v_mov_b32_e32 v0, v33
	v_cmp_lt_u32_e64 s4, 31, v38
	s_delay_alu instid0(VALU_DEP_2) | instskip(NEXT) | instid1(VALU_DEP_2)
	v_mad_u64_u32 v[33:34], null, 0xdb629599, v39, v[0:1]
	v_cndmask_b32_e64 v40, 0, 0xffffffe0, s4
	s_delay_alu instid0(VALU_DEP_1) | instskip(NEXT) | instid1(VALU_DEP_3)
	v_add_nc_u32_e32 v40, v40, v38
	v_dual_mov_b32 v0, v34 :: v_dual_cndmask_b32 v31, v33, v31
	s_delay_alu instid0(VALU_DEP_2) | instskip(NEXT) | instid1(VALU_DEP_2)
	v_cmp_lt_u32_e64 s5, 31, v40
	v_mad_u64_u32 v[34:35], null, 0xf534ddc0, v39, v[0:1]
	s_delay_alu instid0(VALU_DEP_1) | instskip(NEXT) | instid1(VALU_DEP_2)
	v_mov_b32_e32 v0, v35
	v_cndmask_b32_e32 v32, v34, v32, vcc_lo
	s_delay_alu instid0(VALU_DEP_2) | instskip(NEXT) | instid1(VALU_DEP_2)
	v_mad_u64_u32 v[35:36], null, 0xfc2757d1, v39, v[0:1]
	v_cndmask_b32_e64 v31, v32, v31, s4
	s_delay_alu instid0(VALU_DEP_2) | instskip(NEXT) | instid1(VALU_DEP_1)
	v_mov_b32_e32 v0, v36
	v_mad_u64_u32 v[36:37], null, 0x4e441529, v39, v[0:1]
	s_delay_alu instid0(VALU_DEP_1) | instskip(NEXT) | instid1(VALU_DEP_1)
	v_mov_b32_e32 v0, v37
	v_mad_u64_u32 v[37:38], null, 0xa2f9836e, v39, v[0:1]
	v_cndmask_b32_e64 v0, 0, 0xffffffe0, s5
	s_delay_alu instid0(VALU_DEP_4) | instskip(NEXT) | instid1(VALU_DEP_2)
	v_cndmask_b32_e32 v39, v36, v34, vcc_lo
	v_dual_cndmask_b32 v37, v37, v35 :: v_dual_add_nc_u32 v0, v0, v40
	s_delay_alu instid0(VALU_DEP_4) | instskip(NEXT) | instid1(VALU_DEP_2)
	v_dual_cndmask_b32 v36, v38, v36 :: v_dual_cndmask_b32 v35, v35, v33
	v_sub_nc_u32_e32 v38, 32, v0
	s_delay_alu instid0(VALU_DEP_3) | instskip(NEXT) | instid1(VALU_DEP_3)
	v_cndmask_b32_e64 v34, v37, v39, s4
	v_cndmask_b32_e64 v36, v36, v37, s4
	s_delay_alu instid0(VALU_DEP_4) | instskip(SKIP_2) | instid1(VALU_DEP_4)
	v_cndmask_b32_e64 v37, v39, v35, s4
	v_cndmask_b32_e64 v35, v35, v32, s4
	v_cmp_eq_u32_e64 s6, 0, v0
	v_cndmask_b32_e64 v36, v36, v34, s5
	s_delay_alu instid0(VALU_DEP_4) | instskip(NEXT) | instid1(VALU_DEP_4)
	v_cndmask_b32_e64 v34, v34, v37, s5
	v_cndmask_b32_e64 v37, v37, v35, s5
	;; [unrolled: 1-line block ×3, first 2 shown]
	s_delay_alu instid0(VALU_DEP_3) | instskip(NEXT) | instid1(VALU_DEP_3)
	v_alignbit_b32 v39, v36, v34, v38
	v_alignbit_b32 v40, v34, v37, v38
	s_delay_alu instid0(VALU_DEP_3) | instskip(NEXT) | instid1(VALU_DEP_3)
	v_alignbit_b32 v38, v37, v31, v38
	v_cndmask_b32_e64 v0, v39, v36, s6
	s_delay_alu instid0(VALU_DEP_3) | instskip(NEXT) | instid1(VALU_DEP_3)
	v_cndmask_b32_e64 v33, v40, v34, s6
	v_cndmask_b32_e64 v37, v38, v37, s6
	s_delay_alu instid0(VALU_DEP_3) | instskip(NEXT) | instid1(VALU_DEP_3)
	v_bfe_u32 v34, v0, 29, 1
	v_alignbit_b32 v32, v0, v33, 30
	s_delay_alu instid0(VALU_DEP_3) | instskip(SKIP_1) | instid1(VALU_DEP_4)
	v_alignbit_b32 v33, v33, v37, 30
	v_alignbit_b32 v31, v37, v31, 30
	v_sub_nc_u32_e32 v36, 0, v34
	s_delay_alu instid0(VALU_DEP_1) | instskip(SKIP_3) | instid1(VALU_DEP_4)
	v_xor_b32_e32 v35, v32, v36
	v_cmp_ne_u32_e32 vcc_lo, v32, v36
	v_xor_b32_e32 v33, v33, v36
	v_xor_b32_e32 v31, v31, v36
	v_clz_i32_u32_e32 v39, v35
	s_delay_alu instid0(VALU_DEP_1) | instskip(NEXT) | instid1(VALU_DEP_1)
	v_add_nc_u32_e32 v38, 1, v39
	v_cndmask_b32_e32 v32, 33, v38, vcc_lo
	s_delay_alu instid0(VALU_DEP_1) | instskip(NEXT) | instid1(VALU_DEP_1)
	v_sub_nc_u32_e32 v37, 32, v32
	v_alignbit_b32 v35, v35, v33, v37
	v_alignbit_b32 v31, v33, v31, v37
	v_lshrrev_b32_e32 v33, 29, v0
	s_delay_alu instid0(VALU_DEP_2) | instskip(NEXT) | instid1(VALU_DEP_2)
	v_alignbit_b32 v36, v35, v31, 9
	v_lshlrev_b32_e32 v33, 31, v33
	v_alignbit_b32 v35, v32, v35, 9
	s_delay_alu instid0(VALU_DEP_3) | instskip(NEXT) | instid1(VALU_DEP_2)
	v_clz_i32_u32_e32 v37, v36
	v_or_b32_e32 v35, v35, v33
	v_or_b32_e32 v33, 0x33800000, v33
	s_delay_alu instid0(VALU_DEP_3) | instskip(NEXT) | instid1(VALU_DEP_3)
	v_min_u32_e32 v37, 32, v37
	v_xor_b32_e32 v35, 1.0, v35
	s_delay_alu instid0(VALU_DEP_2) | instskip(SKIP_1) | instid1(VALU_DEP_3)
	v_sub_nc_u32_e32 v38, 31, v37
	v_add_lshl_u32 v32, v37, v32, 23
	v_mul_f32_e32 v37, 0x3fc90fda, v35
	s_delay_alu instid0(VALU_DEP_3) | instskip(NEXT) | instid1(VALU_DEP_3)
	v_alignbit_b32 v31, v36, v31, v38
	v_sub_nc_u32_e32 v32, v33, v32
	s_delay_alu instid0(VALU_DEP_3) | instskip(NEXT) | instid1(VALU_DEP_3)
	v_fma_f32 v33, 0x3fc90fda, v35, -v37
	v_lshrrev_b32_e32 v31, 9, v31
	s_delay_alu instid0(VALU_DEP_2) | instskip(NEXT) | instid1(VALU_DEP_2)
	v_fmac_f32_e32 v33, 0x33a22168, v35
	v_or_b32_e32 v31, v32, v31
	s_delay_alu instid0(VALU_DEP_1) | instskip(SKIP_1) | instid1(VALU_DEP_1)
	v_fmac_f32_e32 v33, 0x3fc90fda, v31
	v_lshrrev_b32_e32 v31, 30, v0
	v_dual_add_f32 v0, v37, v33 :: v_dual_add_nc_u32 v31, v34, v31
	s_and_not1_saveexec_b32 s4, s29
	s_cbranch_execnz .LBB157_310
	s_branch .LBB157_311
.LBB157_305:                            ;   in Loop: Header=BB157_161 Depth=1
	s_and_not1_saveexec_b32 s4, s30
.LBB157_306:                            ;   in Loop: Header=BB157_161 Depth=1
	v_mul_f32_e64 v0, 0x3f22f983, |v11|
	s_delay_alu instid0(VALU_DEP_1) | instskip(NEXT) | instid1(VALU_DEP_1)
	v_rndne_f32_e32 v0, v0
	v_fma_f32 v29, 0xbfc90fda, v0, |v11|
	v_cvt_i32_f32_e32 v30, v0
	s_delay_alu instid0(VALU_DEP_2) | instskip(NEXT) | instid1(VALU_DEP_1)
	v_fmac_f32_e32 v29, 0xb3a22168, v0
	v_fmac_f32_e32 v29, 0xa7c234c4, v0
; %bb.307:                              ;   in Loop: Header=BB157_161 Depth=1
	s_or_b32 exec_lo, exec_lo, s4
                                        ; implicit-def: $vgpr31
                                        ; implicit-def: $vgpr0
	s_and_saveexec_b32 s4, s29
	s_delay_alu instid0(SALU_CYCLE_1)
	s_xor_b32 s29, exec_lo, s4
	s_cbranch_execz .LBB157_320
; %bb.308:                              ;   in Loop: Header=BB157_161 Depth=1
	v_and_or_b32 v39, v28, s7, 0x800000
	v_lshrrev_b32_e32 v36, 23, v28
	s_delay_alu instid0(VALU_DEP_2) | instskip(NEXT) | instid1(VALU_DEP_2)
	v_mad_u64_u32 v[31:32], null, 0xfe5163ab, v39, 0
	v_add_nc_u32_e32 v37, 0xffffff88, v36
	s_delay_alu instid0(VALU_DEP_1) | instskip(NEXT) | instid1(VALU_DEP_3)
	v_cmp_lt_u32_e32 vcc_lo, 63, v37
	v_mov_b32_e32 v0, v32
	v_cndmask_b32_e64 v38, 0, 0xffffffc0, vcc_lo
	s_delay_alu instid0(VALU_DEP_2) | instskip(NEXT) | instid1(VALU_DEP_2)
	v_mad_u64_u32 v[32:33], null, 0x3c439041, v39, v[0:1]
	v_add_nc_u32_e32 v38, v38, v37
	s_delay_alu instid0(VALU_DEP_2) | instskip(NEXT) | instid1(VALU_DEP_2)
	v_mov_b32_e32 v0, v33
	v_cmp_lt_u32_e64 s4, 31, v38
	s_delay_alu instid0(VALU_DEP_2) | instskip(NEXT) | instid1(VALU_DEP_2)
	v_mad_u64_u32 v[33:34], null, 0xdb629599, v39, v[0:1]
	v_cndmask_b32_e64 v40, 0, 0xffffffe0, s4
	s_delay_alu instid0(VALU_DEP_1) | instskip(NEXT) | instid1(VALU_DEP_3)
	v_add_nc_u32_e32 v40, v40, v38
	v_dual_mov_b32 v0, v34 :: v_dual_cndmask_b32 v31, v33, v31
	s_delay_alu instid0(VALU_DEP_2) | instskip(NEXT) | instid1(VALU_DEP_2)
	v_cmp_lt_u32_e64 s5, 31, v40
	v_mad_u64_u32 v[34:35], null, 0xf534ddc0, v39, v[0:1]
	s_delay_alu instid0(VALU_DEP_1) | instskip(NEXT) | instid1(VALU_DEP_2)
	v_mov_b32_e32 v0, v35
	v_cndmask_b32_e32 v32, v34, v32, vcc_lo
	s_delay_alu instid0(VALU_DEP_2) | instskip(NEXT) | instid1(VALU_DEP_2)
	v_mad_u64_u32 v[35:36], null, 0xfc2757d1, v39, v[0:1]
	v_cndmask_b32_e64 v31, v32, v31, s4
	s_delay_alu instid0(VALU_DEP_2) | instskip(NEXT) | instid1(VALU_DEP_1)
	v_mov_b32_e32 v0, v36
	v_mad_u64_u32 v[36:37], null, 0x4e441529, v39, v[0:1]
	s_delay_alu instid0(VALU_DEP_1) | instskip(NEXT) | instid1(VALU_DEP_1)
	v_mov_b32_e32 v0, v37
	v_mad_u64_u32 v[37:38], null, 0xa2f9836e, v39, v[0:1]
	v_cndmask_b32_e64 v0, 0, 0xffffffe0, s5
	s_delay_alu instid0(VALU_DEP_4) | instskip(NEXT) | instid1(VALU_DEP_2)
	v_cndmask_b32_e32 v39, v36, v34, vcc_lo
	v_dual_cndmask_b32 v37, v37, v35 :: v_dual_add_nc_u32 v0, v0, v40
	s_delay_alu instid0(VALU_DEP_4) | instskip(NEXT) | instid1(VALU_DEP_2)
	v_dual_cndmask_b32 v36, v38, v36 :: v_dual_cndmask_b32 v35, v35, v33
	v_sub_nc_u32_e32 v38, 32, v0
	s_delay_alu instid0(VALU_DEP_3) | instskip(NEXT) | instid1(VALU_DEP_3)
	v_cndmask_b32_e64 v34, v37, v39, s4
	v_cndmask_b32_e64 v36, v36, v37, s4
	s_delay_alu instid0(VALU_DEP_4) | instskip(SKIP_2) | instid1(VALU_DEP_4)
	v_cndmask_b32_e64 v37, v39, v35, s4
	v_cndmask_b32_e64 v35, v35, v32, s4
	v_cmp_eq_u32_e64 s6, 0, v0
	v_cndmask_b32_e64 v36, v36, v34, s5
	s_delay_alu instid0(VALU_DEP_4) | instskip(NEXT) | instid1(VALU_DEP_4)
	v_cndmask_b32_e64 v34, v34, v37, s5
	v_cndmask_b32_e64 v37, v37, v35, s5
	;; [unrolled: 1-line block ×3, first 2 shown]
	s_delay_alu instid0(VALU_DEP_3) | instskip(NEXT) | instid1(VALU_DEP_3)
	v_alignbit_b32 v39, v36, v34, v38
	v_alignbit_b32 v40, v34, v37, v38
	s_delay_alu instid0(VALU_DEP_3) | instskip(NEXT) | instid1(VALU_DEP_3)
	v_alignbit_b32 v38, v37, v31, v38
	v_cndmask_b32_e64 v0, v39, v36, s6
	s_delay_alu instid0(VALU_DEP_3) | instskip(NEXT) | instid1(VALU_DEP_3)
	v_cndmask_b32_e64 v33, v40, v34, s6
	v_cndmask_b32_e64 v37, v38, v37, s6
	s_delay_alu instid0(VALU_DEP_3) | instskip(NEXT) | instid1(VALU_DEP_3)
	v_bfe_u32 v34, v0, 29, 1
	v_alignbit_b32 v32, v0, v33, 30
	s_delay_alu instid0(VALU_DEP_3) | instskip(SKIP_1) | instid1(VALU_DEP_4)
	v_alignbit_b32 v33, v33, v37, 30
	v_alignbit_b32 v31, v37, v31, 30
	v_sub_nc_u32_e32 v36, 0, v34
	s_delay_alu instid0(VALU_DEP_1) | instskip(SKIP_3) | instid1(VALU_DEP_4)
	v_xor_b32_e32 v35, v32, v36
	v_cmp_ne_u32_e32 vcc_lo, v32, v36
	v_xor_b32_e32 v33, v33, v36
	v_xor_b32_e32 v31, v31, v36
	v_clz_i32_u32_e32 v39, v35
	s_delay_alu instid0(VALU_DEP_1) | instskip(NEXT) | instid1(VALU_DEP_1)
	v_add_nc_u32_e32 v38, 1, v39
	v_cndmask_b32_e32 v32, 33, v38, vcc_lo
	s_delay_alu instid0(VALU_DEP_1) | instskip(NEXT) | instid1(VALU_DEP_1)
	v_sub_nc_u32_e32 v37, 32, v32
	v_alignbit_b32 v35, v35, v33, v37
	v_alignbit_b32 v31, v33, v31, v37
	v_lshrrev_b32_e32 v33, 29, v0
	s_delay_alu instid0(VALU_DEP_2) | instskip(NEXT) | instid1(VALU_DEP_2)
	v_alignbit_b32 v36, v35, v31, 9
	v_lshlrev_b32_e32 v33, 31, v33
	v_alignbit_b32 v35, v32, v35, 9
	s_delay_alu instid0(VALU_DEP_3) | instskip(NEXT) | instid1(VALU_DEP_2)
	v_clz_i32_u32_e32 v37, v36
	v_or_b32_e32 v35, v35, v33
	v_or_b32_e32 v33, 0x33800000, v33
	s_delay_alu instid0(VALU_DEP_3) | instskip(NEXT) | instid1(VALU_DEP_3)
	v_min_u32_e32 v37, 32, v37
	v_xor_b32_e32 v35, 1.0, v35
	s_delay_alu instid0(VALU_DEP_2) | instskip(SKIP_1) | instid1(VALU_DEP_3)
	v_sub_nc_u32_e32 v38, 31, v37
	v_add_lshl_u32 v32, v37, v32, 23
	v_mul_f32_e32 v37, 0x3fc90fda, v35
	s_delay_alu instid0(VALU_DEP_3) | instskip(NEXT) | instid1(VALU_DEP_3)
	v_alignbit_b32 v31, v36, v31, v38
	v_sub_nc_u32_e32 v32, v33, v32
	s_delay_alu instid0(VALU_DEP_3) | instskip(NEXT) | instid1(VALU_DEP_3)
	v_fma_f32 v33, 0x3fc90fda, v35, -v37
	v_lshrrev_b32_e32 v31, 9, v31
	s_delay_alu instid0(VALU_DEP_2) | instskip(NEXT) | instid1(VALU_DEP_2)
	v_fmac_f32_e32 v33, 0x33a22168, v35
	v_or_b32_e32 v31, v32, v31
	s_delay_alu instid0(VALU_DEP_1) | instskip(SKIP_1) | instid1(VALU_DEP_1)
	v_fmac_f32_e32 v33, 0x3fc90fda, v31
	v_lshrrev_b32_e32 v31, 30, v0
	v_dual_add_f32 v0, v37, v33 :: v_dual_add_nc_u32 v31, v34, v31
	s_and_not1_saveexec_b32 s4, s29
	s_cbranch_execnz .LBB157_321
	s_branch .LBB157_322
.LBB157_309:                            ;   in Loop: Header=BB157_161 Depth=1
	s_and_not1_saveexec_b32 s4, s29
.LBB157_310:                            ;   in Loop: Header=BB157_161 Depth=1
	v_mul_f32_e64 v0, 0x3f22f983, |v11|
	s_delay_alu instid0(VALU_DEP_1) | instskip(NEXT) | instid1(VALU_DEP_1)
	v_rndne_f32_e32 v31, v0
	v_fma_f32 v0, 0xbfc90fda, v31, |v11|
	s_delay_alu instid0(VALU_DEP_1) | instskip(NEXT) | instid1(VALU_DEP_1)
	v_fmac_f32_e32 v0, 0xb3a22168, v31
	v_fmac_f32_e32 v0, 0xa7c234c4, v31
	v_cvt_i32_f32_e32 v31, v31
.LBB157_311:                            ;   in Loop: Header=BB157_161 Depth=1
	s_or_b32 exec_lo, exec_lo, s4
	v_mul_f32_e64 v34, 0xbfb8aa3b, |v10|
	v_dual_mul_f32 v32, v29, v29 :: v_dual_and_b32 v33, 1, v30
	v_lshlrev_b32_e32 v30, 30, v30
	s_delay_alu instid0(VALU_DEP_3) | instskip(NEXT) | instid1(VALU_DEP_3)
	v_rndne_f32_e32 v38, v34
	v_fmaak_f32 v35, s25, v32, 0x3c0881c4
	v_mul_f32_e32 v37, v0, v0
	v_fma_f32 v39, 0xbfb8aa3b, |v10|, -v34
	v_cmp_eq_u32_e32 vcc_lo, 0, v33
	v_dual_sub_f32 v34, v34, v38 :: v_dual_and_b32 v33, 1, v31
	s_delay_alu instid0(VALU_DEP_4) | instskip(SKIP_3) | instid1(VALU_DEP_4)
	v_fmaak_f32 v40, s25, v37, 0x3c0881c4
	v_fmaak_f32 v35, v32, v35, 0xbe2aaa9d
	v_fma_f32 v39, 0xb2a5705f, |v10|, v39
	v_fmaak_f32 v41, s26, v37, 0xbab64f3b
	v_dual_fmaak_f32 v40, v37, v40, 0xbe2aaa9d :: v_dual_lshlrev_b32 v31, 30, v31
	s_delay_alu instid0(VALU_DEP_4) | instskip(NEXT) | instid1(VALU_DEP_4)
	v_dual_fmaak_f32 v36, s26, v32, 0xbab64f3b :: v_dual_mul_f32 v35, v32, v35
	v_add_f32_e32 v34, v34, v39
	s_delay_alu instid0(VALU_DEP_2) | instskip(NEXT) | instid1(VALU_DEP_2)
	v_dual_fmaak_f32 v36, v32, v36, 0x3d2aabf7 :: v_dual_fmac_f32 v29, v29, v35
	v_exp_f32_e32 v34, v34
	s_delay_alu instid0(VALU_DEP_1) | instskip(NEXT) | instid1(VALU_DEP_1)
	v_fmaak_f32 v36, v32, v36, 0xbf000004
	v_fma_f32 v32, v32, v36, 1.0
	v_and_b32_e32 v30, 0x80000000, v30
	s_delay_alu instid0(VALU_DEP_2) | instskip(NEXT) | instid1(VALU_DEP_2)
	v_dual_mul_f32 v36, v37, v40 :: v_dual_cndmask_b32 v29, v32, v29
	v_xor_b32_e32 v28, v28, v30
	v_cvt_i32_f32_e32 v30, v38
	v_cmp_eq_u32_e32 vcc_lo, 0, v33
	s_delay_alu instid0(VALU_DEP_3) | instskip(SKIP_3) | instid1(VALU_DEP_2)
	v_xor3_b32 v11, v28, v29, v11
	v_and_b32_e32 v29, 0x80000000, v31
	v_dual_fmaak_f32 v35, v37, v41, 0x3d2aabf7 :: v_dual_fmac_f32 v0, v0, v36
	v_ldexp_f32 v28, v34, v30
	v_fmaak_f32 v32, v37, v35, 0xbf000004
	s_delay_alu instid0(VALU_DEP_1) | instskip(NEXT) | instid1(VALU_DEP_1)
	v_fma_f32 v32, v37, v32, 1.0
	v_cndmask_b32_e64 v0, -v0, v32, vcc_lo
	v_cmp_nlt_f32_e64 vcc_lo, 0x42ce8ed0, |v10|
	v_mul_f32_e32 v11, 4.0, v11
	s_delay_alu instid0(VALU_DEP_3) | instskip(SKIP_3) | instid1(VALU_DEP_4)
	v_xor_b32_e32 v0, v29, v0
	v_cndmask_b32_e32 v28, 0, v28, vcc_lo
	v_cmp_ngt_f32_e64 vcc_lo, 0xc2b17218, |v10|
	v_bfi_b32 v10, 0x7fffffff, 1.0, v10
	v_mul_f32_e32 v0, v11, v0
	s_delay_alu instid0(VALU_DEP_4) | instskip(NEXT) | instid1(VALU_DEP_1)
	v_cndmask_b32_e32 v28, 0x7f800000, v28, vcc_lo
	v_mul_f32_e32 v0, v28, v0
	s_delay_alu instid0(VALU_DEP_1)
	v_mul_f32_e32 v11, v28, v0
.LBB157_312:                            ;   in Loop: Header=BB157_161 Depth=1
	s_or_b32 exec_lo, exec_lo, s28
.LBB157_313:                            ;   in Loop: Header=BB157_161 Depth=1
	s_and_not1_saveexec_b32 s4, s27
; %bb.314:                              ;   in Loop: Header=BB157_161 Depth=1
	s_delay_alu instid0(VALU_DEP_1) | instskip(NEXT) | instid1(VALU_DEP_1)
	v_sub_f32_e32 v11, v11, v11
	v_mov_b32_e32 v10, v11
; %bb.315:                              ;   in Loop: Header=BB157_161 Depth=1
	s_or_b32 exec_lo, exec_lo, s4
	s_and_not1_saveexec_b32 s13, s13
	s_cbranch_execnz .LBB157_295
.LBB157_316:                            ;   in Loop: Header=BB157_161 Depth=1
	s_or_b32 exec_lo, exec_lo, s13
	s_and_saveexec_b32 s4, s0
	s_delay_alu instid0(SALU_CYCLE_1)
	s_xor_b32 s0, exec_lo, s4
	s_cbranch_execz .LBB157_325
.LBB157_317:                            ;   in Loop: Header=BB157_161 Depth=1
	v_add_co_u32 v28, vcc_lo, v14, s8
	v_add_co_ci_u32_e32 v29, vcc_lo, s9, v15, vcc_lo
	global_store_b64 v[28:29], v[6:7], off offset:-4
	s_or_b32 exec_lo, exec_lo, s0
	s_and_saveexec_b32 s0, s1
	s_cbranch_execnz .LBB157_326
.LBB157_318:                            ;   in Loop: Header=BB157_161 Depth=1
	s_or_b32 exec_lo, exec_lo, s0
	s_and_saveexec_b32 s0, s2
	s_cbranch_execz .LBB157_327
.LBB157_319:                            ;   in Loop: Header=BB157_161 Depth=1
	v_add_co_u32 v6, vcc_lo, v26, s8
	v_add_co_ci_u32_e32 v7, vcc_lo, s9, v27, vcc_lo
	global_store_b64 v[6:7], v[4:5], off offset:-4
	s_or_b32 exec_lo, exec_lo, s0
	s_and_saveexec_b32 s0, s3
	s_cbranch_execz .LBB157_160
	s_branch .LBB157_328
.LBB157_320:                            ;   in Loop: Header=BB157_161 Depth=1
	s_and_not1_saveexec_b32 s4, s29
.LBB157_321:                            ;   in Loop: Header=BB157_161 Depth=1
	v_mul_f32_e64 v0, 0x3f22f983, |v11|
	s_delay_alu instid0(VALU_DEP_1) | instskip(NEXT) | instid1(VALU_DEP_1)
	v_rndne_f32_e32 v31, v0
	v_fma_f32 v0, 0xbfc90fda, v31, |v11|
	s_delay_alu instid0(VALU_DEP_1) | instskip(NEXT) | instid1(VALU_DEP_1)
	v_fmac_f32_e32 v0, 0xb3a22168, v31
	v_fmac_f32_e32 v0, 0xa7c234c4, v31
	v_cvt_i32_f32_e32 v31, v31
.LBB157_322:                            ;   in Loop: Header=BB157_161 Depth=1
	s_or_b32 exec_lo, exec_lo, s4
	v_dual_mul_f32 v32, v29, v29 :: v_dual_and_b32 v33, 1, v30
	s_delay_alu instid0(VALU_DEP_2) | instskip(NEXT) | instid1(VALU_DEP_2)
	v_dual_mul_f32 v34, v0, v0 :: v_dual_and_b32 v37, 1, v31
	v_dual_fmaak_f32 v35, s25, v32, 0x3c0881c4 :: v_dual_lshlrev_b32 v30, 30, v30
	s_delay_alu instid0(VALU_DEP_2) | instskip(SKIP_1) | instid1(VALU_DEP_3)
	v_dual_fmaak_f32 v36, s26, v32, 0xbab64f3b :: v_dual_fmaak_f32 v39, s26, v34, 0xbab64f3b
	v_dual_fmaak_f32 v38, s25, v34, 0x3c0881c4 :: v_dual_lshlrev_b32 v31, 30, v31
	v_fmaak_f32 v35, v32, v35, 0xbe2aaa9d
	s_delay_alu instid0(VALU_DEP_3) | instskip(NEXT) | instid1(VALU_DEP_3)
	v_dual_fmaak_f32 v36, v32, v36, 0x3d2aabf7 :: v_dual_fmaak_f32 v39, v34, v39, 0x3d2aabf7
	v_fmaak_f32 v38, v34, v38, 0xbe2aaa9d
	v_cmp_eq_u32_e32 vcc_lo, 0, v33
	s_delay_alu instid0(VALU_DEP_4) | instskip(NEXT) | instid1(VALU_DEP_4)
	v_dual_mul_f32 v35, v32, v35 :: v_dual_and_b32 v30, 0x80000000, v30
	v_dual_fmaak_f32 v36, v32, v36, 0xbf000004 :: v_dual_fmaak_f32 v39, v34, v39, 0xbf000004
	s_delay_alu instid0(VALU_DEP_2) | instskip(NEXT) | instid1(VALU_DEP_3)
	v_dual_mul_f32 v38, v34, v38 :: v_dual_fmac_f32 v29, v29, v35
	v_xor_b32_e32 v28, v28, v30
	s_delay_alu instid0(VALU_DEP_3) | instskip(NEXT) | instid1(VALU_DEP_4)
	v_fma_f32 v32, v32, v36, 1.0
	v_fma_f32 v30, v34, v39, 1.0
	s_delay_alu instid0(VALU_DEP_4) | instskip(NEXT) | instid1(VALU_DEP_3)
	v_dual_fmac_f32 v0, v0, v38 :: v_dual_and_b32 v31, 0x80000000, v31
	v_cndmask_b32_e32 v29, v32, v29, vcc_lo
	v_cmp_eq_u32_e32 vcc_lo, 0, v37
	s_delay_alu instid0(VALU_DEP_2) | instskip(NEXT) | instid1(VALU_DEP_4)
	v_xor3_b32 v28, v28, v29, v11
	v_cndmask_b32_e64 v0, -v0, v30, vcc_lo
	v_cmp_class_f32_e64 vcc_lo, v11, 0x1f8
	s_delay_alu instid0(VALU_DEP_2) | instskip(NEXT) | instid1(VALU_DEP_1)
	v_xor_b32_e32 v0, v31, v0
	v_mul_f32_e32 v0, v28, v0
	s_delay_alu instid0(VALU_DEP_1)
	v_cndmask_b32_e32 v11, 0x7fc00000, v0, vcc_lo
.LBB157_323:                            ;   in Loop: Header=BB157_161 Depth=1
	s_or_b32 exec_lo, exec_lo, s28
	v_add_nc_u32_e32 v10, -2.0, v10
	s_delay_alu instid0(VALU_DEP_2)
	v_bfi_b32 v11, 0x7fffffff, 0, v11
.LBB157_324:                            ;   in Loop: Header=BB157_161 Depth=1
	s_or_b32 exec_lo, exec_lo, s27
	s_delay_alu instid0(SALU_CYCLE_1) | instskip(SKIP_1) | instid1(SALU_CYCLE_1)
	s_or_b32 exec_lo, exec_lo, s13
	s_and_saveexec_b32 s4, s0
	s_xor_b32 s0, exec_lo, s4
	s_cbranch_execnz .LBB157_317
.LBB157_325:                            ;   in Loop: Header=BB157_161 Depth=1
	s_or_b32 exec_lo, exec_lo, s0
	s_and_saveexec_b32 s0, s1
	s_cbranch_execz .LBB157_318
.LBB157_326:                            ;   in Loop: Header=BB157_161 Depth=1
	v_add_co_u32 v6, vcc_lo, v16, s8
	v_add_co_ci_u32_e32 v7, vcc_lo, s9, v17, vcc_lo
	global_store_b64 v[6:7], v[8:9], off
	s_or_b32 exec_lo, exec_lo, s0
	s_and_saveexec_b32 s0, s2
	s_cbranch_execnz .LBB157_319
.LBB157_327:                            ;   in Loop: Header=BB157_161 Depth=1
	s_or_b32 exec_lo, exec_lo, s0
	s_and_saveexec_b32 s0, s3
	s_cbranch_execz .LBB157_160
.LBB157_328:                            ;   in Loop: Header=BB157_161 Depth=1
	v_add_co_u32 v4, vcc_lo, v22, s8
	v_add_co_ci_u32_e32 v5, vcc_lo, s9, v23, vcc_lo
	global_store_b64 v[4:5], v[10:11], off offset:-4
	s_branch .LBB157_160
.LBB157_329:
	s_nop 0
	s_sendmsg sendmsg(MSG_DEALLOC_VGPRS)
	s_endpgm
	.section	.rodata,"a",@progbits
	.p2align	6, 0x0
	.amdhsa_kernel _ZN2at6native12_GLOBAL__N_125multi_tensor_apply_kernelINS1_18TensorListMetadataILi2EEENS1_14UnaryOpFunctorIN3c107complexIfEELi2ELi1ELi1EEEJNS0_4TanhIS8_EEEEEvT_T0_DpT1_
		.amdhsa_group_segment_fixed_size 0
		.amdhsa_private_segment_fixed_size 0
		.amdhsa_kernarg_size 3408
		.amdhsa_user_sgpr_count 15
		.amdhsa_user_sgpr_dispatch_ptr 0
		.amdhsa_user_sgpr_queue_ptr 0
		.amdhsa_user_sgpr_kernarg_segment_ptr 1
		.amdhsa_user_sgpr_dispatch_id 0
		.amdhsa_user_sgpr_private_segment_size 0
		.amdhsa_wavefront_size32 1
		.amdhsa_uses_dynamic_stack 0
		.amdhsa_enable_private_segment 0
		.amdhsa_system_sgpr_workgroup_id_x 1
		.amdhsa_system_sgpr_workgroup_id_y 0
		.amdhsa_system_sgpr_workgroup_id_z 0
		.amdhsa_system_sgpr_workgroup_info 0
		.amdhsa_system_vgpr_workitem_id 0
		.amdhsa_next_free_vgpr 42
		.amdhsa_next_free_sgpr 32
		.amdhsa_reserve_vcc 1
		.amdhsa_float_round_mode_32 0
		.amdhsa_float_round_mode_16_64 0
		.amdhsa_float_denorm_mode_32 3
		.amdhsa_float_denorm_mode_16_64 3
		.amdhsa_dx10_clamp 1
		.amdhsa_ieee_mode 1
		.amdhsa_fp16_overflow 0
		.amdhsa_workgroup_processor_mode 1
		.amdhsa_memory_ordered 1
		.amdhsa_forward_progress 0
		.amdhsa_shared_vgpr_count 0
		.amdhsa_exception_fp_ieee_invalid_op 0
		.amdhsa_exception_fp_denorm_src 0
		.amdhsa_exception_fp_ieee_div_zero 0
		.amdhsa_exception_fp_ieee_overflow 0
		.amdhsa_exception_fp_ieee_underflow 0
		.amdhsa_exception_fp_ieee_inexact 0
		.amdhsa_exception_int_div_zero 0
	.end_amdhsa_kernel
	.section	.text._ZN2at6native12_GLOBAL__N_125multi_tensor_apply_kernelINS1_18TensorListMetadataILi2EEENS1_14UnaryOpFunctorIN3c107complexIfEELi2ELi1ELi1EEEJNS0_4TanhIS8_EEEEEvT_T0_DpT1_,"axG",@progbits,_ZN2at6native12_GLOBAL__N_125multi_tensor_apply_kernelINS1_18TensorListMetadataILi2EEENS1_14UnaryOpFunctorIN3c107complexIfEELi2ELi1ELi1EEEJNS0_4TanhIS8_EEEEEvT_T0_DpT1_,comdat
.Lfunc_end157:
	.size	_ZN2at6native12_GLOBAL__N_125multi_tensor_apply_kernelINS1_18TensorListMetadataILi2EEENS1_14UnaryOpFunctorIN3c107complexIfEELi2ELi1ELi1EEEJNS0_4TanhIS8_EEEEEvT_T0_DpT1_, .Lfunc_end157-_ZN2at6native12_GLOBAL__N_125multi_tensor_apply_kernelINS1_18TensorListMetadataILi2EEENS1_14UnaryOpFunctorIN3c107complexIfEELi2ELi1ELi1EEEJNS0_4TanhIS8_EEEEEvT_T0_DpT1_
                                        ; -- End function
	.section	.AMDGPU.csdata,"",@progbits
; Kernel info:
; codeLenInByte = 49588
; NumSgprs: 34
; NumVgprs: 42
; ScratchSize: 0
; MemoryBound: 0
; FloatMode: 240
; IeeeMode: 1
; LDSByteSize: 0 bytes/workgroup (compile time only)
; SGPRBlocks: 4
; VGPRBlocks: 5
; NumSGPRsForWavesPerEU: 34
; NumVGPRsForWavesPerEU: 42
; Occupancy: 16
; WaveLimiterHint : 0
; COMPUTE_PGM_RSRC2:SCRATCH_EN: 0
; COMPUTE_PGM_RSRC2:USER_SGPR: 15
; COMPUTE_PGM_RSRC2:TRAP_HANDLER: 0
; COMPUTE_PGM_RSRC2:TGID_X_EN: 1
; COMPUTE_PGM_RSRC2:TGID_Y_EN: 0
; COMPUTE_PGM_RSRC2:TGID_Z_EN: 0
; COMPUTE_PGM_RSRC2:TIDIG_COMP_CNT: 0
	.section	.text._ZN2at6native12_GLOBAL__N_125multi_tensor_apply_kernelINS1_18TensorListMetadataILi2EEENS1_14UnaryOpFunctorIN3c104HalfELi2ELi1ELi1EEEJNS0_4TanhIfEEEEEvT_T0_DpT1_,"axG",@progbits,_ZN2at6native12_GLOBAL__N_125multi_tensor_apply_kernelINS1_18TensorListMetadataILi2EEENS1_14UnaryOpFunctorIN3c104HalfELi2ELi1ELi1EEEJNS0_4TanhIfEEEEEvT_T0_DpT1_,comdat
	.globl	_ZN2at6native12_GLOBAL__N_125multi_tensor_apply_kernelINS1_18TensorListMetadataILi2EEENS1_14UnaryOpFunctorIN3c104HalfELi2ELi1ELi1EEEJNS0_4TanhIfEEEEEvT_T0_DpT1_ ; -- Begin function _ZN2at6native12_GLOBAL__N_125multi_tensor_apply_kernelINS1_18TensorListMetadataILi2EEENS1_14UnaryOpFunctorIN3c104HalfELi2ELi1ELi1EEEJNS0_4TanhIfEEEEEvT_T0_DpT1_
	.p2align	8
	.type	_ZN2at6native12_GLOBAL__N_125multi_tensor_apply_kernelINS1_18TensorListMetadataILi2EEENS1_14UnaryOpFunctorIN3c104HalfELi2ELi1ELi1EEEJNS0_4TanhIfEEEEEvT_T0_DpT1_,@function
_ZN2at6native12_GLOBAL__N_125multi_tensor_apply_kernelINS1_18TensorListMetadataILi2EEENS1_14UnaryOpFunctorIN3c104HalfELi2ELi1ELi1EEEJNS0_4TanhIfEEEEEvT_T0_DpT1_: ; @_ZN2at6native12_GLOBAL__N_125multi_tensor_apply_kernelINS1_18TensorListMetadataILi2EEENS1_14UnaryOpFunctorIN3c104HalfELi2ELi1ELi1EEEJNS0_4TanhIfEEEEEvT_T0_DpT1_
; %bb.0:
	v_mov_b32_e32 v1, s15
	s_add_u32 s2, s0, s15
	s_mul_hi_u32 s3, s15, 3
	s_mul_i32 s15, s15, 3
	s_addc_u32 s4, s1, 0
	global_load_u8 v1, v1, s[0:1] offset:1536
	s_add_u32 s2, s2, s15
	s_addc_u32 s3, s4, s3
	s_mov_b32 s19, 0
	s_load_b32 s6, s[2:3], 0x740
	s_mov_b32 s21, s19
	s_mov_b32 s23, s19
	s_waitcnt lgkmcnt(0)
	s_ashr_i32 s7, s6, 31
	s_waitcnt vmcnt(0)
	v_readfirstlane_b32 s5, v1
	s_delay_alu instid0(VALU_DEP_1)
	s_lshl_b32 s2, s5, 3
	s_lshl_b64 s[4:5], s[6:7], 17
	s_clause 0x2
	s_load_b64 s[10:11], s[0:1], s2 offset:0x0
	s_load_b64 s[12:13], s[0:1], s2 offset:0x200
	;; [unrolled: 1-line block ×3, first 2 shown]
	s_mov_b32 s2, -1
	s_waitcnt lgkmcnt(0)
	s_add_u32 s3, s10, s4
	s_addc_u32 s8, s11, s5
	s_and_b32 s18, s3, 7
	s_add_u32 s9, s12, s4
	s_addc_u32 s14, s13, s5
	s_and_b32 s20, s16, 3
	s_and_b32 s22, s9, 7
	s_or_b64 s[18:19], s[18:19], s[20:21]
	s_lshl_b64 s[6:7], s[6:7], 16
	s_or_b64 s[18:19], s[22:23], s[18:19]
	s_sub_u32 s6, s16, s6
	s_subb_u32 s7, s17, s7
	s_cmp_eq_u64 s[18:19], 0
	s_cbranch_scc0 .LBB158_21
; %bb.1:
	v_dual_mov_b32 v2, 0 :: v_dual_lshlrev_b32 v1, 2, v0
	s_mov_b32 s15, exec_lo
	s_delay_alu instid0(VALU_DEP_1)
	v_cmpx_gt_i64_e64 s[6:7], v[1:2]
	s_cbranch_execz .LBB158_20
; %bb.2:
	s_load_b32 s2, s[0:1], 0xc5c
	v_lshlrev_b32_e32 v5, 3, v0
	s_mov_b32 s16, 0
	s_mov_b32 s19, 0xbbbac73d
	s_waitcnt lgkmcnt(0)
	s_and_b32 s2, s2, 0xffff
	s_delay_alu instid0(SALU_CYCLE_1)
	v_add_lshl_u32 v1, v0, s2, 2
	s_lshl_b32 s17, s2, 2
	s_lshl_b32 s18, s2, 3
	s_branch .LBB158_4
.LBB158_3:                              ;   in Loop: Header=BB158_4 Depth=1
	s_or_b32 exec_lo, exec_lo, s2
	v_cvt_f16_f32_e32 v10, v10
	v_lshrrev_b32_e32 v9, 16, v9
	v_cvt_f16_f32_e32 v8, v8
	v_lshrrev_b32_e32 v3, 16, v3
	;; [unrolled: 2-line block ×4, first 2 shown]
	v_cmp_le_i64_e32 vcc_lo, s[6:7], v[1:2]
	v_cmp_lt_u64_e64 s2, 0xffff, v[1:2]
	v_bfi_b32 v9, 0x7fff, v10, v9
	v_bfi_b32 v8, 0x7fff, v8, v3
	;; [unrolled: 1-line block ×4, first 2 shown]
	v_add_co_u32 v3, s20, s9, v5
	s_or_b32 s2, vcc_lo, s2
	s_add_u32 s3, s3, s18
	v_add_co_u32 v1, vcc_lo, v1, s17
	s_addc_u32 s8, s8, 0
	s_add_u32 s9, s9, s18
	v_add_co_ci_u32_e64 v4, null, s14, 0, s20
	v_pack_b32_f16 v7, v9, v7
	v_pack_b32_f16 v6, v6, v8
	v_add_co_ci_u32_e32 v2, vcc_lo, 0, v2, vcc_lo
	s_addc_u32 s14, s14, 0
	s_and_b32 s2, exec_lo, s2
	global_store_b64 v[3:4], v[6:7], off
	s_or_b32 s16, s2, s16
	s_delay_alu instid0(SALU_CYCLE_1)
	s_and_not1_b32 exec_lo, exec_lo, s16
	s_cbranch_execz .LBB158_20
.LBB158_4:                              ; =>This Inner Loop Header: Depth=1
	v_add_co_u32 v3, s2, s3, v5
	s_delay_alu instid0(VALU_DEP_1) | instskip(SKIP_3) | instid1(VALU_DEP_1)
	v_add_co_ci_u32_e64 v4, null, s8, 0, s2
                                        ; implicit-def: $vgpr7
	global_load_b64 v[3:4], v[3:4], off
	s_waitcnt vmcnt(0)
	v_cvt_f32_f16_e32 v6, v3
	v_cmp_ngt_f32_e64 s2, 0x3f200000, |v6|
	s_delay_alu instid0(VALU_DEP_1) | instskip(NEXT) | instid1(SALU_CYCLE_1)
	s_and_saveexec_b32 s20, s2
	s_xor_b32 s2, exec_lo, s20
	s_cbranch_execz .LBB158_6
; %bb.5:                                ;   in Loop: Header=BB158_4 Depth=1
	v_add_f32_e64 v7, |v6|, |v6|
	s_delay_alu instid0(VALU_DEP_1) | instskip(SKIP_1) | instid1(VALU_DEP_2)
	v_mul_f32_e32 v8, 0x3fb8aa3b, v7
	v_cmp_ngt_f32_e32 vcc_lo, 0xc2ce8ed0, v7
	v_rndne_f32_e32 v9, v8
	v_fma_f32 v10, 0x3fb8aa3b, v7, -v8
	s_delay_alu instid0(VALU_DEP_2) | instskip(NEXT) | instid1(VALU_DEP_2)
	v_sub_f32_e32 v8, v8, v9
	v_fmac_f32_e32 v10, 0x32a5705f, v7
	v_cvt_i32_f32_e32 v9, v9
	s_delay_alu instid0(VALU_DEP_2) | instskip(NEXT) | instid1(VALU_DEP_1)
	v_add_f32_e32 v8, v8, v10
	v_exp_f32_e32 v8, v8
	s_waitcnt_depctr 0xfff
	v_ldexp_f32 v8, v8, v9
	s_delay_alu instid0(VALU_DEP_1) | instskip(SKIP_1) | instid1(VALU_DEP_2)
	v_cndmask_b32_e32 v8, 0, v8, vcc_lo
	v_cmp_nlt_f32_e32 vcc_lo, 0x42b17218, v7
	v_cndmask_b32_e32 v7, 0x7f800000, v8, vcc_lo
	s_delay_alu instid0(VALU_DEP_1) | instskip(NEXT) | instid1(VALU_DEP_1)
	v_add_f32_e32 v7, 1.0, v7
	v_rcp_f32_e32 v7, v7
	s_waitcnt_depctr 0xfff
	v_fma_f32 v7, v7, -2.0, 1.0
.LBB158_6:                              ;   in Loop: Header=BB158_4 Depth=1
	s_and_not1_saveexec_b32 s2, s2
; %bb.7:                                ;   in Loop: Header=BB158_4 Depth=1
	v_mul_f32_e32 v7, v6, v6
	s_delay_alu instid0(VALU_DEP_1) | instskip(NEXT) | instid1(VALU_DEP_1)
	v_fmaak_f32 v8, s19, v7, 0x3ca908c9
	v_fmaak_f32 v8, v7, v8, 0xbd5c1c4e
	s_delay_alu instid0(VALU_DEP_1) | instskip(NEXT) | instid1(VALU_DEP_1)
	v_fmaak_f32 v8, v7, v8, 0x3e088382
	v_fmaak_f32 v8, v7, v8, 0xbeaaaa99
	s_delay_alu instid0(VALU_DEP_1) | instskip(NEXT) | instid1(VALU_DEP_1)
	v_mul_f32_e64 v8, |v6|, v8
	v_fma_f32 v7, v7, v8, |v6|
; %bb.8:                                ;   in Loop: Header=BB158_4 Depth=1
	s_or_b32 exec_lo, exec_lo, s2
	v_lshrrev_b32_e32 v3, 16, v3
                                        ; implicit-def: $vgpr8
	s_delay_alu instid0(VALU_DEP_1) | instskip(NEXT) | instid1(VALU_DEP_1)
	v_cvt_f32_f16_e32 v3, v3
	v_cmp_ngt_f32_e64 s2, 0x3f200000, |v3|
	s_delay_alu instid0(VALU_DEP_1) | instskip(NEXT) | instid1(SALU_CYCLE_1)
	s_and_saveexec_b32 s20, s2
	s_xor_b32 s2, exec_lo, s20
	s_cbranch_execz .LBB158_10
; %bb.9:                                ;   in Loop: Header=BB158_4 Depth=1
	v_add_f32_e64 v8, |v3|, |v3|
	s_delay_alu instid0(VALU_DEP_1) | instskip(SKIP_1) | instid1(VALU_DEP_2)
	v_mul_f32_e32 v9, 0x3fb8aa3b, v8
	v_cmp_ngt_f32_e32 vcc_lo, 0xc2ce8ed0, v8
	v_rndne_f32_e32 v10, v9
	v_fma_f32 v11, 0x3fb8aa3b, v8, -v9
	s_delay_alu instid0(VALU_DEP_2) | instskip(NEXT) | instid1(VALU_DEP_2)
	v_sub_f32_e32 v9, v9, v10
	v_fmac_f32_e32 v11, 0x32a5705f, v8
	v_cvt_i32_f32_e32 v10, v10
	s_delay_alu instid0(VALU_DEP_2) | instskip(NEXT) | instid1(VALU_DEP_1)
	v_add_f32_e32 v9, v9, v11
	v_exp_f32_e32 v9, v9
	s_waitcnt_depctr 0xfff
	v_ldexp_f32 v9, v9, v10
	s_delay_alu instid0(VALU_DEP_1) | instskip(SKIP_1) | instid1(VALU_DEP_2)
	v_cndmask_b32_e32 v9, 0, v9, vcc_lo
	v_cmp_nlt_f32_e32 vcc_lo, 0x42b17218, v8
	v_cndmask_b32_e32 v8, 0x7f800000, v9, vcc_lo
	s_delay_alu instid0(VALU_DEP_1) | instskip(NEXT) | instid1(VALU_DEP_1)
	v_add_f32_e32 v8, 1.0, v8
	v_rcp_f32_e32 v8, v8
	s_waitcnt_depctr 0xfff
	v_fma_f32 v8, v8, -2.0, 1.0
.LBB158_10:                             ;   in Loop: Header=BB158_4 Depth=1
	s_and_not1_saveexec_b32 s2, s2
; %bb.11:                               ;   in Loop: Header=BB158_4 Depth=1
	v_mul_f32_e32 v8, v3, v3
	s_delay_alu instid0(VALU_DEP_1) | instskip(NEXT) | instid1(VALU_DEP_1)
	v_fmaak_f32 v9, s19, v8, 0x3ca908c9
	v_fmaak_f32 v9, v8, v9, 0xbd5c1c4e
	s_delay_alu instid0(VALU_DEP_1) | instskip(NEXT) | instid1(VALU_DEP_1)
	v_fmaak_f32 v9, v8, v9, 0x3e088382
	v_fmaak_f32 v9, v8, v9, 0xbeaaaa99
	s_delay_alu instid0(VALU_DEP_1) | instskip(NEXT) | instid1(VALU_DEP_1)
	v_mul_f32_e64 v9, |v3|, v9
	v_fma_f32 v8, v8, v9, |v3|
; %bb.12:                               ;   in Loop: Header=BB158_4 Depth=1
	s_or_b32 exec_lo, exec_lo, s2
	v_cvt_f32_f16_e32 v9, v4
                                        ; implicit-def: $vgpr10
	s_delay_alu instid0(VALU_DEP_1) | instskip(NEXT) | instid1(VALU_DEP_1)
	v_cmp_ngt_f32_e64 s2, 0x3f200000, |v9|
	s_and_saveexec_b32 s20, s2
	s_delay_alu instid0(SALU_CYCLE_1)
	s_xor_b32 s2, exec_lo, s20
	s_cbranch_execz .LBB158_14
; %bb.13:                               ;   in Loop: Header=BB158_4 Depth=1
	v_add_f32_e64 v10, |v9|, |v9|
	s_delay_alu instid0(VALU_DEP_1) | instskip(SKIP_1) | instid1(VALU_DEP_2)
	v_mul_f32_e32 v11, 0x3fb8aa3b, v10
	v_cmp_ngt_f32_e32 vcc_lo, 0xc2ce8ed0, v10
	v_rndne_f32_e32 v12, v11
	v_fma_f32 v13, 0x3fb8aa3b, v10, -v11
	s_delay_alu instid0(VALU_DEP_2) | instskip(NEXT) | instid1(VALU_DEP_2)
	v_sub_f32_e32 v11, v11, v12
	v_fmac_f32_e32 v13, 0x32a5705f, v10
	v_cvt_i32_f32_e32 v12, v12
	s_delay_alu instid0(VALU_DEP_2) | instskip(NEXT) | instid1(VALU_DEP_1)
	v_add_f32_e32 v11, v11, v13
	v_exp_f32_e32 v11, v11
	s_waitcnt_depctr 0xfff
	v_ldexp_f32 v11, v11, v12
	s_delay_alu instid0(VALU_DEP_1) | instskip(SKIP_1) | instid1(VALU_DEP_2)
	v_cndmask_b32_e32 v11, 0, v11, vcc_lo
	v_cmp_nlt_f32_e32 vcc_lo, 0x42b17218, v10
	v_cndmask_b32_e32 v10, 0x7f800000, v11, vcc_lo
	s_delay_alu instid0(VALU_DEP_1) | instskip(NEXT) | instid1(VALU_DEP_1)
	v_add_f32_e32 v10, 1.0, v10
	v_rcp_f32_e32 v10, v10
	s_waitcnt_depctr 0xfff
	v_fma_f32 v10, v10, -2.0, 1.0
.LBB158_14:                             ;   in Loop: Header=BB158_4 Depth=1
	s_and_not1_saveexec_b32 s2, s2
; %bb.15:                               ;   in Loop: Header=BB158_4 Depth=1
	v_mul_f32_e32 v10, v9, v9
	s_delay_alu instid0(VALU_DEP_1) | instskip(NEXT) | instid1(VALU_DEP_1)
	v_fmaak_f32 v11, s19, v10, 0x3ca908c9
	v_fmaak_f32 v11, v10, v11, 0xbd5c1c4e
	s_delay_alu instid0(VALU_DEP_1) | instskip(NEXT) | instid1(VALU_DEP_1)
	v_fmaak_f32 v11, v10, v11, 0x3e088382
	v_fmaak_f32 v11, v10, v11, 0xbeaaaa99
	s_delay_alu instid0(VALU_DEP_1) | instskip(NEXT) | instid1(VALU_DEP_1)
	v_mul_f32_e64 v11, |v9|, v11
	v_fma_f32 v10, v10, v11, |v9|
; %bb.16:                               ;   in Loop: Header=BB158_4 Depth=1
	s_or_b32 exec_lo, exec_lo, s2
	v_lshrrev_b32_e32 v4, 16, v4
                                        ; implicit-def: $vgpr11
	s_delay_alu instid0(VALU_DEP_1) | instskip(NEXT) | instid1(VALU_DEP_1)
	v_cvt_f32_f16_e32 v4, v4
	v_cmp_ngt_f32_e64 s2, 0x3f200000, |v4|
	s_delay_alu instid0(VALU_DEP_1) | instskip(NEXT) | instid1(SALU_CYCLE_1)
	s_and_saveexec_b32 s20, s2
	s_xor_b32 s2, exec_lo, s20
	s_cbranch_execz .LBB158_18
; %bb.17:                               ;   in Loop: Header=BB158_4 Depth=1
	v_add_f32_e64 v11, |v4|, |v4|
	s_delay_alu instid0(VALU_DEP_1) | instskip(SKIP_1) | instid1(VALU_DEP_2)
	v_mul_f32_e32 v12, 0x3fb8aa3b, v11
	v_cmp_ngt_f32_e32 vcc_lo, 0xc2ce8ed0, v11
	v_rndne_f32_e32 v13, v12
	v_fma_f32 v14, 0x3fb8aa3b, v11, -v12
	s_delay_alu instid0(VALU_DEP_2) | instskip(NEXT) | instid1(VALU_DEP_2)
	v_sub_f32_e32 v12, v12, v13
	v_fmac_f32_e32 v14, 0x32a5705f, v11
	v_cvt_i32_f32_e32 v13, v13
	s_delay_alu instid0(VALU_DEP_2) | instskip(NEXT) | instid1(VALU_DEP_1)
	v_add_f32_e32 v12, v12, v14
	v_exp_f32_e32 v12, v12
	s_waitcnt_depctr 0xfff
	v_ldexp_f32 v12, v12, v13
	s_delay_alu instid0(VALU_DEP_1) | instskip(SKIP_1) | instid1(VALU_DEP_2)
	v_cndmask_b32_e32 v12, 0, v12, vcc_lo
	v_cmp_nlt_f32_e32 vcc_lo, 0x42b17218, v11
	v_cndmask_b32_e32 v11, 0x7f800000, v12, vcc_lo
	s_delay_alu instid0(VALU_DEP_1) | instskip(NEXT) | instid1(VALU_DEP_1)
	v_add_f32_e32 v11, 1.0, v11
	v_rcp_f32_e32 v11, v11
	s_waitcnt_depctr 0xfff
	v_fma_f32 v11, v11, -2.0, 1.0
.LBB158_18:                             ;   in Loop: Header=BB158_4 Depth=1
	s_and_not1_saveexec_b32 s2, s2
	s_cbranch_execz .LBB158_3
; %bb.19:                               ;   in Loop: Header=BB158_4 Depth=1
	v_mul_f32_e32 v11, v4, v4
	s_delay_alu instid0(VALU_DEP_1) | instskip(NEXT) | instid1(VALU_DEP_1)
	v_fmaak_f32 v12, s19, v11, 0x3ca908c9
	v_fmaak_f32 v12, v11, v12, 0xbd5c1c4e
	s_delay_alu instid0(VALU_DEP_1) | instskip(NEXT) | instid1(VALU_DEP_1)
	v_fmaak_f32 v12, v11, v12, 0x3e088382
	v_fmaak_f32 v12, v11, v12, 0xbeaaaa99
	s_delay_alu instid0(VALU_DEP_1) | instskip(NEXT) | instid1(VALU_DEP_1)
	v_mul_f32_e64 v12, |v4|, v12
	v_fma_f32 v11, v11, v12, |v4|
	s_branch .LBB158_3
.LBB158_20:
	s_or_b32 exec_lo, exec_lo, s15
	s_mov_b32 s2, 0
.LBB158_21:
	s_delay_alu instid0(SALU_CYCLE_1)
	s_and_not1_b32 vcc_lo, exec_lo, s2
	s_cbranch_vccnz .LBB158_57
; %bb.22:
	v_cmp_lt_i64_e64 s2, s[6:7], 1
	s_delay_alu instid0(VALU_DEP_1)
	s_and_b32 vcc_lo, exec_lo, s2
	s_cbranch_vccnz .LBB158_57
; %bb.23:
	s_load_b32 s0, s[0:1], 0xc5c
	v_dual_mov_b32 v10, 0 :: v_dual_lshlrev_b32 v9, 1, v0
	v_cmp_gt_u64_e64 s1, 0x10000, s[6:7]
	s_delay_alu instid0(VALU_DEP_2) | instskip(NEXT) | instid1(VALU_DEP_1)
	v_add_co_u32 v1, s2, s10, v9
	v_add_co_ci_u32_e64 v2, null, s11, 0, s2
	v_add_co_u32 v3, s2, s12, v9
	s_delay_alu instid0(VALU_DEP_1)
	v_add_co_ci_u32_e64 v4, null, s13, 0, s2
	s_waitcnt lgkmcnt(0)
	s_and_b32 s0, s0, 0xffff
	s_and_b32 s1, s1, exec_lo
	v_mad_u64_u32 v[7:8], null, s0, 6, v[9:10]
	s_cselect_b32 s9, s7, 0
	s_cselect_b32 s8, s6, 0x10000
	s_mul_i32 s2, s0, 3
	s_lshl_b32 s14, s0, 2
	s_lshl_b32 s1, s0, 1
	v_add_co_u32 v14, s3, s14, v9
	v_add_co_u32 v9, s2, s2, v0
	s_delay_alu instid0(VALU_DEP_1) | instskip(SKIP_3) | instid1(VALU_DEP_3)
	v_add_co_ci_u32_e64 v10, null, 0, 0, s2
	v_add_co_u32 v13, s2, v0, s0
	v_add_co_u32 v5, vcc_lo, s10, v7
	v_add_co_ci_u32_e32 v6, vcc_lo, s11, v8, vcc_lo
	v_lshlrev_b32_e32 v21, 1, v13
	v_add_co_u32 v7, vcc_lo, s12, v7
	v_add_co_ci_u32_e64 v15, null, 0, 0, s3
	v_add_co_ci_u32_e32 v8, vcc_lo, s13, v8, vcc_lo
	v_add_co_u32 v17, s1, s1, v0
	v_add_co_u32 v11, vcc_lo, s10, v14
	v_add_co_ci_u32_e64 v18, null, 0, 0, s1
	v_add_co_u32 v19, s1, s10, v21
	v_add_co_ci_u32_e32 v12, vcc_lo, s11, v15, vcc_lo
	v_add_co_u32 v14, vcc_lo, s12, v14
	v_add_co_ci_u32_e64 v20, null, s11, 0, s1
	v_add_co_u32 v21, s1, s12, v21
	v_add_co_ci_u32_e32 v15, vcc_lo, s13, v15, vcc_lo
	v_add_co_ci_u32_e64 v16, null, 0, 0, s2
	v_add_co_ci_u32_e64 v22, null, s13, 0, s1
	s_lshl_b32 s12, s0, 3
	s_mov_b64 s[10:11], 0
	s_mov_b32 s13, 0xbbbac73d
	s_branch .LBB158_25
.LBB158_24:                             ;   in Loop: Header=BB158_25 Depth=1
	s_or_b32 exec_lo, exec_lo, s0
	v_add_co_u32 v1, vcc_lo, v1, s12
	v_add_co_ci_u32_e32 v2, vcc_lo, 0, v2, vcc_lo
	v_add_co_u32 v3, vcc_lo, v3, s12
	v_add_co_ci_u32_e32 v4, vcc_lo, 0, v4, vcc_lo
	;; [unrolled: 2-line block ×5, first 2 shown]
	s_add_u32 s10, s10, s14
	v_add_co_u32 v14, vcc_lo, v14, s12
	s_addc_u32 s11, s11, 0
	v_add_co_ci_u32_e32 v15, vcc_lo, 0, v15, vcc_lo
	v_cmp_ge_i64_e64 s0, s[10:11], s[6:7]
	v_cmp_lt_u64_e64 s1, 0xffff, s[10:11]
	v_add_co_u32 v19, vcc_lo, v19, s12
	v_add_co_ci_u32_e32 v20, vcc_lo, 0, v20, vcc_lo
	v_add_co_u32 v21, vcc_lo, v21, s12
	v_add_co_ci_u32_e32 v22, vcc_lo, 0, v22, vcc_lo
	s_or_b32 s0, s0, s1
	s_delay_alu instid0(SALU_CYCLE_1)
	s_and_b32 vcc_lo, exec_lo, s0
	s_cbranch_vccnz .LBB158_57
.LBB158_25:                             ; =>This Inner Loop Header: Depth=1
	v_add_co_u32 v23, s0, v0, s10
	s_delay_alu instid0(VALU_DEP_1) | instskip(NEXT) | instid1(VALU_DEP_1)
	v_add_co_ci_u32_e64 v24, null, 0, s11, s0
	v_cmp_gt_u64_e32 vcc_lo, s[8:9], v[23:24]
	v_mov_b32_e32 v23, 0
	s_and_saveexec_b32 s1, vcc_lo
	s_cbranch_execz .LBB158_27
; %bb.26:                               ;   in Loop: Header=BB158_25 Depth=1
	v_add_co_u32 v23, s0, v1, s4
	s_delay_alu instid0(VALU_DEP_1)
	v_add_co_ci_u32_e64 v24, s0, s5, v2, s0
	global_load_u16 v23, v[23:24], off
.LBB158_27:                             ;   in Loop: Header=BB158_25 Depth=1
	s_or_b32 exec_lo, exec_lo, s1
	v_add_co_u32 v24, s0, v13, s10
	s_delay_alu instid0(VALU_DEP_1) | instskip(SKIP_1) | instid1(VALU_DEP_2)
	v_add_co_ci_u32_e64 v25, s0, s11, v16, s0
	v_mov_b32_e32 v26, 0
	v_cmp_gt_u64_e64 s0, s[8:9], v[24:25]
	s_delay_alu instid0(VALU_DEP_1)
	s_and_saveexec_b32 s2, s0
	s_cbranch_execz .LBB158_29
; %bb.28:                               ;   in Loop: Header=BB158_25 Depth=1
	v_add_co_u32 v24, s1, v19, s4
	s_delay_alu instid0(VALU_DEP_1)
	v_add_co_ci_u32_e64 v25, s1, s5, v20, s1
	global_load_u16 v26, v[24:25], off
.LBB158_29:                             ;   in Loop: Header=BB158_25 Depth=1
	s_or_b32 exec_lo, exec_lo, s2
	v_add_co_u32 v24, s1, v17, s10
	s_delay_alu instid0(VALU_DEP_1) | instskip(SKIP_1) | instid1(VALU_DEP_2)
	v_add_co_ci_u32_e64 v25, s1, s11, v18, s1
	v_mov_b32_e32 v28, 0
	v_cmp_gt_u64_e64 s1, s[8:9], v[24:25]
	v_mov_b32_e32 v24, 0
	s_delay_alu instid0(VALU_DEP_2)
	s_and_saveexec_b32 s3, s1
	s_cbranch_execz .LBB158_31
; %bb.30:                               ;   in Loop: Header=BB158_25 Depth=1
	v_add_co_u32 v27, s2, v11, s4
	s_delay_alu instid0(VALU_DEP_1)
	v_add_co_ci_u32_e64 v28, s2, s5, v12, s2
	global_load_u16 v28, v[27:28], off
.LBB158_31:                             ;   in Loop: Header=BB158_25 Depth=1
	s_or_b32 exec_lo, exec_lo, s3
	v_add_co_u32 v29, s2, v9, s10
	s_delay_alu instid0(VALU_DEP_1) | instskip(NEXT) | instid1(VALU_DEP_1)
	v_add_co_ci_u32_e64 v30, s2, s11, v10, s2
	v_cmp_gt_u64_e64 s2, s[8:9], v[29:30]
	s_delay_alu instid0(VALU_DEP_1)
	s_and_saveexec_b32 s15, s2
	s_cbranch_execz .LBB158_33
; %bb.32:                               ;   in Loop: Header=BB158_25 Depth=1
	v_add_co_u32 v24, s3, v5, s4
	s_delay_alu instid0(VALU_DEP_1)
	v_add_co_ci_u32_e64 v25, s3, s5, v6, s3
	global_load_u16 v24, v[24:25], off
.LBB158_33:                             ;   in Loop: Header=BB158_25 Depth=1
	s_or_b32 exec_lo, exec_lo, s15
	s_waitcnt vmcnt(0)
	v_cvt_f32_f16_e32 v23, v23
	s_mov_b32 s15, exec_lo
                                        ; implicit-def: $vgpr25
	s_delay_alu instid0(VALU_DEP_1)
	v_cmpx_ngt_f32_e64 0x3f200000, |v23|
	s_xor_b32 s15, exec_lo, s15
	s_cbranch_execz .LBB158_35
; %bb.34:                               ;   in Loop: Header=BB158_25 Depth=1
	v_add_f32_e64 v25, |v23|, |v23|
	s_delay_alu instid0(VALU_DEP_1) | instskip(SKIP_1) | instid1(VALU_DEP_2)
	v_mul_f32_e32 v27, 0x3fb8aa3b, v25
	v_cmp_ngt_f32_e64 s3, 0xc2ce8ed0, v25
	v_rndne_f32_e32 v29, v27
	v_fma_f32 v30, 0x3fb8aa3b, v25, -v27
	s_delay_alu instid0(VALU_DEP_2) | instskip(NEXT) | instid1(VALU_DEP_2)
	v_sub_f32_e32 v27, v27, v29
	v_fmac_f32_e32 v30, 0x32a5705f, v25
	v_cvt_i32_f32_e32 v29, v29
	s_delay_alu instid0(VALU_DEP_2) | instskip(NEXT) | instid1(VALU_DEP_1)
	v_add_f32_e32 v27, v27, v30
	v_exp_f32_e32 v27, v27
	s_waitcnt_depctr 0xfff
	v_ldexp_f32 v27, v27, v29
	s_delay_alu instid0(VALU_DEP_1) | instskip(SKIP_1) | instid1(VALU_DEP_1)
	v_cndmask_b32_e64 v27, 0, v27, s3
	v_cmp_nlt_f32_e64 s3, 0x42b17218, v25
	v_cndmask_b32_e64 v25, 0x7f800000, v27, s3
	s_delay_alu instid0(VALU_DEP_1) | instskip(NEXT) | instid1(VALU_DEP_1)
	v_add_f32_e32 v25, 1.0, v25
	v_rcp_f32_e32 v25, v25
	s_waitcnt_depctr 0xfff
	v_fma_f32 v25, v25, -2.0, 1.0
.LBB158_35:                             ;   in Loop: Header=BB158_25 Depth=1
	s_and_not1_saveexec_b32 s3, s15
; %bb.36:                               ;   in Loop: Header=BB158_25 Depth=1
	v_mul_f32_e32 v25, v23, v23
	s_delay_alu instid0(VALU_DEP_1) | instskip(NEXT) | instid1(VALU_DEP_1)
	v_fmaak_f32 v27, s13, v25, 0x3ca908c9
	v_fmaak_f32 v27, v25, v27, 0xbd5c1c4e
	s_delay_alu instid0(VALU_DEP_1) | instskip(NEXT) | instid1(VALU_DEP_1)
	v_fmaak_f32 v27, v25, v27, 0x3e088382
	v_fmaak_f32 v27, v25, v27, 0xbeaaaa99
	s_delay_alu instid0(VALU_DEP_1) | instskip(NEXT) | instid1(VALU_DEP_1)
	v_mul_f32_e64 v27, |v23|, v27
	v_fma_f32 v25, v25, v27, |v23|
; %bb.37:                               ;   in Loop: Header=BB158_25 Depth=1
	s_or_b32 exec_lo, exec_lo, s3
	v_cvt_f32_f16_e32 v26, v26
	s_mov_b32 s15, exec_lo
                                        ; implicit-def: $vgpr27
	s_delay_alu instid0(VALU_DEP_1)
	v_cmpx_ngt_f32_e64 0x3f200000, |v26|
	s_xor_b32 s15, exec_lo, s15
	s_cbranch_execz .LBB158_39
; %bb.38:                               ;   in Loop: Header=BB158_25 Depth=1
	v_add_f32_e64 v27, |v26|, |v26|
	s_delay_alu instid0(VALU_DEP_1) | instskip(SKIP_1) | instid1(VALU_DEP_2)
	v_mul_f32_e32 v29, 0x3fb8aa3b, v27
	v_cmp_ngt_f32_e64 s3, 0xc2ce8ed0, v27
	v_rndne_f32_e32 v30, v29
	v_fma_f32 v31, 0x3fb8aa3b, v27, -v29
	s_delay_alu instid0(VALU_DEP_2) | instskip(NEXT) | instid1(VALU_DEP_2)
	v_sub_f32_e32 v29, v29, v30
	v_fmac_f32_e32 v31, 0x32a5705f, v27
	v_cvt_i32_f32_e32 v30, v30
	s_delay_alu instid0(VALU_DEP_2) | instskip(NEXT) | instid1(VALU_DEP_1)
	v_add_f32_e32 v29, v29, v31
	v_exp_f32_e32 v29, v29
	s_waitcnt_depctr 0xfff
	v_ldexp_f32 v29, v29, v30
	s_delay_alu instid0(VALU_DEP_1) | instskip(SKIP_1) | instid1(VALU_DEP_1)
	v_cndmask_b32_e64 v29, 0, v29, s3
	v_cmp_nlt_f32_e64 s3, 0x42b17218, v27
	v_cndmask_b32_e64 v27, 0x7f800000, v29, s3
	s_delay_alu instid0(VALU_DEP_1) | instskip(NEXT) | instid1(VALU_DEP_1)
	v_add_f32_e32 v27, 1.0, v27
	v_rcp_f32_e32 v27, v27
	s_waitcnt_depctr 0xfff
	v_fma_f32 v27, v27, -2.0, 1.0
.LBB158_39:                             ;   in Loop: Header=BB158_25 Depth=1
	s_and_not1_saveexec_b32 s3, s15
; %bb.40:                               ;   in Loop: Header=BB158_25 Depth=1
	v_mul_f32_e32 v27, v26, v26
	s_delay_alu instid0(VALU_DEP_1) | instskip(NEXT) | instid1(VALU_DEP_1)
	v_fmaak_f32 v29, s13, v27, 0x3ca908c9
	v_fmaak_f32 v29, v27, v29, 0xbd5c1c4e
	s_delay_alu instid0(VALU_DEP_1) | instskip(NEXT) | instid1(VALU_DEP_1)
	v_fmaak_f32 v29, v27, v29, 0x3e088382
	v_fmaak_f32 v29, v27, v29, 0xbeaaaa99
	s_delay_alu instid0(VALU_DEP_1) | instskip(NEXT) | instid1(VALU_DEP_1)
	v_mul_f32_e64 v29, |v26|, v29
	v_fma_f32 v27, v27, v29, |v26|
; %bb.41:                               ;   in Loop: Header=BB158_25 Depth=1
	s_or_b32 exec_lo, exec_lo, s3
	v_cvt_f32_f16_e32 v28, v28
	s_mov_b32 s15, exec_lo
                                        ; implicit-def: $vgpr29
	s_delay_alu instid0(VALU_DEP_1)
	v_cmpx_ngt_f32_e64 0x3f200000, |v28|
	s_xor_b32 s15, exec_lo, s15
	s_cbranch_execz .LBB158_43
; %bb.42:                               ;   in Loop: Header=BB158_25 Depth=1
	v_add_f32_e64 v29, |v28|, |v28|
	s_delay_alu instid0(VALU_DEP_1) | instskip(SKIP_1) | instid1(VALU_DEP_2)
	v_mul_f32_e32 v30, 0x3fb8aa3b, v29
	v_cmp_ngt_f32_e64 s3, 0xc2ce8ed0, v29
	v_rndne_f32_e32 v31, v30
	v_fma_f32 v32, 0x3fb8aa3b, v29, -v30
	s_delay_alu instid0(VALU_DEP_2) | instskip(NEXT) | instid1(VALU_DEP_2)
	v_sub_f32_e32 v30, v30, v31
	v_fmac_f32_e32 v32, 0x32a5705f, v29
	v_cvt_i32_f32_e32 v31, v31
	s_delay_alu instid0(VALU_DEP_2) | instskip(NEXT) | instid1(VALU_DEP_1)
	v_add_f32_e32 v30, v30, v32
	v_exp_f32_e32 v30, v30
	s_waitcnt_depctr 0xfff
	v_ldexp_f32 v30, v30, v31
	s_delay_alu instid0(VALU_DEP_1) | instskip(SKIP_1) | instid1(VALU_DEP_1)
	v_cndmask_b32_e64 v30, 0, v30, s3
	v_cmp_nlt_f32_e64 s3, 0x42b17218, v29
	v_cndmask_b32_e64 v29, 0x7f800000, v30, s3
	s_delay_alu instid0(VALU_DEP_1) | instskip(NEXT) | instid1(VALU_DEP_1)
	v_add_f32_e32 v29, 1.0, v29
	v_rcp_f32_e32 v29, v29
	s_waitcnt_depctr 0xfff
	v_fma_f32 v29, v29, -2.0, 1.0
.LBB158_43:                             ;   in Loop: Header=BB158_25 Depth=1
	s_and_not1_saveexec_b32 s3, s15
; %bb.44:                               ;   in Loop: Header=BB158_25 Depth=1
	v_mul_f32_e32 v29, v28, v28
	s_delay_alu instid0(VALU_DEP_1) | instskip(NEXT) | instid1(VALU_DEP_1)
	v_fmaak_f32 v30, s13, v29, 0x3ca908c9
	v_fmaak_f32 v30, v29, v30, 0xbd5c1c4e
	s_delay_alu instid0(VALU_DEP_1) | instskip(NEXT) | instid1(VALU_DEP_1)
	v_fmaak_f32 v30, v29, v30, 0x3e088382
	v_fmaak_f32 v30, v29, v30, 0xbeaaaa99
	s_delay_alu instid0(VALU_DEP_1) | instskip(NEXT) | instid1(VALU_DEP_1)
	v_mul_f32_e64 v30, |v28|, v30
	v_fma_f32 v29, v29, v30, |v28|
; %bb.45:                               ;   in Loop: Header=BB158_25 Depth=1
	s_or_b32 exec_lo, exec_lo, s3
	v_cvt_f32_f16_e32 v24, v24
	s_mov_b32 s15, exec_lo
                                        ; implicit-def: $vgpr30
	s_delay_alu instid0(VALU_DEP_1)
	v_cmpx_ngt_f32_e64 0x3f200000, |v24|
	s_xor_b32 s15, exec_lo, s15
	s_cbranch_execnz .LBB158_51
; %bb.46:                               ;   in Loop: Header=BB158_25 Depth=1
	s_and_not1_saveexec_b32 s3, s15
	s_cbranch_execnz .LBB158_52
.LBB158_47:                             ;   in Loop: Header=BB158_25 Depth=1
	s_or_b32 exec_lo, exec_lo, s3
	s_and_saveexec_b32 s3, vcc_lo
	s_delay_alu instid0(SALU_CYCLE_1)
	s_xor_b32 s3, exec_lo, s3
	s_cbranch_execnz .LBB158_53
.LBB158_48:                             ;   in Loop: Header=BB158_25 Depth=1
	s_or_b32 exec_lo, exec_lo, s3
	s_and_saveexec_b32 s3, s0
	s_cbranch_execnz .LBB158_54
.LBB158_49:                             ;   in Loop: Header=BB158_25 Depth=1
	s_or_b32 exec_lo, exec_lo, s3
	s_and_saveexec_b32 s0, s1
	s_cbranch_execnz .LBB158_55
.LBB158_50:                             ;   in Loop: Header=BB158_25 Depth=1
	s_or_b32 exec_lo, exec_lo, s0
	s_and_saveexec_b32 s0, s2
	s_cbranch_execz .LBB158_24
	s_branch .LBB158_56
.LBB158_51:                             ;   in Loop: Header=BB158_25 Depth=1
	v_add_f32_e64 v30, |v24|, |v24|
	s_delay_alu instid0(VALU_DEP_1) | instskip(SKIP_1) | instid1(VALU_DEP_2)
	v_mul_f32_e32 v31, 0x3fb8aa3b, v30
	v_cmp_ngt_f32_e64 s3, 0xc2ce8ed0, v30
	v_rndne_f32_e32 v32, v31
	v_fma_f32 v33, 0x3fb8aa3b, v30, -v31
	s_delay_alu instid0(VALU_DEP_2) | instskip(NEXT) | instid1(VALU_DEP_2)
	v_sub_f32_e32 v31, v31, v32
	v_fmac_f32_e32 v33, 0x32a5705f, v30
	v_cvt_i32_f32_e32 v32, v32
	s_delay_alu instid0(VALU_DEP_2) | instskip(NEXT) | instid1(VALU_DEP_1)
	v_add_f32_e32 v31, v31, v33
	v_exp_f32_e32 v31, v31
	s_waitcnt_depctr 0xfff
	v_ldexp_f32 v31, v31, v32
	s_delay_alu instid0(VALU_DEP_1) | instskip(SKIP_1) | instid1(VALU_DEP_1)
	v_cndmask_b32_e64 v31, 0, v31, s3
	v_cmp_nlt_f32_e64 s3, 0x42b17218, v30
	v_cndmask_b32_e64 v30, 0x7f800000, v31, s3
	s_delay_alu instid0(VALU_DEP_1) | instskip(NEXT) | instid1(VALU_DEP_1)
	v_add_f32_e32 v30, 1.0, v30
	v_rcp_f32_e32 v30, v30
	s_waitcnt_depctr 0xfff
	v_fma_f32 v30, v30, -2.0, 1.0
	s_and_not1_saveexec_b32 s3, s15
	s_cbranch_execz .LBB158_47
.LBB158_52:                             ;   in Loop: Header=BB158_25 Depth=1
	v_mul_f32_e32 v30, v24, v24
	s_delay_alu instid0(VALU_DEP_1) | instskip(NEXT) | instid1(VALU_DEP_1)
	v_fmaak_f32 v31, s13, v30, 0x3ca908c9
	v_fmaak_f32 v31, v30, v31, 0xbd5c1c4e
	s_delay_alu instid0(VALU_DEP_1) | instskip(NEXT) | instid1(VALU_DEP_1)
	v_fmaak_f32 v31, v30, v31, 0x3e088382
	v_fmaak_f32 v31, v30, v31, 0xbeaaaa99
	s_delay_alu instid0(VALU_DEP_1) | instskip(NEXT) | instid1(VALU_DEP_1)
	v_mul_f32_e64 v31, |v24|, v31
	v_fma_f32 v30, v30, v31, |v24|
	s_or_b32 exec_lo, exec_lo, s3
	s_and_saveexec_b32 s3, vcc_lo
	s_delay_alu instid0(SALU_CYCLE_1)
	s_xor_b32 s3, exec_lo, s3
	s_cbranch_execz .LBB158_48
.LBB158_53:                             ;   in Loop: Header=BB158_25 Depth=1
	v_cvt_f16_f32_e32 v25, v25
	v_lshrrev_b32_e32 v23, 16, v23
	v_add_co_u32 v31, vcc_lo, v3, s4
	v_add_co_ci_u32_e32 v32, vcc_lo, s5, v4, vcc_lo
	s_delay_alu instid0(VALU_DEP_3)
	v_bfi_b32 v23, 0x7fff, v25, v23
	global_store_b16 v[31:32], v23, off
	s_or_b32 exec_lo, exec_lo, s3
	s_and_saveexec_b32 s3, s0
	s_cbranch_execz .LBB158_49
.LBB158_54:                             ;   in Loop: Header=BB158_25 Depth=1
	v_cvt_f16_f32_e32 v23, v27
	v_lshrrev_b32_e32 v25, 16, v26
	s_delay_alu instid0(VALU_DEP_1)
	v_bfi_b32 v23, 0x7fff, v23, v25
	v_add_co_u32 v25, vcc_lo, v21, s4
	v_add_co_ci_u32_e32 v26, vcc_lo, s5, v22, vcc_lo
	global_store_b16 v[25:26], v23, off
	s_or_b32 exec_lo, exec_lo, s3
	s_and_saveexec_b32 s0, s1
	s_cbranch_execz .LBB158_50
.LBB158_55:                             ;   in Loop: Header=BB158_25 Depth=1
	v_cvt_f16_f32_e32 v23, v29
	v_lshrrev_b32_e32 v25, 16, v28
	s_delay_alu instid0(VALU_DEP_1)
	v_bfi_b32 v23, 0x7fff, v23, v25
	v_add_co_u32 v25, vcc_lo, v14, s4
	v_add_co_ci_u32_e32 v26, vcc_lo, s5, v15, vcc_lo
	global_store_b16 v[25:26], v23, off
	s_or_b32 exec_lo, exec_lo, s0
	s_and_saveexec_b32 s0, s2
	s_cbranch_execz .LBB158_24
.LBB158_56:                             ;   in Loop: Header=BB158_25 Depth=1
	v_cvt_f16_f32_e32 v23, v30
	v_lshrrev_b32_e32 v24, 16, v24
	s_delay_alu instid0(VALU_DEP_1)
	v_bfi_b32 v25, 0x7fff, v23, v24
	v_add_co_u32 v23, vcc_lo, v7, s4
	v_add_co_ci_u32_e32 v24, vcc_lo, s5, v8, vcc_lo
	global_store_b16 v[23:24], v25, off
	s_branch .LBB158_24
.LBB158_57:
	s_nop 0
	s_sendmsg sendmsg(MSG_DEALLOC_VGPRS)
	s_endpgm
	.section	.rodata,"a",@progbits
	.p2align	6, 0x0
	.amdhsa_kernel _ZN2at6native12_GLOBAL__N_125multi_tensor_apply_kernelINS1_18TensorListMetadataILi2EEENS1_14UnaryOpFunctorIN3c104HalfELi2ELi1ELi1EEEJNS0_4TanhIfEEEEEvT_T0_DpT1_
		.amdhsa_group_segment_fixed_size 0
		.amdhsa_private_segment_fixed_size 0
		.amdhsa_kernarg_size 3408
		.amdhsa_user_sgpr_count 15
		.amdhsa_user_sgpr_dispatch_ptr 0
		.amdhsa_user_sgpr_queue_ptr 0
		.amdhsa_user_sgpr_kernarg_segment_ptr 1
		.amdhsa_user_sgpr_dispatch_id 0
		.amdhsa_user_sgpr_private_segment_size 0
		.amdhsa_wavefront_size32 1
		.amdhsa_uses_dynamic_stack 0
		.amdhsa_enable_private_segment 0
		.amdhsa_system_sgpr_workgroup_id_x 1
		.amdhsa_system_sgpr_workgroup_id_y 0
		.amdhsa_system_sgpr_workgroup_id_z 0
		.amdhsa_system_sgpr_workgroup_info 0
		.amdhsa_system_vgpr_workitem_id 0
		.amdhsa_next_free_vgpr 34
		.amdhsa_next_free_sgpr 24
		.amdhsa_reserve_vcc 1
		.amdhsa_float_round_mode_32 0
		.amdhsa_float_round_mode_16_64 0
		.amdhsa_float_denorm_mode_32 3
		.amdhsa_float_denorm_mode_16_64 3
		.amdhsa_dx10_clamp 1
		.amdhsa_ieee_mode 1
		.amdhsa_fp16_overflow 0
		.amdhsa_workgroup_processor_mode 1
		.amdhsa_memory_ordered 1
		.amdhsa_forward_progress 0
		.amdhsa_shared_vgpr_count 0
		.amdhsa_exception_fp_ieee_invalid_op 0
		.amdhsa_exception_fp_denorm_src 0
		.amdhsa_exception_fp_ieee_div_zero 0
		.amdhsa_exception_fp_ieee_overflow 0
		.amdhsa_exception_fp_ieee_underflow 0
		.amdhsa_exception_fp_ieee_inexact 0
		.amdhsa_exception_int_div_zero 0
	.end_amdhsa_kernel
	.section	.text._ZN2at6native12_GLOBAL__N_125multi_tensor_apply_kernelINS1_18TensorListMetadataILi2EEENS1_14UnaryOpFunctorIN3c104HalfELi2ELi1ELi1EEEJNS0_4TanhIfEEEEEvT_T0_DpT1_,"axG",@progbits,_ZN2at6native12_GLOBAL__N_125multi_tensor_apply_kernelINS1_18TensorListMetadataILi2EEENS1_14UnaryOpFunctorIN3c104HalfELi2ELi1ELi1EEEJNS0_4TanhIfEEEEEvT_T0_DpT1_,comdat
.Lfunc_end158:
	.size	_ZN2at6native12_GLOBAL__N_125multi_tensor_apply_kernelINS1_18TensorListMetadataILi2EEENS1_14UnaryOpFunctorIN3c104HalfELi2ELi1ELi1EEEJNS0_4TanhIfEEEEEvT_T0_DpT1_, .Lfunc_end158-_ZN2at6native12_GLOBAL__N_125multi_tensor_apply_kernelINS1_18TensorListMetadataILi2EEENS1_14UnaryOpFunctorIN3c104HalfELi2ELi1ELi1EEEJNS0_4TanhIfEEEEEvT_T0_DpT1_
                                        ; -- End function
	.section	.AMDGPU.csdata,"",@progbits
; Kernel info:
; codeLenInByte = 3584
; NumSgprs: 26
; NumVgprs: 34
; ScratchSize: 0
; MemoryBound: 0
; FloatMode: 240
; IeeeMode: 1
; LDSByteSize: 0 bytes/workgroup (compile time only)
; SGPRBlocks: 3
; VGPRBlocks: 4
; NumSGPRsForWavesPerEU: 26
; NumVGPRsForWavesPerEU: 34
; Occupancy: 16
; WaveLimiterHint : 0
; COMPUTE_PGM_RSRC2:SCRATCH_EN: 0
; COMPUTE_PGM_RSRC2:USER_SGPR: 15
; COMPUTE_PGM_RSRC2:TRAP_HANDLER: 0
; COMPUTE_PGM_RSRC2:TGID_X_EN: 1
; COMPUTE_PGM_RSRC2:TGID_Y_EN: 0
; COMPUTE_PGM_RSRC2:TGID_Z_EN: 0
; COMPUTE_PGM_RSRC2:TIDIG_COMP_CNT: 0
	.section	.text._ZN2at6native12_GLOBAL__N_125multi_tensor_apply_kernelINS1_18TensorListMetadataILi2EEENS1_14UnaryOpFunctorIN3c108BFloat16ELi2ELi1ELi1EEEJNS0_4TanhIfEEEEEvT_T0_DpT1_,"axG",@progbits,_ZN2at6native12_GLOBAL__N_125multi_tensor_apply_kernelINS1_18TensorListMetadataILi2EEENS1_14UnaryOpFunctorIN3c108BFloat16ELi2ELi1ELi1EEEJNS0_4TanhIfEEEEEvT_T0_DpT1_,comdat
	.globl	_ZN2at6native12_GLOBAL__N_125multi_tensor_apply_kernelINS1_18TensorListMetadataILi2EEENS1_14UnaryOpFunctorIN3c108BFloat16ELi2ELi1ELi1EEEJNS0_4TanhIfEEEEEvT_T0_DpT1_ ; -- Begin function _ZN2at6native12_GLOBAL__N_125multi_tensor_apply_kernelINS1_18TensorListMetadataILi2EEENS1_14UnaryOpFunctorIN3c108BFloat16ELi2ELi1ELi1EEEJNS0_4TanhIfEEEEEvT_T0_DpT1_
	.p2align	8
	.type	_ZN2at6native12_GLOBAL__N_125multi_tensor_apply_kernelINS1_18TensorListMetadataILi2EEENS1_14UnaryOpFunctorIN3c108BFloat16ELi2ELi1ELi1EEEJNS0_4TanhIfEEEEEvT_T0_DpT1_,@function
_ZN2at6native12_GLOBAL__N_125multi_tensor_apply_kernelINS1_18TensorListMetadataILi2EEENS1_14UnaryOpFunctorIN3c108BFloat16ELi2ELi1ELi1EEEJNS0_4TanhIfEEEEEvT_T0_DpT1_: ; @_ZN2at6native12_GLOBAL__N_125multi_tensor_apply_kernelINS1_18TensorListMetadataILi2EEENS1_14UnaryOpFunctorIN3c108BFloat16ELi2ELi1ELi1EEEJNS0_4TanhIfEEEEEvT_T0_DpT1_
; %bb.0:
	v_mov_b32_e32 v1, s15
	s_add_u32 s2, s0, s15
	s_mul_hi_u32 s3, s15, 3
	s_mul_i32 s15, s15, 3
	s_addc_u32 s4, s1, 0
	global_load_u8 v1, v1, s[0:1] offset:1536
	s_add_u32 s2, s2, s15
	s_addc_u32 s3, s4, s3
	s_mov_b32 s9, 0
	s_load_b32 s2, s[2:3], 0x740
	s_mov_b32 s17, s9
	s_mov_b32 s15, s9
	s_waitcnt vmcnt(0)
	v_readfirstlane_b32 s5, v1
	s_delay_alu instid0(VALU_DEP_1)
	s_lshl_b32 s3, s5, 3
	s_clause 0x2
	s_load_b64 s[10:11], s[0:1], s3 offset:0x0
	s_load_b64 s[12:13], s[0:1], s3 offset:0x200
	s_load_b64 s[6:7], s[0:1], s3 offset:0x400
	s_waitcnt lgkmcnt(0)
	s_ashr_i32 s3, s2, 31
	s_delay_alu instid0(SALU_CYCLE_1) | instskip(SKIP_4) | instid1(SALU_CYCLE_1)
	s_lshl_b64 s[4:5], s[2:3], 17
	s_lshl_b64 s[2:3], s[2:3], 16
	s_and_b32 s8, s10, 7
	s_and_b32 s14, s12, 7
	s_and_b32 s16, s6, 3
	s_or_b64 s[8:9], s[8:9], s[16:17]
	s_delay_alu instid0(SALU_CYCLE_1)
	s_or_b64 s[8:9], s[14:15], s[8:9]
	s_sub_u32 s6, s6, s2
	s_subb_u32 s7, s7, s3
	s_cmp_eq_u64 s[8:9], 0
	s_mov_b32 s2, -1
	s_cbranch_scc0 .LBB159_21
; %bb.1:
	v_dual_mov_b32 v2, 0 :: v_dual_lshlrev_b32 v1, 2, v0
	s_mov_b32 s8, exec_lo
	s_delay_alu instid0(VALU_DEP_1)
	v_cmpx_gt_i64_e64 s[6:7], v[1:2]
	s_cbranch_execz .LBB159_20
; %bb.2:
	s_load_b32 s2, s[0:1], 0xc5c
	v_lshlrev_b32_e32 v1, 3, v0
	s_mov_b32 s9, 0
	s_mov_b32 s16, 0xbbbac73d
	s_delay_alu instid0(VALU_DEP_1) | instskip(NEXT) | instid1(VALU_DEP_1)
	v_add_co_u32 v5, s3, s4, v1
	v_add_co_ci_u32_e64 v6, null, s5, 0, s3
	s_waitcnt lgkmcnt(0)
	s_and_b32 s2, s2, 0xffff
	s_delay_alu instid0(SALU_CYCLE_1)
	v_add_lshl_u32 v1, v0, s2, 2
	s_lshl_b32 s14, s2, 3
	s_lshl_b32 s15, s2, 2
	s_branch .LBB159_4
.LBB159_3:                              ;   in Loop: Header=BB159_4 Depth=1
	s_or_b32 exec_lo, exec_lo, s2
	v_bfi_b32 v9, 0x7fffffff, v10, v9
	v_bfi_b32 v7, 0x7fffffff, v8, v7
	;; [unrolled: 1-line block ×3, first 2 shown]
	s_waitcnt_depctr 0xfff
	v_bfi_b32 v4, 0x7fffffff, v12, v4
	v_cmp_le_i64_e32 vcc_lo, s[6:7], v[1:2]
	v_bfe_u32 v8, v9, 16, 1
	v_bfe_u32 v11, v7, 16, 1
	v_cmp_o_f32_e64 s2, v9, v9
	v_bfe_u32 v12, v4, 16, 1
	v_bfe_u32 v10, v3, 16, 1
	v_add3_u32 v8, v9, v8, 0x7fff
	v_add3_u32 v11, v7, v11, 0x7fff
	s_delay_alu instid0(VALU_DEP_4) | instskip(NEXT) | instid1(VALU_DEP_4)
	v_add3_u32 v12, v4, v12, 0x7fff
	v_add3_u32 v10, v3, v10, 0x7fff
	s_delay_alu instid0(VALU_DEP_4) | instskip(NEXT) | instid1(VALU_DEP_4)
	v_and_b32_e32 v8, 0xffff0000, v8
	v_lshrrev_b32_e32 v11, 16, v11
	s_delay_alu instid0(VALU_DEP_4) | instskip(NEXT) | instid1(VALU_DEP_4)
	v_and_b32_e32 v12, 0xffff0000, v12
	v_lshrrev_b32_e32 v10, 16, v10
	s_delay_alu instid0(VALU_DEP_4) | instskip(SKIP_1) | instid1(VALU_DEP_1)
	v_cndmask_b32_e64 v8, 0x7fc00000, v8, s2
	v_cmp_o_f32_e64 s2, v7, v7
	v_cndmask_b32_e64 v7, 0x7fc0, v11, s2
	v_cmp_o_f32_e64 s2, v4, v4
	s_delay_alu instid0(VALU_DEP_2) | instskip(NEXT) | instid1(VALU_DEP_2)
	v_or_b32_e32 v7, v8, v7
	v_cndmask_b32_e64 v9, 0x7fc00000, v12, s2
	v_cmp_o_f32_e64 s2, v3, v3
	v_add_co_u32 v3, s3, s12, v5
	s_delay_alu instid0(VALU_DEP_1) | instskip(NEXT) | instid1(VALU_DEP_3)
	v_add_co_ci_u32_e64 v4, s3, s13, v6, s3
	v_cndmask_b32_e64 v10, 0x7fc0, v10, s2
	v_cmp_lt_u64_e64 s2, 0xffff, v[1:2]
	v_or3_b32 v7, v7, 0, 0
	s_delay_alu instid0(VALU_DEP_3) | instskip(NEXT) | instid1(VALU_DEP_3)
	v_or3_b32 v8, 0, v10, v9
	s_or_b32 s2, vcc_lo, s2
	v_add_co_u32 v5, vcc_lo, v5, s14
	v_add_co_ci_u32_e32 v6, vcc_lo, 0, v6, vcc_lo
	v_add_co_u32 v1, vcc_lo, v1, s15
	v_add_co_ci_u32_e32 v2, vcc_lo, 0, v2, vcc_lo
	s_and_b32 s2, exec_lo, s2
	global_store_b64 v[3:4], v[7:8], off
	s_or_b32 s9, s2, s9
	s_delay_alu instid0(SALU_CYCLE_1)
	s_and_not1_b32 exec_lo, exec_lo, s9
	s_cbranch_execz .LBB159_20
.LBB159_4:                              ; =>This Inner Loop Header: Depth=1
	v_add_co_u32 v3, vcc_lo, s10, v5
	v_add_co_ci_u32_e32 v4, vcc_lo, s11, v6, vcc_lo
                                        ; implicit-def: $vgpr8
	global_load_b64 v[3:4], v[3:4], off
	s_waitcnt vmcnt(0)
	v_lshlrev_b32_e32 v7, 16, v3
	s_delay_alu instid0(VALU_DEP_1) | instskip(NEXT) | instid1(VALU_DEP_1)
	v_cmp_ngt_f32_e64 s2, 0x3f200000, |v7|
	s_and_saveexec_b32 s3, s2
	s_delay_alu instid0(SALU_CYCLE_1)
	s_xor_b32 s2, exec_lo, s3
	s_cbranch_execz .LBB159_6
; %bb.5:                                ;   in Loop: Header=BB159_4 Depth=1
	v_add_f32_e64 v8, |v7|, |v7|
	s_delay_alu instid0(VALU_DEP_1) | instskip(SKIP_1) | instid1(VALU_DEP_2)
	v_mul_f32_e32 v9, 0x3fb8aa3b, v8
	v_cmp_ngt_f32_e32 vcc_lo, 0xc2ce8ed0, v8
	v_rndne_f32_e32 v10, v9
	v_fma_f32 v11, 0x3fb8aa3b, v8, -v9
	s_delay_alu instid0(VALU_DEP_2) | instskip(NEXT) | instid1(VALU_DEP_2)
	v_sub_f32_e32 v9, v9, v10
	v_fmac_f32_e32 v11, 0x32a5705f, v8
	v_cvt_i32_f32_e32 v10, v10
	s_delay_alu instid0(VALU_DEP_2) | instskip(NEXT) | instid1(VALU_DEP_1)
	v_add_f32_e32 v9, v9, v11
	v_exp_f32_e32 v9, v9
	s_waitcnt_depctr 0xfff
	v_ldexp_f32 v9, v9, v10
	s_delay_alu instid0(VALU_DEP_1) | instskip(SKIP_1) | instid1(VALU_DEP_2)
	v_cndmask_b32_e32 v9, 0, v9, vcc_lo
	v_cmp_nlt_f32_e32 vcc_lo, 0x42b17218, v8
	v_cndmask_b32_e32 v8, 0x7f800000, v9, vcc_lo
	s_delay_alu instid0(VALU_DEP_1) | instskip(NEXT) | instid1(VALU_DEP_1)
	v_add_f32_e32 v8, 1.0, v8
	v_rcp_f32_e32 v8, v8
	s_waitcnt_depctr 0xfff
	v_fma_f32 v8, v8, -2.0, 1.0
.LBB159_6:                              ;   in Loop: Header=BB159_4 Depth=1
	s_and_not1_saveexec_b32 s2, s2
; %bb.7:                                ;   in Loop: Header=BB159_4 Depth=1
	v_mul_f32_e32 v8, v7, v7
	s_delay_alu instid0(VALU_DEP_1) | instskip(NEXT) | instid1(VALU_DEP_1)
	v_fmaak_f32 v9, s16, v8, 0x3ca908c9
	v_fmaak_f32 v9, v8, v9, 0xbd5c1c4e
	s_delay_alu instid0(VALU_DEP_1) | instskip(NEXT) | instid1(VALU_DEP_1)
	v_fmaak_f32 v9, v8, v9, 0x3e088382
	v_fmaak_f32 v9, v8, v9, 0xbeaaaa99
	s_delay_alu instid0(VALU_DEP_1) | instskip(NEXT) | instid1(VALU_DEP_1)
	v_mul_f32_e64 v9, |v7|, v9
	v_fma_f32 v8, v8, v9, |v7|
; %bb.8:                                ;   in Loop: Header=BB159_4 Depth=1
	s_or_b32 exec_lo, exec_lo, s2
	v_and_b32_e32 v9, 0xffff0000, v3
                                        ; implicit-def: $vgpr10
	s_delay_alu instid0(VALU_DEP_1) | instskip(NEXT) | instid1(VALU_DEP_1)
	v_cmp_ngt_f32_e64 s2, 0x3f200000, |v9|
	s_and_saveexec_b32 s3, s2
	s_delay_alu instid0(SALU_CYCLE_1)
	s_xor_b32 s2, exec_lo, s3
	s_cbranch_execz .LBB159_10
; %bb.9:                                ;   in Loop: Header=BB159_4 Depth=1
	v_add_f32_e64 v10, |v9|, |v9|
	s_delay_alu instid0(VALU_DEP_1) | instskip(SKIP_1) | instid1(VALU_DEP_2)
	v_mul_f32_e32 v11, 0x3fb8aa3b, v10
	v_cmp_ngt_f32_e32 vcc_lo, 0xc2ce8ed0, v10
	v_rndne_f32_e32 v12, v11
	v_fma_f32 v13, 0x3fb8aa3b, v10, -v11
	s_delay_alu instid0(VALU_DEP_2) | instskip(NEXT) | instid1(VALU_DEP_2)
	v_sub_f32_e32 v11, v11, v12
	v_fmac_f32_e32 v13, 0x32a5705f, v10
	v_cvt_i32_f32_e32 v12, v12
	s_delay_alu instid0(VALU_DEP_2) | instskip(NEXT) | instid1(VALU_DEP_1)
	v_add_f32_e32 v11, v11, v13
	v_exp_f32_e32 v11, v11
	s_waitcnt_depctr 0xfff
	v_ldexp_f32 v11, v11, v12
	s_delay_alu instid0(VALU_DEP_1) | instskip(SKIP_1) | instid1(VALU_DEP_2)
	v_cndmask_b32_e32 v11, 0, v11, vcc_lo
	v_cmp_nlt_f32_e32 vcc_lo, 0x42b17218, v10
	v_cndmask_b32_e32 v10, 0x7f800000, v11, vcc_lo
	s_delay_alu instid0(VALU_DEP_1) | instskip(NEXT) | instid1(VALU_DEP_1)
	v_add_f32_e32 v10, 1.0, v10
	v_rcp_f32_e32 v10, v10
	s_waitcnt_depctr 0xfff
	v_fma_f32 v10, v10, -2.0, 1.0
.LBB159_10:                             ;   in Loop: Header=BB159_4 Depth=1
	s_and_not1_saveexec_b32 s2, s2
; %bb.11:                               ;   in Loop: Header=BB159_4 Depth=1
	v_mul_f32_e32 v10, v9, v9
	s_delay_alu instid0(VALU_DEP_1) | instskip(NEXT) | instid1(VALU_DEP_1)
	v_fmaak_f32 v11, s16, v10, 0x3ca908c9
	v_fmaak_f32 v11, v10, v11, 0xbd5c1c4e
	s_delay_alu instid0(VALU_DEP_1) | instskip(NEXT) | instid1(VALU_DEP_1)
	v_fmaak_f32 v11, v10, v11, 0x3e088382
	v_fmaak_f32 v11, v10, v11, 0xbeaaaa99
	s_delay_alu instid0(VALU_DEP_1) | instskip(NEXT) | instid1(VALU_DEP_1)
	v_mul_f32_e64 v11, |v9|, v11
	v_fma_f32 v10, v10, v11, |v9|
; %bb.12:                               ;   in Loop: Header=BB159_4 Depth=1
	s_or_b32 exec_lo, exec_lo, s2
	v_alignbit_b32 v3, v4, v3, 16
                                        ; implicit-def: $vgpr11
	s_delay_alu instid0(VALU_DEP_1) | instskip(NEXT) | instid1(VALU_DEP_1)
	v_and_b32_e32 v3, 0xffff0000, v3
	v_cmp_ngt_f32_e64 s2, 0x3f200000, |v3|
	s_delay_alu instid0(VALU_DEP_1) | instskip(NEXT) | instid1(SALU_CYCLE_1)
	s_and_saveexec_b32 s3, s2
	s_xor_b32 s2, exec_lo, s3
	s_cbranch_execz .LBB159_14
; %bb.13:                               ;   in Loop: Header=BB159_4 Depth=1
	v_add_f32_e64 v11, |v3|, |v3|
	s_delay_alu instid0(VALU_DEP_1) | instskip(SKIP_1) | instid1(VALU_DEP_2)
	v_mul_f32_e32 v12, 0x3fb8aa3b, v11
	v_cmp_ngt_f32_e32 vcc_lo, 0xc2ce8ed0, v11
	v_rndne_f32_e32 v13, v12
	v_fma_f32 v14, 0x3fb8aa3b, v11, -v12
	s_delay_alu instid0(VALU_DEP_2) | instskip(NEXT) | instid1(VALU_DEP_2)
	v_sub_f32_e32 v12, v12, v13
	v_fmac_f32_e32 v14, 0x32a5705f, v11
	v_cvt_i32_f32_e32 v13, v13
	s_delay_alu instid0(VALU_DEP_2) | instskip(NEXT) | instid1(VALU_DEP_1)
	v_add_f32_e32 v12, v12, v14
	v_exp_f32_e32 v12, v12
	s_waitcnt_depctr 0xfff
	v_ldexp_f32 v12, v12, v13
	s_delay_alu instid0(VALU_DEP_1) | instskip(SKIP_1) | instid1(VALU_DEP_2)
	v_cndmask_b32_e32 v12, 0, v12, vcc_lo
	v_cmp_nlt_f32_e32 vcc_lo, 0x42b17218, v11
	v_cndmask_b32_e32 v11, 0x7f800000, v12, vcc_lo
	s_delay_alu instid0(VALU_DEP_1) | instskip(NEXT) | instid1(VALU_DEP_1)
	v_add_f32_e32 v11, 1.0, v11
	v_rcp_f32_e32 v11, v11
	s_waitcnt_depctr 0xfff
	v_fma_f32 v11, v11, -2.0, 1.0
.LBB159_14:                             ;   in Loop: Header=BB159_4 Depth=1
	s_and_not1_saveexec_b32 s2, s2
; %bb.15:                               ;   in Loop: Header=BB159_4 Depth=1
	v_mul_f32_e32 v11, v3, v3
	s_delay_alu instid0(VALU_DEP_1) | instskip(NEXT) | instid1(VALU_DEP_1)
	v_fmaak_f32 v12, s16, v11, 0x3ca908c9
	v_fmaak_f32 v12, v11, v12, 0xbd5c1c4e
	s_delay_alu instid0(VALU_DEP_1) | instskip(NEXT) | instid1(VALU_DEP_1)
	v_fmaak_f32 v12, v11, v12, 0x3e088382
	v_fmaak_f32 v12, v11, v12, 0xbeaaaa99
	s_delay_alu instid0(VALU_DEP_1) | instskip(NEXT) | instid1(VALU_DEP_1)
	v_mul_f32_e64 v12, |v3|, v12
	v_fma_f32 v11, v11, v12, |v3|
; %bb.16:                               ;   in Loop: Header=BB159_4 Depth=1
	s_or_b32 exec_lo, exec_lo, s2
	v_and_b32_e32 v4, 0xffff0000, v4
                                        ; implicit-def: $vgpr12
	s_delay_alu instid0(VALU_DEP_1) | instskip(NEXT) | instid1(VALU_DEP_1)
	v_cmp_ngt_f32_e64 s2, 0x3f200000, |v4|
	s_and_saveexec_b32 s3, s2
	s_delay_alu instid0(SALU_CYCLE_1)
	s_xor_b32 s2, exec_lo, s3
	s_cbranch_execz .LBB159_18
; %bb.17:                               ;   in Loop: Header=BB159_4 Depth=1
	v_add_f32_e64 v12, |v4|, |v4|
	s_delay_alu instid0(VALU_DEP_1) | instskip(SKIP_1) | instid1(VALU_DEP_2)
	v_mul_f32_e32 v13, 0x3fb8aa3b, v12
	v_cmp_ngt_f32_e32 vcc_lo, 0xc2ce8ed0, v12
	v_rndne_f32_e32 v14, v13
	v_fma_f32 v15, 0x3fb8aa3b, v12, -v13
	s_delay_alu instid0(VALU_DEP_2) | instskip(NEXT) | instid1(VALU_DEP_2)
	v_sub_f32_e32 v13, v13, v14
	v_fmac_f32_e32 v15, 0x32a5705f, v12
	v_cvt_i32_f32_e32 v14, v14
	s_delay_alu instid0(VALU_DEP_2) | instskip(NEXT) | instid1(VALU_DEP_1)
	v_add_f32_e32 v13, v13, v15
	v_exp_f32_e32 v13, v13
	s_waitcnt_depctr 0xfff
	v_ldexp_f32 v13, v13, v14
	s_delay_alu instid0(VALU_DEP_1) | instskip(SKIP_1) | instid1(VALU_DEP_2)
	v_cndmask_b32_e32 v13, 0, v13, vcc_lo
	v_cmp_nlt_f32_e32 vcc_lo, 0x42b17218, v12
	v_cndmask_b32_e32 v12, 0x7f800000, v13, vcc_lo
	s_delay_alu instid0(VALU_DEP_1) | instskip(NEXT) | instid1(VALU_DEP_1)
	v_add_f32_e32 v12, 1.0, v12
	v_rcp_f32_e32 v12, v12
	s_waitcnt_depctr 0xfff
	v_fma_f32 v12, v12, -2.0, 1.0
.LBB159_18:                             ;   in Loop: Header=BB159_4 Depth=1
	s_and_not1_saveexec_b32 s2, s2
	s_cbranch_execz .LBB159_3
; %bb.19:                               ;   in Loop: Header=BB159_4 Depth=1
	v_mul_f32_e32 v12, v4, v4
	s_delay_alu instid0(VALU_DEP_1) | instskip(NEXT) | instid1(VALU_DEP_1)
	v_fmaak_f32 v13, s16, v12, 0x3ca908c9
	v_fmaak_f32 v13, v12, v13, 0xbd5c1c4e
	s_delay_alu instid0(VALU_DEP_1) | instskip(NEXT) | instid1(VALU_DEP_1)
	v_fmaak_f32 v13, v12, v13, 0x3e088382
	v_fmaak_f32 v13, v12, v13, 0xbeaaaa99
	s_delay_alu instid0(VALU_DEP_1) | instskip(NEXT) | instid1(VALU_DEP_1)
	v_mul_f32_e64 v13, |v4|, v13
	v_fma_f32 v12, v12, v13, |v4|
	s_branch .LBB159_3
.LBB159_20:
	s_or_b32 exec_lo, exec_lo, s8
	s_mov_b32 s2, 0
.LBB159_21:
	s_delay_alu instid0(SALU_CYCLE_1)
	s_and_not1_b32 vcc_lo, exec_lo, s2
	s_cbranch_vccnz .LBB159_57
; %bb.22:
	v_cmp_lt_i64_e64 s2, s[6:7], 1
	s_delay_alu instid0(VALU_DEP_1)
	s_and_b32 vcc_lo, exec_lo, s2
	s_cbranch_vccnz .LBB159_57
; %bb.23:
	s_load_b32 s0, s[0:1], 0xc5c
	v_dual_mov_b32 v10, 0 :: v_dual_lshlrev_b32 v9, 1, v0
	v_cmp_gt_u64_e64 s1, 0x10000, s[6:7]
	s_delay_alu instid0(VALU_DEP_2) | instskip(NEXT) | instid1(VALU_DEP_1)
	v_add_co_u32 v1, s2, s10, v9
	v_add_co_ci_u32_e64 v2, null, s11, 0, s2
	v_add_co_u32 v3, s2, s12, v9
	s_delay_alu instid0(VALU_DEP_1)
	v_add_co_ci_u32_e64 v4, null, s13, 0, s2
	s_waitcnt lgkmcnt(0)
	s_and_b32 s0, s0, 0xffff
	s_and_b32 s1, s1, exec_lo
	v_mad_u64_u32 v[7:8], null, s0, 6, v[9:10]
	s_cselect_b32 s9, s7, 0
	s_cselect_b32 s8, s6, 0x10000
	s_mul_i32 s2, s0, 3
	s_lshl_b32 s14, s0, 2
	s_lshl_b32 s1, s0, 1
	v_add_co_u32 v14, s3, s14, v9
	v_add_co_u32 v9, s2, s2, v0
	s_delay_alu instid0(VALU_DEP_1) | instskip(SKIP_3) | instid1(VALU_DEP_3)
	v_add_co_ci_u32_e64 v10, null, 0, 0, s2
	v_add_co_u32 v13, s2, v0, s0
	v_add_co_u32 v5, vcc_lo, s10, v7
	v_add_co_ci_u32_e32 v6, vcc_lo, s11, v8, vcc_lo
	v_lshlrev_b32_e32 v21, 1, v13
	v_add_co_u32 v7, vcc_lo, s12, v7
	v_add_co_ci_u32_e64 v15, null, 0, 0, s3
	v_add_co_ci_u32_e32 v8, vcc_lo, s13, v8, vcc_lo
	v_add_co_u32 v17, s1, s1, v0
	v_add_co_u32 v11, vcc_lo, s10, v14
	v_add_co_ci_u32_e64 v18, null, 0, 0, s1
	v_add_co_u32 v19, s1, s10, v21
	v_add_co_ci_u32_e32 v12, vcc_lo, s11, v15, vcc_lo
	v_add_co_u32 v14, vcc_lo, s12, v14
	v_add_co_ci_u32_e64 v20, null, s11, 0, s1
	v_add_co_u32 v21, s1, s12, v21
	v_add_co_ci_u32_e32 v15, vcc_lo, s13, v15, vcc_lo
	v_add_co_ci_u32_e64 v16, null, 0, 0, s2
	v_add_co_ci_u32_e64 v22, null, s13, 0, s1
	s_lshl_b32 s12, s0, 3
	s_mov_b64 s[10:11], 0
	s_mov_b32 s13, 0xbbbac73d
	s_branch .LBB159_25
.LBB159_24:                             ;   in Loop: Header=BB159_25 Depth=1
	s_or_b32 exec_lo, exec_lo, s0
	v_add_co_u32 v1, vcc_lo, v1, s12
	v_add_co_ci_u32_e32 v2, vcc_lo, 0, v2, vcc_lo
	v_add_co_u32 v3, vcc_lo, v3, s12
	v_add_co_ci_u32_e32 v4, vcc_lo, 0, v4, vcc_lo
	;; [unrolled: 2-line block ×5, first 2 shown]
	s_add_u32 s10, s10, s14
	v_add_co_u32 v14, vcc_lo, v14, s12
	s_addc_u32 s11, s11, 0
	v_add_co_ci_u32_e32 v15, vcc_lo, 0, v15, vcc_lo
	v_cmp_ge_i64_e64 s0, s[10:11], s[6:7]
	v_cmp_lt_u64_e64 s1, 0xffff, s[10:11]
	v_add_co_u32 v19, vcc_lo, v19, s12
	v_add_co_ci_u32_e32 v20, vcc_lo, 0, v20, vcc_lo
	v_add_co_u32 v21, vcc_lo, v21, s12
	v_add_co_ci_u32_e32 v22, vcc_lo, 0, v22, vcc_lo
	s_or_b32 s0, s0, s1
	s_delay_alu instid0(SALU_CYCLE_1)
	s_and_b32 vcc_lo, exec_lo, s0
	s_cbranch_vccnz .LBB159_57
.LBB159_25:                             ; =>This Inner Loop Header: Depth=1
	v_add_co_u32 v23, s0, v0, s10
	s_delay_alu instid0(VALU_DEP_1) | instskip(NEXT) | instid1(VALU_DEP_1)
	v_add_co_ci_u32_e64 v24, null, 0, s11, s0
	v_cmp_gt_u64_e32 vcc_lo, s[8:9], v[23:24]
	v_mov_b32_e32 v23, 0
	s_and_saveexec_b32 s1, vcc_lo
	s_cbranch_execz .LBB159_27
; %bb.26:                               ;   in Loop: Header=BB159_25 Depth=1
	v_add_co_u32 v23, s0, v1, s4
	s_delay_alu instid0(VALU_DEP_1)
	v_add_co_ci_u32_e64 v24, s0, s5, v2, s0
	global_load_u16 v23, v[23:24], off
.LBB159_27:                             ;   in Loop: Header=BB159_25 Depth=1
	s_or_b32 exec_lo, exec_lo, s1
	v_add_co_u32 v24, s0, v13, s10
	s_delay_alu instid0(VALU_DEP_1) | instskip(SKIP_1) | instid1(VALU_DEP_2)
	v_add_co_ci_u32_e64 v25, s0, s11, v16, s0
	v_mov_b32_e32 v26, 0
	v_cmp_gt_u64_e64 s0, s[8:9], v[24:25]
	s_delay_alu instid0(VALU_DEP_1)
	s_and_saveexec_b32 s2, s0
	s_cbranch_execz .LBB159_29
; %bb.28:                               ;   in Loop: Header=BB159_25 Depth=1
	v_add_co_u32 v24, s1, v19, s4
	s_delay_alu instid0(VALU_DEP_1)
	v_add_co_ci_u32_e64 v25, s1, s5, v20, s1
	global_load_u16 v26, v[24:25], off
.LBB159_29:                             ;   in Loop: Header=BB159_25 Depth=1
	s_or_b32 exec_lo, exec_lo, s2
	v_add_co_u32 v24, s1, v17, s10
	s_delay_alu instid0(VALU_DEP_1) | instskip(SKIP_1) | instid1(VALU_DEP_2)
	v_add_co_ci_u32_e64 v25, s1, s11, v18, s1
	v_mov_b32_e32 v28, 0
	v_cmp_gt_u64_e64 s1, s[8:9], v[24:25]
	v_mov_b32_e32 v24, 0
	s_delay_alu instid0(VALU_DEP_2)
	s_and_saveexec_b32 s3, s1
	s_cbranch_execz .LBB159_31
; %bb.30:                               ;   in Loop: Header=BB159_25 Depth=1
	v_add_co_u32 v27, s2, v11, s4
	s_delay_alu instid0(VALU_DEP_1)
	v_add_co_ci_u32_e64 v28, s2, s5, v12, s2
	global_load_u16 v28, v[27:28], off
.LBB159_31:                             ;   in Loop: Header=BB159_25 Depth=1
	s_or_b32 exec_lo, exec_lo, s3
	v_add_co_u32 v29, s2, v9, s10
	s_delay_alu instid0(VALU_DEP_1) | instskip(NEXT) | instid1(VALU_DEP_1)
	v_add_co_ci_u32_e64 v30, s2, s11, v10, s2
	v_cmp_gt_u64_e64 s2, s[8:9], v[29:30]
	s_delay_alu instid0(VALU_DEP_1)
	s_and_saveexec_b32 s15, s2
	s_cbranch_execz .LBB159_33
; %bb.32:                               ;   in Loop: Header=BB159_25 Depth=1
	v_add_co_u32 v24, s3, v5, s4
	s_delay_alu instid0(VALU_DEP_1)
	v_add_co_ci_u32_e64 v25, s3, s5, v6, s3
	global_load_u16 v24, v[24:25], off
.LBB159_33:                             ;   in Loop: Header=BB159_25 Depth=1
	s_or_b32 exec_lo, exec_lo, s15
	s_waitcnt vmcnt(0)
	v_lshlrev_b32_e32 v23, 16, v23
	s_mov_b32 s15, exec_lo
                                        ; implicit-def: $vgpr25
	s_delay_alu instid0(VALU_DEP_1)
	v_cmpx_ngt_f32_e64 0x3f200000, |v23|
	s_xor_b32 s15, exec_lo, s15
	s_cbranch_execz .LBB159_35
; %bb.34:                               ;   in Loop: Header=BB159_25 Depth=1
	v_add_f32_e64 v25, |v23|, |v23|
	s_delay_alu instid0(VALU_DEP_1) | instskip(SKIP_1) | instid1(VALU_DEP_2)
	v_mul_f32_e32 v27, 0x3fb8aa3b, v25
	v_cmp_ngt_f32_e64 s3, 0xc2ce8ed0, v25
	v_rndne_f32_e32 v29, v27
	v_fma_f32 v30, 0x3fb8aa3b, v25, -v27
	s_delay_alu instid0(VALU_DEP_2) | instskip(NEXT) | instid1(VALU_DEP_2)
	v_sub_f32_e32 v27, v27, v29
	v_fmac_f32_e32 v30, 0x32a5705f, v25
	v_cvt_i32_f32_e32 v29, v29
	s_delay_alu instid0(VALU_DEP_2) | instskip(NEXT) | instid1(VALU_DEP_1)
	v_add_f32_e32 v27, v27, v30
	v_exp_f32_e32 v27, v27
	s_waitcnt_depctr 0xfff
	v_ldexp_f32 v27, v27, v29
	s_delay_alu instid0(VALU_DEP_1) | instskip(SKIP_1) | instid1(VALU_DEP_1)
	v_cndmask_b32_e64 v27, 0, v27, s3
	v_cmp_nlt_f32_e64 s3, 0x42b17218, v25
	v_cndmask_b32_e64 v25, 0x7f800000, v27, s3
	s_delay_alu instid0(VALU_DEP_1) | instskip(NEXT) | instid1(VALU_DEP_1)
	v_add_f32_e32 v25, 1.0, v25
	v_rcp_f32_e32 v25, v25
	s_waitcnt_depctr 0xfff
	v_fma_f32 v25, v25, -2.0, 1.0
.LBB159_35:                             ;   in Loop: Header=BB159_25 Depth=1
	s_and_not1_saveexec_b32 s3, s15
; %bb.36:                               ;   in Loop: Header=BB159_25 Depth=1
	v_mul_f32_e32 v25, v23, v23
	s_delay_alu instid0(VALU_DEP_1) | instskip(NEXT) | instid1(VALU_DEP_1)
	v_fmaak_f32 v27, s13, v25, 0x3ca908c9
	v_fmaak_f32 v27, v25, v27, 0xbd5c1c4e
	s_delay_alu instid0(VALU_DEP_1) | instskip(NEXT) | instid1(VALU_DEP_1)
	v_fmaak_f32 v27, v25, v27, 0x3e088382
	v_fmaak_f32 v27, v25, v27, 0xbeaaaa99
	s_delay_alu instid0(VALU_DEP_1) | instskip(NEXT) | instid1(VALU_DEP_1)
	v_mul_f32_e64 v27, |v23|, v27
	v_fma_f32 v25, v25, v27, |v23|
; %bb.37:                               ;   in Loop: Header=BB159_25 Depth=1
	s_or_b32 exec_lo, exec_lo, s3
	v_lshlrev_b32_e32 v26, 16, v26
	s_mov_b32 s15, exec_lo
                                        ; implicit-def: $vgpr27
	s_delay_alu instid0(VALU_DEP_1)
	v_cmpx_ngt_f32_e64 0x3f200000, |v26|
	s_xor_b32 s15, exec_lo, s15
	s_cbranch_execz .LBB159_39
; %bb.38:                               ;   in Loop: Header=BB159_25 Depth=1
	v_add_f32_e64 v27, |v26|, |v26|
	s_delay_alu instid0(VALU_DEP_1) | instskip(SKIP_1) | instid1(VALU_DEP_2)
	v_mul_f32_e32 v29, 0x3fb8aa3b, v27
	v_cmp_ngt_f32_e64 s3, 0xc2ce8ed0, v27
	v_rndne_f32_e32 v30, v29
	v_fma_f32 v31, 0x3fb8aa3b, v27, -v29
	s_delay_alu instid0(VALU_DEP_2) | instskip(NEXT) | instid1(VALU_DEP_2)
	v_sub_f32_e32 v29, v29, v30
	v_fmac_f32_e32 v31, 0x32a5705f, v27
	v_cvt_i32_f32_e32 v30, v30
	s_delay_alu instid0(VALU_DEP_2) | instskip(NEXT) | instid1(VALU_DEP_1)
	v_add_f32_e32 v29, v29, v31
	v_exp_f32_e32 v29, v29
	s_waitcnt_depctr 0xfff
	v_ldexp_f32 v29, v29, v30
	s_delay_alu instid0(VALU_DEP_1) | instskip(SKIP_1) | instid1(VALU_DEP_1)
	v_cndmask_b32_e64 v29, 0, v29, s3
	v_cmp_nlt_f32_e64 s3, 0x42b17218, v27
	v_cndmask_b32_e64 v27, 0x7f800000, v29, s3
	s_delay_alu instid0(VALU_DEP_1) | instskip(NEXT) | instid1(VALU_DEP_1)
	v_add_f32_e32 v27, 1.0, v27
	v_rcp_f32_e32 v27, v27
	s_waitcnt_depctr 0xfff
	v_fma_f32 v27, v27, -2.0, 1.0
.LBB159_39:                             ;   in Loop: Header=BB159_25 Depth=1
	s_and_not1_saveexec_b32 s3, s15
; %bb.40:                               ;   in Loop: Header=BB159_25 Depth=1
	v_mul_f32_e32 v27, v26, v26
	s_delay_alu instid0(VALU_DEP_1) | instskip(NEXT) | instid1(VALU_DEP_1)
	v_fmaak_f32 v29, s13, v27, 0x3ca908c9
	v_fmaak_f32 v29, v27, v29, 0xbd5c1c4e
	s_delay_alu instid0(VALU_DEP_1) | instskip(NEXT) | instid1(VALU_DEP_1)
	v_fmaak_f32 v29, v27, v29, 0x3e088382
	v_fmaak_f32 v29, v27, v29, 0xbeaaaa99
	s_delay_alu instid0(VALU_DEP_1) | instskip(NEXT) | instid1(VALU_DEP_1)
	v_mul_f32_e64 v29, |v26|, v29
	v_fma_f32 v27, v27, v29, |v26|
; %bb.41:                               ;   in Loop: Header=BB159_25 Depth=1
	s_or_b32 exec_lo, exec_lo, s3
	v_lshlrev_b32_e32 v28, 16, v28
	s_mov_b32 s15, exec_lo
                                        ; implicit-def: $vgpr29
	s_delay_alu instid0(VALU_DEP_1)
	v_cmpx_ngt_f32_e64 0x3f200000, |v28|
	s_xor_b32 s15, exec_lo, s15
	s_cbranch_execz .LBB159_43
; %bb.42:                               ;   in Loop: Header=BB159_25 Depth=1
	v_add_f32_e64 v29, |v28|, |v28|
	s_delay_alu instid0(VALU_DEP_1) | instskip(SKIP_1) | instid1(VALU_DEP_2)
	v_mul_f32_e32 v30, 0x3fb8aa3b, v29
	v_cmp_ngt_f32_e64 s3, 0xc2ce8ed0, v29
	v_rndne_f32_e32 v31, v30
	v_fma_f32 v32, 0x3fb8aa3b, v29, -v30
	s_delay_alu instid0(VALU_DEP_2) | instskip(NEXT) | instid1(VALU_DEP_2)
	v_sub_f32_e32 v30, v30, v31
	v_fmac_f32_e32 v32, 0x32a5705f, v29
	v_cvt_i32_f32_e32 v31, v31
	s_delay_alu instid0(VALU_DEP_2) | instskip(NEXT) | instid1(VALU_DEP_1)
	v_add_f32_e32 v30, v30, v32
	v_exp_f32_e32 v30, v30
	s_waitcnt_depctr 0xfff
	v_ldexp_f32 v30, v30, v31
	s_delay_alu instid0(VALU_DEP_1) | instskip(SKIP_1) | instid1(VALU_DEP_1)
	v_cndmask_b32_e64 v30, 0, v30, s3
	v_cmp_nlt_f32_e64 s3, 0x42b17218, v29
	v_cndmask_b32_e64 v29, 0x7f800000, v30, s3
	s_delay_alu instid0(VALU_DEP_1) | instskip(NEXT) | instid1(VALU_DEP_1)
	v_add_f32_e32 v29, 1.0, v29
	v_rcp_f32_e32 v29, v29
	s_waitcnt_depctr 0xfff
	v_fma_f32 v29, v29, -2.0, 1.0
.LBB159_43:                             ;   in Loop: Header=BB159_25 Depth=1
	s_and_not1_saveexec_b32 s3, s15
; %bb.44:                               ;   in Loop: Header=BB159_25 Depth=1
	v_mul_f32_e32 v29, v28, v28
	s_delay_alu instid0(VALU_DEP_1) | instskip(NEXT) | instid1(VALU_DEP_1)
	v_fmaak_f32 v30, s13, v29, 0x3ca908c9
	v_fmaak_f32 v30, v29, v30, 0xbd5c1c4e
	s_delay_alu instid0(VALU_DEP_1) | instskip(NEXT) | instid1(VALU_DEP_1)
	v_fmaak_f32 v30, v29, v30, 0x3e088382
	v_fmaak_f32 v30, v29, v30, 0xbeaaaa99
	s_delay_alu instid0(VALU_DEP_1) | instskip(NEXT) | instid1(VALU_DEP_1)
	v_mul_f32_e64 v30, |v28|, v30
	v_fma_f32 v29, v29, v30, |v28|
; %bb.45:                               ;   in Loop: Header=BB159_25 Depth=1
	s_or_b32 exec_lo, exec_lo, s3
	v_lshlrev_b32_e32 v24, 16, v24
	s_mov_b32 s15, exec_lo
                                        ; implicit-def: $vgpr30
	s_delay_alu instid0(VALU_DEP_1)
	v_cmpx_ngt_f32_e64 0x3f200000, |v24|
	s_xor_b32 s15, exec_lo, s15
	s_cbranch_execnz .LBB159_51
; %bb.46:                               ;   in Loop: Header=BB159_25 Depth=1
	s_and_not1_saveexec_b32 s3, s15
	s_cbranch_execnz .LBB159_52
.LBB159_47:                             ;   in Loop: Header=BB159_25 Depth=1
	s_or_b32 exec_lo, exec_lo, s3
	s_and_saveexec_b32 s3, vcc_lo
	s_delay_alu instid0(SALU_CYCLE_1)
	s_xor_b32 s3, exec_lo, s3
	s_cbranch_execnz .LBB159_53
.LBB159_48:                             ;   in Loop: Header=BB159_25 Depth=1
	s_or_b32 exec_lo, exec_lo, s3
	s_and_saveexec_b32 s3, s0
	s_cbranch_execnz .LBB159_54
.LBB159_49:                             ;   in Loop: Header=BB159_25 Depth=1
	s_or_b32 exec_lo, exec_lo, s3
	s_and_saveexec_b32 s0, s1
	s_cbranch_execnz .LBB159_55
.LBB159_50:                             ;   in Loop: Header=BB159_25 Depth=1
	s_or_b32 exec_lo, exec_lo, s0
	s_and_saveexec_b32 s0, s2
	s_cbranch_execz .LBB159_24
	s_branch .LBB159_56
.LBB159_51:                             ;   in Loop: Header=BB159_25 Depth=1
	v_add_f32_e64 v30, |v24|, |v24|
	s_delay_alu instid0(VALU_DEP_1) | instskip(SKIP_1) | instid1(VALU_DEP_2)
	v_mul_f32_e32 v31, 0x3fb8aa3b, v30
	v_cmp_ngt_f32_e64 s3, 0xc2ce8ed0, v30
	v_rndne_f32_e32 v32, v31
	v_fma_f32 v33, 0x3fb8aa3b, v30, -v31
	s_delay_alu instid0(VALU_DEP_2) | instskip(NEXT) | instid1(VALU_DEP_2)
	v_sub_f32_e32 v31, v31, v32
	v_fmac_f32_e32 v33, 0x32a5705f, v30
	v_cvt_i32_f32_e32 v32, v32
	s_delay_alu instid0(VALU_DEP_2) | instskip(NEXT) | instid1(VALU_DEP_1)
	v_add_f32_e32 v31, v31, v33
	v_exp_f32_e32 v31, v31
	s_waitcnt_depctr 0xfff
	v_ldexp_f32 v31, v31, v32
	s_delay_alu instid0(VALU_DEP_1) | instskip(SKIP_1) | instid1(VALU_DEP_1)
	v_cndmask_b32_e64 v31, 0, v31, s3
	v_cmp_nlt_f32_e64 s3, 0x42b17218, v30
	v_cndmask_b32_e64 v30, 0x7f800000, v31, s3
	s_delay_alu instid0(VALU_DEP_1) | instskip(NEXT) | instid1(VALU_DEP_1)
	v_add_f32_e32 v30, 1.0, v30
	v_rcp_f32_e32 v30, v30
	s_waitcnt_depctr 0xfff
	v_fma_f32 v30, v30, -2.0, 1.0
	s_and_not1_saveexec_b32 s3, s15
	s_cbranch_execz .LBB159_47
.LBB159_52:                             ;   in Loop: Header=BB159_25 Depth=1
	v_mul_f32_e32 v30, v24, v24
	s_delay_alu instid0(VALU_DEP_1) | instskip(NEXT) | instid1(VALU_DEP_1)
	v_fmaak_f32 v31, s13, v30, 0x3ca908c9
	v_fmaak_f32 v31, v30, v31, 0xbd5c1c4e
	s_delay_alu instid0(VALU_DEP_1) | instskip(NEXT) | instid1(VALU_DEP_1)
	v_fmaak_f32 v31, v30, v31, 0x3e088382
	v_fmaak_f32 v31, v30, v31, 0xbeaaaa99
	s_delay_alu instid0(VALU_DEP_1) | instskip(NEXT) | instid1(VALU_DEP_1)
	v_mul_f32_e64 v31, |v24|, v31
	v_fma_f32 v30, v30, v31, |v24|
	s_or_b32 exec_lo, exec_lo, s3
	s_and_saveexec_b32 s3, vcc_lo
	s_delay_alu instid0(SALU_CYCLE_1)
	s_xor_b32 s3, exec_lo, s3
	s_cbranch_execz .LBB159_48
.LBB159_53:                             ;   in Loop: Header=BB159_25 Depth=1
	v_bfi_b32 v23, 0x7fffffff, v25, v23
	s_delay_alu instid0(VALU_DEP_1) | instskip(SKIP_1) | instid1(VALU_DEP_2)
	v_bfe_u32 v25, v23, 16, 1
	v_cmp_o_f32_e32 vcc_lo, v23, v23
	v_add3_u32 v25, v23, v25, 0x7fff
	s_delay_alu instid0(VALU_DEP_1) | instskip(NEXT) | instid1(VALU_DEP_1)
	v_lshrrev_b32_e32 v25, 16, v25
	v_cndmask_b32_e32 v23, 0x7fc0, v25, vcc_lo
	v_add_co_u32 v31, vcc_lo, v3, s4
	v_add_co_ci_u32_e32 v32, vcc_lo, s5, v4, vcc_lo
	global_store_b16 v[31:32], v23, off
	s_or_b32 exec_lo, exec_lo, s3
	s_and_saveexec_b32 s3, s0
	s_cbranch_execz .LBB159_49
.LBB159_54:                             ;   in Loop: Header=BB159_25 Depth=1
	v_bfi_b32 v23, 0x7fffffff, v27, v26
	s_delay_alu instid0(VALU_DEP_1) | instskip(SKIP_1) | instid1(VALU_DEP_2)
	v_bfe_u32 v25, v23, 16, 1
	v_cmp_o_f32_e32 vcc_lo, v23, v23
	v_add3_u32 v25, v23, v25, 0x7fff
	s_delay_alu instid0(VALU_DEP_1) | instskip(NEXT) | instid1(VALU_DEP_1)
	v_lshrrev_b32_e32 v25, 16, v25
	v_cndmask_b32_e32 v23, 0x7fc0, v25, vcc_lo
	v_add_co_u32 v25, vcc_lo, v21, s4
	v_add_co_ci_u32_e32 v26, vcc_lo, s5, v22, vcc_lo
	global_store_b16 v[25:26], v23, off
	s_or_b32 exec_lo, exec_lo, s3
	s_and_saveexec_b32 s0, s1
	s_cbranch_execz .LBB159_50
.LBB159_55:                             ;   in Loop: Header=BB159_25 Depth=1
	v_bfi_b32 v23, 0x7fffffff, v29, v28
	s_delay_alu instid0(VALU_DEP_1) | instskip(SKIP_1) | instid1(VALU_DEP_2)
	v_bfe_u32 v25, v23, 16, 1
	v_cmp_o_f32_e32 vcc_lo, v23, v23
	v_add3_u32 v25, v23, v25, 0x7fff
	s_delay_alu instid0(VALU_DEP_1) | instskip(NEXT) | instid1(VALU_DEP_1)
	v_lshrrev_b32_e32 v25, 16, v25
	v_cndmask_b32_e32 v23, 0x7fc0, v25, vcc_lo
	v_add_co_u32 v25, vcc_lo, v14, s4
	v_add_co_ci_u32_e32 v26, vcc_lo, s5, v15, vcc_lo
	global_store_b16 v[25:26], v23, off
	s_or_b32 exec_lo, exec_lo, s0
	s_and_saveexec_b32 s0, s2
	s_cbranch_execz .LBB159_24
.LBB159_56:                             ;   in Loop: Header=BB159_25 Depth=1
	v_bfi_b32 v23, 0x7fffffff, v30, v24
	s_delay_alu instid0(VALU_DEP_1) | instskip(SKIP_1) | instid1(VALU_DEP_2)
	v_bfe_u32 v24, v23, 16, 1
	v_cmp_o_f32_e32 vcc_lo, v23, v23
	v_add3_u32 v24, v23, v24, 0x7fff
	s_delay_alu instid0(VALU_DEP_1) | instskip(NEXT) | instid1(VALU_DEP_1)
	v_lshrrev_b32_e32 v24, 16, v24
	v_cndmask_b32_e32 v25, 0x7fc0, v24, vcc_lo
	v_add_co_u32 v23, vcc_lo, v7, s4
	v_add_co_ci_u32_e32 v24, vcc_lo, s5, v8, vcc_lo
	global_store_b16 v[23:24], v25, off
	s_branch .LBB159_24
.LBB159_57:
	s_nop 0
	s_sendmsg sendmsg(MSG_DEALLOC_VGPRS)
	s_endpgm
	.section	.rodata,"a",@progbits
	.p2align	6, 0x0
	.amdhsa_kernel _ZN2at6native12_GLOBAL__N_125multi_tensor_apply_kernelINS1_18TensorListMetadataILi2EEENS1_14UnaryOpFunctorIN3c108BFloat16ELi2ELi1ELi1EEEJNS0_4TanhIfEEEEEvT_T0_DpT1_
		.amdhsa_group_segment_fixed_size 0
		.amdhsa_private_segment_fixed_size 0
		.amdhsa_kernarg_size 3408
		.amdhsa_user_sgpr_count 15
		.amdhsa_user_sgpr_dispatch_ptr 0
		.amdhsa_user_sgpr_queue_ptr 0
		.amdhsa_user_sgpr_kernarg_segment_ptr 1
		.amdhsa_user_sgpr_dispatch_id 0
		.amdhsa_user_sgpr_private_segment_size 0
		.amdhsa_wavefront_size32 1
		.amdhsa_uses_dynamic_stack 0
		.amdhsa_enable_private_segment 0
		.amdhsa_system_sgpr_workgroup_id_x 1
		.amdhsa_system_sgpr_workgroup_id_y 0
		.amdhsa_system_sgpr_workgroup_id_z 0
		.amdhsa_system_sgpr_workgroup_info 0
		.amdhsa_system_vgpr_workitem_id 0
		.amdhsa_next_free_vgpr 34
		.amdhsa_next_free_sgpr 18
		.amdhsa_reserve_vcc 1
		.amdhsa_float_round_mode_32 0
		.amdhsa_float_round_mode_16_64 0
		.amdhsa_float_denorm_mode_32 3
		.amdhsa_float_denorm_mode_16_64 3
		.amdhsa_dx10_clamp 1
		.amdhsa_ieee_mode 1
		.amdhsa_fp16_overflow 0
		.amdhsa_workgroup_processor_mode 1
		.amdhsa_memory_ordered 1
		.amdhsa_forward_progress 0
		.amdhsa_shared_vgpr_count 0
		.amdhsa_exception_fp_ieee_invalid_op 0
		.amdhsa_exception_fp_denorm_src 0
		.amdhsa_exception_fp_ieee_div_zero 0
		.amdhsa_exception_fp_ieee_overflow 0
		.amdhsa_exception_fp_ieee_underflow 0
		.amdhsa_exception_fp_ieee_inexact 0
		.amdhsa_exception_int_div_zero 0
	.end_amdhsa_kernel
	.section	.text._ZN2at6native12_GLOBAL__N_125multi_tensor_apply_kernelINS1_18TensorListMetadataILi2EEENS1_14UnaryOpFunctorIN3c108BFloat16ELi2ELi1ELi1EEEJNS0_4TanhIfEEEEEvT_T0_DpT1_,"axG",@progbits,_ZN2at6native12_GLOBAL__N_125multi_tensor_apply_kernelINS1_18TensorListMetadataILi2EEENS1_14UnaryOpFunctorIN3c108BFloat16ELi2ELi1ELi1EEEJNS0_4TanhIfEEEEEvT_T0_DpT1_,comdat
.Lfunc_end159:
	.size	_ZN2at6native12_GLOBAL__N_125multi_tensor_apply_kernelINS1_18TensorListMetadataILi2EEENS1_14UnaryOpFunctorIN3c108BFloat16ELi2ELi1ELi1EEEJNS0_4TanhIfEEEEEvT_T0_DpT1_, .Lfunc_end159-_ZN2at6native12_GLOBAL__N_125multi_tensor_apply_kernelINS1_18TensorListMetadataILi2EEENS1_14UnaryOpFunctorIN3c108BFloat16ELi2ELi1ELi1EEEJNS0_4TanhIfEEEEEvT_T0_DpT1_
                                        ; -- End function
	.section	.AMDGPU.csdata,"",@progbits
; Kernel info:
; codeLenInByte = 3912
; NumSgprs: 20
; NumVgprs: 34
; ScratchSize: 0
; MemoryBound: 0
; FloatMode: 240
; IeeeMode: 1
; LDSByteSize: 0 bytes/workgroup (compile time only)
; SGPRBlocks: 2
; VGPRBlocks: 4
; NumSGPRsForWavesPerEU: 20
; NumVGPRsForWavesPerEU: 34
; Occupancy: 16
; WaveLimiterHint : 0
; COMPUTE_PGM_RSRC2:SCRATCH_EN: 0
; COMPUTE_PGM_RSRC2:USER_SGPR: 15
; COMPUTE_PGM_RSRC2:TRAP_HANDLER: 0
; COMPUTE_PGM_RSRC2:TGID_X_EN: 1
; COMPUTE_PGM_RSRC2:TGID_Y_EN: 0
; COMPUTE_PGM_RSRC2:TGID_Z_EN: 0
; COMPUTE_PGM_RSRC2:TIDIG_COMP_CNT: 0
	.section	.text._ZN2at6native12_GLOBAL__N_125multi_tensor_apply_kernelINS1_18TensorListMetadataILi1EEENS1_14UnaryOpFunctorIdLi1ELi1ELi0EEEJNS0_4TanhIdEEEEEvT_T0_DpT1_,"axG",@progbits,_ZN2at6native12_GLOBAL__N_125multi_tensor_apply_kernelINS1_18TensorListMetadataILi1EEENS1_14UnaryOpFunctorIdLi1ELi1ELi0EEEJNS0_4TanhIdEEEEEvT_T0_DpT1_,comdat
	.globl	_ZN2at6native12_GLOBAL__N_125multi_tensor_apply_kernelINS1_18TensorListMetadataILi1EEENS1_14UnaryOpFunctorIdLi1ELi1ELi0EEEJNS0_4TanhIdEEEEEvT_T0_DpT1_ ; -- Begin function _ZN2at6native12_GLOBAL__N_125multi_tensor_apply_kernelINS1_18TensorListMetadataILi1EEENS1_14UnaryOpFunctorIdLi1ELi1ELi0EEEJNS0_4TanhIdEEEEEvT_T0_DpT1_
	.p2align	8
	.type	_ZN2at6native12_GLOBAL__N_125multi_tensor_apply_kernelINS1_18TensorListMetadataILi1EEENS1_14UnaryOpFunctorIdLi1ELi1ELi0EEEJNS0_4TanhIdEEEEEvT_T0_DpT1_,@function
_ZN2at6native12_GLOBAL__N_125multi_tensor_apply_kernelINS1_18TensorListMetadataILi1EEENS1_14UnaryOpFunctorIdLi1ELi1ELi0EEEJNS0_4TanhIdEEEEEvT_T0_DpT1_: ; @_ZN2at6native12_GLOBAL__N_125multi_tensor_apply_kernelINS1_18TensorListMetadataILi1EEENS1_14UnaryOpFunctorIdLi1ELi1ELi0EEEJNS0_4TanhIdEEEEEvT_T0_DpT1_
; %bb.0:
	v_mov_b32_e32 v1, s15
	s_add_u32 s2, s0, s15
	s_mul_hi_u32 s3, s15, 3
	s_mul_i32 s15, s15, 3
	s_addc_u32 s4, s1, 0
	global_load_u8 v1, v1, s[0:1] offset:1760
	s_add_u32 s2, s2, s15
	s_addc_u32 s3, s4, s3
	s_mov_b32 s13, 0
	s_load_b32 s2, s[2:3], 0x820
	s_waitcnt vmcnt(0)
	v_readfirstlane_b32 s5, v1
	s_delay_alu instid0(VALU_DEP_1)
	s_lshl_b32 s3, s5, 3
	s_clause 0x1
	s_load_b64 s[8:9], s[0:1], s3 offset:0x0
	s_load_b64 s[4:5], s[0:1], s3 offset:0x370
	s_waitcnt lgkmcnt(0)
	s_ashr_i32 s3, s2, 31
	s_delay_alu instid0(SALU_CYCLE_1)
	s_lshl_b64 s[10:11], s[2:3], 19
	s_lshl_b64 s[2:3], s[2:3], 16
	s_and_b32 s12, s8, 31
	s_sub_u32 s6, s4, s2
	s_subb_u32 s7, s5, s3
	s_and_b32 s2, s4, 3
	s_mov_b32 s3, s13
	s_delay_alu instid0(SALU_CYCLE_1) | instskip(NEXT) | instid1(SALU_CYCLE_1)
	s_or_b64 s[2:3], s[12:13], s[2:3]
	s_cmp_eq_u64 s[2:3], 0
	s_cbranch_scc1 .LBB160_21
; %bb.1:
	v_cmp_lt_i64_e64 s2, s[6:7], 1
	s_delay_alu instid0(VALU_DEP_1)
	s_and_b32 vcc_lo, exec_lo, s2
	s_cbranch_vccnz .LBB160_20
; %bb.2:
	s_load_b32 s2, s[0:1], 0xd3c
	v_cmp_gt_u64_e64 s3, 0x10000, s[6:7]
	v_lshlrev_b32_e32 v1, 3, v0
	s_mov_b32 s14, 0x652b82fe
	s_mov_b32 s16, 0xfefa3000
	;; [unrolled: 1-line block ×17, first 2 shown]
	s_waitcnt lgkmcnt(0)
	s_and_b32 s2, s2, 0xffff
	s_and_b32 s3, s3, exec_lo
	v_add_co_u32 v13, s5, v0, s2
	s_cselect_b32 s13, s7, 0
	s_cselect_b32 s12, s6, 0x10000
	s_lshl_b32 s3, s2, 1
	s_lshl_b32 s33, s2, 2
	v_lshlrev_b32_e32 v3, 3, v13
	s_add_u32 s44, s8, s10
	v_add_co_u32 v16, s3, s3, v0
	s_mul_i32 s4, s2, 3
	s_addc_u32 s45, s9, s11
	v_add_co_ci_u32_e64 v17, null, 0, 0, s3
	v_add_co_u32 v1, s3, s44, v1
	v_add_co_u32 v14, s4, s4, v0
	v_add_co_ci_u32_e64 v2, null, s45, 0, s3
	v_add_co_u32 v3, s3, s44, v3
	v_add_co_ci_u32_e64 v15, null, 0, 0, s4
	v_add_co_ci_u32_e64 v18, null, 0, 0, s5
	;; [unrolled: 1-line block ×3, first 2 shown]
	s_lshl_b32 s46, s2, 5
	s_mov_b32 s21, 0xbac9cc01
	s_mov_b32 s23, 0x3e928af3
	;; [unrolled: 1-line block ×11, first 2 shown]
	s_mul_i32 s47, s2, 24
	s_lshl_b32 s48, s2, 4
	s_mov_b64 s[44:45], 0
	s_branch .LBB160_4
.LBB160_3:                              ;   in Loop: Header=BB160_4 Depth=1
	s_or_b32 exec_lo, exec_lo, s2
	s_add_u32 s44, s44, s33
	s_addc_u32 s45, s45, 0
	v_add_co_u32 v1, vcc_lo, v1, s46
	v_cmp_lt_i64_e64 s2, s[44:45], s[6:7]
	v_cmp_gt_u64_e64 s3, 0x10000, s[44:45]
	v_add_co_ci_u32_e32 v2, vcc_lo, 0, v2, vcc_lo
	v_add_co_u32 v3, vcc_lo, v3, s46
	v_add_co_ci_u32_e32 v4, vcc_lo, 0, v4, vcc_lo
	s_delay_alu instid0(VALU_DEP_4) | instskip(NEXT) | instid1(SALU_CYCLE_1)
	s_and_b32 s2, s2, s3
	s_and_b32 vcc_lo, exec_lo, s2
	s_cbranch_vccz .LBB160_20
.LBB160_4:                              ; =>This Inner Loop Header: Depth=1
	s_waitcnt vmcnt(0)
	v_add_co_u32 v5, s2, v0, s44
	s_delay_alu instid0(VALU_DEP_1) | instskip(SKIP_2) | instid1(VALU_DEP_3)
	v_add_co_ci_u32_e64 v6, null, 0, s45, s2
	v_mov_b32_e32 v9, 0
	v_mov_b32_e32 v10, 0
	v_cmp_gt_u64_e64 s4, s[12:13], v[5:6]
	s_delay_alu instid0(VALU_DEP_2) | instskip(NEXT) | instid1(VALU_DEP_2)
	v_dual_mov_b32 v12, v10 :: v_dual_mov_b32 v11, v9
	s_and_saveexec_b32 s2, s4
	s_cbranch_execz .LBB160_6
; %bb.5:                                ;   in Loop: Header=BB160_4 Depth=1
	global_load_b64 v[11:12], v[1:2], off
.LBB160_6:                              ;   in Loop: Header=BB160_4 Depth=1
	s_or_b32 exec_lo, exec_lo, s2
	v_add_co_u32 v5, vcc_lo, v13, s44
	v_add_co_ci_u32_e32 v6, vcc_lo, s45, v18, vcc_lo
	s_delay_alu instid0(VALU_DEP_1) | instskip(NEXT) | instid1(VALU_DEP_1)
	v_cmp_gt_u64_e64 s3, s[12:13], v[5:6]
	s_and_saveexec_b32 s2, s3
	s_cbranch_execz .LBB160_8
; %bb.7:                                ;   in Loop: Header=BB160_4 Depth=1
	global_load_b64 v[9:10], v[3:4], off
.LBB160_8:                              ;   in Loop: Header=BB160_4 Depth=1
	s_or_b32 exec_lo, exec_lo, s2
	v_add_co_u32 v7, vcc_lo, v16, s44
	v_add_co_ci_u32_e32 v8, vcc_lo, s45, v17, vcc_lo
	v_mov_b32_e32 v5, 0
	v_mov_b32_e32 v6, 0
	s_delay_alu instid0(VALU_DEP_3) | instskip(NEXT) | instid1(VALU_DEP_2)
	v_cmp_gt_u64_e64 s2, s[12:13], v[7:8]
	v_dual_mov_b32 v8, v6 :: v_dual_mov_b32 v7, v5
	s_delay_alu instid0(VALU_DEP_2)
	s_and_saveexec_b32 s5, s2
	s_cbranch_execz .LBB160_10
; %bb.9:                                ;   in Loop: Header=BB160_4 Depth=1
	v_add_co_u32 v7, vcc_lo, v1, s48
	v_add_co_ci_u32_e32 v8, vcc_lo, 0, v2, vcc_lo
	global_load_b64 v[7:8], v[7:8], off
.LBB160_10:                             ;   in Loop: Header=BB160_4 Depth=1
	s_or_b32 exec_lo, exec_lo, s5
	v_add_co_u32 v19, vcc_lo, v14, s44
	v_add_co_ci_u32_e32 v20, vcc_lo, s45, v15, vcc_lo
	s_delay_alu instid0(VALU_DEP_1)
	v_cmp_gt_u64_e32 vcc_lo, s[12:13], v[19:20]
	s_and_saveexec_b32 s49, vcc_lo
	s_cbranch_execnz .LBB160_15
; %bb.11:                               ;   in Loop: Header=BB160_4 Depth=1
	s_or_b32 exec_lo, exec_lo, s49
	s_and_saveexec_b32 s5, s4
	s_cbranch_execnz .LBB160_16
.LBB160_12:                             ;   in Loop: Header=BB160_4 Depth=1
	s_or_b32 exec_lo, exec_lo, s5
	s_and_saveexec_b32 s4, s3
	s_cbranch_execnz .LBB160_17
.LBB160_13:                             ;   in Loop: Header=BB160_4 Depth=1
	s_or_b32 exec_lo, exec_lo, s4
	s_and_saveexec_b32 s3, s2
	s_cbranch_execnz .LBB160_18
.LBB160_14:                             ;   in Loop: Header=BB160_4 Depth=1
	s_or_b32 exec_lo, exec_lo, s3
	s_and_saveexec_b32 s2, vcc_lo
	s_cbranch_execz .LBB160_3
	s_branch .LBB160_19
.LBB160_15:                             ;   in Loop: Header=BB160_4 Depth=1
	v_add_co_u32 v5, s5, v1, s47
	s_delay_alu instid0(VALU_DEP_1)
	v_add_co_ci_u32_e64 v6, s5, 0, v2, s5
	global_load_b64 v[5:6], v[5:6], off
	s_or_b32 exec_lo, exec_lo, s49
	s_and_saveexec_b32 s5, s4
	s_cbranch_execz .LBB160_12
.LBB160_16:                             ;   in Loop: Header=BB160_4 Depth=1
	s_waitcnt vmcnt(0)
	v_mul_f64 v[19:20], |v[11:12]|, s[14:15]
	v_cmp_nlt_f64_e64 s4, 0x40331000, |v[11:12]|
	s_delay_alu instid0(VALU_DEP_2) | instskip(NEXT) | instid1(VALU_DEP_1)
	v_rndne_f64_e32 v[19:20], v[19:20]
	v_fma_f64 v[21:22], v[19:20], s[16:17], |v[11:12]|
	v_mul_f64 v[23:24], v[19:20], s[18:19]
	s_delay_alu instid0(VALU_DEP_2) | instskip(NEXT) | instid1(VALU_DEP_1)
	v_add_f64 v[25:26], v[21:22], 0
	v_add_f64 v[27:28], v[25:26], v[23:24]
	v_add_f64 v[21:22], v[21:22], -v[25:26]
	s_delay_alu instid0(VALU_DEP_2) | instskip(NEXT) | instid1(VALU_DEP_2)
	v_add_f64 v[25:26], v[25:26], -v[27:28]
	v_add_f64 v[21:22], v[21:22], 0
	s_delay_alu instid0(VALU_DEP_2) | instskip(NEXT) | instid1(VALU_DEP_1)
	v_add_f64 v[23:24], v[25:26], v[23:24]
	v_add_f64 v[21:22], v[21:22], v[23:24]
	v_mul_f64 v[23:24], v[19:20], s[20:21]
	s_delay_alu instid0(VALU_DEP_2) | instskip(NEXT) | instid1(VALU_DEP_1)
	v_add_f64 v[25:26], v[27:28], v[21:22]
	v_add_f64 v[29:30], v[25:26], v[23:24]
	v_add_f64 v[27:28], v[27:28], -v[25:26]
	s_delay_alu instid0(VALU_DEP_2) | instskip(NEXT) | instid1(VALU_DEP_2)
	v_add_f64 v[25:26], v[25:26], -v[29:30]
	v_add_f64 v[21:22], v[21:22], v[27:28]
	s_delay_alu instid0(VALU_DEP_2) | instskip(NEXT) | instid1(VALU_DEP_1)
	v_add_f64 v[23:24], v[25:26], v[23:24]
	v_add_f64 v[21:22], v[21:22], v[23:24]
	s_delay_alu instid0(VALU_DEP_1) | instskip(NEXT) | instid1(VALU_DEP_1)
	v_add_f64 v[23:24], v[29:30], v[21:22]
	v_fma_f64 v[25:26], v[23:24], s[24:25], s[22:23]
	v_add_f64 v[27:28], v[29:30], -v[23:24]
	v_mul_f64 v[29:30], v[23:24], v[23:24]
	s_delay_alu instid0(VALU_DEP_3) | instskip(NEXT) | instid1(VALU_DEP_3)
	v_fma_f64 v[25:26], v[23:24], v[25:26], s[26:27]
	v_add_f64 v[21:22], v[21:22], v[27:28]
	s_delay_alu instid0(VALU_DEP_3) | instskip(NEXT) | instid1(VALU_DEP_3)
	v_fma_f64 v[27:28], v[23:24], v[23:24], -v[29:30]
	v_fma_f64 v[25:26], v[23:24], v[25:26], s[28:29]
	s_delay_alu instid0(VALU_DEP_3) | instskip(NEXT) | instid1(VALU_DEP_2)
	v_add_f64 v[31:32], v[21:22], v[21:22]
	v_fma_f64 v[25:26], v[23:24], v[25:26], s[30:31]
	s_delay_alu instid0(VALU_DEP_2) | instskip(NEXT) | instid1(VALU_DEP_2)
	v_fma_f64 v[27:28], v[23:24], v[31:32], v[27:28]
	v_fma_f64 v[25:26], v[23:24], v[25:26], s[34:35]
	s_delay_alu instid0(VALU_DEP_2) | instskip(NEXT) | instid1(VALU_DEP_2)
	v_add_f64 v[31:32], v[29:30], v[27:28]
	v_fma_f64 v[25:26], v[23:24], v[25:26], s[36:37]
	s_delay_alu instid0(VALU_DEP_2) | instskip(NEXT) | instid1(VALU_DEP_2)
	v_add_f64 v[29:30], v[31:32], -v[29:30]
	v_fma_f64 v[25:26], v[23:24], v[25:26], s[38:39]
	s_delay_alu instid0(VALU_DEP_2) | instskip(NEXT) | instid1(VALU_DEP_2)
	v_add_f64 v[27:28], v[27:28], -v[29:30]
	v_fma_f64 v[25:26], v[23:24], v[25:26], s[40:41]
	s_delay_alu instid0(VALU_DEP_1) | instskip(NEXT) | instid1(VALU_DEP_1)
	v_fma_f64 v[25:26], v[23:24], v[25:26], s[42:43]
	v_mul_f64 v[33:34], v[31:32], v[25:26]
	s_delay_alu instid0(VALU_DEP_1) | instskip(NEXT) | instid1(VALU_DEP_1)
	v_fma_f64 v[29:30], v[31:32], v[25:26], -v[33:34]
	v_fma_f64 v[25:26], v[27:28], v[25:26], v[29:30]
	s_delay_alu instid0(VALU_DEP_1) | instskip(NEXT) | instid1(VALU_DEP_1)
	v_add_f64 v[27:28], v[33:34], v[25:26]
	v_add_f64 v[29:30], v[27:28], -v[33:34]
	v_add_f64 v[31:32], v[23:24], v[27:28]
	s_delay_alu instid0(VALU_DEP_2) | instskip(NEXT) | instid1(VALU_DEP_2)
	v_add_f64 v[25:26], v[25:26], -v[29:30]
	v_add_f64 v[23:24], v[31:32], -v[23:24]
	s_delay_alu instid0(VALU_DEP_2) | instskip(NEXT) | instid1(VALU_DEP_2)
	v_add_f64 v[21:22], v[21:22], v[25:26]
	v_add_f64 v[23:24], v[27:28], -v[23:24]
	s_delay_alu instid0(VALU_DEP_1) | instskip(NEXT) | instid1(VALU_DEP_1)
	v_add_f64 v[21:22], v[21:22], v[23:24]
	v_add_f64 v[23:24], v[31:32], v[21:22]
	s_delay_alu instid0(VALU_DEP_1) | instskip(SKIP_2) | instid1(VALU_DEP_3)
	v_add_f64 v[25:26], v[23:24], 1.0
	v_add_f64 v[27:28], v[23:24], -v[31:32]
	v_cvt_i32_f64_e32 v31, v[19:20]
	v_add_f64 v[29:30], v[25:26], -1.0
	s_delay_alu instid0(VALU_DEP_3) | instskip(NEXT) | instid1(VALU_DEP_2)
	v_add_f64 v[21:22], v[21:22], -v[27:28]
	v_add_f64 v[23:24], v[23:24], -v[29:30]
	s_delay_alu instid0(VALU_DEP_1) | instskip(NEXT) | instid1(VALU_DEP_1)
	v_add_f64 v[21:22], v[21:22], v[23:24]
	v_add_f64 v[19:20], v[25:26], v[21:22]
	s_delay_alu instid0(VALU_DEP_1) | instskip(SKIP_1) | instid1(VALU_DEP_2)
	v_ldexp_f64 v[23:24], v[19:20], v31
	v_add_f64 v[19:20], v[19:20], -v[25:26]
	v_rcp_f64_e32 v[27:28], v[23:24]
	s_delay_alu instid0(VALU_DEP_1) | instskip(NEXT) | instid1(VALU_DEP_1)
	v_add_f64 v[19:20], v[21:22], -v[19:20]
	v_ldexp_f64 v[19:20], v[19:20], v31
	s_waitcnt_depctr 0xfff
	v_fma_f64 v[29:30], -v[23:24], v[27:28], 1.0
	s_delay_alu instid0(VALU_DEP_1) | instskip(NEXT) | instid1(VALU_DEP_1)
	v_fma_f64 v[27:28], v[29:30], v[27:28], v[27:28]
	v_fma_f64 v[29:30], -v[23:24], v[27:28], 1.0
	s_delay_alu instid0(VALU_DEP_1) | instskip(NEXT) | instid1(VALU_DEP_1)
	v_fma_f64 v[25:26], v[29:30], v[27:28], v[27:28]
	v_mul_f64 v[21:22], v[23:24], v[25:26]
	s_delay_alu instid0(VALU_DEP_1) | instskip(NEXT) | instid1(VALU_DEP_1)
	v_fma_f64 v[27:28], v[25:26], v[23:24], -v[21:22]
	v_fma_f64 v[27:28], v[25:26], v[19:20], v[27:28]
	s_delay_alu instid0(VALU_DEP_1) | instskip(NEXT) | instid1(VALU_DEP_1)
	v_add_f64 v[29:30], v[21:22], v[27:28]
	v_add_f64 v[31:32], -v[29:30], 1.0
	v_add_f64 v[21:22], v[29:30], -v[21:22]
	s_delay_alu instid0(VALU_DEP_2) | instskip(NEXT) | instid1(VALU_DEP_2)
	v_add_f64 v[33:34], -v[31:32], 1.0
	v_add_f64 v[21:22], v[21:22], -v[27:28]
	s_delay_alu instid0(VALU_DEP_2) | instskip(NEXT) | instid1(VALU_DEP_1)
	v_add_f64 v[27:28], v[33:34], -v[29:30]
	v_add_f64 v[21:22], v[21:22], v[27:28]
	s_delay_alu instid0(VALU_DEP_1) | instskip(NEXT) | instid1(VALU_DEP_1)
	v_add_f64 v[27:28], v[31:32], v[21:22]
	v_mul_f64 v[29:30], v[25:26], v[27:28]
	v_add_f64 v[31:32], v[31:32], -v[27:28]
	s_delay_alu instid0(VALU_DEP_2) | instskip(NEXT) | instid1(VALU_DEP_2)
	v_mul_f64 v[33:34], v[23:24], v[29:30]
	v_add_f64 v[21:22], v[21:22], v[31:32]
	s_delay_alu instid0(VALU_DEP_2) | instskip(NEXT) | instid1(VALU_DEP_1)
	v_fma_f64 v[35:36], v[29:30], v[23:24], -v[33:34]
	v_fma_f64 v[35:36], v[29:30], v[19:20], v[35:36]
	s_delay_alu instid0(VALU_DEP_1) | instskip(NEXT) | instid1(VALU_DEP_1)
	v_add_f64 v[37:38], v[33:34], v[35:36]
	v_add_f64 v[39:40], v[27:28], -v[37:38]
	v_add_f64 v[31:32], v[37:38], -v[33:34]
	s_delay_alu instid0(VALU_DEP_2) | instskip(NEXT) | instid1(VALU_DEP_2)
	v_add_f64 v[27:28], v[27:28], -v[39:40]
	v_add_f64 v[31:32], v[31:32], -v[35:36]
	s_delay_alu instid0(VALU_DEP_2) | instskip(NEXT) | instid1(VALU_DEP_1)
	v_add_f64 v[27:28], v[27:28], -v[37:38]
	v_add_f64 v[21:22], v[21:22], v[27:28]
	v_add_f64 v[27:28], v[25:26], v[29:30]
	s_delay_alu instid0(VALU_DEP_2) | instskip(NEXT) | instid1(VALU_DEP_2)
	v_add_f64 v[21:22], v[31:32], v[21:22]
	v_add_f64 v[31:32], v[27:28], -v[25:26]
	s_delay_alu instid0(VALU_DEP_2) | instskip(NEXT) | instid1(VALU_DEP_2)
	v_add_f64 v[21:22], v[39:40], v[21:22]
	v_add_f64 v[29:30], v[29:30], -v[31:32]
	s_delay_alu instid0(VALU_DEP_2) | instskip(NEXT) | instid1(VALU_DEP_1)
	v_mul_f64 v[21:22], v[25:26], v[21:22]
	v_add_f64 v[21:22], v[29:30], v[21:22]
	s_delay_alu instid0(VALU_DEP_1) | instskip(NEXT) | instid1(VALU_DEP_1)
	v_add_f64 v[25:26], v[27:28], v[21:22]
	v_add_f64 v[27:28], v[25:26], -v[27:28]
	v_add_f64 v[29:30], v[23:24], v[25:26]
	v_add_f64 v[33:34], v[23:24], -v[25:26]
	s_delay_alu instid0(VALU_DEP_3) | instskip(NEXT) | instid1(VALU_DEP_3)
	v_add_f64 v[21:22], v[21:22], -v[27:28]
	v_add_f64 v[27:28], v[29:30], -v[23:24]
	s_delay_alu instid0(VALU_DEP_3) | instskip(NEXT) | instid1(VALU_DEP_3)
	v_add_f64 v[23:24], v[23:24], -v[33:34]
	v_add_f64 v[31:32], v[19:20], v[21:22]
	s_delay_alu instid0(VALU_DEP_3) | instskip(NEXT) | instid1(VALU_DEP_3)
	v_add_f64 v[27:28], v[25:26], -v[27:28]
	v_add_f64 v[23:24], v[23:24], -v[25:26]
	s_delay_alu instid0(VALU_DEP_2) | instskip(NEXT) | instid1(VALU_DEP_2)
	v_add_f64 v[27:28], v[31:32], v[27:28]
	v_add_f64 v[19:20], v[19:20], v[23:24]
	s_delay_alu instid0(VALU_DEP_2) | instskip(NEXT) | instid1(VALU_DEP_2)
	v_add_f64 v[31:32], v[29:30], v[27:28]
	v_add_f64 v[19:20], v[19:20], -v[21:22]
	s_delay_alu instid0(VALU_DEP_2) | instskip(SKIP_1) | instid1(VALU_DEP_1)
	v_rcp_f64_e32 v[35:36], v[31:32]
	v_add_f64 v[29:30], v[31:32], -v[29:30]
	v_add_f64 v[27:28], v[27:28], -v[29:30]
	s_waitcnt_depctr 0xfff
	v_fma_f64 v[25:26], -v[31:32], v[35:36], 1.0
	s_delay_alu instid0(VALU_DEP_1) | instskip(SKIP_1) | instid1(VALU_DEP_2)
	v_fma_f64 v[23:24], v[25:26], v[35:36], v[35:36]
	v_add_f64 v[25:26], v[33:34], v[19:20]
	v_fma_f64 v[21:22], -v[31:32], v[23:24], 1.0
	s_delay_alu instid0(VALU_DEP_1) | instskip(NEXT) | instid1(VALU_DEP_1)
	v_fma_f64 v[21:22], v[21:22], v[23:24], v[23:24]
	v_mul_f64 v[23:24], v[25:26], v[21:22]
	s_delay_alu instid0(VALU_DEP_1) | instskip(NEXT) | instid1(VALU_DEP_1)
	v_mul_f64 v[35:36], v[31:32], v[23:24]
	v_fma_f64 v[29:30], v[23:24], v[31:32], -v[35:36]
	s_delay_alu instid0(VALU_DEP_1) | instskip(NEXT) | instid1(VALU_DEP_1)
	v_fma_f64 v[27:28], v[23:24], v[27:28], v[29:30]
	v_add_f64 v[29:30], v[35:36], v[27:28]
	s_delay_alu instid0(VALU_DEP_1) | instskip(SKIP_1) | instid1(VALU_DEP_2)
	v_add_f64 v[31:32], v[25:26], -v[29:30]
	v_add_f64 v[35:36], v[29:30], -v[35:36]
	;; [unrolled: 1-line block ×4, first 2 shown]
	s_delay_alu instid0(VALU_DEP_3) | instskip(NEXT) | instid1(VALU_DEP_3)
	v_add_f64 v[27:28], v[27:28], -v[35:36]
	v_add_f64 v[29:30], v[37:38], -v[29:30]
	s_delay_alu instid0(VALU_DEP_3) | instskip(NEXT) | instid1(VALU_DEP_2)
	v_add_f64 v[19:20], v[19:20], -v[25:26]
	v_add_f64 v[25:26], v[29:30], -v[27:28]
	s_delay_alu instid0(VALU_DEP_1) | instskip(NEXT) | instid1(VALU_DEP_1)
	v_add_f64 v[19:20], v[19:20], v[25:26]
	v_add_f64 v[19:20], v[31:32], v[19:20]
	s_delay_alu instid0(VALU_DEP_1) | instskip(SKIP_1) | instid1(VALU_DEP_2)
	v_mul_f64 v[19:20], v[21:22], v[19:20]
	v_and_b32_e32 v21, 0x7fffffff, v12
	v_add_f64 v[19:20], v[23:24], v[19:20]
	s_delay_alu instid0(VALU_DEP_1) | instskip(NEXT) | instid1(VALU_DEP_2)
	v_cndmask_b32_e64 v20, 0x3ff00000, v20, s4
	v_cndmask_b32_e64 v19, 0, v19, s4
	v_cmp_gt_f64_e64 s4, 0x3e400000, |v[11:12]|
	s_delay_alu instid0(VALU_DEP_1) | instskip(NEXT) | instid1(VALU_DEP_4)
	v_cndmask_b32_e64 v11, v19, v11, s4
	v_cndmask_b32_e64 v19, v20, v21, s4
	s_delay_alu instid0(VALU_DEP_1)
	v_bfi_b32 v12, 0x7fffffff, v19, v12
	global_store_b64 v[1:2], v[11:12], off
	s_or_b32 exec_lo, exec_lo, s5
	s_and_saveexec_b32 s4, s3
	s_cbranch_execz .LBB160_13
.LBB160_17:                             ;   in Loop: Header=BB160_4 Depth=1
	s_waitcnt vmcnt(0)
	v_mul_f64 v[11:12], |v[9:10]|, s[14:15]
	v_cmp_nlt_f64_e64 s3, 0x40331000, |v[9:10]|
	s_delay_alu instid0(VALU_DEP_2) | instskip(NEXT) | instid1(VALU_DEP_1)
	v_rndne_f64_e32 v[11:12], v[11:12]
	v_fma_f64 v[19:20], v[11:12], s[16:17], |v[9:10]|
	v_mul_f64 v[21:22], v[11:12], s[18:19]
	s_delay_alu instid0(VALU_DEP_2) | instskip(NEXT) | instid1(VALU_DEP_1)
	v_add_f64 v[23:24], v[19:20], 0
	v_add_f64 v[25:26], v[23:24], v[21:22]
	v_add_f64 v[19:20], v[19:20], -v[23:24]
	s_delay_alu instid0(VALU_DEP_2) | instskip(NEXT) | instid1(VALU_DEP_2)
	v_add_f64 v[23:24], v[23:24], -v[25:26]
	v_add_f64 v[19:20], v[19:20], 0
	s_delay_alu instid0(VALU_DEP_2) | instskip(NEXT) | instid1(VALU_DEP_1)
	v_add_f64 v[21:22], v[23:24], v[21:22]
	v_add_f64 v[19:20], v[19:20], v[21:22]
	v_mul_f64 v[21:22], v[11:12], s[20:21]
	s_delay_alu instid0(VALU_DEP_2) | instskip(NEXT) | instid1(VALU_DEP_1)
	v_add_f64 v[23:24], v[25:26], v[19:20]
	v_add_f64 v[27:28], v[23:24], v[21:22]
	v_add_f64 v[25:26], v[25:26], -v[23:24]
	s_delay_alu instid0(VALU_DEP_2) | instskip(NEXT) | instid1(VALU_DEP_2)
	v_add_f64 v[23:24], v[23:24], -v[27:28]
	v_add_f64 v[19:20], v[19:20], v[25:26]
	s_delay_alu instid0(VALU_DEP_2) | instskip(NEXT) | instid1(VALU_DEP_1)
	v_add_f64 v[21:22], v[23:24], v[21:22]
	v_add_f64 v[19:20], v[19:20], v[21:22]
	s_delay_alu instid0(VALU_DEP_1) | instskip(NEXT) | instid1(VALU_DEP_1)
	v_add_f64 v[21:22], v[27:28], v[19:20]
	v_fma_f64 v[23:24], v[21:22], s[24:25], s[22:23]
	v_add_f64 v[25:26], v[27:28], -v[21:22]
	v_mul_f64 v[27:28], v[21:22], v[21:22]
	s_delay_alu instid0(VALU_DEP_3) | instskip(NEXT) | instid1(VALU_DEP_3)
	v_fma_f64 v[23:24], v[21:22], v[23:24], s[26:27]
	v_add_f64 v[19:20], v[19:20], v[25:26]
	s_delay_alu instid0(VALU_DEP_3) | instskip(NEXT) | instid1(VALU_DEP_3)
	v_fma_f64 v[25:26], v[21:22], v[21:22], -v[27:28]
	v_fma_f64 v[23:24], v[21:22], v[23:24], s[28:29]
	s_delay_alu instid0(VALU_DEP_3) | instskip(NEXT) | instid1(VALU_DEP_2)
	v_add_f64 v[29:30], v[19:20], v[19:20]
	v_fma_f64 v[23:24], v[21:22], v[23:24], s[30:31]
	s_delay_alu instid0(VALU_DEP_2) | instskip(NEXT) | instid1(VALU_DEP_2)
	v_fma_f64 v[25:26], v[21:22], v[29:30], v[25:26]
	v_fma_f64 v[23:24], v[21:22], v[23:24], s[34:35]
	s_delay_alu instid0(VALU_DEP_2) | instskip(NEXT) | instid1(VALU_DEP_2)
	v_add_f64 v[29:30], v[27:28], v[25:26]
	v_fma_f64 v[23:24], v[21:22], v[23:24], s[36:37]
	s_delay_alu instid0(VALU_DEP_2) | instskip(NEXT) | instid1(VALU_DEP_2)
	v_add_f64 v[27:28], v[29:30], -v[27:28]
	v_fma_f64 v[23:24], v[21:22], v[23:24], s[38:39]
	s_delay_alu instid0(VALU_DEP_2) | instskip(NEXT) | instid1(VALU_DEP_2)
	v_add_f64 v[25:26], v[25:26], -v[27:28]
	v_fma_f64 v[23:24], v[21:22], v[23:24], s[40:41]
	s_delay_alu instid0(VALU_DEP_1) | instskip(NEXT) | instid1(VALU_DEP_1)
	v_fma_f64 v[23:24], v[21:22], v[23:24], s[42:43]
	v_mul_f64 v[31:32], v[29:30], v[23:24]
	s_delay_alu instid0(VALU_DEP_1) | instskip(NEXT) | instid1(VALU_DEP_1)
	v_fma_f64 v[27:28], v[29:30], v[23:24], -v[31:32]
	v_fma_f64 v[23:24], v[25:26], v[23:24], v[27:28]
	s_delay_alu instid0(VALU_DEP_1) | instskip(NEXT) | instid1(VALU_DEP_1)
	v_add_f64 v[25:26], v[31:32], v[23:24]
	v_add_f64 v[27:28], v[21:22], v[25:26]
	v_add_f64 v[29:30], v[25:26], -v[31:32]
	s_delay_alu instid0(VALU_DEP_2) | instskip(NEXT) | instid1(VALU_DEP_2)
	v_add_f64 v[21:22], v[27:28], -v[21:22]
	v_add_f64 v[23:24], v[23:24], -v[29:30]
	v_cvt_i32_f64_e32 v29, v[11:12]
	s_delay_alu instid0(VALU_DEP_3) | instskip(NEXT) | instid1(VALU_DEP_3)
	v_add_f64 v[21:22], v[25:26], -v[21:22]
	v_add_f64 v[19:20], v[19:20], v[23:24]
	s_delay_alu instid0(VALU_DEP_1) | instskip(NEXT) | instid1(VALU_DEP_1)
	v_add_f64 v[19:20], v[19:20], v[21:22]
	v_add_f64 v[21:22], v[27:28], v[19:20]
	s_delay_alu instid0(VALU_DEP_1) | instskip(SKIP_1) | instid1(VALU_DEP_2)
	v_add_f64 v[23:24], v[21:22], 1.0
	v_add_f64 v[25:26], v[21:22], -v[27:28]
	v_add_f64 v[27:28], v[23:24], -1.0
	s_delay_alu instid0(VALU_DEP_2) | instskip(NEXT) | instid1(VALU_DEP_2)
	v_add_f64 v[19:20], v[19:20], -v[25:26]
	v_add_f64 v[21:22], v[21:22], -v[27:28]
	s_delay_alu instid0(VALU_DEP_1) | instskip(NEXT) | instid1(VALU_DEP_1)
	v_add_f64 v[19:20], v[19:20], v[21:22]
	v_add_f64 v[11:12], v[23:24], v[19:20]
	s_delay_alu instid0(VALU_DEP_1) | instskip(SKIP_1) | instid1(VALU_DEP_2)
	v_ldexp_f64 v[21:22], v[11:12], v29
	v_add_f64 v[11:12], v[11:12], -v[23:24]
	v_rcp_f64_e32 v[25:26], v[21:22]
	s_delay_alu instid0(VALU_DEP_1) | instskip(NEXT) | instid1(VALU_DEP_1)
	v_add_f64 v[11:12], v[19:20], -v[11:12]
	v_ldexp_f64 v[11:12], v[11:12], v29
	s_waitcnt_depctr 0xfff
	v_fma_f64 v[27:28], -v[21:22], v[25:26], 1.0
	s_delay_alu instid0(VALU_DEP_1) | instskip(NEXT) | instid1(VALU_DEP_1)
	v_fma_f64 v[25:26], v[27:28], v[25:26], v[25:26]
	v_fma_f64 v[27:28], -v[21:22], v[25:26], 1.0
	s_delay_alu instid0(VALU_DEP_1) | instskip(NEXT) | instid1(VALU_DEP_1)
	v_fma_f64 v[23:24], v[27:28], v[25:26], v[25:26]
	v_mul_f64 v[19:20], v[21:22], v[23:24]
	s_delay_alu instid0(VALU_DEP_1) | instskip(NEXT) | instid1(VALU_DEP_1)
	v_fma_f64 v[25:26], v[23:24], v[21:22], -v[19:20]
	v_fma_f64 v[25:26], v[23:24], v[11:12], v[25:26]
	s_delay_alu instid0(VALU_DEP_1) | instskip(NEXT) | instid1(VALU_DEP_1)
	v_add_f64 v[27:28], v[19:20], v[25:26]
	v_add_f64 v[29:30], -v[27:28], 1.0
	v_add_f64 v[19:20], v[27:28], -v[19:20]
	s_delay_alu instid0(VALU_DEP_2) | instskip(NEXT) | instid1(VALU_DEP_2)
	v_add_f64 v[31:32], -v[29:30], 1.0
	v_add_f64 v[19:20], v[19:20], -v[25:26]
	s_delay_alu instid0(VALU_DEP_2) | instskip(NEXT) | instid1(VALU_DEP_1)
	v_add_f64 v[25:26], v[31:32], -v[27:28]
	v_add_f64 v[19:20], v[19:20], v[25:26]
	s_delay_alu instid0(VALU_DEP_1) | instskip(NEXT) | instid1(VALU_DEP_1)
	v_add_f64 v[25:26], v[29:30], v[19:20]
	v_mul_f64 v[27:28], v[23:24], v[25:26]
	v_add_f64 v[29:30], v[29:30], -v[25:26]
	s_delay_alu instid0(VALU_DEP_2) | instskip(NEXT) | instid1(VALU_DEP_2)
	v_mul_f64 v[31:32], v[21:22], v[27:28]
	v_add_f64 v[19:20], v[19:20], v[29:30]
	s_delay_alu instid0(VALU_DEP_2) | instskip(NEXT) | instid1(VALU_DEP_1)
	v_fma_f64 v[33:34], v[27:28], v[21:22], -v[31:32]
	v_fma_f64 v[33:34], v[27:28], v[11:12], v[33:34]
	s_delay_alu instid0(VALU_DEP_1) | instskip(NEXT) | instid1(VALU_DEP_1)
	v_add_f64 v[35:36], v[31:32], v[33:34]
	v_add_f64 v[37:38], v[25:26], -v[35:36]
	v_add_f64 v[29:30], v[35:36], -v[31:32]
	s_delay_alu instid0(VALU_DEP_2) | instskip(NEXT) | instid1(VALU_DEP_2)
	v_add_f64 v[25:26], v[25:26], -v[37:38]
	v_add_f64 v[29:30], v[29:30], -v[33:34]
	s_delay_alu instid0(VALU_DEP_2) | instskip(NEXT) | instid1(VALU_DEP_1)
	v_add_f64 v[25:26], v[25:26], -v[35:36]
	v_add_f64 v[19:20], v[19:20], v[25:26]
	v_add_f64 v[25:26], v[23:24], v[27:28]
	s_delay_alu instid0(VALU_DEP_2) | instskip(NEXT) | instid1(VALU_DEP_2)
	v_add_f64 v[19:20], v[29:30], v[19:20]
	v_add_f64 v[29:30], v[25:26], -v[23:24]
	s_delay_alu instid0(VALU_DEP_2) | instskip(NEXT) | instid1(VALU_DEP_2)
	v_add_f64 v[19:20], v[37:38], v[19:20]
	v_add_f64 v[27:28], v[27:28], -v[29:30]
	s_delay_alu instid0(VALU_DEP_2) | instskip(NEXT) | instid1(VALU_DEP_1)
	v_mul_f64 v[19:20], v[23:24], v[19:20]
	v_add_f64 v[19:20], v[27:28], v[19:20]
	s_delay_alu instid0(VALU_DEP_1) | instskip(NEXT) | instid1(VALU_DEP_1)
	v_add_f64 v[23:24], v[25:26], v[19:20]
	v_add_f64 v[27:28], v[21:22], v[23:24]
	v_add_f64 v[25:26], v[23:24], -v[25:26]
	v_add_f64 v[31:32], v[21:22], -v[23:24]
	s_delay_alu instid0(VALU_DEP_3) | instskip(NEXT) | instid1(VALU_DEP_3)
	v_add_f64 v[29:30], v[27:28], -v[21:22]
	v_add_f64 v[19:20], v[19:20], -v[25:26]
	s_delay_alu instid0(VALU_DEP_3) | instskip(NEXT) | instid1(VALU_DEP_3)
	;; [unrolled: 3-line block ×3, first 2 shown]
	v_add_f64 v[29:30], v[11:12], v[19:20]
	v_add_f64 v[21:22], v[21:22], -v[23:24]
	s_delay_alu instid0(VALU_DEP_2) | instskip(NEXT) | instid1(VALU_DEP_2)
	v_add_f64 v[25:26], v[29:30], v[25:26]
	v_add_f64 v[11:12], v[11:12], v[21:22]
	s_delay_alu instid0(VALU_DEP_2) | instskip(NEXT) | instid1(VALU_DEP_2)
	v_add_f64 v[29:30], v[27:28], v[25:26]
	v_add_f64 v[11:12], v[11:12], -v[19:20]
	s_delay_alu instid0(VALU_DEP_2) | instskip(SKIP_1) | instid1(VALU_DEP_1)
	v_rcp_f64_e32 v[33:34], v[29:30]
	v_add_f64 v[27:28], v[29:30], -v[27:28]
	v_add_f64 v[25:26], v[25:26], -v[27:28]
	s_waitcnt_depctr 0xfff
	v_fma_f64 v[23:24], -v[29:30], v[33:34], 1.0
	s_delay_alu instid0(VALU_DEP_1) | instskip(SKIP_1) | instid1(VALU_DEP_2)
	v_fma_f64 v[21:22], v[23:24], v[33:34], v[33:34]
	v_add_f64 v[23:24], v[31:32], v[11:12]
	v_fma_f64 v[19:20], -v[29:30], v[21:22], 1.0
	s_delay_alu instid0(VALU_DEP_1) | instskip(NEXT) | instid1(VALU_DEP_1)
	v_fma_f64 v[19:20], v[19:20], v[21:22], v[21:22]
	v_mul_f64 v[21:22], v[23:24], v[19:20]
	s_delay_alu instid0(VALU_DEP_1) | instskip(NEXT) | instid1(VALU_DEP_1)
	v_mul_f64 v[33:34], v[29:30], v[21:22]
	v_fma_f64 v[27:28], v[21:22], v[29:30], -v[33:34]
	s_delay_alu instid0(VALU_DEP_1) | instskip(NEXT) | instid1(VALU_DEP_1)
	v_fma_f64 v[25:26], v[21:22], v[25:26], v[27:28]
	v_add_f64 v[27:28], v[33:34], v[25:26]
	s_delay_alu instid0(VALU_DEP_1) | instskip(SKIP_1) | instid1(VALU_DEP_2)
	v_add_f64 v[29:30], v[23:24], -v[27:28]
	v_add_f64 v[33:34], v[27:28], -v[33:34]
	;; [unrolled: 1-line block ×4, first 2 shown]
	s_delay_alu instid0(VALU_DEP_3) | instskip(NEXT) | instid1(VALU_DEP_3)
	v_add_f64 v[25:26], v[25:26], -v[33:34]
	v_add_f64 v[27:28], v[35:36], -v[27:28]
	s_delay_alu instid0(VALU_DEP_3) | instskip(NEXT) | instid1(VALU_DEP_2)
	v_add_f64 v[11:12], v[11:12], -v[23:24]
	v_add_f64 v[23:24], v[27:28], -v[25:26]
	s_delay_alu instid0(VALU_DEP_1) | instskip(NEXT) | instid1(VALU_DEP_1)
	v_add_f64 v[11:12], v[11:12], v[23:24]
	v_add_f64 v[11:12], v[29:30], v[11:12]
	s_delay_alu instid0(VALU_DEP_1) | instskip(SKIP_1) | instid1(VALU_DEP_2)
	v_mul_f64 v[11:12], v[19:20], v[11:12]
	v_and_b32_e32 v19, 0x7fffffff, v10
	v_add_f64 v[11:12], v[21:22], v[11:12]
	s_delay_alu instid0(VALU_DEP_1) | instskip(NEXT) | instid1(VALU_DEP_2)
	v_cndmask_b32_e64 v12, 0x3ff00000, v12, s3
	v_cndmask_b32_e64 v11, 0, v11, s3
	v_cmp_gt_f64_e64 s3, 0x3e400000, |v[9:10]|
	s_delay_alu instid0(VALU_DEP_1) | instskip(NEXT) | instid1(VALU_DEP_4)
	v_cndmask_b32_e64 v9, v11, v9, s3
	v_cndmask_b32_e64 v11, v12, v19, s3
	s_delay_alu instid0(VALU_DEP_1)
	v_bfi_b32 v10, 0x7fffffff, v11, v10
	global_store_b64 v[3:4], v[9:10], off
	s_or_b32 exec_lo, exec_lo, s4
	s_and_saveexec_b32 s3, s2
	s_cbranch_execz .LBB160_14
.LBB160_18:                             ;   in Loop: Header=BB160_4 Depth=1
	s_waitcnt vmcnt(0)
	v_mul_f64 v[9:10], |v[7:8]|, s[14:15]
	v_cmp_nlt_f64_e64 s2, 0x40331000, |v[7:8]|
	s_delay_alu instid0(VALU_DEP_2) | instskip(NEXT) | instid1(VALU_DEP_1)
	v_rndne_f64_e32 v[9:10], v[9:10]
	v_fma_f64 v[11:12], v[9:10], s[16:17], |v[7:8]|
	v_mul_f64 v[19:20], v[9:10], s[18:19]
	s_delay_alu instid0(VALU_DEP_2) | instskip(NEXT) | instid1(VALU_DEP_1)
	v_add_f64 v[21:22], v[11:12], 0
	v_add_f64 v[23:24], v[21:22], v[19:20]
	v_add_f64 v[11:12], v[11:12], -v[21:22]
	s_delay_alu instid0(VALU_DEP_2) | instskip(NEXT) | instid1(VALU_DEP_2)
	v_add_f64 v[21:22], v[21:22], -v[23:24]
	v_add_f64 v[11:12], v[11:12], 0
	s_delay_alu instid0(VALU_DEP_2) | instskip(NEXT) | instid1(VALU_DEP_1)
	v_add_f64 v[19:20], v[21:22], v[19:20]
	v_add_f64 v[11:12], v[11:12], v[19:20]
	v_mul_f64 v[19:20], v[9:10], s[20:21]
	s_delay_alu instid0(VALU_DEP_2) | instskip(NEXT) | instid1(VALU_DEP_1)
	v_add_f64 v[21:22], v[23:24], v[11:12]
	v_add_f64 v[25:26], v[21:22], v[19:20]
	v_add_f64 v[23:24], v[23:24], -v[21:22]
	s_delay_alu instid0(VALU_DEP_2) | instskip(NEXT) | instid1(VALU_DEP_2)
	v_add_f64 v[21:22], v[21:22], -v[25:26]
	v_add_f64 v[11:12], v[11:12], v[23:24]
	s_delay_alu instid0(VALU_DEP_2) | instskip(NEXT) | instid1(VALU_DEP_1)
	v_add_f64 v[19:20], v[21:22], v[19:20]
	v_add_f64 v[11:12], v[11:12], v[19:20]
	s_delay_alu instid0(VALU_DEP_1) | instskip(NEXT) | instid1(VALU_DEP_1)
	v_add_f64 v[19:20], v[25:26], v[11:12]
	v_fma_f64 v[21:22], v[19:20], s[24:25], s[22:23]
	v_add_f64 v[23:24], v[25:26], -v[19:20]
	v_mul_f64 v[25:26], v[19:20], v[19:20]
	s_delay_alu instid0(VALU_DEP_3) | instskip(NEXT) | instid1(VALU_DEP_3)
	v_fma_f64 v[21:22], v[19:20], v[21:22], s[26:27]
	v_add_f64 v[11:12], v[11:12], v[23:24]
	s_delay_alu instid0(VALU_DEP_3) | instskip(NEXT) | instid1(VALU_DEP_3)
	v_fma_f64 v[23:24], v[19:20], v[19:20], -v[25:26]
	v_fma_f64 v[21:22], v[19:20], v[21:22], s[28:29]
	s_delay_alu instid0(VALU_DEP_3) | instskip(NEXT) | instid1(VALU_DEP_2)
	v_add_f64 v[27:28], v[11:12], v[11:12]
	v_fma_f64 v[21:22], v[19:20], v[21:22], s[30:31]
	s_delay_alu instid0(VALU_DEP_2) | instskip(NEXT) | instid1(VALU_DEP_2)
	v_fma_f64 v[23:24], v[19:20], v[27:28], v[23:24]
	v_fma_f64 v[21:22], v[19:20], v[21:22], s[34:35]
	s_delay_alu instid0(VALU_DEP_2) | instskip(NEXT) | instid1(VALU_DEP_2)
	v_add_f64 v[27:28], v[25:26], v[23:24]
	v_fma_f64 v[21:22], v[19:20], v[21:22], s[36:37]
	s_delay_alu instid0(VALU_DEP_2) | instskip(NEXT) | instid1(VALU_DEP_2)
	v_add_f64 v[25:26], v[27:28], -v[25:26]
	v_fma_f64 v[21:22], v[19:20], v[21:22], s[38:39]
	s_delay_alu instid0(VALU_DEP_2) | instskip(NEXT) | instid1(VALU_DEP_2)
	v_add_f64 v[23:24], v[23:24], -v[25:26]
	v_fma_f64 v[21:22], v[19:20], v[21:22], s[40:41]
	s_delay_alu instid0(VALU_DEP_1) | instskip(NEXT) | instid1(VALU_DEP_1)
	v_fma_f64 v[21:22], v[19:20], v[21:22], s[42:43]
	v_mul_f64 v[29:30], v[27:28], v[21:22]
	s_delay_alu instid0(VALU_DEP_1) | instskip(NEXT) | instid1(VALU_DEP_1)
	v_fma_f64 v[25:26], v[27:28], v[21:22], -v[29:30]
	v_fma_f64 v[21:22], v[23:24], v[21:22], v[25:26]
	s_delay_alu instid0(VALU_DEP_1) | instskip(NEXT) | instid1(VALU_DEP_1)
	v_add_f64 v[23:24], v[29:30], v[21:22]
	v_add_f64 v[25:26], v[19:20], v[23:24]
	v_add_f64 v[27:28], v[23:24], -v[29:30]
	s_delay_alu instid0(VALU_DEP_2) | instskip(NEXT) | instid1(VALU_DEP_2)
	v_add_f64 v[19:20], v[25:26], -v[19:20]
	v_add_f64 v[21:22], v[21:22], -v[27:28]
	v_cvt_i32_f64_e32 v27, v[9:10]
	s_delay_alu instid0(VALU_DEP_3) | instskip(NEXT) | instid1(VALU_DEP_3)
	v_add_f64 v[19:20], v[23:24], -v[19:20]
	v_add_f64 v[11:12], v[11:12], v[21:22]
	s_delay_alu instid0(VALU_DEP_1) | instskip(NEXT) | instid1(VALU_DEP_1)
	v_add_f64 v[11:12], v[11:12], v[19:20]
	v_add_f64 v[19:20], v[25:26], v[11:12]
	s_delay_alu instid0(VALU_DEP_1) | instskip(SKIP_1) | instid1(VALU_DEP_2)
	v_add_f64 v[21:22], v[19:20], 1.0
	v_add_f64 v[23:24], v[19:20], -v[25:26]
	v_add_f64 v[25:26], v[21:22], -1.0
	s_delay_alu instid0(VALU_DEP_2) | instskip(NEXT) | instid1(VALU_DEP_2)
	v_add_f64 v[11:12], v[11:12], -v[23:24]
	v_add_f64 v[19:20], v[19:20], -v[25:26]
	s_delay_alu instid0(VALU_DEP_1) | instskip(NEXT) | instid1(VALU_DEP_1)
	v_add_f64 v[11:12], v[11:12], v[19:20]
	v_add_f64 v[9:10], v[21:22], v[11:12]
	s_delay_alu instid0(VALU_DEP_1) | instskip(SKIP_1) | instid1(VALU_DEP_2)
	v_ldexp_f64 v[19:20], v[9:10], v27
	v_add_f64 v[9:10], v[9:10], -v[21:22]
	v_rcp_f64_e32 v[23:24], v[19:20]
	s_delay_alu instid0(VALU_DEP_1) | instskip(NEXT) | instid1(VALU_DEP_1)
	v_add_f64 v[9:10], v[11:12], -v[9:10]
	v_ldexp_f64 v[9:10], v[9:10], v27
	s_waitcnt_depctr 0xfff
	v_fma_f64 v[25:26], -v[19:20], v[23:24], 1.0
	s_delay_alu instid0(VALU_DEP_1) | instskip(NEXT) | instid1(VALU_DEP_1)
	v_fma_f64 v[23:24], v[25:26], v[23:24], v[23:24]
	v_fma_f64 v[25:26], -v[19:20], v[23:24], 1.0
	s_delay_alu instid0(VALU_DEP_1) | instskip(NEXT) | instid1(VALU_DEP_1)
	v_fma_f64 v[21:22], v[25:26], v[23:24], v[23:24]
	v_mul_f64 v[11:12], v[19:20], v[21:22]
	s_delay_alu instid0(VALU_DEP_1) | instskip(NEXT) | instid1(VALU_DEP_1)
	v_fma_f64 v[23:24], v[21:22], v[19:20], -v[11:12]
	v_fma_f64 v[23:24], v[21:22], v[9:10], v[23:24]
	s_delay_alu instid0(VALU_DEP_1) | instskip(NEXT) | instid1(VALU_DEP_1)
	v_add_f64 v[25:26], v[11:12], v[23:24]
	v_add_f64 v[27:28], -v[25:26], 1.0
	v_add_f64 v[11:12], v[25:26], -v[11:12]
	s_delay_alu instid0(VALU_DEP_2) | instskip(NEXT) | instid1(VALU_DEP_2)
	v_add_f64 v[29:30], -v[27:28], 1.0
	v_add_f64 v[11:12], v[11:12], -v[23:24]
	s_delay_alu instid0(VALU_DEP_2) | instskip(NEXT) | instid1(VALU_DEP_1)
	v_add_f64 v[23:24], v[29:30], -v[25:26]
	v_add_f64 v[11:12], v[11:12], v[23:24]
	s_delay_alu instid0(VALU_DEP_1) | instskip(NEXT) | instid1(VALU_DEP_1)
	v_add_f64 v[23:24], v[27:28], v[11:12]
	v_mul_f64 v[25:26], v[21:22], v[23:24]
	v_add_f64 v[27:28], v[27:28], -v[23:24]
	s_delay_alu instid0(VALU_DEP_2) | instskip(NEXT) | instid1(VALU_DEP_2)
	v_mul_f64 v[29:30], v[19:20], v[25:26]
	v_add_f64 v[11:12], v[11:12], v[27:28]
	s_delay_alu instid0(VALU_DEP_2) | instskip(NEXT) | instid1(VALU_DEP_1)
	v_fma_f64 v[31:32], v[25:26], v[19:20], -v[29:30]
	v_fma_f64 v[31:32], v[25:26], v[9:10], v[31:32]
	s_delay_alu instid0(VALU_DEP_1) | instskip(NEXT) | instid1(VALU_DEP_1)
	v_add_f64 v[33:34], v[29:30], v[31:32]
	v_add_f64 v[35:36], v[23:24], -v[33:34]
	v_add_f64 v[27:28], v[33:34], -v[29:30]
	s_delay_alu instid0(VALU_DEP_2) | instskip(NEXT) | instid1(VALU_DEP_2)
	v_add_f64 v[23:24], v[23:24], -v[35:36]
	v_add_f64 v[27:28], v[27:28], -v[31:32]
	s_delay_alu instid0(VALU_DEP_2) | instskip(NEXT) | instid1(VALU_DEP_1)
	v_add_f64 v[23:24], v[23:24], -v[33:34]
	v_add_f64 v[11:12], v[11:12], v[23:24]
	v_add_f64 v[23:24], v[21:22], v[25:26]
	s_delay_alu instid0(VALU_DEP_2) | instskip(NEXT) | instid1(VALU_DEP_2)
	v_add_f64 v[11:12], v[27:28], v[11:12]
	v_add_f64 v[27:28], v[23:24], -v[21:22]
	s_delay_alu instid0(VALU_DEP_2) | instskip(NEXT) | instid1(VALU_DEP_2)
	v_add_f64 v[11:12], v[35:36], v[11:12]
	v_add_f64 v[25:26], v[25:26], -v[27:28]
	s_delay_alu instid0(VALU_DEP_2) | instskip(NEXT) | instid1(VALU_DEP_1)
	v_mul_f64 v[11:12], v[21:22], v[11:12]
	v_add_f64 v[11:12], v[25:26], v[11:12]
	s_delay_alu instid0(VALU_DEP_1) | instskip(NEXT) | instid1(VALU_DEP_1)
	v_add_f64 v[21:22], v[23:24], v[11:12]
	v_add_f64 v[25:26], v[19:20], v[21:22]
	v_add_f64 v[23:24], v[21:22], -v[23:24]
	v_add_f64 v[29:30], v[19:20], -v[21:22]
	s_delay_alu instid0(VALU_DEP_3) | instskip(NEXT) | instid1(VALU_DEP_3)
	v_add_f64 v[27:28], v[25:26], -v[19:20]
	v_add_f64 v[11:12], v[11:12], -v[23:24]
	s_delay_alu instid0(VALU_DEP_3) | instskip(NEXT) | instid1(VALU_DEP_3)
	;; [unrolled: 3-line block ×3, first 2 shown]
	v_add_f64 v[27:28], v[9:10], v[11:12]
	v_add_f64 v[19:20], v[19:20], -v[21:22]
	s_delay_alu instid0(VALU_DEP_2) | instskip(NEXT) | instid1(VALU_DEP_2)
	v_add_f64 v[23:24], v[27:28], v[23:24]
	v_add_f64 v[9:10], v[9:10], v[19:20]
	s_delay_alu instid0(VALU_DEP_2) | instskip(NEXT) | instid1(VALU_DEP_2)
	v_add_f64 v[27:28], v[25:26], v[23:24]
	v_add_f64 v[9:10], v[9:10], -v[11:12]
	s_delay_alu instid0(VALU_DEP_2) | instskip(SKIP_1) | instid1(VALU_DEP_1)
	v_rcp_f64_e32 v[31:32], v[27:28]
	v_add_f64 v[25:26], v[27:28], -v[25:26]
	v_add_f64 v[23:24], v[23:24], -v[25:26]
	s_waitcnt_depctr 0xfff
	v_fma_f64 v[21:22], -v[27:28], v[31:32], 1.0
	s_delay_alu instid0(VALU_DEP_1) | instskip(SKIP_1) | instid1(VALU_DEP_2)
	v_fma_f64 v[19:20], v[21:22], v[31:32], v[31:32]
	v_add_f64 v[21:22], v[29:30], v[9:10]
	v_fma_f64 v[11:12], -v[27:28], v[19:20], 1.0
	s_delay_alu instid0(VALU_DEP_1) | instskip(NEXT) | instid1(VALU_DEP_1)
	v_fma_f64 v[11:12], v[11:12], v[19:20], v[19:20]
	v_mul_f64 v[19:20], v[21:22], v[11:12]
	s_delay_alu instid0(VALU_DEP_1) | instskip(NEXT) | instid1(VALU_DEP_1)
	v_mul_f64 v[31:32], v[27:28], v[19:20]
	v_fma_f64 v[25:26], v[19:20], v[27:28], -v[31:32]
	s_delay_alu instid0(VALU_DEP_1) | instskip(NEXT) | instid1(VALU_DEP_1)
	v_fma_f64 v[23:24], v[19:20], v[23:24], v[25:26]
	v_add_f64 v[25:26], v[31:32], v[23:24]
	s_delay_alu instid0(VALU_DEP_1) | instskip(SKIP_1) | instid1(VALU_DEP_2)
	v_add_f64 v[27:28], v[21:22], -v[25:26]
	v_add_f64 v[31:32], v[25:26], -v[31:32]
	v_add_f64 v[33:34], v[21:22], -v[27:28]
	v_add_f64 v[21:22], v[21:22], -v[29:30]
	s_delay_alu instid0(VALU_DEP_3) | instskip(NEXT) | instid1(VALU_DEP_3)
	v_add_f64 v[23:24], v[23:24], -v[31:32]
	v_add_f64 v[25:26], v[33:34], -v[25:26]
	s_delay_alu instid0(VALU_DEP_3) | instskip(NEXT) | instid1(VALU_DEP_2)
	v_add_f64 v[9:10], v[9:10], -v[21:22]
	v_add_f64 v[21:22], v[25:26], -v[23:24]
	s_delay_alu instid0(VALU_DEP_1) | instskip(NEXT) | instid1(VALU_DEP_1)
	v_add_f64 v[9:10], v[9:10], v[21:22]
	v_add_f64 v[9:10], v[27:28], v[9:10]
	s_delay_alu instid0(VALU_DEP_1) | instskip(SKIP_1) | instid1(VALU_DEP_2)
	v_mul_f64 v[9:10], v[11:12], v[9:10]
	v_and_b32_e32 v11, 0x7fffffff, v8
	v_add_f64 v[9:10], v[19:20], v[9:10]
	s_delay_alu instid0(VALU_DEP_1) | instskip(NEXT) | instid1(VALU_DEP_2)
	v_cndmask_b32_e64 v10, 0x3ff00000, v10, s2
	v_cndmask_b32_e64 v9, 0, v9, s2
	v_cmp_gt_f64_e64 s2, 0x3e400000, |v[7:8]|
	s_delay_alu instid0(VALU_DEP_1) | instskip(NEXT) | instid1(VALU_DEP_4)
	v_cndmask_b32_e64 v7, v9, v7, s2
	v_cndmask_b32_e64 v9, v10, v11, s2
	s_delay_alu instid0(VALU_DEP_1) | instskip(SKIP_1) | instid1(VALU_DEP_1)
	v_bfi_b32 v8, 0x7fffffff, v9, v8
	v_add_co_u32 v9, s2, v1, s48
	v_add_co_ci_u32_e64 v10, s2, 0, v2, s2
	global_store_b64 v[9:10], v[7:8], off
	s_or_b32 exec_lo, exec_lo, s3
	s_and_saveexec_b32 s2, vcc_lo
	s_cbranch_execz .LBB160_3
.LBB160_19:                             ;   in Loop: Header=BB160_4 Depth=1
	s_waitcnt vmcnt(0)
	v_mul_f64 v[7:8], |v[5:6]|, s[14:15]
	v_cmp_nlt_f64_e64 vcc_lo, 0x40331000, |v[5:6]|
	s_delay_alu instid0(VALU_DEP_2) | instskip(NEXT) | instid1(VALU_DEP_1)
	v_rndne_f64_e32 v[7:8], v[7:8]
	v_fma_f64 v[9:10], v[7:8], s[16:17], |v[5:6]|
	v_mul_f64 v[11:12], v[7:8], s[18:19]
	s_delay_alu instid0(VALU_DEP_2) | instskip(NEXT) | instid1(VALU_DEP_1)
	v_add_f64 v[19:20], v[9:10], 0
	v_add_f64 v[21:22], v[19:20], v[11:12]
	v_add_f64 v[9:10], v[9:10], -v[19:20]
	s_delay_alu instid0(VALU_DEP_2) | instskip(NEXT) | instid1(VALU_DEP_2)
	v_add_f64 v[19:20], v[19:20], -v[21:22]
	v_add_f64 v[9:10], v[9:10], 0
	s_delay_alu instid0(VALU_DEP_2) | instskip(NEXT) | instid1(VALU_DEP_1)
	v_add_f64 v[11:12], v[19:20], v[11:12]
	v_add_f64 v[9:10], v[9:10], v[11:12]
	v_mul_f64 v[11:12], v[7:8], s[20:21]
	s_delay_alu instid0(VALU_DEP_2) | instskip(NEXT) | instid1(VALU_DEP_1)
	v_add_f64 v[19:20], v[21:22], v[9:10]
	v_add_f64 v[23:24], v[19:20], v[11:12]
	v_add_f64 v[21:22], v[21:22], -v[19:20]
	s_delay_alu instid0(VALU_DEP_2) | instskip(NEXT) | instid1(VALU_DEP_2)
	v_add_f64 v[19:20], v[19:20], -v[23:24]
	v_add_f64 v[9:10], v[9:10], v[21:22]
	s_delay_alu instid0(VALU_DEP_2) | instskip(NEXT) | instid1(VALU_DEP_1)
	v_add_f64 v[11:12], v[19:20], v[11:12]
	v_add_f64 v[9:10], v[9:10], v[11:12]
	s_delay_alu instid0(VALU_DEP_1) | instskip(NEXT) | instid1(VALU_DEP_1)
	v_add_f64 v[11:12], v[23:24], v[9:10]
	v_fma_f64 v[19:20], v[11:12], s[24:25], s[22:23]
	v_add_f64 v[21:22], v[23:24], -v[11:12]
	v_mul_f64 v[23:24], v[11:12], v[11:12]
	s_delay_alu instid0(VALU_DEP_3) | instskip(NEXT) | instid1(VALU_DEP_3)
	v_fma_f64 v[19:20], v[11:12], v[19:20], s[26:27]
	v_add_f64 v[9:10], v[9:10], v[21:22]
	s_delay_alu instid0(VALU_DEP_3) | instskip(NEXT) | instid1(VALU_DEP_3)
	v_fma_f64 v[21:22], v[11:12], v[11:12], -v[23:24]
	v_fma_f64 v[19:20], v[11:12], v[19:20], s[28:29]
	s_delay_alu instid0(VALU_DEP_3) | instskip(NEXT) | instid1(VALU_DEP_2)
	v_add_f64 v[25:26], v[9:10], v[9:10]
	v_fma_f64 v[19:20], v[11:12], v[19:20], s[30:31]
	s_delay_alu instid0(VALU_DEP_2) | instskip(NEXT) | instid1(VALU_DEP_2)
	v_fma_f64 v[21:22], v[11:12], v[25:26], v[21:22]
	v_fma_f64 v[19:20], v[11:12], v[19:20], s[34:35]
	s_delay_alu instid0(VALU_DEP_2) | instskip(NEXT) | instid1(VALU_DEP_2)
	v_add_f64 v[25:26], v[23:24], v[21:22]
	v_fma_f64 v[19:20], v[11:12], v[19:20], s[36:37]
	s_delay_alu instid0(VALU_DEP_2) | instskip(NEXT) | instid1(VALU_DEP_2)
	v_add_f64 v[23:24], v[25:26], -v[23:24]
	v_fma_f64 v[19:20], v[11:12], v[19:20], s[38:39]
	s_delay_alu instid0(VALU_DEP_2) | instskip(NEXT) | instid1(VALU_DEP_2)
	v_add_f64 v[21:22], v[21:22], -v[23:24]
	v_fma_f64 v[19:20], v[11:12], v[19:20], s[40:41]
	s_delay_alu instid0(VALU_DEP_1) | instskip(NEXT) | instid1(VALU_DEP_1)
	v_fma_f64 v[19:20], v[11:12], v[19:20], s[42:43]
	v_mul_f64 v[27:28], v[25:26], v[19:20]
	s_delay_alu instid0(VALU_DEP_1) | instskip(NEXT) | instid1(VALU_DEP_1)
	v_fma_f64 v[23:24], v[25:26], v[19:20], -v[27:28]
	v_fma_f64 v[19:20], v[21:22], v[19:20], v[23:24]
	s_delay_alu instid0(VALU_DEP_1) | instskip(NEXT) | instid1(VALU_DEP_1)
	v_add_f64 v[21:22], v[27:28], v[19:20]
	v_add_f64 v[23:24], v[11:12], v[21:22]
	v_add_f64 v[25:26], v[21:22], -v[27:28]
	s_delay_alu instid0(VALU_DEP_2) | instskip(NEXT) | instid1(VALU_DEP_2)
	v_add_f64 v[11:12], v[23:24], -v[11:12]
	v_add_f64 v[19:20], v[19:20], -v[25:26]
	v_cvt_i32_f64_e32 v25, v[7:8]
	s_delay_alu instid0(VALU_DEP_3) | instskip(NEXT) | instid1(VALU_DEP_3)
	v_add_f64 v[11:12], v[21:22], -v[11:12]
	v_add_f64 v[9:10], v[9:10], v[19:20]
	s_delay_alu instid0(VALU_DEP_1) | instskip(NEXT) | instid1(VALU_DEP_1)
	v_add_f64 v[9:10], v[9:10], v[11:12]
	v_add_f64 v[11:12], v[23:24], v[9:10]
	s_delay_alu instid0(VALU_DEP_1) | instskip(SKIP_1) | instid1(VALU_DEP_2)
	v_add_f64 v[19:20], v[11:12], 1.0
	v_add_f64 v[21:22], v[11:12], -v[23:24]
	v_add_f64 v[23:24], v[19:20], -1.0
	s_delay_alu instid0(VALU_DEP_2) | instskip(NEXT) | instid1(VALU_DEP_2)
	v_add_f64 v[9:10], v[9:10], -v[21:22]
	v_add_f64 v[11:12], v[11:12], -v[23:24]
	s_delay_alu instid0(VALU_DEP_1) | instskip(NEXT) | instid1(VALU_DEP_1)
	v_add_f64 v[9:10], v[9:10], v[11:12]
	v_add_f64 v[7:8], v[19:20], v[9:10]
	s_delay_alu instid0(VALU_DEP_1) | instskip(SKIP_1) | instid1(VALU_DEP_2)
	v_ldexp_f64 v[11:12], v[7:8], v25
	v_add_f64 v[7:8], v[7:8], -v[19:20]
	v_rcp_f64_e32 v[21:22], v[11:12]
	s_delay_alu instid0(VALU_DEP_1) | instskip(NEXT) | instid1(VALU_DEP_1)
	v_add_f64 v[7:8], v[9:10], -v[7:8]
	v_ldexp_f64 v[7:8], v[7:8], v25
	s_waitcnt_depctr 0xfff
	v_fma_f64 v[23:24], -v[11:12], v[21:22], 1.0
	s_delay_alu instid0(VALU_DEP_1) | instskip(NEXT) | instid1(VALU_DEP_1)
	v_fma_f64 v[21:22], v[23:24], v[21:22], v[21:22]
	v_fma_f64 v[23:24], -v[11:12], v[21:22], 1.0
	s_delay_alu instid0(VALU_DEP_1) | instskip(NEXT) | instid1(VALU_DEP_1)
	v_fma_f64 v[19:20], v[23:24], v[21:22], v[21:22]
	v_mul_f64 v[9:10], v[11:12], v[19:20]
	s_delay_alu instid0(VALU_DEP_1) | instskip(NEXT) | instid1(VALU_DEP_1)
	v_fma_f64 v[21:22], v[19:20], v[11:12], -v[9:10]
	v_fma_f64 v[21:22], v[19:20], v[7:8], v[21:22]
	s_delay_alu instid0(VALU_DEP_1) | instskip(NEXT) | instid1(VALU_DEP_1)
	v_add_f64 v[23:24], v[9:10], v[21:22]
	v_add_f64 v[25:26], -v[23:24], 1.0
	v_add_f64 v[9:10], v[23:24], -v[9:10]
	s_delay_alu instid0(VALU_DEP_2) | instskip(NEXT) | instid1(VALU_DEP_2)
	v_add_f64 v[27:28], -v[25:26], 1.0
	v_add_f64 v[9:10], v[9:10], -v[21:22]
	s_delay_alu instid0(VALU_DEP_2) | instskip(NEXT) | instid1(VALU_DEP_1)
	v_add_f64 v[21:22], v[27:28], -v[23:24]
	v_add_f64 v[9:10], v[9:10], v[21:22]
	s_delay_alu instid0(VALU_DEP_1) | instskip(NEXT) | instid1(VALU_DEP_1)
	v_add_f64 v[21:22], v[25:26], v[9:10]
	v_mul_f64 v[23:24], v[19:20], v[21:22]
	v_add_f64 v[25:26], v[25:26], -v[21:22]
	s_delay_alu instid0(VALU_DEP_2) | instskip(NEXT) | instid1(VALU_DEP_2)
	v_mul_f64 v[27:28], v[11:12], v[23:24]
	v_add_f64 v[9:10], v[9:10], v[25:26]
	s_delay_alu instid0(VALU_DEP_2) | instskip(NEXT) | instid1(VALU_DEP_1)
	v_fma_f64 v[29:30], v[23:24], v[11:12], -v[27:28]
	v_fma_f64 v[29:30], v[23:24], v[7:8], v[29:30]
	s_delay_alu instid0(VALU_DEP_1) | instskip(NEXT) | instid1(VALU_DEP_1)
	v_add_f64 v[31:32], v[27:28], v[29:30]
	v_add_f64 v[33:34], v[21:22], -v[31:32]
	v_add_f64 v[25:26], v[31:32], -v[27:28]
	s_delay_alu instid0(VALU_DEP_2) | instskip(NEXT) | instid1(VALU_DEP_2)
	v_add_f64 v[21:22], v[21:22], -v[33:34]
	v_add_f64 v[25:26], v[25:26], -v[29:30]
	s_delay_alu instid0(VALU_DEP_2) | instskip(NEXT) | instid1(VALU_DEP_1)
	v_add_f64 v[21:22], v[21:22], -v[31:32]
	v_add_f64 v[9:10], v[9:10], v[21:22]
	v_add_f64 v[21:22], v[19:20], v[23:24]
	s_delay_alu instid0(VALU_DEP_2) | instskip(NEXT) | instid1(VALU_DEP_2)
	v_add_f64 v[9:10], v[25:26], v[9:10]
	v_add_f64 v[25:26], v[21:22], -v[19:20]
	s_delay_alu instid0(VALU_DEP_2) | instskip(NEXT) | instid1(VALU_DEP_2)
	v_add_f64 v[9:10], v[33:34], v[9:10]
	v_add_f64 v[23:24], v[23:24], -v[25:26]
	s_delay_alu instid0(VALU_DEP_2) | instskip(NEXT) | instid1(VALU_DEP_1)
	v_mul_f64 v[9:10], v[19:20], v[9:10]
	v_add_f64 v[9:10], v[23:24], v[9:10]
	s_delay_alu instid0(VALU_DEP_1) | instskip(NEXT) | instid1(VALU_DEP_1)
	v_add_f64 v[19:20], v[21:22], v[9:10]
	v_add_f64 v[23:24], v[11:12], v[19:20]
	v_add_f64 v[21:22], v[19:20], -v[21:22]
	v_add_f64 v[27:28], v[11:12], -v[19:20]
	s_delay_alu instid0(VALU_DEP_3) | instskip(NEXT) | instid1(VALU_DEP_3)
	v_add_f64 v[25:26], v[23:24], -v[11:12]
	v_add_f64 v[9:10], v[9:10], -v[21:22]
	s_delay_alu instid0(VALU_DEP_3) | instskip(NEXT) | instid1(VALU_DEP_3)
	;; [unrolled: 3-line block ×3, first 2 shown]
	v_add_f64 v[25:26], v[7:8], v[9:10]
	v_add_f64 v[11:12], v[11:12], -v[19:20]
	s_delay_alu instid0(VALU_DEP_2) | instskip(NEXT) | instid1(VALU_DEP_2)
	v_add_f64 v[21:22], v[25:26], v[21:22]
	v_add_f64 v[7:8], v[7:8], v[11:12]
	s_delay_alu instid0(VALU_DEP_2) | instskip(NEXT) | instid1(VALU_DEP_2)
	v_add_f64 v[25:26], v[23:24], v[21:22]
	v_add_f64 v[7:8], v[7:8], -v[9:10]
	s_delay_alu instid0(VALU_DEP_2) | instskip(SKIP_1) | instid1(VALU_DEP_1)
	v_rcp_f64_e32 v[29:30], v[25:26]
	v_add_f64 v[23:24], v[25:26], -v[23:24]
	v_add_f64 v[21:22], v[21:22], -v[23:24]
	s_waitcnt_depctr 0xfff
	v_fma_f64 v[19:20], -v[25:26], v[29:30], 1.0
	s_delay_alu instid0(VALU_DEP_1) | instskip(SKIP_1) | instid1(VALU_DEP_2)
	v_fma_f64 v[11:12], v[19:20], v[29:30], v[29:30]
	v_add_f64 v[19:20], v[27:28], v[7:8]
	v_fma_f64 v[9:10], -v[25:26], v[11:12], 1.0
	s_delay_alu instid0(VALU_DEP_1) | instskip(NEXT) | instid1(VALU_DEP_1)
	v_fma_f64 v[9:10], v[9:10], v[11:12], v[11:12]
	v_mul_f64 v[11:12], v[19:20], v[9:10]
	s_delay_alu instid0(VALU_DEP_1) | instskip(NEXT) | instid1(VALU_DEP_1)
	v_mul_f64 v[29:30], v[25:26], v[11:12]
	v_fma_f64 v[23:24], v[11:12], v[25:26], -v[29:30]
	s_delay_alu instid0(VALU_DEP_1) | instskip(NEXT) | instid1(VALU_DEP_1)
	v_fma_f64 v[21:22], v[11:12], v[21:22], v[23:24]
	v_add_f64 v[23:24], v[29:30], v[21:22]
	s_delay_alu instid0(VALU_DEP_1) | instskip(SKIP_1) | instid1(VALU_DEP_2)
	v_add_f64 v[25:26], v[19:20], -v[23:24]
	v_add_f64 v[29:30], v[23:24], -v[29:30]
	;; [unrolled: 1-line block ×4, first 2 shown]
	s_delay_alu instid0(VALU_DEP_3) | instskip(NEXT) | instid1(VALU_DEP_3)
	v_add_f64 v[21:22], v[21:22], -v[29:30]
	v_add_f64 v[23:24], v[31:32], -v[23:24]
	s_delay_alu instid0(VALU_DEP_3) | instskip(NEXT) | instid1(VALU_DEP_2)
	v_add_f64 v[7:8], v[7:8], -v[19:20]
	v_add_f64 v[19:20], v[23:24], -v[21:22]
	s_delay_alu instid0(VALU_DEP_1) | instskip(NEXT) | instid1(VALU_DEP_1)
	v_add_f64 v[7:8], v[7:8], v[19:20]
	v_add_f64 v[7:8], v[25:26], v[7:8]
	s_delay_alu instid0(VALU_DEP_1) | instskip(SKIP_1) | instid1(VALU_DEP_2)
	v_mul_f64 v[7:8], v[9:10], v[7:8]
	v_and_b32_e32 v9, 0x7fffffff, v6
	v_add_f64 v[7:8], v[11:12], v[7:8]
	s_delay_alu instid0(VALU_DEP_1) | instskip(NEXT) | instid1(VALU_DEP_2)
	v_cndmask_b32_e32 v8, 0x3ff00000, v8, vcc_lo
	v_cndmask_b32_e32 v7, 0, v7, vcc_lo
	v_cmp_gt_f64_e64 vcc_lo, 0x3e400000, |v[5:6]|
	s_delay_alu instid0(VALU_DEP_2) | instskip(NEXT) | instid1(VALU_DEP_4)
	v_cndmask_b32_e32 v5, v7, v5, vcc_lo
	v_cndmask_b32_e32 v7, v8, v9, vcc_lo
	s_delay_alu instid0(VALU_DEP_1)
	v_bfi_b32 v6, 0x7fffffff, v7, v6
	v_add_co_u32 v7, vcc_lo, v1, s47
	v_add_co_ci_u32_e32 v8, vcc_lo, 0, v2, vcc_lo
	global_store_b64 v[7:8], v[5:6], off
	s_branch .LBB160_3
.LBB160_20:
	s_cbranch_execz .LBB160_22
	s_branch .LBB160_25
.LBB160_21:
.LBB160_22:
	s_waitcnt vmcnt(0)
	v_dual_mov_b32 v9, 0 :: v_dual_lshlrev_b32 v8, 2, v0
	s_mov_b32 s33, 0
	s_mov_b32 s2, exec_lo
	s_delay_alu instid0(VALU_DEP_1)
	v_cmpx_gt_i64_e64 s[6:7], v[8:9]
	s_cbranch_execz .LBB160_25
; %bb.23:
	s_load_b32 s0, s[0:1], 0xd3c
	v_lshlrev_b32_e32 v1, 5, v0
	s_mov_b32 s4, 0x652b82fe
	s_mov_b32 s12, 0xfefa3000
	;; [unrolled: 1-line block ×18, first 2 shown]
	s_waitcnt lgkmcnt(0)
	s_and_b32 s0, s0, 0xffff
	s_mov_b32 s23, 0x3ec71dee
	s_lshl_b32 s36, s0, 2
	s_add_u32 s1, s8, s10
	v_add_lshl_u32 v8, v0, s0, 2
	s_addc_u32 s2, s9, s11
	v_add_co_u32 v0, s1, s1, v1
	s_delay_alu instid0(VALU_DEP_1) | instskip(SKIP_1) | instid1(VALU_DEP_2)
	v_add_co_ci_u32_e64 v1, null, s2, 0, s1
	s_mov_b32 s8, 0x14761f6e
	v_add_co_u32 v10, vcc_lo, v0, 16
	s_delay_alu instid0(VALU_DEP_2)
	v_add_co_ci_u32_e32 v11, vcc_lo, 0, v1, vcc_lo
	s_mov_b32 s10, 0x1852b7b0
	s_mov_b32 s25, 0x3efa0199
	;; [unrolled: 1-line block ×8, first 2 shown]
	s_lshl_b32 s37, s0, 5
.LBB160_24:                             ; =>This Inner Loop Header: Depth=1
	s_clause 0x1
	global_load_b128 v[4:7], v[10:11], off offset:-16
	global_load_b128 v[0:3], v[10:11], off
	v_cmp_le_i64_e64 s3, s[6:7], v[8:9]
	s_waitcnt vmcnt(1)
	v_mul_f64 v[12:13], |v[4:5]|, s[4:5]
	v_mul_f64 v[14:15], |v[6:7]|, s[4:5]
	s_waitcnt vmcnt(0)
	v_mul_f64 v[16:17], |v[0:1]|, s[4:5]
	v_mul_f64 v[20:21], |v[2:3]|, s[4:5]
	v_cmp_nlt_f64_e64 vcc_lo, 0x40331000, |v[4:5]|
	v_cmp_nlt_f64_e64 s0, 0x40331000, |v[6:7]|
	v_cmp_nlt_f64_e64 s1, 0x40331000, |v[0:1]|
	;; [unrolled: 1-line block ×3, first 2 shown]
	v_rndne_f64_e32 v[12:13], v[12:13]
	v_rndne_f64_e32 v[14:15], v[14:15]
	;; [unrolled: 1-line block ×4, first 2 shown]
	s_delay_alu instid0(VALU_DEP_4) | instskip(NEXT) | instid1(VALU_DEP_4)
	v_fma_f64 v[18:19], v[12:13], s[12:13], |v[4:5]|
	v_fma_f64 v[22:23], v[14:15], s[12:13], |v[6:7]|
	v_mul_f64 v[24:25], v[12:13], s[14:15]
	v_mul_f64 v[28:29], v[14:15], s[14:15]
	v_fma_f64 v[32:33], v[16:17], s[12:13], |v[0:1]|
	v_fma_f64 v[36:37], v[20:21], s[12:13], |v[2:3]|
	v_mul_f64 v[40:41], v[16:17], s[14:15]
	v_mul_f64 v[42:43], v[20:21], s[14:15]
	;; [unrolled: 1-line block ×3, first 2 shown]
	v_add_f64 v[26:27], v[18:19], 0
	v_add_f64 v[30:31], v[22:23], 0
	;; [unrolled: 1-line block ×4, first 2 shown]
	s_delay_alu instid0(VALU_DEP_4) | instskip(NEXT) | instid1(VALU_DEP_4)
	v_add_f64 v[34:35], v[26:27], -v[24:25]
	v_add_f64 v[38:39], v[30:31], -v[28:29]
	;; [unrolled: 1-line block ×8, first 2 shown]
	v_add_f64 v[18:19], v[18:19], 0
	v_add_f64 v[22:23], v[22:23], 0
	;; [unrolled: 1-line block ×3, first 2 shown]
	v_add_f64 v[24:25], v[26:27], -v[24:25]
	v_add_f64 v[26:27], v[46:47], -v[42:43]
	;; [unrolled: 1-line block ×5, first 2 shown]
	v_add_f64 v[18:19], v[18:19], v[24:25]
	v_add_f64 v[24:25], v[46:47], -v[26:27]
	v_add_f64 v[22:23], v[22:23], v[28:29]
	v_mul_f64 v[28:29], v[12:13], s[16:17]
	v_add_f64 v[30:31], v[30:31], 0
	v_add_f64 v[32:33], v[32:33], -v[40:41]
	v_mul_f64 v[46:47], v[16:17], s[16:17]
	v_add_f64 v[40:41], v[34:35], v[18:19]
	v_add_f64 v[24:25], v[24:25], -v[42:43]
	v_mul_f64 v[42:43], v[14:15], s[16:17]
	v_add_f64 v[44:45], v[38:39], v[22:23]
	v_add_f64 v[30:31], v[30:31], v[32:33]
	v_add_f64 v[32:33], v[40:41], -v[28:29]
	v_add_f64 v[24:25], v[36:37], v[24:25]
	v_add_f64 v[34:35], v[34:35], -v[40:41]
	v_add_f64 v[36:37], v[44:45], -v[42:43]
	;; [unrolled: 1-line block ×3, first 2 shown]
	v_add_f64 v[52:53], v[48:49], v[30:31]
	v_add_f64 v[40:41], v[40:41], -v[32:33]
	v_add_f64 v[54:55], v[26:27], v[24:25]
	v_add_f64 v[18:19], v[18:19], v[34:35]
	v_add_f64 v[44:45], v[44:45], -v[36:37]
	v_add_f64 v[22:23], v[22:23], v[38:39]
	v_add_f64 v[56:57], v[52:53], -v[46:47]
	v_add_f64 v[28:29], v[40:41], -v[28:29]
	;; [unrolled: 1-line block ×7, first 2 shown]
	v_add_f64 v[18:19], v[18:19], v[28:29]
	v_add_f64 v[28:29], v[54:55], -v[34:35]
	v_add_f64 v[30:31], v[30:31], v[40:41]
	v_add_f64 v[22:23], v[22:23], v[38:39]
	;; [unrolled: 1-line block ×3, first 2 shown]
	v_add_f64 v[38:39], v[42:43], -v[46:47]
	v_add_f64 v[40:41], v[32:33], v[18:19]
	v_add_f64 v[26:27], v[28:29], -v[50:51]
	v_add_f64 v[28:29], v[36:37], v[22:23]
	s_delay_alu instid0(VALU_DEP_4) | instskip(NEXT) | instid1(VALU_DEP_4)
	v_add_f64 v[30:31], v[30:31], v[38:39]
	v_fma_f64 v[38:39], v[40:41], s[20:21], s[18:19]
	s_delay_alu instid0(VALU_DEP_4)
	v_add_f64 v[24:25], v[24:25], v[26:27]
	v_add_f64 v[32:33], v[32:33], -v[40:41]
	v_fma_f64 v[26:27], v[28:29], s[20:21], s[18:19]
	v_add_f64 v[36:37], v[36:37], -v[28:29]
	v_add_f64 v[42:43], v[56:57], v[30:31]
	v_mul_f64 v[50:51], v[40:41], v[40:41]
	v_mul_f64 v[52:53], v[28:29], v[28:29]
	v_fma_f64 v[38:39], v[40:41], v[38:39], s[22:23]
	v_add_f64 v[44:45], v[34:35], v[24:25]
	v_add_f64 v[18:19], v[18:19], v[32:33]
	v_fma_f64 v[26:27], v[28:29], v[26:27], s[22:23]
	v_add_f64 v[22:23], v[22:23], v[36:37]
	v_fma_f64 v[46:47], v[42:43], s[20:21], s[18:19]
	v_mul_f64 v[60:61], v[42:43], v[42:43]
	v_fma_f64 v[54:55], v[28:29], v[28:29], -v[52:53]
	v_fma_f64 v[38:39], v[40:41], v[38:39], s[24:25]
	v_fma_f64 v[48:49], v[44:45], s[20:21], s[18:19]
	v_add_f64 v[34:35], v[34:35], -v[44:45]
	v_fma_f64 v[26:27], v[28:29], v[26:27], s[24:25]
	v_add_f64 v[58:59], v[22:23], v[22:23]
	v_fma_f64 v[46:47], v[42:43], v[46:47], s[22:23]
	v_mul_f64 v[62:63], v[44:45], v[44:45]
	v_fma_f64 v[38:39], v[40:41], v[38:39], s[8:9]
	v_fma_f64 v[48:49], v[44:45], v[48:49], s[22:23]
	v_add_f64 v[24:25], v[24:25], v[34:35]
	v_fma_f64 v[26:27], v[28:29], v[26:27], s[8:9]
	v_fma_f64 v[46:47], v[42:43], v[46:47], s[24:25]
	;; [unrolled: 1-line block ×4, first 2 shown]
	s_delay_alu instid0(VALU_DEP_4) | instskip(NEXT) | instid1(VALU_DEP_4)
	v_fma_f64 v[26:27], v[28:29], v[26:27], s[10:11]
	v_fma_f64 v[46:47], v[42:43], v[46:47], s[8:9]
	s_delay_alu instid0(VALU_DEP_4) | instskip(NEXT) | instid1(VALU_DEP_4)
	v_fma_f64 v[32:33], v[40:41], v[38:39], s[26:27]
	v_fma_f64 v[36:37], v[44:45], v[48:49], s[8:9]
	v_add_f64 v[38:39], v[56:57], -v[42:43]
	v_fma_f64 v[26:27], v[28:29], v[26:27], s[26:27]
	v_fma_f64 v[48:49], v[40:41], v[40:41], -v[50:51]
	v_fma_f64 v[46:47], v[42:43], v[46:47], s[10:11]
	v_add_f64 v[56:57], v[18:19], v[18:19]
	v_fma_f64 v[32:33], v[40:41], v[32:33], s[28:29]
	v_fma_f64 v[36:37], v[44:45], v[36:37], s[10:11]
	v_add_f64 v[30:31], v[30:31], v[38:39]
	v_fma_f64 v[26:27], v[28:29], v[26:27], s[28:29]
	v_fma_f64 v[34:35], v[42:43], v[46:47], s[26:27]
	;; [unrolled: 1-line block ×4, first 2 shown]
	v_fma_f64 v[48:49], v[42:43], v[42:43], -v[60:61]
	v_fma_f64 v[54:55], v[44:45], v[44:45], -v[62:63]
	v_add_f64 v[58:59], v[24:25], v[24:25]
	v_fma_f64 v[32:33], v[40:41], v[32:33], s[30:31]
	v_fma_f64 v[36:37], v[44:45], v[36:37], s[26:27]
	v_add_f64 v[56:57], v[30:31], v[30:31]
	v_fma_f64 v[26:27], v[28:29], v[26:27], s[30:31]
	v_fma_f64 v[34:35], v[42:43], v[34:35], s[28:29]
	v_add_f64 v[64:65], v[50:51], v[38:39]
	v_add_f64 v[66:67], v[52:53], v[46:47]
	v_fma_f64 v[54:55], v[44:45], v[58:59], v[54:55]
	v_fma_f64 v[32:33], v[40:41], v[32:33], s[34:35]
	;; [unrolled: 1-line block ×6, first 2 shown]
	v_add_f64 v[50:51], v[64:65], -v[50:51]
	v_add_f64 v[52:53], v[66:67], -v[52:53]
	v_add_f64 v[70:71], v[62:63], v[54:55]
	v_mul_f64 v[56:57], v[64:65], v[32:33]
	v_fma_f64 v[36:37], v[44:45], v[36:37], s[30:31]
	v_add_f64 v[68:69], v[60:61], v[48:49]
	v_mul_f64 v[58:59], v[66:67], v[26:27]
	v_fma_f64 v[34:35], v[42:43], v[34:35], s[34:35]
	v_add_f64 v[38:39], v[38:39], -v[50:51]
	v_add_f64 v[46:47], v[46:47], -v[52:53]
	v_fma_f64 v[50:51], v[64:65], v[32:33], -v[56:57]
	v_fma_f64 v[36:37], v[44:45], v[36:37], s[34:35]
	v_add_f64 v[60:61], v[68:69], -v[60:61]
	v_fma_f64 v[52:53], v[66:67], v[26:27], -v[58:59]
	v_mul_f64 v[64:65], v[68:69], v[34:35]
	v_fma_f64 v[32:33], v[38:39], v[32:33], v[50:51]
	v_add_f64 v[38:39], v[70:71], -v[62:63]
	v_mul_f64 v[50:51], v[70:71], v[36:37]
	v_fma_f64 v[26:27], v[46:47], v[26:27], v[52:53]
	v_add_f64 v[46:47], v[48:49], -v[60:61]
	v_fma_f64 v[48:49], v[68:69], v[34:35], -v[64:65]
	v_cvt_i32_f64_e32 v62, v[16:17]
	v_cvt_i32_f64_e32 v63, v[20:21]
	v_add_f64 v[52:53], v[56:57], v[32:33]
	v_add_f64 v[38:39], v[54:55], -v[38:39]
	v_fma_f64 v[54:55], v[70:71], v[36:37], -v[50:51]
	v_add_f64 v[60:61], v[58:59], v[26:27]
	v_fma_f64 v[34:35], v[46:47], v[34:35], v[48:49]
	v_add_f64 v[46:47], v[40:41], v[52:53]
	v_add_f64 v[48:49], v[52:53], -v[56:57]
	v_fma_f64 v[36:37], v[38:39], v[36:37], v[54:55]
	v_add_f64 v[38:39], v[28:29], v[60:61]
	v_add_f64 v[54:55], v[60:61], -v[58:59]
	v_add_f64 v[56:57], v[64:65], v[34:35]
	v_add_f64 v[40:41], v[46:47], -v[40:41]
	v_add_f64 v[32:33], v[32:33], -v[48:49]
	v_add_f64 v[48:49], v[50:51], v[36:37]
	v_add_f64 v[28:29], v[38:39], -v[28:29]
	v_add_f64 v[26:27], v[26:27], -v[54:55]
	v_add_f64 v[54:55], v[56:57], -v[64:65]
	v_add_f64 v[58:59], v[42:43], v[56:57]
	v_add_f64 v[40:41], v[52:53], -v[40:41]
	v_add_f64 v[18:19], v[18:19], v[32:33]
	v_add_f64 v[32:33], v[44:45], v[48:49]
	v_add_f64 v[28:29], v[60:61], -v[28:29]
	v_add_f64 v[22:23], v[22:23], v[26:27]
	v_add_f64 v[26:27], v[48:49], -v[50:51]
	v_add_f64 v[42:43], v[58:59], -v[42:43]
	;; [unrolled: 1-line block ×3, first 2 shown]
	v_cvt_i32_f64_e32 v60, v[12:13]
	v_cvt_i32_f64_e32 v61, v[14:15]
	v_add_f64 v[18:19], v[18:19], v[40:41]
	v_add_f64 v[40:41], v[32:33], -v[44:45]
	v_add_f64 v[22:23], v[22:23], v[28:29]
	v_add_f64 v[26:27], v[36:37], -v[26:27]
	v_add_f64 v[28:29], v[56:57], -v[42:43]
	v_add_f64 v[30:31], v[30:31], v[34:35]
	v_add_f64 v[36:37], v[46:47], v[18:19]
	v_add_f64 v[34:35], v[48:49], -v[40:41]
	v_add_f64 v[40:41], v[38:39], v[22:23]
	v_add_f64 v[24:25], v[24:25], v[26:27]
	;; [unrolled: 1-line block ×3, first 2 shown]
	v_add_f64 v[26:27], v[36:37], 1.0
	s_delay_alu instid0(VALU_DEP_4) | instskip(NEXT) | instid1(VALU_DEP_4)
	v_add_f64 v[30:31], v[40:41], 1.0
	v_add_f64 v[24:25], v[24:25], v[34:35]
	v_add_f64 v[34:35], v[36:37], -v[46:47]
	v_add_f64 v[44:45], v[58:59], v[28:29]
	v_add_f64 v[38:39], v[40:41], -v[38:39]
	v_add_f64 v[42:43], v[26:27], -1.0
	v_add_f64 v[46:47], v[30:31], -1.0
	v_add_f64 v[48:49], v[32:33], v[24:25]
	v_add_f64 v[18:19], v[18:19], -v[34:35]
	v_add_f64 v[22:23], v[22:23], -v[38:39]
	;; [unrolled: 1-line block ×3, first 2 shown]
	v_add_f64 v[36:37], v[44:45], 1.0
	v_add_f64 v[42:43], v[44:45], -v[58:59]
	v_add_f64 v[38:39], v[40:41], -v[46:47]
	v_add_f64 v[40:41], v[48:49], 1.0
	v_add_f64 v[32:33], v[48:49], -v[32:33]
	v_add_f64 v[18:19], v[18:19], v[34:35]
	v_add_f64 v[34:35], v[36:37], -1.0
	v_add_f64 v[12:13], v[28:29], -v[42:43]
	v_add_f64 v[22:23], v[22:23], v[38:39]
	v_add_f64 v[38:39], v[40:41], -1.0
	v_add_f64 v[24:25], v[24:25], -v[32:33]
	v_add_f64 v[14:15], v[26:27], v[18:19]
	v_add_f64 v[28:29], v[44:45], -v[34:35]
	v_add_f64 v[32:33], v[30:31], v[22:23]
	v_add_f64 v[34:35], v[48:49], -v[38:39]
	s_delay_alu instid0(VALU_DEP_4) | instskip(NEXT) | instid1(VALU_DEP_4)
	v_ldexp_f64 v[38:39], v[14:15], v60
	v_add_f64 v[12:13], v[12:13], v[28:29]
	v_add_f64 v[14:15], v[14:15], -v[26:27]
	v_ldexp_f64 v[28:29], v[32:33], v61
	v_add_f64 v[24:25], v[24:25], v[34:35]
	v_add_f64 v[30:31], v[32:33], -v[30:31]
	v_rcp_f64_e32 v[16:17], v[38:39]
	v_add_f64 v[34:35], v[36:37], v[12:13]
	v_add_f64 v[14:15], v[18:19], -v[14:15]
	v_rcp_f64_e32 v[20:21], v[28:29]
	s_delay_alu instid0(VALU_DEP_4) | instskip(NEXT) | instid1(VALU_DEP_4)
	v_add_f64 v[42:43], v[40:41], v[24:25]
	v_add_f64 v[22:23], v[22:23], -v[30:31]
	s_delay_alu instid0(VALU_DEP_4) | instskip(NEXT) | instid1(TRANS32_DEP_2)
	v_ldexp_f64 v[44:45], v[34:35], v62
	v_fma_f64 v[46:47], -v[38:39], v[16:17], 1.0
	v_add_f64 v[34:35], v[34:35], -v[36:37]
	v_ldexp_f64 v[48:49], v[42:43], v63
	s_delay_alu instid0(TRANS32_DEP_1)
	v_fma_f64 v[50:51], -v[28:29], v[20:21], 1.0
	v_add_f64 v[36:37], v[42:43], -v[40:41]
	v_ldexp_f64 v[14:15], v[14:15], v60
	v_ldexp_f64 v[22:23], v[22:23], v61
	v_rcp_f64_e32 v[52:53], v[44:45]
	v_fma_f64 v[16:17], v[46:47], v[16:17], v[16:17]
	v_add_f64 v[12:13], v[12:13], -v[34:35]
	v_rcp_f64_e32 v[46:47], v[48:49]
	v_fma_f64 v[20:21], v[50:51], v[20:21], v[20:21]
	v_add_f64 v[24:25], v[24:25], -v[36:37]
	s_delay_alu instid0(VALU_DEP_4) | instskip(NEXT) | instid1(TRANS32_DEP_2)
	v_fma_f64 v[50:51], -v[38:39], v[16:17], 1.0
	v_fma_f64 v[54:55], -v[44:45], v[52:53], 1.0
	v_ldexp_f64 v[12:13], v[12:13], v62
	v_fma_f64 v[56:57], -v[28:29], v[20:21], 1.0
	s_delay_alu instid0(TRANS32_DEP_1)
	v_fma_f64 v[58:59], -v[48:49], v[46:47], 1.0
	v_ldexp_f64 v[24:25], v[24:25], v63
	v_fma_f64 v[16:17], v[50:51], v[16:17], v[16:17]
	v_fma_f64 v[26:27], v[54:55], v[52:53], v[52:53]
	;; [unrolled: 1-line block ×4, first 2 shown]
	s_delay_alu instid0(VALU_DEP_4) | instskip(NEXT) | instid1(VALU_DEP_4)
	v_mul_f64 v[18:19], v[38:39], v[16:17]
	v_fma_f64 v[46:47], -v[44:45], v[26:27], 1.0
	s_delay_alu instid0(VALU_DEP_4) | instskip(NEXT) | instid1(VALU_DEP_4)
	v_mul_f64 v[30:31], v[28:29], v[20:21]
	v_fma_f64 v[50:51], -v[48:49], v[32:33], 1.0
	s_delay_alu instid0(VALU_DEP_4) | instskip(NEXT) | instid1(VALU_DEP_4)
	v_fma_f64 v[40:41], v[16:17], v[38:39], -v[18:19]
	v_fma_f64 v[26:27], v[46:47], v[26:27], v[26:27]
	s_delay_alu instid0(VALU_DEP_4) | instskip(NEXT) | instid1(VALU_DEP_4)
	v_fma_f64 v[42:43], v[20:21], v[28:29], -v[30:31]
	v_fma_f64 v[32:33], v[50:51], v[32:33], v[32:33]
	s_delay_alu instid0(VALU_DEP_4) | instskip(NEXT) | instid1(VALU_DEP_4)
	v_fma_f64 v[34:35], v[16:17], v[14:15], v[40:41]
	v_mul_f64 v[40:41], v[44:45], v[26:27]
	s_delay_alu instid0(VALU_DEP_4) | instskip(NEXT) | instid1(VALU_DEP_4)
	v_fma_f64 v[36:37], v[20:21], v[22:23], v[42:43]
	v_mul_f64 v[42:43], v[48:49], v[32:33]
	s_delay_alu instid0(VALU_DEP_4) | instskip(NEXT) | instid1(VALU_DEP_4)
	v_add_f64 v[46:47], v[18:19], v[34:35]
	v_fma_f64 v[50:51], v[26:27], v[44:45], -v[40:41]
	s_delay_alu instid0(VALU_DEP_4) | instskip(NEXT) | instid1(VALU_DEP_4)
	v_add_f64 v[52:53], v[30:31], v[36:37]
	v_fma_f64 v[54:55], v[32:33], v[48:49], -v[42:43]
	s_delay_alu instid0(VALU_DEP_4) | instskip(NEXT) | instid1(VALU_DEP_4)
	v_add_f64 v[56:57], -v[46:47], 1.0
	v_fma_f64 v[50:51], v[26:27], v[12:13], v[50:51]
	v_add_f64 v[18:19], v[46:47], -v[18:19]
	v_add_f64 v[58:59], -v[52:53], 1.0
	v_fma_f64 v[54:55], v[32:33], v[24:25], v[54:55]
	v_add_f64 v[30:31], v[52:53], -v[30:31]
	v_add_f64 v[60:61], -v[56:57], 1.0
	v_add_f64 v[62:63], v[40:41], v[50:51]
	v_add_f64 v[18:19], v[18:19], -v[34:35]
	v_add_f64 v[64:65], -v[58:59], 1.0
	v_add_f64 v[66:67], v[42:43], v[54:55]
	v_add_f64 v[30:31], v[30:31], -v[36:37]
	v_add_f64 v[34:35], v[60:61], -v[46:47]
	v_add_f64 v[46:47], -v[62:63], 1.0
	v_add_f64 v[40:41], v[62:63], -v[40:41]
	v_add_f64 v[36:37], v[64:65], -v[52:53]
	v_add_f64 v[52:53], -v[66:67], 1.0
	v_add_f64 v[42:43], v[66:67], -v[42:43]
	v_add_f64 v[18:19], v[18:19], v[34:35]
	v_add_f64 v[34:35], -v[46:47], 1.0
	v_add_f64 v[40:41], v[40:41], -v[50:51]
	v_add_f64 v[30:31], v[30:31], v[36:37]
	;; [unrolled: 3-line block ×3, first 2 shown]
	v_add_f64 v[34:35], v[34:35], -v[62:63]
	v_add_f64 v[54:55], v[58:59], v[30:31]
	v_add_f64 v[36:37], v[36:37], -v[66:67]
	s_delay_alu instid0(VALU_DEP_4) | instskip(NEXT) | instid1(VALU_DEP_4)
	v_mul_f64 v[60:61], v[16:17], v[50:51]
	v_add_f64 v[34:35], v[40:41], v[34:35]
	v_add_f64 v[56:57], v[56:57], -v[50:51]
	v_mul_f64 v[40:41], v[20:21], v[54:55]
	v_add_f64 v[36:37], v[42:43], v[36:37]
	v_add_f64 v[58:59], v[58:59], -v[54:55]
	v_mul_f64 v[42:43], v[38:39], v[60:61]
	v_add_f64 v[62:63], v[46:47], v[34:35]
	v_add_f64 v[18:19], v[18:19], v[56:57]
	v_mul_f64 v[64:65], v[28:29], v[40:41]
	v_add_f64 v[66:67], v[52:53], v[36:37]
	v_add_f64 v[30:31], v[30:31], v[58:59]
	v_fma_f64 v[68:69], v[60:61], v[38:39], -v[42:43]
	v_mul_f64 v[70:71], v[26:27], v[62:63]
	v_add_f64 v[46:47], v[46:47], -v[62:63]
	v_fma_f64 v[72:73], v[40:41], v[28:29], -v[64:65]
	v_mul_f64 v[74:75], v[32:33], v[66:67]
	v_add_f64 v[52:53], v[52:53], -v[66:67]
	v_fma_f64 v[68:69], v[60:61], v[14:15], v[68:69]
	v_mul_f64 v[76:77], v[44:45], v[70:71]
	v_add_f64 v[34:35], v[34:35], v[46:47]
	v_fma_f64 v[72:73], v[40:41], v[22:23], v[72:73]
	v_mul_f64 v[78:79], v[48:49], v[74:75]
	v_add_f64 v[36:37], v[36:37], v[52:53]
	v_add_f64 v[80:81], v[42:43], v[68:69]
	v_fma_f64 v[82:83], v[70:71], v[44:45], -v[76:77]
	v_add_f64 v[84:85], v[64:65], v[72:73]
	v_fma_f64 v[86:87], v[74:75], v[48:49], -v[78:79]
	s_delay_alu instid0(VALU_DEP_4) | instskip(NEXT) | instid1(VALU_DEP_4)
	v_add_f64 v[88:89], v[50:51], -v[80:81]
	v_fma_f64 v[82:83], v[70:71], v[12:13], v[82:83]
	v_add_f64 v[42:43], v[80:81], -v[42:43]
	v_add_f64 v[90:91], v[54:55], -v[84:85]
	v_fma_f64 v[86:87], v[74:75], v[24:25], v[86:87]
	v_add_f64 v[64:65], v[84:85], -v[64:65]
	v_add_f64 v[50:51], v[50:51], -v[88:89]
	v_add_f64 v[56:57], v[76:77], v[82:83]
	v_add_f64 v[42:43], v[42:43], -v[68:69]
	v_add_f64 v[54:55], v[54:55], -v[90:91]
	v_add_f64 v[58:59], v[78:79], v[86:87]
	v_add_f64 v[50:51], v[50:51], -v[80:81]
	v_add_f64 v[80:81], v[62:63], -v[56:57]
	v_add_f64 v[46:47], v[56:57], -v[76:77]
	v_add_f64 v[54:55], v[54:55], -v[84:85]
	v_add_f64 v[84:85], v[66:67], -v[58:59]
	v_add_f64 v[52:53], v[58:59], -v[78:79]
	v_add_f64 v[18:19], v[18:19], v[50:51]
	v_add_f64 v[62:63], v[62:63], -v[80:81]
	v_add_f64 v[50:51], v[64:65], -v[72:73]
	v_add_f64 v[30:31], v[30:31], v[54:55]
	v_add_f64 v[66:67], v[66:67], -v[84:85]
	v_add_f64 v[46:47], v[46:47], -v[82:83]
	;; [unrolled: 1-line block ×3, first 2 shown]
	v_add_f64 v[54:55], v[16:17], v[60:61]
	v_add_f64 v[18:19], v[42:43], v[18:19]
	v_add_f64 v[56:57], v[62:63], -v[56:57]
	v_add_f64 v[42:43], v[20:21], v[40:41]
	v_add_f64 v[30:31], v[50:51], v[30:31]
	v_add_f64 v[58:59], v[66:67], -v[58:59]
	v_add_f64 v[50:51], v[26:27], v[70:71]
	v_add_f64 v[18:19], v[88:89], v[18:19]
	;; [unrolled: 1-line block ×3, first 2 shown]
	v_add_f64 v[56:57], v[42:43], -v[20:21]
	v_add_f64 v[30:31], v[90:91], v[30:31]
	v_add_f64 v[36:37], v[36:37], v[58:59]
	v_add_f64 v[58:59], v[50:51], -v[26:27]
	v_add_f64 v[34:35], v[46:47], v[34:35]
	v_add_f64 v[46:47], v[32:33], v[74:75]
	v_mul_f64 v[20:21], v[20:21], v[30:31]
	v_add_f64 v[36:37], v[52:53], v[36:37]
	v_add_f64 v[52:53], v[54:55], -v[16:17]
	v_mul_f64 v[16:17], v[16:17], v[18:19]
	v_add_f64 v[18:19], v[40:41], -v[56:57]
	v_add_f64 v[30:31], v[70:71], -v[58:59]
	v_add_f64 v[34:35], v[80:81], v[34:35]
	v_add_f64 v[62:63], v[46:47], -v[32:33]
	v_add_f64 v[36:37], v[84:85], v[36:37]
	;; [unrolled: 2-line block ×3, first 2 shown]
	v_mul_f64 v[26:27], v[26:27], v[34:35]
	v_add_f64 v[34:35], v[74:75], -v[62:63]
	v_mul_f64 v[32:33], v[32:33], v[36:37]
	v_add_f64 v[16:17], v[52:53], v[16:17]
	s_delay_alu instid0(VALU_DEP_4) | instskip(NEXT) | instid1(VALU_DEP_3)
	v_add_f64 v[20:21], v[30:31], v[26:27]
	v_add_f64 v[26:27], v[34:35], v[32:33]
	s_delay_alu instid0(VALU_DEP_3) | instskip(SKIP_1) | instid1(VALU_DEP_4)
	v_add_f64 v[30:31], v[54:55], v[16:17]
	v_add_f64 v[32:33], v[42:43], v[18:19]
	;; [unrolled: 1-line block ×3, first 2 shown]
	s_delay_alu instid0(VALU_DEP_4) | instskip(NEXT) | instid1(VALU_DEP_4)
	v_add_f64 v[36:37], v[46:47], v[26:27]
	v_add_f64 v[40:41], v[38:39], v[30:31]
	v_add_f64 v[52:53], v[30:31], -v[54:55]
	v_add_f64 v[54:55], v[28:29], v[32:33]
	v_add_f64 v[42:43], v[32:33], -v[42:43]
	;; [unrolled: 2-line block ×3, first 2 shown]
	v_add_f64 v[70:71], v[44:45], -v[34:35]
	v_add_f64 v[58:59], v[48:49], v[36:37]
	v_add_f64 v[46:47], v[36:37], -v[46:47]
	v_add_f64 v[60:61], v[40:41], -v[38:39]
	;; [unrolled: 1-line block ×12, first 2 shown]
	v_add_f64 v[60:61], v[14:15], v[16:17]
	v_add_f64 v[52:53], v[32:33], -v[52:53]
	v_add_f64 v[62:63], v[22:23], v[18:19]
	v_add_f64 v[48:49], v[48:49], -v[74:75]
	v_add_f64 v[42:43], v[34:35], -v[42:43]
	v_add_f64 v[64:65], v[12:13], v[20:21]
	v_add_f64 v[34:35], v[44:45], -v[34:35]
	v_add_f64 v[50:51], v[36:37], -v[50:51]
	v_add_f64 v[66:67], v[24:25], v[26:27]
	v_add_f64 v[46:47], v[60:61], v[46:47]
	;; [unrolled: 1-line block ×3, first 2 shown]
	v_add_f64 v[62:63], v[38:39], -v[30:31]
	v_add_f64 v[36:37], v[48:49], -v[36:37]
	v_add_f64 v[42:43], v[64:65], v[42:43]
	v_add_f64 v[12:13], v[12:13], v[34:35]
	;; [unrolled: 1-line block ×3, first 2 shown]
	v_add_f64 v[66:67], v[28:29], -v[32:33]
	v_add_f64 v[60:61], v[40:41], v[46:47]
	v_add_f64 v[64:65], v[54:55], v[52:53]
	v_add_f64 v[38:39], v[38:39], -v[62:63]
	v_add_f64 v[24:25], v[24:25], v[36:37]
	v_add_f64 v[68:69], v[56:57], v[42:43]
	v_add_f64 v[12:13], v[12:13], -v[20:21]
	v_add_f64 v[72:73], v[58:59], v[50:51]
	v_add_f64 v[28:29], v[28:29], -v[66:67]
	v_rcp_f64_e32 v[76:77], v[60:61]
	v_add_f64 v[40:41], v[60:61], -v[40:41]
	v_rcp_f64_e32 v[78:79], v[64:65]
	v_add_f64 v[30:31], v[38:39], -v[30:31]
	v_add_f64 v[24:25], v[24:25], -v[26:27]
	;; [unrolled: 1-line block ×3, first 2 shown]
	v_rcp_f64_e32 v[80:81], v[68:69]
	v_add_f64 v[56:57], v[68:69], -v[56:57]
	v_rcp_f64_e32 v[82:83], v[72:73]
	v_add_f64 v[28:29], v[28:29], -v[32:33]
	v_add_f64 v[58:59], v[72:73], -v[58:59]
	;; [unrolled: 1-line block ×3, first 2 shown]
	v_fma_f64 v[38:39], -v[60:61], v[76:77], 1.0
	v_add_f64 v[14:15], v[14:15], v[30:31]
	s_delay_alu instid0(TRANS32_DEP_3) | instskip(SKIP_2) | instid1(TRANS32_DEP_2)
	v_fma_f64 v[32:33], -v[64:65], v[78:79], 1.0
	v_add_f64 v[52:53], v[52:53], -v[54:55]
	v_add_f64 v[42:43], v[42:43], -v[56:57]
	v_fma_f64 v[44:45], -v[68:69], v[80:81], 1.0
	v_add_f64 v[22:23], v[22:23], v[28:29]
	s_delay_alu instid0(TRANS32_DEP_1)
	v_fma_f64 v[48:49], -v[72:73], v[82:83], 1.0
	v_add_f64 v[50:51], v[50:51], -v[58:59]
	v_fma_f64 v[30:31], v[38:39], v[76:77], v[76:77]
	v_add_f64 v[14:15], v[14:15], -v[16:17]
	v_fma_f64 v[28:29], v[32:33], v[78:79], v[78:79]
	v_fma_f64 v[32:33], v[44:45], v[80:81], v[80:81]
	v_add_f64 v[18:19], v[22:23], -v[18:19]
	v_fma_f64 v[34:35], v[48:49], v[82:83], v[82:83]
	v_fma_f64 v[16:17], -v[60:61], v[30:31], 1.0
	v_add_f64 v[36:37], v[62:63], v[14:15]
	v_fma_f64 v[22:23], -v[64:65], v[28:29], 1.0
	v_fma_f64 v[20:21], -v[68:69], v[32:33], 1.0
	;; [unrolled: 1-line block ×3, first 2 shown]
	v_fma_f64 v[16:17], v[16:17], v[30:31], v[30:31]
	v_add_f64 v[30:31], v[66:67], v[18:19]
	v_fma_f64 v[22:23], v[22:23], v[28:29], v[28:29]
	v_add_f64 v[28:29], v[70:71], v[12:13]
	;; [unrolled: 2-line block ×3, first 2 shown]
	v_fma_f64 v[26:27], v[26:27], v[34:35], v[34:35]
	v_mul_f64 v[34:35], v[36:37], v[16:17]
	v_mul_f64 v[38:39], v[30:31], v[22:23]
	;; [unrolled: 1-line block ×3, first 2 shown]
	s_delay_alu instid0(VALU_DEP_4) | instskip(NEXT) | instid1(VALU_DEP_4)
	v_mul_f64 v[48:49], v[32:33], v[26:27]
	v_mul_f64 v[76:77], v[60:61], v[34:35]
	s_delay_alu instid0(VALU_DEP_4) | instskip(NEXT) | instid1(VALU_DEP_4)
	v_mul_f64 v[78:79], v[64:65], v[38:39]
	v_mul_f64 v[80:81], v[68:69], v[44:45]
	s_delay_alu instid0(VALU_DEP_4) | instskip(NEXT) | instid1(VALU_DEP_4)
	v_mul_f64 v[82:83], v[72:73], v[48:49]
	v_fma_f64 v[46:47], v[34:35], v[60:61], -v[76:77]
	s_delay_alu instid0(VALU_DEP_4) | instskip(NEXT) | instid1(VALU_DEP_4)
	v_fma_f64 v[54:55], v[38:39], v[64:65], -v[78:79]
	v_fma_f64 v[56:57], v[44:45], v[68:69], -v[80:81]
	s_delay_alu instid0(VALU_DEP_4) | instskip(NEXT) | instid1(VALU_DEP_4)
	v_fma_f64 v[58:59], v[48:49], v[72:73], -v[82:83]
	v_fma_f64 v[40:41], v[34:35], v[40:41], v[46:47]
	s_delay_alu instid0(VALU_DEP_4) | instskip(NEXT) | instid1(VALU_DEP_4)
	v_fma_f64 v[46:47], v[38:39], v[52:53], v[54:55]
	v_fma_f64 v[42:43], v[44:45], v[42:43], v[56:57]
	s_delay_alu instid0(VALU_DEP_4) | instskip(NEXT) | instid1(VALU_DEP_4)
	v_fma_f64 v[50:51], v[48:49], v[50:51], v[58:59]
	v_add_f64 v[52:53], v[76:77], v[40:41]
	s_delay_alu instid0(VALU_DEP_4) | instskip(NEXT) | instid1(VALU_DEP_4)
	v_add_f64 v[54:55], v[78:79], v[46:47]
	v_add_f64 v[56:57], v[80:81], v[42:43]
	s_delay_alu instid0(VALU_DEP_4) | instskip(NEXT) | instid1(VALU_DEP_4)
	v_add_f64 v[58:59], v[82:83], v[50:51]
	v_add_f64 v[60:61], v[36:37], -v[52:53]
	v_add_f64 v[76:77], v[52:53], -v[76:77]
	;; [unrolled: 1-line block ×32, first 2 shown]
	s_delay_alu instid0(VALU_DEP_4) | instskip(NEXT) | instid1(VALU_DEP_4)
	v_add_f64 v[14:15], v[14:15], v[36:37]
	v_add_f64 v[18:19], v[18:19], v[30:31]
	s_delay_alu instid0(VALU_DEP_4) | instskip(NEXT) | instid1(VALU_DEP_4)
	v_add_f64 v[12:13], v[12:13], v[28:29]
	v_add_f64 v[24:25], v[24:25], v[32:33]
	;; [unrolled: 3-line block ×4, first 2 shown]
	s_delay_alu instid0(VALU_DEP_4) | instskip(NEXT) | instid1(VALU_DEP_4)
	v_mul_f64 v[14:15], v[16:17], v[14:15]
	v_mul_f64 v[16:17], v[22:23], v[18:19]
	v_and_b32_e32 v22, 0x7fffffff, v1
	v_mul_f64 v[12:13], v[20:21], v[12:13]
	v_and_b32_e32 v20, 0x7fffffff, v5
	v_and_b32_e32 v21, 0x7fffffff, v7
	v_mul_f64 v[18:19], v[26:27], v[24:25]
	v_add_f64 v[14:15], v[34:35], v[14:15]
	v_add_f64 v[16:17], v[38:39], v[16:17]
	;; [unrolled: 1-line block ×3, first 2 shown]
	s_delay_alu instid0(VALU_DEP_4) | instskip(NEXT) | instid1(VALU_DEP_4)
	v_add_f64 v[18:19], v[48:49], v[18:19]
	v_cndmask_b32_e32 v15, 0x3ff00000, v15, vcc_lo
	v_cndmask_b32_e32 v14, 0, v14, vcc_lo
	v_cmp_gt_f64_e64 vcc_lo, 0x3e400000, |v[4:5]|
	v_cndmask_b32_e64 v17, 0x3ff00000, v17, s0
	v_cndmask_b32_e64 v16, 0, v16, s0
	v_cmp_gt_f64_e64 s0, 0x3e400000, |v[6:7]|
	v_and_b32_e32 v23, 0x7fffffff, v3
	v_cndmask_b32_e64 v13, 0x3ff00000, v13, s1
	v_cndmask_b32_e64 v12, 0, v12, s1
	v_cmp_gt_f64_e64 s1, 0x3e400000, |v[0:1]|
	v_cndmask_b32_e64 v19, 0x3ff00000, v19, s2
	v_cndmask_b32_e64 v18, 0, v18, s2
	v_cmp_gt_f64_e64 s2, 0x3e400000, |v[2:3]|
	v_cndmask_b32_e32 v4, v14, v4, vcc_lo
	v_cndmask_b32_e64 v14, v17, v21, s0
	v_cndmask_b32_e64 v6, v16, v6, s0
	s_delay_alu instid0(VALU_DEP_2)
	v_bfi_b32 v7, 0x7fffffff, v14, v7
	v_cndmask_b32_e64 v0, v12, v0, s1
	v_cndmask_b32_e32 v12, v15, v20, vcc_lo
	v_cndmask_b32_e64 v13, v13, v22, s1
	v_cndmask_b32_e64 v15, v19, v23, s2
	v_cmp_lt_u64_e32 vcc_lo, 0xffff, v[8:9]
	v_cndmask_b32_e64 v2, v18, v2, s2
	v_bfi_b32 v5, 0x7fffffff, v12, v5
	v_bfi_b32 v1, 0x7fffffff, v13, v1
	;; [unrolled: 1-line block ×3, first 2 shown]
	v_add_co_u32 v8, s0, v8, s36
	s_delay_alu instid0(VALU_DEP_1)
	v_add_co_ci_u32_e64 v9, s0, 0, v9, s0
	s_or_b32 s0, s3, vcc_lo
	s_clause 0x1
	global_store_b128 v[10:11], v[4:7], off offset:-16
	global_store_b128 v[10:11], v[0:3], off
	v_add_co_u32 v10, vcc_lo, v10, s37
	v_add_co_ci_u32_e32 v11, vcc_lo, 0, v11, vcc_lo
	s_and_b32 s0, exec_lo, s0
	s_delay_alu instid0(SALU_CYCLE_1) | instskip(NEXT) | instid1(SALU_CYCLE_1)
	s_or_b32 s33, s0, s33
	s_and_not1_b32 exec_lo, exec_lo, s33
	s_cbranch_execnz .LBB160_24
.LBB160_25:
	s_nop 0
	s_sendmsg sendmsg(MSG_DEALLOC_VGPRS)
	s_endpgm
	.section	.rodata,"a",@progbits
	.p2align	6, 0x0
	.amdhsa_kernel _ZN2at6native12_GLOBAL__N_125multi_tensor_apply_kernelINS1_18TensorListMetadataILi1EEENS1_14UnaryOpFunctorIdLi1ELi1ELi0EEEJNS0_4TanhIdEEEEEvT_T0_DpT1_
		.amdhsa_group_segment_fixed_size 0
		.amdhsa_private_segment_fixed_size 0
		.amdhsa_kernarg_size 3632
		.amdhsa_user_sgpr_count 15
		.amdhsa_user_sgpr_dispatch_ptr 0
		.amdhsa_user_sgpr_queue_ptr 0
		.amdhsa_user_sgpr_kernarg_segment_ptr 1
		.amdhsa_user_sgpr_dispatch_id 0
		.amdhsa_user_sgpr_private_segment_size 0
		.amdhsa_wavefront_size32 1
		.amdhsa_uses_dynamic_stack 0
		.amdhsa_enable_private_segment 0
		.amdhsa_system_sgpr_workgroup_id_x 1
		.amdhsa_system_sgpr_workgroup_id_y 0
		.amdhsa_system_sgpr_workgroup_id_z 0
		.amdhsa_system_sgpr_workgroup_info 0
		.amdhsa_system_vgpr_workitem_id 0
		.amdhsa_next_free_vgpr 92
		.amdhsa_next_free_sgpr 50
		.amdhsa_reserve_vcc 1
		.amdhsa_float_round_mode_32 0
		.amdhsa_float_round_mode_16_64 0
		.amdhsa_float_denorm_mode_32 3
		.amdhsa_float_denorm_mode_16_64 3
		.amdhsa_dx10_clamp 1
		.amdhsa_ieee_mode 1
		.amdhsa_fp16_overflow 0
		.amdhsa_workgroup_processor_mode 1
		.amdhsa_memory_ordered 1
		.amdhsa_forward_progress 0
		.amdhsa_shared_vgpr_count 0
		.amdhsa_exception_fp_ieee_invalid_op 0
		.amdhsa_exception_fp_denorm_src 0
		.amdhsa_exception_fp_ieee_div_zero 0
		.amdhsa_exception_fp_ieee_overflow 0
		.amdhsa_exception_fp_ieee_underflow 0
		.amdhsa_exception_fp_ieee_inexact 0
		.amdhsa_exception_int_div_zero 0
	.end_amdhsa_kernel
	.section	.text._ZN2at6native12_GLOBAL__N_125multi_tensor_apply_kernelINS1_18TensorListMetadataILi1EEENS1_14UnaryOpFunctorIdLi1ELi1ELi0EEEJNS0_4TanhIdEEEEEvT_T0_DpT1_,"axG",@progbits,_ZN2at6native12_GLOBAL__N_125multi_tensor_apply_kernelINS1_18TensorListMetadataILi1EEENS1_14UnaryOpFunctorIdLi1ELi1ELi0EEEJNS0_4TanhIdEEEEEvT_T0_DpT1_,comdat
.Lfunc_end160:
	.size	_ZN2at6native12_GLOBAL__N_125multi_tensor_apply_kernelINS1_18TensorListMetadataILi1EEENS1_14UnaryOpFunctorIdLi1ELi1ELi0EEEJNS0_4TanhIdEEEEEvT_T0_DpT1_, .Lfunc_end160-_ZN2at6native12_GLOBAL__N_125multi_tensor_apply_kernelINS1_18TensorListMetadataILi1EEENS1_14UnaryOpFunctorIdLi1ELi1ELi0EEEJNS0_4TanhIdEEEEEvT_T0_DpT1_
                                        ; -- End function
	.section	.AMDGPU.csdata,"",@progbits
; Kernel info:
; codeLenInByte = 11956
; NumSgprs: 52
; NumVgprs: 92
; ScratchSize: 0
; MemoryBound: 0
; FloatMode: 240
; IeeeMode: 1
; LDSByteSize: 0 bytes/workgroup (compile time only)
; SGPRBlocks: 6
; VGPRBlocks: 11
; NumSGPRsForWavesPerEU: 52
; NumVGPRsForWavesPerEU: 92
; Occupancy: 16
; WaveLimiterHint : 0
; COMPUTE_PGM_RSRC2:SCRATCH_EN: 0
; COMPUTE_PGM_RSRC2:USER_SGPR: 15
; COMPUTE_PGM_RSRC2:TRAP_HANDLER: 0
; COMPUTE_PGM_RSRC2:TGID_X_EN: 1
; COMPUTE_PGM_RSRC2:TGID_Y_EN: 0
; COMPUTE_PGM_RSRC2:TGID_Z_EN: 0
; COMPUTE_PGM_RSRC2:TIDIG_COMP_CNT: 0
	.section	.text._ZN2at6native12_GLOBAL__N_125multi_tensor_apply_kernelINS1_18TensorListMetadataILi1EEENS1_14UnaryOpFunctorIfLi1ELi1ELi0EEEJNS0_4TanhIfEEEEEvT_T0_DpT1_,"axG",@progbits,_ZN2at6native12_GLOBAL__N_125multi_tensor_apply_kernelINS1_18TensorListMetadataILi1EEENS1_14UnaryOpFunctorIfLi1ELi1ELi0EEEJNS0_4TanhIfEEEEEvT_T0_DpT1_,comdat
	.globl	_ZN2at6native12_GLOBAL__N_125multi_tensor_apply_kernelINS1_18TensorListMetadataILi1EEENS1_14UnaryOpFunctorIfLi1ELi1ELi0EEEJNS0_4TanhIfEEEEEvT_T0_DpT1_ ; -- Begin function _ZN2at6native12_GLOBAL__N_125multi_tensor_apply_kernelINS1_18TensorListMetadataILi1EEENS1_14UnaryOpFunctorIfLi1ELi1ELi0EEEJNS0_4TanhIfEEEEEvT_T0_DpT1_
	.p2align	8
	.type	_ZN2at6native12_GLOBAL__N_125multi_tensor_apply_kernelINS1_18TensorListMetadataILi1EEENS1_14UnaryOpFunctorIfLi1ELi1ELi0EEEJNS0_4TanhIfEEEEEvT_T0_DpT1_,@function
_ZN2at6native12_GLOBAL__N_125multi_tensor_apply_kernelINS1_18TensorListMetadataILi1EEENS1_14UnaryOpFunctorIfLi1ELi1ELi0EEEJNS0_4TanhIfEEEEEvT_T0_DpT1_: ; @_ZN2at6native12_GLOBAL__N_125multi_tensor_apply_kernelINS1_18TensorListMetadataILi1EEENS1_14UnaryOpFunctorIfLi1ELi1ELi0EEEJNS0_4TanhIfEEEEEvT_T0_DpT1_
; %bb.0:
	v_mov_b32_e32 v1, s15
	s_add_u32 s2, s0, s15
	s_mul_hi_u32 s3, s15, 3
	s_mul_i32 s15, s15, 3
	s_addc_u32 s4, s1, 0
	global_load_u8 v1, v1, s[0:1] offset:1760
	s_add_u32 s2, s2, s15
	s_addc_u32 s3, s4, s3
	s_mov_b32 s13, 0
	s_load_b32 s2, s[2:3], 0x820
	s_waitcnt vmcnt(0)
	v_readfirstlane_b32 s5, v1
	s_delay_alu instid0(VALU_DEP_1)
	s_lshl_b32 s3, s5, 3
	s_clause 0x1
	s_load_b64 s[8:9], s[0:1], s3 offset:0x0
	s_load_b64 s[4:5], s[0:1], s3 offset:0x370
	s_waitcnt lgkmcnt(0)
	s_ashr_i32 s3, s2, 31
	s_delay_alu instid0(SALU_CYCLE_1)
	s_lshl_b64 s[10:11], s[2:3], 18
	s_lshl_b64 s[2:3], s[2:3], 16
	s_and_b32 s12, s8, 15
	s_sub_u32 s6, s4, s2
	s_subb_u32 s7, s5, s3
	s_and_b32 s2, s4, 3
	s_mov_b32 s3, s13
	s_delay_alu instid0(SALU_CYCLE_1) | instskip(NEXT) | instid1(SALU_CYCLE_1)
	s_or_b64 s[2:3], s[12:13], s[2:3]
	s_cmp_eq_u64 s[2:3], 0
	s_cbranch_scc1 .LBB161_37
; %bb.1:
	v_cmp_lt_i64_e64 s2, s[6:7], 1
	s_delay_alu instid0(VALU_DEP_1)
	s_and_b32 vcc_lo, exec_lo, s2
	s_cbranch_vccnz .LBB161_36
; %bb.2:
	s_load_b32 s2, s[0:1], 0xd3c
	v_cmp_gt_u64_e64 s3, 0x10000, s[6:7]
	v_lshlrev_b32_e32 v1, 2, v0
	s_mov_b32 s20, 0xbbbac73d
	s_waitcnt lgkmcnt(0)
	s_and_b32 s2, s2, 0xffff
	s_delay_alu instid0(VALU_DEP_2)
	s_and_b32 s3, s3, exec_lo
	v_add_co_u32 v5, s5, v0, s2
	s_cselect_b32 s13, s7, 0
	s_cselect_b32 s12, s6, 0x10000
	s_lshl_b32 s3, s2, 1
	s_lshl_b32 s16, s2, 2
	v_lshlrev_b32_e32 v3, 2, v5
	v_add_co_ci_u32_e64 v6, null, 0, 0, s5
	s_add_u32 s5, s8, s10
	v_add_co_u32 v9, s3, s3, v0
	s_mul_i32 s4, s2, 3
	s_addc_u32 s14, s9, s11
	v_add_co_ci_u32_e64 v10, null, 0, 0, s3
	v_add_co_u32 v1, s3, s5, v1
	v_add_co_u32 v7, s4, s4, v0
	v_add_co_ci_u32_e64 v2, null, s14, 0, s3
	v_add_co_u32 v3, s3, s5, v3
	v_add_co_ci_u32_e64 v8, null, 0, 0, s4
	v_add_co_ci_u32_e64 v4, null, s14, 0, s3
	s_mul_i32 s17, s2, 12
	s_lshl_b32 s18, s2, 4
	s_lshl_b32 s19, s2, 3
	s_mov_b64 s[14:15], 0
	s_branch .LBB161_4
.LBB161_3:                              ;   in Loop: Header=BB161_4 Depth=1
	s_or_b32 exec_lo, exec_lo, s2
	s_add_u32 s14, s14, s16
	s_addc_u32 s15, s15, 0
	v_add_co_u32 v1, vcc_lo, v1, s18
	v_cmp_ge_i64_e64 s2, s[14:15], s[6:7]
	v_cmp_lt_u64_e64 s3, 0xffff, s[14:15]
	v_add_co_ci_u32_e32 v2, vcc_lo, 0, v2, vcc_lo
	v_add_co_u32 v3, vcc_lo, v3, s18
	v_add_co_ci_u32_e32 v4, vcc_lo, 0, v4, vcc_lo
	s_delay_alu instid0(VALU_DEP_4) | instskip(NEXT) | instid1(SALU_CYCLE_1)
	s_or_b32 s2, s2, s3
	s_and_b32 vcc_lo, exec_lo, s2
	s_cbranch_vccnz .LBB161_36
.LBB161_4:                              ; =>This Inner Loop Header: Depth=1
	v_add_co_u32 v11, s2, v0, s14
	s_delay_alu instid0(VALU_DEP_1) | instskip(NEXT) | instid1(VALU_DEP_1)
	v_add_co_ci_u32_e64 v12, null, 0, s15, s2
	v_cmp_gt_u64_e32 vcc_lo, s[12:13], v[11:12]
	v_mov_b32_e32 v11, 0
	s_and_saveexec_b32 s2, vcc_lo
	s_cbranch_execz .LBB161_6
; %bb.5:                                ;   in Loop: Header=BB161_4 Depth=1
	global_load_b32 v11, v[1:2], off
.LBB161_6:                              ;   in Loop: Header=BB161_4 Depth=1
	s_or_b32 exec_lo, exec_lo, s2
	v_add_co_u32 v12, s2, v5, s14
	s_delay_alu instid0(VALU_DEP_1) | instskip(NEXT) | instid1(VALU_DEP_1)
	v_add_co_ci_u32_e64 v13, s2, s15, v6, s2
	v_cmp_gt_u64_e64 s2, s[12:13], v[12:13]
	v_mov_b32_e32 v13, 0
	s_delay_alu instid0(VALU_DEP_2)
	s_and_saveexec_b32 s3, s2
	s_cbranch_execz .LBB161_8
; %bb.7:                                ;   in Loop: Header=BB161_4 Depth=1
	global_load_b32 v13, v[3:4], off
.LBB161_8:                              ;   in Loop: Header=BB161_4 Depth=1
	s_or_b32 exec_lo, exec_lo, s3
	v_add_co_u32 v14, s3, v9, s14
	s_delay_alu instid0(VALU_DEP_1) | instskip(SKIP_1) | instid1(VALU_DEP_2)
	v_add_co_ci_u32_e64 v15, s3, s15, v10, s3
	v_mov_b32_e32 v12, 0
	v_cmp_gt_u64_e64 s3, s[12:13], v[14:15]
	v_mov_b32_e32 v14, 0
	s_delay_alu instid0(VALU_DEP_2)
	s_and_saveexec_b32 s5, s3
	s_cbranch_execz .LBB161_10
; %bb.9:                                ;   in Loop: Header=BB161_4 Depth=1
	v_add_co_u32 v14, s4, v1, s19
	s_delay_alu instid0(VALU_DEP_1)
	v_add_co_ci_u32_e64 v15, s4, 0, v2, s4
	global_load_b32 v14, v[14:15], off
.LBB161_10:                             ;   in Loop: Header=BB161_4 Depth=1
	s_or_b32 exec_lo, exec_lo, s5
	v_add_co_u32 v15, s4, v7, s14
	s_delay_alu instid0(VALU_DEP_1) | instskip(NEXT) | instid1(VALU_DEP_1)
	v_add_co_ci_u32_e64 v16, s4, s15, v8, s4
	v_cmp_gt_u64_e64 s4, s[12:13], v[15:16]
	s_delay_alu instid0(VALU_DEP_1)
	s_and_saveexec_b32 s21, s4
	s_cbranch_execz .LBB161_12
; %bb.11:                               ;   in Loop: Header=BB161_4 Depth=1
	v_add_co_u32 v15, s5, v1, s17
	s_delay_alu instid0(VALU_DEP_1)
	v_add_co_ci_u32_e64 v16, s5, 0, v2, s5
	global_load_b32 v12, v[15:16], off
.LBB161_12:                             ;   in Loop: Header=BB161_4 Depth=1
	s_or_b32 exec_lo, exec_lo, s21
	s_delay_alu instid0(SALU_CYCLE_1)
	s_mov_b32 s21, exec_lo
                                        ; implicit-def: $vgpr15
	s_waitcnt vmcnt(0)
	v_cmpx_ngt_f32_e64 0x3f200000, |v11|
	s_xor_b32 s21, exec_lo, s21
	s_cbranch_execz .LBB161_14
; %bb.13:                               ;   in Loop: Header=BB161_4 Depth=1
	v_add_f32_e64 v15, |v11|, |v11|
	s_delay_alu instid0(VALU_DEP_1) | instskip(SKIP_1) | instid1(VALU_DEP_2)
	v_mul_f32_e32 v16, 0x3fb8aa3b, v15
	v_cmp_ngt_f32_e64 s5, 0xc2ce8ed0, v15
	v_rndne_f32_e32 v17, v16
	v_fma_f32 v18, 0x3fb8aa3b, v15, -v16
	s_delay_alu instid0(VALU_DEP_2) | instskip(NEXT) | instid1(VALU_DEP_2)
	v_sub_f32_e32 v16, v16, v17
	v_fmac_f32_e32 v18, 0x32a5705f, v15
	v_cvt_i32_f32_e32 v17, v17
	s_delay_alu instid0(VALU_DEP_2) | instskip(NEXT) | instid1(VALU_DEP_1)
	v_add_f32_e32 v16, v16, v18
	v_exp_f32_e32 v16, v16
	s_waitcnt_depctr 0xfff
	v_ldexp_f32 v16, v16, v17
	s_delay_alu instid0(VALU_DEP_1) | instskip(SKIP_1) | instid1(VALU_DEP_1)
	v_cndmask_b32_e64 v16, 0, v16, s5
	v_cmp_nlt_f32_e64 s5, 0x42b17218, v15
	v_cndmask_b32_e64 v15, 0x7f800000, v16, s5
	s_delay_alu instid0(VALU_DEP_1) | instskip(NEXT) | instid1(VALU_DEP_1)
	v_add_f32_e32 v15, 1.0, v15
	v_rcp_f32_e32 v15, v15
	s_waitcnt_depctr 0xfff
	v_fma_f32 v15, v15, -2.0, 1.0
.LBB161_14:                             ;   in Loop: Header=BB161_4 Depth=1
	s_and_not1_saveexec_b32 s5, s21
; %bb.15:                               ;   in Loop: Header=BB161_4 Depth=1
	v_mul_f32_e32 v15, v11, v11
	s_delay_alu instid0(VALU_DEP_1) | instskip(NEXT) | instid1(VALU_DEP_1)
	v_fmaak_f32 v16, s20, v15, 0x3ca908c9
	v_fmaak_f32 v16, v15, v16, 0xbd5c1c4e
	s_delay_alu instid0(VALU_DEP_1) | instskip(NEXT) | instid1(VALU_DEP_1)
	v_fmaak_f32 v16, v15, v16, 0x3e088382
	v_fmaak_f32 v16, v15, v16, 0xbeaaaa99
	s_delay_alu instid0(VALU_DEP_1) | instskip(NEXT) | instid1(VALU_DEP_1)
	v_mul_f32_e64 v16, |v11|, v16
	v_fma_f32 v15, v15, v16, |v11|
; %bb.16:                               ;   in Loop: Header=BB161_4 Depth=1
	s_or_b32 exec_lo, exec_lo, s5
	s_delay_alu instid0(SALU_CYCLE_1)
	s_mov_b32 s21, exec_lo
                                        ; implicit-def: $vgpr16
	v_cmpx_ngt_f32_e64 0x3f200000, |v13|
	s_xor_b32 s21, exec_lo, s21
	s_cbranch_execz .LBB161_18
; %bb.17:                               ;   in Loop: Header=BB161_4 Depth=1
	v_add_f32_e64 v16, |v13|, |v13|
	s_delay_alu instid0(VALU_DEP_1) | instskip(SKIP_1) | instid1(VALU_DEP_2)
	v_mul_f32_e32 v17, 0x3fb8aa3b, v16
	v_cmp_ngt_f32_e64 s5, 0xc2ce8ed0, v16
	v_rndne_f32_e32 v18, v17
	v_fma_f32 v19, 0x3fb8aa3b, v16, -v17
	s_delay_alu instid0(VALU_DEP_2) | instskip(NEXT) | instid1(VALU_DEP_2)
	v_sub_f32_e32 v17, v17, v18
	v_fmac_f32_e32 v19, 0x32a5705f, v16
	v_cvt_i32_f32_e32 v18, v18
	s_delay_alu instid0(VALU_DEP_2) | instskip(NEXT) | instid1(VALU_DEP_1)
	v_add_f32_e32 v17, v17, v19
	v_exp_f32_e32 v17, v17
	s_waitcnt_depctr 0xfff
	v_ldexp_f32 v17, v17, v18
	s_delay_alu instid0(VALU_DEP_1) | instskip(SKIP_1) | instid1(VALU_DEP_1)
	v_cndmask_b32_e64 v17, 0, v17, s5
	v_cmp_nlt_f32_e64 s5, 0x42b17218, v16
	v_cndmask_b32_e64 v16, 0x7f800000, v17, s5
	s_delay_alu instid0(VALU_DEP_1) | instskip(NEXT) | instid1(VALU_DEP_1)
	v_add_f32_e32 v16, 1.0, v16
	v_rcp_f32_e32 v16, v16
	s_waitcnt_depctr 0xfff
	v_fma_f32 v16, v16, -2.0, 1.0
.LBB161_18:                             ;   in Loop: Header=BB161_4 Depth=1
	s_and_not1_saveexec_b32 s5, s21
; %bb.19:                               ;   in Loop: Header=BB161_4 Depth=1
	v_mul_f32_e32 v16, v13, v13
	s_delay_alu instid0(VALU_DEP_1) | instskip(NEXT) | instid1(VALU_DEP_1)
	v_fmaak_f32 v17, s20, v16, 0x3ca908c9
	v_fmaak_f32 v17, v16, v17, 0xbd5c1c4e
	s_delay_alu instid0(VALU_DEP_1) | instskip(NEXT) | instid1(VALU_DEP_1)
	v_fmaak_f32 v17, v16, v17, 0x3e088382
	v_fmaak_f32 v17, v16, v17, 0xbeaaaa99
	s_delay_alu instid0(VALU_DEP_1) | instskip(NEXT) | instid1(VALU_DEP_1)
	v_mul_f32_e64 v17, |v13|, v17
	v_fma_f32 v16, v16, v17, |v13|
; %bb.20:                               ;   in Loop: Header=BB161_4 Depth=1
	s_or_b32 exec_lo, exec_lo, s5
	s_delay_alu instid0(SALU_CYCLE_1)
	s_mov_b32 s21, exec_lo
                                        ; implicit-def: $vgpr17
	v_cmpx_ngt_f32_e64 0x3f200000, |v14|
	s_xor_b32 s21, exec_lo, s21
	s_cbranch_execz .LBB161_22
; %bb.21:                               ;   in Loop: Header=BB161_4 Depth=1
	v_add_f32_e64 v17, |v14|, |v14|
	s_delay_alu instid0(VALU_DEP_1) | instskip(SKIP_1) | instid1(VALU_DEP_2)
	v_mul_f32_e32 v18, 0x3fb8aa3b, v17
	v_cmp_ngt_f32_e64 s5, 0xc2ce8ed0, v17
	v_rndne_f32_e32 v19, v18
	v_fma_f32 v20, 0x3fb8aa3b, v17, -v18
	s_delay_alu instid0(VALU_DEP_2) | instskip(NEXT) | instid1(VALU_DEP_2)
	v_sub_f32_e32 v18, v18, v19
	v_fmac_f32_e32 v20, 0x32a5705f, v17
	v_cvt_i32_f32_e32 v19, v19
	s_delay_alu instid0(VALU_DEP_2) | instskip(NEXT) | instid1(VALU_DEP_1)
	v_add_f32_e32 v18, v18, v20
	v_exp_f32_e32 v18, v18
	s_waitcnt_depctr 0xfff
	v_ldexp_f32 v18, v18, v19
	s_delay_alu instid0(VALU_DEP_1) | instskip(SKIP_1) | instid1(VALU_DEP_1)
	v_cndmask_b32_e64 v18, 0, v18, s5
	v_cmp_nlt_f32_e64 s5, 0x42b17218, v17
	v_cndmask_b32_e64 v17, 0x7f800000, v18, s5
	s_delay_alu instid0(VALU_DEP_1) | instskip(NEXT) | instid1(VALU_DEP_1)
	v_add_f32_e32 v17, 1.0, v17
	v_rcp_f32_e32 v17, v17
	s_waitcnt_depctr 0xfff
	v_fma_f32 v17, v17, -2.0, 1.0
.LBB161_22:                             ;   in Loop: Header=BB161_4 Depth=1
	s_and_not1_saveexec_b32 s5, s21
; %bb.23:                               ;   in Loop: Header=BB161_4 Depth=1
	v_mul_f32_e32 v17, v14, v14
	s_delay_alu instid0(VALU_DEP_1) | instskip(NEXT) | instid1(VALU_DEP_1)
	v_fmaak_f32 v18, s20, v17, 0x3ca908c9
	v_fmaak_f32 v18, v17, v18, 0xbd5c1c4e
	s_delay_alu instid0(VALU_DEP_1) | instskip(NEXT) | instid1(VALU_DEP_1)
	v_fmaak_f32 v18, v17, v18, 0x3e088382
	v_fmaak_f32 v18, v17, v18, 0xbeaaaa99
	s_delay_alu instid0(VALU_DEP_1) | instskip(NEXT) | instid1(VALU_DEP_1)
	v_mul_f32_e64 v18, |v14|, v18
	v_fma_f32 v17, v17, v18, |v14|
; %bb.24:                               ;   in Loop: Header=BB161_4 Depth=1
	s_or_b32 exec_lo, exec_lo, s5
	s_delay_alu instid0(SALU_CYCLE_1)
	s_mov_b32 s21, exec_lo
                                        ; implicit-def: $vgpr18
	v_cmpx_ngt_f32_e64 0x3f200000, |v12|
	s_xor_b32 s21, exec_lo, s21
	s_cbranch_execnz .LBB161_30
; %bb.25:                               ;   in Loop: Header=BB161_4 Depth=1
	s_and_not1_saveexec_b32 s5, s21
	s_cbranch_execnz .LBB161_31
.LBB161_26:                             ;   in Loop: Header=BB161_4 Depth=1
	s_or_b32 exec_lo, exec_lo, s5
	s_and_saveexec_b32 s5, vcc_lo
	s_delay_alu instid0(SALU_CYCLE_1)
	s_xor_b32 s5, exec_lo, s5
	s_cbranch_execnz .LBB161_32
.LBB161_27:                             ;   in Loop: Header=BB161_4 Depth=1
	s_or_b32 exec_lo, exec_lo, s5
	s_and_saveexec_b32 s5, s2
	s_cbranch_execnz .LBB161_33
.LBB161_28:                             ;   in Loop: Header=BB161_4 Depth=1
	s_or_b32 exec_lo, exec_lo, s5
	s_and_saveexec_b32 s2, s3
	s_cbranch_execnz .LBB161_34
.LBB161_29:                             ;   in Loop: Header=BB161_4 Depth=1
	s_or_b32 exec_lo, exec_lo, s2
	s_and_saveexec_b32 s2, s4
	s_cbranch_execz .LBB161_3
	s_branch .LBB161_35
.LBB161_30:                             ;   in Loop: Header=BB161_4 Depth=1
	v_add_f32_e64 v18, |v12|, |v12|
	s_delay_alu instid0(VALU_DEP_1) | instskip(SKIP_1) | instid1(VALU_DEP_2)
	v_mul_f32_e32 v19, 0x3fb8aa3b, v18
	v_cmp_ngt_f32_e64 s5, 0xc2ce8ed0, v18
	v_rndne_f32_e32 v20, v19
	v_fma_f32 v21, 0x3fb8aa3b, v18, -v19
	s_delay_alu instid0(VALU_DEP_2) | instskip(NEXT) | instid1(VALU_DEP_2)
	v_sub_f32_e32 v19, v19, v20
	v_fmac_f32_e32 v21, 0x32a5705f, v18
	v_cvt_i32_f32_e32 v20, v20
	s_delay_alu instid0(VALU_DEP_2) | instskip(NEXT) | instid1(VALU_DEP_1)
	v_add_f32_e32 v19, v19, v21
	v_exp_f32_e32 v19, v19
	s_waitcnt_depctr 0xfff
	v_ldexp_f32 v19, v19, v20
	s_delay_alu instid0(VALU_DEP_1) | instskip(SKIP_1) | instid1(VALU_DEP_1)
	v_cndmask_b32_e64 v19, 0, v19, s5
	v_cmp_nlt_f32_e64 s5, 0x42b17218, v18
	v_cndmask_b32_e64 v18, 0x7f800000, v19, s5
	s_delay_alu instid0(VALU_DEP_1) | instskip(NEXT) | instid1(VALU_DEP_1)
	v_add_f32_e32 v18, 1.0, v18
	v_rcp_f32_e32 v18, v18
	s_waitcnt_depctr 0xfff
	v_fma_f32 v18, v18, -2.0, 1.0
	s_and_not1_saveexec_b32 s5, s21
	s_cbranch_execz .LBB161_26
.LBB161_31:                             ;   in Loop: Header=BB161_4 Depth=1
	v_mul_f32_e32 v18, v12, v12
	s_delay_alu instid0(VALU_DEP_1) | instskip(NEXT) | instid1(VALU_DEP_1)
	v_fmaak_f32 v19, s20, v18, 0x3ca908c9
	v_fmaak_f32 v19, v18, v19, 0xbd5c1c4e
	s_delay_alu instid0(VALU_DEP_1) | instskip(NEXT) | instid1(VALU_DEP_1)
	v_fmaak_f32 v19, v18, v19, 0x3e088382
	v_fmaak_f32 v19, v18, v19, 0xbeaaaa99
	s_delay_alu instid0(VALU_DEP_1) | instskip(NEXT) | instid1(VALU_DEP_1)
	v_mul_f32_e64 v19, |v12|, v19
	v_fma_f32 v18, v18, v19, |v12|
	s_or_b32 exec_lo, exec_lo, s5
	s_and_saveexec_b32 s5, vcc_lo
	s_delay_alu instid0(SALU_CYCLE_1)
	s_xor_b32 s5, exec_lo, s5
	s_cbranch_execz .LBB161_27
.LBB161_32:                             ;   in Loop: Header=BB161_4 Depth=1
	v_bfi_b32 v11, 0x7fffffff, v15, v11
	global_store_b32 v[1:2], v11, off
	s_or_b32 exec_lo, exec_lo, s5
	s_and_saveexec_b32 s5, s2
	s_cbranch_execz .LBB161_28
.LBB161_33:                             ;   in Loop: Header=BB161_4 Depth=1
	v_bfi_b32 v11, 0x7fffffff, v16, v13
	global_store_b32 v[3:4], v11, off
	s_or_b32 exec_lo, exec_lo, s5
	s_and_saveexec_b32 s2, s3
	s_cbranch_execz .LBB161_29
.LBB161_34:                             ;   in Loop: Header=BB161_4 Depth=1
	v_add_co_u32 v13, vcc_lo, v1, s19
	v_bfi_b32 v11, 0x7fffffff, v17, v14
	v_add_co_ci_u32_e32 v14, vcc_lo, 0, v2, vcc_lo
	global_store_b32 v[13:14], v11, off
	s_or_b32 exec_lo, exec_lo, s2
	s_and_saveexec_b32 s2, s4
	s_cbranch_execz .LBB161_3
.LBB161_35:                             ;   in Loop: Header=BB161_4 Depth=1
	v_add_co_u32 v11, vcc_lo, v1, s17
	v_bfi_b32 v13, 0x7fffffff, v18, v12
	v_add_co_ci_u32_e32 v12, vcc_lo, 0, v2, vcc_lo
	global_store_b32 v[11:12], v13, off
	s_branch .LBB161_3
.LBB161_36:
	s_cbranch_execz .LBB161_38
	s_branch .LBB161_57
.LBB161_37:
.LBB161_38:
	v_dual_mov_b32 v5, 0 :: v_dual_lshlrev_b32 v4, 2, v0
	s_mov_b32 s2, 0
	s_mov_b32 s3, exec_lo
	s_delay_alu instid0(VALU_DEP_1)
	v_cmpx_gt_i64_e64 s[6:7], v[4:5]
	s_cbranch_execz .LBB161_57
; %bb.39:
	s_load_b32 s0, s[0:1], 0xd3c
	v_lshlrev_b32_e32 v1, 4, v0
	s_waitcnt lgkmcnt(0)
	s_and_b32 s0, s0, 0xffff
	s_delay_alu instid0(SALU_CYCLE_1) | instskip(SKIP_3) | instid1(VALU_DEP_1)
	s_lshl_b32 s1, s0, 2
	s_add_u32 s3, s8, s10
	s_addc_u32 s4, s9, s11
	v_add_co_u32 v1, s3, s3, v1
	v_add_co_ci_u32_e64 v2, null, s4, 0, s3
	v_add_lshl_u32 v4, v0, s0, 2
	s_delay_alu instid0(VALU_DEP_3) | instskip(NEXT) | instid1(VALU_DEP_3)
	v_add_co_u32 v6, vcc_lo, v1, 8
	v_add_co_ci_u32_e32 v7, vcc_lo, 0, v2, vcc_lo
	s_lshl_b32 s3, s0, 4
	s_mov_b32 s4, 0xbbbac73d
	s_branch .LBB161_41
.LBB161_40:                             ;   in Loop: Header=BB161_41 Depth=1
	s_or_b32 exec_lo, exec_lo, s0
	v_cmp_le_i64_e32 vcc_lo, s[6:7], v[4:5]
	v_cmp_lt_u64_e64 s0, 0xffff, v[4:5]
	v_bfi_b32 v2, 0x7fffffff, v10, v2
	v_bfi_b32 v1, 0x7fffffff, v9, v1
	;; [unrolled: 1-line block ×4, first 2 shown]
	s_or_b32 s0, vcc_lo, s0
	v_add_co_u32 v4, vcc_lo, v4, s1
	v_add_co_ci_u32_e32 v5, vcc_lo, 0, v5, vcc_lo
	global_store_b128 v[6:7], v[0:3], off offset:-8
	v_add_co_u32 v6, vcc_lo, v6, s3
	v_add_co_ci_u32_e32 v7, vcc_lo, 0, v7, vcc_lo
	s_and_b32 s0, exec_lo, s0
	s_delay_alu instid0(SALU_CYCLE_1) | instskip(NEXT) | instid1(SALU_CYCLE_1)
	s_or_b32 s2, s0, s2
	s_and_not1_b32 exec_lo, exec_lo, s2
	s_cbranch_execz .LBB161_57
.LBB161_41:                             ; =>This Inner Loop Header: Depth=1
	global_load_b128 v[0:3], v[6:7], off offset:-8
                                        ; implicit-def: $vgpr8
	s_waitcnt vmcnt(0)
	v_cmp_ngt_f32_e64 s0, 0x3f200000, |v0|
	s_delay_alu instid0(VALU_DEP_1) | instskip(NEXT) | instid1(SALU_CYCLE_1)
	s_and_saveexec_b32 s5, s0
	s_xor_b32 s0, exec_lo, s5
	s_cbranch_execz .LBB161_43
; %bb.42:                               ;   in Loop: Header=BB161_41 Depth=1
	v_add_f32_e64 v8, |v0|, |v0|
	s_delay_alu instid0(VALU_DEP_1) | instskip(SKIP_1) | instid1(VALU_DEP_2)
	v_mul_f32_e32 v9, 0x3fb8aa3b, v8
	v_cmp_ngt_f32_e32 vcc_lo, 0xc2ce8ed0, v8
	v_rndne_f32_e32 v10, v9
	v_fma_f32 v11, 0x3fb8aa3b, v8, -v9
	s_delay_alu instid0(VALU_DEP_2) | instskip(NEXT) | instid1(VALU_DEP_2)
	v_sub_f32_e32 v9, v9, v10
	v_fmac_f32_e32 v11, 0x32a5705f, v8
	v_cvt_i32_f32_e32 v10, v10
	s_delay_alu instid0(VALU_DEP_2) | instskip(NEXT) | instid1(VALU_DEP_1)
	v_add_f32_e32 v9, v9, v11
	v_exp_f32_e32 v9, v9
	s_waitcnt_depctr 0xfff
	v_ldexp_f32 v9, v9, v10
	s_delay_alu instid0(VALU_DEP_1) | instskip(SKIP_1) | instid1(VALU_DEP_2)
	v_cndmask_b32_e32 v9, 0, v9, vcc_lo
	v_cmp_nlt_f32_e32 vcc_lo, 0x42b17218, v8
	v_cndmask_b32_e32 v8, 0x7f800000, v9, vcc_lo
	s_delay_alu instid0(VALU_DEP_1) | instskip(NEXT) | instid1(VALU_DEP_1)
	v_add_f32_e32 v8, 1.0, v8
	v_rcp_f32_e32 v8, v8
	s_waitcnt_depctr 0xfff
	v_fma_f32 v8, v8, -2.0, 1.0
.LBB161_43:                             ;   in Loop: Header=BB161_41 Depth=1
	s_and_not1_saveexec_b32 s0, s0
; %bb.44:                               ;   in Loop: Header=BB161_41 Depth=1
	v_mul_f32_e32 v8, v0, v0
	s_delay_alu instid0(VALU_DEP_1) | instskip(NEXT) | instid1(VALU_DEP_1)
	v_fmaak_f32 v9, s4, v8, 0x3ca908c9
	v_fmaak_f32 v9, v8, v9, 0xbd5c1c4e
	s_delay_alu instid0(VALU_DEP_1) | instskip(NEXT) | instid1(VALU_DEP_1)
	v_fmaak_f32 v9, v8, v9, 0x3e088382
	v_fmaak_f32 v9, v8, v9, 0xbeaaaa99
	s_delay_alu instid0(VALU_DEP_1) | instskip(NEXT) | instid1(VALU_DEP_1)
	v_mul_f32_e64 v9, |v0|, v9
	v_fma_f32 v8, v8, v9, |v0|
; %bb.45:                               ;   in Loop: Header=BB161_41 Depth=1
	s_or_b32 exec_lo, exec_lo, s0
	v_cmp_ngt_f32_e64 s0, 0x3f200000, |v1|
                                        ; implicit-def: $vgpr9
	s_delay_alu instid0(VALU_DEP_1) | instskip(NEXT) | instid1(SALU_CYCLE_1)
	s_and_saveexec_b32 s5, s0
	s_xor_b32 s0, exec_lo, s5
	s_cbranch_execz .LBB161_47
; %bb.46:                               ;   in Loop: Header=BB161_41 Depth=1
	v_add_f32_e64 v9, |v1|, |v1|
	s_delay_alu instid0(VALU_DEP_1) | instskip(SKIP_1) | instid1(VALU_DEP_2)
	v_mul_f32_e32 v10, 0x3fb8aa3b, v9
	v_cmp_ngt_f32_e32 vcc_lo, 0xc2ce8ed0, v9
	v_rndne_f32_e32 v11, v10
	v_fma_f32 v12, 0x3fb8aa3b, v9, -v10
	s_delay_alu instid0(VALU_DEP_2) | instskip(NEXT) | instid1(VALU_DEP_2)
	v_sub_f32_e32 v10, v10, v11
	v_fmac_f32_e32 v12, 0x32a5705f, v9
	v_cvt_i32_f32_e32 v11, v11
	s_delay_alu instid0(VALU_DEP_2) | instskip(NEXT) | instid1(VALU_DEP_1)
	v_add_f32_e32 v10, v10, v12
	v_exp_f32_e32 v10, v10
	s_waitcnt_depctr 0xfff
	v_ldexp_f32 v10, v10, v11
	s_delay_alu instid0(VALU_DEP_1) | instskip(SKIP_1) | instid1(VALU_DEP_2)
	v_cndmask_b32_e32 v10, 0, v10, vcc_lo
	v_cmp_nlt_f32_e32 vcc_lo, 0x42b17218, v9
	v_cndmask_b32_e32 v9, 0x7f800000, v10, vcc_lo
	s_delay_alu instid0(VALU_DEP_1) | instskip(NEXT) | instid1(VALU_DEP_1)
	v_add_f32_e32 v9, 1.0, v9
	v_rcp_f32_e32 v9, v9
	s_waitcnt_depctr 0xfff
	v_fma_f32 v9, v9, -2.0, 1.0
.LBB161_47:                             ;   in Loop: Header=BB161_41 Depth=1
	s_and_not1_saveexec_b32 s0, s0
; %bb.48:                               ;   in Loop: Header=BB161_41 Depth=1
	v_mul_f32_e32 v9, v1, v1
	s_delay_alu instid0(VALU_DEP_1) | instskip(NEXT) | instid1(VALU_DEP_1)
	v_fmaak_f32 v10, s4, v9, 0x3ca908c9
	v_fmaak_f32 v10, v9, v10, 0xbd5c1c4e
	s_delay_alu instid0(VALU_DEP_1) | instskip(NEXT) | instid1(VALU_DEP_1)
	v_fmaak_f32 v10, v9, v10, 0x3e088382
	v_fmaak_f32 v10, v9, v10, 0xbeaaaa99
	s_delay_alu instid0(VALU_DEP_1) | instskip(NEXT) | instid1(VALU_DEP_1)
	v_mul_f32_e64 v10, |v1|, v10
	v_fma_f32 v9, v9, v10, |v1|
; %bb.49:                               ;   in Loop: Header=BB161_41 Depth=1
	s_or_b32 exec_lo, exec_lo, s0
	v_cmp_ngt_f32_e64 s0, 0x3f200000, |v2|
                                        ; implicit-def: $vgpr10
	s_delay_alu instid0(VALU_DEP_1) | instskip(NEXT) | instid1(SALU_CYCLE_1)
	s_and_saveexec_b32 s5, s0
	s_xor_b32 s0, exec_lo, s5
	s_cbranch_execz .LBB161_51
; %bb.50:                               ;   in Loop: Header=BB161_41 Depth=1
	v_add_f32_e64 v10, |v2|, |v2|
	s_delay_alu instid0(VALU_DEP_1) | instskip(SKIP_1) | instid1(VALU_DEP_2)
	v_mul_f32_e32 v11, 0x3fb8aa3b, v10
	v_cmp_ngt_f32_e32 vcc_lo, 0xc2ce8ed0, v10
	v_rndne_f32_e32 v12, v11
	v_fma_f32 v13, 0x3fb8aa3b, v10, -v11
	s_delay_alu instid0(VALU_DEP_2) | instskip(NEXT) | instid1(VALU_DEP_2)
	v_sub_f32_e32 v11, v11, v12
	v_fmac_f32_e32 v13, 0x32a5705f, v10
	v_cvt_i32_f32_e32 v12, v12
	s_delay_alu instid0(VALU_DEP_2) | instskip(NEXT) | instid1(VALU_DEP_1)
	v_add_f32_e32 v11, v11, v13
	v_exp_f32_e32 v11, v11
	s_waitcnt_depctr 0xfff
	v_ldexp_f32 v11, v11, v12
	s_delay_alu instid0(VALU_DEP_1) | instskip(SKIP_1) | instid1(VALU_DEP_2)
	v_cndmask_b32_e32 v11, 0, v11, vcc_lo
	v_cmp_nlt_f32_e32 vcc_lo, 0x42b17218, v10
	v_cndmask_b32_e32 v10, 0x7f800000, v11, vcc_lo
	s_delay_alu instid0(VALU_DEP_1) | instskip(NEXT) | instid1(VALU_DEP_1)
	v_add_f32_e32 v10, 1.0, v10
	v_rcp_f32_e32 v10, v10
	s_waitcnt_depctr 0xfff
	v_fma_f32 v10, v10, -2.0, 1.0
.LBB161_51:                             ;   in Loop: Header=BB161_41 Depth=1
	s_and_not1_saveexec_b32 s0, s0
; %bb.52:                               ;   in Loop: Header=BB161_41 Depth=1
	v_mul_f32_e32 v10, v2, v2
	s_delay_alu instid0(VALU_DEP_1) | instskip(NEXT) | instid1(VALU_DEP_1)
	v_fmaak_f32 v11, s4, v10, 0x3ca908c9
	v_fmaak_f32 v11, v10, v11, 0xbd5c1c4e
	s_delay_alu instid0(VALU_DEP_1) | instskip(NEXT) | instid1(VALU_DEP_1)
	v_fmaak_f32 v11, v10, v11, 0x3e088382
	v_fmaak_f32 v11, v10, v11, 0xbeaaaa99
	s_delay_alu instid0(VALU_DEP_1) | instskip(NEXT) | instid1(VALU_DEP_1)
	v_mul_f32_e64 v11, |v2|, v11
	v_fma_f32 v10, v10, v11, |v2|
; %bb.53:                               ;   in Loop: Header=BB161_41 Depth=1
	s_or_b32 exec_lo, exec_lo, s0
	v_cmp_ngt_f32_e64 s0, 0x3f200000, |v3|
                                        ; implicit-def: $vgpr11
	s_delay_alu instid0(VALU_DEP_1) | instskip(NEXT) | instid1(SALU_CYCLE_1)
	s_and_saveexec_b32 s5, s0
	s_xor_b32 s0, exec_lo, s5
	s_cbranch_execz .LBB161_55
; %bb.54:                               ;   in Loop: Header=BB161_41 Depth=1
	v_add_f32_e64 v11, |v3|, |v3|
	s_delay_alu instid0(VALU_DEP_1) | instskip(SKIP_1) | instid1(VALU_DEP_2)
	v_mul_f32_e32 v12, 0x3fb8aa3b, v11
	v_cmp_ngt_f32_e32 vcc_lo, 0xc2ce8ed0, v11
	v_rndne_f32_e32 v13, v12
	v_fma_f32 v14, 0x3fb8aa3b, v11, -v12
	s_delay_alu instid0(VALU_DEP_2) | instskip(NEXT) | instid1(VALU_DEP_2)
	v_sub_f32_e32 v12, v12, v13
	v_fmac_f32_e32 v14, 0x32a5705f, v11
	v_cvt_i32_f32_e32 v13, v13
	s_delay_alu instid0(VALU_DEP_2) | instskip(NEXT) | instid1(VALU_DEP_1)
	v_add_f32_e32 v12, v12, v14
	v_exp_f32_e32 v12, v12
	s_waitcnt_depctr 0xfff
	v_ldexp_f32 v12, v12, v13
	s_delay_alu instid0(VALU_DEP_1) | instskip(SKIP_1) | instid1(VALU_DEP_2)
	v_cndmask_b32_e32 v12, 0, v12, vcc_lo
	v_cmp_nlt_f32_e32 vcc_lo, 0x42b17218, v11
	v_cndmask_b32_e32 v11, 0x7f800000, v12, vcc_lo
	s_delay_alu instid0(VALU_DEP_1) | instskip(NEXT) | instid1(VALU_DEP_1)
	v_add_f32_e32 v11, 1.0, v11
	v_rcp_f32_e32 v11, v11
	s_waitcnt_depctr 0xfff
	v_fma_f32 v11, v11, -2.0, 1.0
.LBB161_55:                             ;   in Loop: Header=BB161_41 Depth=1
	s_and_not1_saveexec_b32 s0, s0
	s_cbranch_execz .LBB161_40
; %bb.56:                               ;   in Loop: Header=BB161_41 Depth=1
	v_mul_f32_e32 v11, v3, v3
	s_delay_alu instid0(VALU_DEP_1) | instskip(NEXT) | instid1(VALU_DEP_1)
	v_fmaak_f32 v12, s4, v11, 0x3ca908c9
	v_fmaak_f32 v12, v11, v12, 0xbd5c1c4e
	s_delay_alu instid0(VALU_DEP_1) | instskip(NEXT) | instid1(VALU_DEP_1)
	v_fmaak_f32 v12, v11, v12, 0x3e088382
	v_fmaak_f32 v12, v11, v12, 0xbeaaaa99
	s_delay_alu instid0(VALU_DEP_1) | instskip(NEXT) | instid1(VALU_DEP_1)
	v_mul_f32_e64 v12, |v3|, v12
	v_fma_f32 v11, v11, v12, |v3|
	s_branch .LBB161_40
.LBB161_57:
	s_nop 0
	s_sendmsg sendmsg(MSG_DEALLOC_VGPRS)
	s_endpgm
	.section	.rodata,"a",@progbits
	.p2align	6, 0x0
	.amdhsa_kernel _ZN2at6native12_GLOBAL__N_125multi_tensor_apply_kernelINS1_18TensorListMetadataILi1EEENS1_14UnaryOpFunctorIfLi1ELi1ELi0EEEJNS0_4TanhIfEEEEEvT_T0_DpT1_
		.amdhsa_group_segment_fixed_size 0
		.amdhsa_private_segment_fixed_size 0
		.amdhsa_kernarg_size 3632
		.amdhsa_user_sgpr_count 15
		.amdhsa_user_sgpr_dispatch_ptr 0
		.amdhsa_user_sgpr_queue_ptr 0
		.amdhsa_user_sgpr_kernarg_segment_ptr 1
		.amdhsa_user_sgpr_dispatch_id 0
		.amdhsa_user_sgpr_private_segment_size 0
		.amdhsa_wavefront_size32 1
		.amdhsa_uses_dynamic_stack 0
		.amdhsa_enable_private_segment 0
		.amdhsa_system_sgpr_workgroup_id_x 1
		.amdhsa_system_sgpr_workgroup_id_y 0
		.amdhsa_system_sgpr_workgroup_id_z 0
		.amdhsa_system_sgpr_workgroup_info 0
		.amdhsa_system_vgpr_workitem_id 0
		.amdhsa_next_free_vgpr 22
		.amdhsa_next_free_sgpr 22
		.amdhsa_reserve_vcc 1
		.amdhsa_float_round_mode_32 0
		.amdhsa_float_round_mode_16_64 0
		.amdhsa_float_denorm_mode_32 3
		.amdhsa_float_denorm_mode_16_64 3
		.amdhsa_dx10_clamp 1
		.amdhsa_ieee_mode 1
		.amdhsa_fp16_overflow 0
		.amdhsa_workgroup_processor_mode 1
		.amdhsa_memory_ordered 1
		.amdhsa_forward_progress 0
		.amdhsa_shared_vgpr_count 0
		.amdhsa_exception_fp_ieee_invalid_op 0
		.amdhsa_exception_fp_denorm_src 0
		.amdhsa_exception_fp_ieee_div_zero 0
		.amdhsa_exception_fp_ieee_overflow 0
		.amdhsa_exception_fp_ieee_underflow 0
		.amdhsa_exception_fp_ieee_inexact 0
		.amdhsa_exception_int_div_zero 0
	.end_amdhsa_kernel
	.section	.text._ZN2at6native12_GLOBAL__N_125multi_tensor_apply_kernelINS1_18TensorListMetadataILi1EEENS1_14UnaryOpFunctorIfLi1ELi1ELi0EEEJNS0_4TanhIfEEEEEvT_T0_DpT1_,"axG",@progbits,_ZN2at6native12_GLOBAL__N_125multi_tensor_apply_kernelINS1_18TensorListMetadataILi1EEENS1_14UnaryOpFunctorIfLi1ELi1ELi0EEEJNS0_4TanhIfEEEEEvT_T0_DpT1_,comdat
.Lfunc_end161:
	.size	_ZN2at6native12_GLOBAL__N_125multi_tensor_apply_kernelINS1_18TensorListMetadataILi1EEENS1_14UnaryOpFunctorIfLi1ELi1ELi0EEEJNS0_4TanhIfEEEEEvT_T0_DpT1_, .Lfunc_end161-_ZN2at6native12_GLOBAL__N_125multi_tensor_apply_kernelINS1_18TensorListMetadataILi1EEENS1_14UnaryOpFunctorIfLi1ELi1ELi0EEEJNS0_4TanhIfEEEEEvT_T0_DpT1_
                                        ; -- End function
	.section	.AMDGPU.csdata,"",@progbits
; Kernel info:
; codeLenInByte = 3152
; NumSgprs: 24
; NumVgprs: 22
; ScratchSize: 0
; MemoryBound: 0
; FloatMode: 240
; IeeeMode: 1
; LDSByteSize: 0 bytes/workgroup (compile time only)
; SGPRBlocks: 2
; VGPRBlocks: 2
; NumSGPRsForWavesPerEU: 24
; NumVGPRsForWavesPerEU: 22
; Occupancy: 16
; WaveLimiterHint : 0
; COMPUTE_PGM_RSRC2:SCRATCH_EN: 0
; COMPUTE_PGM_RSRC2:USER_SGPR: 15
; COMPUTE_PGM_RSRC2:TRAP_HANDLER: 0
; COMPUTE_PGM_RSRC2:TGID_X_EN: 1
; COMPUTE_PGM_RSRC2:TGID_Y_EN: 0
; COMPUTE_PGM_RSRC2:TGID_Z_EN: 0
; COMPUTE_PGM_RSRC2:TIDIG_COMP_CNT: 0
	.section	.text._ZN2at6native12_GLOBAL__N_125multi_tensor_apply_kernelINS1_18TensorListMetadataILi1EEENS1_14UnaryOpFunctorIN3c107complexIdEELi1ELi1ELi0EEEJNS0_4TanhIS8_EEEEEvT_T0_DpT1_,"axG",@progbits,_ZN2at6native12_GLOBAL__N_125multi_tensor_apply_kernelINS1_18TensorListMetadataILi1EEENS1_14UnaryOpFunctorIN3c107complexIdEELi1ELi1ELi0EEEJNS0_4TanhIS8_EEEEEvT_T0_DpT1_,comdat
	.globl	_ZN2at6native12_GLOBAL__N_125multi_tensor_apply_kernelINS1_18TensorListMetadataILi1EEENS1_14UnaryOpFunctorIN3c107complexIdEELi1ELi1ELi0EEEJNS0_4TanhIS8_EEEEEvT_T0_DpT1_ ; -- Begin function _ZN2at6native12_GLOBAL__N_125multi_tensor_apply_kernelINS1_18TensorListMetadataILi1EEENS1_14UnaryOpFunctorIN3c107complexIdEELi1ELi1ELi0EEEJNS0_4TanhIS8_EEEEEvT_T0_DpT1_
	.p2align	8
	.type	_ZN2at6native12_GLOBAL__N_125multi_tensor_apply_kernelINS1_18TensorListMetadataILi1EEENS1_14UnaryOpFunctorIN3c107complexIdEELi1ELi1ELi0EEEJNS0_4TanhIS8_EEEEEvT_T0_DpT1_,@function
_ZN2at6native12_GLOBAL__N_125multi_tensor_apply_kernelINS1_18TensorListMetadataILi1EEENS1_14UnaryOpFunctorIN3c107complexIdEELi1ELi1ELi0EEEJNS0_4TanhIS8_EEEEEvT_T0_DpT1_: ; @_ZN2at6native12_GLOBAL__N_125multi_tensor_apply_kernelINS1_18TensorListMetadataILi1EEENS1_14UnaryOpFunctorIN3c107complexIdEELi1ELi1ELi0EEEJNS0_4TanhIS8_EEEEEvT_T0_DpT1_
; %bb.0:
	v_mov_b32_e32 v1, s15
	s_add_u32 s2, s0, s15
	s_mul_hi_u32 s3, s15, 3
	s_mul_i32 s15, s15, 3
	s_addc_u32 s4, s1, 0
	global_load_u8 v1, v1, s[0:1] offset:1760
	s_add_u32 s2, s2, s15
	s_addc_u32 s3, s4, s3
                                        ; implicit-def: $vgpr69 : SGPR spill to VGPR lane
	s_mov_b32 s7, 0
	s_load_b32 s2, s[2:3], 0x820
	s_waitcnt vmcnt(0)
	v_readfirstlane_b32 s5, v1
	s_delay_alu instid0(VALU_DEP_1)
	s_lshl_b32 s3, s5, 3
	s_clause 0x1
	s_load_b64 s[8:9], s[0:1], s3 offset:0x0
	s_load_b64 s[4:5], s[0:1], s3 offset:0x370
	s_waitcnt lgkmcnt(0)
	s_ashr_i32 s3, s2, 31
	s_delay_alu instid0(SALU_CYCLE_1) | instskip(NEXT) | instid1(SALU_CYCLE_1)
	s_lshl_b64 s[12:13], s[2:3], 20
	s_add_u32 s33, s8, s12
	v_writelane_b32 v69, s8, 0
	s_addc_u32 s104, s9, s13
	s_lshl_b64 s[2:3], s[2:3], 16
	s_and_b32 s6, s33, 63
	v_writelane_b32 v69, s9, 1
	s_sub_u32 s8, s4, s2
	s_subb_u32 s9, s5, s3
	s_and_b32 s2, s4, 3
	s_mov_b32 s3, s7
	s_delay_alu instid0(SALU_CYCLE_1) | instskip(NEXT) | instid1(SALU_CYCLE_1)
	s_or_b64 s[2:3], s[6:7], s[2:3]
	s_cmp_eq_u64 s[2:3], 0
	s_cbranch_scc1 .LBB162_173
; %bb.1:
	v_cmp_lt_i64_e64 s2, s[8:9], 1
	s_delay_alu instid0(VALU_DEP_1)
	s_and_b32 vcc_lo, exec_lo, s2
	s_cbranch_vccnz .LBB162_172
; %bb.2:
	s_load_b32 s2, s[0:1], 0xd3c
	v_cmp_gt_u64_e64 s3, 0x10000, s[8:9]
	s_mov_b32 s18, 0x54442d18
	s_mov_b32 s24, 0x6dc9c883
	;; [unrolled: 1-line block ×18, first 2 shown]
	s_waitcnt lgkmcnt(0)
	s_and_b32 s2, s2, 0xffff
	s_and_b32 s3, s3, exec_lo
	v_add_co_u32 v39, s5, v0, s2
	v_mov_b32_e32 v17, 0
	s_cselect_b32 s17, s9, 0
	s_cselect_b32 s16, s8, 0x10000
	s_delay_alu instid0(VALU_DEP_2) | instskip(NEXT) | instid1(VALU_DEP_2)
	v_lshlrev_b32_e32 v44, 4, v39
	v_dual_mov_b32 v20, v17 :: v_dual_lshlrev_b32 v19, 4, v0
	s_lshl_b32 s3, s2, 1
	s_mul_i32 s4, s2, 3
	s_lshl_b32 vcc_hi, s2, 2
	s_lshl_b32 s48, s2, 6
	v_mad_u64_u32 v[21:22], null, s2, 48, v[19:20]
	s_lshl_b32 s2, s2, 5
	v_add_co_u32 v40, s4, s4, v0
	v_add_co_u32 v1, s2, s2, v19
	s_delay_alu instid0(VALU_DEP_1)
	v_add_co_ci_u32_e64 v42, null, 0, 0, s2
	v_add_co_u32 v45, s2, s3, v0
	v_add_co_ci_u32_e64 v20, null, 0, 0, s5
	v_add_co_ci_u32_e64 v41, null, 0, 0, s4
	v_or_b32_e32 v43, 8, v1
	v_or_b32_e32 v21, 8, v21
	v_add_co_ci_u32_e64 v46, null, 0, 0, s2
	s_mov_b32 s46, 0x55555555
	s_mov_b32 s90, 0x55555511
	;; [unrolled: 1-line block ×13, first 2 shown]
	s_mov_b64 s[14:15], 0
	s_mov_b32 s7, 0x3ff921fb
	s_mov_b32 s19, 0xbff921fb
	;; [unrolled: 1-line block ×40, first 2 shown]
	s_branch .LBB162_4
.LBB162_3:                              ;   in Loop: Header=BB162_4 Depth=1
	s_or_b32 exec_lo, exec_lo, s2
	s_add_u32 s14, s14, vcc_hi
	s_addc_u32 s15, s15, 0
	s_delay_alu instid0(SALU_CYCLE_1) | instskip(SKIP_1) | instid1(VALU_DEP_1)
	v_cmp_ge_i64_e64 s2, s[14:15], s[8:9]
	v_cmp_lt_u64_e64 s3, 0xffff, s[14:15]
	s_or_b32 s2, s2, s3
	s_add_u32 s33, s33, s48
	s_addc_u32 s104, s104, 0
	s_and_b32 vcc_lo, exec_lo, s2
	s_cbranch_vccnz .LBB162_172
.LBB162_4:                              ; =>This Inner Loop Header: Depth=1
	v_add_co_u32 v1, s2, v0, s14
	v_mov_b32_e32 v3, 0
	v_add_co_ci_u32_e64 v2, null, 0, s15, s2
	v_mov_b32_e32 v4, 0
	s_delay_alu instid0(VALU_DEP_2) | instskip(NEXT) | instid1(VALU_DEP_2)
	v_cmp_gt_u64_e64 s2, s[16:17], v[1:2]
	v_dual_mov_b32 v8, v4 :: v_dual_mov_b32 v7, v3
	v_dual_mov_b32 v6, v4 :: v_dual_mov_b32 v5, v3
	s_delay_alu instid0(VALU_DEP_3)
	s_and_saveexec_b32 s3, s2
	s_cbranch_execz .LBB162_6
; %bb.5:                                ;   in Loop: Header=BB162_4 Depth=1
	v_add_co_u32 v1, s4, s33, v19
	s_delay_alu instid0(VALU_DEP_1)
	v_add_co_ci_u32_e64 v2, null, s104, 0, s4
	global_load_b128 v[5:8], v[1:2], off
.LBB162_6:                              ;   in Loop: Header=BB162_4 Depth=1
	s_or_b32 exec_lo, exec_lo, s3
	v_add_co_u32 v1, vcc_lo, v39, s14
	v_add_co_ci_u32_e32 v2, vcc_lo, s15, v20, vcc_lo
	s_delay_alu instid0(VALU_DEP_1) | instskip(SKIP_1) | instid1(VALU_DEP_2)
	v_cmp_gt_u64_e64 s3, s[16:17], v[1:2]
	v_dual_mov_b32 v1, v3 :: v_dual_mov_b32 v2, v4
	s_and_saveexec_b32 s4, s3
	s_cbranch_execz .LBB162_8
; %bb.7:                                ;   in Loop: Header=BB162_4 Depth=1
	v_add_co_u32 v1, s5, s33, v44
	s_delay_alu instid0(VALU_DEP_1)
	v_add_co_ci_u32_e64 v2, null, s104, 0, s5
	global_load_b128 v[1:4], v[1:2], off
.LBB162_8:                              ;   in Loop: Header=BB162_4 Depth=1
	s_or_b32 exec_lo, exec_lo, s4
	v_add_co_u32 v9, vcc_lo, v45, s14
	v_mov_b32_e32 v11, 0
	v_add_co_ci_u32_e32 v10, vcc_lo, s15, v46, vcc_lo
	v_mov_b32_e32 v12, 0
	s_delay_alu instid0(VALU_DEP_2) | instskip(NEXT) | instid1(VALU_DEP_2)
	v_cmp_gt_u64_e64 s4, s[16:17], v[9:10]
	v_dual_mov_b32 v16, v12 :: v_dual_mov_b32 v15, v11
	v_dual_mov_b32 v14, v12 :: v_dual_mov_b32 v13, v11
	s_delay_alu instid0(VALU_DEP_3)
	s_and_saveexec_b32 s5, s4
	s_cbranch_execz .LBB162_10
; %bb.9:                                ;   in Loop: Header=BB162_4 Depth=1
	v_add_co_u32 v9, vcc_lo, s33, v43
	v_add_co_ci_u32_e32 v10, vcc_lo, s104, v42, vcc_lo
	global_load_b128 v[13:16], v[9:10], off offset:-8
.LBB162_10:                             ;   in Loop: Header=BB162_4 Depth=1
	s_or_b32 exec_lo, exec_lo, s5
	v_add_co_u32 v9, vcc_lo, v40, s14
	v_add_co_ci_u32_e32 v10, vcc_lo, s15, v41, vcc_lo
	s_delay_alu instid0(VALU_DEP_1) | instskip(SKIP_1) | instid1(VALU_DEP_2)
	v_cmp_gt_u64_e64 s5, s[16:17], v[9:10]
	v_dual_mov_b32 v9, v11 :: v_dual_mov_b32 v10, v12
	s_and_saveexec_b32 s6, s5
	s_cbranch_execz .LBB162_12
; %bb.11:                               ;   in Loop: Header=BB162_4 Depth=1
	v_add_co_u32 v9, vcc_lo, s33, v21
	v_add_co_ci_u32_e32 v10, vcc_lo, s104, v22, vcc_lo
	global_load_b128 v[9:12], v[9:10], off offset:-8
.LBB162_12:                             ;   in Loop: Header=BB162_4 Depth=1
	s_or_b32 exec_lo, exec_lo, s6
	s_waitcnt vmcnt(0)
	v_and_b32_e32 v27, 0x7fffffff, v6
	s_mov_b32 s6, exec_lo
	s_delay_alu instid0(VALU_DEP_1)
	v_cmpx_gt_u32_e32 0x7ff00000, v27
	s_xor_b32 s49, exec_lo, s6
	s_cbranch_execz .LBB162_34
; %bb.13:                               ;   in Loop: Header=BB162_4 Depth=1
	v_cmp_class_f64_e64 s6, v[7:8], 0x1f8
	s_delay_alu instid0(VALU_DEP_1) | instskip(NEXT) | instid1(SALU_CYCLE_1)
	s_and_saveexec_b32 s20, s6
	s_xor_b32 s50, exec_lo, s20
	s_cbranch_execz .LBB162_31
; %bb.14:                               ;   in Loop: Header=BB162_4 Depth=1
	s_mov_b32 s6, exec_lo
	v_cmpx_gt_u32_e32 0x40360000, v27
	s_xor_b32 s44, exec_lo, s6
	s_cbranch_execz .LBB162_20
; %bb.15:                               ;   in Loop: Header=BB162_4 Depth=1
	s_mov_b32 s20, exec_lo
                                        ; implicit-def: $vgpr18
                                        ; implicit-def: $vgpr23_vgpr24
                                        ; implicit-def: $vgpr25_vgpr26
	v_cmpx_ngt_f64_e64 0x41d00000, |v[7:8]|
	s_xor_b32 s20, exec_lo, s20
	s_cbranch_execz .LBB162_17
; %bb.16:                               ;   in Loop: Header=BB162_4 Depth=1
	v_ldexp_f64 v[23:24], |v[7:8]|, 0xffffff80
	v_cmp_le_f64_e64 vcc_lo, 0x7b000000, |v[7:8]|
	v_trig_preop_f64 v[25:26], |v[7:8]|, 0
	v_and_b32_e32 v18, 0x7fffffff, v8
	v_trig_preop_f64 v[30:31], |v[7:8]|, 1
	v_trig_preop_f64 v[34:35], |v[7:8]|, 2
	s_mov_b32 s6, s18
	s_mov_b32 s23, s21
	v_dual_cndmask_b32 v23, v7, v23 :: v_dual_cndmask_b32 v24, v18, v24
	s_delay_alu instid0(VALU_DEP_1) | instskip(NEXT) | instid1(VALU_DEP_4)
	v_mul_f64 v[28:29], v[25:26], v[23:24]
	v_mul_f64 v[32:33], v[30:31], v[23:24]
	s_delay_alu instid0(VALU_DEP_4) | instskip(NEXT) | instid1(VALU_DEP_3)
	v_mul_f64 v[36:37], v[34:35], v[23:24]
	v_fma_f64 v[25:26], v[25:26], v[23:24], -v[28:29]
	s_delay_alu instid0(VALU_DEP_3) | instskip(NEXT) | instid1(VALU_DEP_3)
	v_fma_f64 v[30:31], v[30:31], v[23:24], -v[32:33]
	v_fma_f64 v[23:24], v[34:35], v[23:24], -v[36:37]
	s_delay_alu instid0(VALU_DEP_3) | instskip(NEXT) | instid1(VALU_DEP_1)
	v_add_f64 v[34:35], v[32:33], v[25:26]
	v_add_f64 v[47:48], v[34:35], -v[32:33]
	s_delay_alu instid0(VALU_DEP_1) | instskip(SKIP_1) | instid1(VALU_DEP_1)
	v_add_f64 v[25:26], v[25:26], -v[47:48]
	v_add_f64 v[47:48], v[34:35], -v[47:48]
	;; [unrolled: 1-line block ×3, first 2 shown]
	v_add_f64 v[47:48], v[28:29], v[34:35]
	s_delay_alu instid0(VALU_DEP_2) | instskip(NEXT) | instid1(VALU_DEP_2)
	v_add_f64 v[25:26], v[25:26], v[32:33]
	v_add_f64 v[28:29], v[47:48], -v[28:29]
	v_add_f64 v[32:33], v[36:37], v[30:31]
	v_ldexp_f64 v[47:48], v[47:48], -2
	s_delay_alu instid0(VALU_DEP_3) | instskip(NEXT) | instid1(VALU_DEP_3)
	v_add_f64 v[28:29], v[34:35], -v[28:29]
	v_add_f64 v[34:35], v[32:33], -v[36:37]
	s_delay_alu instid0(VALU_DEP_3) | instskip(SKIP_1) | instid1(VALU_DEP_3)
	v_cmp_neq_f64_e64 vcc_lo, 0x7ff00000, |v[47:48]|
	v_fract_f64_e32 v[47:48], v[47:48]
	v_add_f64 v[30:31], v[30:31], -v[34:35]
	v_add_f64 v[34:35], v[32:33], -v[34:35]
	s_delay_alu instid0(VALU_DEP_3) | instskip(NEXT) | instid1(VALU_DEP_2)
	v_dual_cndmask_b32 v47, 0, v47 :: v_dual_cndmask_b32 v48, 0, v48
	v_add_f64 v[34:35], v[36:37], -v[34:35]
	v_add_f64 v[36:37], v[32:33], v[25:26]
	s_delay_alu instid0(VALU_DEP_2) | instskip(NEXT) | instid1(VALU_DEP_2)
	v_add_f64 v[30:31], v[30:31], v[34:35]
	v_add_f64 v[49:50], v[36:37], -v[32:33]
	v_add_f64 v[34:35], v[28:29], v[36:37]
	s_delay_alu instid0(VALU_DEP_2) | instskip(SKIP_1) | instid1(VALU_DEP_3)
	v_add_f64 v[25:26], v[25:26], -v[49:50]
	v_add_f64 v[49:50], v[36:37], -v[49:50]
	;; [unrolled: 1-line block ×3, first 2 shown]
	s_delay_alu instid0(VALU_DEP_2) | instskip(NEXT) | instid1(VALU_DEP_2)
	v_add_f64 v[32:33], v[32:33], -v[49:50]
	v_add_f64 v[28:29], v[36:37], -v[28:29]
	s_delay_alu instid0(VALU_DEP_2) | instskip(SKIP_1) | instid1(VALU_DEP_2)
	v_add_f64 v[25:26], v[25:26], v[32:33]
	v_ldexp_f64 v[32:33], v[47:48], 2
	v_add_f64 v[25:26], v[30:31], v[25:26]
	s_delay_alu instid0(VALU_DEP_2) | instskip(NEXT) | instid1(VALU_DEP_2)
	v_add_f64 v[47:48], v[34:35], v[32:33]
	v_add_f64 v[23:24], v[23:24], v[25:26]
	s_delay_alu instid0(VALU_DEP_2) | instskip(NEXT) | instid1(VALU_DEP_2)
	v_cmp_gt_f64_e32 vcc_lo, 0, v[47:48]
	v_add_f64 v[23:24], v[28:29], v[23:24]
	v_cndmask_b32_e64 v18, 0, 0x40100000, vcc_lo
	s_delay_alu instid0(VALU_DEP_1) | instskip(NEXT) | instid1(VALU_DEP_1)
	v_add_f64 v[25:26], v[32:33], v[17:18]
	v_add_f64 v[30:31], v[34:35], v[25:26]
	s_delay_alu instid0(VALU_DEP_1) | instskip(NEXT) | instid1(VALU_DEP_1)
	v_cvt_i32_f64_e32 v32, v[30:31]
	v_cvt_f64_i32_e32 v[30:31], v32
	s_delay_alu instid0(VALU_DEP_1) | instskip(NEXT) | instid1(VALU_DEP_1)
	v_add_f64 v[25:26], v[25:26], -v[30:31]
	v_add_f64 v[28:29], v[34:35], v[25:26]
	s_delay_alu instid0(VALU_DEP_1) | instskip(SKIP_1) | instid1(VALU_DEP_2)
	v_add_f64 v[25:26], v[28:29], -v[25:26]
	v_cmp_le_f64_e32 vcc_lo, 0.5, v[28:29]
	v_add_f64 v[25:26], v[34:35], -v[25:26]
	v_cndmask_b32_e64 v18, 0, 0x3ff00000, vcc_lo
	s_delay_alu instid0(VALU_DEP_1) | instskip(SKIP_1) | instid1(VALU_DEP_4)
	v_add_f64 v[28:29], v[28:29], -v[17:18]
	v_add_co_ci_u32_e32 v18, vcc_lo, 0, v32, vcc_lo
	v_add_f64 v[23:24], v[23:24], v[25:26]
	s_delay_alu instid0(VALU_DEP_1) | instskip(NEXT) | instid1(VALU_DEP_1)
	v_add_f64 v[25:26], v[28:29], v[23:24]
	v_add_f64 v[28:29], v[25:26], -v[28:29]
	s_delay_alu instid0(VALU_DEP_1) | instskip(SKIP_1) | instid1(VALU_DEP_1)
	v_add_f64 v[23:24], v[23:24], -v[28:29]
	v_mul_f64 v[28:29], v[25:26], s[6:7]
	v_fma_f64 v[30:31], v[25:26], s[6:7], -v[28:29]
	s_delay_alu instid0(VALU_DEP_1) | instskip(NEXT) | instid1(VALU_DEP_1)
	v_fma_f64 v[25:26], v[25:26], s[22:23], v[30:31]
	v_fma_f64 v[25:26], v[23:24], s[6:7], v[25:26]
	s_delay_alu instid0(VALU_DEP_1) | instskip(NEXT) | instid1(VALU_DEP_1)
	v_add_f64 v[23:24], v[28:29], v[25:26]
	v_add_f64 v[28:29], v[23:24], -v[28:29]
	s_delay_alu instid0(VALU_DEP_1)
	v_add_f64 v[25:26], v[25:26], -v[28:29]
.LBB162_17:                             ;   in Loop: Header=BB162_4 Depth=1
	s_and_not1_saveexec_b32 s6, s20
	s_cbranch_execz .LBB162_19
; %bb.18:                               ;   in Loop: Header=BB162_4 Depth=1
	v_mul_f64 v[23:24], |v[7:8]|, s[24:25]
	s_mov_b32 s20, s26
	s_delay_alu instid0(VALU_DEP_1) | instskip(NEXT) | instid1(VALU_DEP_1)
	v_rndne_f64_e32 v[28:29], v[23:24]
	v_fma_f64 v[23:24], v[28:29], s[18:19], |v[7:8]|
	v_mul_f64 v[25:26], v[28:29], s[26:27]
	v_cvt_i32_f64_e32 v18, v[28:29]
	s_delay_alu instid0(VALU_DEP_3) | instskip(NEXT) | instid1(VALU_DEP_3)
	v_fma_f64 v[32:33], v[28:29], s[26:27], v[23:24]
	v_add_f64 v[30:31], v[23:24], v[25:26]
	s_delay_alu instid0(VALU_DEP_1) | instskip(NEXT) | instid1(VALU_DEP_3)
	v_add_f64 v[23:24], v[23:24], -v[30:31]
	v_add_f64 v[30:31], v[30:31], -v[32:33]
	s_delay_alu instid0(VALU_DEP_2) | instskip(SKIP_1) | instid1(VALU_DEP_2)
	v_add_f64 v[23:24], v[23:24], v[25:26]
	v_fma_f64 v[25:26], v[28:29], s[20:21], v[25:26]
	v_add_f64 v[23:24], v[30:31], v[23:24]
	s_delay_alu instid0(VALU_DEP_1) | instskip(NEXT) | instid1(VALU_DEP_1)
	v_add_f64 v[23:24], v[23:24], -v[25:26]
	v_fma_f64 v[25:26], v[28:29], s[28:29], v[23:24]
	s_delay_alu instid0(VALU_DEP_1) | instskip(NEXT) | instid1(VALU_DEP_1)
	v_add_f64 v[23:24], v[32:33], v[25:26]
	v_add_f64 v[30:31], v[23:24], -v[32:33]
	s_delay_alu instid0(VALU_DEP_1)
	v_add_f64 v[25:26], v[25:26], -v[30:31]
.LBB162_19:                             ;   in Loop: Header=BB162_4 Depth=1
	s_or_b32 exec_lo, exec_lo, s6
	v_add_f64 v[28:29], |v[5:6]|, s[40:41]
	s_mov_b32 s62, s40
	s_mov_b32 s66, s68
	;; [unrolled: 1-line block ×5, first 2 shown]
	v_cmp_nge_f64_e64 vcc_lo, |v[5:6]|, s[94:95]
	v_cmp_gt_f64_e64 s6, 0x3e400000, |v[5:6]|
	s_mov_b32 s52, 0xa9a29f71
	s_mov_b32 s54, 0xc751c08c
	;; [unrolled: 1-line block ×4, first 2 shown]
	v_and_b32_e32 v18, 1, v18
	s_delay_alu instid0(VALU_DEP_4) | instskip(NEXT) | instid1(VALU_DEP_1)
	v_add_f64 v[30:31], v[28:29], -|v[5:6]|
	v_add_f64 v[32:33], v[30:31], -v[28:29]
	v_add_f64 v[30:31], v[30:31], s[62:63]
	s_delay_alu instid0(VALU_DEP_2) | instskip(NEXT) | instid1(VALU_DEP_1)
	v_add_f64 v[32:33], |v[5:6]|, v[32:33]
	v_add_f64 v[30:31], v[32:33], -v[30:31]
	s_delay_alu instid0(VALU_DEP_1) | instskip(NEXT) | instid1(VALU_DEP_1)
	v_add_f64 v[30:31], v[30:31], s[64:65]
	v_add_f64 v[32:33], v[28:29], v[30:31]
	s_delay_alu instid0(VALU_DEP_1) | instskip(NEXT) | instid1(VALU_DEP_1)
	v_add_f64 v[28:29], v[28:29], -v[32:33]
	v_add_f64 v[28:29], v[30:31], v[28:29]
	v_mul_f64 v[30:31], v[32:33], s[66:67]
	s_delay_alu instid0(VALU_DEP_1) | instskip(NEXT) | instid1(VALU_DEP_1)
	v_rndne_f64_e32 v[30:31], v[30:31]
	v_fma_f64 v[32:33], v[30:31], s[60:61], v[32:33]
	v_cvt_i32_f64_e32 v7, v[30:31]
	s_delay_alu instid0(VALU_DEP_2) | instskip(NEXT) | instid1(VALU_DEP_1)
	v_add_f64 v[34:35], v[28:29], v[32:33]
	v_add_f64 v[32:33], v[32:33], -v[34:35]
	s_delay_alu instid0(VALU_DEP_1) | instskip(SKIP_1) | instid1(VALU_DEP_1)
	v_add_f64 v[28:29], v[28:29], v[32:33]
	v_mul_f64 v[32:33], v[30:31], s[70:71]
	v_add_f64 v[36:37], v[34:35], v[32:33]
	s_delay_alu instid0(VALU_DEP_1) | instskip(NEXT) | instid1(VALU_DEP_1)
	v_add_f64 v[34:35], v[34:35], -v[36:37]
	v_add_f64 v[32:33], v[34:35], v[32:33]
	s_delay_alu instid0(VALU_DEP_1) | instskip(NEXT) | instid1(VALU_DEP_1)
	v_add_f64 v[28:29], v[28:29], v[32:33]
	v_add_f64 v[32:33], v[36:37], v[28:29]
	s_delay_alu instid0(VALU_DEP_1) | instskip(NEXT) | instid1(VALU_DEP_1)
	v_add_f64 v[34:35], v[36:37], -v[32:33]
	v_add_f64 v[28:29], v[28:29], v[34:35]
	v_mul_f64 v[34:35], v[30:31], s[72:73]
	s_delay_alu instid0(VALU_DEP_1) | instskip(NEXT) | instid1(VALU_DEP_1)
	v_add_f64 v[36:37], v[32:33], v[34:35]
	v_add_f64 v[32:33], v[32:33], -v[36:37]
	s_delay_alu instid0(VALU_DEP_1) | instskip(NEXT) | instid1(VALU_DEP_1)
	v_add_f64 v[32:33], v[32:33], v[34:35]
	v_add_f64 v[28:29], v[28:29], v[32:33]
	s_delay_alu instid0(VALU_DEP_1) | instskip(NEXT) | instid1(VALU_DEP_1)
	v_add_f64 v[32:33], v[36:37], v[28:29]
	v_add_f64 v[34:35], v[36:37], -v[32:33]
	s_delay_alu instid0(VALU_DEP_1) | instskip(SKIP_1) | instid1(VALU_DEP_2)
	v_add_f64 v[28:29], v[28:29], v[34:35]
	v_mul_f64 v[34:35], v[32:33], v[32:33]
	v_add_f64 v[47:48], v[28:29], v[28:29]
	s_delay_alu instid0(VALU_DEP_2) | instskip(NEXT) | instid1(VALU_DEP_1)
	v_fma_f64 v[36:37], v[32:33], v[32:33], -v[34:35]
	v_fma_f64 v[36:37], v[32:33], v[47:48], v[36:37]
	s_delay_alu instid0(VALU_DEP_1) | instskip(NEXT) | instid1(VALU_DEP_1)
	v_add_f64 v[47:48], v[34:35], v[36:37]
	v_add_f64 v[34:35], v[47:48], -v[34:35]
	s_delay_alu instid0(VALU_DEP_1) | instskip(SKIP_1) | instid1(VALU_DEP_1)
	v_add_f64 v[34:35], v[36:37], -v[34:35]
	v_fma_f64 v[36:37], v[32:33], s[76:77], s[74:75]
	v_fma_f64 v[36:37], v[32:33], v[36:37], s[78:79]
	s_delay_alu instid0(VALU_DEP_1) | instskip(NEXT) | instid1(VALU_DEP_1)
	v_fma_f64 v[36:37], v[32:33], v[36:37], s[80:81]
	v_fma_f64 v[36:37], v[32:33], v[36:37], s[82:83]
	s_delay_alu instid0(VALU_DEP_1) | instskip(NEXT) | instid1(VALU_DEP_1)
	v_fma_f64 v[36:37], v[32:33], v[36:37], s[84:85]
	v_fma_f64 v[36:37], v[32:33], v[36:37], s[86:87]
	s_delay_alu instid0(VALU_DEP_1) | instskip(NEXT) | instid1(VALU_DEP_1)
	v_fma_f64 v[36:37], v[32:33], v[36:37], s[88:89]
	v_fma_f64 v[36:37], v[32:33], v[36:37], s[90:91]
	s_delay_alu instid0(VALU_DEP_1) | instskip(NEXT) | instid1(VALU_DEP_1)
	v_fma_f64 v[36:37], v[32:33], v[36:37], s[92:93]
	v_mul_f64 v[49:50], v[47:48], v[36:37]
	s_delay_alu instid0(VALU_DEP_1) | instskip(NEXT) | instid1(VALU_DEP_1)
	v_fma_f64 v[47:48], v[47:48], v[36:37], -v[49:50]
	v_fma_f64 v[34:35], v[34:35], v[36:37], v[47:48]
	s_delay_alu instid0(VALU_DEP_1) | instskip(NEXT) | instid1(VALU_DEP_1)
	v_add_f64 v[36:37], v[49:50], v[34:35]
	v_add_f64 v[47:48], v[36:37], -v[49:50]
	s_delay_alu instid0(VALU_DEP_1) | instskip(SKIP_1) | instid1(VALU_DEP_2)
	v_add_f64 v[34:35], v[34:35], -v[47:48]
	v_add_f64 v[47:48], v[32:33], v[36:37]
	v_add_f64 v[28:29], v[28:29], v[34:35]
	s_delay_alu instid0(VALU_DEP_2) | instskip(NEXT) | instid1(VALU_DEP_1)
	v_add_f64 v[32:33], v[47:48], -v[32:33]
	v_add_f64 v[32:33], v[36:37], -v[32:33]
	s_delay_alu instid0(VALU_DEP_1) | instskip(NEXT) | instid1(VALU_DEP_1)
	v_add_f64 v[28:29], v[28:29], v[32:33]
	v_add_f64 v[32:33], v[47:48], v[28:29]
	s_delay_alu instid0(VALU_DEP_1) | instskip(NEXT) | instid1(VALU_DEP_1)
	v_add_f64 v[34:35], v[32:33], -v[47:48]
	v_add_f64 v[28:29], v[28:29], -v[34:35]
	v_add_f64 v[34:35], v[32:33], 1.0
	s_delay_alu instid0(VALU_DEP_1) | instskip(NEXT) | instid1(VALU_DEP_1)
	v_add_f64 v[36:37], v[34:35], -1.0
	v_add_f64 v[32:33], v[32:33], -v[36:37]
	s_delay_alu instid0(VALU_DEP_1) | instskip(NEXT) | instid1(VALU_DEP_1)
	v_add_f64 v[28:29], v[28:29], v[32:33]
	v_add_f64 v[30:31], v[34:35], v[28:29]
	s_delay_alu instid0(VALU_DEP_1) | instskip(SKIP_1) | instid1(VALU_DEP_2)
	v_add_f64 v[32:33], v[30:31], -v[34:35]
	v_ldexp_f64 v[30:31], v[30:31], v7
	v_add_f64 v[28:29], v[28:29], -v[32:33]
	s_delay_alu instid0(VALU_DEP_2) | instskip(NEXT) | instid1(VALU_DEP_1)
	v_rcp_f64_e32 v[34:35], v[30:31]
	v_ldexp_f64 v[28:29], v[28:29], v7
	s_waitcnt_depctr 0xfff
	v_fma_f64 v[36:37], -v[30:31], v[34:35], 1.0
	s_delay_alu instid0(VALU_DEP_1) | instskip(NEXT) | instid1(VALU_DEP_1)
	v_fma_f64 v[34:35], v[36:37], v[34:35], v[34:35]
	v_fma_f64 v[32:33], -v[30:31], v[34:35], 1.0
	s_delay_alu instid0(VALU_DEP_1) | instskip(NEXT) | instid1(VALU_DEP_1)
	v_fma_f64 v[32:33], v[32:33], v[34:35], v[34:35]
	v_mul_f64 v[34:35], v[30:31], v[32:33]
	s_delay_alu instid0(VALU_DEP_1) | instskip(NEXT) | instid1(VALU_DEP_1)
	v_fma_f64 v[36:37], v[32:33], v[30:31], -v[34:35]
	v_fma_f64 v[36:37], v[32:33], v[28:29], v[36:37]
	s_delay_alu instid0(VALU_DEP_1) | instskip(NEXT) | instid1(VALU_DEP_1)
	v_add_f64 v[47:48], v[34:35], v[36:37]
	v_add_f64 v[34:35], v[47:48], -v[34:35]
	s_delay_alu instid0(VALU_DEP_1) | instskip(SKIP_1) | instid1(VALU_DEP_1)
	v_add_f64 v[34:35], v[34:35], -v[36:37]
	v_add_f64 v[36:37], -v[47:48], 1.0
	v_add_f64 v[49:50], -v[36:37], 1.0
	s_delay_alu instid0(VALU_DEP_1) | instskip(NEXT) | instid1(VALU_DEP_1)
	v_add_f64 v[47:48], v[49:50], -v[47:48]
	v_add_f64 v[34:35], v[34:35], v[47:48]
	s_delay_alu instid0(VALU_DEP_1) | instskip(NEXT) | instid1(VALU_DEP_1)
	v_add_f64 v[47:48], v[36:37], v[34:35]
	v_add_f64 v[36:37], v[36:37], -v[47:48]
	s_delay_alu instid0(VALU_DEP_1) | instskip(SKIP_1) | instid1(VALU_DEP_1)
	v_add_f64 v[34:35], v[34:35], v[36:37]
	v_mul_f64 v[36:37], v[32:33], v[47:48]
	v_mul_f64 v[49:50], v[30:31], v[36:37]
	s_delay_alu instid0(VALU_DEP_1) | instskip(NEXT) | instid1(VALU_DEP_1)
	v_fma_f64 v[51:52], v[36:37], v[30:31], -v[49:50]
	v_fma_f64 v[51:52], v[36:37], v[28:29], v[51:52]
	s_delay_alu instid0(VALU_DEP_1) | instskip(NEXT) | instid1(VALU_DEP_1)
	v_add_f64 v[53:54], v[49:50], v[51:52]
	v_add_f64 v[55:56], v[47:48], -v[53:54]
	v_add_f64 v[49:50], v[53:54], -v[49:50]
	s_delay_alu instid0(VALU_DEP_2) | instskip(NEXT) | instid1(VALU_DEP_2)
	v_add_f64 v[47:48], v[47:48], -v[55:56]
	v_add_f64 v[49:50], v[49:50], -v[51:52]
	s_delay_alu instid0(VALU_DEP_2) | instskip(NEXT) | instid1(VALU_DEP_1)
	v_add_f64 v[47:48], v[47:48], -v[53:54]
	v_add_f64 v[34:35], v[34:35], v[47:48]
	v_add_f64 v[47:48], v[32:33], v[36:37]
	s_delay_alu instid0(VALU_DEP_2) | instskip(NEXT) | instid1(VALU_DEP_2)
	v_add_f64 v[34:35], v[49:50], v[34:35]
	v_add_f64 v[49:50], v[47:48], -v[32:33]
	s_delay_alu instid0(VALU_DEP_2) | instskip(NEXT) | instid1(VALU_DEP_2)
	v_add_f64 v[34:35], v[55:56], v[34:35]
	v_add_f64 v[36:37], v[36:37], -v[49:50]
	s_delay_alu instid0(VALU_DEP_2) | instskip(NEXT) | instid1(VALU_DEP_1)
	v_mul_f64 v[32:33], v[32:33], v[34:35]
	v_add_f64 v[32:33], v[36:37], v[32:33]
	s_delay_alu instid0(VALU_DEP_1) | instskip(NEXT) | instid1(VALU_DEP_1)
	v_add_f64 v[34:35], v[47:48], v[32:33]
	v_add_f64 v[36:37], v[34:35], -v[47:48]
	v_ldexp_f64 v[34:35], v[34:35], -2
	s_delay_alu instid0(VALU_DEP_2) | instskip(NEXT) | instid1(VALU_DEP_2)
	v_add_f64 v[32:33], v[32:33], -v[36:37]
	v_add_f64 v[47:48], v[30:31], -v[34:35]
	v_and_b32_e32 v37, 0x80000000, v8
	s_delay_alu instid0(VALU_DEP_2) | instskip(NEXT) | instid1(VALU_DEP_1)
	v_add_f64 v[30:31], v[30:31], -v[47:48]
	v_add_f64 v[30:31], v[30:31], -v[34:35]
	s_delay_alu instid0(VALU_DEP_1) | instskip(SKIP_1) | instid1(VALU_DEP_1)
	v_add_f64 v[28:29], v[28:29], v[30:31]
	v_ldexp_f64 v[30:31], v[32:33], -2
	v_add_f64 v[28:29], v[28:29], -v[30:31]
	s_delay_alu instid0(VALU_DEP_1) | instskip(NEXT) | instid1(VALU_DEP_1)
	v_add_f64 v[28:29], v[47:48], v[28:29]
	v_cndmask_b32_e32 v7, 0x7ff00000, v29, vcc_lo
	s_delay_alu instid0(VALU_DEP_2) | instskip(NEXT) | instid1(VALU_DEP_2)
	v_cndmask_b32_e32 v28, 0, v28, vcc_lo
	v_cndmask_b32_e64 v7, v7, v27, s6
	s_delay_alu instid0(VALU_DEP_2) | instskip(SKIP_1) | instid1(VALU_DEP_3)
	v_cndmask_b32_e64 v5, v28, v5, s6
	v_cmp_eq_u32_e64 s6, 0, v18
	v_bfi_b32 v6, 0x7fffffff, v7, v6
	s_delay_alu instid0(VALU_DEP_1) | instskip(NEXT) | instid1(VALU_DEP_1)
	v_fma_f64 v[27:28], v[5:6], v[5:6], 1.0
	v_cmp_gt_f64_e32 vcc_lo, 0x10000000, v[27:28]
	v_cndmask_b32_e64 v7, 0, 1, vcc_lo
	v_cndmask_b32_e64 v18, 0, 0xffffff80, vcc_lo
	s_delay_alu instid0(VALU_DEP_2) | instskip(NEXT) | instid1(VALU_DEP_1)
	v_lshlrev_b32_e32 v7, 8, v7
	v_ldexp_f64 v[27:28], v[27:28], v7
	v_mul_f64 v[7:8], v[23:24], v[23:24]
	s_delay_alu instid0(VALU_DEP_2) | instskip(SKIP_4) | instid1(VALU_DEP_1)
	v_rsq_f64_e32 v[29:30], v[27:28]
	v_cmp_class_f64_e64 vcc_lo, v[27:28], 0x260
	s_waitcnt_depctr 0xfff
	v_mul_f64 v[31:32], v[27:28], v[29:30]
	v_mul_f64 v[29:30], v[29:30], 0.5
	v_fma_f64 v[33:34], -v[29:30], v[31:32], 0.5
	s_delay_alu instid0(VALU_DEP_1) | instskip(SKIP_1) | instid1(VALU_DEP_2)
	v_fma_f64 v[31:32], v[31:32], v[33:34], v[31:32]
	v_fma_f64 v[29:30], v[29:30], v[33:34], v[29:30]
	v_fma_f64 v[33:34], -v[31:32], v[31:32], v[27:28]
	s_delay_alu instid0(VALU_DEP_1) | instskip(NEXT) | instid1(VALU_DEP_1)
	v_fma_f64 v[31:32], v[33:34], v[29:30], v[31:32]
	v_fma_f64 v[33:34], -v[31:32], v[31:32], v[27:28]
	s_delay_alu instid0(VALU_DEP_1) | instskip(SKIP_2) | instid1(VALU_DEP_1)
	v_fma_f64 v[29:30], v[33:34], v[29:30], v[31:32]
	v_add_f64 v[31:32], v[25:26], v[25:26]
	v_fma_f64 v[33:34], v[23:24], v[23:24], -v[7:8]
	v_fma_f64 v[31:32], v[23:24], v[31:32], v[33:34]
	s_delay_alu instid0(VALU_DEP_1) | instskip(NEXT) | instid1(VALU_DEP_1)
	v_add_f64 v[7:8], v[7:8], v[31:32]
	v_fma_f64 v[31:32], v[7:8], s[54:55], s[52:53]
	s_mov_b32 s52, 0x90a8aae0
	s_mov_b32 s53, 0x3f17746f
	s_delay_alu instid0(VALU_DEP_1) | instid1(SALU_CYCLE_1)
	v_fma_f64 v[31:32], v[7:8], v[31:32], s[52:53]
	s_mov_b32 s52, 0xa6fbf144
	s_mov_b32 s53, 0xbefbb44d
	s_delay_alu instid0(VALU_DEP_1) | instid1(SALU_CYCLE_1)
	;; [unrolled: 4-line block ×10, first 2 shown]
	v_fma_f64 v[31:32], v[7:8], v[31:32], s[52:53]
	s_delay_alu instid0(VALU_DEP_1) | instskip(NEXT) | instid1(VALU_DEP_1)
	v_fma_f64 v[31:32], v[7:8], v[31:32], s[56:57]
	v_fma_f64 v[31:32], v[7:8], v[31:32], s[58:59]
	s_delay_alu instid0(VALU_DEP_1) | instskip(NEXT) | instid1(VALU_DEP_1)
	v_mul_f64 v[7:8], v[7:8], v[31:32]
	v_mul_f64 v[31:32], v[23:24], v[7:8]
	s_delay_alu instid0(VALU_DEP_1) | instskip(NEXT) | instid1(VALU_DEP_1)
	v_fma_f64 v[7:8], v[23:24], v[7:8], -v[31:32]
	v_add_f64 v[7:8], v[25:26], v[7:8]
	v_add_f64 v[25:26], v[23:24], v[31:32]
	s_delay_alu instid0(VALU_DEP_1) | instskip(NEXT) | instid1(VALU_DEP_1)
	v_add_f64 v[23:24], v[25:26], -v[23:24]
	v_add_f64 v[23:24], v[31:32], -v[23:24]
	s_delay_alu instid0(VALU_DEP_1) | instskip(NEXT) | instid1(VALU_DEP_1)
	v_add_f64 v[7:8], v[7:8], v[23:24]
	v_add_f64 v[23:24], v[25:26], v[7:8]
	s_delay_alu instid0(VALU_DEP_1) | instskip(SKIP_1) | instid1(VALU_DEP_1)
	v_rcp_f64_e32 v[31:32], v[23:24]
	v_add_f64 v[25:26], v[23:24], -v[25:26]
	v_add_f64 v[7:8], v[7:8], -v[25:26]
	s_waitcnt_depctr 0xfff
	v_fma_f64 v[33:34], -v[23:24], v[31:32], 1.0
	s_delay_alu instid0(VALU_DEP_1) | instskip(NEXT) | instid1(VALU_DEP_1)
	v_fma_f64 v[31:32], v[33:34], v[31:32], v[31:32]
	v_fma_f64 v[33:34], -v[23:24], v[31:32], 1.0
	s_delay_alu instid0(VALU_DEP_1) | instskip(NEXT) | instid1(VALU_DEP_1)
	v_fma_f64 v[31:32], v[33:34], v[31:32], v[31:32]
	v_mul_f64 v[25:26], v[23:24], v[31:32]
	s_delay_alu instid0(VALU_DEP_1) | instskip(NEXT) | instid1(VALU_DEP_1)
	v_fma_f64 v[33:34], v[31:32], v[23:24], -v[25:26]
	v_fma_f64 v[7:8], v[31:32], v[7:8], v[33:34]
	s_delay_alu instid0(VALU_DEP_1) | instskip(NEXT) | instid1(VALU_DEP_1)
	v_add_f64 v[33:34], v[25:26], v[7:8]
	v_add_f64 v[25:26], v[33:34], -v[25:26]
	s_delay_alu instid0(VALU_DEP_1) | instskip(SKIP_1) | instid1(VALU_DEP_1)
	v_add_f64 v[7:8], v[25:26], -v[7:8]
	v_add_f64 v[25:26], -v[33:34], 1.0
	v_add_f64 v[35:36], -v[25:26], 1.0
	s_delay_alu instid0(VALU_DEP_1) | instskip(NEXT) | instid1(VALU_DEP_1)
	v_add_f64 v[33:34], v[35:36], -v[33:34]
	v_add_f64 v[7:8], v[7:8], v[33:34]
	s_delay_alu instid0(VALU_DEP_1) | instskip(NEXT) | instid1(VALU_DEP_1)
	v_add_f64 v[7:8], v[25:26], v[7:8]
	v_mul_f64 v[7:8], v[31:32], v[7:8]
	s_delay_alu instid0(VALU_DEP_1) | instskip(NEXT) | instid1(VALU_DEP_1)
	v_add_f64 v[7:8], v[31:32], v[7:8]
	v_xor_b32_e32 v8, 0x80000000, v8
	s_delay_alu instid0(VALU_DEP_2) | instskip(NEXT) | instid1(VALU_DEP_2)
	v_cndmask_b32_e64 v7, v7, v23, s6
	v_cndmask_b32_e64 v8, v8, v24, s6
	v_ldexp_f64 v[23:24], v[29:30], v18
	s_delay_alu instid0(VALU_DEP_2) | instskip(NEXT) | instid1(VALU_DEP_1)
	v_xor_b32_e32 v8, v8, v37
	v_fma_f64 v[25:26], v[7:8], v[7:8], 1.0
	s_delay_alu instid0(VALU_DEP_3) | instskip(NEXT) | instid1(VALU_DEP_2)
	v_dual_cndmask_b32 v24, v24, v28 :: v_dual_cndmask_b32 v23, v23, v27
	v_mul_f64 v[27:28], v[5:6], v[25:26]
	s_delay_alu instid0(VALU_DEP_2) | instskip(NEXT) | instid1(VALU_DEP_2)
	v_mul_f64 v[23:24], v[23:24], v[25:26]
	v_fma_f64 v[25:26], v[5:6], v[27:28], 1.0
	s_delay_alu instid0(VALU_DEP_2) | instskip(NEXT) | instid1(VALU_DEP_1)
	v_mul_f64 v[5:6], v[5:6], v[23:24]
	v_div_scale_f64 v[23:24], null, v[25:26], v[25:26], v[5:6]
	s_delay_alu instid0(VALU_DEP_1) | instskip(SKIP_2) | instid1(VALU_DEP_1)
	v_rcp_f64_e32 v[27:28], v[23:24]
	s_waitcnt_depctr 0xfff
	v_fma_f64 v[29:30], -v[23:24], v[27:28], 1.0
	v_fma_f64 v[27:28], v[27:28], v[29:30], v[27:28]
	s_delay_alu instid0(VALU_DEP_1) | instskip(NEXT) | instid1(VALU_DEP_1)
	v_fma_f64 v[29:30], -v[23:24], v[27:28], 1.0
	v_fma_f64 v[27:28], v[27:28], v[29:30], v[27:28]
	v_div_scale_f64 v[29:30], vcc_lo, v[5:6], v[25:26], v[5:6]
	s_delay_alu instid0(VALU_DEP_1) | instskip(NEXT) | instid1(VALU_DEP_1)
	v_mul_f64 v[31:32], v[29:30], v[27:28]
	v_fma_f64 v[23:24], -v[23:24], v[31:32], v[29:30]
	s_delay_alu instid0(VALU_DEP_1) | instskip(SKIP_1) | instid1(VALU_DEP_2)
	v_div_fmas_f64 v[23:24], v[23:24], v[27:28], v[31:32]
	v_div_scale_f64 v[27:28], null, v[25:26], v[25:26], v[7:8]
	v_div_fixup_f64 v[5:6], v[23:24], v[25:26], v[5:6]
	s_delay_alu instid0(VALU_DEP_2) | instskip(SKIP_2) | instid1(VALU_DEP_1)
	v_rcp_f64_e32 v[29:30], v[27:28]
	s_waitcnt_depctr 0xfff
	v_fma_f64 v[31:32], -v[27:28], v[29:30], 1.0
	v_fma_f64 v[29:30], v[29:30], v[31:32], v[29:30]
	s_delay_alu instid0(VALU_DEP_1) | instskip(NEXT) | instid1(VALU_DEP_1)
	v_fma_f64 v[31:32], -v[27:28], v[29:30], 1.0
	v_fma_f64 v[29:30], v[29:30], v[31:32], v[29:30]
	v_div_scale_f64 v[31:32], vcc_lo, v[7:8], v[25:26], v[7:8]
	s_delay_alu instid0(VALU_DEP_1) | instskip(NEXT) | instid1(VALU_DEP_1)
	v_mul_f64 v[33:34], v[31:32], v[29:30]
	v_fma_f64 v[27:28], -v[27:28], v[33:34], v[31:32]
	s_delay_alu instid0(VALU_DEP_1) | instskip(NEXT) | instid1(VALU_DEP_1)
	v_div_fmas_f64 v[27:28], v[27:28], v[29:30], v[33:34]
	v_div_fixup_f64 v[7:8], v[27:28], v[25:26], v[7:8]
.LBB162_20:                             ;   in Loop: Header=BB162_4 Depth=1
	s_and_not1_saveexec_b32 s51, s44
	s_cbranch_execz .LBB162_23
; %bb.21:                               ;   in Loop: Header=BB162_4 Depth=1
	s_delay_alu instid0(VALU_DEP_1) | instskip(NEXT) | instid1(VALU_DEP_1)
	v_cmp_ngt_f64_e64 s44, 0x41d00000, |v[7:8]|
                                        ; implicit-def: $vgpr31
                                        ; implicit-def: $vgpr23_vgpr24
                                        ; implicit-def: $vgpr25_vgpr26
	s_and_saveexec_b32 s6, s44
	s_delay_alu instid0(SALU_CYCLE_1)
	s_xor_b32 s20, exec_lo, s6
	s_cbranch_execz .LBB162_24
; %bb.22:                               ;   in Loop: Header=BB162_4 Depth=1
	v_ldexp_f64 v[23:24], |v[7:8]|, 0xffffff80
	v_cmp_le_f64_e64 vcc_lo, 0x7b000000, |v[7:8]|
	v_trig_preop_f64 v[25:26], |v[7:8]|, 0
	v_and_b32_e32 v18, 0x7fffffff, v8
	v_trig_preop_f64 v[29:30], |v[7:8]|, 1
	v_trig_preop_f64 v[33:34], |v[7:8]|, 2
	s_mov_b32 s6, s18
	s_mov_b32 s23, s21
	v_dual_cndmask_b32 v23, v7, v23 :: v_dual_cndmask_b32 v24, v18, v24
	s_delay_alu instid0(VALU_DEP_1) | instskip(NEXT) | instid1(VALU_DEP_4)
	v_mul_f64 v[27:28], v[25:26], v[23:24]
	v_mul_f64 v[31:32], v[29:30], v[23:24]
	s_delay_alu instid0(VALU_DEP_4) | instskip(NEXT) | instid1(VALU_DEP_3)
	v_mul_f64 v[35:36], v[33:34], v[23:24]
	v_fma_f64 v[25:26], v[25:26], v[23:24], -v[27:28]
	s_delay_alu instid0(VALU_DEP_3) | instskip(NEXT) | instid1(VALU_DEP_3)
	v_fma_f64 v[29:30], v[29:30], v[23:24], -v[31:32]
	v_fma_f64 v[23:24], v[33:34], v[23:24], -v[35:36]
	s_delay_alu instid0(VALU_DEP_3) | instskip(NEXT) | instid1(VALU_DEP_1)
	v_add_f64 v[33:34], v[31:32], v[25:26]
	v_add_f64 v[37:38], v[33:34], -v[31:32]
	s_delay_alu instid0(VALU_DEP_1) | instskip(SKIP_1) | instid1(VALU_DEP_1)
	v_add_f64 v[25:26], v[25:26], -v[37:38]
	v_add_f64 v[37:38], v[33:34], -v[37:38]
	;; [unrolled: 1-line block ×3, first 2 shown]
	v_add_f64 v[37:38], v[27:28], v[33:34]
	s_delay_alu instid0(VALU_DEP_2) | instskip(NEXT) | instid1(VALU_DEP_2)
	v_add_f64 v[25:26], v[25:26], v[31:32]
	v_add_f64 v[27:28], v[37:38], -v[27:28]
	v_add_f64 v[31:32], v[35:36], v[29:30]
	v_ldexp_f64 v[37:38], v[37:38], -2
	s_delay_alu instid0(VALU_DEP_3) | instskip(NEXT) | instid1(VALU_DEP_3)
	v_add_f64 v[27:28], v[33:34], -v[27:28]
	v_add_f64 v[33:34], v[31:32], -v[35:36]
	s_delay_alu instid0(VALU_DEP_3) | instskip(SKIP_1) | instid1(VALU_DEP_3)
	v_cmp_neq_f64_e64 vcc_lo, 0x7ff00000, |v[37:38]|
	v_fract_f64_e32 v[37:38], v[37:38]
	v_add_f64 v[29:30], v[29:30], -v[33:34]
	v_add_f64 v[33:34], v[31:32], -v[33:34]
	s_delay_alu instid0(VALU_DEP_3) | instskip(NEXT) | instid1(VALU_DEP_2)
	v_dual_cndmask_b32 v37, 0, v37 :: v_dual_cndmask_b32 v38, 0, v38
	v_add_f64 v[33:34], v[35:36], -v[33:34]
	v_add_f64 v[35:36], v[31:32], v[25:26]
	s_delay_alu instid0(VALU_DEP_2) | instskip(NEXT) | instid1(VALU_DEP_2)
	v_add_f64 v[29:30], v[29:30], v[33:34]
	v_add_f64 v[47:48], v[35:36], -v[31:32]
	v_add_f64 v[33:34], v[27:28], v[35:36]
	s_delay_alu instid0(VALU_DEP_2) | instskip(SKIP_1) | instid1(VALU_DEP_3)
	v_add_f64 v[25:26], v[25:26], -v[47:48]
	v_add_f64 v[47:48], v[35:36], -v[47:48]
	;; [unrolled: 1-line block ×3, first 2 shown]
	s_delay_alu instid0(VALU_DEP_2) | instskip(NEXT) | instid1(VALU_DEP_2)
	v_add_f64 v[31:32], v[31:32], -v[47:48]
	v_add_f64 v[27:28], v[35:36], -v[27:28]
	s_delay_alu instid0(VALU_DEP_2) | instskip(SKIP_1) | instid1(VALU_DEP_2)
	v_add_f64 v[25:26], v[25:26], v[31:32]
	v_ldexp_f64 v[31:32], v[37:38], 2
	v_add_f64 v[25:26], v[29:30], v[25:26]
	s_delay_alu instid0(VALU_DEP_2) | instskip(NEXT) | instid1(VALU_DEP_2)
	v_add_f64 v[37:38], v[33:34], v[31:32]
	v_add_f64 v[23:24], v[23:24], v[25:26]
	s_delay_alu instid0(VALU_DEP_2) | instskip(NEXT) | instid1(VALU_DEP_2)
	v_cmp_gt_f64_e32 vcc_lo, 0, v[37:38]
	v_add_f64 v[23:24], v[27:28], v[23:24]
	v_cndmask_b32_e64 v18, 0, 0x40100000, vcc_lo
	s_delay_alu instid0(VALU_DEP_1) | instskip(NEXT) | instid1(VALU_DEP_1)
	v_add_f64 v[25:26], v[31:32], v[17:18]
	v_add_f64 v[29:30], v[33:34], v[25:26]
	s_delay_alu instid0(VALU_DEP_1) | instskip(NEXT) | instid1(VALU_DEP_1)
	v_cvt_i32_f64_e32 v31, v[29:30]
	v_cvt_f64_i32_e32 v[29:30], v31
	s_delay_alu instid0(VALU_DEP_1) | instskip(NEXT) | instid1(VALU_DEP_1)
	v_add_f64 v[25:26], v[25:26], -v[29:30]
	v_add_f64 v[27:28], v[33:34], v[25:26]
	s_delay_alu instid0(VALU_DEP_1) | instskip(SKIP_1) | instid1(VALU_DEP_2)
	v_add_f64 v[25:26], v[27:28], -v[25:26]
	v_cmp_le_f64_e32 vcc_lo, 0.5, v[27:28]
	v_add_f64 v[25:26], v[33:34], -v[25:26]
	v_cndmask_b32_e64 v18, 0, 0x3ff00000, vcc_lo
	v_add_co_ci_u32_e32 v31, vcc_lo, 0, v31, vcc_lo
	s_delay_alu instid0(VALU_DEP_2) | instskip(NEXT) | instid1(VALU_DEP_4)
	v_add_f64 v[27:28], v[27:28], -v[17:18]
	v_add_f64 v[23:24], v[23:24], v[25:26]
	s_delay_alu instid0(VALU_DEP_1) | instskip(NEXT) | instid1(VALU_DEP_1)
	v_add_f64 v[25:26], v[27:28], v[23:24]
	v_add_f64 v[27:28], v[25:26], -v[27:28]
	s_delay_alu instid0(VALU_DEP_1) | instskip(SKIP_1) | instid1(VALU_DEP_1)
	v_add_f64 v[23:24], v[23:24], -v[27:28]
	v_mul_f64 v[27:28], v[25:26], s[6:7]
	v_fma_f64 v[29:30], v[25:26], s[6:7], -v[27:28]
	s_delay_alu instid0(VALU_DEP_1) | instskip(NEXT) | instid1(VALU_DEP_1)
	v_fma_f64 v[25:26], v[25:26], s[22:23], v[29:30]
	v_fma_f64 v[25:26], v[23:24], s[6:7], v[25:26]
	s_delay_alu instid0(VALU_DEP_1) | instskip(NEXT) | instid1(VALU_DEP_1)
	v_add_f64 v[23:24], v[27:28], v[25:26]
	v_add_f64 v[27:28], v[23:24], -v[27:28]
	s_delay_alu instid0(VALU_DEP_1)
	v_add_f64 v[25:26], v[25:26], -v[27:28]
	s_and_not1_saveexec_b32 s6, s20
	s_cbranch_execz .LBB162_26
	s_branch .LBB162_25
.LBB162_23:                             ;   in Loop: Header=BB162_4 Depth=1
	s_or_b32 exec_lo, exec_lo, s51
	s_and_not1_saveexec_b32 s6, s50
	s_cbranch_execnz .LBB162_32
	s_branch .LBB162_33
.LBB162_24:                             ;   in Loop: Header=BB162_4 Depth=1
	s_and_not1_saveexec_b32 s6, s20
	s_cbranch_execz .LBB162_26
.LBB162_25:                             ;   in Loop: Header=BB162_4 Depth=1
	v_mul_f64 v[23:24], |v[7:8]|, s[24:25]
	s_mov_b32 s20, s26
	s_delay_alu instid0(VALU_DEP_1) | instskip(NEXT) | instid1(VALU_DEP_1)
	v_rndne_f64_e32 v[27:28], v[23:24]
	v_fma_f64 v[23:24], v[27:28], s[18:19], |v[7:8]|
	v_mul_f64 v[25:26], v[27:28], s[26:27]
	s_delay_alu instid0(VALU_DEP_2) | instskip(NEXT) | instid1(VALU_DEP_2)
	v_fma_f64 v[31:32], v[27:28], s[26:27], v[23:24]
	v_add_f64 v[29:30], v[23:24], v[25:26]
	s_delay_alu instid0(VALU_DEP_1) | instskip(NEXT) | instid1(VALU_DEP_3)
	v_add_f64 v[23:24], v[23:24], -v[29:30]
	v_add_f64 v[29:30], v[29:30], -v[31:32]
	s_delay_alu instid0(VALU_DEP_2) | instskip(SKIP_1) | instid1(VALU_DEP_2)
	v_add_f64 v[23:24], v[23:24], v[25:26]
	v_fma_f64 v[25:26], v[27:28], s[20:21], v[25:26]
	v_add_f64 v[23:24], v[29:30], v[23:24]
	s_delay_alu instid0(VALU_DEP_1) | instskip(NEXT) | instid1(VALU_DEP_1)
	v_add_f64 v[23:24], v[23:24], -v[25:26]
	v_fma_f64 v[25:26], v[27:28], s[28:29], v[23:24]
	s_delay_alu instid0(VALU_DEP_1) | instskip(NEXT) | instid1(VALU_DEP_1)
	v_add_f64 v[23:24], v[31:32], v[25:26]
	v_add_f64 v[29:30], v[23:24], -v[31:32]
	v_cvt_i32_f64_e32 v31, v[27:28]
	s_delay_alu instid0(VALU_DEP_2)
	v_add_f64 v[25:26], v[25:26], -v[29:30]
.LBB162_26:                             ;   in Loop: Header=BB162_4 Depth=1
	s_or_b32 exec_lo, exec_lo, s6
                                        ; implicit-def: $vgpr18
                                        ; implicit-def: $vgpr27_vgpr28
                                        ; implicit-def: $vgpr29_vgpr30
	s_and_saveexec_b32 s6, s44
	s_delay_alu instid0(SALU_CYCLE_1)
	s_xor_b32 s20, exec_lo, s6
	s_cbranch_execz .LBB162_28
; %bb.27:                               ;   in Loop: Header=BB162_4 Depth=1
	v_ldexp_f64 v[27:28], |v[7:8]|, 0xffffff80
	v_cmp_le_f64_e64 vcc_lo, 0x7b000000, |v[7:8]|
	v_trig_preop_f64 v[29:30], |v[7:8]|, 0
	v_and_b32_e32 v18, 0x7fffffff, v8
	v_trig_preop_f64 v[34:35], |v[7:8]|, 1
	v_trig_preop_f64 v[47:48], |v[7:8]|, 2
	s_mov_b32 s6, s18
	s_mov_b32 s23, s21
	v_dual_cndmask_b32 v27, v7, v27 :: v_dual_cndmask_b32 v28, v18, v28
	s_delay_alu instid0(VALU_DEP_1) | instskip(NEXT) | instid1(VALU_DEP_4)
	v_mul_f64 v[32:33], v[29:30], v[27:28]
	v_mul_f64 v[36:37], v[34:35], v[27:28]
	s_delay_alu instid0(VALU_DEP_4) | instskip(NEXT) | instid1(VALU_DEP_3)
	v_mul_f64 v[49:50], v[47:48], v[27:28]
	v_fma_f64 v[29:30], v[29:30], v[27:28], -v[32:33]
	s_delay_alu instid0(VALU_DEP_3) | instskip(NEXT) | instid1(VALU_DEP_3)
	v_fma_f64 v[34:35], v[34:35], v[27:28], -v[36:37]
	v_fma_f64 v[27:28], v[47:48], v[27:28], -v[49:50]
	s_delay_alu instid0(VALU_DEP_3) | instskip(NEXT) | instid1(VALU_DEP_1)
	v_add_f64 v[47:48], v[36:37], v[29:30]
	v_add_f64 v[51:52], v[47:48], -v[36:37]
	s_delay_alu instid0(VALU_DEP_1) | instskip(SKIP_1) | instid1(VALU_DEP_1)
	v_add_f64 v[29:30], v[29:30], -v[51:52]
	v_add_f64 v[51:52], v[47:48], -v[51:52]
	;; [unrolled: 1-line block ×3, first 2 shown]
	v_add_f64 v[51:52], v[32:33], v[47:48]
	s_delay_alu instid0(VALU_DEP_2) | instskip(NEXT) | instid1(VALU_DEP_2)
	v_add_f64 v[29:30], v[29:30], v[36:37]
	v_add_f64 v[32:33], v[51:52], -v[32:33]
	v_add_f64 v[36:37], v[49:50], v[34:35]
	v_ldexp_f64 v[51:52], v[51:52], -2
	s_delay_alu instid0(VALU_DEP_3) | instskip(NEXT) | instid1(VALU_DEP_3)
	v_add_f64 v[32:33], v[47:48], -v[32:33]
	v_add_f64 v[47:48], v[36:37], -v[49:50]
	s_delay_alu instid0(VALU_DEP_3) | instskip(SKIP_1) | instid1(VALU_DEP_3)
	v_cmp_neq_f64_e64 vcc_lo, 0x7ff00000, |v[51:52]|
	v_fract_f64_e32 v[51:52], v[51:52]
	v_add_f64 v[34:35], v[34:35], -v[47:48]
	v_add_f64 v[47:48], v[36:37], -v[47:48]
	s_delay_alu instid0(VALU_DEP_3) | instskip(NEXT) | instid1(VALU_DEP_2)
	v_dual_cndmask_b32 v51, 0, v51 :: v_dual_cndmask_b32 v52, 0, v52
	v_add_f64 v[47:48], v[49:50], -v[47:48]
	v_add_f64 v[49:50], v[36:37], v[29:30]
	s_delay_alu instid0(VALU_DEP_2) | instskip(NEXT) | instid1(VALU_DEP_2)
	v_add_f64 v[34:35], v[34:35], v[47:48]
	v_add_f64 v[53:54], v[49:50], -v[36:37]
	v_add_f64 v[47:48], v[32:33], v[49:50]
	s_delay_alu instid0(VALU_DEP_2) | instskip(SKIP_1) | instid1(VALU_DEP_3)
	v_add_f64 v[29:30], v[29:30], -v[53:54]
	v_add_f64 v[53:54], v[49:50], -v[53:54]
	;; [unrolled: 1-line block ×3, first 2 shown]
	s_delay_alu instid0(VALU_DEP_2) | instskip(NEXT) | instid1(VALU_DEP_2)
	v_add_f64 v[36:37], v[36:37], -v[53:54]
	v_add_f64 v[32:33], v[49:50], -v[32:33]
	s_delay_alu instid0(VALU_DEP_2) | instskip(SKIP_1) | instid1(VALU_DEP_2)
	v_add_f64 v[29:30], v[29:30], v[36:37]
	v_ldexp_f64 v[36:37], v[51:52], 2
	v_add_f64 v[29:30], v[34:35], v[29:30]
	s_delay_alu instid0(VALU_DEP_2) | instskip(NEXT) | instid1(VALU_DEP_2)
	v_add_f64 v[51:52], v[47:48], v[36:37]
	v_add_f64 v[27:28], v[27:28], v[29:30]
	s_delay_alu instid0(VALU_DEP_2) | instskip(NEXT) | instid1(VALU_DEP_2)
	v_cmp_gt_f64_e32 vcc_lo, 0, v[51:52]
	v_add_f64 v[27:28], v[32:33], v[27:28]
	v_cndmask_b32_e64 v18, 0, 0x40100000, vcc_lo
	s_delay_alu instid0(VALU_DEP_1) | instskip(NEXT) | instid1(VALU_DEP_1)
	v_add_f64 v[29:30], v[36:37], v[17:18]
	v_add_f64 v[34:35], v[47:48], v[29:30]
	s_delay_alu instid0(VALU_DEP_1) | instskip(NEXT) | instid1(VALU_DEP_1)
	v_cvt_i32_f64_e32 v36, v[34:35]
	v_cvt_f64_i32_e32 v[34:35], v36
	s_delay_alu instid0(VALU_DEP_1) | instskip(NEXT) | instid1(VALU_DEP_1)
	v_add_f64 v[29:30], v[29:30], -v[34:35]
	v_add_f64 v[32:33], v[47:48], v[29:30]
	s_delay_alu instid0(VALU_DEP_1) | instskip(SKIP_1) | instid1(VALU_DEP_2)
	v_add_f64 v[29:30], v[32:33], -v[29:30]
	v_cmp_le_f64_e32 vcc_lo, 0.5, v[32:33]
	v_add_f64 v[29:30], v[47:48], -v[29:30]
	v_cndmask_b32_e64 v18, 0, 0x3ff00000, vcc_lo
	s_delay_alu instid0(VALU_DEP_1) | instskip(SKIP_1) | instid1(VALU_DEP_4)
	v_add_f64 v[32:33], v[32:33], -v[17:18]
	v_add_co_ci_u32_e32 v18, vcc_lo, 0, v36, vcc_lo
	v_add_f64 v[27:28], v[27:28], v[29:30]
	s_delay_alu instid0(VALU_DEP_1) | instskip(NEXT) | instid1(VALU_DEP_1)
	v_add_f64 v[29:30], v[32:33], v[27:28]
	v_add_f64 v[32:33], v[29:30], -v[32:33]
	s_delay_alu instid0(VALU_DEP_1) | instskip(SKIP_1) | instid1(VALU_DEP_1)
	v_add_f64 v[27:28], v[27:28], -v[32:33]
	v_mul_f64 v[32:33], v[29:30], s[6:7]
	v_fma_f64 v[34:35], v[29:30], s[6:7], -v[32:33]
	s_delay_alu instid0(VALU_DEP_1) | instskip(NEXT) | instid1(VALU_DEP_1)
	v_fma_f64 v[29:30], v[29:30], s[22:23], v[34:35]
	v_fma_f64 v[29:30], v[27:28], s[6:7], v[29:30]
	s_delay_alu instid0(VALU_DEP_1) | instskip(NEXT) | instid1(VALU_DEP_1)
	v_add_f64 v[27:28], v[32:33], v[29:30]
	v_add_f64 v[32:33], v[27:28], -v[32:33]
	s_delay_alu instid0(VALU_DEP_1)
	v_add_f64 v[29:30], v[29:30], -v[32:33]
	s_and_not1_saveexec_b32 s6, s20
	s_cbranch_execnz .LBB162_29
	s_branch .LBB162_30
.LBB162_28:                             ;   in Loop: Header=BB162_4 Depth=1
	s_and_not1_saveexec_b32 s6, s20
	s_cbranch_execz .LBB162_30
.LBB162_29:                             ;   in Loop: Header=BB162_4 Depth=1
	v_mul_f64 v[27:28], |v[7:8]|, s[24:25]
	s_mov_b32 s20, s26
	s_delay_alu instid0(VALU_DEP_1) | instskip(NEXT) | instid1(VALU_DEP_1)
	v_rndne_f64_e32 v[32:33], v[27:28]
	v_fma_f64 v[27:28], v[32:33], s[18:19], |v[7:8]|
	v_mul_f64 v[29:30], v[32:33], s[26:27]
	v_cvt_i32_f64_e32 v18, v[32:33]
	s_delay_alu instid0(VALU_DEP_3) | instskip(NEXT) | instid1(VALU_DEP_3)
	v_fma_f64 v[36:37], v[32:33], s[26:27], v[27:28]
	v_add_f64 v[34:35], v[27:28], v[29:30]
	s_delay_alu instid0(VALU_DEP_1) | instskip(NEXT) | instid1(VALU_DEP_3)
	v_add_f64 v[27:28], v[27:28], -v[34:35]
	v_add_f64 v[34:35], v[34:35], -v[36:37]
	s_delay_alu instid0(VALU_DEP_2) | instskip(SKIP_1) | instid1(VALU_DEP_2)
	v_add_f64 v[27:28], v[27:28], v[29:30]
	v_fma_f64 v[29:30], v[32:33], s[20:21], v[29:30]
	v_add_f64 v[27:28], v[34:35], v[27:28]
	s_delay_alu instid0(VALU_DEP_1) | instskip(NEXT) | instid1(VALU_DEP_1)
	v_add_f64 v[27:28], v[27:28], -v[29:30]
	v_fma_f64 v[29:30], v[32:33], s[28:29], v[27:28]
	s_delay_alu instid0(VALU_DEP_1) | instskip(NEXT) | instid1(VALU_DEP_1)
	v_add_f64 v[27:28], v[36:37], v[29:30]
	v_add_f64 v[34:35], v[27:28], -v[36:37]
	s_delay_alu instid0(VALU_DEP_1)
	v_add_f64 v[29:30], v[29:30], -v[34:35]
.LBB162_30:                             ;   in Loop: Header=BB162_4 Depth=1
	s_or_b32 exec_lo, exec_lo, s6
	v_mul_f64 v[32:33], v[23:24], v[23:24]
	s_delay_alu instid0(VALU_DEP_2) | instskip(NEXT) | instid1(VALU_DEP_3)
	v_mul_f64 v[49:50], v[25:26], 0.5
	v_mul_f64 v[55:56], v[29:30], 0.5
	s_mov_b32 s44, s46
	s_mov_b32 s87, s43
	;; [unrolled: 1-line block ×4, first 2 shown]
	s_delay_alu instid0(VALU_DEP_3) | instskip(SKIP_1) | instid1(VALU_DEP_2)
	v_mul_f64 v[34:35], v[32:33], 0.5
	v_mul_f64 v[51:52], v[23:24], -v[32:33]
	v_add_f64 v[36:37], -v[34:35], 1.0
	s_delay_alu instid0(VALU_DEP_1) | instskip(NEXT) | instid1(VALU_DEP_1)
	v_add_f64 v[47:48], -v[36:37], 1.0
	v_add_f64 v[34:35], v[47:48], -v[34:35]
	v_fma_f64 v[47:48], v[32:33], s[34:35], s[30:31]
	s_delay_alu instid0(VALU_DEP_2) | instskip(NEXT) | instid1(VALU_DEP_2)
	v_fma_f64 v[34:35], v[23:24], -v[25:26], v[34:35]
	v_fma_f64 v[47:48], v[32:33], v[47:48], s[36:37]
	s_delay_alu instid0(VALU_DEP_1) | instskip(NEXT) | instid1(VALU_DEP_1)
	v_fma_f64 v[47:48], v[32:33], v[47:48], s[38:39]
	v_fma_f64 v[47:48], v[32:33], v[47:48], s[42:43]
	s_delay_alu instid0(VALU_DEP_1) | instskip(NEXT) | instid1(VALU_DEP_1)
	v_fma_f64 v[47:48], v[51:52], v[47:48], v[49:50]
	v_fma_f64 v[25:26], v[32:33], v[47:48], -v[25:26]
	v_fma_f64 v[47:48], v[32:33], s[98:99], s[96:97]
	s_delay_alu instid0(VALU_DEP_2) | instskip(NEXT) | instid1(VALU_DEP_2)
	v_fma_f64 v[25:26], v[51:52], s[44:45], v[25:26]
	v_fma_f64 v[47:48], v[32:33], v[47:48], s[100:101]
	s_delay_alu instid0(VALU_DEP_2) | instskip(NEXT) | instid1(VALU_DEP_2)
	v_add_f64 v[23:24], v[23:24], -v[25:26]
	v_fma_f64 v[47:48], v[32:33], v[47:48], s[102:103]
	s_delay_alu instid0(VALU_DEP_1) | instskip(NEXT) | instid1(VALU_DEP_1)
	v_fma_f64 v[47:48], v[32:33], v[47:48], s[10:11]
	v_fma_f64 v[47:48], v[32:33], v[47:48], s[46:47]
	v_mul_f64 v[32:33], v[32:33], v[32:33]
	s_delay_alu instid0(VALU_DEP_1) | instskip(SKIP_1) | instid1(VALU_DEP_2)
	v_fma_f64 v[32:33], v[32:33], v[47:48], v[34:35]
	v_mul_f64 v[34:35], v[27:28], v[27:28]
	v_add_f64 v[32:33], v[36:37], v[32:33]
	s_delay_alu instid0(VALU_DEP_2) | instskip(SKIP_2) | instid1(VALU_DEP_1)
	v_mul_f64 v[47:48], v[34:35], 0.5
	v_mul_f64 v[57:58], v[27:28], -v[34:35]
	v_and_b32_e32 v7, 1, v31
	v_cmp_eq_u32_e32 vcc_lo, 0, v7
	v_cndmask_b32_e32 v24, v33, v24, vcc_lo
	v_add_f64 v[49:50], -v[47:48], 1.0
	v_cndmask_b32_e32 v7, v32, v23, vcc_lo
	s_delay_alu instid0(VALU_DEP_2) | instskip(NEXT) | instid1(VALU_DEP_1)
	v_add_f64 v[53:54], -v[49:50], 1.0
	v_add_f64 v[47:48], v[53:54], -v[47:48]
	v_fma_f64 v[53:54], v[34:35], s[34:35], s[30:31]
	s_delay_alu instid0(VALU_DEP_2) | instskip(NEXT) | instid1(VALU_DEP_2)
	v_fma_f64 v[47:48], v[27:28], -v[29:30], v[47:48]
	v_fma_f64 v[53:54], v[34:35], v[53:54], s[36:37]
	s_delay_alu instid0(VALU_DEP_1) | instskip(NEXT) | instid1(VALU_DEP_1)
	v_fma_f64 v[53:54], v[34:35], v[53:54], s[38:39]
	v_fma_f64 v[53:54], v[34:35], v[53:54], s[42:43]
	s_delay_alu instid0(VALU_DEP_1) | instskip(NEXT) | instid1(VALU_DEP_1)
	v_fma_f64 v[53:54], v[57:58], v[53:54], v[55:56]
	v_fma_f64 v[29:30], v[34:35], v[53:54], -v[29:30]
	v_fma_f64 v[53:54], v[34:35], s[98:99], s[96:97]
	s_delay_alu instid0(VALU_DEP_2) | instskip(NEXT) | instid1(VALU_DEP_2)
	v_fma_f64 v[29:30], v[57:58], s[44:45], v[29:30]
	v_fma_f64 v[53:54], v[34:35], v[53:54], s[100:101]
	s_delay_alu instid0(VALU_DEP_2) | instskip(NEXT) | instid1(VALU_DEP_2)
	v_add_f64 v[25:26], v[27:28], -v[29:30]
	v_fma_f64 v[53:54], v[34:35], v[53:54], s[102:103]
	s_delay_alu instid0(VALU_DEP_1) | instskip(NEXT) | instid1(VALU_DEP_1)
	v_fma_f64 v[53:54], v[34:35], v[53:54], s[10:11]
	v_fma_f64 v[53:54], v[34:35], v[53:54], s[46:47]
	v_mul_f64 v[34:35], v[34:35], v[34:35]
	s_delay_alu instid0(VALU_DEP_1) | instskip(NEXT) | instid1(VALU_DEP_1)
	v_fma_f64 v[34:35], v[34:35], v[53:54], v[47:48]
	v_add_f64 v[27:28], v[49:50], v[34:35]
	v_lshlrev_b32_e32 v23, 30, v31
	s_delay_alu instid0(VALU_DEP_1) | instskip(SKIP_2) | instid1(VALU_DEP_3)
	v_xor_b32_e32 v8, v23, v8
	v_and_b32_e32 v23, 1, v18
	v_lshlrev_b32_e32 v18, 30, v18
	v_and_b32_e32 v8, 0x80000000, v8
	s_delay_alu instid0(VALU_DEP_3) | instskip(NEXT) | instid1(VALU_DEP_2)
	v_cmp_eq_u32_e32 vcc_lo, 0, v23
	v_xor_b32_e32 v8, v24, v8
	v_xor_b32_e32 v24, 0x80000000, v26
	s_delay_alu instid0(VALU_DEP_2) | instskip(SKIP_2) | instid1(VALU_DEP_4)
	v_mul_f64 v[7:8], v[7:8], 4.0
	v_cndmask_b32_e32 v23, v25, v27, vcc_lo
	v_mul_f64 v[25:26], |v[5:6]|, s[68:69]
	v_cndmask_b32_e32 v24, v24, v28, vcc_lo
	v_cmp_nlt_f64_e64 vcc_lo, 0x4090cc00, |v[5:6]|
	v_and_b32_e32 v18, 0x80000000, v18
	s_delay_alu instid0(VALU_DEP_1) | instskip(NEXT) | instid1(VALU_DEP_1)
	v_xor_b32_e32 v24, v24, v18
	v_mul_f64 v[7:8], v[7:8], v[23:24]
	v_rndne_f64_e32 v[25:26], v[25:26]
	s_delay_alu instid0(VALU_DEP_1) | instskip(SKIP_1) | instid1(VALU_DEP_2)
	v_fma_f64 v[27:28], v[25:26], s[40:41], -|v[5:6]|
	v_cvt_i32_f64_e32 v18, v[25:26]
	v_fma_f64 v[27:28], v[25:26], s[64:65], v[27:28]
	s_delay_alu instid0(VALU_DEP_1) | instskip(NEXT) | instid1(VALU_DEP_1)
	v_fma_f64 v[29:30], v[27:28], s[76:77], s[74:75]
	v_fma_f64 v[29:30], v[27:28], v[29:30], s[78:79]
	s_delay_alu instid0(VALU_DEP_1) | instskip(NEXT) | instid1(VALU_DEP_1)
	v_fma_f64 v[29:30], v[27:28], v[29:30], s[80:81]
	;; [unrolled: 3-line block ×5, first 2 shown]
	v_fma_f64 v[29:30], v[27:28], v[29:30], 1.0
	s_delay_alu instid0(VALU_DEP_1) | instskip(NEXT) | instid1(VALU_DEP_1)
	v_fma_f64 v[27:28], v[27:28], v[29:30], 1.0
	v_ldexp_f64 v[25:26], v[27:28], v18
	v_bfi_b32 v18, 0x7fffffff, s6, v6
	s_delay_alu instid0(VALU_DEP_1) | instskip(NEXT) | instid1(VALU_DEP_3)
	v_dual_mov_b32 v5, v17 :: v_dual_mov_b32 v6, v18
	v_dual_cndmask_b32 v23, 0, v25 :: v_dual_cndmask_b32 v24, 0, v26
	s_delay_alu instid0(VALU_DEP_1) | instskip(NEXT) | instid1(VALU_DEP_1)
	v_mul_f64 v[7:8], v[23:24], v[7:8]
	v_mul_f64 v[7:8], v[23:24], v[7:8]
	s_or_b32 exec_lo, exec_lo, s51
.LBB162_31:                             ;   in Loop: Header=BB162_4 Depth=1
	s_and_not1_saveexec_b32 s6, s50
.LBB162_32:                             ;   in Loop: Header=BB162_4 Depth=1
	s_delay_alu instid0(VALU_DEP_1) | instskip(NEXT) | instid1(VALU_DEP_1)
	v_add_f64 v[7:8], v[7:8], -v[7:8]
	v_dual_mov_b32 v5, v7 :: v_dual_mov_b32 v6, v8
.LBB162_33:                             ;   in Loop: Header=BB162_4 Depth=1
	s_or_b32 exec_lo, exec_lo, s6
.LBB162_34:                             ;   in Loop: Header=BB162_4 Depth=1
	s_and_not1_saveexec_b32 s49, s49
	s_cbranch_execz .LBB162_50
; %bb.35:                               ;   in Loop: Header=BB162_4 Depth=1
	s_delay_alu instid0(VALU_DEP_1) | instskip(SKIP_1) | instid1(VALU_DEP_1)
	v_and_or_b32 v18, 0xfffff, v6, v5
	s_mov_b32 s6, exec_lo
	v_cmpx_ne_u32_e32 0, v18
	s_xor_b32 s6, exec_lo, s6
; %bb.36:                               ;   in Loop: Header=BB162_4 Depth=1
	s_delay_alu instid0(VALU_DEP_3) | instskip(SKIP_1) | instid1(VALU_DEP_2)
	v_mul_f64 v[23:24], v[7:8], v[5:6]
	v_cmp_eq_f64_e32 vcc_lo, 0, v[7:8]
	v_dual_cndmask_b32 v8, v24, v8 :: v_dual_cndmask_b32 v7, v23, v7
; %bb.37:                               ;   in Loop: Header=BB162_4 Depth=1
	s_and_not1_saveexec_b32 s50, s6
	s_cbranch_execz .LBB162_49
; %bb.38:                               ;   in Loop: Header=BB162_4 Depth=1
	s_mov_b32 s51, exec_lo
	s_delay_alu instid0(VALU_DEP_1)
	v_cmpx_neq_f64_e64 0x7ff00000, |v[7:8]|
	s_cbranch_execz .LBB162_48
; %bb.39:                               ;   in Loop: Header=BB162_4 Depth=1
	v_cmp_ngt_f64_e64 s44, 0x41d00000, |v[7:8]|
	v_trig_preop_f64 v[31:32], |v[7:8]|, 0
	v_trig_preop_f64 v[29:30], |v[7:8]|, 1
	v_ldexp_f64 v[33:34], |v[7:8]|, 0xffffff80
	v_trig_preop_f64 v[27:28], |v[7:8]|, 2
	v_and_b32_e32 v48, 0x7fffffff, v8
                                        ; implicit-def: $vgpr47
                                        ; implicit-def: $vgpr23_vgpr24
                                        ; implicit-def: $vgpr25_vgpr26
	s_and_saveexec_b32 s6, s44
	s_delay_alu instid0(SALU_CYCLE_1)
	s_xor_b32 s20, exec_lo, s6
	s_cbranch_execz .LBB162_41
; %bb.40:                               ;   in Loop: Header=BB162_4 Depth=1
	v_cmp_le_f64_e64 vcc_lo, 0x7b000000, |v[7:8]|
	s_mov_b32 s6, s18
	s_mov_b32 s23, s21
	s_delay_alu instid0(VALU_DEP_4) | instskip(NEXT) | instid1(VALU_DEP_1)
	v_dual_cndmask_b32 v24, v48, v34 :: v_dual_cndmask_b32 v23, v7, v33
	v_mul_f64 v[25:26], v[31:32], v[23:24]
	v_mul_f64 v[35:36], v[29:30], v[23:24]
	s_delay_alu instid0(VALU_DEP_2) | instskip(NEXT) | instid1(VALU_DEP_1)
	v_fma_f64 v[37:38], v[31:32], v[23:24], -v[25:26]
	v_add_f64 v[49:50], v[35:36], v[37:38]
	s_delay_alu instid0(VALU_DEP_1) | instskip(SKIP_1) | instid1(VALU_DEP_2)
	v_add_f64 v[51:52], v[49:50], -v[35:36]
	v_add_f64 v[53:54], v[25:26], v[49:50]
	v_add_f64 v[37:38], v[37:38], -v[51:52]
	s_delay_alu instid0(VALU_DEP_2) | instskip(SKIP_1) | instid1(VALU_DEP_2)
	v_add_f64 v[25:26], v[53:54], -v[25:26]
	v_add_f64 v[51:52], v[49:50], -v[51:52]
	;; [unrolled: 1-line block ×3, first 2 shown]
	s_delay_alu instid0(VALU_DEP_2) | instskip(SKIP_2) | instid1(VALU_DEP_3)
	v_add_f64 v[49:50], v[35:36], -v[51:52]
	v_fma_f64 v[35:36], v[29:30], v[23:24], -v[35:36]
	v_mul_f64 v[51:52], v[27:28], v[23:24]
	v_add_f64 v[37:38], v[37:38], v[49:50]
	v_ldexp_f64 v[49:50], v[53:54], -2
	s_delay_alu instid0(VALU_DEP_3) | instskip(SKIP_1) | instid1(VALU_DEP_3)
	v_add_f64 v[53:54], v[51:52], v[35:36]
	v_fma_f64 v[23:24], v[27:28], v[23:24], -v[51:52]
	v_cmp_neq_f64_e64 vcc_lo, 0x7ff00000, |v[49:50]|
	s_delay_alu instid0(VALU_DEP_3) | instskip(SKIP_2) | instid1(VALU_DEP_3)
	v_add_f64 v[57:58], v[53:54], v[37:38]
	v_add_f64 v[55:56], v[53:54], -v[51:52]
	v_fract_f64_e32 v[49:50], v[49:50]
	v_add_f64 v[59:60], v[57:58], -v[53:54]
	s_delay_alu instid0(VALU_DEP_3) | instskip(SKIP_1) | instid1(VALU_DEP_4)
	v_add_f64 v[35:36], v[35:36], -v[55:56]
	v_add_f64 v[55:56], v[53:54], -v[55:56]
	v_dual_cndmask_b32 v50, 0, v50 :: v_dual_cndmask_b32 v49, 0, v49
	s_delay_alu instid0(VALU_DEP_1) | instskip(SKIP_4) | instid1(VALU_DEP_3)
	v_ldexp_f64 v[49:50], v[49:50], 2
	v_add_f64 v[37:38], v[37:38], -v[59:60]
	v_add_f64 v[59:60], v[57:58], -v[59:60]
	;; [unrolled: 1-line block ×3, first 2 shown]
	v_add_f64 v[51:52], v[25:26], v[57:58]
	v_add_f64 v[53:54], v[53:54], -v[59:60]
	s_delay_alu instid0(VALU_DEP_3) | instskip(NEXT) | instid1(VALU_DEP_3)
	v_add_f64 v[35:36], v[35:36], v[55:56]
	v_add_f64 v[25:26], v[51:52], -v[25:26]
	s_delay_alu instid0(VALU_DEP_3) | instskip(SKIP_1) | instid1(VALU_DEP_3)
	v_add_f64 v[37:38], v[37:38], v[53:54]
	v_add_f64 v[53:54], v[51:52], v[49:50]
	v_add_f64 v[25:26], v[57:58], -v[25:26]
	s_delay_alu instid0(VALU_DEP_3) | instskip(NEXT) | instid1(VALU_DEP_3)
	v_add_f64 v[35:36], v[35:36], v[37:38]
	v_cmp_gt_f64_e32 vcc_lo, 0, v[53:54]
	s_delay_alu instid0(VALU_DEP_2) | instskip(SKIP_1) | instid1(VALU_DEP_1)
	v_add_f64 v[23:24], v[23:24], v[35:36]
	v_cndmask_b32_e64 v18, 0, 0x40100000, vcc_lo
	v_add_f64 v[35:36], v[49:50], v[17:18]
	s_delay_alu instid0(VALU_DEP_3) | instskip(NEXT) | instid1(VALU_DEP_2)
	v_add_f64 v[23:24], v[25:26], v[23:24]
	v_add_f64 v[37:38], v[51:52], v[35:36]
	s_delay_alu instid0(VALU_DEP_1) | instskip(NEXT) | instid1(VALU_DEP_1)
	v_cvt_i32_f64_e32 v47, v[37:38]
	v_cvt_f64_i32_e32 v[37:38], v47
	s_delay_alu instid0(VALU_DEP_1) | instskip(NEXT) | instid1(VALU_DEP_1)
	v_add_f64 v[35:36], v[35:36], -v[37:38]
	v_add_f64 v[25:26], v[51:52], v[35:36]
	s_delay_alu instid0(VALU_DEP_1) | instskip(SKIP_1) | instid1(VALU_DEP_2)
	v_add_f64 v[35:36], v[25:26], -v[35:36]
	v_cmp_le_f64_e32 vcc_lo, 0.5, v[25:26]
	v_add_f64 v[35:36], v[51:52], -v[35:36]
	v_cndmask_b32_e64 v18, 0, 0x3ff00000, vcc_lo
	v_add_co_ci_u32_e32 v47, vcc_lo, 0, v47, vcc_lo
	s_delay_alu instid0(VALU_DEP_2) | instskip(NEXT) | instid1(VALU_DEP_4)
	v_add_f64 v[25:26], v[25:26], -v[17:18]
	v_add_f64 v[23:24], v[23:24], v[35:36]
	s_delay_alu instid0(VALU_DEP_1) | instskip(NEXT) | instid1(VALU_DEP_1)
	v_add_f64 v[35:36], v[25:26], v[23:24]
	v_add_f64 v[25:26], v[35:36], -v[25:26]
	s_delay_alu instid0(VALU_DEP_1) | instskip(SKIP_1) | instid1(VALU_DEP_1)
	v_add_f64 v[23:24], v[23:24], -v[25:26]
	v_mul_f64 v[25:26], v[35:36], s[6:7]
	v_fma_f64 v[37:38], v[35:36], s[6:7], -v[25:26]
	s_delay_alu instid0(VALU_DEP_1) | instskip(NEXT) | instid1(VALU_DEP_1)
	v_fma_f64 v[35:36], v[35:36], s[22:23], v[37:38]
	v_fma_f64 v[35:36], v[23:24], s[6:7], v[35:36]
	s_delay_alu instid0(VALU_DEP_1) | instskip(NEXT) | instid1(VALU_DEP_1)
	v_add_f64 v[23:24], v[25:26], v[35:36]
	v_add_f64 v[25:26], v[23:24], -v[25:26]
	s_delay_alu instid0(VALU_DEP_1)
	v_add_f64 v[25:26], v[35:36], -v[25:26]
	s_and_not1_saveexec_b32 s6, s20
	s_cbranch_execz .LBB162_43
	s_branch .LBB162_42
.LBB162_41:                             ;   in Loop: Header=BB162_4 Depth=1
	s_and_not1_saveexec_b32 s6, s20
	s_cbranch_execz .LBB162_43
.LBB162_42:                             ;   in Loop: Header=BB162_4 Depth=1
	v_mul_f64 v[23:24], |v[7:8]|, s[24:25]
	s_mov_b32 s20, s26
	s_delay_alu instid0(VALU_DEP_1) | instskip(NEXT) | instid1(VALU_DEP_1)
	v_rndne_f64_e32 v[35:36], v[23:24]
	v_fma_f64 v[23:24], v[35:36], s[18:19], |v[7:8]|
	v_mul_f64 v[25:26], v[35:36], s[26:27]
	v_cvt_i32_f64_e32 v47, v[35:36]
	s_delay_alu instid0(VALU_DEP_3) | instskip(NEXT) | instid1(VALU_DEP_3)
	v_fma_f64 v[49:50], v[35:36], s[26:27], v[23:24]
	v_add_f64 v[37:38], v[23:24], v[25:26]
	s_delay_alu instid0(VALU_DEP_1) | instskip(NEXT) | instid1(VALU_DEP_3)
	v_add_f64 v[23:24], v[23:24], -v[37:38]
	v_add_f64 v[37:38], v[37:38], -v[49:50]
	s_delay_alu instid0(VALU_DEP_2) | instskip(SKIP_1) | instid1(VALU_DEP_2)
	v_add_f64 v[23:24], v[23:24], v[25:26]
	v_fma_f64 v[25:26], v[35:36], s[20:21], v[25:26]
	v_add_f64 v[23:24], v[37:38], v[23:24]
	s_delay_alu instid0(VALU_DEP_1) | instskip(NEXT) | instid1(VALU_DEP_1)
	v_add_f64 v[23:24], v[23:24], -v[25:26]
	v_fma_f64 v[25:26], v[35:36], s[28:29], v[23:24]
	s_delay_alu instid0(VALU_DEP_1) | instskip(NEXT) | instid1(VALU_DEP_1)
	v_add_f64 v[23:24], v[49:50], v[25:26]
	v_add_f64 v[37:38], v[23:24], -v[49:50]
	s_delay_alu instid0(VALU_DEP_1)
	v_add_f64 v[25:26], v[25:26], -v[37:38]
.LBB162_43:                             ;   in Loop: Header=BB162_4 Depth=1
	s_or_b32 exec_lo, exec_lo, s6
                                        ; implicit-def: $vgpr18
                                        ; implicit-def: $vgpr35_vgpr36
                                        ; implicit-def: $vgpr37_vgpr38
	s_and_saveexec_b32 s6, s44
	s_delay_alu instid0(SALU_CYCLE_1)
	s_xor_b32 s20, exec_lo, s6
	s_cbranch_execz .LBB162_45
; %bb.44:                               ;   in Loop: Header=BB162_4 Depth=1
	v_cmp_le_f64_e64 vcc_lo, 0x7b000000, |v[7:8]|
	s_mov_b32 s6, s18
	s_mov_b32 s23, s21
	s_delay_alu instid0(VALU_DEP_4) | instskip(NEXT) | instid1(VALU_DEP_1)
	v_dual_cndmask_b32 v34, v48, v34 :: v_dual_cndmask_b32 v33, v7, v33
	v_mul_f64 v[35:36], v[31:32], v[33:34]
	v_mul_f64 v[37:38], v[29:30], v[33:34]
	;; [unrolled: 1-line block ×3, first 2 shown]
	s_delay_alu instid0(VALU_DEP_3) | instskip(NEXT) | instid1(VALU_DEP_3)
	v_fma_f64 v[31:32], v[31:32], v[33:34], -v[35:36]
	v_fma_f64 v[29:30], v[29:30], v[33:34], -v[37:38]
	s_delay_alu instid0(VALU_DEP_3) | instskip(NEXT) | instid1(VALU_DEP_3)
	v_fma_f64 v[27:28], v[27:28], v[33:34], -v[48:49]
	v_add_f64 v[33:34], v[37:38], v[31:32]
	s_delay_alu instid0(VALU_DEP_1) | instskip(NEXT) | instid1(VALU_DEP_1)
	v_add_f64 v[50:51], v[33:34], -v[37:38]
	v_add_f64 v[31:32], v[31:32], -v[50:51]
	;; [unrolled: 1-line block ×3, first 2 shown]
	s_delay_alu instid0(VALU_DEP_1) | instskip(SKIP_1) | instid1(VALU_DEP_2)
	v_add_f64 v[37:38], v[37:38], -v[50:51]
	v_add_f64 v[50:51], v[35:36], v[33:34]
	v_add_f64 v[31:32], v[31:32], v[37:38]
	s_delay_alu instid0(VALU_DEP_2) | instskip(SKIP_1) | instid1(VALU_DEP_2)
	v_add_f64 v[35:36], v[50:51], -v[35:36]
	v_ldexp_f64 v[50:51], v[50:51], -2
	v_add_f64 v[33:34], v[33:34], -v[35:36]
	v_add_f64 v[35:36], v[48:49], v[29:30]
	s_delay_alu instid0(VALU_DEP_3) | instskip(SKIP_1) | instid1(VALU_DEP_3)
	v_cmp_neq_f64_e64 vcc_lo, 0x7ff00000, |v[50:51]|
	v_fract_f64_e32 v[50:51], v[50:51]
	v_add_f64 v[37:38], v[35:36], -v[48:49]
	s_delay_alu instid0(VALU_DEP_2) | instskip(NEXT) | instid1(VALU_DEP_2)
	v_dual_cndmask_b32 v51, 0, v51 :: v_dual_cndmask_b32 v50, 0, v50
	v_add_f64 v[29:30], v[29:30], -v[37:38]
	v_add_f64 v[37:38], v[35:36], -v[37:38]
	s_delay_alu instid0(VALU_DEP_1) | instskip(SKIP_1) | instid1(VALU_DEP_2)
	v_add_f64 v[37:38], v[48:49], -v[37:38]
	v_add_f64 v[48:49], v[35:36], v[31:32]
	v_add_f64 v[29:30], v[29:30], v[37:38]
	s_delay_alu instid0(VALU_DEP_2) | instskip(SKIP_1) | instid1(VALU_DEP_2)
	v_add_f64 v[52:53], v[48:49], -v[35:36]
	v_add_f64 v[37:38], v[33:34], v[48:49]
	v_add_f64 v[31:32], v[31:32], -v[52:53]
	v_add_f64 v[52:53], v[48:49], -v[52:53]
	s_delay_alu instid0(VALU_DEP_1) | instskip(NEXT) | instid1(VALU_DEP_1)
	v_add_f64 v[35:36], v[35:36], -v[52:53]
	v_add_f64 v[31:32], v[31:32], v[35:36]
	v_ldexp_f64 v[35:36], v[50:51], 2
	s_delay_alu instid0(VALU_DEP_2) | instskip(NEXT) | instid1(VALU_DEP_2)
	v_add_f64 v[29:30], v[29:30], v[31:32]
	v_add_f64 v[50:51], v[37:38], v[35:36]
	v_add_f64 v[31:32], v[37:38], -v[33:34]
	s_delay_alu instid0(VALU_DEP_3) | instskip(NEXT) | instid1(VALU_DEP_3)
	v_add_f64 v[27:28], v[27:28], v[29:30]
	v_cmp_gt_f64_e32 vcc_lo, 0, v[50:51]
	s_delay_alu instid0(VALU_DEP_3) | instskip(SKIP_1) | instid1(VALU_DEP_2)
	v_add_f64 v[31:32], v[48:49], -v[31:32]
	v_cndmask_b32_e64 v18, 0, 0x40100000, vcc_lo
	v_add_f64 v[27:28], v[31:32], v[27:28]
	s_delay_alu instid0(VALU_DEP_2) | instskip(NEXT) | instid1(VALU_DEP_1)
	v_add_f64 v[29:30], v[35:36], v[17:18]
	v_add_f64 v[33:34], v[37:38], v[29:30]
	s_delay_alu instid0(VALU_DEP_1) | instskip(NEXT) | instid1(VALU_DEP_1)
	v_cvt_i32_f64_e32 v48, v[33:34]
	v_cvt_f64_i32_e32 v[33:34], v48
	s_delay_alu instid0(VALU_DEP_1) | instskip(NEXT) | instid1(VALU_DEP_1)
	v_add_f64 v[29:30], v[29:30], -v[33:34]
	v_add_f64 v[31:32], v[37:38], v[29:30]
	s_delay_alu instid0(VALU_DEP_1) | instskip(SKIP_1) | instid1(VALU_DEP_2)
	v_add_f64 v[29:30], v[31:32], -v[29:30]
	v_cmp_le_f64_e32 vcc_lo, 0.5, v[31:32]
	v_add_f64 v[29:30], v[37:38], -v[29:30]
	v_cndmask_b32_e64 v18, 0, 0x3ff00000, vcc_lo
	s_delay_alu instid0(VALU_DEP_1) | instskip(SKIP_1) | instid1(VALU_DEP_4)
	v_add_f64 v[31:32], v[31:32], -v[17:18]
	v_add_co_ci_u32_e32 v18, vcc_lo, 0, v48, vcc_lo
	v_add_f64 v[27:28], v[27:28], v[29:30]
	s_delay_alu instid0(VALU_DEP_1) | instskip(NEXT) | instid1(VALU_DEP_1)
	v_add_f64 v[29:30], v[31:32], v[27:28]
	v_add_f64 v[31:32], v[29:30], -v[31:32]
	s_delay_alu instid0(VALU_DEP_1) | instskip(SKIP_1) | instid1(VALU_DEP_1)
	v_add_f64 v[27:28], v[27:28], -v[31:32]
	v_mul_f64 v[31:32], v[29:30], s[6:7]
	v_fma_f64 v[33:34], v[29:30], s[6:7], -v[31:32]
	s_delay_alu instid0(VALU_DEP_1) | instskip(NEXT) | instid1(VALU_DEP_1)
	v_fma_f64 v[29:30], v[29:30], s[22:23], v[33:34]
	v_fma_f64 v[27:28], v[27:28], s[6:7], v[29:30]
	s_delay_alu instid0(VALU_DEP_1) | instskip(NEXT) | instid1(VALU_DEP_1)
	v_add_f64 v[35:36], v[31:32], v[27:28]
	v_add_f64 v[29:30], v[35:36], -v[31:32]
	s_delay_alu instid0(VALU_DEP_1)
	v_add_f64 v[37:38], v[27:28], -v[29:30]
	s_and_not1_saveexec_b32 s6, s20
	s_cbranch_execnz .LBB162_46
	s_branch .LBB162_47
.LBB162_45:                             ;   in Loop: Header=BB162_4 Depth=1
	s_and_not1_saveexec_b32 s6, s20
	s_cbranch_execz .LBB162_47
.LBB162_46:                             ;   in Loop: Header=BB162_4 Depth=1
	v_mul_f64 v[27:28], |v[7:8]|, s[24:25]
	s_mov_b32 s20, s26
	s_delay_alu instid0(VALU_DEP_1) | instskip(NEXT) | instid1(VALU_DEP_1)
	v_rndne_f64_e32 v[27:28], v[27:28]
	v_fma_f64 v[29:30], v[27:28], s[18:19], |v[7:8]|
	v_mul_f64 v[31:32], v[27:28], s[26:27]
	v_cvt_i32_f64_e32 v18, v[27:28]
	s_delay_alu instid0(VALU_DEP_3) | instskip(NEXT) | instid1(VALU_DEP_3)
	v_fma_f64 v[37:38], v[27:28], s[26:27], v[29:30]
	v_add_f64 v[33:34], v[29:30], v[31:32]
	s_delay_alu instid0(VALU_DEP_1) | instskip(NEXT) | instid1(VALU_DEP_3)
	v_add_f64 v[29:30], v[29:30], -v[33:34]
	v_add_f64 v[33:34], v[33:34], -v[37:38]
	s_delay_alu instid0(VALU_DEP_2) | instskip(SKIP_1) | instid1(VALU_DEP_2)
	v_add_f64 v[29:30], v[29:30], v[31:32]
	v_fma_f64 v[31:32], v[27:28], s[20:21], v[31:32]
	v_add_f64 v[29:30], v[33:34], v[29:30]
	s_delay_alu instid0(VALU_DEP_1) | instskip(NEXT) | instid1(VALU_DEP_1)
	v_add_f64 v[29:30], v[29:30], -v[31:32]
	v_fma_f64 v[29:30], v[27:28], s[28:29], v[29:30]
	s_delay_alu instid0(VALU_DEP_1) | instskip(NEXT) | instid1(VALU_DEP_1)
	v_add_f64 v[35:36], v[37:38], v[29:30]
	v_add_f64 v[31:32], v[35:36], -v[37:38]
	s_delay_alu instid0(VALU_DEP_1)
	v_add_f64 v[37:38], v[29:30], -v[31:32]
.LBB162_47:                             ;   in Loop: Header=BB162_4 Depth=1
	s_or_b32 exec_lo, exec_lo, s6
	v_mul_f64 v[27:28], v[23:24], v[23:24]
	s_delay_alu instid0(VALU_DEP_2) | instskip(NEXT) | instid1(VALU_DEP_3)
	v_mul_f64 v[48:49], v[25:26], 0.5
	v_mul_f64 v[54:55], v[37:38], 0.5
	s_mov_b32 s44, s46
	s_delay_alu instid0(VALU_DEP_3) | instskip(SKIP_1) | instid1(VALU_DEP_2)
	v_mul_f64 v[29:30], v[27:28], 0.5
	v_mul_f64 v[50:51], v[23:24], -v[27:28]
	v_add_f64 v[31:32], -v[29:30], 1.0
	s_delay_alu instid0(VALU_DEP_1) | instskip(NEXT) | instid1(VALU_DEP_1)
	v_add_f64 v[33:34], -v[31:32], 1.0
	v_add_f64 v[29:30], v[33:34], -v[29:30]
	v_fma_f64 v[33:34], v[27:28], s[34:35], s[30:31]
	s_delay_alu instid0(VALU_DEP_2) | instskip(NEXT) | instid1(VALU_DEP_2)
	v_fma_f64 v[29:30], v[23:24], -v[25:26], v[29:30]
	v_fma_f64 v[33:34], v[27:28], v[33:34], s[36:37]
	s_delay_alu instid0(VALU_DEP_1) | instskip(NEXT) | instid1(VALU_DEP_1)
	v_fma_f64 v[33:34], v[27:28], v[33:34], s[38:39]
	v_fma_f64 v[33:34], v[27:28], v[33:34], s[42:43]
	s_delay_alu instid0(VALU_DEP_1) | instskip(NEXT) | instid1(VALU_DEP_1)
	v_fma_f64 v[33:34], v[50:51], v[33:34], v[48:49]
	v_fma_f64 v[25:26], v[27:28], v[33:34], -v[25:26]
	v_fma_f64 v[33:34], v[27:28], s[98:99], s[96:97]
	s_delay_alu instid0(VALU_DEP_2) | instskip(NEXT) | instid1(VALU_DEP_2)
	v_fma_f64 v[25:26], v[50:51], s[44:45], v[25:26]
	v_fma_f64 v[33:34], v[27:28], v[33:34], s[100:101]
	s_delay_alu instid0(VALU_DEP_2) | instskip(NEXT) | instid1(VALU_DEP_2)
	v_add_f64 v[23:24], v[23:24], -v[25:26]
	v_fma_f64 v[33:34], v[27:28], v[33:34], s[102:103]
	s_delay_alu instid0(VALU_DEP_1) | instskip(NEXT) | instid1(VALU_DEP_1)
	v_fma_f64 v[33:34], v[27:28], v[33:34], s[10:11]
	v_fma_f64 v[33:34], v[27:28], v[33:34], s[46:47]
	v_mul_f64 v[27:28], v[27:28], v[27:28]
	s_delay_alu instid0(VALU_DEP_1) | instskip(SKIP_1) | instid1(VALU_DEP_2)
	v_fma_f64 v[27:28], v[27:28], v[33:34], v[29:30]
	v_mul_f64 v[29:30], v[35:36], v[35:36]
	v_add_f64 v[27:28], v[31:32], v[27:28]
	s_delay_alu instid0(VALU_DEP_2) | instskip(SKIP_2) | instid1(VALU_DEP_1)
	v_mul_f64 v[33:34], v[29:30], 0.5
	v_mul_f64 v[56:57], v[35:36], -v[29:30]
	v_and_b32_e32 v25, 1, v47
	v_cmp_eq_u32_e32 vcc_lo, 0, v25
	v_cndmask_b32_e32 v28, v28, v24, vcc_lo
	v_add_f64 v[48:49], -v[33:34], 1.0
	v_cndmask_b32_e32 v27, v27, v23, vcc_lo
	v_cmp_class_f64_e64 vcc_lo, v[7:8], 0x1f8
	v_lshlrev_b32_e32 v7, 30, v47
	s_delay_alu instid0(VALU_DEP_1) | instskip(NEXT) | instid1(VALU_DEP_1)
	v_xor_b32_e32 v7, v7, v8
	v_and_b32_e32 v7, 0x80000000, v7
	v_add_f64 v[52:53], -v[48:49], 1.0
	s_delay_alu instid0(VALU_DEP_1) | instskip(SKIP_1) | instid1(VALU_DEP_2)
	v_add_f64 v[33:34], v[52:53], -v[33:34]
	v_fma_f64 v[52:53], v[29:30], s[34:35], s[30:31]
	v_fma_f64 v[33:34], v[35:36], -v[37:38], v[33:34]
	s_delay_alu instid0(VALU_DEP_2) | instskip(NEXT) | instid1(VALU_DEP_1)
	v_fma_f64 v[52:53], v[29:30], v[52:53], s[36:37]
	v_fma_f64 v[52:53], v[29:30], v[52:53], s[38:39]
	s_delay_alu instid0(VALU_DEP_1) | instskip(NEXT) | instid1(VALU_DEP_1)
	v_fma_f64 v[52:53], v[29:30], v[52:53], s[42:43]
	v_fma_f64 v[52:53], v[56:57], v[52:53], v[54:55]
	s_delay_alu instid0(VALU_DEP_1) | instskip(SKIP_1) | instid1(VALU_DEP_2)
	v_fma_f64 v[37:38], v[29:30], v[52:53], -v[37:38]
	v_fma_f64 v[52:53], v[29:30], s[98:99], s[96:97]
	v_fma_f64 v[23:24], v[56:57], s[44:45], v[37:38]
	s_delay_alu instid0(VALU_DEP_2) | instskip(NEXT) | instid1(VALU_DEP_2)
	v_fma_f64 v[52:53], v[29:30], v[52:53], s[100:101]
	v_add_f64 v[23:24], v[35:36], -v[23:24]
	s_delay_alu instid0(VALU_DEP_2) | instskip(NEXT) | instid1(VALU_DEP_2)
	v_fma_f64 v[52:53], v[29:30], v[52:53], s[102:103]
	v_xor_b32_e32 v8, 0x80000000, v24
	s_delay_alu instid0(VALU_DEP_2) | instskip(SKIP_1) | instid1(VALU_DEP_2)
	v_fma_f64 v[52:53], v[29:30], v[52:53], s[10:11]
	v_xor_b32_e32 v24, v28, v7
	v_fma_f64 v[52:53], v[29:30], v[52:53], s[46:47]
	v_mul_f64 v[29:30], v[29:30], v[29:30]
	s_delay_alu instid0(VALU_DEP_1) | instskip(NEXT) | instid1(VALU_DEP_1)
	v_fma_f64 v[29:30], v[29:30], v[52:53], v[33:34]
	v_add_f64 v[25:26], v[48:49], v[29:30]
	v_and_b32_e32 v29, 1, v18
	v_dual_cndmask_b32 v7, 0, v27 :: v_dual_lshlrev_b32 v18, 30, v18
	s_delay_alu instid0(VALU_DEP_2) | instskip(NEXT) | instid1(VALU_DEP_2)
	v_cmp_eq_u32_e64 s6, 0, v29
	v_and_b32_e32 v18, 0x80000000, v18
	s_delay_alu instid0(VALU_DEP_2) | instskip(SKIP_1) | instid1(VALU_DEP_2)
	v_cndmask_b32_e64 v8, v8, v26, s6
	v_cndmask_b32_e64 v23, v23, v25, s6
	v_xor_b32_e32 v18, v8, v18
	v_cndmask_b32_e32 v8, 0x7ff80000, v24, vcc_lo
	s_delay_alu instid0(VALU_DEP_3) | instskip(NEXT) | instid1(VALU_DEP_3)
	v_cndmask_b32_e32 v23, 0, v23, vcc_lo
	v_cndmask_b32_e32 v24, 0x7ff80000, v18, vcc_lo
	s_delay_alu instid0(VALU_DEP_1)
	v_mul_f64 v[7:8], v[7:8], v[23:24]
.LBB162_48:                             ;   in Loop: Header=BB162_4 Depth=1
	s_or_b32 exec_lo, exec_lo, s51
	s_delay_alu instid0(VALU_DEP_1) | instskip(SKIP_2) | instid1(VALU_DEP_3)
	v_bfi_b32 v18, 0x7fffffff, 0, v8
	v_add_co_u32 v5, vcc_lo, v5, 0
	v_add_co_ci_u32_e32 v6, vcc_lo, -2.0, v6, vcc_lo
	v_dual_mov_b32 v7, v17 :: v_dual_mov_b32 v8, v18
.LBB162_49:                             ;   in Loop: Header=BB162_4 Depth=1
	s_or_b32 exec_lo, exec_lo, s50
.LBB162_50:                             ;   in Loop: Header=BB162_4 Depth=1
	s_delay_alu instid0(SALU_CYCLE_1) | instskip(SKIP_2) | instid1(VALU_DEP_1)
	s_or_b32 exec_lo, exec_lo, s49
	v_and_b32_e32 v27, 0x7fffffff, v2
	s_mov_b32 s6, exec_lo
	v_cmpx_gt_u32_e32 0x7ff00000, v27
	s_xor_b32 s49, exec_lo, s6
	s_cbranch_execz .LBB162_72
; %bb.51:                               ;   in Loop: Header=BB162_4 Depth=1
	v_cmp_class_f64_e64 s6, v[3:4], 0x1f8
	s_delay_alu instid0(VALU_DEP_1) | instskip(NEXT) | instid1(SALU_CYCLE_1)
	s_and_saveexec_b32 s20, s6
	s_xor_b32 s50, exec_lo, s20
	s_cbranch_execz .LBB162_69
; %bb.52:                               ;   in Loop: Header=BB162_4 Depth=1
	s_mov_b32 s6, exec_lo
	v_cmpx_gt_u32_e32 0x40360000, v27
	s_xor_b32 s44, exec_lo, s6
	s_cbranch_execz .LBB162_58
; %bb.53:                               ;   in Loop: Header=BB162_4 Depth=1
	s_mov_b32 s20, exec_lo
                                        ; implicit-def: $vgpr18
                                        ; implicit-def: $vgpr23_vgpr24
                                        ; implicit-def: $vgpr25_vgpr26
	v_cmpx_ngt_f64_e64 0x41d00000, |v[3:4]|
	s_xor_b32 s20, exec_lo, s20
	s_cbranch_execz .LBB162_55
; %bb.54:                               ;   in Loop: Header=BB162_4 Depth=1
	v_ldexp_f64 v[23:24], |v[3:4]|, 0xffffff80
	v_cmp_le_f64_e64 vcc_lo, 0x7b000000, |v[3:4]|
	v_trig_preop_f64 v[25:26], |v[3:4]|, 0
	v_and_b32_e32 v18, 0x7fffffff, v4
	v_trig_preop_f64 v[30:31], |v[3:4]|, 1
	v_trig_preop_f64 v[34:35], |v[3:4]|, 2
	s_mov_b32 s6, s18
	s_mov_b32 s23, s21
	v_dual_cndmask_b32 v23, v3, v23 :: v_dual_cndmask_b32 v24, v18, v24
	s_delay_alu instid0(VALU_DEP_1) | instskip(NEXT) | instid1(VALU_DEP_4)
	v_mul_f64 v[28:29], v[25:26], v[23:24]
	v_mul_f64 v[32:33], v[30:31], v[23:24]
	s_delay_alu instid0(VALU_DEP_4) | instskip(NEXT) | instid1(VALU_DEP_3)
	v_mul_f64 v[36:37], v[34:35], v[23:24]
	v_fma_f64 v[25:26], v[25:26], v[23:24], -v[28:29]
	s_delay_alu instid0(VALU_DEP_3) | instskip(NEXT) | instid1(VALU_DEP_3)
	v_fma_f64 v[30:31], v[30:31], v[23:24], -v[32:33]
	v_fma_f64 v[23:24], v[34:35], v[23:24], -v[36:37]
	s_delay_alu instid0(VALU_DEP_3) | instskip(NEXT) | instid1(VALU_DEP_1)
	v_add_f64 v[34:35], v[32:33], v[25:26]
	v_add_f64 v[47:48], v[34:35], -v[32:33]
	s_delay_alu instid0(VALU_DEP_1) | instskip(SKIP_1) | instid1(VALU_DEP_1)
	v_add_f64 v[25:26], v[25:26], -v[47:48]
	v_add_f64 v[47:48], v[34:35], -v[47:48]
	v_add_f64 v[32:33], v[32:33], -v[47:48]
	v_add_f64 v[47:48], v[28:29], v[34:35]
	s_delay_alu instid0(VALU_DEP_2) | instskip(NEXT) | instid1(VALU_DEP_2)
	v_add_f64 v[25:26], v[25:26], v[32:33]
	v_add_f64 v[28:29], v[47:48], -v[28:29]
	v_add_f64 v[32:33], v[36:37], v[30:31]
	v_ldexp_f64 v[47:48], v[47:48], -2
	s_delay_alu instid0(VALU_DEP_3) | instskip(NEXT) | instid1(VALU_DEP_3)
	v_add_f64 v[28:29], v[34:35], -v[28:29]
	v_add_f64 v[34:35], v[32:33], -v[36:37]
	s_delay_alu instid0(VALU_DEP_3) | instskip(SKIP_1) | instid1(VALU_DEP_3)
	v_cmp_neq_f64_e64 vcc_lo, 0x7ff00000, |v[47:48]|
	v_fract_f64_e32 v[47:48], v[47:48]
	v_add_f64 v[30:31], v[30:31], -v[34:35]
	v_add_f64 v[34:35], v[32:33], -v[34:35]
	s_delay_alu instid0(VALU_DEP_3) | instskip(NEXT) | instid1(VALU_DEP_2)
	v_dual_cndmask_b32 v47, 0, v47 :: v_dual_cndmask_b32 v48, 0, v48
	v_add_f64 v[34:35], v[36:37], -v[34:35]
	v_add_f64 v[36:37], v[32:33], v[25:26]
	s_delay_alu instid0(VALU_DEP_2) | instskip(NEXT) | instid1(VALU_DEP_2)
	v_add_f64 v[30:31], v[30:31], v[34:35]
	v_add_f64 v[49:50], v[36:37], -v[32:33]
	v_add_f64 v[34:35], v[28:29], v[36:37]
	s_delay_alu instid0(VALU_DEP_2) | instskip(SKIP_1) | instid1(VALU_DEP_3)
	v_add_f64 v[25:26], v[25:26], -v[49:50]
	v_add_f64 v[49:50], v[36:37], -v[49:50]
	;; [unrolled: 1-line block ×3, first 2 shown]
	s_delay_alu instid0(VALU_DEP_2) | instskip(NEXT) | instid1(VALU_DEP_2)
	v_add_f64 v[32:33], v[32:33], -v[49:50]
	v_add_f64 v[28:29], v[36:37], -v[28:29]
	s_delay_alu instid0(VALU_DEP_2) | instskip(SKIP_1) | instid1(VALU_DEP_2)
	v_add_f64 v[25:26], v[25:26], v[32:33]
	v_ldexp_f64 v[32:33], v[47:48], 2
	v_add_f64 v[25:26], v[30:31], v[25:26]
	s_delay_alu instid0(VALU_DEP_2) | instskip(NEXT) | instid1(VALU_DEP_2)
	v_add_f64 v[47:48], v[34:35], v[32:33]
	v_add_f64 v[23:24], v[23:24], v[25:26]
	s_delay_alu instid0(VALU_DEP_2) | instskip(NEXT) | instid1(VALU_DEP_2)
	v_cmp_gt_f64_e32 vcc_lo, 0, v[47:48]
	v_add_f64 v[23:24], v[28:29], v[23:24]
	v_cndmask_b32_e64 v18, 0, 0x40100000, vcc_lo
	s_delay_alu instid0(VALU_DEP_1) | instskip(NEXT) | instid1(VALU_DEP_1)
	v_add_f64 v[25:26], v[32:33], v[17:18]
	v_add_f64 v[30:31], v[34:35], v[25:26]
	s_delay_alu instid0(VALU_DEP_1) | instskip(NEXT) | instid1(VALU_DEP_1)
	v_cvt_i32_f64_e32 v32, v[30:31]
	v_cvt_f64_i32_e32 v[30:31], v32
	s_delay_alu instid0(VALU_DEP_1) | instskip(NEXT) | instid1(VALU_DEP_1)
	v_add_f64 v[25:26], v[25:26], -v[30:31]
	v_add_f64 v[28:29], v[34:35], v[25:26]
	s_delay_alu instid0(VALU_DEP_1) | instskip(SKIP_1) | instid1(VALU_DEP_2)
	v_add_f64 v[25:26], v[28:29], -v[25:26]
	v_cmp_le_f64_e32 vcc_lo, 0.5, v[28:29]
	v_add_f64 v[25:26], v[34:35], -v[25:26]
	v_cndmask_b32_e64 v18, 0, 0x3ff00000, vcc_lo
	s_delay_alu instid0(VALU_DEP_1) | instskip(SKIP_1) | instid1(VALU_DEP_4)
	v_add_f64 v[28:29], v[28:29], -v[17:18]
	v_add_co_ci_u32_e32 v18, vcc_lo, 0, v32, vcc_lo
	v_add_f64 v[23:24], v[23:24], v[25:26]
	s_delay_alu instid0(VALU_DEP_1) | instskip(NEXT) | instid1(VALU_DEP_1)
	v_add_f64 v[25:26], v[28:29], v[23:24]
	v_add_f64 v[28:29], v[25:26], -v[28:29]
	s_delay_alu instid0(VALU_DEP_1) | instskip(SKIP_1) | instid1(VALU_DEP_1)
	v_add_f64 v[23:24], v[23:24], -v[28:29]
	v_mul_f64 v[28:29], v[25:26], s[6:7]
	v_fma_f64 v[30:31], v[25:26], s[6:7], -v[28:29]
	s_delay_alu instid0(VALU_DEP_1) | instskip(NEXT) | instid1(VALU_DEP_1)
	v_fma_f64 v[25:26], v[25:26], s[22:23], v[30:31]
	v_fma_f64 v[25:26], v[23:24], s[6:7], v[25:26]
	s_delay_alu instid0(VALU_DEP_1) | instskip(NEXT) | instid1(VALU_DEP_1)
	v_add_f64 v[23:24], v[28:29], v[25:26]
	v_add_f64 v[28:29], v[23:24], -v[28:29]
	s_delay_alu instid0(VALU_DEP_1)
	v_add_f64 v[25:26], v[25:26], -v[28:29]
.LBB162_55:                             ;   in Loop: Header=BB162_4 Depth=1
	s_and_not1_saveexec_b32 s6, s20
	s_cbranch_execz .LBB162_57
; %bb.56:                               ;   in Loop: Header=BB162_4 Depth=1
	v_mul_f64 v[23:24], |v[3:4]|, s[24:25]
	s_mov_b32 s20, s26
	s_delay_alu instid0(VALU_DEP_1) | instskip(NEXT) | instid1(VALU_DEP_1)
	v_rndne_f64_e32 v[28:29], v[23:24]
	v_fma_f64 v[23:24], v[28:29], s[18:19], |v[3:4]|
	v_mul_f64 v[25:26], v[28:29], s[26:27]
	v_cvt_i32_f64_e32 v18, v[28:29]
	s_delay_alu instid0(VALU_DEP_3) | instskip(NEXT) | instid1(VALU_DEP_3)
	v_fma_f64 v[32:33], v[28:29], s[26:27], v[23:24]
	v_add_f64 v[30:31], v[23:24], v[25:26]
	s_delay_alu instid0(VALU_DEP_1) | instskip(NEXT) | instid1(VALU_DEP_3)
	v_add_f64 v[23:24], v[23:24], -v[30:31]
	v_add_f64 v[30:31], v[30:31], -v[32:33]
	s_delay_alu instid0(VALU_DEP_2) | instskip(SKIP_1) | instid1(VALU_DEP_2)
	v_add_f64 v[23:24], v[23:24], v[25:26]
	v_fma_f64 v[25:26], v[28:29], s[20:21], v[25:26]
	v_add_f64 v[23:24], v[30:31], v[23:24]
	s_delay_alu instid0(VALU_DEP_1) | instskip(NEXT) | instid1(VALU_DEP_1)
	v_add_f64 v[23:24], v[23:24], -v[25:26]
	v_fma_f64 v[25:26], v[28:29], s[28:29], v[23:24]
	s_delay_alu instid0(VALU_DEP_1) | instskip(NEXT) | instid1(VALU_DEP_1)
	v_add_f64 v[23:24], v[32:33], v[25:26]
	v_add_f64 v[30:31], v[23:24], -v[32:33]
	s_delay_alu instid0(VALU_DEP_1)
	v_add_f64 v[25:26], v[25:26], -v[30:31]
.LBB162_57:                             ;   in Loop: Header=BB162_4 Depth=1
	s_or_b32 exec_lo, exec_lo, s6
	v_add_f64 v[28:29], |v[1:2]|, s[40:41]
	s_mov_b32 s62, s40
	s_mov_b32 s66, s68
	;; [unrolled: 1-line block ×5, first 2 shown]
	v_cmp_nge_f64_e64 vcc_lo, |v[1:2]|, s[94:95]
	v_cmp_gt_f64_e64 s6, 0x3e400000, |v[1:2]|
	s_mov_b32 s52, 0xa9a29f71
	s_mov_b32 s54, 0xc751c08c
	;; [unrolled: 1-line block ×4, first 2 shown]
	v_and_b32_e32 v18, 1, v18
	s_delay_alu instid0(VALU_DEP_4) | instskip(NEXT) | instid1(VALU_DEP_1)
	v_add_f64 v[30:31], v[28:29], -|v[1:2]|
	v_add_f64 v[32:33], v[30:31], -v[28:29]
	v_add_f64 v[30:31], v[30:31], s[62:63]
	s_delay_alu instid0(VALU_DEP_2) | instskip(NEXT) | instid1(VALU_DEP_1)
	v_add_f64 v[32:33], |v[1:2]|, v[32:33]
	v_add_f64 v[30:31], v[32:33], -v[30:31]
	s_delay_alu instid0(VALU_DEP_1) | instskip(NEXT) | instid1(VALU_DEP_1)
	v_add_f64 v[30:31], v[30:31], s[64:65]
	v_add_f64 v[32:33], v[28:29], v[30:31]
	s_delay_alu instid0(VALU_DEP_1) | instskip(NEXT) | instid1(VALU_DEP_1)
	v_add_f64 v[28:29], v[28:29], -v[32:33]
	v_add_f64 v[28:29], v[30:31], v[28:29]
	v_mul_f64 v[30:31], v[32:33], s[66:67]
	s_delay_alu instid0(VALU_DEP_1) | instskip(NEXT) | instid1(VALU_DEP_1)
	v_rndne_f64_e32 v[30:31], v[30:31]
	v_fma_f64 v[32:33], v[30:31], s[60:61], v[32:33]
	v_cvt_i32_f64_e32 v3, v[30:31]
	s_delay_alu instid0(VALU_DEP_2) | instskip(NEXT) | instid1(VALU_DEP_1)
	v_add_f64 v[34:35], v[28:29], v[32:33]
	v_add_f64 v[32:33], v[32:33], -v[34:35]
	s_delay_alu instid0(VALU_DEP_1) | instskip(SKIP_1) | instid1(VALU_DEP_1)
	v_add_f64 v[28:29], v[28:29], v[32:33]
	v_mul_f64 v[32:33], v[30:31], s[70:71]
	v_add_f64 v[36:37], v[34:35], v[32:33]
	s_delay_alu instid0(VALU_DEP_1) | instskip(NEXT) | instid1(VALU_DEP_1)
	v_add_f64 v[34:35], v[34:35], -v[36:37]
	v_add_f64 v[32:33], v[34:35], v[32:33]
	s_delay_alu instid0(VALU_DEP_1) | instskip(NEXT) | instid1(VALU_DEP_1)
	v_add_f64 v[28:29], v[28:29], v[32:33]
	v_add_f64 v[32:33], v[36:37], v[28:29]
	s_delay_alu instid0(VALU_DEP_1) | instskip(NEXT) | instid1(VALU_DEP_1)
	v_add_f64 v[34:35], v[36:37], -v[32:33]
	v_add_f64 v[28:29], v[28:29], v[34:35]
	v_mul_f64 v[34:35], v[30:31], s[72:73]
	s_delay_alu instid0(VALU_DEP_1) | instskip(NEXT) | instid1(VALU_DEP_1)
	v_add_f64 v[36:37], v[32:33], v[34:35]
	v_add_f64 v[32:33], v[32:33], -v[36:37]
	s_delay_alu instid0(VALU_DEP_1) | instskip(NEXT) | instid1(VALU_DEP_1)
	v_add_f64 v[32:33], v[32:33], v[34:35]
	v_add_f64 v[28:29], v[28:29], v[32:33]
	s_delay_alu instid0(VALU_DEP_1) | instskip(NEXT) | instid1(VALU_DEP_1)
	v_add_f64 v[32:33], v[36:37], v[28:29]
	v_add_f64 v[34:35], v[36:37], -v[32:33]
	s_delay_alu instid0(VALU_DEP_1) | instskip(SKIP_1) | instid1(VALU_DEP_2)
	v_add_f64 v[28:29], v[28:29], v[34:35]
	v_mul_f64 v[34:35], v[32:33], v[32:33]
	v_add_f64 v[47:48], v[28:29], v[28:29]
	s_delay_alu instid0(VALU_DEP_2) | instskip(NEXT) | instid1(VALU_DEP_1)
	v_fma_f64 v[36:37], v[32:33], v[32:33], -v[34:35]
	v_fma_f64 v[36:37], v[32:33], v[47:48], v[36:37]
	s_delay_alu instid0(VALU_DEP_1) | instskip(NEXT) | instid1(VALU_DEP_1)
	v_add_f64 v[47:48], v[34:35], v[36:37]
	v_add_f64 v[34:35], v[47:48], -v[34:35]
	s_delay_alu instid0(VALU_DEP_1) | instskip(SKIP_1) | instid1(VALU_DEP_1)
	v_add_f64 v[34:35], v[36:37], -v[34:35]
	v_fma_f64 v[36:37], v[32:33], s[76:77], s[74:75]
	v_fma_f64 v[36:37], v[32:33], v[36:37], s[78:79]
	s_delay_alu instid0(VALU_DEP_1) | instskip(NEXT) | instid1(VALU_DEP_1)
	v_fma_f64 v[36:37], v[32:33], v[36:37], s[80:81]
	v_fma_f64 v[36:37], v[32:33], v[36:37], s[82:83]
	s_delay_alu instid0(VALU_DEP_1) | instskip(NEXT) | instid1(VALU_DEP_1)
	;; [unrolled: 3-line block ×4, first 2 shown]
	v_fma_f64 v[36:37], v[32:33], v[36:37], s[92:93]
	v_mul_f64 v[49:50], v[47:48], v[36:37]
	s_delay_alu instid0(VALU_DEP_1) | instskip(NEXT) | instid1(VALU_DEP_1)
	v_fma_f64 v[47:48], v[47:48], v[36:37], -v[49:50]
	v_fma_f64 v[34:35], v[34:35], v[36:37], v[47:48]
	s_delay_alu instid0(VALU_DEP_1) | instskip(NEXT) | instid1(VALU_DEP_1)
	v_add_f64 v[36:37], v[49:50], v[34:35]
	v_add_f64 v[47:48], v[36:37], -v[49:50]
	s_delay_alu instid0(VALU_DEP_1) | instskip(SKIP_1) | instid1(VALU_DEP_2)
	v_add_f64 v[34:35], v[34:35], -v[47:48]
	v_add_f64 v[47:48], v[32:33], v[36:37]
	v_add_f64 v[28:29], v[28:29], v[34:35]
	s_delay_alu instid0(VALU_DEP_2) | instskip(NEXT) | instid1(VALU_DEP_1)
	v_add_f64 v[32:33], v[47:48], -v[32:33]
	v_add_f64 v[32:33], v[36:37], -v[32:33]
	s_delay_alu instid0(VALU_DEP_1) | instskip(NEXT) | instid1(VALU_DEP_1)
	v_add_f64 v[28:29], v[28:29], v[32:33]
	v_add_f64 v[32:33], v[47:48], v[28:29]
	s_delay_alu instid0(VALU_DEP_1) | instskip(NEXT) | instid1(VALU_DEP_1)
	v_add_f64 v[34:35], v[32:33], -v[47:48]
	v_add_f64 v[28:29], v[28:29], -v[34:35]
	v_add_f64 v[34:35], v[32:33], 1.0
	s_delay_alu instid0(VALU_DEP_1) | instskip(NEXT) | instid1(VALU_DEP_1)
	v_add_f64 v[36:37], v[34:35], -1.0
	v_add_f64 v[32:33], v[32:33], -v[36:37]
	s_delay_alu instid0(VALU_DEP_1) | instskip(NEXT) | instid1(VALU_DEP_1)
	v_add_f64 v[28:29], v[28:29], v[32:33]
	v_add_f64 v[30:31], v[34:35], v[28:29]
	s_delay_alu instid0(VALU_DEP_1) | instskip(SKIP_1) | instid1(VALU_DEP_2)
	v_add_f64 v[32:33], v[30:31], -v[34:35]
	v_ldexp_f64 v[30:31], v[30:31], v3
	v_add_f64 v[28:29], v[28:29], -v[32:33]
	s_delay_alu instid0(VALU_DEP_2) | instskip(NEXT) | instid1(VALU_DEP_1)
	v_rcp_f64_e32 v[34:35], v[30:31]
	v_ldexp_f64 v[28:29], v[28:29], v3
	s_waitcnt_depctr 0xfff
	v_fma_f64 v[36:37], -v[30:31], v[34:35], 1.0
	s_delay_alu instid0(VALU_DEP_1) | instskip(NEXT) | instid1(VALU_DEP_1)
	v_fma_f64 v[34:35], v[36:37], v[34:35], v[34:35]
	v_fma_f64 v[32:33], -v[30:31], v[34:35], 1.0
	s_delay_alu instid0(VALU_DEP_1) | instskip(NEXT) | instid1(VALU_DEP_1)
	v_fma_f64 v[32:33], v[32:33], v[34:35], v[34:35]
	v_mul_f64 v[34:35], v[30:31], v[32:33]
	s_delay_alu instid0(VALU_DEP_1) | instskip(NEXT) | instid1(VALU_DEP_1)
	v_fma_f64 v[36:37], v[32:33], v[30:31], -v[34:35]
	v_fma_f64 v[36:37], v[32:33], v[28:29], v[36:37]
	s_delay_alu instid0(VALU_DEP_1) | instskip(NEXT) | instid1(VALU_DEP_1)
	v_add_f64 v[47:48], v[34:35], v[36:37]
	v_add_f64 v[34:35], v[47:48], -v[34:35]
	s_delay_alu instid0(VALU_DEP_1) | instskip(SKIP_1) | instid1(VALU_DEP_1)
	v_add_f64 v[34:35], v[34:35], -v[36:37]
	v_add_f64 v[36:37], -v[47:48], 1.0
	v_add_f64 v[49:50], -v[36:37], 1.0
	s_delay_alu instid0(VALU_DEP_1) | instskip(NEXT) | instid1(VALU_DEP_1)
	v_add_f64 v[47:48], v[49:50], -v[47:48]
	v_add_f64 v[34:35], v[34:35], v[47:48]
	s_delay_alu instid0(VALU_DEP_1) | instskip(NEXT) | instid1(VALU_DEP_1)
	v_add_f64 v[47:48], v[36:37], v[34:35]
	v_add_f64 v[36:37], v[36:37], -v[47:48]
	s_delay_alu instid0(VALU_DEP_1) | instskip(SKIP_1) | instid1(VALU_DEP_1)
	v_add_f64 v[34:35], v[34:35], v[36:37]
	v_mul_f64 v[36:37], v[32:33], v[47:48]
	v_mul_f64 v[49:50], v[30:31], v[36:37]
	s_delay_alu instid0(VALU_DEP_1) | instskip(NEXT) | instid1(VALU_DEP_1)
	v_fma_f64 v[51:52], v[36:37], v[30:31], -v[49:50]
	v_fma_f64 v[51:52], v[36:37], v[28:29], v[51:52]
	s_delay_alu instid0(VALU_DEP_1) | instskip(NEXT) | instid1(VALU_DEP_1)
	v_add_f64 v[53:54], v[49:50], v[51:52]
	v_add_f64 v[55:56], v[47:48], -v[53:54]
	v_add_f64 v[49:50], v[53:54], -v[49:50]
	s_delay_alu instid0(VALU_DEP_2) | instskip(NEXT) | instid1(VALU_DEP_2)
	v_add_f64 v[47:48], v[47:48], -v[55:56]
	v_add_f64 v[49:50], v[49:50], -v[51:52]
	s_delay_alu instid0(VALU_DEP_2) | instskip(NEXT) | instid1(VALU_DEP_1)
	v_add_f64 v[47:48], v[47:48], -v[53:54]
	v_add_f64 v[34:35], v[34:35], v[47:48]
	v_add_f64 v[47:48], v[32:33], v[36:37]
	s_delay_alu instid0(VALU_DEP_2) | instskip(NEXT) | instid1(VALU_DEP_2)
	v_add_f64 v[34:35], v[49:50], v[34:35]
	v_add_f64 v[49:50], v[47:48], -v[32:33]
	s_delay_alu instid0(VALU_DEP_2) | instskip(NEXT) | instid1(VALU_DEP_2)
	v_add_f64 v[34:35], v[55:56], v[34:35]
	v_add_f64 v[36:37], v[36:37], -v[49:50]
	s_delay_alu instid0(VALU_DEP_2) | instskip(NEXT) | instid1(VALU_DEP_1)
	v_mul_f64 v[32:33], v[32:33], v[34:35]
	v_add_f64 v[32:33], v[36:37], v[32:33]
	s_delay_alu instid0(VALU_DEP_1) | instskip(NEXT) | instid1(VALU_DEP_1)
	v_add_f64 v[34:35], v[47:48], v[32:33]
	v_add_f64 v[36:37], v[34:35], -v[47:48]
	v_ldexp_f64 v[34:35], v[34:35], -2
	s_delay_alu instid0(VALU_DEP_2) | instskip(NEXT) | instid1(VALU_DEP_2)
	v_add_f64 v[32:33], v[32:33], -v[36:37]
	v_add_f64 v[47:48], v[30:31], -v[34:35]
	v_and_b32_e32 v37, 0x80000000, v4
	s_delay_alu instid0(VALU_DEP_2) | instskip(NEXT) | instid1(VALU_DEP_1)
	v_add_f64 v[30:31], v[30:31], -v[47:48]
	v_add_f64 v[30:31], v[30:31], -v[34:35]
	s_delay_alu instid0(VALU_DEP_1) | instskip(SKIP_1) | instid1(VALU_DEP_1)
	v_add_f64 v[28:29], v[28:29], v[30:31]
	v_ldexp_f64 v[30:31], v[32:33], -2
	v_add_f64 v[28:29], v[28:29], -v[30:31]
	s_delay_alu instid0(VALU_DEP_1) | instskip(NEXT) | instid1(VALU_DEP_1)
	v_add_f64 v[28:29], v[47:48], v[28:29]
	v_cndmask_b32_e32 v3, 0x7ff00000, v29, vcc_lo
	s_delay_alu instid0(VALU_DEP_2) | instskip(NEXT) | instid1(VALU_DEP_2)
	v_cndmask_b32_e32 v28, 0, v28, vcc_lo
	v_cndmask_b32_e64 v3, v3, v27, s6
	s_delay_alu instid0(VALU_DEP_2) | instskip(SKIP_1) | instid1(VALU_DEP_3)
	v_cndmask_b32_e64 v1, v28, v1, s6
	v_cmp_eq_u32_e64 s6, 0, v18
	v_bfi_b32 v2, 0x7fffffff, v3, v2
	s_delay_alu instid0(VALU_DEP_1) | instskip(NEXT) | instid1(VALU_DEP_1)
	v_fma_f64 v[27:28], v[1:2], v[1:2], 1.0
	v_cmp_gt_f64_e32 vcc_lo, 0x10000000, v[27:28]
	v_cndmask_b32_e64 v3, 0, 1, vcc_lo
	v_cndmask_b32_e64 v18, 0, 0xffffff80, vcc_lo
	s_delay_alu instid0(VALU_DEP_2) | instskip(NEXT) | instid1(VALU_DEP_1)
	v_lshlrev_b32_e32 v3, 8, v3
	v_ldexp_f64 v[27:28], v[27:28], v3
	v_mul_f64 v[3:4], v[23:24], v[23:24]
	s_delay_alu instid0(VALU_DEP_2) | instskip(SKIP_4) | instid1(VALU_DEP_1)
	v_rsq_f64_e32 v[29:30], v[27:28]
	v_cmp_class_f64_e64 vcc_lo, v[27:28], 0x260
	s_waitcnt_depctr 0xfff
	v_mul_f64 v[31:32], v[27:28], v[29:30]
	v_mul_f64 v[29:30], v[29:30], 0.5
	v_fma_f64 v[33:34], -v[29:30], v[31:32], 0.5
	s_delay_alu instid0(VALU_DEP_1) | instskip(SKIP_1) | instid1(VALU_DEP_2)
	v_fma_f64 v[31:32], v[31:32], v[33:34], v[31:32]
	v_fma_f64 v[29:30], v[29:30], v[33:34], v[29:30]
	v_fma_f64 v[33:34], -v[31:32], v[31:32], v[27:28]
	s_delay_alu instid0(VALU_DEP_1) | instskip(NEXT) | instid1(VALU_DEP_1)
	v_fma_f64 v[31:32], v[33:34], v[29:30], v[31:32]
	v_fma_f64 v[33:34], -v[31:32], v[31:32], v[27:28]
	s_delay_alu instid0(VALU_DEP_1) | instskip(SKIP_2) | instid1(VALU_DEP_1)
	v_fma_f64 v[29:30], v[33:34], v[29:30], v[31:32]
	v_add_f64 v[31:32], v[25:26], v[25:26]
	v_fma_f64 v[33:34], v[23:24], v[23:24], -v[3:4]
	v_fma_f64 v[31:32], v[23:24], v[31:32], v[33:34]
	s_delay_alu instid0(VALU_DEP_1) | instskip(NEXT) | instid1(VALU_DEP_1)
	v_add_f64 v[3:4], v[3:4], v[31:32]
	v_fma_f64 v[31:32], v[3:4], s[54:55], s[52:53]
	s_mov_b32 s52, 0x90a8aae0
	s_mov_b32 s53, 0x3f17746f
	s_delay_alu instid0(VALU_DEP_1) | instid1(SALU_CYCLE_1)
	v_fma_f64 v[31:32], v[3:4], v[31:32], s[52:53]
	s_mov_b32 s52, 0xa6fbf144
	s_mov_b32 s53, 0xbefbb44d
	s_delay_alu instid0(VALU_DEP_1) | instid1(SALU_CYCLE_1)
	v_fma_f64 v[31:32], v[3:4], v[31:32], s[52:53]
	s_mov_b32 s52, 0xa7943acf
	s_mov_b32 s53, 0x3f21e634
	s_delay_alu instid0(VALU_DEP_1) | instid1(SALU_CYCLE_1)
	v_fma_f64 v[31:32], v[3:4], v[31:32], s[52:53]
	s_mov_b32 s52, 0xdeb68feb
	s_mov_b32 s53, 0x3f2d250f
	s_delay_alu instid0(VALU_DEP_1) | instid1(SALU_CYCLE_1)
	v_fma_f64 v[31:32], v[3:4], v[31:32], s[52:53]
	s_mov_b32 s52, 0xb58c4d95
	s_mov_b32 s53, 0x3f437fd9
	s_delay_alu instid0(VALU_DEP_1) | instid1(SALU_CYCLE_1)
	v_fma_f64 v[31:32], v[3:4], v[31:32], s[52:53]
	s_mov_b32 s52, 0x15120e2c
	s_mov_b32 s53, 0x3f57d5af
	s_delay_alu instid0(VALU_DEP_1) | instid1(SALU_CYCLE_1)
	v_fma_f64 v[31:32], v[3:4], v[31:32], s[52:53]
	s_mov_b32 s52, 0xe09491df
	s_mov_b32 s53, 0x3f6d6d93
	s_delay_alu instid0(VALU_DEP_1) | instid1(SALU_CYCLE_1)
	v_fma_f64 v[31:32], v[3:4], v[31:32], s[52:53]
	s_mov_b32 s52, 0x2033784d
	s_mov_b32 s53, 0x3f8226e1
	s_delay_alu instid0(VALU_DEP_1) | instid1(SALU_CYCLE_1)
	v_fma_f64 v[31:32], v[3:4], v[31:32], s[52:53]
	s_mov_b32 s52, 0x9ac36ae2
	s_mov_b32 s53, 0x3f9664f4
	s_delay_alu instid0(VALU_DEP_1) | instid1(SALU_CYCLE_1)
	v_fma_f64 v[31:32], v[3:4], v[31:32], s[52:53]
	s_mov_b32 s52, 0x1b451c21
	s_mov_b32 s53, 0x3faba1ba
	s_delay_alu instid0(VALU_DEP_1) | instid1(SALU_CYCLE_1)
	v_fma_f64 v[31:32], v[3:4], v[31:32], s[52:53]
	s_delay_alu instid0(VALU_DEP_1) | instskip(NEXT) | instid1(VALU_DEP_1)
	v_fma_f64 v[31:32], v[3:4], v[31:32], s[56:57]
	v_fma_f64 v[31:32], v[3:4], v[31:32], s[58:59]
	s_delay_alu instid0(VALU_DEP_1) | instskip(NEXT) | instid1(VALU_DEP_1)
	v_mul_f64 v[3:4], v[3:4], v[31:32]
	v_mul_f64 v[31:32], v[23:24], v[3:4]
	s_delay_alu instid0(VALU_DEP_1) | instskip(NEXT) | instid1(VALU_DEP_1)
	v_fma_f64 v[3:4], v[23:24], v[3:4], -v[31:32]
	v_add_f64 v[3:4], v[25:26], v[3:4]
	v_add_f64 v[25:26], v[23:24], v[31:32]
	s_delay_alu instid0(VALU_DEP_1) | instskip(NEXT) | instid1(VALU_DEP_1)
	v_add_f64 v[23:24], v[25:26], -v[23:24]
	v_add_f64 v[23:24], v[31:32], -v[23:24]
	s_delay_alu instid0(VALU_DEP_1) | instskip(NEXT) | instid1(VALU_DEP_1)
	v_add_f64 v[3:4], v[3:4], v[23:24]
	v_add_f64 v[23:24], v[25:26], v[3:4]
	s_delay_alu instid0(VALU_DEP_1) | instskip(SKIP_1) | instid1(VALU_DEP_1)
	v_rcp_f64_e32 v[31:32], v[23:24]
	v_add_f64 v[25:26], v[23:24], -v[25:26]
	v_add_f64 v[3:4], v[3:4], -v[25:26]
	s_waitcnt_depctr 0xfff
	v_fma_f64 v[33:34], -v[23:24], v[31:32], 1.0
	s_delay_alu instid0(VALU_DEP_1) | instskip(NEXT) | instid1(VALU_DEP_1)
	v_fma_f64 v[31:32], v[33:34], v[31:32], v[31:32]
	v_fma_f64 v[33:34], -v[23:24], v[31:32], 1.0
	s_delay_alu instid0(VALU_DEP_1) | instskip(NEXT) | instid1(VALU_DEP_1)
	v_fma_f64 v[31:32], v[33:34], v[31:32], v[31:32]
	v_mul_f64 v[25:26], v[23:24], v[31:32]
	s_delay_alu instid0(VALU_DEP_1) | instskip(NEXT) | instid1(VALU_DEP_1)
	v_fma_f64 v[33:34], v[31:32], v[23:24], -v[25:26]
	v_fma_f64 v[3:4], v[31:32], v[3:4], v[33:34]
	s_delay_alu instid0(VALU_DEP_1) | instskip(NEXT) | instid1(VALU_DEP_1)
	v_add_f64 v[33:34], v[25:26], v[3:4]
	v_add_f64 v[25:26], v[33:34], -v[25:26]
	s_delay_alu instid0(VALU_DEP_1) | instskip(SKIP_1) | instid1(VALU_DEP_1)
	v_add_f64 v[3:4], v[25:26], -v[3:4]
	v_add_f64 v[25:26], -v[33:34], 1.0
	v_add_f64 v[35:36], -v[25:26], 1.0
	s_delay_alu instid0(VALU_DEP_1) | instskip(NEXT) | instid1(VALU_DEP_1)
	v_add_f64 v[33:34], v[35:36], -v[33:34]
	v_add_f64 v[3:4], v[3:4], v[33:34]
	s_delay_alu instid0(VALU_DEP_1) | instskip(NEXT) | instid1(VALU_DEP_1)
	v_add_f64 v[3:4], v[25:26], v[3:4]
	v_mul_f64 v[3:4], v[31:32], v[3:4]
	s_delay_alu instid0(VALU_DEP_1) | instskip(NEXT) | instid1(VALU_DEP_1)
	v_add_f64 v[3:4], v[31:32], v[3:4]
	v_xor_b32_e32 v4, 0x80000000, v4
	s_delay_alu instid0(VALU_DEP_2) | instskip(NEXT) | instid1(VALU_DEP_2)
	v_cndmask_b32_e64 v3, v3, v23, s6
	v_cndmask_b32_e64 v4, v4, v24, s6
	v_ldexp_f64 v[23:24], v[29:30], v18
	s_delay_alu instid0(VALU_DEP_2) | instskip(NEXT) | instid1(VALU_DEP_1)
	v_xor_b32_e32 v4, v4, v37
	v_fma_f64 v[25:26], v[3:4], v[3:4], 1.0
	s_delay_alu instid0(VALU_DEP_3) | instskip(NEXT) | instid1(VALU_DEP_2)
	v_dual_cndmask_b32 v24, v24, v28 :: v_dual_cndmask_b32 v23, v23, v27
	v_mul_f64 v[27:28], v[1:2], v[25:26]
	s_delay_alu instid0(VALU_DEP_2) | instskip(NEXT) | instid1(VALU_DEP_2)
	v_mul_f64 v[23:24], v[23:24], v[25:26]
	v_fma_f64 v[25:26], v[1:2], v[27:28], 1.0
	s_delay_alu instid0(VALU_DEP_2) | instskip(NEXT) | instid1(VALU_DEP_1)
	v_mul_f64 v[1:2], v[1:2], v[23:24]
	v_div_scale_f64 v[23:24], null, v[25:26], v[25:26], v[1:2]
	s_delay_alu instid0(VALU_DEP_1) | instskip(SKIP_2) | instid1(VALU_DEP_1)
	v_rcp_f64_e32 v[27:28], v[23:24]
	s_waitcnt_depctr 0xfff
	v_fma_f64 v[29:30], -v[23:24], v[27:28], 1.0
	v_fma_f64 v[27:28], v[27:28], v[29:30], v[27:28]
	s_delay_alu instid0(VALU_DEP_1) | instskip(NEXT) | instid1(VALU_DEP_1)
	v_fma_f64 v[29:30], -v[23:24], v[27:28], 1.0
	v_fma_f64 v[27:28], v[27:28], v[29:30], v[27:28]
	v_div_scale_f64 v[29:30], vcc_lo, v[1:2], v[25:26], v[1:2]
	s_delay_alu instid0(VALU_DEP_1) | instskip(NEXT) | instid1(VALU_DEP_1)
	v_mul_f64 v[31:32], v[29:30], v[27:28]
	v_fma_f64 v[23:24], -v[23:24], v[31:32], v[29:30]
	s_delay_alu instid0(VALU_DEP_1) | instskip(SKIP_1) | instid1(VALU_DEP_2)
	v_div_fmas_f64 v[23:24], v[23:24], v[27:28], v[31:32]
	v_div_scale_f64 v[27:28], null, v[25:26], v[25:26], v[3:4]
	v_div_fixup_f64 v[1:2], v[23:24], v[25:26], v[1:2]
	s_delay_alu instid0(VALU_DEP_2) | instskip(SKIP_2) | instid1(VALU_DEP_1)
	v_rcp_f64_e32 v[29:30], v[27:28]
	s_waitcnt_depctr 0xfff
	v_fma_f64 v[31:32], -v[27:28], v[29:30], 1.0
	v_fma_f64 v[29:30], v[29:30], v[31:32], v[29:30]
	s_delay_alu instid0(VALU_DEP_1) | instskip(NEXT) | instid1(VALU_DEP_1)
	v_fma_f64 v[31:32], -v[27:28], v[29:30], 1.0
	v_fma_f64 v[29:30], v[29:30], v[31:32], v[29:30]
	v_div_scale_f64 v[31:32], vcc_lo, v[3:4], v[25:26], v[3:4]
	s_delay_alu instid0(VALU_DEP_1) | instskip(NEXT) | instid1(VALU_DEP_1)
	v_mul_f64 v[33:34], v[31:32], v[29:30]
	v_fma_f64 v[27:28], -v[27:28], v[33:34], v[31:32]
	s_delay_alu instid0(VALU_DEP_1) | instskip(NEXT) | instid1(VALU_DEP_1)
	v_div_fmas_f64 v[27:28], v[27:28], v[29:30], v[33:34]
	v_div_fixup_f64 v[3:4], v[27:28], v[25:26], v[3:4]
.LBB162_58:                             ;   in Loop: Header=BB162_4 Depth=1
	s_and_not1_saveexec_b32 s51, s44
	s_cbranch_execz .LBB162_68
; %bb.59:                               ;   in Loop: Header=BB162_4 Depth=1
	s_delay_alu instid0(VALU_DEP_1) | instskip(NEXT) | instid1(VALU_DEP_1)
	v_cmp_ngt_f64_e64 s44, 0x41d00000, |v[3:4]|
                                        ; implicit-def: $vgpr31
                                        ; implicit-def: $vgpr23_vgpr24
                                        ; implicit-def: $vgpr25_vgpr26
	s_and_saveexec_b32 s6, s44
	s_delay_alu instid0(SALU_CYCLE_1)
	s_xor_b32 s20, exec_lo, s6
	s_cbranch_execz .LBB162_61
; %bb.60:                               ;   in Loop: Header=BB162_4 Depth=1
	v_ldexp_f64 v[23:24], |v[3:4]|, 0xffffff80
	v_cmp_le_f64_e64 vcc_lo, 0x7b000000, |v[3:4]|
	v_trig_preop_f64 v[25:26], |v[3:4]|, 0
	v_and_b32_e32 v18, 0x7fffffff, v4
	v_trig_preop_f64 v[29:30], |v[3:4]|, 1
	v_trig_preop_f64 v[33:34], |v[3:4]|, 2
	s_mov_b32 s6, s18
	s_mov_b32 s23, s21
	v_dual_cndmask_b32 v23, v3, v23 :: v_dual_cndmask_b32 v24, v18, v24
	s_delay_alu instid0(VALU_DEP_1) | instskip(NEXT) | instid1(VALU_DEP_4)
	v_mul_f64 v[27:28], v[25:26], v[23:24]
	v_mul_f64 v[31:32], v[29:30], v[23:24]
	s_delay_alu instid0(VALU_DEP_4) | instskip(NEXT) | instid1(VALU_DEP_3)
	v_mul_f64 v[35:36], v[33:34], v[23:24]
	v_fma_f64 v[25:26], v[25:26], v[23:24], -v[27:28]
	s_delay_alu instid0(VALU_DEP_3) | instskip(NEXT) | instid1(VALU_DEP_3)
	v_fma_f64 v[29:30], v[29:30], v[23:24], -v[31:32]
	v_fma_f64 v[23:24], v[33:34], v[23:24], -v[35:36]
	s_delay_alu instid0(VALU_DEP_3) | instskip(NEXT) | instid1(VALU_DEP_1)
	v_add_f64 v[33:34], v[31:32], v[25:26]
	v_add_f64 v[37:38], v[33:34], -v[31:32]
	s_delay_alu instid0(VALU_DEP_1) | instskip(SKIP_1) | instid1(VALU_DEP_1)
	v_add_f64 v[25:26], v[25:26], -v[37:38]
	v_add_f64 v[37:38], v[33:34], -v[37:38]
	;; [unrolled: 1-line block ×3, first 2 shown]
	v_add_f64 v[37:38], v[27:28], v[33:34]
	s_delay_alu instid0(VALU_DEP_2) | instskip(NEXT) | instid1(VALU_DEP_2)
	v_add_f64 v[25:26], v[25:26], v[31:32]
	v_add_f64 v[27:28], v[37:38], -v[27:28]
	v_add_f64 v[31:32], v[35:36], v[29:30]
	v_ldexp_f64 v[37:38], v[37:38], -2
	s_delay_alu instid0(VALU_DEP_3) | instskip(NEXT) | instid1(VALU_DEP_3)
	v_add_f64 v[27:28], v[33:34], -v[27:28]
	v_add_f64 v[33:34], v[31:32], -v[35:36]
	s_delay_alu instid0(VALU_DEP_3) | instskip(SKIP_1) | instid1(VALU_DEP_3)
	v_cmp_neq_f64_e64 vcc_lo, 0x7ff00000, |v[37:38]|
	v_fract_f64_e32 v[37:38], v[37:38]
	v_add_f64 v[29:30], v[29:30], -v[33:34]
	v_add_f64 v[33:34], v[31:32], -v[33:34]
	s_delay_alu instid0(VALU_DEP_3) | instskip(NEXT) | instid1(VALU_DEP_2)
	v_dual_cndmask_b32 v37, 0, v37 :: v_dual_cndmask_b32 v38, 0, v38
	v_add_f64 v[33:34], v[35:36], -v[33:34]
	v_add_f64 v[35:36], v[31:32], v[25:26]
	s_delay_alu instid0(VALU_DEP_2) | instskip(NEXT) | instid1(VALU_DEP_2)
	v_add_f64 v[29:30], v[29:30], v[33:34]
	v_add_f64 v[47:48], v[35:36], -v[31:32]
	v_add_f64 v[33:34], v[27:28], v[35:36]
	s_delay_alu instid0(VALU_DEP_2) | instskip(SKIP_1) | instid1(VALU_DEP_3)
	v_add_f64 v[25:26], v[25:26], -v[47:48]
	v_add_f64 v[47:48], v[35:36], -v[47:48]
	;; [unrolled: 1-line block ×3, first 2 shown]
	s_delay_alu instid0(VALU_DEP_2) | instskip(NEXT) | instid1(VALU_DEP_2)
	v_add_f64 v[31:32], v[31:32], -v[47:48]
	v_add_f64 v[27:28], v[35:36], -v[27:28]
	s_delay_alu instid0(VALU_DEP_2) | instskip(SKIP_1) | instid1(VALU_DEP_2)
	v_add_f64 v[25:26], v[25:26], v[31:32]
	v_ldexp_f64 v[31:32], v[37:38], 2
	v_add_f64 v[25:26], v[29:30], v[25:26]
	s_delay_alu instid0(VALU_DEP_2) | instskip(NEXT) | instid1(VALU_DEP_2)
	v_add_f64 v[37:38], v[33:34], v[31:32]
	v_add_f64 v[23:24], v[23:24], v[25:26]
	s_delay_alu instid0(VALU_DEP_2) | instskip(NEXT) | instid1(VALU_DEP_2)
	v_cmp_gt_f64_e32 vcc_lo, 0, v[37:38]
	v_add_f64 v[23:24], v[27:28], v[23:24]
	v_cndmask_b32_e64 v18, 0, 0x40100000, vcc_lo
	s_delay_alu instid0(VALU_DEP_1) | instskip(NEXT) | instid1(VALU_DEP_1)
	v_add_f64 v[25:26], v[31:32], v[17:18]
	v_add_f64 v[29:30], v[33:34], v[25:26]
	s_delay_alu instid0(VALU_DEP_1) | instskip(NEXT) | instid1(VALU_DEP_1)
	v_cvt_i32_f64_e32 v31, v[29:30]
	v_cvt_f64_i32_e32 v[29:30], v31
	s_delay_alu instid0(VALU_DEP_1) | instskip(NEXT) | instid1(VALU_DEP_1)
	v_add_f64 v[25:26], v[25:26], -v[29:30]
	v_add_f64 v[27:28], v[33:34], v[25:26]
	s_delay_alu instid0(VALU_DEP_1) | instskip(SKIP_1) | instid1(VALU_DEP_2)
	v_add_f64 v[25:26], v[27:28], -v[25:26]
	v_cmp_le_f64_e32 vcc_lo, 0.5, v[27:28]
	v_add_f64 v[25:26], v[33:34], -v[25:26]
	v_cndmask_b32_e64 v18, 0, 0x3ff00000, vcc_lo
	v_add_co_ci_u32_e32 v31, vcc_lo, 0, v31, vcc_lo
	s_delay_alu instid0(VALU_DEP_2) | instskip(NEXT) | instid1(VALU_DEP_4)
	v_add_f64 v[27:28], v[27:28], -v[17:18]
	v_add_f64 v[23:24], v[23:24], v[25:26]
	s_delay_alu instid0(VALU_DEP_1) | instskip(NEXT) | instid1(VALU_DEP_1)
	v_add_f64 v[25:26], v[27:28], v[23:24]
	v_add_f64 v[27:28], v[25:26], -v[27:28]
	s_delay_alu instid0(VALU_DEP_1) | instskip(SKIP_1) | instid1(VALU_DEP_1)
	v_add_f64 v[23:24], v[23:24], -v[27:28]
	v_mul_f64 v[27:28], v[25:26], s[6:7]
	v_fma_f64 v[29:30], v[25:26], s[6:7], -v[27:28]
	s_delay_alu instid0(VALU_DEP_1) | instskip(NEXT) | instid1(VALU_DEP_1)
	v_fma_f64 v[25:26], v[25:26], s[22:23], v[29:30]
	v_fma_f64 v[25:26], v[23:24], s[6:7], v[25:26]
	s_delay_alu instid0(VALU_DEP_1) | instskip(NEXT) | instid1(VALU_DEP_1)
	v_add_f64 v[23:24], v[27:28], v[25:26]
	v_add_f64 v[27:28], v[23:24], -v[27:28]
	s_delay_alu instid0(VALU_DEP_1)
	v_add_f64 v[25:26], v[25:26], -v[27:28]
	s_and_not1_saveexec_b32 s6, s20
	s_cbranch_execz .LBB162_63
	s_branch .LBB162_62
.LBB162_61:                             ;   in Loop: Header=BB162_4 Depth=1
	s_and_not1_saveexec_b32 s6, s20
	s_cbranch_execz .LBB162_63
.LBB162_62:                             ;   in Loop: Header=BB162_4 Depth=1
	v_mul_f64 v[23:24], |v[3:4]|, s[24:25]
	s_mov_b32 s20, s26
	s_delay_alu instid0(VALU_DEP_1) | instskip(NEXT) | instid1(VALU_DEP_1)
	v_rndne_f64_e32 v[27:28], v[23:24]
	v_fma_f64 v[23:24], v[27:28], s[18:19], |v[3:4]|
	v_mul_f64 v[25:26], v[27:28], s[26:27]
	s_delay_alu instid0(VALU_DEP_2) | instskip(NEXT) | instid1(VALU_DEP_2)
	v_fma_f64 v[31:32], v[27:28], s[26:27], v[23:24]
	v_add_f64 v[29:30], v[23:24], v[25:26]
	s_delay_alu instid0(VALU_DEP_1) | instskip(NEXT) | instid1(VALU_DEP_3)
	v_add_f64 v[23:24], v[23:24], -v[29:30]
	v_add_f64 v[29:30], v[29:30], -v[31:32]
	s_delay_alu instid0(VALU_DEP_2) | instskip(SKIP_1) | instid1(VALU_DEP_2)
	v_add_f64 v[23:24], v[23:24], v[25:26]
	v_fma_f64 v[25:26], v[27:28], s[20:21], v[25:26]
	v_add_f64 v[23:24], v[29:30], v[23:24]
	s_delay_alu instid0(VALU_DEP_1) | instskip(NEXT) | instid1(VALU_DEP_1)
	v_add_f64 v[23:24], v[23:24], -v[25:26]
	v_fma_f64 v[25:26], v[27:28], s[28:29], v[23:24]
	s_delay_alu instid0(VALU_DEP_1) | instskip(NEXT) | instid1(VALU_DEP_1)
	v_add_f64 v[23:24], v[31:32], v[25:26]
	v_add_f64 v[29:30], v[23:24], -v[31:32]
	v_cvt_i32_f64_e32 v31, v[27:28]
	s_delay_alu instid0(VALU_DEP_2)
	v_add_f64 v[25:26], v[25:26], -v[29:30]
.LBB162_63:                             ;   in Loop: Header=BB162_4 Depth=1
	s_or_b32 exec_lo, exec_lo, s6
                                        ; implicit-def: $vgpr18
                                        ; implicit-def: $vgpr27_vgpr28
                                        ; implicit-def: $vgpr29_vgpr30
	s_and_saveexec_b32 s6, s44
	s_delay_alu instid0(SALU_CYCLE_1)
	s_xor_b32 s20, exec_lo, s6
	s_cbranch_execz .LBB162_65
; %bb.64:                               ;   in Loop: Header=BB162_4 Depth=1
	v_ldexp_f64 v[27:28], |v[3:4]|, 0xffffff80
	v_cmp_le_f64_e64 vcc_lo, 0x7b000000, |v[3:4]|
	v_trig_preop_f64 v[29:30], |v[3:4]|, 0
	v_and_b32_e32 v18, 0x7fffffff, v4
	v_trig_preop_f64 v[34:35], |v[3:4]|, 1
	v_trig_preop_f64 v[47:48], |v[3:4]|, 2
	s_mov_b32 s6, s18
	s_mov_b32 s23, s21
	v_dual_cndmask_b32 v27, v3, v27 :: v_dual_cndmask_b32 v28, v18, v28
	s_delay_alu instid0(VALU_DEP_1) | instskip(NEXT) | instid1(VALU_DEP_4)
	v_mul_f64 v[32:33], v[29:30], v[27:28]
	v_mul_f64 v[36:37], v[34:35], v[27:28]
	s_delay_alu instid0(VALU_DEP_4) | instskip(NEXT) | instid1(VALU_DEP_3)
	v_mul_f64 v[49:50], v[47:48], v[27:28]
	v_fma_f64 v[29:30], v[29:30], v[27:28], -v[32:33]
	s_delay_alu instid0(VALU_DEP_3) | instskip(NEXT) | instid1(VALU_DEP_3)
	v_fma_f64 v[34:35], v[34:35], v[27:28], -v[36:37]
	v_fma_f64 v[27:28], v[47:48], v[27:28], -v[49:50]
	s_delay_alu instid0(VALU_DEP_3) | instskip(NEXT) | instid1(VALU_DEP_1)
	v_add_f64 v[47:48], v[36:37], v[29:30]
	v_add_f64 v[51:52], v[47:48], -v[36:37]
	s_delay_alu instid0(VALU_DEP_1) | instskip(SKIP_1) | instid1(VALU_DEP_1)
	v_add_f64 v[29:30], v[29:30], -v[51:52]
	v_add_f64 v[51:52], v[47:48], -v[51:52]
	;; [unrolled: 1-line block ×3, first 2 shown]
	v_add_f64 v[51:52], v[32:33], v[47:48]
	s_delay_alu instid0(VALU_DEP_2) | instskip(NEXT) | instid1(VALU_DEP_2)
	v_add_f64 v[29:30], v[29:30], v[36:37]
	v_add_f64 v[32:33], v[51:52], -v[32:33]
	v_add_f64 v[36:37], v[49:50], v[34:35]
	v_ldexp_f64 v[51:52], v[51:52], -2
	s_delay_alu instid0(VALU_DEP_3) | instskip(NEXT) | instid1(VALU_DEP_3)
	v_add_f64 v[32:33], v[47:48], -v[32:33]
	v_add_f64 v[47:48], v[36:37], -v[49:50]
	s_delay_alu instid0(VALU_DEP_3) | instskip(SKIP_1) | instid1(VALU_DEP_3)
	v_cmp_neq_f64_e64 vcc_lo, 0x7ff00000, |v[51:52]|
	v_fract_f64_e32 v[51:52], v[51:52]
	v_add_f64 v[34:35], v[34:35], -v[47:48]
	v_add_f64 v[47:48], v[36:37], -v[47:48]
	s_delay_alu instid0(VALU_DEP_3) | instskip(NEXT) | instid1(VALU_DEP_2)
	v_dual_cndmask_b32 v51, 0, v51 :: v_dual_cndmask_b32 v52, 0, v52
	v_add_f64 v[47:48], v[49:50], -v[47:48]
	v_add_f64 v[49:50], v[36:37], v[29:30]
	s_delay_alu instid0(VALU_DEP_2) | instskip(NEXT) | instid1(VALU_DEP_2)
	v_add_f64 v[34:35], v[34:35], v[47:48]
	v_add_f64 v[53:54], v[49:50], -v[36:37]
	v_add_f64 v[47:48], v[32:33], v[49:50]
	s_delay_alu instid0(VALU_DEP_2) | instskip(SKIP_1) | instid1(VALU_DEP_3)
	v_add_f64 v[29:30], v[29:30], -v[53:54]
	v_add_f64 v[53:54], v[49:50], -v[53:54]
	;; [unrolled: 1-line block ×3, first 2 shown]
	s_delay_alu instid0(VALU_DEP_2) | instskip(NEXT) | instid1(VALU_DEP_2)
	v_add_f64 v[36:37], v[36:37], -v[53:54]
	v_add_f64 v[32:33], v[49:50], -v[32:33]
	s_delay_alu instid0(VALU_DEP_2) | instskip(SKIP_1) | instid1(VALU_DEP_2)
	v_add_f64 v[29:30], v[29:30], v[36:37]
	v_ldexp_f64 v[36:37], v[51:52], 2
	v_add_f64 v[29:30], v[34:35], v[29:30]
	s_delay_alu instid0(VALU_DEP_2) | instskip(NEXT) | instid1(VALU_DEP_2)
	v_add_f64 v[51:52], v[47:48], v[36:37]
	v_add_f64 v[27:28], v[27:28], v[29:30]
	s_delay_alu instid0(VALU_DEP_2) | instskip(NEXT) | instid1(VALU_DEP_2)
	v_cmp_gt_f64_e32 vcc_lo, 0, v[51:52]
	v_add_f64 v[27:28], v[32:33], v[27:28]
	v_cndmask_b32_e64 v18, 0, 0x40100000, vcc_lo
	s_delay_alu instid0(VALU_DEP_1) | instskip(NEXT) | instid1(VALU_DEP_1)
	v_add_f64 v[29:30], v[36:37], v[17:18]
	v_add_f64 v[34:35], v[47:48], v[29:30]
	s_delay_alu instid0(VALU_DEP_1) | instskip(NEXT) | instid1(VALU_DEP_1)
	v_cvt_i32_f64_e32 v36, v[34:35]
	v_cvt_f64_i32_e32 v[34:35], v36
	s_delay_alu instid0(VALU_DEP_1) | instskip(NEXT) | instid1(VALU_DEP_1)
	v_add_f64 v[29:30], v[29:30], -v[34:35]
	v_add_f64 v[32:33], v[47:48], v[29:30]
	s_delay_alu instid0(VALU_DEP_1) | instskip(SKIP_1) | instid1(VALU_DEP_2)
	v_add_f64 v[29:30], v[32:33], -v[29:30]
	v_cmp_le_f64_e32 vcc_lo, 0.5, v[32:33]
	v_add_f64 v[29:30], v[47:48], -v[29:30]
	v_cndmask_b32_e64 v18, 0, 0x3ff00000, vcc_lo
	s_delay_alu instid0(VALU_DEP_1) | instskip(SKIP_1) | instid1(VALU_DEP_4)
	v_add_f64 v[32:33], v[32:33], -v[17:18]
	v_add_co_ci_u32_e32 v18, vcc_lo, 0, v36, vcc_lo
	v_add_f64 v[27:28], v[27:28], v[29:30]
	s_delay_alu instid0(VALU_DEP_1) | instskip(NEXT) | instid1(VALU_DEP_1)
	v_add_f64 v[29:30], v[32:33], v[27:28]
	v_add_f64 v[32:33], v[29:30], -v[32:33]
	s_delay_alu instid0(VALU_DEP_1) | instskip(SKIP_1) | instid1(VALU_DEP_1)
	v_add_f64 v[27:28], v[27:28], -v[32:33]
	v_mul_f64 v[32:33], v[29:30], s[6:7]
	v_fma_f64 v[34:35], v[29:30], s[6:7], -v[32:33]
	s_delay_alu instid0(VALU_DEP_1) | instskip(NEXT) | instid1(VALU_DEP_1)
	v_fma_f64 v[29:30], v[29:30], s[22:23], v[34:35]
	v_fma_f64 v[29:30], v[27:28], s[6:7], v[29:30]
	s_delay_alu instid0(VALU_DEP_1) | instskip(NEXT) | instid1(VALU_DEP_1)
	v_add_f64 v[27:28], v[32:33], v[29:30]
	v_add_f64 v[32:33], v[27:28], -v[32:33]
	s_delay_alu instid0(VALU_DEP_1)
	v_add_f64 v[29:30], v[29:30], -v[32:33]
	s_and_not1_saveexec_b32 s6, s20
	s_cbranch_execnz .LBB162_66
	s_branch .LBB162_67
.LBB162_65:                             ;   in Loop: Header=BB162_4 Depth=1
	s_and_not1_saveexec_b32 s6, s20
	s_cbranch_execz .LBB162_67
.LBB162_66:                             ;   in Loop: Header=BB162_4 Depth=1
	v_mul_f64 v[27:28], |v[3:4]|, s[24:25]
	s_mov_b32 s20, s26
	s_delay_alu instid0(VALU_DEP_1) | instskip(NEXT) | instid1(VALU_DEP_1)
	v_rndne_f64_e32 v[32:33], v[27:28]
	v_fma_f64 v[27:28], v[32:33], s[18:19], |v[3:4]|
	v_mul_f64 v[29:30], v[32:33], s[26:27]
	v_cvt_i32_f64_e32 v18, v[32:33]
	s_delay_alu instid0(VALU_DEP_3) | instskip(NEXT) | instid1(VALU_DEP_3)
	v_fma_f64 v[36:37], v[32:33], s[26:27], v[27:28]
	v_add_f64 v[34:35], v[27:28], v[29:30]
	s_delay_alu instid0(VALU_DEP_1) | instskip(NEXT) | instid1(VALU_DEP_3)
	v_add_f64 v[27:28], v[27:28], -v[34:35]
	v_add_f64 v[34:35], v[34:35], -v[36:37]
	s_delay_alu instid0(VALU_DEP_2) | instskip(SKIP_1) | instid1(VALU_DEP_2)
	v_add_f64 v[27:28], v[27:28], v[29:30]
	v_fma_f64 v[29:30], v[32:33], s[20:21], v[29:30]
	v_add_f64 v[27:28], v[34:35], v[27:28]
	s_delay_alu instid0(VALU_DEP_1) | instskip(NEXT) | instid1(VALU_DEP_1)
	v_add_f64 v[27:28], v[27:28], -v[29:30]
	v_fma_f64 v[29:30], v[32:33], s[28:29], v[27:28]
	s_delay_alu instid0(VALU_DEP_1) | instskip(NEXT) | instid1(VALU_DEP_1)
	v_add_f64 v[27:28], v[36:37], v[29:30]
	v_add_f64 v[34:35], v[27:28], -v[36:37]
	s_delay_alu instid0(VALU_DEP_1)
	v_add_f64 v[29:30], v[29:30], -v[34:35]
.LBB162_67:                             ;   in Loop: Header=BB162_4 Depth=1
	s_or_b32 exec_lo, exec_lo, s6
	v_mul_f64 v[32:33], v[23:24], v[23:24]
	s_delay_alu instid0(VALU_DEP_2) | instskip(NEXT) | instid1(VALU_DEP_3)
	v_mul_f64 v[49:50], v[25:26], 0.5
	v_mul_f64 v[55:56], v[29:30], 0.5
	s_mov_b32 s44, s46
	s_mov_b32 s87, s43
	;; [unrolled: 1-line block ×4, first 2 shown]
	s_delay_alu instid0(VALU_DEP_3) | instskip(SKIP_1) | instid1(VALU_DEP_2)
	v_mul_f64 v[34:35], v[32:33], 0.5
	v_mul_f64 v[51:52], v[23:24], -v[32:33]
	v_add_f64 v[36:37], -v[34:35], 1.0
	s_delay_alu instid0(VALU_DEP_1) | instskip(NEXT) | instid1(VALU_DEP_1)
	v_add_f64 v[47:48], -v[36:37], 1.0
	v_add_f64 v[34:35], v[47:48], -v[34:35]
	v_fma_f64 v[47:48], v[32:33], s[34:35], s[30:31]
	s_delay_alu instid0(VALU_DEP_2) | instskip(NEXT) | instid1(VALU_DEP_2)
	v_fma_f64 v[34:35], v[23:24], -v[25:26], v[34:35]
	v_fma_f64 v[47:48], v[32:33], v[47:48], s[36:37]
	s_delay_alu instid0(VALU_DEP_1) | instskip(NEXT) | instid1(VALU_DEP_1)
	v_fma_f64 v[47:48], v[32:33], v[47:48], s[38:39]
	v_fma_f64 v[47:48], v[32:33], v[47:48], s[42:43]
	s_delay_alu instid0(VALU_DEP_1) | instskip(NEXT) | instid1(VALU_DEP_1)
	v_fma_f64 v[47:48], v[51:52], v[47:48], v[49:50]
	v_fma_f64 v[25:26], v[32:33], v[47:48], -v[25:26]
	v_fma_f64 v[47:48], v[32:33], s[98:99], s[96:97]
	s_delay_alu instid0(VALU_DEP_2) | instskip(NEXT) | instid1(VALU_DEP_2)
	v_fma_f64 v[25:26], v[51:52], s[44:45], v[25:26]
	v_fma_f64 v[47:48], v[32:33], v[47:48], s[100:101]
	s_delay_alu instid0(VALU_DEP_2) | instskip(NEXT) | instid1(VALU_DEP_2)
	v_add_f64 v[23:24], v[23:24], -v[25:26]
	v_fma_f64 v[47:48], v[32:33], v[47:48], s[102:103]
	s_delay_alu instid0(VALU_DEP_1) | instskip(NEXT) | instid1(VALU_DEP_1)
	v_fma_f64 v[47:48], v[32:33], v[47:48], s[10:11]
	v_fma_f64 v[47:48], v[32:33], v[47:48], s[46:47]
	v_mul_f64 v[32:33], v[32:33], v[32:33]
	s_delay_alu instid0(VALU_DEP_1) | instskip(SKIP_1) | instid1(VALU_DEP_2)
	v_fma_f64 v[32:33], v[32:33], v[47:48], v[34:35]
	v_mul_f64 v[34:35], v[27:28], v[27:28]
	v_add_f64 v[32:33], v[36:37], v[32:33]
	s_delay_alu instid0(VALU_DEP_2) | instskip(SKIP_2) | instid1(VALU_DEP_1)
	v_mul_f64 v[47:48], v[34:35], 0.5
	v_mul_f64 v[57:58], v[27:28], -v[34:35]
	v_and_b32_e32 v3, 1, v31
	v_cmp_eq_u32_e32 vcc_lo, 0, v3
	v_cndmask_b32_e32 v24, v33, v24, vcc_lo
	v_add_f64 v[49:50], -v[47:48], 1.0
	v_cndmask_b32_e32 v3, v32, v23, vcc_lo
	s_delay_alu instid0(VALU_DEP_2) | instskip(NEXT) | instid1(VALU_DEP_1)
	v_add_f64 v[53:54], -v[49:50], 1.0
	v_add_f64 v[47:48], v[53:54], -v[47:48]
	v_fma_f64 v[53:54], v[34:35], s[34:35], s[30:31]
	s_delay_alu instid0(VALU_DEP_2) | instskip(NEXT) | instid1(VALU_DEP_2)
	v_fma_f64 v[47:48], v[27:28], -v[29:30], v[47:48]
	v_fma_f64 v[53:54], v[34:35], v[53:54], s[36:37]
	s_delay_alu instid0(VALU_DEP_1) | instskip(NEXT) | instid1(VALU_DEP_1)
	v_fma_f64 v[53:54], v[34:35], v[53:54], s[38:39]
	v_fma_f64 v[53:54], v[34:35], v[53:54], s[42:43]
	s_delay_alu instid0(VALU_DEP_1) | instskip(NEXT) | instid1(VALU_DEP_1)
	v_fma_f64 v[53:54], v[57:58], v[53:54], v[55:56]
	v_fma_f64 v[29:30], v[34:35], v[53:54], -v[29:30]
	v_fma_f64 v[53:54], v[34:35], s[98:99], s[96:97]
	s_delay_alu instid0(VALU_DEP_2) | instskip(NEXT) | instid1(VALU_DEP_2)
	v_fma_f64 v[29:30], v[57:58], s[44:45], v[29:30]
	v_fma_f64 v[53:54], v[34:35], v[53:54], s[100:101]
	s_delay_alu instid0(VALU_DEP_2) | instskip(NEXT) | instid1(VALU_DEP_2)
	v_add_f64 v[25:26], v[27:28], -v[29:30]
	v_fma_f64 v[53:54], v[34:35], v[53:54], s[102:103]
	s_delay_alu instid0(VALU_DEP_1) | instskip(NEXT) | instid1(VALU_DEP_1)
	v_fma_f64 v[53:54], v[34:35], v[53:54], s[10:11]
	v_fma_f64 v[53:54], v[34:35], v[53:54], s[46:47]
	v_mul_f64 v[34:35], v[34:35], v[34:35]
	s_delay_alu instid0(VALU_DEP_1) | instskip(NEXT) | instid1(VALU_DEP_1)
	v_fma_f64 v[34:35], v[34:35], v[53:54], v[47:48]
	v_add_f64 v[27:28], v[49:50], v[34:35]
	v_lshlrev_b32_e32 v23, 30, v31
	s_delay_alu instid0(VALU_DEP_1) | instskip(SKIP_2) | instid1(VALU_DEP_3)
	v_xor_b32_e32 v4, v23, v4
	v_and_b32_e32 v23, 1, v18
	v_lshlrev_b32_e32 v18, 30, v18
	v_and_b32_e32 v4, 0x80000000, v4
	s_delay_alu instid0(VALU_DEP_3) | instskip(NEXT) | instid1(VALU_DEP_2)
	v_cmp_eq_u32_e32 vcc_lo, 0, v23
	v_xor_b32_e32 v4, v24, v4
	v_xor_b32_e32 v24, 0x80000000, v26
	s_delay_alu instid0(VALU_DEP_2) | instskip(SKIP_2) | instid1(VALU_DEP_4)
	v_mul_f64 v[3:4], v[3:4], 4.0
	v_cndmask_b32_e32 v23, v25, v27, vcc_lo
	v_mul_f64 v[25:26], |v[1:2]|, s[68:69]
	v_cndmask_b32_e32 v24, v24, v28, vcc_lo
	v_cmp_nlt_f64_e64 vcc_lo, 0x4090cc00, |v[1:2]|
	v_and_b32_e32 v18, 0x80000000, v18
	s_delay_alu instid0(VALU_DEP_1) | instskip(NEXT) | instid1(VALU_DEP_1)
	v_xor_b32_e32 v24, v24, v18
	v_mul_f64 v[3:4], v[3:4], v[23:24]
	v_rndne_f64_e32 v[25:26], v[25:26]
	s_delay_alu instid0(VALU_DEP_1) | instskip(SKIP_1) | instid1(VALU_DEP_2)
	v_fma_f64 v[27:28], v[25:26], s[40:41], -|v[1:2]|
	v_cvt_i32_f64_e32 v18, v[25:26]
	v_fma_f64 v[27:28], v[25:26], s[64:65], v[27:28]
	s_delay_alu instid0(VALU_DEP_1) | instskip(NEXT) | instid1(VALU_DEP_1)
	v_fma_f64 v[29:30], v[27:28], s[76:77], s[74:75]
	v_fma_f64 v[29:30], v[27:28], v[29:30], s[78:79]
	s_delay_alu instid0(VALU_DEP_1) | instskip(NEXT) | instid1(VALU_DEP_1)
	v_fma_f64 v[29:30], v[27:28], v[29:30], s[80:81]
	;; [unrolled: 3-line block ×5, first 2 shown]
	v_fma_f64 v[29:30], v[27:28], v[29:30], 1.0
	s_delay_alu instid0(VALU_DEP_1) | instskip(NEXT) | instid1(VALU_DEP_1)
	v_fma_f64 v[27:28], v[27:28], v[29:30], 1.0
	v_ldexp_f64 v[25:26], v[27:28], v18
	v_bfi_b32 v18, 0x7fffffff, s6, v2
	s_delay_alu instid0(VALU_DEP_1) | instskip(NEXT) | instid1(VALU_DEP_3)
	v_dual_mov_b32 v1, v17 :: v_dual_mov_b32 v2, v18
	v_dual_cndmask_b32 v23, 0, v25 :: v_dual_cndmask_b32 v24, 0, v26
	s_delay_alu instid0(VALU_DEP_1) | instskip(NEXT) | instid1(VALU_DEP_1)
	v_mul_f64 v[3:4], v[23:24], v[3:4]
	v_mul_f64 v[3:4], v[23:24], v[3:4]
.LBB162_68:                             ;   in Loop: Header=BB162_4 Depth=1
	s_or_b32 exec_lo, exec_lo, s51
.LBB162_69:                             ;   in Loop: Header=BB162_4 Depth=1
	s_and_not1_saveexec_b32 s6, s50
; %bb.70:                               ;   in Loop: Header=BB162_4 Depth=1
	s_delay_alu instid0(VALU_DEP_1) | instskip(NEXT) | instid1(VALU_DEP_1)
	v_add_f64 v[3:4], v[3:4], -v[3:4]
	v_dual_mov_b32 v1, v3 :: v_dual_mov_b32 v2, v4
; %bb.71:                               ;   in Loop: Header=BB162_4 Depth=1
	s_or_b32 exec_lo, exec_lo, s6
.LBB162_72:                             ;   in Loop: Header=BB162_4 Depth=1
	s_and_not1_saveexec_b32 s49, s49
	s_cbranch_execz .LBB162_88
; %bb.73:                               ;   in Loop: Header=BB162_4 Depth=1
	s_delay_alu instid0(VALU_DEP_1) | instskip(SKIP_1) | instid1(VALU_DEP_1)
	v_and_or_b32 v18, 0xfffff, v2, v1
	s_mov_b32 s6, exec_lo
	v_cmpx_ne_u32_e32 0, v18
	s_xor_b32 s6, exec_lo, s6
; %bb.74:                               ;   in Loop: Header=BB162_4 Depth=1
	v_mul_f64 v[23:24], v[3:4], v[1:2]
	v_cmp_eq_f64_e32 vcc_lo, 0, v[3:4]
	s_delay_alu instid0(VALU_DEP_2)
	v_dual_cndmask_b32 v4, v24, v4 :: v_dual_cndmask_b32 v3, v23, v3
; %bb.75:                               ;   in Loop: Header=BB162_4 Depth=1
	s_and_not1_saveexec_b32 s50, s6
	s_cbranch_execz .LBB162_87
; %bb.76:                               ;   in Loop: Header=BB162_4 Depth=1
	s_mov_b32 s51, exec_lo
	s_delay_alu instid0(VALU_DEP_1)
	v_cmpx_neq_f64_e64 0x7ff00000, |v[3:4]|
	s_cbranch_execz .LBB162_86
; %bb.77:                               ;   in Loop: Header=BB162_4 Depth=1
	v_cmp_ngt_f64_e64 s44, 0x41d00000, |v[3:4]|
	v_trig_preop_f64 v[31:32], |v[3:4]|, 0
	v_trig_preop_f64 v[29:30], |v[3:4]|, 1
	v_ldexp_f64 v[33:34], |v[3:4]|, 0xffffff80
	v_trig_preop_f64 v[27:28], |v[3:4]|, 2
	v_and_b32_e32 v48, 0x7fffffff, v4
                                        ; implicit-def: $vgpr47
                                        ; implicit-def: $vgpr23_vgpr24
                                        ; implicit-def: $vgpr25_vgpr26
	s_and_saveexec_b32 s6, s44
	s_delay_alu instid0(SALU_CYCLE_1)
	s_xor_b32 s20, exec_lo, s6
	s_cbranch_execz .LBB162_79
; %bb.78:                               ;   in Loop: Header=BB162_4 Depth=1
	v_cmp_le_f64_e64 vcc_lo, 0x7b000000, |v[3:4]|
	s_mov_b32 s6, s18
	s_mov_b32 s23, s21
	s_delay_alu instid0(VALU_DEP_4) | instskip(NEXT) | instid1(VALU_DEP_1)
	v_dual_cndmask_b32 v24, v48, v34 :: v_dual_cndmask_b32 v23, v3, v33
	v_mul_f64 v[25:26], v[31:32], v[23:24]
	v_mul_f64 v[35:36], v[29:30], v[23:24]
	s_delay_alu instid0(VALU_DEP_2) | instskip(NEXT) | instid1(VALU_DEP_1)
	v_fma_f64 v[37:38], v[31:32], v[23:24], -v[25:26]
	v_add_f64 v[49:50], v[35:36], v[37:38]
	s_delay_alu instid0(VALU_DEP_1) | instskip(SKIP_1) | instid1(VALU_DEP_2)
	v_add_f64 v[51:52], v[49:50], -v[35:36]
	v_add_f64 v[53:54], v[25:26], v[49:50]
	v_add_f64 v[37:38], v[37:38], -v[51:52]
	s_delay_alu instid0(VALU_DEP_2) | instskip(SKIP_1) | instid1(VALU_DEP_2)
	v_add_f64 v[25:26], v[53:54], -v[25:26]
	v_add_f64 v[51:52], v[49:50], -v[51:52]
	;; [unrolled: 1-line block ×3, first 2 shown]
	s_delay_alu instid0(VALU_DEP_2) | instskip(SKIP_2) | instid1(VALU_DEP_3)
	v_add_f64 v[49:50], v[35:36], -v[51:52]
	v_fma_f64 v[35:36], v[29:30], v[23:24], -v[35:36]
	v_mul_f64 v[51:52], v[27:28], v[23:24]
	v_add_f64 v[37:38], v[37:38], v[49:50]
	v_ldexp_f64 v[49:50], v[53:54], -2
	s_delay_alu instid0(VALU_DEP_3) | instskip(SKIP_1) | instid1(VALU_DEP_3)
	v_add_f64 v[53:54], v[51:52], v[35:36]
	v_fma_f64 v[23:24], v[27:28], v[23:24], -v[51:52]
	v_cmp_neq_f64_e64 vcc_lo, 0x7ff00000, |v[49:50]|
	s_delay_alu instid0(VALU_DEP_3) | instskip(SKIP_2) | instid1(VALU_DEP_3)
	v_add_f64 v[57:58], v[53:54], v[37:38]
	v_add_f64 v[55:56], v[53:54], -v[51:52]
	v_fract_f64_e32 v[49:50], v[49:50]
	v_add_f64 v[59:60], v[57:58], -v[53:54]
	s_delay_alu instid0(VALU_DEP_3) | instskip(SKIP_1) | instid1(VALU_DEP_4)
	v_add_f64 v[35:36], v[35:36], -v[55:56]
	v_add_f64 v[55:56], v[53:54], -v[55:56]
	v_dual_cndmask_b32 v50, 0, v50 :: v_dual_cndmask_b32 v49, 0, v49
	s_delay_alu instid0(VALU_DEP_1) | instskip(SKIP_4) | instid1(VALU_DEP_3)
	v_ldexp_f64 v[49:50], v[49:50], 2
	v_add_f64 v[37:38], v[37:38], -v[59:60]
	v_add_f64 v[59:60], v[57:58], -v[59:60]
	;; [unrolled: 1-line block ×3, first 2 shown]
	v_add_f64 v[51:52], v[25:26], v[57:58]
	v_add_f64 v[53:54], v[53:54], -v[59:60]
	s_delay_alu instid0(VALU_DEP_3) | instskip(NEXT) | instid1(VALU_DEP_3)
	v_add_f64 v[35:36], v[35:36], v[55:56]
	v_add_f64 v[25:26], v[51:52], -v[25:26]
	s_delay_alu instid0(VALU_DEP_3) | instskip(SKIP_1) | instid1(VALU_DEP_3)
	v_add_f64 v[37:38], v[37:38], v[53:54]
	v_add_f64 v[53:54], v[51:52], v[49:50]
	v_add_f64 v[25:26], v[57:58], -v[25:26]
	s_delay_alu instid0(VALU_DEP_3) | instskip(NEXT) | instid1(VALU_DEP_3)
	v_add_f64 v[35:36], v[35:36], v[37:38]
	v_cmp_gt_f64_e32 vcc_lo, 0, v[53:54]
	s_delay_alu instid0(VALU_DEP_2) | instskip(SKIP_1) | instid1(VALU_DEP_1)
	v_add_f64 v[23:24], v[23:24], v[35:36]
	v_cndmask_b32_e64 v18, 0, 0x40100000, vcc_lo
	v_add_f64 v[35:36], v[49:50], v[17:18]
	s_delay_alu instid0(VALU_DEP_3) | instskip(NEXT) | instid1(VALU_DEP_2)
	v_add_f64 v[23:24], v[25:26], v[23:24]
	v_add_f64 v[37:38], v[51:52], v[35:36]
	s_delay_alu instid0(VALU_DEP_1) | instskip(NEXT) | instid1(VALU_DEP_1)
	v_cvt_i32_f64_e32 v47, v[37:38]
	v_cvt_f64_i32_e32 v[37:38], v47
	s_delay_alu instid0(VALU_DEP_1) | instskip(NEXT) | instid1(VALU_DEP_1)
	v_add_f64 v[35:36], v[35:36], -v[37:38]
	v_add_f64 v[25:26], v[51:52], v[35:36]
	s_delay_alu instid0(VALU_DEP_1) | instskip(SKIP_1) | instid1(VALU_DEP_2)
	v_add_f64 v[35:36], v[25:26], -v[35:36]
	v_cmp_le_f64_e32 vcc_lo, 0.5, v[25:26]
	v_add_f64 v[35:36], v[51:52], -v[35:36]
	v_cndmask_b32_e64 v18, 0, 0x3ff00000, vcc_lo
	v_add_co_ci_u32_e32 v47, vcc_lo, 0, v47, vcc_lo
	s_delay_alu instid0(VALU_DEP_2) | instskip(NEXT) | instid1(VALU_DEP_4)
	v_add_f64 v[25:26], v[25:26], -v[17:18]
	v_add_f64 v[23:24], v[23:24], v[35:36]
	s_delay_alu instid0(VALU_DEP_1) | instskip(NEXT) | instid1(VALU_DEP_1)
	v_add_f64 v[35:36], v[25:26], v[23:24]
	v_add_f64 v[25:26], v[35:36], -v[25:26]
	s_delay_alu instid0(VALU_DEP_1) | instskip(SKIP_1) | instid1(VALU_DEP_1)
	v_add_f64 v[23:24], v[23:24], -v[25:26]
	v_mul_f64 v[25:26], v[35:36], s[6:7]
	v_fma_f64 v[37:38], v[35:36], s[6:7], -v[25:26]
	s_delay_alu instid0(VALU_DEP_1) | instskip(NEXT) | instid1(VALU_DEP_1)
	v_fma_f64 v[35:36], v[35:36], s[22:23], v[37:38]
	v_fma_f64 v[35:36], v[23:24], s[6:7], v[35:36]
	s_delay_alu instid0(VALU_DEP_1) | instskip(NEXT) | instid1(VALU_DEP_1)
	v_add_f64 v[23:24], v[25:26], v[35:36]
	v_add_f64 v[25:26], v[23:24], -v[25:26]
	s_delay_alu instid0(VALU_DEP_1)
	v_add_f64 v[25:26], v[35:36], -v[25:26]
	s_and_not1_saveexec_b32 s6, s20
	s_cbranch_execz .LBB162_81
	s_branch .LBB162_80
.LBB162_79:                             ;   in Loop: Header=BB162_4 Depth=1
	s_and_not1_saveexec_b32 s6, s20
	s_cbranch_execz .LBB162_81
.LBB162_80:                             ;   in Loop: Header=BB162_4 Depth=1
	v_mul_f64 v[23:24], |v[3:4]|, s[24:25]
	s_mov_b32 s20, s26
	s_delay_alu instid0(VALU_DEP_1) | instskip(NEXT) | instid1(VALU_DEP_1)
	v_rndne_f64_e32 v[35:36], v[23:24]
	v_fma_f64 v[23:24], v[35:36], s[18:19], |v[3:4]|
	v_mul_f64 v[25:26], v[35:36], s[26:27]
	v_cvt_i32_f64_e32 v47, v[35:36]
	s_delay_alu instid0(VALU_DEP_3) | instskip(NEXT) | instid1(VALU_DEP_3)
	v_fma_f64 v[49:50], v[35:36], s[26:27], v[23:24]
	v_add_f64 v[37:38], v[23:24], v[25:26]
	s_delay_alu instid0(VALU_DEP_1) | instskip(NEXT) | instid1(VALU_DEP_3)
	v_add_f64 v[23:24], v[23:24], -v[37:38]
	v_add_f64 v[37:38], v[37:38], -v[49:50]
	s_delay_alu instid0(VALU_DEP_2) | instskip(SKIP_1) | instid1(VALU_DEP_2)
	v_add_f64 v[23:24], v[23:24], v[25:26]
	v_fma_f64 v[25:26], v[35:36], s[20:21], v[25:26]
	v_add_f64 v[23:24], v[37:38], v[23:24]
	s_delay_alu instid0(VALU_DEP_1) | instskip(NEXT) | instid1(VALU_DEP_1)
	v_add_f64 v[23:24], v[23:24], -v[25:26]
	v_fma_f64 v[25:26], v[35:36], s[28:29], v[23:24]
	s_delay_alu instid0(VALU_DEP_1) | instskip(NEXT) | instid1(VALU_DEP_1)
	v_add_f64 v[23:24], v[49:50], v[25:26]
	v_add_f64 v[37:38], v[23:24], -v[49:50]
	s_delay_alu instid0(VALU_DEP_1)
	v_add_f64 v[25:26], v[25:26], -v[37:38]
.LBB162_81:                             ;   in Loop: Header=BB162_4 Depth=1
	s_or_b32 exec_lo, exec_lo, s6
                                        ; implicit-def: $vgpr18
                                        ; implicit-def: $vgpr35_vgpr36
                                        ; implicit-def: $vgpr37_vgpr38
	s_and_saveexec_b32 s6, s44
	s_delay_alu instid0(SALU_CYCLE_1)
	s_xor_b32 s20, exec_lo, s6
	s_cbranch_execz .LBB162_83
; %bb.82:                               ;   in Loop: Header=BB162_4 Depth=1
	v_cmp_le_f64_e64 vcc_lo, 0x7b000000, |v[3:4]|
	s_mov_b32 s6, s18
	s_mov_b32 s23, s21
	s_delay_alu instid0(VALU_DEP_4) | instskip(NEXT) | instid1(VALU_DEP_1)
	v_dual_cndmask_b32 v34, v48, v34 :: v_dual_cndmask_b32 v33, v3, v33
	v_mul_f64 v[35:36], v[31:32], v[33:34]
	v_mul_f64 v[37:38], v[29:30], v[33:34]
	;; [unrolled: 1-line block ×3, first 2 shown]
	s_delay_alu instid0(VALU_DEP_3) | instskip(NEXT) | instid1(VALU_DEP_3)
	v_fma_f64 v[31:32], v[31:32], v[33:34], -v[35:36]
	v_fma_f64 v[29:30], v[29:30], v[33:34], -v[37:38]
	s_delay_alu instid0(VALU_DEP_3) | instskip(NEXT) | instid1(VALU_DEP_3)
	v_fma_f64 v[27:28], v[27:28], v[33:34], -v[48:49]
	v_add_f64 v[33:34], v[37:38], v[31:32]
	s_delay_alu instid0(VALU_DEP_1) | instskip(NEXT) | instid1(VALU_DEP_1)
	v_add_f64 v[50:51], v[33:34], -v[37:38]
	v_add_f64 v[31:32], v[31:32], -v[50:51]
	;; [unrolled: 1-line block ×3, first 2 shown]
	s_delay_alu instid0(VALU_DEP_1) | instskip(SKIP_1) | instid1(VALU_DEP_2)
	v_add_f64 v[37:38], v[37:38], -v[50:51]
	v_add_f64 v[50:51], v[35:36], v[33:34]
	v_add_f64 v[31:32], v[31:32], v[37:38]
	s_delay_alu instid0(VALU_DEP_2) | instskip(SKIP_1) | instid1(VALU_DEP_2)
	v_add_f64 v[35:36], v[50:51], -v[35:36]
	v_ldexp_f64 v[50:51], v[50:51], -2
	v_add_f64 v[33:34], v[33:34], -v[35:36]
	v_add_f64 v[35:36], v[48:49], v[29:30]
	s_delay_alu instid0(VALU_DEP_3) | instskip(SKIP_1) | instid1(VALU_DEP_3)
	v_cmp_neq_f64_e64 vcc_lo, 0x7ff00000, |v[50:51]|
	v_fract_f64_e32 v[50:51], v[50:51]
	v_add_f64 v[37:38], v[35:36], -v[48:49]
	s_delay_alu instid0(VALU_DEP_2) | instskip(NEXT) | instid1(VALU_DEP_2)
	v_dual_cndmask_b32 v51, 0, v51 :: v_dual_cndmask_b32 v50, 0, v50
	v_add_f64 v[29:30], v[29:30], -v[37:38]
	v_add_f64 v[37:38], v[35:36], -v[37:38]
	s_delay_alu instid0(VALU_DEP_1) | instskip(SKIP_1) | instid1(VALU_DEP_2)
	v_add_f64 v[37:38], v[48:49], -v[37:38]
	v_add_f64 v[48:49], v[35:36], v[31:32]
	v_add_f64 v[29:30], v[29:30], v[37:38]
	s_delay_alu instid0(VALU_DEP_2) | instskip(SKIP_1) | instid1(VALU_DEP_2)
	v_add_f64 v[52:53], v[48:49], -v[35:36]
	v_add_f64 v[37:38], v[33:34], v[48:49]
	v_add_f64 v[31:32], v[31:32], -v[52:53]
	v_add_f64 v[52:53], v[48:49], -v[52:53]
	s_delay_alu instid0(VALU_DEP_1) | instskip(NEXT) | instid1(VALU_DEP_1)
	v_add_f64 v[35:36], v[35:36], -v[52:53]
	v_add_f64 v[31:32], v[31:32], v[35:36]
	v_ldexp_f64 v[35:36], v[50:51], 2
	s_delay_alu instid0(VALU_DEP_2) | instskip(NEXT) | instid1(VALU_DEP_2)
	v_add_f64 v[29:30], v[29:30], v[31:32]
	v_add_f64 v[50:51], v[37:38], v[35:36]
	v_add_f64 v[31:32], v[37:38], -v[33:34]
	s_delay_alu instid0(VALU_DEP_3) | instskip(NEXT) | instid1(VALU_DEP_3)
	v_add_f64 v[27:28], v[27:28], v[29:30]
	v_cmp_gt_f64_e32 vcc_lo, 0, v[50:51]
	s_delay_alu instid0(VALU_DEP_3) | instskip(SKIP_1) | instid1(VALU_DEP_2)
	v_add_f64 v[31:32], v[48:49], -v[31:32]
	v_cndmask_b32_e64 v18, 0, 0x40100000, vcc_lo
	v_add_f64 v[27:28], v[31:32], v[27:28]
	s_delay_alu instid0(VALU_DEP_2) | instskip(NEXT) | instid1(VALU_DEP_1)
	v_add_f64 v[29:30], v[35:36], v[17:18]
	v_add_f64 v[33:34], v[37:38], v[29:30]
	s_delay_alu instid0(VALU_DEP_1) | instskip(NEXT) | instid1(VALU_DEP_1)
	v_cvt_i32_f64_e32 v48, v[33:34]
	v_cvt_f64_i32_e32 v[33:34], v48
	s_delay_alu instid0(VALU_DEP_1) | instskip(NEXT) | instid1(VALU_DEP_1)
	v_add_f64 v[29:30], v[29:30], -v[33:34]
	v_add_f64 v[31:32], v[37:38], v[29:30]
	s_delay_alu instid0(VALU_DEP_1) | instskip(SKIP_1) | instid1(VALU_DEP_2)
	v_add_f64 v[29:30], v[31:32], -v[29:30]
	v_cmp_le_f64_e32 vcc_lo, 0.5, v[31:32]
	v_add_f64 v[29:30], v[37:38], -v[29:30]
	v_cndmask_b32_e64 v18, 0, 0x3ff00000, vcc_lo
	s_delay_alu instid0(VALU_DEP_1) | instskip(SKIP_1) | instid1(VALU_DEP_4)
	v_add_f64 v[31:32], v[31:32], -v[17:18]
	v_add_co_ci_u32_e32 v18, vcc_lo, 0, v48, vcc_lo
	v_add_f64 v[27:28], v[27:28], v[29:30]
	s_delay_alu instid0(VALU_DEP_1) | instskip(NEXT) | instid1(VALU_DEP_1)
	v_add_f64 v[29:30], v[31:32], v[27:28]
	v_add_f64 v[31:32], v[29:30], -v[31:32]
	s_delay_alu instid0(VALU_DEP_1) | instskip(SKIP_1) | instid1(VALU_DEP_1)
	v_add_f64 v[27:28], v[27:28], -v[31:32]
	v_mul_f64 v[31:32], v[29:30], s[6:7]
	v_fma_f64 v[33:34], v[29:30], s[6:7], -v[31:32]
	s_delay_alu instid0(VALU_DEP_1) | instskip(NEXT) | instid1(VALU_DEP_1)
	v_fma_f64 v[29:30], v[29:30], s[22:23], v[33:34]
	v_fma_f64 v[27:28], v[27:28], s[6:7], v[29:30]
	s_delay_alu instid0(VALU_DEP_1) | instskip(NEXT) | instid1(VALU_DEP_1)
	v_add_f64 v[35:36], v[31:32], v[27:28]
	v_add_f64 v[29:30], v[35:36], -v[31:32]
	s_delay_alu instid0(VALU_DEP_1)
	v_add_f64 v[37:38], v[27:28], -v[29:30]
	s_and_not1_saveexec_b32 s6, s20
	s_cbranch_execnz .LBB162_84
	s_branch .LBB162_85
.LBB162_83:                             ;   in Loop: Header=BB162_4 Depth=1
	s_and_not1_saveexec_b32 s6, s20
	s_cbranch_execz .LBB162_85
.LBB162_84:                             ;   in Loop: Header=BB162_4 Depth=1
	v_mul_f64 v[27:28], |v[3:4]|, s[24:25]
	s_mov_b32 s20, s26
	s_delay_alu instid0(VALU_DEP_1) | instskip(NEXT) | instid1(VALU_DEP_1)
	v_rndne_f64_e32 v[27:28], v[27:28]
	v_fma_f64 v[29:30], v[27:28], s[18:19], |v[3:4]|
	v_mul_f64 v[31:32], v[27:28], s[26:27]
	v_cvt_i32_f64_e32 v18, v[27:28]
	s_delay_alu instid0(VALU_DEP_3) | instskip(NEXT) | instid1(VALU_DEP_3)
	v_fma_f64 v[37:38], v[27:28], s[26:27], v[29:30]
	v_add_f64 v[33:34], v[29:30], v[31:32]
	s_delay_alu instid0(VALU_DEP_1) | instskip(NEXT) | instid1(VALU_DEP_3)
	v_add_f64 v[29:30], v[29:30], -v[33:34]
	v_add_f64 v[33:34], v[33:34], -v[37:38]
	s_delay_alu instid0(VALU_DEP_2) | instskip(SKIP_1) | instid1(VALU_DEP_2)
	v_add_f64 v[29:30], v[29:30], v[31:32]
	v_fma_f64 v[31:32], v[27:28], s[20:21], v[31:32]
	v_add_f64 v[29:30], v[33:34], v[29:30]
	s_delay_alu instid0(VALU_DEP_1) | instskip(NEXT) | instid1(VALU_DEP_1)
	v_add_f64 v[29:30], v[29:30], -v[31:32]
	v_fma_f64 v[29:30], v[27:28], s[28:29], v[29:30]
	s_delay_alu instid0(VALU_DEP_1) | instskip(NEXT) | instid1(VALU_DEP_1)
	v_add_f64 v[35:36], v[37:38], v[29:30]
	v_add_f64 v[31:32], v[35:36], -v[37:38]
	s_delay_alu instid0(VALU_DEP_1)
	v_add_f64 v[37:38], v[29:30], -v[31:32]
.LBB162_85:                             ;   in Loop: Header=BB162_4 Depth=1
	s_or_b32 exec_lo, exec_lo, s6
	v_mul_f64 v[27:28], v[23:24], v[23:24]
	s_delay_alu instid0(VALU_DEP_2) | instskip(NEXT) | instid1(VALU_DEP_3)
	v_mul_f64 v[48:49], v[25:26], 0.5
	v_mul_f64 v[54:55], v[37:38], 0.5
	s_mov_b32 s44, s46
	s_delay_alu instid0(VALU_DEP_3) | instskip(SKIP_1) | instid1(VALU_DEP_2)
	v_mul_f64 v[29:30], v[27:28], 0.5
	v_mul_f64 v[50:51], v[23:24], -v[27:28]
	v_add_f64 v[31:32], -v[29:30], 1.0
	s_delay_alu instid0(VALU_DEP_1) | instskip(NEXT) | instid1(VALU_DEP_1)
	v_add_f64 v[33:34], -v[31:32], 1.0
	v_add_f64 v[29:30], v[33:34], -v[29:30]
	v_fma_f64 v[33:34], v[27:28], s[34:35], s[30:31]
	s_delay_alu instid0(VALU_DEP_2) | instskip(NEXT) | instid1(VALU_DEP_2)
	v_fma_f64 v[29:30], v[23:24], -v[25:26], v[29:30]
	v_fma_f64 v[33:34], v[27:28], v[33:34], s[36:37]
	s_delay_alu instid0(VALU_DEP_1) | instskip(NEXT) | instid1(VALU_DEP_1)
	v_fma_f64 v[33:34], v[27:28], v[33:34], s[38:39]
	v_fma_f64 v[33:34], v[27:28], v[33:34], s[42:43]
	s_delay_alu instid0(VALU_DEP_1) | instskip(NEXT) | instid1(VALU_DEP_1)
	v_fma_f64 v[33:34], v[50:51], v[33:34], v[48:49]
	v_fma_f64 v[25:26], v[27:28], v[33:34], -v[25:26]
	v_fma_f64 v[33:34], v[27:28], s[98:99], s[96:97]
	s_delay_alu instid0(VALU_DEP_2) | instskip(NEXT) | instid1(VALU_DEP_2)
	v_fma_f64 v[25:26], v[50:51], s[44:45], v[25:26]
	v_fma_f64 v[33:34], v[27:28], v[33:34], s[100:101]
	s_delay_alu instid0(VALU_DEP_2) | instskip(NEXT) | instid1(VALU_DEP_2)
	v_add_f64 v[23:24], v[23:24], -v[25:26]
	v_fma_f64 v[33:34], v[27:28], v[33:34], s[102:103]
	s_delay_alu instid0(VALU_DEP_1) | instskip(NEXT) | instid1(VALU_DEP_1)
	v_fma_f64 v[33:34], v[27:28], v[33:34], s[10:11]
	v_fma_f64 v[33:34], v[27:28], v[33:34], s[46:47]
	v_mul_f64 v[27:28], v[27:28], v[27:28]
	s_delay_alu instid0(VALU_DEP_1) | instskip(SKIP_1) | instid1(VALU_DEP_2)
	v_fma_f64 v[27:28], v[27:28], v[33:34], v[29:30]
	v_mul_f64 v[29:30], v[35:36], v[35:36]
	v_add_f64 v[27:28], v[31:32], v[27:28]
	s_delay_alu instid0(VALU_DEP_2) | instskip(SKIP_2) | instid1(VALU_DEP_1)
	v_mul_f64 v[33:34], v[29:30], 0.5
	v_mul_f64 v[56:57], v[35:36], -v[29:30]
	v_and_b32_e32 v25, 1, v47
	v_cmp_eq_u32_e32 vcc_lo, 0, v25
	v_cndmask_b32_e32 v28, v28, v24, vcc_lo
	v_add_f64 v[48:49], -v[33:34], 1.0
	v_cndmask_b32_e32 v27, v27, v23, vcc_lo
	v_cmp_class_f64_e64 vcc_lo, v[3:4], 0x1f8
	v_lshlrev_b32_e32 v3, 30, v47
	s_delay_alu instid0(VALU_DEP_1) | instskip(NEXT) | instid1(VALU_DEP_1)
	v_xor_b32_e32 v3, v3, v4
	v_and_b32_e32 v3, 0x80000000, v3
	v_add_f64 v[52:53], -v[48:49], 1.0
	s_delay_alu instid0(VALU_DEP_1) | instskip(SKIP_1) | instid1(VALU_DEP_2)
	v_add_f64 v[33:34], v[52:53], -v[33:34]
	v_fma_f64 v[52:53], v[29:30], s[34:35], s[30:31]
	v_fma_f64 v[33:34], v[35:36], -v[37:38], v[33:34]
	s_delay_alu instid0(VALU_DEP_2) | instskip(NEXT) | instid1(VALU_DEP_1)
	v_fma_f64 v[52:53], v[29:30], v[52:53], s[36:37]
	v_fma_f64 v[52:53], v[29:30], v[52:53], s[38:39]
	s_delay_alu instid0(VALU_DEP_1) | instskip(NEXT) | instid1(VALU_DEP_1)
	v_fma_f64 v[52:53], v[29:30], v[52:53], s[42:43]
	v_fma_f64 v[52:53], v[56:57], v[52:53], v[54:55]
	s_delay_alu instid0(VALU_DEP_1) | instskip(SKIP_1) | instid1(VALU_DEP_2)
	v_fma_f64 v[37:38], v[29:30], v[52:53], -v[37:38]
	v_fma_f64 v[52:53], v[29:30], s[98:99], s[96:97]
	v_fma_f64 v[23:24], v[56:57], s[44:45], v[37:38]
	s_delay_alu instid0(VALU_DEP_2) | instskip(NEXT) | instid1(VALU_DEP_2)
	v_fma_f64 v[52:53], v[29:30], v[52:53], s[100:101]
	v_add_f64 v[23:24], v[35:36], -v[23:24]
	s_delay_alu instid0(VALU_DEP_2) | instskip(NEXT) | instid1(VALU_DEP_2)
	v_fma_f64 v[52:53], v[29:30], v[52:53], s[102:103]
	v_xor_b32_e32 v4, 0x80000000, v24
	s_delay_alu instid0(VALU_DEP_2) | instskip(SKIP_1) | instid1(VALU_DEP_2)
	v_fma_f64 v[52:53], v[29:30], v[52:53], s[10:11]
	v_xor_b32_e32 v24, v28, v3
	v_fma_f64 v[52:53], v[29:30], v[52:53], s[46:47]
	v_mul_f64 v[29:30], v[29:30], v[29:30]
	s_delay_alu instid0(VALU_DEP_1) | instskip(NEXT) | instid1(VALU_DEP_1)
	v_fma_f64 v[29:30], v[29:30], v[52:53], v[33:34]
	v_add_f64 v[25:26], v[48:49], v[29:30]
	v_and_b32_e32 v29, 1, v18
	v_dual_cndmask_b32 v3, 0, v27 :: v_dual_lshlrev_b32 v18, 30, v18
	s_delay_alu instid0(VALU_DEP_2) | instskip(NEXT) | instid1(VALU_DEP_2)
	v_cmp_eq_u32_e64 s6, 0, v29
	v_and_b32_e32 v18, 0x80000000, v18
	s_delay_alu instid0(VALU_DEP_2) | instskip(SKIP_1) | instid1(VALU_DEP_2)
	v_cndmask_b32_e64 v4, v4, v26, s6
	v_cndmask_b32_e64 v23, v23, v25, s6
	v_xor_b32_e32 v18, v4, v18
	v_cndmask_b32_e32 v4, 0x7ff80000, v24, vcc_lo
	s_delay_alu instid0(VALU_DEP_3) | instskip(NEXT) | instid1(VALU_DEP_3)
	v_cndmask_b32_e32 v23, 0, v23, vcc_lo
	v_cndmask_b32_e32 v24, 0x7ff80000, v18, vcc_lo
	s_delay_alu instid0(VALU_DEP_1)
	v_mul_f64 v[3:4], v[3:4], v[23:24]
.LBB162_86:                             ;   in Loop: Header=BB162_4 Depth=1
	s_or_b32 exec_lo, exec_lo, s51
	s_delay_alu instid0(VALU_DEP_1) | instskip(SKIP_2) | instid1(VALU_DEP_3)
	v_bfi_b32 v18, 0x7fffffff, 0, v4
	v_add_co_u32 v1, vcc_lo, v1, 0
	v_add_co_ci_u32_e32 v2, vcc_lo, -2.0, v2, vcc_lo
	v_dual_mov_b32 v3, v17 :: v_dual_mov_b32 v4, v18
.LBB162_87:                             ;   in Loop: Header=BB162_4 Depth=1
	s_or_b32 exec_lo, exec_lo, s50
.LBB162_88:                             ;   in Loop: Header=BB162_4 Depth=1
	s_delay_alu instid0(SALU_CYCLE_1) | instskip(SKIP_2) | instid1(VALU_DEP_1)
	s_or_b32 exec_lo, exec_lo, s49
	v_and_b32_e32 v27, 0x7fffffff, v14
	s_mov_b32 s6, exec_lo
	v_cmpx_gt_u32_e32 0x7ff00000, v27
	s_xor_b32 s49, exec_lo, s6
	s_cbranch_execz .LBB162_110
; %bb.89:                               ;   in Loop: Header=BB162_4 Depth=1
	v_cmp_class_f64_e64 s6, v[15:16], 0x1f8
	s_delay_alu instid0(VALU_DEP_1) | instskip(NEXT) | instid1(SALU_CYCLE_1)
	s_and_saveexec_b32 s20, s6
	s_xor_b32 s50, exec_lo, s20
	s_cbranch_execz .LBB162_107
; %bb.90:                               ;   in Loop: Header=BB162_4 Depth=1
	s_mov_b32 s6, exec_lo
	v_cmpx_gt_u32_e32 0x40360000, v27
	s_xor_b32 s44, exec_lo, s6
	s_cbranch_execz .LBB162_96
; %bb.91:                               ;   in Loop: Header=BB162_4 Depth=1
	s_mov_b32 s20, exec_lo
                                        ; implicit-def: $vgpr18
                                        ; implicit-def: $vgpr23_vgpr24
                                        ; implicit-def: $vgpr25_vgpr26
	v_cmpx_ngt_f64_e64 0x41d00000, |v[15:16]|
	s_xor_b32 s20, exec_lo, s20
	s_cbranch_execz .LBB162_93
; %bb.92:                               ;   in Loop: Header=BB162_4 Depth=1
	v_ldexp_f64 v[23:24], |v[15:16]|, 0xffffff80
	v_cmp_le_f64_e64 vcc_lo, 0x7b000000, |v[15:16]|
	v_trig_preop_f64 v[25:26], |v[15:16]|, 0
	v_and_b32_e32 v18, 0x7fffffff, v16
	v_trig_preop_f64 v[30:31], |v[15:16]|, 1
	v_trig_preop_f64 v[34:35], |v[15:16]|, 2
	s_mov_b32 s6, s18
	s_mov_b32 s23, s21
	v_dual_cndmask_b32 v23, v15, v23 :: v_dual_cndmask_b32 v24, v18, v24
	s_delay_alu instid0(VALU_DEP_1) | instskip(NEXT) | instid1(VALU_DEP_4)
	v_mul_f64 v[28:29], v[25:26], v[23:24]
	v_mul_f64 v[32:33], v[30:31], v[23:24]
	s_delay_alu instid0(VALU_DEP_4) | instskip(NEXT) | instid1(VALU_DEP_3)
	v_mul_f64 v[36:37], v[34:35], v[23:24]
	v_fma_f64 v[25:26], v[25:26], v[23:24], -v[28:29]
	s_delay_alu instid0(VALU_DEP_3) | instskip(NEXT) | instid1(VALU_DEP_3)
	v_fma_f64 v[30:31], v[30:31], v[23:24], -v[32:33]
	v_fma_f64 v[23:24], v[34:35], v[23:24], -v[36:37]
	s_delay_alu instid0(VALU_DEP_3) | instskip(NEXT) | instid1(VALU_DEP_1)
	v_add_f64 v[34:35], v[32:33], v[25:26]
	v_add_f64 v[47:48], v[34:35], -v[32:33]
	s_delay_alu instid0(VALU_DEP_1) | instskip(SKIP_1) | instid1(VALU_DEP_1)
	v_add_f64 v[25:26], v[25:26], -v[47:48]
	v_add_f64 v[47:48], v[34:35], -v[47:48]
	;; [unrolled: 1-line block ×3, first 2 shown]
	v_add_f64 v[47:48], v[28:29], v[34:35]
	s_delay_alu instid0(VALU_DEP_2) | instskip(NEXT) | instid1(VALU_DEP_2)
	v_add_f64 v[25:26], v[25:26], v[32:33]
	v_add_f64 v[28:29], v[47:48], -v[28:29]
	v_add_f64 v[32:33], v[36:37], v[30:31]
	v_ldexp_f64 v[47:48], v[47:48], -2
	s_delay_alu instid0(VALU_DEP_3) | instskip(NEXT) | instid1(VALU_DEP_3)
	v_add_f64 v[28:29], v[34:35], -v[28:29]
	v_add_f64 v[34:35], v[32:33], -v[36:37]
	s_delay_alu instid0(VALU_DEP_3) | instskip(SKIP_1) | instid1(VALU_DEP_3)
	v_cmp_neq_f64_e64 vcc_lo, 0x7ff00000, |v[47:48]|
	v_fract_f64_e32 v[47:48], v[47:48]
	v_add_f64 v[30:31], v[30:31], -v[34:35]
	v_add_f64 v[34:35], v[32:33], -v[34:35]
	s_delay_alu instid0(VALU_DEP_3) | instskip(NEXT) | instid1(VALU_DEP_2)
	v_dual_cndmask_b32 v47, 0, v47 :: v_dual_cndmask_b32 v48, 0, v48
	v_add_f64 v[34:35], v[36:37], -v[34:35]
	v_add_f64 v[36:37], v[32:33], v[25:26]
	s_delay_alu instid0(VALU_DEP_2) | instskip(NEXT) | instid1(VALU_DEP_2)
	v_add_f64 v[30:31], v[30:31], v[34:35]
	v_add_f64 v[49:50], v[36:37], -v[32:33]
	v_add_f64 v[34:35], v[28:29], v[36:37]
	s_delay_alu instid0(VALU_DEP_2) | instskip(SKIP_1) | instid1(VALU_DEP_3)
	v_add_f64 v[25:26], v[25:26], -v[49:50]
	v_add_f64 v[49:50], v[36:37], -v[49:50]
	v_add_f64 v[28:29], v[34:35], -v[28:29]
	s_delay_alu instid0(VALU_DEP_2) | instskip(NEXT) | instid1(VALU_DEP_2)
	v_add_f64 v[32:33], v[32:33], -v[49:50]
	v_add_f64 v[28:29], v[36:37], -v[28:29]
	s_delay_alu instid0(VALU_DEP_2) | instskip(SKIP_1) | instid1(VALU_DEP_2)
	v_add_f64 v[25:26], v[25:26], v[32:33]
	v_ldexp_f64 v[32:33], v[47:48], 2
	v_add_f64 v[25:26], v[30:31], v[25:26]
	s_delay_alu instid0(VALU_DEP_2) | instskip(NEXT) | instid1(VALU_DEP_2)
	v_add_f64 v[47:48], v[34:35], v[32:33]
	v_add_f64 v[23:24], v[23:24], v[25:26]
	s_delay_alu instid0(VALU_DEP_2) | instskip(NEXT) | instid1(VALU_DEP_2)
	v_cmp_gt_f64_e32 vcc_lo, 0, v[47:48]
	v_add_f64 v[23:24], v[28:29], v[23:24]
	v_cndmask_b32_e64 v18, 0, 0x40100000, vcc_lo
	s_delay_alu instid0(VALU_DEP_1) | instskip(NEXT) | instid1(VALU_DEP_1)
	v_add_f64 v[25:26], v[32:33], v[17:18]
	v_add_f64 v[30:31], v[34:35], v[25:26]
	s_delay_alu instid0(VALU_DEP_1) | instskip(NEXT) | instid1(VALU_DEP_1)
	v_cvt_i32_f64_e32 v32, v[30:31]
	v_cvt_f64_i32_e32 v[30:31], v32
	s_delay_alu instid0(VALU_DEP_1) | instskip(NEXT) | instid1(VALU_DEP_1)
	v_add_f64 v[25:26], v[25:26], -v[30:31]
	v_add_f64 v[28:29], v[34:35], v[25:26]
	s_delay_alu instid0(VALU_DEP_1) | instskip(SKIP_1) | instid1(VALU_DEP_2)
	v_add_f64 v[25:26], v[28:29], -v[25:26]
	v_cmp_le_f64_e32 vcc_lo, 0.5, v[28:29]
	v_add_f64 v[25:26], v[34:35], -v[25:26]
	v_cndmask_b32_e64 v18, 0, 0x3ff00000, vcc_lo
	s_delay_alu instid0(VALU_DEP_1) | instskip(SKIP_1) | instid1(VALU_DEP_4)
	v_add_f64 v[28:29], v[28:29], -v[17:18]
	v_add_co_ci_u32_e32 v18, vcc_lo, 0, v32, vcc_lo
	v_add_f64 v[23:24], v[23:24], v[25:26]
	s_delay_alu instid0(VALU_DEP_1) | instskip(NEXT) | instid1(VALU_DEP_1)
	v_add_f64 v[25:26], v[28:29], v[23:24]
	v_add_f64 v[28:29], v[25:26], -v[28:29]
	s_delay_alu instid0(VALU_DEP_1) | instskip(SKIP_1) | instid1(VALU_DEP_1)
	v_add_f64 v[23:24], v[23:24], -v[28:29]
	v_mul_f64 v[28:29], v[25:26], s[6:7]
	v_fma_f64 v[30:31], v[25:26], s[6:7], -v[28:29]
	s_delay_alu instid0(VALU_DEP_1) | instskip(NEXT) | instid1(VALU_DEP_1)
	v_fma_f64 v[25:26], v[25:26], s[22:23], v[30:31]
	v_fma_f64 v[25:26], v[23:24], s[6:7], v[25:26]
	s_delay_alu instid0(VALU_DEP_1) | instskip(NEXT) | instid1(VALU_DEP_1)
	v_add_f64 v[23:24], v[28:29], v[25:26]
	v_add_f64 v[28:29], v[23:24], -v[28:29]
	s_delay_alu instid0(VALU_DEP_1)
	v_add_f64 v[25:26], v[25:26], -v[28:29]
.LBB162_93:                             ;   in Loop: Header=BB162_4 Depth=1
	s_and_not1_saveexec_b32 s6, s20
	s_cbranch_execz .LBB162_95
; %bb.94:                               ;   in Loop: Header=BB162_4 Depth=1
	v_mul_f64 v[23:24], |v[15:16]|, s[24:25]
	s_mov_b32 s20, s26
	s_delay_alu instid0(VALU_DEP_1) | instskip(NEXT) | instid1(VALU_DEP_1)
	v_rndne_f64_e32 v[28:29], v[23:24]
	v_fma_f64 v[23:24], v[28:29], s[18:19], |v[15:16]|
	v_mul_f64 v[25:26], v[28:29], s[26:27]
	v_cvt_i32_f64_e32 v18, v[28:29]
	s_delay_alu instid0(VALU_DEP_3) | instskip(NEXT) | instid1(VALU_DEP_3)
	v_fma_f64 v[32:33], v[28:29], s[26:27], v[23:24]
	v_add_f64 v[30:31], v[23:24], v[25:26]
	s_delay_alu instid0(VALU_DEP_1) | instskip(NEXT) | instid1(VALU_DEP_3)
	v_add_f64 v[23:24], v[23:24], -v[30:31]
	v_add_f64 v[30:31], v[30:31], -v[32:33]
	s_delay_alu instid0(VALU_DEP_2) | instskip(SKIP_1) | instid1(VALU_DEP_2)
	v_add_f64 v[23:24], v[23:24], v[25:26]
	v_fma_f64 v[25:26], v[28:29], s[20:21], v[25:26]
	v_add_f64 v[23:24], v[30:31], v[23:24]
	s_delay_alu instid0(VALU_DEP_1) | instskip(NEXT) | instid1(VALU_DEP_1)
	v_add_f64 v[23:24], v[23:24], -v[25:26]
	v_fma_f64 v[25:26], v[28:29], s[28:29], v[23:24]
	s_delay_alu instid0(VALU_DEP_1) | instskip(NEXT) | instid1(VALU_DEP_1)
	v_add_f64 v[23:24], v[32:33], v[25:26]
	v_add_f64 v[30:31], v[23:24], -v[32:33]
	s_delay_alu instid0(VALU_DEP_1)
	v_add_f64 v[25:26], v[25:26], -v[30:31]
.LBB162_95:                             ;   in Loop: Header=BB162_4 Depth=1
	s_or_b32 exec_lo, exec_lo, s6
	v_add_f64 v[28:29], |v[13:14]|, s[40:41]
	s_mov_b32 s62, s40
	s_mov_b32 s66, s68
	;; [unrolled: 1-line block ×5, first 2 shown]
	v_cmp_nge_f64_e64 vcc_lo, |v[13:14]|, s[94:95]
	v_cmp_gt_f64_e64 s6, 0x3e400000, |v[13:14]|
	s_mov_b32 s52, 0xa9a29f71
	s_mov_b32 s54, 0xc751c08c
	;; [unrolled: 1-line block ×4, first 2 shown]
	v_and_b32_e32 v18, 1, v18
	s_delay_alu instid0(VALU_DEP_4) | instskip(NEXT) | instid1(VALU_DEP_1)
	v_add_f64 v[30:31], v[28:29], -|v[13:14]|
	v_add_f64 v[32:33], v[30:31], -v[28:29]
	v_add_f64 v[30:31], v[30:31], s[62:63]
	s_delay_alu instid0(VALU_DEP_2) | instskip(NEXT) | instid1(VALU_DEP_1)
	v_add_f64 v[32:33], |v[13:14]|, v[32:33]
	v_add_f64 v[30:31], v[32:33], -v[30:31]
	s_delay_alu instid0(VALU_DEP_1) | instskip(NEXT) | instid1(VALU_DEP_1)
	v_add_f64 v[30:31], v[30:31], s[64:65]
	v_add_f64 v[32:33], v[28:29], v[30:31]
	s_delay_alu instid0(VALU_DEP_1) | instskip(NEXT) | instid1(VALU_DEP_1)
	v_add_f64 v[28:29], v[28:29], -v[32:33]
	v_add_f64 v[28:29], v[30:31], v[28:29]
	v_mul_f64 v[30:31], v[32:33], s[66:67]
	s_delay_alu instid0(VALU_DEP_1) | instskip(NEXT) | instid1(VALU_DEP_1)
	v_rndne_f64_e32 v[30:31], v[30:31]
	v_fma_f64 v[32:33], v[30:31], s[60:61], v[32:33]
	v_cvt_i32_f64_e32 v15, v[30:31]
	s_delay_alu instid0(VALU_DEP_2) | instskip(NEXT) | instid1(VALU_DEP_1)
	v_add_f64 v[34:35], v[28:29], v[32:33]
	v_add_f64 v[32:33], v[32:33], -v[34:35]
	s_delay_alu instid0(VALU_DEP_1) | instskip(SKIP_1) | instid1(VALU_DEP_1)
	v_add_f64 v[28:29], v[28:29], v[32:33]
	v_mul_f64 v[32:33], v[30:31], s[70:71]
	v_add_f64 v[36:37], v[34:35], v[32:33]
	s_delay_alu instid0(VALU_DEP_1) | instskip(NEXT) | instid1(VALU_DEP_1)
	v_add_f64 v[34:35], v[34:35], -v[36:37]
	v_add_f64 v[32:33], v[34:35], v[32:33]
	s_delay_alu instid0(VALU_DEP_1) | instskip(NEXT) | instid1(VALU_DEP_1)
	v_add_f64 v[28:29], v[28:29], v[32:33]
	v_add_f64 v[32:33], v[36:37], v[28:29]
	s_delay_alu instid0(VALU_DEP_1) | instskip(NEXT) | instid1(VALU_DEP_1)
	v_add_f64 v[34:35], v[36:37], -v[32:33]
	v_add_f64 v[28:29], v[28:29], v[34:35]
	v_mul_f64 v[34:35], v[30:31], s[72:73]
	s_delay_alu instid0(VALU_DEP_1) | instskip(NEXT) | instid1(VALU_DEP_1)
	v_add_f64 v[36:37], v[32:33], v[34:35]
	v_add_f64 v[32:33], v[32:33], -v[36:37]
	s_delay_alu instid0(VALU_DEP_1) | instskip(NEXT) | instid1(VALU_DEP_1)
	v_add_f64 v[32:33], v[32:33], v[34:35]
	v_add_f64 v[28:29], v[28:29], v[32:33]
	s_delay_alu instid0(VALU_DEP_1) | instskip(NEXT) | instid1(VALU_DEP_1)
	v_add_f64 v[32:33], v[36:37], v[28:29]
	v_add_f64 v[34:35], v[36:37], -v[32:33]
	s_delay_alu instid0(VALU_DEP_1) | instskip(SKIP_1) | instid1(VALU_DEP_2)
	v_add_f64 v[28:29], v[28:29], v[34:35]
	v_mul_f64 v[34:35], v[32:33], v[32:33]
	v_add_f64 v[47:48], v[28:29], v[28:29]
	s_delay_alu instid0(VALU_DEP_2) | instskip(NEXT) | instid1(VALU_DEP_1)
	v_fma_f64 v[36:37], v[32:33], v[32:33], -v[34:35]
	v_fma_f64 v[36:37], v[32:33], v[47:48], v[36:37]
	s_delay_alu instid0(VALU_DEP_1) | instskip(NEXT) | instid1(VALU_DEP_1)
	v_add_f64 v[47:48], v[34:35], v[36:37]
	v_add_f64 v[34:35], v[47:48], -v[34:35]
	s_delay_alu instid0(VALU_DEP_1) | instskip(SKIP_1) | instid1(VALU_DEP_1)
	v_add_f64 v[34:35], v[36:37], -v[34:35]
	v_fma_f64 v[36:37], v[32:33], s[76:77], s[74:75]
	v_fma_f64 v[36:37], v[32:33], v[36:37], s[78:79]
	s_delay_alu instid0(VALU_DEP_1) | instskip(NEXT) | instid1(VALU_DEP_1)
	v_fma_f64 v[36:37], v[32:33], v[36:37], s[80:81]
	v_fma_f64 v[36:37], v[32:33], v[36:37], s[82:83]
	s_delay_alu instid0(VALU_DEP_1) | instskip(NEXT) | instid1(VALU_DEP_1)
	;; [unrolled: 3-line block ×4, first 2 shown]
	v_fma_f64 v[36:37], v[32:33], v[36:37], s[92:93]
	v_mul_f64 v[49:50], v[47:48], v[36:37]
	s_delay_alu instid0(VALU_DEP_1) | instskip(NEXT) | instid1(VALU_DEP_1)
	v_fma_f64 v[47:48], v[47:48], v[36:37], -v[49:50]
	v_fma_f64 v[34:35], v[34:35], v[36:37], v[47:48]
	s_delay_alu instid0(VALU_DEP_1) | instskip(NEXT) | instid1(VALU_DEP_1)
	v_add_f64 v[36:37], v[49:50], v[34:35]
	v_add_f64 v[47:48], v[36:37], -v[49:50]
	s_delay_alu instid0(VALU_DEP_1) | instskip(SKIP_1) | instid1(VALU_DEP_2)
	v_add_f64 v[34:35], v[34:35], -v[47:48]
	v_add_f64 v[47:48], v[32:33], v[36:37]
	v_add_f64 v[28:29], v[28:29], v[34:35]
	s_delay_alu instid0(VALU_DEP_2) | instskip(NEXT) | instid1(VALU_DEP_1)
	v_add_f64 v[32:33], v[47:48], -v[32:33]
	v_add_f64 v[32:33], v[36:37], -v[32:33]
	s_delay_alu instid0(VALU_DEP_1) | instskip(NEXT) | instid1(VALU_DEP_1)
	v_add_f64 v[28:29], v[28:29], v[32:33]
	v_add_f64 v[32:33], v[47:48], v[28:29]
	s_delay_alu instid0(VALU_DEP_1) | instskip(NEXT) | instid1(VALU_DEP_1)
	v_add_f64 v[34:35], v[32:33], -v[47:48]
	v_add_f64 v[28:29], v[28:29], -v[34:35]
	v_add_f64 v[34:35], v[32:33], 1.0
	s_delay_alu instid0(VALU_DEP_1) | instskip(NEXT) | instid1(VALU_DEP_1)
	v_add_f64 v[36:37], v[34:35], -1.0
	v_add_f64 v[32:33], v[32:33], -v[36:37]
	s_delay_alu instid0(VALU_DEP_1) | instskip(NEXT) | instid1(VALU_DEP_1)
	v_add_f64 v[28:29], v[28:29], v[32:33]
	v_add_f64 v[30:31], v[34:35], v[28:29]
	s_delay_alu instid0(VALU_DEP_1) | instskip(SKIP_1) | instid1(VALU_DEP_2)
	v_add_f64 v[32:33], v[30:31], -v[34:35]
	v_ldexp_f64 v[30:31], v[30:31], v15
	v_add_f64 v[28:29], v[28:29], -v[32:33]
	s_delay_alu instid0(VALU_DEP_2) | instskip(NEXT) | instid1(VALU_DEP_1)
	v_rcp_f64_e32 v[34:35], v[30:31]
	v_ldexp_f64 v[28:29], v[28:29], v15
	s_waitcnt_depctr 0xfff
	v_fma_f64 v[36:37], -v[30:31], v[34:35], 1.0
	s_delay_alu instid0(VALU_DEP_1) | instskip(NEXT) | instid1(VALU_DEP_1)
	v_fma_f64 v[34:35], v[36:37], v[34:35], v[34:35]
	v_fma_f64 v[32:33], -v[30:31], v[34:35], 1.0
	s_delay_alu instid0(VALU_DEP_1) | instskip(NEXT) | instid1(VALU_DEP_1)
	v_fma_f64 v[32:33], v[32:33], v[34:35], v[34:35]
	v_mul_f64 v[34:35], v[30:31], v[32:33]
	s_delay_alu instid0(VALU_DEP_1) | instskip(NEXT) | instid1(VALU_DEP_1)
	v_fma_f64 v[36:37], v[32:33], v[30:31], -v[34:35]
	v_fma_f64 v[36:37], v[32:33], v[28:29], v[36:37]
	s_delay_alu instid0(VALU_DEP_1) | instskip(NEXT) | instid1(VALU_DEP_1)
	v_add_f64 v[47:48], v[34:35], v[36:37]
	v_add_f64 v[34:35], v[47:48], -v[34:35]
	s_delay_alu instid0(VALU_DEP_1) | instskip(SKIP_1) | instid1(VALU_DEP_1)
	v_add_f64 v[34:35], v[34:35], -v[36:37]
	v_add_f64 v[36:37], -v[47:48], 1.0
	v_add_f64 v[49:50], -v[36:37], 1.0
	s_delay_alu instid0(VALU_DEP_1) | instskip(NEXT) | instid1(VALU_DEP_1)
	v_add_f64 v[47:48], v[49:50], -v[47:48]
	v_add_f64 v[34:35], v[34:35], v[47:48]
	s_delay_alu instid0(VALU_DEP_1) | instskip(NEXT) | instid1(VALU_DEP_1)
	v_add_f64 v[47:48], v[36:37], v[34:35]
	v_add_f64 v[36:37], v[36:37], -v[47:48]
	s_delay_alu instid0(VALU_DEP_1) | instskip(SKIP_1) | instid1(VALU_DEP_1)
	v_add_f64 v[34:35], v[34:35], v[36:37]
	v_mul_f64 v[36:37], v[32:33], v[47:48]
	v_mul_f64 v[49:50], v[30:31], v[36:37]
	s_delay_alu instid0(VALU_DEP_1) | instskip(NEXT) | instid1(VALU_DEP_1)
	v_fma_f64 v[51:52], v[36:37], v[30:31], -v[49:50]
	v_fma_f64 v[51:52], v[36:37], v[28:29], v[51:52]
	s_delay_alu instid0(VALU_DEP_1) | instskip(NEXT) | instid1(VALU_DEP_1)
	v_add_f64 v[53:54], v[49:50], v[51:52]
	v_add_f64 v[55:56], v[47:48], -v[53:54]
	v_add_f64 v[49:50], v[53:54], -v[49:50]
	s_delay_alu instid0(VALU_DEP_2) | instskip(NEXT) | instid1(VALU_DEP_2)
	v_add_f64 v[47:48], v[47:48], -v[55:56]
	v_add_f64 v[49:50], v[49:50], -v[51:52]
	s_delay_alu instid0(VALU_DEP_2) | instskip(NEXT) | instid1(VALU_DEP_1)
	v_add_f64 v[47:48], v[47:48], -v[53:54]
	v_add_f64 v[34:35], v[34:35], v[47:48]
	v_add_f64 v[47:48], v[32:33], v[36:37]
	s_delay_alu instid0(VALU_DEP_2) | instskip(NEXT) | instid1(VALU_DEP_2)
	v_add_f64 v[34:35], v[49:50], v[34:35]
	v_add_f64 v[49:50], v[47:48], -v[32:33]
	s_delay_alu instid0(VALU_DEP_2) | instskip(NEXT) | instid1(VALU_DEP_2)
	v_add_f64 v[34:35], v[55:56], v[34:35]
	v_add_f64 v[36:37], v[36:37], -v[49:50]
	s_delay_alu instid0(VALU_DEP_2) | instskip(NEXT) | instid1(VALU_DEP_1)
	v_mul_f64 v[32:33], v[32:33], v[34:35]
	v_add_f64 v[32:33], v[36:37], v[32:33]
	s_delay_alu instid0(VALU_DEP_1) | instskip(NEXT) | instid1(VALU_DEP_1)
	v_add_f64 v[34:35], v[47:48], v[32:33]
	v_add_f64 v[36:37], v[34:35], -v[47:48]
	v_ldexp_f64 v[34:35], v[34:35], -2
	s_delay_alu instid0(VALU_DEP_2) | instskip(NEXT) | instid1(VALU_DEP_2)
	v_add_f64 v[32:33], v[32:33], -v[36:37]
	v_add_f64 v[47:48], v[30:31], -v[34:35]
	v_and_b32_e32 v37, 0x80000000, v16
	s_delay_alu instid0(VALU_DEP_2) | instskip(NEXT) | instid1(VALU_DEP_1)
	v_add_f64 v[30:31], v[30:31], -v[47:48]
	v_add_f64 v[30:31], v[30:31], -v[34:35]
	s_delay_alu instid0(VALU_DEP_1) | instskip(SKIP_1) | instid1(VALU_DEP_1)
	v_add_f64 v[28:29], v[28:29], v[30:31]
	v_ldexp_f64 v[30:31], v[32:33], -2
	v_add_f64 v[28:29], v[28:29], -v[30:31]
	s_delay_alu instid0(VALU_DEP_1) | instskip(NEXT) | instid1(VALU_DEP_1)
	v_add_f64 v[28:29], v[47:48], v[28:29]
	v_cndmask_b32_e32 v15, 0x7ff00000, v29, vcc_lo
	s_delay_alu instid0(VALU_DEP_2) | instskip(NEXT) | instid1(VALU_DEP_2)
	v_cndmask_b32_e32 v28, 0, v28, vcc_lo
	v_cndmask_b32_e64 v15, v15, v27, s6
	s_delay_alu instid0(VALU_DEP_2) | instskip(SKIP_1) | instid1(VALU_DEP_3)
	v_cndmask_b32_e64 v13, v28, v13, s6
	v_cmp_eq_u32_e64 s6, 0, v18
	v_bfi_b32 v14, 0x7fffffff, v15, v14
	s_delay_alu instid0(VALU_DEP_1) | instskip(NEXT) | instid1(VALU_DEP_1)
	v_fma_f64 v[27:28], v[13:14], v[13:14], 1.0
	v_cmp_gt_f64_e32 vcc_lo, 0x10000000, v[27:28]
	v_cndmask_b32_e64 v15, 0, 1, vcc_lo
	v_cndmask_b32_e64 v18, 0, 0xffffff80, vcc_lo
	s_delay_alu instid0(VALU_DEP_2) | instskip(NEXT) | instid1(VALU_DEP_1)
	v_lshlrev_b32_e32 v15, 8, v15
	v_ldexp_f64 v[27:28], v[27:28], v15
	v_mul_f64 v[15:16], v[23:24], v[23:24]
	s_delay_alu instid0(VALU_DEP_2) | instskip(SKIP_4) | instid1(VALU_DEP_1)
	v_rsq_f64_e32 v[29:30], v[27:28]
	v_cmp_class_f64_e64 vcc_lo, v[27:28], 0x260
	s_waitcnt_depctr 0xfff
	v_mul_f64 v[31:32], v[27:28], v[29:30]
	v_mul_f64 v[29:30], v[29:30], 0.5
	v_fma_f64 v[33:34], -v[29:30], v[31:32], 0.5
	s_delay_alu instid0(VALU_DEP_1) | instskip(SKIP_1) | instid1(VALU_DEP_2)
	v_fma_f64 v[31:32], v[31:32], v[33:34], v[31:32]
	v_fma_f64 v[29:30], v[29:30], v[33:34], v[29:30]
	v_fma_f64 v[33:34], -v[31:32], v[31:32], v[27:28]
	s_delay_alu instid0(VALU_DEP_1) | instskip(NEXT) | instid1(VALU_DEP_1)
	v_fma_f64 v[31:32], v[33:34], v[29:30], v[31:32]
	v_fma_f64 v[33:34], -v[31:32], v[31:32], v[27:28]
	s_delay_alu instid0(VALU_DEP_1) | instskip(SKIP_2) | instid1(VALU_DEP_1)
	v_fma_f64 v[29:30], v[33:34], v[29:30], v[31:32]
	v_add_f64 v[31:32], v[25:26], v[25:26]
	v_fma_f64 v[33:34], v[23:24], v[23:24], -v[15:16]
	v_fma_f64 v[31:32], v[23:24], v[31:32], v[33:34]
	s_delay_alu instid0(VALU_DEP_1) | instskip(NEXT) | instid1(VALU_DEP_1)
	v_add_f64 v[15:16], v[15:16], v[31:32]
	v_fma_f64 v[31:32], v[15:16], s[54:55], s[52:53]
	s_mov_b32 s52, 0x90a8aae0
	s_mov_b32 s53, 0x3f17746f
	s_delay_alu instid0(VALU_DEP_1) | instid1(SALU_CYCLE_1)
	v_fma_f64 v[31:32], v[15:16], v[31:32], s[52:53]
	s_mov_b32 s52, 0xa6fbf144
	s_mov_b32 s53, 0xbefbb44d
	s_delay_alu instid0(VALU_DEP_1) | instid1(SALU_CYCLE_1)
	;; [unrolled: 4-line block ×10, first 2 shown]
	v_fma_f64 v[31:32], v[15:16], v[31:32], s[52:53]
	s_delay_alu instid0(VALU_DEP_1) | instskip(NEXT) | instid1(VALU_DEP_1)
	v_fma_f64 v[31:32], v[15:16], v[31:32], s[56:57]
	v_fma_f64 v[31:32], v[15:16], v[31:32], s[58:59]
	s_delay_alu instid0(VALU_DEP_1) | instskip(NEXT) | instid1(VALU_DEP_1)
	v_mul_f64 v[15:16], v[15:16], v[31:32]
	v_mul_f64 v[31:32], v[23:24], v[15:16]
	s_delay_alu instid0(VALU_DEP_1) | instskip(NEXT) | instid1(VALU_DEP_1)
	v_fma_f64 v[15:16], v[23:24], v[15:16], -v[31:32]
	v_add_f64 v[15:16], v[25:26], v[15:16]
	v_add_f64 v[25:26], v[23:24], v[31:32]
	s_delay_alu instid0(VALU_DEP_1) | instskip(NEXT) | instid1(VALU_DEP_1)
	v_add_f64 v[23:24], v[25:26], -v[23:24]
	v_add_f64 v[23:24], v[31:32], -v[23:24]
	s_delay_alu instid0(VALU_DEP_1) | instskip(NEXT) | instid1(VALU_DEP_1)
	v_add_f64 v[15:16], v[15:16], v[23:24]
	v_add_f64 v[23:24], v[25:26], v[15:16]
	s_delay_alu instid0(VALU_DEP_1) | instskip(SKIP_1) | instid1(VALU_DEP_1)
	v_rcp_f64_e32 v[31:32], v[23:24]
	v_add_f64 v[25:26], v[23:24], -v[25:26]
	v_add_f64 v[15:16], v[15:16], -v[25:26]
	s_waitcnt_depctr 0xfff
	v_fma_f64 v[33:34], -v[23:24], v[31:32], 1.0
	s_delay_alu instid0(VALU_DEP_1) | instskip(NEXT) | instid1(VALU_DEP_1)
	v_fma_f64 v[31:32], v[33:34], v[31:32], v[31:32]
	v_fma_f64 v[33:34], -v[23:24], v[31:32], 1.0
	s_delay_alu instid0(VALU_DEP_1) | instskip(NEXT) | instid1(VALU_DEP_1)
	v_fma_f64 v[31:32], v[33:34], v[31:32], v[31:32]
	v_mul_f64 v[25:26], v[23:24], v[31:32]
	s_delay_alu instid0(VALU_DEP_1) | instskip(NEXT) | instid1(VALU_DEP_1)
	v_fma_f64 v[33:34], v[31:32], v[23:24], -v[25:26]
	v_fma_f64 v[15:16], v[31:32], v[15:16], v[33:34]
	s_delay_alu instid0(VALU_DEP_1) | instskip(NEXT) | instid1(VALU_DEP_1)
	v_add_f64 v[33:34], v[25:26], v[15:16]
	v_add_f64 v[25:26], v[33:34], -v[25:26]
	s_delay_alu instid0(VALU_DEP_1) | instskip(SKIP_1) | instid1(VALU_DEP_1)
	v_add_f64 v[15:16], v[25:26], -v[15:16]
	v_add_f64 v[25:26], -v[33:34], 1.0
	v_add_f64 v[35:36], -v[25:26], 1.0
	s_delay_alu instid0(VALU_DEP_1) | instskip(NEXT) | instid1(VALU_DEP_1)
	v_add_f64 v[33:34], v[35:36], -v[33:34]
	v_add_f64 v[15:16], v[15:16], v[33:34]
	s_delay_alu instid0(VALU_DEP_1) | instskip(NEXT) | instid1(VALU_DEP_1)
	v_add_f64 v[15:16], v[25:26], v[15:16]
	v_mul_f64 v[15:16], v[31:32], v[15:16]
	s_delay_alu instid0(VALU_DEP_1) | instskip(NEXT) | instid1(VALU_DEP_1)
	v_add_f64 v[15:16], v[31:32], v[15:16]
	v_xor_b32_e32 v16, 0x80000000, v16
	s_delay_alu instid0(VALU_DEP_2) | instskip(NEXT) | instid1(VALU_DEP_2)
	v_cndmask_b32_e64 v15, v15, v23, s6
	v_cndmask_b32_e64 v16, v16, v24, s6
	v_ldexp_f64 v[23:24], v[29:30], v18
	s_delay_alu instid0(VALU_DEP_2) | instskip(NEXT) | instid1(VALU_DEP_1)
	v_xor_b32_e32 v16, v16, v37
	v_fma_f64 v[25:26], v[15:16], v[15:16], 1.0
	s_delay_alu instid0(VALU_DEP_3) | instskip(NEXT) | instid1(VALU_DEP_2)
	v_dual_cndmask_b32 v24, v24, v28 :: v_dual_cndmask_b32 v23, v23, v27
	v_mul_f64 v[27:28], v[13:14], v[25:26]
	s_delay_alu instid0(VALU_DEP_2) | instskip(NEXT) | instid1(VALU_DEP_2)
	v_mul_f64 v[23:24], v[23:24], v[25:26]
	v_fma_f64 v[25:26], v[13:14], v[27:28], 1.0
	s_delay_alu instid0(VALU_DEP_2) | instskip(NEXT) | instid1(VALU_DEP_1)
	v_mul_f64 v[13:14], v[13:14], v[23:24]
	v_div_scale_f64 v[23:24], null, v[25:26], v[25:26], v[13:14]
	s_delay_alu instid0(VALU_DEP_1) | instskip(SKIP_2) | instid1(VALU_DEP_1)
	v_rcp_f64_e32 v[27:28], v[23:24]
	s_waitcnt_depctr 0xfff
	v_fma_f64 v[29:30], -v[23:24], v[27:28], 1.0
	v_fma_f64 v[27:28], v[27:28], v[29:30], v[27:28]
	s_delay_alu instid0(VALU_DEP_1) | instskip(NEXT) | instid1(VALU_DEP_1)
	v_fma_f64 v[29:30], -v[23:24], v[27:28], 1.0
	v_fma_f64 v[27:28], v[27:28], v[29:30], v[27:28]
	v_div_scale_f64 v[29:30], vcc_lo, v[13:14], v[25:26], v[13:14]
	s_delay_alu instid0(VALU_DEP_1) | instskip(NEXT) | instid1(VALU_DEP_1)
	v_mul_f64 v[31:32], v[29:30], v[27:28]
	v_fma_f64 v[23:24], -v[23:24], v[31:32], v[29:30]
	s_delay_alu instid0(VALU_DEP_1) | instskip(SKIP_1) | instid1(VALU_DEP_2)
	v_div_fmas_f64 v[23:24], v[23:24], v[27:28], v[31:32]
	v_div_scale_f64 v[27:28], null, v[25:26], v[25:26], v[15:16]
	v_div_fixup_f64 v[13:14], v[23:24], v[25:26], v[13:14]
	s_delay_alu instid0(VALU_DEP_2) | instskip(SKIP_2) | instid1(VALU_DEP_1)
	v_rcp_f64_e32 v[29:30], v[27:28]
	s_waitcnt_depctr 0xfff
	v_fma_f64 v[31:32], -v[27:28], v[29:30], 1.0
	v_fma_f64 v[29:30], v[29:30], v[31:32], v[29:30]
	s_delay_alu instid0(VALU_DEP_1) | instskip(NEXT) | instid1(VALU_DEP_1)
	v_fma_f64 v[31:32], -v[27:28], v[29:30], 1.0
	v_fma_f64 v[29:30], v[29:30], v[31:32], v[29:30]
	v_div_scale_f64 v[31:32], vcc_lo, v[15:16], v[25:26], v[15:16]
	s_delay_alu instid0(VALU_DEP_1) | instskip(NEXT) | instid1(VALU_DEP_1)
	v_mul_f64 v[33:34], v[31:32], v[29:30]
	v_fma_f64 v[27:28], -v[27:28], v[33:34], v[31:32]
	s_delay_alu instid0(VALU_DEP_1) | instskip(NEXT) | instid1(VALU_DEP_1)
	v_div_fmas_f64 v[27:28], v[27:28], v[29:30], v[33:34]
	v_div_fixup_f64 v[15:16], v[27:28], v[25:26], v[15:16]
.LBB162_96:                             ;   in Loop: Header=BB162_4 Depth=1
	s_and_not1_saveexec_b32 s51, s44
	s_cbranch_execz .LBB162_106
; %bb.97:                               ;   in Loop: Header=BB162_4 Depth=1
	s_delay_alu instid0(VALU_DEP_1) | instskip(NEXT) | instid1(VALU_DEP_1)
	v_cmp_ngt_f64_e64 s44, 0x41d00000, |v[15:16]|
                                        ; implicit-def: $vgpr31
                                        ; implicit-def: $vgpr23_vgpr24
                                        ; implicit-def: $vgpr25_vgpr26
	s_and_saveexec_b32 s6, s44
	s_delay_alu instid0(SALU_CYCLE_1)
	s_xor_b32 s20, exec_lo, s6
	s_cbranch_execz .LBB162_99
; %bb.98:                               ;   in Loop: Header=BB162_4 Depth=1
	v_ldexp_f64 v[23:24], |v[15:16]|, 0xffffff80
	v_cmp_le_f64_e64 vcc_lo, 0x7b000000, |v[15:16]|
	v_trig_preop_f64 v[25:26], |v[15:16]|, 0
	v_and_b32_e32 v18, 0x7fffffff, v16
	v_trig_preop_f64 v[29:30], |v[15:16]|, 1
	v_trig_preop_f64 v[33:34], |v[15:16]|, 2
	s_mov_b32 s6, s18
	s_mov_b32 s23, s21
	v_dual_cndmask_b32 v23, v15, v23 :: v_dual_cndmask_b32 v24, v18, v24
	s_delay_alu instid0(VALU_DEP_1) | instskip(NEXT) | instid1(VALU_DEP_4)
	v_mul_f64 v[27:28], v[25:26], v[23:24]
	v_mul_f64 v[31:32], v[29:30], v[23:24]
	s_delay_alu instid0(VALU_DEP_4) | instskip(NEXT) | instid1(VALU_DEP_3)
	v_mul_f64 v[35:36], v[33:34], v[23:24]
	v_fma_f64 v[25:26], v[25:26], v[23:24], -v[27:28]
	s_delay_alu instid0(VALU_DEP_3) | instskip(NEXT) | instid1(VALU_DEP_3)
	v_fma_f64 v[29:30], v[29:30], v[23:24], -v[31:32]
	v_fma_f64 v[23:24], v[33:34], v[23:24], -v[35:36]
	s_delay_alu instid0(VALU_DEP_3) | instskip(NEXT) | instid1(VALU_DEP_1)
	v_add_f64 v[33:34], v[31:32], v[25:26]
	v_add_f64 v[37:38], v[33:34], -v[31:32]
	s_delay_alu instid0(VALU_DEP_1) | instskip(SKIP_1) | instid1(VALU_DEP_1)
	v_add_f64 v[25:26], v[25:26], -v[37:38]
	v_add_f64 v[37:38], v[33:34], -v[37:38]
	;; [unrolled: 1-line block ×3, first 2 shown]
	v_add_f64 v[37:38], v[27:28], v[33:34]
	s_delay_alu instid0(VALU_DEP_2) | instskip(NEXT) | instid1(VALU_DEP_2)
	v_add_f64 v[25:26], v[25:26], v[31:32]
	v_add_f64 v[27:28], v[37:38], -v[27:28]
	v_add_f64 v[31:32], v[35:36], v[29:30]
	v_ldexp_f64 v[37:38], v[37:38], -2
	s_delay_alu instid0(VALU_DEP_3) | instskip(NEXT) | instid1(VALU_DEP_3)
	v_add_f64 v[27:28], v[33:34], -v[27:28]
	v_add_f64 v[33:34], v[31:32], -v[35:36]
	s_delay_alu instid0(VALU_DEP_3) | instskip(SKIP_1) | instid1(VALU_DEP_3)
	v_cmp_neq_f64_e64 vcc_lo, 0x7ff00000, |v[37:38]|
	v_fract_f64_e32 v[37:38], v[37:38]
	v_add_f64 v[29:30], v[29:30], -v[33:34]
	v_add_f64 v[33:34], v[31:32], -v[33:34]
	s_delay_alu instid0(VALU_DEP_3) | instskip(NEXT) | instid1(VALU_DEP_2)
	v_dual_cndmask_b32 v37, 0, v37 :: v_dual_cndmask_b32 v38, 0, v38
	v_add_f64 v[33:34], v[35:36], -v[33:34]
	v_add_f64 v[35:36], v[31:32], v[25:26]
	s_delay_alu instid0(VALU_DEP_2) | instskip(NEXT) | instid1(VALU_DEP_2)
	v_add_f64 v[29:30], v[29:30], v[33:34]
	v_add_f64 v[47:48], v[35:36], -v[31:32]
	v_add_f64 v[33:34], v[27:28], v[35:36]
	s_delay_alu instid0(VALU_DEP_2) | instskip(SKIP_1) | instid1(VALU_DEP_3)
	v_add_f64 v[25:26], v[25:26], -v[47:48]
	v_add_f64 v[47:48], v[35:36], -v[47:48]
	;; [unrolled: 1-line block ×3, first 2 shown]
	s_delay_alu instid0(VALU_DEP_2) | instskip(NEXT) | instid1(VALU_DEP_2)
	v_add_f64 v[31:32], v[31:32], -v[47:48]
	v_add_f64 v[27:28], v[35:36], -v[27:28]
	s_delay_alu instid0(VALU_DEP_2) | instskip(SKIP_1) | instid1(VALU_DEP_2)
	v_add_f64 v[25:26], v[25:26], v[31:32]
	v_ldexp_f64 v[31:32], v[37:38], 2
	v_add_f64 v[25:26], v[29:30], v[25:26]
	s_delay_alu instid0(VALU_DEP_2) | instskip(NEXT) | instid1(VALU_DEP_2)
	v_add_f64 v[37:38], v[33:34], v[31:32]
	v_add_f64 v[23:24], v[23:24], v[25:26]
	s_delay_alu instid0(VALU_DEP_2) | instskip(NEXT) | instid1(VALU_DEP_2)
	v_cmp_gt_f64_e32 vcc_lo, 0, v[37:38]
	v_add_f64 v[23:24], v[27:28], v[23:24]
	v_cndmask_b32_e64 v18, 0, 0x40100000, vcc_lo
	s_delay_alu instid0(VALU_DEP_1) | instskip(NEXT) | instid1(VALU_DEP_1)
	v_add_f64 v[25:26], v[31:32], v[17:18]
	v_add_f64 v[29:30], v[33:34], v[25:26]
	s_delay_alu instid0(VALU_DEP_1) | instskip(NEXT) | instid1(VALU_DEP_1)
	v_cvt_i32_f64_e32 v31, v[29:30]
	v_cvt_f64_i32_e32 v[29:30], v31
	s_delay_alu instid0(VALU_DEP_1) | instskip(NEXT) | instid1(VALU_DEP_1)
	v_add_f64 v[25:26], v[25:26], -v[29:30]
	v_add_f64 v[27:28], v[33:34], v[25:26]
	s_delay_alu instid0(VALU_DEP_1) | instskip(SKIP_1) | instid1(VALU_DEP_2)
	v_add_f64 v[25:26], v[27:28], -v[25:26]
	v_cmp_le_f64_e32 vcc_lo, 0.5, v[27:28]
	v_add_f64 v[25:26], v[33:34], -v[25:26]
	v_cndmask_b32_e64 v18, 0, 0x3ff00000, vcc_lo
	v_add_co_ci_u32_e32 v31, vcc_lo, 0, v31, vcc_lo
	s_delay_alu instid0(VALU_DEP_2) | instskip(NEXT) | instid1(VALU_DEP_4)
	v_add_f64 v[27:28], v[27:28], -v[17:18]
	v_add_f64 v[23:24], v[23:24], v[25:26]
	s_delay_alu instid0(VALU_DEP_1) | instskip(NEXT) | instid1(VALU_DEP_1)
	v_add_f64 v[25:26], v[27:28], v[23:24]
	v_add_f64 v[27:28], v[25:26], -v[27:28]
	s_delay_alu instid0(VALU_DEP_1) | instskip(SKIP_1) | instid1(VALU_DEP_1)
	v_add_f64 v[23:24], v[23:24], -v[27:28]
	v_mul_f64 v[27:28], v[25:26], s[6:7]
	v_fma_f64 v[29:30], v[25:26], s[6:7], -v[27:28]
	s_delay_alu instid0(VALU_DEP_1) | instskip(NEXT) | instid1(VALU_DEP_1)
	v_fma_f64 v[25:26], v[25:26], s[22:23], v[29:30]
	v_fma_f64 v[25:26], v[23:24], s[6:7], v[25:26]
	s_delay_alu instid0(VALU_DEP_1) | instskip(NEXT) | instid1(VALU_DEP_1)
	v_add_f64 v[23:24], v[27:28], v[25:26]
	v_add_f64 v[27:28], v[23:24], -v[27:28]
	s_delay_alu instid0(VALU_DEP_1)
	v_add_f64 v[25:26], v[25:26], -v[27:28]
	s_and_not1_saveexec_b32 s6, s20
	s_cbranch_execz .LBB162_101
	s_branch .LBB162_100
.LBB162_99:                             ;   in Loop: Header=BB162_4 Depth=1
	s_and_not1_saveexec_b32 s6, s20
	s_cbranch_execz .LBB162_101
.LBB162_100:                            ;   in Loop: Header=BB162_4 Depth=1
	v_mul_f64 v[23:24], |v[15:16]|, s[24:25]
	s_mov_b32 s20, s26
	s_delay_alu instid0(VALU_DEP_1) | instskip(NEXT) | instid1(VALU_DEP_1)
	v_rndne_f64_e32 v[27:28], v[23:24]
	v_fma_f64 v[23:24], v[27:28], s[18:19], |v[15:16]|
	v_mul_f64 v[25:26], v[27:28], s[26:27]
	s_delay_alu instid0(VALU_DEP_2) | instskip(NEXT) | instid1(VALU_DEP_2)
	v_fma_f64 v[31:32], v[27:28], s[26:27], v[23:24]
	v_add_f64 v[29:30], v[23:24], v[25:26]
	s_delay_alu instid0(VALU_DEP_1) | instskip(NEXT) | instid1(VALU_DEP_3)
	v_add_f64 v[23:24], v[23:24], -v[29:30]
	v_add_f64 v[29:30], v[29:30], -v[31:32]
	s_delay_alu instid0(VALU_DEP_2) | instskip(SKIP_1) | instid1(VALU_DEP_2)
	v_add_f64 v[23:24], v[23:24], v[25:26]
	v_fma_f64 v[25:26], v[27:28], s[20:21], v[25:26]
	v_add_f64 v[23:24], v[29:30], v[23:24]
	s_delay_alu instid0(VALU_DEP_1) | instskip(NEXT) | instid1(VALU_DEP_1)
	v_add_f64 v[23:24], v[23:24], -v[25:26]
	v_fma_f64 v[25:26], v[27:28], s[28:29], v[23:24]
	s_delay_alu instid0(VALU_DEP_1) | instskip(NEXT) | instid1(VALU_DEP_1)
	v_add_f64 v[23:24], v[31:32], v[25:26]
	v_add_f64 v[29:30], v[23:24], -v[31:32]
	v_cvt_i32_f64_e32 v31, v[27:28]
	s_delay_alu instid0(VALU_DEP_2)
	v_add_f64 v[25:26], v[25:26], -v[29:30]
.LBB162_101:                            ;   in Loop: Header=BB162_4 Depth=1
	s_or_b32 exec_lo, exec_lo, s6
                                        ; implicit-def: $vgpr18
                                        ; implicit-def: $vgpr27_vgpr28
                                        ; implicit-def: $vgpr29_vgpr30
	s_and_saveexec_b32 s6, s44
	s_delay_alu instid0(SALU_CYCLE_1)
	s_xor_b32 s20, exec_lo, s6
	s_cbranch_execz .LBB162_103
; %bb.102:                              ;   in Loop: Header=BB162_4 Depth=1
	v_ldexp_f64 v[27:28], |v[15:16]|, 0xffffff80
	v_cmp_le_f64_e64 vcc_lo, 0x7b000000, |v[15:16]|
	v_trig_preop_f64 v[29:30], |v[15:16]|, 0
	v_and_b32_e32 v18, 0x7fffffff, v16
	v_trig_preop_f64 v[34:35], |v[15:16]|, 1
	v_trig_preop_f64 v[47:48], |v[15:16]|, 2
	s_mov_b32 s6, s18
	s_mov_b32 s23, s21
	v_dual_cndmask_b32 v27, v15, v27 :: v_dual_cndmask_b32 v28, v18, v28
	s_delay_alu instid0(VALU_DEP_1) | instskip(NEXT) | instid1(VALU_DEP_4)
	v_mul_f64 v[32:33], v[29:30], v[27:28]
	v_mul_f64 v[36:37], v[34:35], v[27:28]
	s_delay_alu instid0(VALU_DEP_4) | instskip(NEXT) | instid1(VALU_DEP_3)
	v_mul_f64 v[49:50], v[47:48], v[27:28]
	v_fma_f64 v[29:30], v[29:30], v[27:28], -v[32:33]
	s_delay_alu instid0(VALU_DEP_3) | instskip(NEXT) | instid1(VALU_DEP_3)
	v_fma_f64 v[34:35], v[34:35], v[27:28], -v[36:37]
	v_fma_f64 v[27:28], v[47:48], v[27:28], -v[49:50]
	s_delay_alu instid0(VALU_DEP_3) | instskip(NEXT) | instid1(VALU_DEP_1)
	v_add_f64 v[47:48], v[36:37], v[29:30]
	v_add_f64 v[51:52], v[47:48], -v[36:37]
	s_delay_alu instid0(VALU_DEP_1) | instskip(SKIP_1) | instid1(VALU_DEP_1)
	v_add_f64 v[29:30], v[29:30], -v[51:52]
	v_add_f64 v[51:52], v[47:48], -v[51:52]
	;; [unrolled: 1-line block ×3, first 2 shown]
	v_add_f64 v[51:52], v[32:33], v[47:48]
	s_delay_alu instid0(VALU_DEP_2) | instskip(NEXT) | instid1(VALU_DEP_2)
	v_add_f64 v[29:30], v[29:30], v[36:37]
	v_add_f64 v[32:33], v[51:52], -v[32:33]
	v_add_f64 v[36:37], v[49:50], v[34:35]
	v_ldexp_f64 v[51:52], v[51:52], -2
	s_delay_alu instid0(VALU_DEP_3) | instskip(NEXT) | instid1(VALU_DEP_3)
	v_add_f64 v[32:33], v[47:48], -v[32:33]
	v_add_f64 v[47:48], v[36:37], -v[49:50]
	s_delay_alu instid0(VALU_DEP_3) | instskip(SKIP_1) | instid1(VALU_DEP_3)
	v_cmp_neq_f64_e64 vcc_lo, 0x7ff00000, |v[51:52]|
	v_fract_f64_e32 v[51:52], v[51:52]
	v_add_f64 v[34:35], v[34:35], -v[47:48]
	v_add_f64 v[47:48], v[36:37], -v[47:48]
	s_delay_alu instid0(VALU_DEP_3) | instskip(NEXT) | instid1(VALU_DEP_2)
	v_dual_cndmask_b32 v51, 0, v51 :: v_dual_cndmask_b32 v52, 0, v52
	v_add_f64 v[47:48], v[49:50], -v[47:48]
	v_add_f64 v[49:50], v[36:37], v[29:30]
	s_delay_alu instid0(VALU_DEP_2) | instskip(NEXT) | instid1(VALU_DEP_2)
	v_add_f64 v[34:35], v[34:35], v[47:48]
	v_add_f64 v[53:54], v[49:50], -v[36:37]
	v_add_f64 v[47:48], v[32:33], v[49:50]
	s_delay_alu instid0(VALU_DEP_2) | instskip(SKIP_1) | instid1(VALU_DEP_3)
	v_add_f64 v[29:30], v[29:30], -v[53:54]
	v_add_f64 v[53:54], v[49:50], -v[53:54]
	;; [unrolled: 1-line block ×3, first 2 shown]
	s_delay_alu instid0(VALU_DEP_2) | instskip(NEXT) | instid1(VALU_DEP_2)
	v_add_f64 v[36:37], v[36:37], -v[53:54]
	v_add_f64 v[32:33], v[49:50], -v[32:33]
	s_delay_alu instid0(VALU_DEP_2) | instskip(SKIP_1) | instid1(VALU_DEP_2)
	v_add_f64 v[29:30], v[29:30], v[36:37]
	v_ldexp_f64 v[36:37], v[51:52], 2
	v_add_f64 v[29:30], v[34:35], v[29:30]
	s_delay_alu instid0(VALU_DEP_2) | instskip(NEXT) | instid1(VALU_DEP_2)
	v_add_f64 v[51:52], v[47:48], v[36:37]
	v_add_f64 v[27:28], v[27:28], v[29:30]
	s_delay_alu instid0(VALU_DEP_2) | instskip(NEXT) | instid1(VALU_DEP_2)
	v_cmp_gt_f64_e32 vcc_lo, 0, v[51:52]
	v_add_f64 v[27:28], v[32:33], v[27:28]
	v_cndmask_b32_e64 v18, 0, 0x40100000, vcc_lo
	s_delay_alu instid0(VALU_DEP_1) | instskip(NEXT) | instid1(VALU_DEP_1)
	v_add_f64 v[29:30], v[36:37], v[17:18]
	v_add_f64 v[34:35], v[47:48], v[29:30]
	s_delay_alu instid0(VALU_DEP_1) | instskip(NEXT) | instid1(VALU_DEP_1)
	v_cvt_i32_f64_e32 v36, v[34:35]
	v_cvt_f64_i32_e32 v[34:35], v36
	s_delay_alu instid0(VALU_DEP_1) | instskip(NEXT) | instid1(VALU_DEP_1)
	v_add_f64 v[29:30], v[29:30], -v[34:35]
	v_add_f64 v[32:33], v[47:48], v[29:30]
	s_delay_alu instid0(VALU_DEP_1) | instskip(SKIP_1) | instid1(VALU_DEP_2)
	v_add_f64 v[29:30], v[32:33], -v[29:30]
	v_cmp_le_f64_e32 vcc_lo, 0.5, v[32:33]
	v_add_f64 v[29:30], v[47:48], -v[29:30]
	v_cndmask_b32_e64 v18, 0, 0x3ff00000, vcc_lo
	s_delay_alu instid0(VALU_DEP_1) | instskip(SKIP_1) | instid1(VALU_DEP_4)
	v_add_f64 v[32:33], v[32:33], -v[17:18]
	v_add_co_ci_u32_e32 v18, vcc_lo, 0, v36, vcc_lo
	v_add_f64 v[27:28], v[27:28], v[29:30]
	s_delay_alu instid0(VALU_DEP_1) | instskip(NEXT) | instid1(VALU_DEP_1)
	v_add_f64 v[29:30], v[32:33], v[27:28]
	v_add_f64 v[32:33], v[29:30], -v[32:33]
	s_delay_alu instid0(VALU_DEP_1) | instskip(SKIP_1) | instid1(VALU_DEP_1)
	v_add_f64 v[27:28], v[27:28], -v[32:33]
	v_mul_f64 v[32:33], v[29:30], s[6:7]
	v_fma_f64 v[34:35], v[29:30], s[6:7], -v[32:33]
	s_delay_alu instid0(VALU_DEP_1) | instskip(NEXT) | instid1(VALU_DEP_1)
	v_fma_f64 v[29:30], v[29:30], s[22:23], v[34:35]
	v_fma_f64 v[29:30], v[27:28], s[6:7], v[29:30]
	s_delay_alu instid0(VALU_DEP_1) | instskip(NEXT) | instid1(VALU_DEP_1)
	v_add_f64 v[27:28], v[32:33], v[29:30]
	v_add_f64 v[32:33], v[27:28], -v[32:33]
	s_delay_alu instid0(VALU_DEP_1)
	v_add_f64 v[29:30], v[29:30], -v[32:33]
	s_and_not1_saveexec_b32 s6, s20
	s_cbranch_execnz .LBB162_104
	s_branch .LBB162_105
.LBB162_103:                            ;   in Loop: Header=BB162_4 Depth=1
	s_and_not1_saveexec_b32 s6, s20
	s_cbranch_execz .LBB162_105
.LBB162_104:                            ;   in Loop: Header=BB162_4 Depth=1
	v_mul_f64 v[27:28], |v[15:16]|, s[24:25]
	s_mov_b32 s20, s26
	s_delay_alu instid0(VALU_DEP_1) | instskip(NEXT) | instid1(VALU_DEP_1)
	v_rndne_f64_e32 v[32:33], v[27:28]
	v_fma_f64 v[27:28], v[32:33], s[18:19], |v[15:16]|
	v_mul_f64 v[29:30], v[32:33], s[26:27]
	v_cvt_i32_f64_e32 v18, v[32:33]
	s_delay_alu instid0(VALU_DEP_3) | instskip(NEXT) | instid1(VALU_DEP_3)
	v_fma_f64 v[36:37], v[32:33], s[26:27], v[27:28]
	v_add_f64 v[34:35], v[27:28], v[29:30]
	s_delay_alu instid0(VALU_DEP_1) | instskip(NEXT) | instid1(VALU_DEP_3)
	v_add_f64 v[27:28], v[27:28], -v[34:35]
	v_add_f64 v[34:35], v[34:35], -v[36:37]
	s_delay_alu instid0(VALU_DEP_2) | instskip(SKIP_1) | instid1(VALU_DEP_2)
	v_add_f64 v[27:28], v[27:28], v[29:30]
	v_fma_f64 v[29:30], v[32:33], s[20:21], v[29:30]
	v_add_f64 v[27:28], v[34:35], v[27:28]
	s_delay_alu instid0(VALU_DEP_1) | instskip(NEXT) | instid1(VALU_DEP_1)
	v_add_f64 v[27:28], v[27:28], -v[29:30]
	v_fma_f64 v[29:30], v[32:33], s[28:29], v[27:28]
	s_delay_alu instid0(VALU_DEP_1) | instskip(NEXT) | instid1(VALU_DEP_1)
	v_add_f64 v[27:28], v[36:37], v[29:30]
	v_add_f64 v[34:35], v[27:28], -v[36:37]
	s_delay_alu instid0(VALU_DEP_1)
	v_add_f64 v[29:30], v[29:30], -v[34:35]
.LBB162_105:                            ;   in Loop: Header=BB162_4 Depth=1
	s_or_b32 exec_lo, exec_lo, s6
	v_mul_f64 v[32:33], v[23:24], v[23:24]
	s_delay_alu instid0(VALU_DEP_2) | instskip(NEXT) | instid1(VALU_DEP_3)
	v_mul_f64 v[49:50], v[25:26], 0.5
	v_mul_f64 v[55:56], v[29:30], 0.5
	s_mov_b32 s44, s46
	s_mov_b32 s87, s43
	;; [unrolled: 1-line block ×4, first 2 shown]
	s_delay_alu instid0(VALU_DEP_3) | instskip(SKIP_1) | instid1(VALU_DEP_2)
	v_mul_f64 v[34:35], v[32:33], 0.5
	v_mul_f64 v[51:52], v[23:24], -v[32:33]
	v_add_f64 v[36:37], -v[34:35], 1.0
	s_delay_alu instid0(VALU_DEP_1) | instskip(NEXT) | instid1(VALU_DEP_1)
	v_add_f64 v[47:48], -v[36:37], 1.0
	v_add_f64 v[34:35], v[47:48], -v[34:35]
	v_fma_f64 v[47:48], v[32:33], s[34:35], s[30:31]
	s_delay_alu instid0(VALU_DEP_2) | instskip(NEXT) | instid1(VALU_DEP_2)
	v_fma_f64 v[34:35], v[23:24], -v[25:26], v[34:35]
	v_fma_f64 v[47:48], v[32:33], v[47:48], s[36:37]
	s_delay_alu instid0(VALU_DEP_1) | instskip(NEXT) | instid1(VALU_DEP_1)
	v_fma_f64 v[47:48], v[32:33], v[47:48], s[38:39]
	v_fma_f64 v[47:48], v[32:33], v[47:48], s[42:43]
	s_delay_alu instid0(VALU_DEP_1) | instskip(NEXT) | instid1(VALU_DEP_1)
	v_fma_f64 v[47:48], v[51:52], v[47:48], v[49:50]
	v_fma_f64 v[25:26], v[32:33], v[47:48], -v[25:26]
	v_fma_f64 v[47:48], v[32:33], s[98:99], s[96:97]
	s_delay_alu instid0(VALU_DEP_2) | instskip(NEXT) | instid1(VALU_DEP_2)
	v_fma_f64 v[25:26], v[51:52], s[44:45], v[25:26]
	v_fma_f64 v[47:48], v[32:33], v[47:48], s[100:101]
	s_delay_alu instid0(VALU_DEP_2) | instskip(NEXT) | instid1(VALU_DEP_2)
	v_add_f64 v[23:24], v[23:24], -v[25:26]
	v_fma_f64 v[47:48], v[32:33], v[47:48], s[102:103]
	s_delay_alu instid0(VALU_DEP_1) | instskip(NEXT) | instid1(VALU_DEP_1)
	v_fma_f64 v[47:48], v[32:33], v[47:48], s[10:11]
	v_fma_f64 v[47:48], v[32:33], v[47:48], s[46:47]
	v_mul_f64 v[32:33], v[32:33], v[32:33]
	s_delay_alu instid0(VALU_DEP_1) | instskip(SKIP_1) | instid1(VALU_DEP_2)
	v_fma_f64 v[32:33], v[32:33], v[47:48], v[34:35]
	v_mul_f64 v[34:35], v[27:28], v[27:28]
	v_add_f64 v[32:33], v[36:37], v[32:33]
	s_delay_alu instid0(VALU_DEP_2) | instskip(SKIP_2) | instid1(VALU_DEP_1)
	v_mul_f64 v[47:48], v[34:35], 0.5
	v_mul_f64 v[57:58], v[27:28], -v[34:35]
	v_and_b32_e32 v15, 1, v31
	v_cmp_eq_u32_e32 vcc_lo, 0, v15
	v_cndmask_b32_e32 v24, v33, v24, vcc_lo
	v_add_f64 v[49:50], -v[47:48], 1.0
	v_cndmask_b32_e32 v15, v32, v23, vcc_lo
	s_delay_alu instid0(VALU_DEP_2) | instskip(NEXT) | instid1(VALU_DEP_1)
	v_add_f64 v[53:54], -v[49:50], 1.0
	v_add_f64 v[47:48], v[53:54], -v[47:48]
	v_fma_f64 v[53:54], v[34:35], s[34:35], s[30:31]
	s_delay_alu instid0(VALU_DEP_2) | instskip(NEXT) | instid1(VALU_DEP_2)
	v_fma_f64 v[47:48], v[27:28], -v[29:30], v[47:48]
	v_fma_f64 v[53:54], v[34:35], v[53:54], s[36:37]
	s_delay_alu instid0(VALU_DEP_1) | instskip(NEXT) | instid1(VALU_DEP_1)
	v_fma_f64 v[53:54], v[34:35], v[53:54], s[38:39]
	v_fma_f64 v[53:54], v[34:35], v[53:54], s[42:43]
	s_delay_alu instid0(VALU_DEP_1) | instskip(NEXT) | instid1(VALU_DEP_1)
	v_fma_f64 v[53:54], v[57:58], v[53:54], v[55:56]
	v_fma_f64 v[29:30], v[34:35], v[53:54], -v[29:30]
	v_fma_f64 v[53:54], v[34:35], s[98:99], s[96:97]
	s_delay_alu instid0(VALU_DEP_2) | instskip(NEXT) | instid1(VALU_DEP_2)
	v_fma_f64 v[29:30], v[57:58], s[44:45], v[29:30]
	v_fma_f64 v[53:54], v[34:35], v[53:54], s[100:101]
	s_delay_alu instid0(VALU_DEP_2) | instskip(NEXT) | instid1(VALU_DEP_2)
	v_add_f64 v[25:26], v[27:28], -v[29:30]
	v_fma_f64 v[53:54], v[34:35], v[53:54], s[102:103]
	s_delay_alu instid0(VALU_DEP_1) | instskip(NEXT) | instid1(VALU_DEP_1)
	v_fma_f64 v[53:54], v[34:35], v[53:54], s[10:11]
	v_fma_f64 v[53:54], v[34:35], v[53:54], s[46:47]
	v_mul_f64 v[34:35], v[34:35], v[34:35]
	s_delay_alu instid0(VALU_DEP_1) | instskip(NEXT) | instid1(VALU_DEP_1)
	v_fma_f64 v[34:35], v[34:35], v[53:54], v[47:48]
	v_add_f64 v[27:28], v[49:50], v[34:35]
	v_lshlrev_b32_e32 v23, 30, v31
	s_delay_alu instid0(VALU_DEP_1) | instskip(SKIP_2) | instid1(VALU_DEP_3)
	v_xor_b32_e32 v16, v23, v16
	v_and_b32_e32 v23, 1, v18
	v_lshlrev_b32_e32 v18, 30, v18
	v_and_b32_e32 v16, 0x80000000, v16
	s_delay_alu instid0(VALU_DEP_3) | instskip(NEXT) | instid1(VALU_DEP_2)
	v_cmp_eq_u32_e32 vcc_lo, 0, v23
	v_xor_b32_e32 v16, v24, v16
	v_xor_b32_e32 v24, 0x80000000, v26
	s_delay_alu instid0(VALU_DEP_2) | instskip(SKIP_2) | instid1(VALU_DEP_4)
	v_mul_f64 v[15:16], v[15:16], 4.0
	v_cndmask_b32_e32 v23, v25, v27, vcc_lo
	v_mul_f64 v[25:26], |v[13:14]|, s[68:69]
	v_cndmask_b32_e32 v24, v24, v28, vcc_lo
	v_cmp_nlt_f64_e64 vcc_lo, 0x4090cc00, |v[13:14]|
	v_and_b32_e32 v18, 0x80000000, v18
	s_delay_alu instid0(VALU_DEP_1) | instskip(NEXT) | instid1(VALU_DEP_1)
	v_xor_b32_e32 v24, v24, v18
	v_mul_f64 v[15:16], v[15:16], v[23:24]
	v_rndne_f64_e32 v[25:26], v[25:26]
	s_delay_alu instid0(VALU_DEP_1) | instskip(SKIP_1) | instid1(VALU_DEP_2)
	v_fma_f64 v[27:28], v[25:26], s[40:41], -|v[13:14]|
	v_cvt_i32_f64_e32 v18, v[25:26]
	v_fma_f64 v[27:28], v[25:26], s[64:65], v[27:28]
	s_delay_alu instid0(VALU_DEP_1) | instskip(NEXT) | instid1(VALU_DEP_1)
	v_fma_f64 v[29:30], v[27:28], s[76:77], s[74:75]
	v_fma_f64 v[29:30], v[27:28], v[29:30], s[78:79]
	s_delay_alu instid0(VALU_DEP_1) | instskip(NEXT) | instid1(VALU_DEP_1)
	v_fma_f64 v[29:30], v[27:28], v[29:30], s[80:81]
	;; [unrolled: 3-line block ×5, first 2 shown]
	v_fma_f64 v[29:30], v[27:28], v[29:30], 1.0
	s_delay_alu instid0(VALU_DEP_1) | instskip(NEXT) | instid1(VALU_DEP_1)
	v_fma_f64 v[27:28], v[27:28], v[29:30], 1.0
	v_ldexp_f64 v[25:26], v[27:28], v18
	v_bfi_b32 v18, 0x7fffffff, s6, v14
	s_delay_alu instid0(VALU_DEP_1) | instskip(NEXT) | instid1(VALU_DEP_3)
	v_dual_mov_b32 v13, v17 :: v_dual_mov_b32 v14, v18
	v_dual_cndmask_b32 v23, 0, v25 :: v_dual_cndmask_b32 v24, 0, v26
	s_delay_alu instid0(VALU_DEP_1) | instskip(NEXT) | instid1(VALU_DEP_1)
	v_mul_f64 v[15:16], v[23:24], v[15:16]
	v_mul_f64 v[15:16], v[23:24], v[15:16]
.LBB162_106:                            ;   in Loop: Header=BB162_4 Depth=1
	s_or_b32 exec_lo, exec_lo, s51
.LBB162_107:                            ;   in Loop: Header=BB162_4 Depth=1
	s_and_not1_saveexec_b32 s6, s50
; %bb.108:                              ;   in Loop: Header=BB162_4 Depth=1
	s_delay_alu instid0(VALU_DEP_1) | instskip(NEXT) | instid1(VALU_DEP_1)
	v_add_f64 v[15:16], v[15:16], -v[15:16]
	v_dual_mov_b32 v13, v15 :: v_dual_mov_b32 v14, v16
; %bb.109:                              ;   in Loop: Header=BB162_4 Depth=1
	s_or_b32 exec_lo, exec_lo, s6
.LBB162_110:                            ;   in Loop: Header=BB162_4 Depth=1
	s_and_not1_saveexec_b32 s49, s49
	s_cbranch_execz .LBB162_126
; %bb.111:                              ;   in Loop: Header=BB162_4 Depth=1
	s_delay_alu instid0(VALU_DEP_1) | instskip(SKIP_1) | instid1(VALU_DEP_1)
	v_and_or_b32 v18, 0xfffff, v14, v13
	s_mov_b32 s6, exec_lo
	v_cmpx_ne_u32_e32 0, v18
	s_xor_b32 s6, exec_lo, s6
; %bb.112:                              ;   in Loop: Header=BB162_4 Depth=1
	v_mul_f64 v[23:24], v[15:16], v[13:14]
	v_cmp_eq_f64_e32 vcc_lo, 0, v[15:16]
	s_delay_alu instid0(VALU_DEP_2)
	v_dual_cndmask_b32 v16, v24, v16 :: v_dual_cndmask_b32 v15, v23, v15
; %bb.113:                              ;   in Loop: Header=BB162_4 Depth=1
	s_and_not1_saveexec_b32 s50, s6
	s_cbranch_execz .LBB162_125
; %bb.114:                              ;   in Loop: Header=BB162_4 Depth=1
	s_mov_b32 s51, exec_lo
	s_delay_alu instid0(VALU_DEP_1)
	v_cmpx_neq_f64_e64 0x7ff00000, |v[15:16]|
	s_cbranch_execz .LBB162_124
; %bb.115:                              ;   in Loop: Header=BB162_4 Depth=1
	v_cmp_ngt_f64_e64 s44, 0x41d00000, |v[15:16]|
	v_trig_preop_f64 v[31:32], |v[15:16]|, 0
	v_trig_preop_f64 v[29:30], |v[15:16]|, 1
	v_ldexp_f64 v[33:34], |v[15:16]|, 0xffffff80
	v_trig_preop_f64 v[27:28], |v[15:16]|, 2
	v_and_b32_e32 v48, 0x7fffffff, v16
                                        ; implicit-def: $vgpr47
                                        ; implicit-def: $vgpr23_vgpr24
                                        ; implicit-def: $vgpr25_vgpr26
	s_and_saveexec_b32 s6, s44
	s_delay_alu instid0(SALU_CYCLE_1)
	s_xor_b32 s20, exec_lo, s6
	s_cbranch_execz .LBB162_117
; %bb.116:                              ;   in Loop: Header=BB162_4 Depth=1
	v_cmp_le_f64_e64 vcc_lo, 0x7b000000, |v[15:16]|
	s_mov_b32 s6, s18
	s_mov_b32 s23, s21
	s_delay_alu instid0(VALU_DEP_4) | instskip(NEXT) | instid1(VALU_DEP_1)
	v_dual_cndmask_b32 v24, v48, v34 :: v_dual_cndmask_b32 v23, v15, v33
	v_mul_f64 v[25:26], v[31:32], v[23:24]
	v_mul_f64 v[35:36], v[29:30], v[23:24]
	s_delay_alu instid0(VALU_DEP_2) | instskip(NEXT) | instid1(VALU_DEP_1)
	v_fma_f64 v[37:38], v[31:32], v[23:24], -v[25:26]
	v_add_f64 v[49:50], v[35:36], v[37:38]
	s_delay_alu instid0(VALU_DEP_1) | instskip(SKIP_1) | instid1(VALU_DEP_2)
	v_add_f64 v[51:52], v[49:50], -v[35:36]
	v_add_f64 v[53:54], v[25:26], v[49:50]
	v_add_f64 v[37:38], v[37:38], -v[51:52]
	s_delay_alu instid0(VALU_DEP_2) | instskip(SKIP_1) | instid1(VALU_DEP_2)
	v_add_f64 v[25:26], v[53:54], -v[25:26]
	v_add_f64 v[51:52], v[49:50], -v[51:52]
	;; [unrolled: 1-line block ×3, first 2 shown]
	s_delay_alu instid0(VALU_DEP_2) | instskip(SKIP_2) | instid1(VALU_DEP_3)
	v_add_f64 v[49:50], v[35:36], -v[51:52]
	v_fma_f64 v[35:36], v[29:30], v[23:24], -v[35:36]
	v_mul_f64 v[51:52], v[27:28], v[23:24]
	v_add_f64 v[37:38], v[37:38], v[49:50]
	v_ldexp_f64 v[49:50], v[53:54], -2
	s_delay_alu instid0(VALU_DEP_3) | instskip(SKIP_1) | instid1(VALU_DEP_3)
	v_add_f64 v[53:54], v[51:52], v[35:36]
	v_fma_f64 v[23:24], v[27:28], v[23:24], -v[51:52]
	v_cmp_neq_f64_e64 vcc_lo, 0x7ff00000, |v[49:50]|
	s_delay_alu instid0(VALU_DEP_3) | instskip(SKIP_2) | instid1(VALU_DEP_3)
	v_add_f64 v[57:58], v[53:54], v[37:38]
	v_add_f64 v[55:56], v[53:54], -v[51:52]
	v_fract_f64_e32 v[49:50], v[49:50]
	v_add_f64 v[59:60], v[57:58], -v[53:54]
	s_delay_alu instid0(VALU_DEP_3) | instskip(SKIP_1) | instid1(VALU_DEP_4)
	v_add_f64 v[35:36], v[35:36], -v[55:56]
	v_add_f64 v[55:56], v[53:54], -v[55:56]
	v_dual_cndmask_b32 v50, 0, v50 :: v_dual_cndmask_b32 v49, 0, v49
	s_delay_alu instid0(VALU_DEP_1) | instskip(SKIP_4) | instid1(VALU_DEP_3)
	v_ldexp_f64 v[49:50], v[49:50], 2
	v_add_f64 v[37:38], v[37:38], -v[59:60]
	v_add_f64 v[59:60], v[57:58], -v[59:60]
	;; [unrolled: 1-line block ×3, first 2 shown]
	v_add_f64 v[51:52], v[25:26], v[57:58]
	v_add_f64 v[53:54], v[53:54], -v[59:60]
	s_delay_alu instid0(VALU_DEP_3) | instskip(NEXT) | instid1(VALU_DEP_3)
	v_add_f64 v[35:36], v[35:36], v[55:56]
	v_add_f64 v[25:26], v[51:52], -v[25:26]
	s_delay_alu instid0(VALU_DEP_3) | instskip(SKIP_1) | instid1(VALU_DEP_3)
	v_add_f64 v[37:38], v[37:38], v[53:54]
	v_add_f64 v[53:54], v[51:52], v[49:50]
	v_add_f64 v[25:26], v[57:58], -v[25:26]
	s_delay_alu instid0(VALU_DEP_3) | instskip(NEXT) | instid1(VALU_DEP_3)
	v_add_f64 v[35:36], v[35:36], v[37:38]
	v_cmp_gt_f64_e32 vcc_lo, 0, v[53:54]
	s_delay_alu instid0(VALU_DEP_2) | instskip(SKIP_1) | instid1(VALU_DEP_1)
	v_add_f64 v[23:24], v[23:24], v[35:36]
	v_cndmask_b32_e64 v18, 0, 0x40100000, vcc_lo
	v_add_f64 v[35:36], v[49:50], v[17:18]
	s_delay_alu instid0(VALU_DEP_3) | instskip(NEXT) | instid1(VALU_DEP_2)
	v_add_f64 v[23:24], v[25:26], v[23:24]
	v_add_f64 v[37:38], v[51:52], v[35:36]
	s_delay_alu instid0(VALU_DEP_1) | instskip(NEXT) | instid1(VALU_DEP_1)
	v_cvt_i32_f64_e32 v47, v[37:38]
	v_cvt_f64_i32_e32 v[37:38], v47
	s_delay_alu instid0(VALU_DEP_1) | instskip(NEXT) | instid1(VALU_DEP_1)
	v_add_f64 v[35:36], v[35:36], -v[37:38]
	v_add_f64 v[25:26], v[51:52], v[35:36]
	s_delay_alu instid0(VALU_DEP_1) | instskip(SKIP_1) | instid1(VALU_DEP_2)
	v_add_f64 v[35:36], v[25:26], -v[35:36]
	v_cmp_le_f64_e32 vcc_lo, 0.5, v[25:26]
	v_add_f64 v[35:36], v[51:52], -v[35:36]
	v_cndmask_b32_e64 v18, 0, 0x3ff00000, vcc_lo
	v_add_co_ci_u32_e32 v47, vcc_lo, 0, v47, vcc_lo
	s_delay_alu instid0(VALU_DEP_2) | instskip(NEXT) | instid1(VALU_DEP_4)
	v_add_f64 v[25:26], v[25:26], -v[17:18]
	v_add_f64 v[23:24], v[23:24], v[35:36]
	s_delay_alu instid0(VALU_DEP_1) | instskip(NEXT) | instid1(VALU_DEP_1)
	v_add_f64 v[35:36], v[25:26], v[23:24]
	v_add_f64 v[25:26], v[35:36], -v[25:26]
	s_delay_alu instid0(VALU_DEP_1) | instskip(SKIP_1) | instid1(VALU_DEP_1)
	v_add_f64 v[23:24], v[23:24], -v[25:26]
	v_mul_f64 v[25:26], v[35:36], s[6:7]
	v_fma_f64 v[37:38], v[35:36], s[6:7], -v[25:26]
	s_delay_alu instid0(VALU_DEP_1) | instskip(NEXT) | instid1(VALU_DEP_1)
	v_fma_f64 v[35:36], v[35:36], s[22:23], v[37:38]
	v_fma_f64 v[35:36], v[23:24], s[6:7], v[35:36]
	s_delay_alu instid0(VALU_DEP_1) | instskip(NEXT) | instid1(VALU_DEP_1)
	v_add_f64 v[23:24], v[25:26], v[35:36]
	v_add_f64 v[25:26], v[23:24], -v[25:26]
	s_delay_alu instid0(VALU_DEP_1)
	v_add_f64 v[25:26], v[35:36], -v[25:26]
	s_and_not1_saveexec_b32 s6, s20
	s_cbranch_execz .LBB162_119
	s_branch .LBB162_118
.LBB162_117:                            ;   in Loop: Header=BB162_4 Depth=1
	s_and_not1_saveexec_b32 s6, s20
	s_cbranch_execz .LBB162_119
.LBB162_118:                            ;   in Loop: Header=BB162_4 Depth=1
	v_mul_f64 v[23:24], |v[15:16]|, s[24:25]
	s_mov_b32 s20, s26
	s_delay_alu instid0(VALU_DEP_1) | instskip(NEXT) | instid1(VALU_DEP_1)
	v_rndne_f64_e32 v[35:36], v[23:24]
	v_fma_f64 v[23:24], v[35:36], s[18:19], |v[15:16]|
	v_mul_f64 v[25:26], v[35:36], s[26:27]
	v_cvt_i32_f64_e32 v47, v[35:36]
	s_delay_alu instid0(VALU_DEP_3) | instskip(NEXT) | instid1(VALU_DEP_3)
	v_fma_f64 v[49:50], v[35:36], s[26:27], v[23:24]
	v_add_f64 v[37:38], v[23:24], v[25:26]
	s_delay_alu instid0(VALU_DEP_1) | instskip(NEXT) | instid1(VALU_DEP_3)
	v_add_f64 v[23:24], v[23:24], -v[37:38]
	v_add_f64 v[37:38], v[37:38], -v[49:50]
	s_delay_alu instid0(VALU_DEP_2) | instskip(SKIP_1) | instid1(VALU_DEP_2)
	v_add_f64 v[23:24], v[23:24], v[25:26]
	v_fma_f64 v[25:26], v[35:36], s[20:21], v[25:26]
	v_add_f64 v[23:24], v[37:38], v[23:24]
	s_delay_alu instid0(VALU_DEP_1) | instskip(NEXT) | instid1(VALU_DEP_1)
	v_add_f64 v[23:24], v[23:24], -v[25:26]
	v_fma_f64 v[25:26], v[35:36], s[28:29], v[23:24]
	s_delay_alu instid0(VALU_DEP_1) | instskip(NEXT) | instid1(VALU_DEP_1)
	v_add_f64 v[23:24], v[49:50], v[25:26]
	v_add_f64 v[37:38], v[23:24], -v[49:50]
	s_delay_alu instid0(VALU_DEP_1)
	v_add_f64 v[25:26], v[25:26], -v[37:38]
.LBB162_119:                            ;   in Loop: Header=BB162_4 Depth=1
	s_or_b32 exec_lo, exec_lo, s6
                                        ; implicit-def: $vgpr18
                                        ; implicit-def: $vgpr35_vgpr36
                                        ; implicit-def: $vgpr37_vgpr38
	s_and_saveexec_b32 s6, s44
	s_delay_alu instid0(SALU_CYCLE_1)
	s_xor_b32 s20, exec_lo, s6
	s_cbranch_execz .LBB162_121
; %bb.120:                              ;   in Loop: Header=BB162_4 Depth=1
	v_cmp_le_f64_e64 vcc_lo, 0x7b000000, |v[15:16]|
	s_mov_b32 s6, s18
	s_mov_b32 s23, s21
	s_delay_alu instid0(VALU_DEP_4) | instskip(NEXT) | instid1(VALU_DEP_1)
	v_dual_cndmask_b32 v34, v48, v34 :: v_dual_cndmask_b32 v33, v15, v33
	v_mul_f64 v[35:36], v[31:32], v[33:34]
	v_mul_f64 v[37:38], v[29:30], v[33:34]
	;; [unrolled: 1-line block ×3, first 2 shown]
	s_delay_alu instid0(VALU_DEP_3) | instskip(NEXT) | instid1(VALU_DEP_3)
	v_fma_f64 v[31:32], v[31:32], v[33:34], -v[35:36]
	v_fma_f64 v[29:30], v[29:30], v[33:34], -v[37:38]
	s_delay_alu instid0(VALU_DEP_3) | instskip(NEXT) | instid1(VALU_DEP_3)
	v_fma_f64 v[27:28], v[27:28], v[33:34], -v[48:49]
	v_add_f64 v[33:34], v[37:38], v[31:32]
	s_delay_alu instid0(VALU_DEP_1) | instskip(NEXT) | instid1(VALU_DEP_1)
	v_add_f64 v[50:51], v[33:34], -v[37:38]
	v_add_f64 v[31:32], v[31:32], -v[50:51]
	;; [unrolled: 1-line block ×3, first 2 shown]
	s_delay_alu instid0(VALU_DEP_1) | instskip(SKIP_1) | instid1(VALU_DEP_2)
	v_add_f64 v[37:38], v[37:38], -v[50:51]
	v_add_f64 v[50:51], v[35:36], v[33:34]
	v_add_f64 v[31:32], v[31:32], v[37:38]
	s_delay_alu instid0(VALU_DEP_2) | instskip(SKIP_1) | instid1(VALU_DEP_2)
	v_add_f64 v[35:36], v[50:51], -v[35:36]
	v_ldexp_f64 v[50:51], v[50:51], -2
	v_add_f64 v[33:34], v[33:34], -v[35:36]
	v_add_f64 v[35:36], v[48:49], v[29:30]
	s_delay_alu instid0(VALU_DEP_3) | instskip(SKIP_1) | instid1(VALU_DEP_3)
	v_cmp_neq_f64_e64 vcc_lo, 0x7ff00000, |v[50:51]|
	v_fract_f64_e32 v[50:51], v[50:51]
	v_add_f64 v[37:38], v[35:36], -v[48:49]
	s_delay_alu instid0(VALU_DEP_2) | instskip(NEXT) | instid1(VALU_DEP_2)
	v_dual_cndmask_b32 v51, 0, v51 :: v_dual_cndmask_b32 v50, 0, v50
	v_add_f64 v[29:30], v[29:30], -v[37:38]
	v_add_f64 v[37:38], v[35:36], -v[37:38]
	s_delay_alu instid0(VALU_DEP_1) | instskip(SKIP_1) | instid1(VALU_DEP_2)
	v_add_f64 v[37:38], v[48:49], -v[37:38]
	v_add_f64 v[48:49], v[35:36], v[31:32]
	v_add_f64 v[29:30], v[29:30], v[37:38]
	s_delay_alu instid0(VALU_DEP_2) | instskip(SKIP_1) | instid1(VALU_DEP_2)
	v_add_f64 v[52:53], v[48:49], -v[35:36]
	v_add_f64 v[37:38], v[33:34], v[48:49]
	v_add_f64 v[31:32], v[31:32], -v[52:53]
	v_add_f64 v[52:53], v[48:49], -v[52:53]
	s_delay_alu instid0(VALU_DEP_1) | instskip(NEXT) | instid1(VALU_DEP_1)
	v_add_f64 v[35:36], v[35:36], -v[52:53]
	v_add_f64 v[31:32], v[31:32], v[35:36]
	v_ldexp_f64 v[35:36], v[50:51], 2
	s_delay_alu instid0(VALU_DEP_2) | instskip(NEXT) | instid1(VALU_DEP_2)
	v_add_f64 v[29:30], v[29:30], v[31:32]
	v_add_f64 v[50:51], v[37:38], v[35:36]
	v_add_f64 v[31:32], v[37:38], -v[33:34]
	s_delay_alu instid0(VALU_DEP_3) | instskip(NEXT) | instid1(VALU_DEP_3)
	v_add_f64 v[27:28], v[27:28], v[29:30]
	v_cmp_gt_f64_e32 vcc_lo, 0, v[50:51]
	s_delay_alu instid0(VALU_DEP_3) | instskip(SKIP_1) | instid1(VALU_DEP_2)
	v_add_f64 v[31:32], v[48:49], -v[31:32]
	v_cndmask_b32_e64 v18, 0, 0x40100000, vcc_lo
	v_add_f64 v[27:28], v[31:32], v[27:28]
	s_delay_alu instid0(VALU_DEP_2) | instskip(NEXT) | instid1(VALU_DEP_1)
	v_add_f64 v[29:30], v[35:36], v[17:18]
	v_add_f64 v[33:34], v[37:38], v[29:30]
	s_delay_alu instid0(VALU_DEP_1) | instskip(NEXT) | instid1(VALU_DEP_1)
	v_cvt_i32_f64_e32 v48, v[33:34]
	v_cvt_f64_i32_e32 v[33:34], v48
	s_delay_alu instid0(VALU_DEP_1) | instskip(NEXT) | instid1(VALU_DEP_1)
	v_add_f64 v[29:30], v[29:30], -v[33:34]
	v_add_f64 v[31:32], v[37:38], v[29:30]
	s_delay_alu instid0(VALU_DEP_1) | instskip(SKIP_1) | instid1(VALU_DEP_2)
	v_add_f64 v[29:30], v[31:32], -v[29:30]
	v_cmp_le_f64_e32 vcc_lo, 0.5, v[31:32]
	v_add_f64 v[29:30], v[37:38], -v[29:30]
	v_cndmask_b32_e64 v18, 0, 0x3ff00000, vcc_lo
	s_delay_alu instid0(VALU_DEP_1) | instskip(SKIP_1) | instid1(VALU_DEP_4)
	v_add_f64 v[31:32], v[31:32], -v[17:18]
	v_add_co_ci_u32_e32 v18, vcc_lo, 0, v48, vcc_lo
	v_add_f64 v[27:28], v[27:28], v[29:30]
	s_delay_alu instid0(VALU_DEP_1) | instskip(NEXT) | instid1(VALU_DEP_1)
	v_add_f64 v[29:30], v[31:32], v[27:28]
	v_add_f64 v[31:32], v[29:30], -v[31:32]
	s_delay_alu instid0(VALU_DEP_1) | instskip(SKIP_1) | instid1(VALU_DEP_1)
	v_add_f64 v[27:28], v[27:28], -v[31:32]
	v_mul_f64 v[31:32], v[29:30], s[6:7]
	v_fma_f64 v[33:34], v[29:30], s[6:7], -v[31:32]
	s_delay_alu instid0(VALU_DEP_1) | instskip(NEXT) | instid1(VALU_DEP_1)
	v_fma_f64 v[29:30], v[29:30], s[22:23], v[33:34]
	v_fma_f64 v[27:28], v[27:28], s[6:7], v[29:30]
	s_delay_alu instid0(VALU_DEP_1) | instskip(NEXT) | instid1(VALU_DEP_1)
	v_add_f64 v[35:36], v[31:32], v[27:28]
	v_add_f64 v[29:30], v[35:36], -v[31:32]
	s_delay_alu instid0(VALU_DEP_1)
	v_add_f64 v[37:38], v[27:28], -v[29:30]
	s_and_not1_saveexec_b32 s6, s20
	s_cbranch_execnz .LBB162_122
	s_branch .LBB162_123
.LBB162_121:                            ;   in Loop: Header=BB162_4 Depth=1
	s_and_not1_saveexec_b32 s6, s20
	s_cbranch_execz .LBB162_123
.LBB162_122:                            ;   in Loop: Header=BB162_4 Depth=1
	v_mul_f64 v[27:28], |v[15:16]|, s[24:25]
	s_mov_b32 s20, s26
	s_delay_alu instid0(VALU_DEP_1) | instskip(NEXT) | instid1(VALU_DEP_1)
	v_rndne_f64_e32 v[27:28], v[27:28]
	v_fma_f64 v[29:30], v[27:28], s[18:19], |v[15:16]|
	v_mul_f64 v[31:32], v[27:28], s[26:27]
	v_cvt_i32_f64_e32 v18, v[27:28]
	s_delay_alu instid0(VALU_DEP_3) | instskip(NEXT) | instid1(VALU_DEP_3)
	v_fma_f64 v[37:38], v[27:28], s[26:27], v[29:30]
	v_add_f64 v[33:34], v[29:30], v[31:32]
	s_delay_alu instid0(VALU_DEP_1) | instskip(NEXT) | instid1(VALU_DEP_3)
	v_add_f64 v[29:30], v[29:30], -v[33:34]
	v_add_f64 v[33:34], v[33:34], -v[37:38]
	s_delay_alu instid0(VALU_DEP_2) | instskip(SKIP_1) | instid1(VALU_DEP_2)
	v_add_f64 v[29:30], v[29:30], v[31:32]
	v_fma_f64 v[31:32], v[27:28], s[20:21], v[31:32]
	v_add_f64 v[29:30], v[33:34], v[29:30]
	s_delay_alu instid0(VALU_DEP_1) | instskip(NEXT) | instid1(VALU_DEP_1)
	v_add_f64 v[29:30], v[29:30], -v[31:32]
	v_fma_f64 v[29:30], v[27:28], s[28:29], v[29:30]
	s_delay_alu instid0(VALU_DEP_1) | instskip(NEXT) | instid1(VALU_DEP_1)
	v_add_f64 v[35:36], v[37:38], v[29:30]
	v_add_f64 v[31:32], v[35:36], -v[37:38]
	s_delay_alu instid0(VALU_DEP_1)
	v_add_f64 v[37:38], v[29:30], -v[31:32]
.LBB162_123:                            ;   in Loop: Header=BB162_4 Depth=1
	s_or_b32 exec_lo, exec_lo, s6
	v_mul_f64 v[27:28], v[23:24], v[23:24]
	s_delay_alu instid0(VALU_DEP_2) | instskip(NEXT) | instid1(VALU_DEP_3)
	v_mul_f64 v[48:49], v[25:26], 0.5
	v_mul_f64 v[54:55], v[37:38], 0.5
	s_mov_b32 s44, s46
	s_delay_alu instid0(VALU_DEP_3) | instskip(SKIP_1) | instid1(VALU_DEP_2)
	v_mul_f64 v[29:30], v[27:28], 0.5
	v_mul_f64 v[50:51], v[23:24], -v[27:28]
	v_add_f64 v[31:32], -v[29:30], 1.0
	s_delay_alu instid0(VALU_DEP_1) | instskip(NEXT) | instid1(VALU_DEP_1)
	v_add_f64 v[33:34], -v[31:32], 1.0
	v_add_f64 v[29:30], v[33:34], -v[29:30]
	v_fma_f64 v[33:34], v[27:28], s[34:35], s[30:31]
	s_delay_alu instid0(VALU_DEP_2) | instskip(NEXT) | instid1(VALU_DEP_2)
	v_fma_f64 v[29:30], v[23:24], -v[25:26], v[29:30]
	v_fma_f64 v[33:34], v[27:28], v[33:34], s[36:37]
	s_delay_alu instid0(VALU_DEP_1) | instskip(NEXT) | instid1(VALU_DEP_1)
	v_fma_f64 v[33:34], v[27:28], v[33:34], s[38:39]
	v_fma_f64 v[33:34], v[27:28], v[33:34], s[42:43]
	s_delay_alu instid0(VALU_DEP_1) | instskip(NEXT) | instid1(VALU_DEP_1)
	v_fma_f64 v[33:34], v[50:51], v[33:34], v[48:49]
	v_fma_f64 v[25:26], v[27:28], v[33:34], -v[25:26]
	v_fma_f64 v[33:34], v[27:28], s[98:99], s[96:97]
	s_delay_alu instid0(VALU_DEP_2) | instskip(NEXT) | instid1(VALU_DEP_2)
	v_fma_f64 v[25:26], v[50:51], s[44:45], v[25:26]
	v_fma_f64 v[33:34], v[27:28], v[33:34], s[100:101]
	s_delay_alu instid0(VALU_DEP_2) | instskip(NEXT) | instid1(VALU_DEP_2)
	v_add_f64 v[23:24], v[23:24], -v[25:26]
	v_fma_f64 v[33:34], v[27:28], v[33:34], s[102:103]
	s_delay_alu instid0(VALU_DEP_1) | instskip(NEXT) | instid1(VALU_DEP_1)
	v_fma_f64 v[33:34], v[27:28], v[33:34], s[10:11]
	v_fma_f64 v[33:34], v[27:28], v[33:34], s[46:47]
	v_mul_f64 v[27:28], v[27:28], v[27:28]
	s_delay_alu instid0(VALU_DEP_1) | instskip(SKIP_1) | instid1(VALU_DEP_2)
	v_fma_f64 v[27:28], v[27:28], v[33:34], v[29:30]
	v_mul_f64 v[29:30], v[35:36], v[35:36]
	v_add_f64 v[27:28], v[31:32], v[27:28]
	s_delay_alu instid0(VALU_DEP_2) | instskip(SKIP_2) | instid1(VALU_DEP_1)
	v_mul_f64 v[33:34], v[29:30], 0.5
	v_mul_f64 v[56:57], v[35:36], -v[29:30]
	v_and_b32_e32 v25, 1, v47
	v_cmp_eq_u32_e32 vcc_lo, 0, v25
	v_cndmask_b32_e32 v28, v28, v24, vcc_lo
	v_add_f64 v[48:49], -v[33:34], 1.0
	v_cndmask_b32_e32 v27, v27, v23, vcc_lo
	v_cmp_class_f64_e64 vcc_lo, v[15:16], 0x1f8
	v_lshlrev_b32_e32 v15, 30, v47
	s_delay_alu instid0(VALU_DEP_1) | instskip(NEXT) | instid1(VALU_DEP_1)
	v_xor_b32_e32 v15, v15, v16
	v_and_b32_e32 v15, 0x80000000, v15
	v_add_f64 v[52:53], -v[48:49], 1.0
	s_delay_alu instid0(VALU_DEP_1) | instskip(SKIP_1) | instid1(VALU_DEP_2)
	v_add_f64 v[33:34], v[52:53], -v[33:34]
	v_fma_f64 v[52:53], v[29:30], s[34:35], s[30:31]
	v_fma_f64 v[33:34], v[35:36], -v[37:38], v[33:34]
	s_delay_alu instid0(VALU_DEP_2) | instskip(NEXT) | instid1(VALU_DEP_1)
	v_fma_f64 v[52:53], v[29:30], v[52:53], s[36:37]
	v_fma_f64 v[52:53], v[29:30], v[52:53], s[38:39]
	s_delay_alu instid0(VALU_DEP_1) | instskip(NEXT) | instid1(VALU_DEP_1)
	v_fma_f64 v[52:53], v[29:30], v[52:53], s[42:43]
	v_fma_f64 v[52:53], v[56:57], v[52:53], v[54:55]
	s_delay_alu instid0(VALU_DEP_1) | instskip(SKIP_1) | instid1(VALU_DEP_2)
	v_fma_f64 v[37:38], v[29:30], v[52:53], -v[37:38]
	v_fma_f64 v[52:53], v[29:30], s[98:99], s[96:97]
	v_fma_f64 v[23:24], v[56:57], s[44:45], v[37:38]
	s_delay_alu instid0(VALU_DEP_2) | instskip(NEXT) | instid1(VALU_DEP_2)
	v_fma_f64 v[52:53], v[29:30], v[52:53], s[100:101]
	v_add_f64 v[23:24], v[35:36], -v[23:24]
	s_delay_alu instid0(VALU_DEP_2) | instskip(NEXT) | instid1(VALU_DEP_2)
	v_fma_f64 v[52:53], v[29:30], v[52:53], s[102:103]
	v_xor_b32_e32 v16, 0x80000000, v24
	s_delay_alu instid0(VALU_DEP_2) | instskip(SKIP_1) | instid1(VALU_DEP_2)
	v_fma_f64 v[52:53], v[29:30], v[52:53], s[10:11]
	v_xor_b32_e32 v24, v28, v15
	v_fma_f64 v[52:53], v[29:30], v[52:53], s[46:47]
	v_mul_f64 v[29:30], v[29:30], v[29:30]
	s_delay_alu instid0(VALU_DEP_1) | instskip(NEXT) | instid1(VALU_DEP_1)
	v_fma_f64 v[29:30], v[29:30], v[52:53], v[33:34]
	v_add_f64 v[25:26], v[48:49], v[29:30]
	v_and_b32_e32 v29, 1, v18
	v_dual_cndmask_b32 v15, 0, v27 :: v_dual_lshlrev_b32 v18, 30, v18
	s_delay_alu instid0(VALU_DEP_2) | instskip(NEXT) | instid1(VALU_DEP_2)
	v_cmp_eq_u32_e64 s6, 0, v29
	v_and_b32_e32 v18, 0x80000000, v18
	s_delay_alu instid0(VALU_DEP_2) | instskip(SKIP_1) | instid1(VALU_DEP_2)
	v_cndmask_b32_e64 v16, v16, v26, s6
	v_cndmask_b32_e64 v23, v23, v25, s6
	v_xor_b32_e32 v18, v16, v18
	v_cndmask_b32_e32 v16, 0x7ff80000, v24, vcc_lo
	s_delay_alu instid0(VALU_DEP_3) | instskip(NEXT) | instid1(VALU_DEP_3)
	v_cndmask_b32_e32 v23, 0, v23, vcc_lo
	v_cndmask_b32_e32 v24, 0x7ff80000, v18, vcc_lo
	s_delay_alu instid0(VALU_DEP_1)
	v_mul_f64 v[15:16], v[15:16], v[23:24]
.LBB162_124:                            ;   in Loop: Header=BB162_4 Depth=1
	s_or_b32 exec_lo, exec_lo, s51
	s_delay_alu instid0(VALU_DEP_1) | instskip(SKIP_2) | instid1(VALU_DEP_3)
	v_bfi_b32 v18, 0x7fffffff, 0, v16
	v_add_co_u32 v13, vcc_lo, v13, 0
	v_add_co_ci_u32_e32 v14, vcc_lo, -2.0, v14, vcc_lo
	v_dual_mov_b32 v15, v17 :: v_dual_mov_b32 v16, v18
.LBB162_125:                            ;   in Loop: Header=BB162_4 Depth=1
	s_or_b32 exec_lo, exec_lo, s50
.LBB162_126:                            ;   in Loop: Header=BB162_4 Depth=1
	s_delay_alu instid0(SALU_CYCLE_1) | instskip(SKIP_2) | instid1(VALU_DEP_1)
	s_or_b32 exec_lo, exec_lo, s49
	v_and_b32_e32 v27, 0x7fffffff, v10
	s_mov_b32 s6, exec_lo
	v_cmpx_gt_u32_e32 0x7ff00000, v27
	s_xor_b32 s49, exec_lo, s6
	s_cbranch_execz .LBB162_137
; %bb.127:                              ;   in Loop: Header=BB162_4 Depth=1
	v_cmp_class_f64_e64 s6, v[11:12], 0x1f8
	s_delay_alu instid0(VALU_DEP_1) | instskip(NEXT) | instid1(SALU_CYCLE_1)
	s_and_saveexec_b32 s20, s6
	s_xor_b32 s50, exec_lo, s20
	s_cbranch_execz .LBB162_156
; %bb.128:                              ;   in Loop: Header=BB162_4 Depth=1
	s_mov_b32 s6, exec_lo
	v_cmpx_gt_u32_e32 0x40360000, v27
	s_xor_b32 s44, exec_lo, s6
	s_cbranch_execz .LBB162_134
; %bb.129:                              ;   in Loop: Header=BB162_4 Depth=1
	s_mov_b32 s20, exec_lo
                                        ; implicit-def: $vgpr18
                                        ; implicit-def: $vgpr23_vgpr24
                                        ; implicit-def: $vgpr25_vgpr26
	v_cmpx_ngt_f64_e64 0x41d00000, |v[11:12]|
	s_xor_b32 s20, exec_lo, s20
	s_cbranch_execz .LBB162_131
; %bb.130:                              ;   in Loop: Header=BB162_4 Depth=1
	v_ldexp_f64 v[23:24], |v[11:12]|, 0xffffff80
	v_cmp_le_f64_e64 vcc_lo, 0x7b000000, |v[11:12]|
	v_trig_preop_f64 v[25:26], |v[11:12]|, 0
	v_and_b32_e32 v18, 0x7fffffff, v12
	v_trig_preop_f64 v[30:31], |v[11:12]|, 1
	v_trig_preop_f64 v[34:35], |v[11:12]|, 2
	s_mov_b32 s6, s18
	s_mov_b32 s23, s21
	v_dual_cndmask_b32 v23, v11, v23 :: v_dual_cndmask_b32 v24, v18, v24
	s_delay_alu instid0(VALU_DEP_1) | instskip(NEXT) | instid1(VALU_DEP_4)
	v_mul_f64 v[28:29], v[25:26], v[23:24]
	v_mul_f64 v[32:33], v[30:31], v[23:24]
	s_delay_alu instid0(VALU_DEP_4) | instskip(NEXT) | instid1(VALU_DEP_3)
	v_mul_f64 v[36:37], v[34:35], v[23:24]
	v_fma_f64 v[25:26], v[25:26], v[23:24], -v[28:29]
	s_delay_alu instid0(VALU_DEP_3) | instskip(NEXT) | instid1(VALU_DEP_3)
	v_fma_f64 v[30:31], v[30:31], v[23:24], -v[32:33]
	v_fma_f64 v[23:24], v[34:35], v[23:24], -v[36:37]
	s_delay_alu instid0(VALU_DEP_3) | instskip(NEXT) | instid1(VALU_DEP_1)
	v_add_f64 v[34:35], v[32:33], v[25:26]
	v_add_f64 v[47:48], v[34:35], -v[32:33]
	s_delay_alu instid0(VALU_DEP_1) | instskip(SKIP_1) | instid1(VALU_DEP_1)
	v_add_f64 v[25:26], v[25:26], -v[47:48]
	v_add_f64 v[47:48], v[34:35], -v[47:48]
	;; [unrolled: 1-line block ×3, first 2 shown]
	v_add_f64 v[47:48], v[28:29], v[34:35]
	s_delay_alu instid0(VALU_DEP_2) | instskip(NEXT) | instid1(VALU_DEP_2)
	v_add_f64 v[25:26], v[25:26], v[32:33]
	v_add_f64 v[28:29], v[47:48], -v[28:29]
	v_add_f64 v[32:33], v[36:37], v[30:31]
	v_ldexp_f64 v[47:48], v[47:48], -2
	s_delay_alu instid0(VALU_DEP_3) | instskip(NEXT) | instid1(VALU_DEP_3)
	v_add_f64 v[28:29], v[34:35], -v[28:29]
	v_add_f64 v[34:35], v[32:33], -v[36:37]
	s_delay_alu instid0(VALU_DEP_3) | instskip(SKIP_1) | instid1(VALU_DEP_3)
	v_cmp_neq_f64_e64 vcc_lo, 0x7ff00000, |v[47:48]|
	v_fract_f64_e32 v[47:48], v[47:48]
	v_add_f64 v[30:31], v[30:31], -v[34:35]
	v_add_f64 v[34:35], v[32:33], -v[34:35]
	s_delay_alu instid0(VALU_DEP_3) | instskip(NEXT) | instid1(VALU_DEP_2)
	v_dual_cndmask_b32 v47, 0, v47 :: v_dual_cndmask_b32 v48, 0, v48
	v_add_f64 v[34:35], v[36:37], -v[34:35]
	v_add_f64 v[36:37], v[32:33], v[25:26]
	s_delay_alu instid0(VALU_DEP_2) | instskip(NEXT) | instid1(VALU_DEP_2)
	v_add_f64 v[30:31], v[30:31], v[34:35]
	v_add_f64 v[49:50], v[36:37], -v[32:33]
	v_add_f64 v[34:35], v[28:29], v[36:37]
	s_delay_alu instid0(VALU_DEP_2) | instskip(SKIP_1) | instid1(VALU_DEP_3)
	v_add_f64 v[25:26], v[25:26], -v[49:50]
	v_add_f64 v[49:50], v[36:37], -v[49:50]
	;; [unrolled: 1-line block ×3, first 2 shown]
	s_delay_alu instid0(VALU_DEP_2) | instskip(NEXT) | instid1(VALU_DEP_2)
	v_add_f64 v[32:33], v[32:33], -v[49:50]
	v_add_f64 v[28:29], v[36:37], -v[28:29]
	s_delay_alu instid0(VALU_DEP_2) | instskip(SKIP_1) | instid1(VALU_DEP_2)
	v_add_f64 v[25:26], v[25:26], v[32:33]
	v_ldexp_f64 v[32:33], v[47:48], 2
	v_add_f64 v[25:26], v[30:31], v[25:26]
	s_delay_alu instid0(VALU_DEP_2) | instskip(NEXT) | instid1(VALU_DEP_2)
	v_add_f64 v[47:48], v[34:35], v[32:33]
	v_add_f64 v[23:24], v[23:24], v[25:26]
	s_delay_alu instid0(VALU_DEP_2) | instskip(NEXT) | instid1(VALU_DEP_2)
	v_cmp_gt_f64_e32 vcc_lo, 0, v[47:48]
	v_add_f64 v[23:24], v[28:29], v[23:24]
	v_cndmask_b32_e64 v18, 0, 0x40100000, vcc_lo
	s_delay_alu instid0(VALU_DEP_1) | instskip(NEXT) | instid1(VALU_DEP_1)
	v_add_f64 v[25:26], v[32:33], v[17:18]
	v_add_f64 v[30:31], v[34:35], v[25:26]
	s_delay_alu instid0(VALU_DEP_1) | instskip(NEXT) | instid1(VALU_DEP_1)
	v_cvt_i32_f64_e32 v32, v[30:31]
	v_cvt_f64_i32_e32 v[30:31], v32
	s_delay_alu instid0(VALU_DEP_1) | instskip(NEXT) | instid1(VALU_DEP_1)
	v_add_f64 v[25:26], v[25:26], -v[30:31]
	v_add_f64 v[28:29], v[34:35], v[25:26]
	s_delay_alu instid0(VALU_DEP_1) | instskip(SKIP_1) | instid1(VALU_DEP_2)
	v_add_f64 v[25:26], v[28:29], -v[25:26]
	v_cmp_le_f64_e32 vcc_lo, 0.5, v[28:29]
	v_add_f64 v[25:26], v[34:35], -v[25:26]
	v_cndmask_b32_e64 v18, 0, 0x3ff00000, vcc_lo
	s_delay_alu instid0(VALU_DEP_1) | instskip(SKIP_1) | instid1(VALU_DEP_4)
	v_add_f64 v[28:29], v[28:29], -v[17:18]
	v_add_co_ci_u32_e32 v18, vcc_lo, 0, v32, vcc_lo
	v_add_f64 v[23:24], v[23:24], v[25:26]
	s_delay_alu instid0(VALU_DEP_1) | instskip(NEXT) | instid1(VALU_DEP_1)
	v_add_f64 v[25:26], v[28:29], v[23:24]
	v_add_f64 v[28:29], v[25:26], -v[28:29]
	s_delay_alu instid0(VALU_DEP_1) | instskip(SKIP_1) | instid1(VALU_DEP_1)
	v_add_f64 v[23:24], v[23:24], -v[28:29]
	v_mul_f64 v[28:29], v[25:26], s[6:7]
	v_fma_f64 v[30:31], v[25:26], s[6:7], -v[28:29]
	s_delay_alu instid0(VALU_DEP_1) | instskip(NEXT) | instid1(VALU_DEP_1)
	v_fma_f64 v[25:26], v[25:26], s[22:23], v[30:31]
	v_fma_f64 v[25:26], v[23:24], s[6:7], v[25:26]
	s_delay_alu instid0(VALU_DEP_1) | instskip(NEXT) | instid1(VALU_DEP_1)
	v_add_f64 v[23:24], v[28:29], v[25:26]
	v_add_f64 v[28:29], v[23:24], -v[28:29]
	s_delay_alu instid0(VALU_DEP_1)
	v_add_f64 v[25:26], v[25:26], -v[28:29]
.LBB162_131:                            ;   in Loop: Header=BB162_4 Depth=1
	s_and_not1_saveexec_b32 s6, s20
	s_cbranch_execz .LBB162_133
; %bb.132:                              ;   in Loop: Header=BB162_4 Depth=1
	v_mul_f64 v[23:24], |v[11:12]|, s[24:25]
	s_mov_b32 s20, s26
	s_delay_alu instid0(VALU_DEP_1) | instskip(NEXT) | instid1(VALU_DEP_1)
	v_rndne_f64_e32 v[28:29], v[23:24]
	v_fma_f64 v[23:24], v[28:29], s[18:19], |v[11:12]|
	v_mul_f64 v[25:26], v[28:29], s[26:27]
	v_cvt_i32_f64_e32 v18, v[28:29]
	s_delay_alu instid0(VALU_DEP_3) | instskip(NEXT) | instid1(VALU_DEP_3)
	v_fma_f64 v[32:33], v[28:29], s[26:27], v[23:24]
	v_add_f64 v[30:31], v[23:24], v[25:26]
	s_delay_alu instid0(VALU_DEP_1) | instskip(NEXT) | instid1(VALU_DEP_3)
	v_add_f64 v[23:24], v[23:24], -v[30:31]
	v_add_f64 v[30:31], v[30:31], -v[32:33]
	s_delay_alu instid0(VALU_DEP_2) | instskip(SKIP_1) | instid1(VALU_DEP_2)
	v_add_f64 v[23:24], v[23:24], v[25:26]
	v_fma_f64 v[25:26], v[28:29], s[20:21], v[25:26]
	v_add_f64 v[23:24], v[30:31], v[23:24]
	s_delay_alu instid0(VALU_DEP_1) | instskip(NEXT) | instid1(VALU_DEP_1)
	v_add_f64 v[23:24], v[23:24], -v[25:26]
	v_fma_f64 v[25:26], v[28:29], s[28:29], v[23:24]
	s_delay_alu instid0(VALU_DEP_1) | instskip(NEXT) | instid1(VALU_DEP_1)
	v_add_f64 v[23:24], v[32:33], v[25:26]
	v_add_f64 v[30:31], v[23:24], -v[32:33]
	s_delay_alu instid0(VALU_DEP_1)
	v_add_f64 v[25:26], v[25:26], -v[30:31]
.LBB162_133:                            ;   in Loop: Header=BB162_4 Depth=1
	s_or_b32 exec_lo, exec_lo, s6
	v_add_f64 v[28:29], |v[9:10]|, s[40:41]
	s_mov_b32 s62, s40
	s_mov_b32 s66, s68
	;; [unrolled: 1-line block ×5, first 2 shown]
	v_cmp_nge_f64_e64 vcc_lo, |v[9:10]|, s[94:95]
	v_cmp_gt_f64_e64 s6, 0x3e400000, |v[9:10]|
	s_mov_b32 s52, 0xa9a29f71
	s_mov_b32 s54, 0xc751c08c
	;; [unrolled: 1-line block ×4, first 2 shown]
	v_and_b32_e32 v18, 1, v18
	s_delay_alu instid0(VALU_DEP_4) | instskip(NEXT) | instid1(VALU_DEP_1)
	v_add_f64 v[30:31], v[28:29], -|v[9:10]|
	v_add_f64 v[32:33], v[30:31], -v[28:29]
	v_add_f64 v[30:31], v[30:31], s[62:63]
	s_delay_alu instid0(VALU_DEP_2) | instskip(NEXT) | instid1(VALU_DEP_1)
	v_add_f64 v[32:33], |v[9:10]|, v[32:33]
	v_add_f64 v[30:31], v[32:33], -v[30:31]
	s_delay_alu instid0(VALU_DEP_1) | instskip(NEXT) | instid1(VALU_DEP_1)
	v_add_f64 v[30:31], v[30:31], s[64:65]
	v_add_f64 v[32:33], v[28:29], v[30:31]
	s_delay_alu instid0(VALU_DEP_1) | instskip(NEXT) | instid1(VALU_DEP_1)
	v_add_f64 v[28:29], v[28:29], -v[32:33]
	v_add_f64 v[28:29], v[30:31], v[28:29]
	v_mul_f64 v[30:31], v[32:33], s[66:67]
	s_delay_alu instid0(VALU_DEP_1) | instskip(NEXT) | instid1(VALU_DEP_1)
	v_rndne_f64_e32 v[30:31], v[30:31]
	v_fma_f64 v[32:33], v[30:31], s[60:61], v[32:33]
	v_cvt_i32_f64_e32 v11, v[30:31]
	s_delay_alu instid0(VALU_DEP_2) | instskip(NEXT) | instid1(VALU_DEP_1)
	v_add_f64 v[34:35], v[28:29], v[32:33]
	v_add_f64 v[32:33], v[32:33], -v[34:35]
	s_delay_alu instid0(VALU_DEP_1) | instskip(SKIP_1) | instid1(VALU_DEP_1)
	v_add_f64 v[28:29], v[28:29], v[32:33]
	v_mul_f64 v[32:33], v[30:31], s[70:71]
	v_add_f64 v[36:37], v[34:35], v[32:33]
	s_delay_alu instid0(VALU_DEP_1) | instskip(NEXT) | instid1(VALU_DEP_1)
	v_add_f64 v[34:35], v[34:35], -v[36:37]
	v_add_f64 v[32:33], v[34:35], v[32:33]
	s_delay_alu instid0(VALU_DEP_1) | instskip(NEXT) | instid1(VALU_DEP_1)
	v_add_f64 v[28:29], v[28:29], v[32:33]
	v_add_f64 v[32:33], v[36:37], v[28:29]
	s_delay_alu instid0(VALU_DEP_1) | instskip(NEXT) | instid1(VALU_DEP_1)
	v_add_f64 v[34:35], v[36:37], -v[32:33]
	v_add_f64 v[28:29], v[28:29], v[34:35]
	v_mul_f64 v[34:35], v[30:31], s[72:73]
	s_delay_alu instid0(VALU_DEP_1) | instskip(NEXT) | instid1(VALU_DEP_1)
	v_add_f64 v[36:37], v[32:33], v[34:35]
	v_add_f64 v[32:33], v[32:33], -v[36:37]
	s_delay_alu instid0(VALU_DEP_1) | instskip(NEXT) | instid1(VALU_DEP_1)
	v_add_f64 v[32:33], v[32:33], v[34:35]
	v_add_f64 v[28:29], v[28:29], v[32:33]
	s_delay_alu instid0(VALU_DEP_1) | instskip(NEXT) | instid1(VALU_DEP_1)
	v_add_f64 v[32:33], v[36:37], v[28:29]
	v_add_f64 v[34:35], v[36:37], -v[32:33]
	s_delay_alu instid0(VALU_DEP_1) | instskip(SKIP_1) | instid1(VALU_DEP_2)
	v_add_f64 v[28:29], v[28:29], v[34:35]
	v_mul_f64 v[34:35], v[32:33], v[32:33]
	v_add_f64 v[47:48], v[28:29], v[28:29]
	s_delay_alu instid0(VALU_DEP_2) | instskip(NEXT) | instid1(VALU_DEP_1)
	v_fma_f64 v[36:37], v[32:33], v[32:33], -v[34:35]
	v_fma_f64 v[36:37], v[32:33], v[47:48], v[36:37]
	s_delay_alu instid0(VALU_DEP_1) | instskip(NEXT) | instid1(VALU_DEP_1)
	v_add_f64 v[47:48], v[34:35], v[36:37]
	v_add_f64 v[34:35], v[47:48], -v[34:35]
	s_delay_alu instid0(VALU_DEP_1) | instskip(SKIP_1) | instid1(VALU_DEP_1)
	v_add_f64 v[34:35], v[36:37], -v[34:35]
	v_fma_f64 v[36:37], v[32:33], s[76:77], s[74:75]
	v_fma_f64 v[36:37], v[32:33], v[36:37], s[78:79]
	s_delay_alu instid0(VALU_DEP_1) | instskip(NEXT) | instid1(VALU_DEP_1)
	v_fma_f64 v[36:37], v[32:33], v[36:37], s[80:81]
	v_fma_f64 v[36:37], v[32:33], v[36:37], s[82:83]
	s_delay_alu instid0(VALU_DEP_1) | instskip(NEXT) | instid1(VALU_DEP_1)
	;; [unrolled: 3-line block ×4, first 2 shown]
	v_fma_f64 v[36:37], v[32:33], v[36:37], s[92:93]
	v_mul_f64 v[49:50], v[47:48], v[36:37]
	s_delay_alu instid0(VALU_DEP_1) | instskip(NEXT) | instid1(VALU_DEP_1)
	v_fma_f64 v[47:48], v[47:48], v[36:37], -v[49:50]
	v_fma_f64 v[34:35], v[34:35], v[36:37], v[47:48]
	s_delay_alu instid0(VALU_DEP_1) | instskip(NEXT) | instid1(VALU_DEP_1)
	v_add_f64 v[36:37], v[49:50], v[34:35]
	v_add_f64 v[47:48], v[36:37], -v[49:50]
	s_delay_alu instid0(VALU_DEP_1) | instskip(SKIP_1) | instid1(VALU_DEP_2)
	v_add_f64 v[34:35], v[34:35], -v[47:48]
	v_add_f64 v[47:48], v[32:33], v[36:37]
	v_add_f64 v[28:29], v[28:29], v[34:35]
	s_delay_alu instid0(VALU_DEP_2) | instskip(NEXT) | instid1(VALU_DEP_1)
	v_add_f64 v[32:33], v[47:48], -v[32:33]
	v_add_f64 v[32:33], v[36:37], -v[32:33]
	s_delay_alu instid0(VALU_DEP_1) | instskip(NEXT) | instid1(VALU_DEP_1)
	v_add_f64 v[28:29], v[28:29], v[32:33]
	v_add_f64 v[32:33], v[47:48], v[28:29]
	s_delay_alu instid0(VALU_DEP_1) | instskip(NEXT) | instid1(VALU_DEP_1)
	v_add_f64 v[34:35], v[32:33], -v[47:48]
	v_add_f64 v[28:29], v[28:29], -v[34:35]
	v_add_f64 v[34:35], v[32:33], 1.0
	s_delay_alu instid0(VALU_DEP_1) | instskip(NEXT) | instid1(VALU_DEP_1)
	v_add_f64 v[36:37], v[34:35], -1.0
	v_add_f64 v[32:33], v[32:33], -v[36:37]
	s_delay_alu instid0(VALU_DEP_1) | instskip(NEXT) | instid1(VALU_DEP_1)
	v_add_f64 v[28:29], v[28:29], v[32:33]
	v_add_f64 v[30:31], v[34:35], v[28:29]
	s_delay_alu instid0(VALU_DEP_1) | instskip(SKIP_1) | instid1(VALU_DEP_2)
	v_add_f64 v[32:33], v[30:31], -v[34:35]
	v_ldexp_f64 v[30:31], v[30:31], v11
	v_add_f64 v[28:29], v[28:29], -v[32:33]
	s_delay_alu instid0(VALU_DEP_2) | instskip(NEXT) | instid1(VALU_DEP_1)
	v_rcp_f64_e32 v[34:35], v[30:31]
	v_ldexp_f64 v[28:29], v[28:29], v11
	s_waitcnt_depctr 0xfff
	v_fma_f64 v[36:37], -v[30:31], v[34:35], 1.0
	s_delay_alu instid0(VALU_DEP_1) | instskip(NEXT) | instid1(VALU_DEP_1)
	v_fma_f64 v[34:35], v[36:37], v[34:35], v[34:35]
	v_fma_f64 v[32:33], -v[30:31], v[34:35], 1.0
	s_delay_alu instid0(VALU_DEP_1) | instskip(NEXT) | instid1(VALU_DEP_1)
	v_fma_f64 v[32:33], v[32:33], v[34:35], v[34:35]
	v_mul_f64 v[34:35], v[30:31], v[32:33]
	s_delay_alu instid0(VALU_DEP_1) | instskip(NEXT) | instid1(VALU_DEP_1)
	v_fma_f64 v[36:37], v[32:33], v[30:31], -v[34:35]
	v_fma_f64 v[36:37], v[32:33], v[28:29], v[36:37]
	s_delay_alu instid0(VALU_DEP_1) | instskip(NEXT) | instid1(VALU_DEP_1)
	v_add_f64 v[47:48], v[34:35], v[36:37]
	v_add_f64 v[34:35], v[47:48], -v[34:35]
	s_delay_alu instid0(VALU_DEP_1) | instskip(SKIP_1) | instid1(VALU_DEP_1)
	v_add_f64 v[34:35], v[34:35], -v[36:37]
	v_add_f64 v[36:37], -v[47:48], 1.0
	v_add_f64 v[49:50], -v[36:37], 1.0
	s_delay_alu instid0(VALU_DEP_1) | instskip(NEXT) | instid1(VALU_DEP_1)
	v_add_f64 v[47:48], v[49:50], -v[47:48]
	v_add_f64 v[34:35], v[34:35], v[47:48]
	s_delay_alu instid0(VALU_DEP_1) | instskip(NEXT) | instid1(VALU_DEP_1)
	v_add_f64 v[47:48], v[36:37], v[34:35]
	v_add_f64 v[36:37], v[36:37], -v[47:48]
	s_delay_alu instid0(VALU_DEP_1) | instskip(SKIP_1) | instid1(VALU_DEP_1)
	v_add_f64 v[34:35], v[34:35], v[36:37]
	v_mul_f64 v[36:37], v[32:33], v[47:48]
	v_mul_f64 v[49:50], v[30:31], v[36:37]
	s_delay_alu instid0(VALU_DEP_1) | instskip(NEXT) | instid1(VALU_DEP_1)
	v_fma_f64 v[51:52], v[36:37], v[30:31], -v[49:50]
	v_fma_f64 v[51:52], v[36:37], v[28:29], v[51:52]
	s_delay_alu instid0(VALU_DEP_1) | instskip(NEXT) | instid1(VALU_DEP_1)
	v_add_f64 v[53:54], v[49:50], v[51:52]
	v_add_f64 v[55:56], v[47:48], -v[53:54]
	v_add_f64 v[49:50], v[53:54], -v[49:50]
	s_delay_alu instid0(VALU_DEP_2) | instskip(NEXT) | instid1(VALU_DEP_2)
	v_add_f64 v[47:48], v[47:48], -v[55:56]
	v_add_f64 v[49:50], v[49:50], -v[51:52]
	s_delay_alu instid0(VALU_DEP_2) | instskip(NEXT) | instid1(VALU_DEP_1)
	v_add_f64 v[47:48], v[47:48], -v[53:54]
	v_add_f64 v[34:35], v[34:35], v[47:48]
	v_add_f64 v[47:48], v[32:33], v[36:37]
	s_delay_alu instid0(VALU_DEP_2) | instskip(NEXT) | instid1(VALU_DEP_2)
	v_add_f64 v[34:35], v[49:50], v[34:35]
	v_add_f64 v[49:50], v[47:48], -v[32:33]
	s_delay_alu instid0(VALU_DEP_2) | instskip(NEXT) | instid1(VALU_DEP_2)
	v_add_f64 v[34:35], v[55:56], v[34:35]
	v_add_f64 v[36:37], v[36:37], -v[49:50]
	s_delay_alu instid0(VALU_DEP_2) | instskip(NEXT) | instid1(VALU_DEP_1)
	v_mul_f64 v[32:33], v[32:33], v[34:35]
	v_add_f64 v[32:33], v[36:37], v[32:33]
	s_delay_alu instid0(VALU_DEP_1) | instskip(NEXT) | instid1(VALU_DEP_1)
	v_add_f64 v[34:35], v[47:48], v[32:33]
	v_add_f64 v[36:37], v[34:35], -v[47:48]
	v_ldexp_f64 v[34:35], v[34:35], -2
	s_delay_alu instid0(VALU_DEP_2) | instskip(NEXT) | instid1(VALU_DEP_2)
	v_add_f64 v[32:33], v[32:33], -v[36:37]
	v_add_f64 v[47:48], v[30:31], -v[34:35]
	v_and_b32_e32 v37, 0x80000000, v12
	s_delay_alu instid0(VALU_DEP_2) | instskip(NEXT) | instid1(VALU_DEP_1)
	v_add_f64 v[30:31], v[30:31], -v[47:48]
	v_add_f64 v[30:31], v[30:31], -v[34:35]
	s_delay_alu instid0(VALU_DEP_1) | instskip(SKIP_1) | instid1(VALU_DEP_1)
	v_add_f64 v[28:29], v[28:29], v[30:31]
	v_ldexp_f64 v[30:31], v[32:33], -2
	v_add_f64 v[28:29], v[28:29], -v[30:31]
	s_delay_alu instid0(VALU_DEP_1) | instskip(NEXT) | instid1(VALU_DEP_1)
	v_add_f64 v[28:29], v[47:48], v[28:29]
	v_cndmask_b32_e32 v11, 0x7ff00000, v29, vcc_lo
	s_delay_alu instid0(VALU_DEP_2) | instskip(NEXT) | instid1(VALU_DEP_2)
	v_cndmask_b32_e32 v28, 0, v28, vcc_lo
	v_cndmask_b32_e64 v11, v11, v27, s6
	s_delay_alu instid0(VALU_DEP_2) | instskip(SKIP_1) | instid1(VALU_DEP_3)
	v_cndmask_b32_e64 v9, v28, v9, s6
	v_cmp_eq_u32_e64 s6, 0, v18
	v_bfi_b32 v10, 0x7fffffff, v11, v10
	s_delay_alu instid0(VALU_DEP_1) | instskip(NEXT) | instid1(VALU_DEP_1)
	v_fma_f64 v[27:28], v[9:10], v[9:10], 1.0
	v_cmp_gt_f64_e32 vcc_lo, 0x10000000, v[27:28]
	v_cndmask_b32_e64 v11, 0, 1, vcc_lo
	v_cndmask_b32_e64 v18, 0, 0xffffff80, vcc_lo
	s_delay_alu instid0(VALU_DEP_2) | instskip(NEXT) | instid1(VALU_DEP_1)
	v_lshlrev_b32_e32 v11, 8, v11
	v_ldexp_f64 v[27:28], v[27:28], v11
	v_mul_f64 v[11:12], v[23:24], v[23:24]
	s_delay_alu instid0(VALU_DEP_2) | instskip(SKIP_4) | instid1(VALU_DEP_1)
	v_rsq_f64_e32 v[29:30], v[27:28]
	v_cmp_class_f64_e64 vcc_lo, v[27:28], 0x260
	s_waitcnt_depctr 0xfff
	v_mul_f64 v[31:32], v[27:28], v[29:30]
	v_mul_f64 v[29:30], v[29:30], 0.5
	v_fma_f64 v[33:34], -v[29:30], v[31:32], 0.5
	s_delay_alu instid0(VALU_DEP_1) | instskip(SKIP_1) | instid1(VALU_DEP_2)
	v_fma_f64 v[31:32], v[31:32], v[33:34], v[31:32]
	v_fma_f64 v[29:30], v[29:30], v[33:34], v[29:30]
	v_fma_f64 v[33:34], -v[31:32], v[31:32], v[27:28]
	s_delay_alu instid0(VALU_DEP_1) | instskip(NEXT) | instid1(VALU_DEP_1)
	v_fma_f64 v[31:32], v[33:34], v[29:30], v[31:32]
	v_fma_f64 v[33:34], -v[31:32], v[31:32], v[27:28]
	s_delay_alu instid0(VALU_DEP_1) | instskip(SKIP_2) | instid1(VALU_DEP_1)
	v_fma_f64 v[29:30], v[33:34], v[29:30], v[31:32]
	v_add_f64 v[31:32], v[25:26], v[25:26]
	v_fma_f64 v[33:34], v[23:24], v[23:24], -v[11:12]
	v_fma_f64 v[31:32], v[23:24], v[31:32], v[33:34]
	s_delay_alu instid0(VALU_DEP_1) | instskip(NEXT) | instid1(VALU_DEP_1)
	v_add_f64 v[11:12], v[11:12], v[31:32]
	v_fma_f64 v[31:32], v[11:12], s[54:55], s[52:53]
	s_mov_b32 s52, 0x90a8aae0
	s_mov_b32 s53, 0x3f17746f
	s_delay_alu instid0(VALU_DEP_1) | instid1(SALU_CYCLE_1)
	v_fma_f64 v[31:32], v[11:12], v[31:32], s[52:53]
	s_mov_b32 s52, 0xa6fbf144
	s_mov_b32 s53, 0xbefbb44d
	s_delay_alu instid0(VALU_DEP_1) | instid1(SALU_CYCLE_1)
	;; [unrolled: 4-line block ×10, first 2 shown]
	v_fma_f64 v[31:32], v[11:12], v[31:32], s[52:53]
	s_delay_alu instid0(VALU_DEP_1) | instskip(NEXT) | instid1(VALU_DEP_1)
	v_fma_f64 v[31:32], v[11:12], v[31:32], s[56:57]
	v_fma_f64 v[31:32], v[11:12], v[31:32], s[58:59]
	s_delay_alu instid0(VALU_DEP_1) | instskip(NEXT) | instid1(VALU_DEP_1)
	v_mul_f64 v[11:12], v[11:12], v[31:32]
	v_mul_f64 v[31:32], v[23:24], v[11:12]
	s_delay_alu instid0(VALU_DEP_1) | instskip(NEXT) | instid1(VALU_DEP_1)
	v_fma_f64 v[11:12], v[23:24], v[11:12], -v[31:32]
	v_add_f64 v[11:12], v[25:26], v[11:12]
	v_add_f64 v[25:26], v[23:24], v[31:32]
	s_delay_alu instid0(VALU_DEP_1) | instskip(NEXT) | instid1(VALU_DEP_1)
	v_add_f64 v[23:24], v[25:26], -v[23:24]
	v_add_f64 v[23:24], v[31:32], -v[23:24]
	s_delay_alu instid0(VALU_DEP_1) | instskip(NEXT) | instid1(VALU_DEP_1)
	v_add_f64 v[11:12], v[11:12], v[23:24]
	v_add_f64 v[23:24], v[25:26], v[11:12]
	s_delay_alu instid0(VALU_DEP_1) | instskip(SKIP_1) | instid1(VALU_DEP_1)
	v_rcp_f64_e32 v[31:32], v[23:24]
	v_add_f64 v[25:26], v[23:24], -v[25:26]
	v_add_f64 v[11:12], v[11:12], -v[25:26]
	s_waitcnt_depctr 0xfff
	v_fma_f64 v[33:34], -v[23:24], v[31:32], 1.0
	s_delay_alu instid0(VALU_DEP_1) | instskip(NEXT) | instid1(VALU_DEP_1)
	v_fma_f64 v[31:32], v[33:34], v[31:32], v[31:32]
	v_fma_f64 v[33:34], -v[23:24], v[31:32], 1.0
	s_delay_alu instid0(VALU_DEP_1) | instskip(NEXT) | instid1(VALU_DEP_1)
	v_fma_f64 v[31:32], v[33:34], v[31:32], v[31:32]
	v_mul_f64 v[25:26], v[23:24], v[31:32]
	s_delay_alu instid0(VALU_DEP_1) | instskip(NEXT) | instid1(VALU_DEP_1)
	v_fma_f64 v[33:34], v[31:32], v[23:24], -v[25:26]
	v_fma_f64 v[11:12], v[31:32], v[11:12], v[33:34]
	s_delay_alu instid0(VALU_DEP_1) | instskip(NEXT) | instid1(VALU_DEP_1)
	v_add_f64 v[33:34], v[25:26], v[11:12]
	v_add_f64 v[25:26], v[33:34], -v[25:26]
	s_delay_alu instid0(VALU_DEP_1) | instskip(SKIP_1) | instid1(VALU_DEP_1)
	v_add_f64 v[11:12], v[25:26], -v[11:12]
	v_add_f64 v[25:26], -v[33:34], 1.0
	v_add_f64 v[35:36], -v[25:26], 1.0
	s_delay_alu instid0(VALU_DEP_1) | instskip(NEXT) | instid1(VALU_DEP_1)
	v_add_f64 v[33:34], v[35:36], -v[33:34]
	v_add_f64 v[11:12], v[11:12], v[33:34]
	s_delay_alu instid0(VALU_DEP_1) | instskip(NEXT) | instid1(VALU_DEP_1)
	v_add_f64 v[11:12], v[25:26], v[11:12]
	v_mul_f64 v[11:12], v[31:32], v[11:12]
	s_delay_alu instid0(VALU_DEP_1) | instskip(NEXT) | instid1(VALU_DEP_1)
	v_add_f64 v[11:12], v[31:32], v[11:12]
	v_xor_b32_e32 v12, 0x80000000, v12
	s_delay_alu instid0(VALU_DEP_2) | instskip(NEXT) | instid1(VALU_DEP_2)
	v_cndmask_b32_e64 v11, v11, v23, s6
	v_cndmask_b32_e64 v12, v12, v24, s6
	v_ldexp_f64 v[23:24], v[29:30], v18
	s_delay_alu instid0(VALU_DEP_2) | instskip(NEXT) | instid1(VALU_DEP_1)
	v_xor_b32_e32 v12, v12, v37
	v_fma_f64 v[25:26], v[11:12], v[11:12], 1.0
	s_delay_alu instid0(VALU_DEP_3) | instskip(NEXT) | instid1(VALU_DEP_2)
	v_dual_cndmask_b32 v24, v24, v28 :: v_dual_cndmask_b32 v23, v23, v27
	v_mul_f64 v[27:28], v[9:10], v[25:26]
	s_delay_alu instid0(VALU_DEP_2) | instskip(NEXT) | instid1(VALU_DEP_2)
	v_mul_f64 v[23:24], v[23:24], v[25:26]
	v_fma_f64 v[25:26], v[9:10], v[27:28], 1.0
	s_delay_alu instid0(VALU_DEP_2) | instskip(NEXT) | instid1(VALU_DEP_1)
	v_mul_f64 v[9:10], v[9:10], v[23:24]
	v_div_scale_f64 v[23:24], null, v[25:26], v[25:26], v[9:10]
	s_delay_alu instid0(VALU_DEP_1) | instskip(SKIP_2) | instid1(VALU_DEP_1)
	v_rcp_f64_e32 v[27:28], v[23:24]
	s_waitcnt_depctr 0xfff
	v_fma_f64 v[29:30], -v[23:24], v[27:28], 1.0
	v_fma_f64 v[27:28], v[27:28], v[29:30], v[27:28]
	s_delay_alu instid0(VALU_DEP_1) | instskip(NEXT) | instid1(VALU_DEP_1)
	v_fma_f64 v[29:30], -v[23:24], v[27:28], 1.0
	v_fma_f64 v[27:28], v[27:28], v[29:30], v[27:28]
	v_div_scale_f64 v[29:30], vcc_lo, v[9:10], v[25:26], v[9:10]
	s_delay_alu instid0(VALU_DEP_1) | instskip(NEXT) | instid1(VALU_DEP_1)
	v_mul_f64 v[31:32], v[29:30], v[27:28]
	v_fma_f64 v[23:24], -v[23:24], v[31:32], v[29:30]
	s_delay_alu instid0(VALU_DEP_1) | instskip(SKIP_1) | instid1(VALU_DEP_2)
	v_div_fmas_f64 v[23:24], v[23:24], v[27:28], v[31:32]
	v_div_scale_f64 v[27:28], null, v[25:26], v[25:26], v[11:12]
	v_div_fixup_f64 v[9:10], v[23:24], v[25:26], v[9:10]
	s_delay_alu instid0(VALU_DEP_2) | instskip(SKIP_2) | instid1(VALU_DEP_1)
	v_rcp_f64_e32 v[29:30], v[27:28]
	s_waitcnt_depctr 0xfff
	v_fma_f64 v[31:32], -v[27:28], v[29:30], 1.0
	v_fma_f64 v[29:30], v[29:30], v[31:32], v[29:30]
	s_delay_alu instid0(VALU_DEP_1) | instskip(NEXT) | instid1(VALU_DEP_1)
	v_fma_f64 v[31:32], -v[27:28], v[29:30], 1.0
	v_fma_f64 v[29:30], v[29:30], v[31:32], v[29:30]
	v_div_scale_f64 v[31:32], vcc_lo, v[11:12], v[25:26], v[11:12]
	s_delay_alu instid0(VALU_DEP_1) | instskip(NEXT) | instid1(VALU_DEP_1)
	v_mul_f64 v[33:34], v[31:32], v[29:30]
	v_fma_f64 v[27:28], -v[27:28], v[33:34], v[31:32]
	s_delay_alu instid0(VALU_DEP_1) | instskip(NEXT) | instid1(VALU_DEP_1)
	v_div_fmas_f64 v[27:28], v[27:28], v[29:30], v[33:34]
	v_div_fixup_f64 v[11:12], v[27:28], v[25:26], v[11:12]
.LBB162_134:                            ;   in Loop: Header=BB162_4 Depth=1
	s_and_not1_saveexec_b32 s51, s44
	s_cbranch_execz .LBB162_155
; %bb.135:                              ;   in Loop: Header=BB162_4 Depth=1
	s_delay_alu instid0(VALU_DEP_1) | instskip(NEXT) | instid1(VALU_DEP_1)
	v_cmp_ngt_f64_e64 s44, 0x41d00000, |v[11:12]|
                                        ; implicit-def: $vgpr31
                                        ; implicit-def: $vgpr23_vgpr24
                                        ; implicit-def: $vgpr25_vgpr26
	s_and_saveexec_b32 s6, s44
	s_delay_alu instid0(SALU_CYCLE_1)
	s_xor_b32 s20, exec_lo, s6
	s_cbranch_execz .LBB162_144
; %bb.136:                              ;   in Loop: Header=BB162_4 Depth=1
	v_ldexp_f64 v[23:24], |v[11:12]|, 0xffffff80
	v_cmp_le_f64_e64 vcc_lo, 0x7b000000, |v[11:12]|
	v_trig_preop_f64 v[25:26], |v[11:12]|, 0
	v_and_b32_e32 v18, 0x7fffffff, v12
	v_trig_preop_f64 v[29:30], |v[11:12]|, 1
	v_trig_preop_f64 v[33:34], |v[11:12]|, 2
	s_mov_b32 s6, s18
	s_mov_b32 s23, s21
	v_dual_cndmask_b32 v23, v11, v23 :: v_dual_cndmask_b32 v24, v18, v24
	s_delay_alu instid0(VALU_DEP_1) | instskip(NEXT) | instid1(VALU_DEP_4)
	v_mul_f64 v[27:28], v[25:26], v[23:24]
	v_mul_f64 v[31:32], v[29:30], v[23:24]
	s_delay_alu instid0(VALU_DEP_4) | instskip(NEXT) | instid1(VALU_DEP_3)
	v_mul_f64 v[35:36], v[33:34], v[23:24]
	v_fma_f64 v[25:26], v[25:26], v[23:24], -v[27:28]
	s_delay_alu instid0(VALU_DEP_3) | instskip(NEXT) | instid1(VALU_DEP_3)
	v_fma_f64 v[29:30], v[29:30], v[23:24], -v[31:32]
	v_fma_f64 v[23:24], v[33:34], v[23:24], -v[35:36]
	s_delay_alu instid0(VALU_DEP_3) | instskip(NEXT) | instid1(VALU_DEP_1)
	v_add_f64 v[33:34], v[31:32], v[25:26]
	v_add_f64 v[37:38], v[33:34], -v[31:32]
	s_delay_alu instid0(VALU_DEP_1) | instskip(SKIP_1) | instid1(VALU_DEP_1)
	v_add_f64 v[25:26], v[25:26], -v[37:38]
	v_add_f64 v[37:38], v[33:34], -v[37:38]
	;; [unrolled: 1-line block ×3, first 2 shown]
	v_add_f64 v[37:38], v[27:28], v[33:34]
	s_delay_alu instid0(VALU_DEP_2) | instskip(NEXT) | instid1(VALU_DEP_2)
	v_add_f64 v[25:26], v[25:26], v[31:32]
	v_add_f64 v[27:28], v[37:38], -v[27:28]
	v_add_f64 v[31:32], v[35:36], v[29:30]
	v_ldexp_f64 v[37:38], v[37:38], -2
	s_delay_alu instid0(VALU_DEP_3) | instskip(NEXT) | instid1(VALU_DEP_3)
	v_add_f64 v[27:28], v[33:34], -v[27:28]
	v_add_f64 v[33:34], v[31:32], -v[35:36]
	s_delay_alu instid0(VALU_DEP_3) | instskip(SKIP_1) | instid1(VALU_DEP_3)
	v_cmp_neq_f64_e64 vcc_lo, 0x7ff00000, |v[37:38]|
	v_fract_f64_e32 v[37:38], v[37:38]
	v_add_f64 v[29:30], v[29:30], -v[33:34]
	v_add_f64 v[33:34], v[31:32], -v[33:34]
	s_delay_alu instid0(VALU_DEP_3) | instskip(NEXT) | instid1(VALU_DEP_2)
	v_dual_cndmask_b32 v37, 0, v37 :: v_dual_cndmask_b32 v38, 0, v38
	v_add_f64 v[33:34], v[35:36], -v[33:34]
	v_add_f64 v[35:36], v[31:32], v[25:26]
	s_delay_alu instid0(VALU_DEP_2) | instskip(NEXT) | instid1(VALU_DEP_2)
	v_add_f64 v[29:30], v[29:30], v[33:34]
	v_add_f64 v[47:48], v[35:36], -v[31:32]
	v_add_f64 v[33:34], v[27:28], v[35:36]
	s_delay_alu instid0(VALU_DEP_2) | instskip(SKIP_1) | instid1(VALU_DEP_3)
	v_add_f64 v[25:26], v[25:26], -v[47:48]
	v_add_f64 v[47:48], v[35:36], -v[47:48]
	;; [unrolled: 1-line block ×3, first 2 shown]
	s_delay_alu instid0(VALU_DEP_2) | instskip(NEXT) | instid1(VALU_DEP_2)
	v_add_f64 v[31:32], v[31:32], -v[47:48]
	v_add_f64 v[27:28], v[35:36], -v[27:28]
	s_delay_alu instid0(VALU_DEP_2) | instskip(SKIP_1) | instid1(VALU_DEP_2)
	v_add_f64 v[25:26], v[25:26], v[31:32]
	v_ldexp_f64 v[31:32], v[37:38], 2
	v_add_f64 v[25:26], v[29:30], v[25:26]
	s_delay_alu instid0(VALU_DEP_2) | instskip(NEXT) | instid1(VALU_DEP_2)
	v_add_f64 v[37:38], v[33:34], v[31:32]
	v_add_f64 v[23:24], v[23:24], v[25:26]
	s_delay_alu instid0(VALU_DEP_2) | instskip(NEXT) | instid1(VALU_DEP_2)
	v_cmp_gt_f64_e32 vcc_lo, 0, v[37:38]
	v_add_f64 v[23:24], v[27:28], v[23:24]
	v_cndmask_b32_e64 v18, 0, 0x40100000, vcc_lo
	s_delay_alu instid0(VALU_DEP_1) | instskip(NEXT) | instid1(VALU_DEP_1)
	v_add_f64 v[25:26], v[31:32], v[17:18]
	v_add_f64 v[29:30], v[33:34], v[25:26]
	s_delay_alu instid0(VALU_DEP_1) | instskip(NEXT) | instid1(VALU_DEP_1)
	v_cvt_i32_f64_e32 v31, v[29:30]
	v_cvt_f64_i32_e32 v[29:30], v31
	s_delay_alu instid0(VALU_DEP_1) | instskip(NEXT) | instid1(VALU_DEP_1)
	v_add_f64 v[25:26], v[25:26], -v[29:30]
	v_add_f64 v[27:28], v[33:34], v[25:26]
	s_delay_alu instid0(VALU_DEP_1) | instskip(SKIP_1) | instid1(VALU_DEP_2)
	v_add_f64 v[25:26], v[27:28], -v[25:26]
	v_cmp_le_f64_e32 vcc_lo, 0.5, v[27:28]
	v_add_f64 v[25:26], v[33:34], -v[25:26]
	v_cndmask_b32_e64 v18, 0, 0x3ff00000, vcc_lo
	v_add_co_ci_u32_e32 v31, vcc_lo, 0, v31, vcc_lo
	s_delay_alu instid0(VALU_DEP_2) | instskip(NEXT) | instid1(VALU_DEP_4)
	v_add_f64 v[27:28], v[27:28], -v[17:18]
	v_add_f64 v[23:24], v[23:24], v[25:26]
	s_delay_alu instid0(VALU_DEP_1) | instskip(NEXT) | instid1(VALU_DEP_1)
	v_add_f64 v[25:26], v[27:28], v[23:24]
	v_add_f64 v[27:28], v[25:26], -v[27:28]
	s_delay_alu instid0(VALU_DEP_1) | instskip(SKIP_1) | instid1(VALU_DEP_1)
	v_add_f64 v[23:24], v[23:24], -v[27:28]
	v_mul_f64 v[27:28], v[25:26], s[6:7]
	v_fma_f64 v[29:30], v[25:26], s[6:7], -v[27:28]
	s_delay_alu instid0(VALU_DEP_1) | instskip(NEXT) | instid1(VALU_DEP_1)
	v_fma_f64 v[25:26], v[25:26], s[22:23], v[29:30]
	v_fma_f64 v[25:26], v[23:24], s[6:7], v[25:26]
	s_delay_alu instid0(VALU_DEP_1) | instskip(NEXT) | instid1(VALU_DEP_1)
	v_add_f64 v[23:24], v[27:28], v[25:26]
	v_add_f64 v[27:28], v[23:24], -v[27:28]
	s_delay_alu instid0(VALU_DEP_1)
	v_add_f64 v[25:26], v[25:26], -v[27:28]
	s_and_not1_saveexec_b32 s6, s20
	s_cbranch_execz .LBB162_146
	s_branch .LBB162_145
.LBB162_137:                            ;   in Loop: Header=BB162_4 Depth=1
	s_and_not1_saveexec_b32 s49, s49
	s_cbranch_execz .LBB162_159
.LBB162_138:                            ;   in Loop: Header=BB162_4 Depth=1
	s_delay_alu instid0(VALU_DEP_1) | instskip(SKIP_1) | instid1(VALU_DEP_1)
	v_and_or_b32 v18, 0xfffff, v10, v9
	s_mov_b32 s6, exec_lo
	v_cmpx_ne_u32_e32 0, v18
	s_xor_b32 s6, exec_lo, s6
; %bb.139:                              ;   in Loop: Header=BB162_4 Depth=1
	v_mul_f64 v[23:24], v[11:12], v[9:10]
	v_cmp_eq_f64_e32 vcc_lo, 0, v[11:12]
	s_delay_alu instid0(VALU_DEP_2)
	v_dual_cndmask_b32 v12, v24, v12 :: v_dual_cndmask_b32 v11, v23, v11
; %bb.140:                              ;   in Loop: Header=BB162_4 Depth=1
	s_and_not1_saveexec_b32 s50, s6
	s_cbranch_execz .LBB162_167
; %bb.141:                              ;   in Loop: Header=BB162_4 Depth=1
	s_mov_b32 s51, exec_lo
	s_delay_alu instid0(VALU_DEP_1)
	v_cmpx_neq_f64_e64 0x7ff00000, |v[11:12]|
	s_cbranch_execz .LBB162_166
; %bb.142:                              ;   in Loop: Header=BB162_4 Depth=1
	v_cmp_ngt_f64_e64 s44, 0x41d00000, |v[11:12]|
	v_trig_preop_f64 v[31:32], |v[11:12]|, 0
	v_trig_preop_f64 v[29:30], |v[11:12]|, 1
	v_ldexp_f64 v[33:34], |v[11:12]|, 0xffffff80
	v_trig_preop_f64 v[27:28], |v[11:12]|, 2
	v_and_b32_e32 v48, 0x7fffffff, v12
                                        ; implicit-def: $vgpr47
                                        ; implicit-def: $vgpr23_vgpr24
                                        ; implicit-def: $vgpr25_vgpr26
	s_and_saveexec_b32 s6, s44
	s_delay_alu instid0(SALU_CYCLE_1)
	s_xor_b32 s20, exec_lo, s6
	s_cbranch_execz .LBB162_148
; %bb.143:                              ;   in Loop: Header=BB162_4 Depth=1
	v_cmp_le_f64_e64 vcc_lo, 0x7b000000, |v[11:12]|
	s_mov_b32 s6, s18
	s_mov_b32 s23, s21
	s_delay_alu instid0(VALU_DEP_4) | instskip(NEXT) | instid1(VALU_DEP_1)
	v_dual_cndmask_b32 v24, v48, v34 :: v_dual_cndmask_b32 v23, v11, v33
	v_mul_f64 v[25:26], v[31:32], v[23:24]
	v_mul_f64 v[35:36], v[29:30], v[23:24]
	s_delay_alu instid0(VALU_DEP_2) | instskip(NEXT) | instid1(VALU_DEP_1)
	v_fma_f64 v[37:38], v[31:32], v[23:24], -v[25:26]
	v_add_f64 v[49:50], v[35:36], v[37:38]
	s_delay_alu instid0(VALU_DEP_1) | instskip(SKIP_1) | instid1(VALU_DEP_2)
	v_add_f64 v[51:52], v[49:50], -v[35:36]
	v_add_f64 v[53:54], v[25:26], v[49:50]
	v_add_f64 v[37:38], v[37:38], -v[51:52]
	s_delay_alu instid0(VALU_DEP_2) | instskip(SKIP_1) | instid1(VALU_DEP_2)
	v_add_f64 v[25:26], v[53:54], -v[25:26]
	v_add_f64 v[51:52], v[49:50], -v[51:52]
	v_add_f64 v[25:26], v[49:50], -v[25:26]
	s_delay_alu instid0(VALU_DEP_2) | instskip(SKIP_2) | instid1(VALU_DEP_3)
	v_add_f64 v[49:50], v[35:36], -v[51:52]
	v_fma_f64 v[35:36], v[29:30], v[23:24], -v[35:36]
	v_mul_f64 v[51:52], v[27:28], v[23:24]
	v_add_f64 v[37:38], v[37:38], v[49:50]
	v_ldexp_f64 v[49:50], v[53:54], -2
	s_delay_alu instid0(VALU_DEP_3) | instskip(SKIP_1) | instid1(VALU_DEP_3)
	v_add_f64 v[53:54], v[51:52], v[35:36]
	v_fma_f64 v[23:24], v[27:28], v[23:24], -v[51:52]
	v_cmp_neq_f64_e64 vcc_lo, 0x7ff00000, |v[49:50]|
	s_delay_alu instid0(VALU_DEP_3) | instskip(SKIP_2) | instid1(VALU_DEP_3)
	v_add_f64 v[57:58], v[53:54], v[37:38]
	v_add_f64 v[55:56], v[53:54], -v[51:52]
	v_fract_f64_e32 v[49:50], v[49:50]
	v_add_f64 v[59:60], v[57:58], -v[53:54]
	s_delay_alu instid0(VALU_DEP_3) | instskip(SKIP_1) | instid1(VALU_DEP_4)
	v_add_f64 v[35:36], v[35:36], -v[55:56]
	v_add_f64 v[55:56], v[53:54], -v[55:56]
	v_dual_cndmask_b32 v50, 0, v50 :: v_dual_cndmask_b32 v49, 0, v49
	s_delay_alu instid0(VALU_DEP_1) | instskip(SKIP_4) | instid1(VALU_DEP_3)
	v_ldexp_f64 v[49:50], v[49:50], 2
	v_add_f64 v[37:38], v[37:38], -v[59:60]
	v_add_f64 v[59:60], v[57:58], -v[59:60]
	;; [unrolled: 1-line block ×3, first 2 shown]
	v_add_f64 v[51:52], v[25:26], v[57:58]
	v_add_f64 v[53:54], v[53:54], -v[59:60]
	s_delay_alu instid0(VALU_DEP_3) | instskip(NEXT) | instid1(VALU_DEP_3)
	v_add_f64 v[35:36], v[35:36], v[55:56]
	v_add_f64 v[25:26], v[51:52], -v[25:26]
	s_delay_alu instid0(VALU_DEP_3) | instskip(SKIP_1) | instid1(VALU_DEP_3)
	v_add_f64 v[37:38], v[37:38], v[53:54]
	v_add_f64 v[53:54], v[51:52], v[49:50]
	v_add_f64 v[25:26], v[57:58], -v[25:26]
	s_delay_alu instid0(VALU_DEP_3) | instskip(NEXT) | instid1(VALU_DEP_3)
	v_add_f64 v[35:36], v[35:36], v[37:38]
	v_cmp_gt_f64_e32 vcc_lo, 0, v[53:54]
	s_delay_alu instid0(VALU_DEP_2) | instskip(SKIP_1) | instid1(VALU_DEP_1)
	v_add_f64 v[23:24], v[23:24], v[35:36]
	v_cndmask_b32_e64 v18, 0, 0x40100000, vcc_lo
	v_add_f64 v[35:36], v[49:50], v[17:18]
	s_delay_alu instid0(VALU_DEP_3) | instskip(NEXT) | instid1(VALU_DEP_2)
	v_add_f64 v[23:24], v[25:26], v[23:24]
	v_add_f64 v[37:38], v[51:52], v[35:36]
	s_delay_alu instid0(VALU_DEP_1) | instskip(NEXT) | instid1(VALU_DEP_1)
	v_cvt_i32_f64_e32 v47, v[37:38]
	v_cvt_f64_i32_e32 v[37:38], v47
	s_delay_alu instid0(VALU_DEP_1) | instskip(NEXT) | instid1(VALU_DEP_1)
	v_add_f64 v[35:36], v[35:36], -v[37:38]
	v_add_f64 v[25:26], v[51:52], v[35:36]
	s_delay_alu instid0(VALU_DEP_1) | instskip(SKIP_1) | instid1(VALU_DEP_2)
	v_add_f64 v[35:36], v[25:26], -v[35:36]
	v_cmp_le_f64_e32 vcc_lo, 0.5, v[25:26]
	v_add_f64 v[35:36], v[51:52], -v[35:36]
	v_cndmask_b32_e64 v18, 0, 0x3ff00000, vcc_lo
	v_add_co_ci_u32_e32 v47, vcc_lo, 0, v47, vcc_lo
	s_delay_alu instid0(VALU_DEP_2) | instskip(NEXT) | instid1(VALU_DEP_4)
	v_add_f64 v[25:26], v[25:26], -v[17:18]
	v_add_f64 v[23:24], v[23:24], v[35:36]
	s_delay_alu instid0(VALU_DEP_1) | instskip(NEXT) | instid1(VALU_DEP_1)
	v_add_f64 v[35:36], v[25:26], v[23:24]
	v_add_f64 v[25:26], v[35:36], -v[25:26]
	s_delay_alu instid0(VALU_DEP_1) | instskip(SKIP_1) | instid1(VALU_DEP_1)
	v_add_f64 v[23:24], v[23:24], -v[25:26]
	v_mul_f64 v[25:26], v[35:36], s[6:7]
	v_fma_f64 v[37:38], v[35:36], s[6:7], -v[25:26]
	s_delay_alu instid0(VALU_DEP_1) | instskip(NEXT) | instid1(VALU_DEP_1)
	v_fma_f64 v[35:36], v[35:36], s[22:23], v[37:38]
	v_fma_f64 v[35:36], v[23:24], s[6:7], v[35:36]
	s_delay_alu instid0(VALU_DEP_1) | instskip(NEXT) | instid1(VALU_DEP_1)
	v_add_f64 v[23:24], v[25:26], v[35:36]
	v_add_f64 v[25:26], v[23:24], -v[25:26]
	s_delay_alu instid0(VALU_DEP_1)
	v_add_f64 v[25:26], v[35:36], -v[25:26]
	s_and_not1_saveexec_b32 s6, s20
	s_cbranch_execz .LBB162_150
	s_branch .LBB162_149
.LBB162_144:                            ;   in Loop: Header=BB162_4 Depth=1
	s_and_not1_saveexec_b32 s6, s20
	s_cbranch_execz .LBB162_146
.LBB162_145:                            ;   in Loop: Header=BB162_4 Depth=1
	v_mul_f64 v[23:24], |v[11:12]|, s[24:25]
	s_mov_b32 s20, s26
	s_delay_alu instid0(VALU_DEP_1) | instskip(NEXT) | instid1(VALU_DEP_1)
	v_rndne_f64_e32 v[27:28], v[23:24]
	v_fma_f64 v[23:24], v[27:28], s[18:19], |v[11:12]|
	v_mul_f64 v[25:26], v[27:28], s[26:27]
	s_delay_alu instid0(VALU_DEP_2) | instskip(NEXT) | instid1(VALU_DEP_2)
	v_fma_f64 v[31:32], v[27:28], s[26:27], v[23:24]
	v_add_f64 v[29:30], v[23:24], v[25:26]
	s_delay_alu instid0(VALU_DEP_1) | instskip(NEXT) | instid1(VALU_DEP_3)
	v_add_f64 v[23:24], v[23:24], -v[29:30]
	v_add_f64 v[29:30], v[29:30], -v[31:32]
	s_delay_alu instid0(VALU_DEP_2) | instskip(SKIP_1) | instid1(VALU_DEP_2)
	v_add_f64 v[23:24], v[23:24], v[25:26]
	v_fma_f64 v[25:26], v[27:28], s[20:21], v[25:26]
	v_add_f64 v[23:24], v[29:30], v[23:24]
	s_delay_alu instid0(VALU_DEP_1) | instskip(NEXT) | instid1(VALU_DEP_1)
	v_add_f64 v[23:24], v[23:24], -v[25:26]
	v_fma_f64 v[25:26], v[27:28], s[28:29], v[23:24]
	s_delay_alu instid0(VALU_DEP_1) | instskip(NEXT) | instid1(VALU_DEP_1)
	v_add_f64 v[23:24], v[31:32], v[25:26]
	v_add_f64 v[29:30], v[23:24], -v[31:32]
	v_cvt_i32_f64_e32 v31, v[27:28]
	s_delay_alu instid0(VALU_DEP_2)
	v_add_f64 v[25:26], v[25:26], -v[29:30]
.LBB162_146:                            ;   in Loop: Header=BB162_4 Depth=1
	s_or_b32 exec_lo, exec_lo, s6
                                        ; implicit-def: $vgpr18
                                        ; implicit-def: $vgpr27_vgpr28
                                        ; implicit-def: $vgpr29_vgpr30
	s_and_saveexec_b32 s6, s44
	s_delay_alu instid0(SALU_CYCLE_1)
	s_xor_b32 s20, exec_lo, s6
	s_cbranch_execz .LBB162_152
; %bb.147:                              ;   in Loop: Header=BB162_4 Depth=1
	v_ldexp_f64 v[27:28], |v[11:12]|, 0xffffff80
	v_cmp_le_f64_e64 vcc_lo, 0x7b000000, |v[11:12]|
	v_trig_preop_f64 v[29:30], |v[11:12]|, 0
	v_and_b32_e32 v18, 0x7fffffff, v12
	v_trig_preop_f64 v[34:35], |v[11:12]|, 1
	v_trig_preop_f64 v[47:48], |v[11:12]|, 2
	s_mov_b32 s6, s18
	s_mov_b32 s23, s21
	v_dual_cndmask_b32 v27, v11, v27 :: v_dual_cndmask_b32 v28, v18, v28
	s_delay_alu instid0(VALU_DEP_1) | instskip(NEXT) | instid1(VALU_DEP_4)
	v_mul_f64 v[32:33], v[29:30], v[27:28]
	v_mul_f64 v[36:37], v[34:35], v[27:28]
	s_delay_alu instid0(VALU_DEP_4) | instskip(NEXT) | instid1(VALU_DEP_3)
	v_mul_f64 v[49:50], v[47:48], v[27:28]
	v_fma_f64 v[29:30], v[29:30], v[27:28], -v[32:33]
	s_delay_alu instid0(VALU_DEP_3) | instskip(NEXT) | instid1(VALU_DEP_3)
	v_fma_f64 v[34:35], v[34:35], v[27:28], -v[36:37]
	v_fma_f64 v[27:28], v[47:48], v[27:28], -v[49:50]
	s_delay_alu instid0(VALU_DEP_3) | instskip(NEXT) | instid1(VALU_DEP_1)
	v_add_f64 v[47:48], v[36:37], v[29:30]
	v_add_f64 v[51:52], v[47:48], -v[36:37]
	s_delay_alu instid0(VALU_DEP_1) | instskip(SKIP_1) | instid1(VALU_DEP_1)
	v_add_f64 v[29:30], v[29:30], -v[51:52]
	v_add_f64 v[51:52], v[47:48], -v[51:52]
	;; [unrolled: 1-line block ×3, first 2 shown]
	v_add_f64 v[51:52], v[32:33], v[47:48]
	s_delay_alu instid0(VALU_DEP_2) | instskip(NEXT) | instid1(VALU_DEP_2)
	v_add_f64 v[29:30], v[29:30], v[36:37]
	v_add_f64 v[32:33], v[51:52], -v[32:33]
	v_add_f64 v[36:37], v[49:50], v[34:35]
	v_ldexp_f64 v[51:52], v[51:52], -2
	s_delay_alu instid0(VALU_DEP_3) | instskip(NEXT) | instid1(VALU_DEP_3)
	v_add_f64 v[32:33], v[47:48], -v[32:33]
	v_add_f64 v[47:48], v[36:37], -v[49:50]
	s_delay_alu instid0(VALU_DEP_3) | instskip(SKIP_1) | instid1(VALU_DEP_3)
	v_cmp_neq_f64_e64 vcc_lo, 0x7ff00000, |v[51:52]|
	v_fract_f64_e32 v[51:52], v[51:52]
	v_add_f64 v[34:35], v[34:35], -v[47:48]
	v_add_f64 v[47:48], v[36:37], -v[47:48]
	s_delay_alu instid0(VALU_DEP_3) | instskip(NEXT) | instid1(VALU_DEP_2)
	v_dual_cndmask_b32 v51, 0, v51 :: v_dual_cndmask_b32 v52, 0, v52
	v_add_f64 v[47:48], v[49:50], -v[47:48]
	v_add_f64 v[49:50], v[36:37], v[29:30]
	s_delay_alu instid0(VALU_DEP_2) | instskip(NEXT) | instid1(VALU_DEP_2)
	v_add_f64 v[34:35], v[34:35], v[47:48]
	v_add_f64 v[53:54], v[49:50], -v[36:37]
	v_add_f64 v[47:48], v[32:33], v[49:50]
	s_delay_alu instid0(VALU_DEP_2) | instskip(SKIP_1) | instid1(VALU_DEP_3)
	v_add_f64 v[29:30], v[29:30], -v[53:54]
	v_add_f64 v[53:54], v[49:50], -v[53:54]
	;; [unrolled: 1-line block ×3, first 2 shown]
	s_delay_alu instid0(VALU_DEP_2) | instskip(NEXT) | instid1(VALU_DEP_2)
	v_add_f64 v[36:37], v[36:37], -v[53:54]
	v_add_f64 v[32:33], v[49:50], -v[32:33]
	s_delay_alu instid0(VALU_DEP_2) | instskip(SKIP_1) | instid1(VALU_DEP_2)
	v_add_f64 v[29:30], v[29:30], v[36:37]
	v_ldexp_f64 v[36:37], v[51:52], 2
	v_add_f64 v[29:30], v[34:35], v[29:30]
	s_delay_alu instid0(VALU_DEP_2) | instskip(NEXT) | instid1(VALU_DEP_2)
	v_add_f64 v[51:52], v[47:48], v[36:37]
	v_add_f64 v[27:28], v[27:28], v[29:30]
	s_delay_alu instid0(VALU_DEP_2) | instskip(NEXT) | instid1(VALU_DEP_2)
	v_cmp_gt_f64_e32 vcc_lo, 0, v[51:52]
	v_add_f64 v[27:28], v[32:33], v[27:28]
	v_cndmask_b32_e64 v18, 0, 0x40100000, vcc_lo
	s_delay_alu instid0(VALU_DEP_1) | instskip(NEXT) | instid1(VALU_DEP_1)
	v_add_f64 v[29:30], v[36:37], v[17:18]
	v_add_f64 v[34:35], v[47:48], v[29:30]
	s_delay_alu instid0(VALU_DEP_1) | instskip(NEXT) | instid1(VALU_DEP_1)
	v_cvt_i32_f64_e32 v36, v[34:35]
	v_cvt_f64_i32_e32 v[34:35], v36
	s_delay_alu instid0(VALU_DEP_1) | instskip(NEXT) | instid1(VALU_DEP_1)
	v_add_f64 v[29:30], v[29:30], -v[34:35]
	v_add_f64 v[32:33], v[47:48], v[29:30]
	s_delay_alu instid0(VALU_DEP_1) | instskip(SKIP_1) | instid1(VALU_DEP_2)
	v_add_f64 v[29:30], v[32:33], -v[29:30]
	v_cmp_le_f64_e32 vcc_lo, 0.5, v[32:33]
	v_add_f64 v[29:30], v[47:48], -v[29:30]
	v_cndmask_b32_e64 v18, 0, 0x3ff00000, vcc_lo
	s_delay_alu instid0(VALU_DEP_1) | instskip(SKIP_1) | instid1(VALU_DEP_4)
	v_add_f64 v[32:33], v[32:33], -v[17:18]
	v_add_co_ci_u32_e32 v18, vcc_lo, 0, v36, vcc_lo
	v_add_f64 v[27:28], v[27:28], v[29:30]
	s_delay_alu instid0(VALU_DEP_1) | instskip(NEXT) | instid1(VALU_DEP_1)
	v_add_f64 v[29:30], v[32:33], v[27:28]
	v_add_f64 v[32:33], v[29:30], -v[32:33]
	s_delay_alu instid0(VALU_DEP_1) | instskip(SKIP_1) | instid1(VALU_DEP_1)
	v_add_f64 v[27:28], v[27:28], -v[32:33]
	v_mul_f64 v[32:33], v[29:30], s[6:7]
	v_fma_f64 v[34:35], v[29:30], s[6:7], -v[32:33]
	s_delay_alu instid0(VALU_DEP_1) | instskip(NEXT) | instid1(VALU_DEP_1)
	v_fma_f64 v[29:30], v[29:30], s[22:23], v[34:35]
	v_fma_f64 v[29:30], v[27:28], s[6:7], v[29:30]
	s_delay_alu instid0(VALU_DEP_1) | instskip(NEXT) | instid1(VALU_DEP_1)
	v_add_f64 v[27:28], v[32:33], v[29:30]
	v_add_f64 v[32:33], v[27:28], -v[32:33]
	s_delay_alu instid0(VALU_DEP_1)
	v_add_f64 v[29:30], v[29:30], -v[32:33]
	s_and_not1_saveexec_b32 s6, s20
	s_cbranch_execnz .LBB162_153
	s_branch .LBB162_154
.LBB162_148:                            ;   in Loop: Header=BB162_4 Depth=1
	s_and_not1_saveexec_b32 s6, s20
	s_cbranch_execz .LBB162_150
.LBB162_149:                            ;   in Loop: Header=BB162_4 Depth=1
	v_mul_f64 v[23:24], |v[11:12]|, s[24:25]
	s_mov_b32 s20, s26
	s_delay_alu instid0(VALU_DEP_1) | instskip(NEXT) | instid1(VALU_DEP_1)
	v_rndne_f64_e32 v[35:36], v[23:24]
	v_fma_f64 v[23:24], v[35:36], s[18:19], |v[11:12]|
	v_mul_f64 v[25:26], v[35:36], s[26:27]
	v_cvt_i32_f64_e32 v47, v[35:36]
	s_delay_alu instid0(VALU_DEP_3) | instskip(NEXT) | instid1(VALU_DEP_3)
	v_fma_f64 v[49:50], v[35:36], s[26:27], v[23:24]
	v_add_f64 v[37:38], v[23:24], v[25:26]
	s_delay_alu instid0(VALU_DEP_1) | instskip(NEXT) | instid1(VALU_DEP_3)
	v_add_f64 v[23:24], v[23:24], -v[37:38]
	v_add_f64 v[37:38], v[37:38], -v[49:50]
	s_delay_alu instid0(VALU_DEP_2) | instskip(SKIP_1) | instid1(VALU_DEP_2)
	v_add_f64 v[23:24], v[23:24], v[25:26]
	v_fma_f64 v[25:26], v[35:36], s[20:21], v[25:26]
	v_add_f64 v[23:24], v[37:38], v[23:24]
	s_delay_alu instid0(VALU_DEP_1) | instskip(NEXT) | instid1(VALU_DEP_1)
	v_add_f64 v[23:24], v[23:24], -v[25:26]
	v_fma_f64 v[25:26], v[35:36], s[28:29], v[23:24]
	s_delay_alu instid0(VALU_DEP_1) | instskip(NEXT) | instid1(VALU_DEP_1)
	v_add_f64 v[23:24], v[49:50], v[25:26]
	v_add_f64 v[37:38], v[23:24], -v[49:50]
	s_delay_alu instid0(VALU_DEP_1)
	v_add_f64 v[25:26], v[25:26], -v[37:38]
.LBB162_150:                            ;   in Loop: Header=BB162_4 Depth=1
	s_or_b32 exec_lo, exec_lo, s6
                                        ; implicit-def: $vgpr18
                                        ; implicit-def: $vgpr35_vgpr36
                                        ; implicit-def: $vgpr37_vgpr38
	s_and_saveexec_b32 s6, s44
	s_delay_alu instid0(SALU_CYCLE_1)
	s_xor_b32 s20, exec_lo, s6
	s_cbranch_execz .LBB162_163
; %bb.151:                              ;   in Loop: Header=BB162_4 Depth=1
	v_cmp_le_f64_e64 vcc_lo, 0x7b000000, |v[11:12]|
	s_mov_b32 s6, s18
	s_mov_b32 s23, s21
	s_delay_alu instid0(VALU_DEP_4) | instskip(NEXT) | instid1(VALU_DEP_1)
	v_dual_cndmask_b32 v34, v48, v34 :: v_dual_cndmask_b32 v33, v11, v33
	v_mul_f64 v[35:36], v[31:32], v[33:34]
	v_mul_f64 v[37:38], v[29:30], v[33:34]
	;; [unrolled: 1-line block ×3, first 2 shown]
	s_delay_alu instid0(VALU_DEP_3) | instskip(NEXT) | instid1(VALU_DEP_3)
	v_fma_f64 v[31:32], v[31:32], v[33:34], -v[35:36]
	v_fma_f64 v[29:30], v[29:30], v[33:34], -v[37:38]
	s_delay_alu instid0(VALU_DEP_3) | instskip(NEXT) | instid1(VALU_DEP_3)
	v_fma_f64 v[27:28], v[27:28], v[33:34], -v[48:49]
	v_add_f64 v[33:34], v[37:38], v[31:32]
	s_delay_alu instid0(VALU_DEP_1) | instskip(NEXT) | instid1(VALU_DEP_1)
	v_add_f64 v[50:51], v[33:34], -v[37:38]
	v_add_f64 v[31:32], v[31:32], -v[50:51]
	;; [unrolled: 1-line block ×3, first 2 shown]
	s_delay_alu instid0(VALU_DEP_1) | instskip(SKIP_1) | instid1(VALU_DEP_2)
	v_add_f64 v[37:38], v[37:38], -v[50:51]
	v_add_f64 v[50:51], v[35:36], v[33:34]
	v_add_f64 v[31:32], v[31:32], v[37:38]
	s_delay_alu instid0(VALU_DEP_2) | instskip(SKIP_1) | instid1(VALU_DEP_2)
	v_add_f64 v[35:36], v[50:51], -v[35:36]
	v_ldexp_f64 v[50:51], v[50:51], -2
	v_add_f64 v[33:34], v[33:34], -v[35:36]
	v_add_f64 v[35:36], v[48:49], v[29:30]
	s_delay_alu instid0(VALU_DEP_3) | instskip(SKIP_1) | instid1(VALU_DEP_3)
	v_cmp_neq_f64_e64 vcc_lo, 0x7ff00000, |v[50:51]|
	v_fract_f64_e32 v[50:51], v[50:51]
	v_add_f64 v[37:38], v[35:36], -v[48:49]
	s_delay_alu instid0(VALU_DEP_2) | instskip(NEXT) | instid1(VALU_DEP_2)
	v_dual_cndmask_b32 v51, 0, v51 :: v_dual_cndmask_b32 v50, 0, v50
	v_add_f64 v[29:30], v[29:30], -v[37:38]
	v_add_f64 v[37:38], v[35:36], -v[37:38]
	s_delay_alu instid0(VALU_DEP_1) | instskip(SKIP_1) | instid1(VALU_DEP_2)
	v_add_f64 v[37:38], v[48:49], -v[37:38]
	v_add_f64 v[48:49], v[35:36], v[31:32]
	v_add_f64 v[29:30], v[29:30], v[37:38]
	s_delay_alu instid0(VALU_DEP_2) | instskip(SKIP_1) | instid1(VALU_DEP_2)
	v_add_f64 v[52:53], v[48:49], -v[35:36]
	v_add_f64 v[37:38], v[33:34], v[48:49]
	v_add_f64 v[31:32], v[31:32], -v[52:53]
	v_add_f64 v[52:53], v[48:49], -v[52:53]
	s_delay_alu instid0(VALU_DEP_1) | instskip(NEXT) | instid1(VALU_DEP_1)
	v_add_f64 v[35:36], v[35:36], -v[52:53]
	v_add_f64 v[31:32], v[31:32], v[35:36]
	v_ldexp_f64 v[35:36], v[50:51], 2
	s_delay_alu instid0(VALU_DEP_2) | instskip(NEXT) | instid1(VALU_DEP_2)
	v_add_f64 v[29:30], v[29:30], v[31:32]
	v_add_f64 v[50:51], v[37:38], v[35:36]
	v_add_f64 v[31:32], v[37:38], -v[33:34]
	s_delay_alu instid0(VALU_DEP_3) | instskip(NEXT) | instid1(VALU_DEP_3)
	v_add_f64 v[27:28], v[27:28], v[29:30]
	v_cmp_gt_f64_e32 vcc_lo, 0, v[50:51]
	s_delay_alu instid0(VALU_DEP_3) | instskip(SKIP_1) | instid1(VALU_DEP_2)
	v_add_f64 v[31:32], v[48:49], -v[31:32]
	v_cndmask_b32_e64 v18, 0, 0x40100000, vcc_lo
	v_add_f64 v[27:28], v[31:32], v[27:28]
	s_delay_alu instid0(VALU_DEP_2) | instskip(NEXT) | instid1(VALU_DEP_1)
	v_add_f64 v[29:30], v[35:36], v[17:18]
	v_add_f64 v[33:34], v[37:38], v[29:30]
	s_delay_alu instid0(VALU_DEP_1) | instskip(NEXT) | instid1(VALU_DEP_1)
	v_cvt_i32_f64_e32 v48, v[33:34]
	v_cvt_f64_i32_e32 v[33:34], v48
	s_delay_alu instid0(VALU_DEP_1) | instskip(NEXT) | instid1(VALU_DEP_1)
	v_add_f64 v[29:30], v[29:30], -v[33:34]
	v_add_f64 v[31:32], v[37:38], v[29:30]
	s_delay_alu instid0(VALU_DEP_1) | instskip(SKIP_1) | instid1(VALU_DEP_2)
	v_add_f64 v[29:30], v[31:32], -v[29:30]
	v_cmp_le_f64_e32 vcc_lo, 0.5, v[31:32]
	v_add_f64 v[29:30], v[37:38], -v[29:30]
	v_cndmask_b32_e64 v18, 0, 0x3ff00000, vcc_lo
	s_delay_alu instid0(VALU_DEP_1) | instskip(SKIP_1) | instid1(VALU_DEP_4)
	v_add_f64 v[31:32], v[31:32], -v[17:18]
	v_add_co_ci_u32_e32 v18, vcc_lo, 0, v48, vcc_lo
	v_add_f64 v[27:28], v[27:28], v[29:30]
	s_delay_alu instid0(VALU_DEP_1) | instskip(NEXT) | instid1(VALU_DEP_1)
	v_add_f64 v[29:30], v[31:32], v[27:28]
	v_add_f64 v[31:32], v[29:30], -v[31:32]
	s_delay_alu instid0(VALU_DEP_1) | instskip(SKIP_1) | instid1(VALU_DEP_1)
	v_add_f64 v[27:28], v[27:28], -v[31:32]
	v_mul_f64 v[31:32], v[29:30], s[6:7]
	v_fma_f64 v[33:34], v[29:30], s[6:7], -v[31:32]
	s_delay_alu instid0(VALU_DEP_1) | instskip(NEXT) | instid1(VALU_DEP_1)
	v_fma_f64 v[29:30], v[29:30], s[22:23], v[33:34]
	v_fma_f64 v[27:28], v[27:28], s[6:7], v[29:30]
	s_delay_alu instid0(VALU_DEP_1) | instskip(NEXT) | instid1(VALU_DEP_1)
	v_add_f64 v[35:36], v[31:32], v[27:28]
	v_add_f64 v[29:30], v[35:36], -v[31:32]
	s_delay_alu instid0(VALU_DEP_1)
	v_add_f64 v[37:38], v[27:28], -v[29:30]
	s_and_not1_saveexec_b32 s6, s20
	s_cbranch_execnz .LBB162_164
	s_branch .LBB162_165
.LBB162_152:                            ;   in Loop: Header=BB162_4 Depth=1
	s_and_not1_saveexec_b32 s6, s20
	s_cbranch_execz .LBB162_154
.LBB162_153:                            ;   in Loop: Header=BB162_4 Depth=1
	v_mul_f64 v[27:28], |v[11:12]|, s[24:25]
	s_mov_b32 s20, s26
	s_delay_alu instid0(VALU_DEP_1) | instskip(NEXT) | instid1(VALU_DEP_1)
	v_rndne_f64_e32 v[32:33], v[27:28]
	v_fma_f64 v[27:28], v[32:33], s[18:19], |v[11:12]|
	v_mul_f64 v[29:30], v[32:33], s[26:27]
	v_cvt_i32_f64_e32 v18, v[32:33]
	s_delay_alu instid0(VALU_DEP_3) | instskip(NEXT) | instid1(VALU_DEP_3)
	v_fma_f64 v[36:37], v[32:33], s[26:27], v[27:28]
	v_add_f64 v[34:35], v[27:28], v[29:30]
	s_delay_alu instid0(VALU_DEP_1) | instskip(NEXT) | instid1(VALU_DEP_3)
	v_add_f64 v[27:28], v[27:28], -v[34:35]
	v_add_f64 v[34:35], v[34:35], -v[36:37]
	s_delay_alu instid0(VALU_DEP_2) | instskip(SKIP_1) | instid1(VALU_DEP_2)
	v_add_f64 v[27:28], v[27:28], v[29:30]
	v_fma_f64 v[29:30], v[32:33], s[20:21], v[29:30]
	v_add_f64 v[27:28], v[34:35], v[27:28]
	s_delay_alu instid0(VALU_DEP_1) | instskip(NEXT) | instid1(VALU_DEP_1)
	v_add_f64 v[27:28], v[27:28], -v[29:30]
	v_fma_f64 v[29:30], v[32:33], s[28:29], v[27:28]
	s_delay_alu instid0(VALU_DEP_1) | instskip(NEXT) | instid1(VALU_DEP_1)
	v_add_f64 v[27:28], v[36:37], v[29:30]
	v_add_f64 v[34:35], v[27:28], -v[36:37]
	s_delay_alu instid0(VALU_DEP_1)
	v_add_f64 v[29:30], v[29:30], -v[34:35]
.LBB162_154:                            ;   in Loop: Header=BB162_4 Depth=1
	s_or_b32 exec_lo, exec_lo, s6
	v_mul_f64 v[32:33], v[23:24], v[23:24]
	s_delay_alu instid0(VALU_DEP_2) | instskip(NEXT) | instid1(VALU_DEP_3)
	v_mul_f64 v[49:50], v[25:26], 0.5
	v_mul_f64 v[55:56], v[29:30], 0.5
	s_mov_b32 s44, s46
	s_mov_b32 s87, s43
	;; [unrolled: 1-line block ×4, first 2 shown]
	s_delay_alu instid0(VALU_DEP_3) | instskip(SKIP_1) | instid1(VALU_DEP_2)
	v_mul_f64 v[34:35], v[32:33], 0.5
	v_mul_f64 v[51:52], v[23:24], -v[32:33]
	v_add_f64 v[36:37], -v[34:35], 1.0
	s_delay_alu instid0(VALU_DEP_1) | instskip(NEXT) | instid1(VALU_DEP_1)
	v_add_f64 v[47:48], -v[36:37], 1.0
	v_add_f64 v[34:35], v[47:48], -v[34:35]
	v_fma_f64 v[47:48], v[32:33], s[34:35], s[30:31]
	s_delay_alu instid0(VALU_DEP_2) | instskip(NEXT) | instid1(VALU_DEP_2)
	v_fma_f64 v[34:35], v[23:24], -v[25:26], v[34:35]
	v_fma_f64 v[47:48], v[32:33], v[47:48], s[36:37]
	s_delay_alu instid0(VALU_DEP_1) | instskip(NEXT) | instid1(VALU_DEP_1)
	v_fma_f64 v[47:48], v[32:33], v[47:48], s[38:39]
	v_fma_f64 v[47:48], v[32:33], v[47:48], s[42:43]
	s_delay_alu instid0(VALU_DEP_1) | instskip(NEXT) | instid1(VALU_DEP_1)
	v_fma_f64 v[47:48], v[51:52], v[47:48], v[49:50]
	v_fma_f64 v[25:26], v[32:33], v[47:48], -v[25:26]
	v_fma_f64 v[47:48], v[32:33], s[98:99], s[96:97]
	s_delay_alu instid0(VALU_DEP_2) | instskip(NEXT) | instid1(VALU_DEP_2)
	v_fma_f64 v[25:26], v[51:52], s[44:45], v[25:26]
	v_fma_f64 v[47:48], v[32:33], v[47:48], s[100:101]
	s_delay_alu instid0(VALU_DEP_2) | instskip(NEXT) | instid1(VALU_DEP_2)
	v_add_f64 v[23:24], v[23:24], -v[25:26]
	v_fma_f64 v[47:48], v[32:33], v[47:48], s[102:103]
	s_delay_alu instid0(VALU_DEP_1) | instskip(NEXT) | instid1(VALU_DEP_1)
	v_fma_f64 v[47:48], v[32:33], v[47:48], s[10:11]
	v_fma_f64 v[47:48], v[32:33], v[47:48], s[46:47]
	v_mul_f64 v[32:33], v[32:33], v[32:33]
	s_delay_alu instid0(VALU_DEP_1) | instskip(SKIP_1) | instid1(VALU_DEP_2)
	v_fma_f64 v[32:33], v[32:33], v[47:48], v[34:35]
	v_mul_f64 v[34:35], v[27:28], v[27:28]
	v_add_f64 v[32:33], v[36:37], v[32:33]
	s_delay_alu instid0(VALU_DEP_2) | instskip(SKIP_2) | instid1(VALU_DEP_1)
	v_mul_f64 v[47:48], v[34:35], 0.5
	v_mul_f64 v[57:58], v[27:28], -v[34:35]
	v_and_b32_e32 v11, 1, v31
	v_cmp_eq_u32_e32 vcc_lo, 0, v11
	v_cndmask_b32_e32 v24, v33, v24, vcc_lo
	v_add_f64 v[49:50], -v[47:48], 1.0
	v_cndmask_b32_e32 v11, v32, v23, vcc_lo
	s_delay_alu instid0(VALU_DEP_2) | instskip(NEXT) | instid1(VALU_DEP_1)
	v_add_f64 v[53:54], -v[49:50], 1.0
	v_add_f64 v[47:48], v[53:54], -v[47:48]
	v_fma_f64 v[53:54], v[34:35], s[34:35], s[30:31]
	s_delay_alu instid0(VALU_DEP_2) | instskip(NEXT) | instid1(VALU_DEP_2)
	v_fma_f64 v[47:48], v[27:28], -v[29:30], v[47:48]
	v_fma_f64 v[53:54], v[34:35], v[53:54], s[36:37]
	s_delay_alu instid0(VALU_DEP_1) | instskip(NEXT) | instid1(VALU_DEP_1)
	v_fma_f64 v[53:54], v[34:35], v[53:54], s[38:39]
	v_fma_f64 v[53:54], v[34:35], v[53:54], s[42:43]
	s_delay_alu instid0(VALU_DEP_1) | instskip(NEXT) | instid1(VALU_DEP_1)
	v_fma_f64 v[53:54], v[57:58], v[53:54], v[55:56]
	v_fma_f64 v[29:30], v[34:35], v[53:54], -v[29:30]
	v_fma_f64 v[53:54], v[34:35], s[98:99], s[96:97]
	s_delay_alu instid0(VALU_DEP_2) | instskip(NEXT) | instid1(VALU_DEP_2)
	v_fma_f64 v[29:30], v[57:58], s[44:45], v[29:30]
	v_fma_f64 v[53:54], v[34:35], v[53:54], s[100:101]
	s_delay_alu instid0(VALU_DEP_2) | instskip(NEXT) | instid1(VALU_DEP_2)
	v_add_f64 v[25:26], v[27:28], -v[29:30]
	v_fma_f64 v[53:54], v[34:35], v[53:54], s[102:103]
	s_delay_alu instid0(VALU_DEP_1) | instskip(NEXT) | instid1(VALU_DEP_1)
	v_fma_f64 v[53:54], v[34:35], v[53:54], s[10:11]
	v_fma_f64 v[53:54], v[34:35], v[53:54], s[46:47]
	v_mul_f64 v[34:35], v[34:35], v[34:35]
	s_delay_alu instid0(VALU_DEP_1) | instskip(NEXT) | instid1(VALU_DEP_1)
	v_fma_f64 v[34:35], v[34:35], v[53:54], v[47:48]
	v_add_f64 v[27:28], v[49:50], v[34:35]
	v_lshlrev_b32_e32 v23, 30, v31
	s_delay_alu instid0(VALU_DEP_1) | instskip(SKIP_2) | instid1(VALU_DEP_3)
	v_xor_b32_e32 v12, v23, v12
	v_and_b32_e32 v23, 1, v18
	v_lshlrev_b32_e32 v18, 30, v18
	v_and_b32_e32 v12, 0x80000000, v12
	s_delay_alu instid0(VALU_DEP_3) | instskip(NEXT) | instid1(VALU_DEP_2)
	v_cmp_eq_u32_e32 vcc_lo, 0, v23
	v_xor_b32_e32 v12, v24, v12
	v_xor_b32_e32 v24, 0x80000000, v26
	s_delay_alu instid0(VALU_DEP_2) | instskip(SKIP_2) | instid1(VALU_DEP_4)
	v_mul_f64 v[11:12], v[11:12], 4.0
	v_cndmask_b32_e32 v23, v25, v27, vcc_lo
	v_mul_f64 v[25:26], |v[9:10]|, s[68:69]
	v_cndmask_b32_e32 v24, v24, v28, vcc_lo
	v_cmp_nlt_f64_e64 vcc_lo, 0x4090cc00, |v[9:10]|
	v_and_b32_e32 v18, 0x80000000, v18
	s_delay_alu instid0(VALU_DEP_1) | instskip(NEXT) | instid1(VALU_DEP_1)
	v_xor_b32_e32 v24, v24, v18
	v_mul_f64 v[11:12], v[11:12], v[23:24]
	v_rndne_f64_e32 v[25:26], v[25:26]
	s_delay_alu instid0(VALU_DEP_1) | instskip(SKIP_1) | instid1(VALU_DEP_2)
	v_fma_f64 v[27:28], v[25:26], s[40:41], -|v[9:10]|
	v_cvt_i32_f64_e32 v18, v[25:26]
	v_fma_f64 v[27:28], v[25:26], s[64:65], v[27:28]
	s_delay_alu instid0(VALU_DEP_1) | instskip(NEXT) | instid1(VALU_DEP_1)
	v_fma_f64 v[29:30], v[27:28], s[76:77], s[74:75]
	v_fma_f64 v[29:30], v[27:28], v[29:30], s[78:79]
	s_delay_alu instid0(VALU_DEP_1) | instskip(NEXT) | instid1(VALU_DEP_1)
	v_fma_f64 v[29:30], v[27:28], v[29:30], s[80:81]
	;; [unrolled: 3-line block ×5, first 2 shown]
	v_fma_f64 v[29:30], v[27:28], v[29:30], 1.0
	s_delay_alu instid0(VALU_DEP_1) | instskip(NEXT) | instid1(VALU_DEP_1)
	v_fma_f64 v[27:28], v[27:28], v[29:30], 1.0
	v_ldexp_f64 v[25:26], v[27:28], v18
	v_bfi_b32 v18, 0x7fffffff, s6, v10
	s_delay_alu instid0(VALU_DEP_1) | instskip(NEXT) | instid1(VALU_DEP_3)
	v_dual_mov_b32 v9, v17 :: v_dual_mov_b32 v10, v18
	v_dual_cndmask_b32 v23, 0, v25 :: v_dual_cndmask_b32 v24, 0, v26
	s_delay_alu instid0(VALU_DEP_1) | instskip(NEXT) | instid1(VALU_DEP_1)
	v_mul_f64 v[11:12], v[23:24], v[11:12]
	v_mul_f64 v[11:12], v[23:24], v[11:12]
.LBB162_155:                            ;   in Loop: Header=BB162_4 Depth=1
	s_or_b32 exec_lo, exec_lo, s51
.LBB162_156:                            ;   in Loop: Header=BB162_4 Depth=1
	s_and_not1_saveexec_b32 s6, s50
; %bb.157:                              ;   in Loop: Header=BB162_4 Depth=1
	s_delay_alu instid0(VALU_DEP_1) | instskip(NEXT) | instid1(VALU_DEP_1)
	v_add_f64 v[11:12], v[11:12], -v[11:12]
	v_dual_mov_b32 v9, v11 :: v_dual_mov_b32 v10, v12
; %bb.158:                              ;   in Loop: Header=BB162_4 Depth=1
	s_or_b32 exec_lo, exec_lo, s6
	s_and_not1_saveexec_b32 s49, s49
	s_cbranch_execnz .LBB162_138
.LBB162_159:                            ;   in Loop: Header=BB162_4 Depth=1
	s_or_b32 exec_lo, exec_lo, s49
	s_and_saveexec_b32 s6, s2
	s_delay_alu instid0(SALU_CYCLE_1)
	s_xor_b32 s2, exec_lo, s6
	s_cbranch_execz .LBB162_168
.LBB162_160:                            ;   in Loop: Header=BB162_4 Depth=1
	v_add_co_u32 v23, s6, s33, v19
	s_delay_alu instid0(VALU_DEP_1)
	v_add_co_ci_u32_e64 v24, null, s104, 0, s6
	global_store_b128 v[23:24], v[5:8], off
	s_or_b32 exec_lo, exec_lo, s2
	s_and_saveexec_b32 s2, s3
	s_cbranch_execnz .LBB162_169
.LBB162_161:                            ;   in Loop: Header=BB162_4 Depth=1
	s_or_b32 exec_lo, exec_lo, s2
	s_and_saveexec_b32 s2, s4
	s_cbranch_execz .LBB162_170
.LBB162_162:                            ;   in Loop: Header=BB162_4 Depth=1
	v_add_co_u32 v1, vcc_lo, s33, v43
	v_add_co_ci_u32_e32 v2, vcc_lo, s104, v42, vcc_lo
	global_store_b128 v[1:2], v[13:16], off offset:-8
	s_or_b32 exec_lo, exec_lo, s2
	s_and_saveexec_b32 s2, s5
	s_cbranch_execz .LBB162_3
	s_branch .LBB162_171
.LBB162_163:                            ;   in Loop: Header=BB162_4 Depth=1
	s_and_not1_saveexec_b32 s6, s20
	s_cbranch_execz .LBB162_165
.LBB162_164:                            ;   in Loop: Header=BB162_4 Depth=1
	v_mul_f64 v[27:28], |v[11:12]|, s[24:25]
	s_mov_b32 s20, s26
	s_delay_alu instid0(VALU_DEP_1) | instskip(NEXT) | instid1(VALU_DEP_1)
	v_rndne_f64_e32 v[27:28], v[27:28]
	v_fma_f64 v[29:30], v[27:28], s[18:19], |v[11:12]|
	v_mul_f64 v[31:32], v[27:28], s[26:27]
	v_cvt_i32_f64_e32 v18, v[27:28]
	s_delay_alu instid0(VALU_DEP_3) | instskip(NEXT) | instid1(VALU_DEP_3)
	v_fma_f64 v[37:38], v[27:28], s[26:27], v[29:30]
	v_add_f64 v[33:34], v[29:30], v[31:32]
	s_delay_alu instid0(VALU_DEP_1) | instskip(NEXT) | instid1(VALU_DEP_3)
	v_add_f64 v[29:30], v[29:30], -v[33:34]
	v_add_f64 v[33:34], v[33:34], -v[37:38]
	s_delay_alu instid0(VALU_DEP_2) | instskip(SKIP_1) | instid1(VALU_DEP_2)
	v_add_f64 v[29:30], v[29:30], v[31:32]
	v_fma_f64 v[31:32], v[27:28], s[20:21], v[31:32]
	v_add_f64 v[29:30], v[33:34], v[29:30]
	s_delay_alu instid0(VALU_DEP_1) | instskip(NEXT) | instid1(VALU_DEP_1)
	v_add_f64 v[29:30], v[29:30], -v[31:32]
	v_fma_f64 v[29:30], v[27:28], s[28:29], v[29:30]
	s_delay_alu instid0(VALU_DEP_1) | instskip(NEXT) | instid1(VALU_DEP_1)
	v_add_f64 v[35:36], v[37:38], v[29:30]
	v_add_f64 v[31:32], v[35:36], -v[37:38]
	s_delay_alu instid0(VALU_DEP_1)
	v_add_f64 v[37:38], v[29:30], -v[31:32]
.LBB162_165:                            ;   in Loop: Header=BB162_4 Depth=1
	s_or_b32 exec_lo, exec_lo, s6
	v_mul_f64 v[27:28], v[23:24], v[23:24]
	s_delay_alu instid0(VALU_DEP_2) | instskip(NEXT) | instid1(VALU_DEP_3)
	v_mul_f64 v[48:49], v[25:26], 0.5
	v_mul_f64 v[54:55], v[37:38], 0.5
	s_mov_b32 s44, s46
	s_delay_alu instid0(VALU_DEP_3) | instskip(SKIP_1) | instid1(VALU_DEP_2)
	v_mul_f64 v[29:30], v[27:28], 0.5
	v_mul_f64 v[50:51], v[23:24], -v[27:28]
	v_add_f64 v[31:32], -v[29:30], 1.0
	s_delay_alu instid0(VALU_DEP_1) | instskip(NEXT) | instid1(VALU_DEP_1)
	v_add_f64 v[33:34], -v[31:32], 1.0
	v_add_f64 v[29:30], v[33:34], -v[29:30]
	v_fma_f64 v[33:34], v[27:28], s[34:35], s[30:31]
	s_delay_alu instid0(VALU_DEP_2) | instskip(NEXT) | instid1(VALU_DEP_2)
	v_fma_f64 v[29:30], v[23:24], -v[25:26], v[29:30]
	v_fma_f64 v[33:34], v[27:28], v[33:34], s[36:37]
	s_delay_alu instid0(VALU_DEP_1) | instskip(NEXT) | instid1(VALU_DEP_1)
	v_fma_f64 v[33:34], v[27:28], v[33:34], s[38:39]
	v_fma_f64 v[33:34], v[27:28], v[33:34], s[42:43]
	s_delay_alu instid0(VALU_DEP_1) | instskip(NEXT) | instid1(VALU_DEP_1)
	v_fma_f64 v[33:34], v[50:51], v[33:34], v[48:49]
	v_fma_f64 v[25:26], v[27:28], v[33:34], -v[25:26]
	v_fma_f64 v[33:34], v[27:28], s[98:99], s[96:97]
	s_delay_alu instid0(VALU_DEP_2) | instskip(NEXT) | instid1(VALU_DEP_2)
	v_fma_f64 v[25:26], v[50:51], s[44:45], v[25:26]
	v_fma_f64 v[33:34], v[27:28], v[33:34], s[100:101]
	s_delay_alu instid0(VALU_DEP_2) | instskip(NEXT) | instid1(VALU_DEP_2)
	v_add_f64 v[23:24], v[23:24], -v[25:26]
	v_fma_f64 v[33:34], v[27:28], v[33:34], s[102:103]
	s_delay_alu instid0(VALU_DEP_1) | instskip(NEXT) | instid1(VALU_DEP_1)
	v_fma_f64 v[33:34], v[27:28], v[33:34], s[10:11]
	v_fma_f64 v[33:34], v[27:28], v[33:34], s[46:47]
	v_mul_f64 v[27:28], v[27:28], v[27:28]
	s_delay_alu instid0(VALU_DEP_1) | instskip(SKIP_1) | instid1(VALU_DEP_2)
	v_fma_f64 v[27:28], v[27:28], v[33:34], v[29:30]
	v_mul_f64 v[29:30], v[35:36], v[35:36]
	v_add_f64 v[27:28], v[31:32], v[27:28]
	s_delay_alu instid0(VALU_DEP_2) | instskip(SKIP_2) | instid1(VALU_DEP_1)
	v_mul_f64 v[33:34], v[29:30], 0.5
	v_mul_f64 v[56:57], v[35:36], -v[29:30]
	v_and_b32_e32 v25, 1, v47
	v_cmp_eq_u32_e32 vcc_lo, 0, v25
	v_cndmask_b32_e32 v28, v28, v24, vcc_lo
	v_add_f64 v[48:49], -v[33:34], 1.0
	v_cndmask_b32_e32 v27, v27, v23, vcc_lo
	v_cmp_class_f64_e64 vcc_lo, v[11:12], 0x1f8
	v_lshlrev_b32_e32 v11, 30, v47
	s_delay_alu instid0(VALU_DEP_1) | instskip(NEXT) | instid1(VALU_DEP_1)
	v_xor_b32_e32 v11, v11, v12
	v_and_b32_e32 v11, 0x80000000, v11
	v_add_f64 v[52:53], -v[48:49], 1.0
	s_delay_alu instid0(VALU_DEP_1) | instskip(SKIP_1) | instid1(VALU_DEP_2)
	v_add_f64 v[33:34], v[52:53], -v[33:34]
	v_fma_f64 v[52:53], v[29:30], s[34:35], s[30:31]
	v_fma_f64 v[33:34], v[35:36], -v[37:38], v[33:34]
	s_delay_alu instid0(VALU_DEP_2) | instskip(NEXT) | instid1(VALU_DEP_1)
	v_fma_f64 v[52:53], v[29:30], v[52:53], s[36:37]
	v_fma_f64 v[52:53], v[29:30], v[52:53], s[38:39]
	s_delay_alu instid0(VALU_DEP_1) | instskip(NEXT) | instid1(VALU_DEP_1)
	v_fma_f64 v[52:53], v[29:30], v[52:53], s[42:43]
	v_fma_f64 v[52:53], v[56:57], v[52:53], v[54:55]
	s_delay_alu instid0(VALU_DEP_1) | instskip(SKIP_1) | instid1(VALU_DEP_2)
	v_fma_f64 v[37:38], v[29:30], v[52:53], -v[37:38]
	v_fma_f64 v[52:53], v[29:30], s[98:99], s[96:97]
	v_fma_f64 v[23:24], v[56:57], s[44:45], v[37:38]
	s_delay_alu instid0(VALU_DEP_2) | instskip(NEXT) | instid1(VALU_DEP_2)
	v_fma_f64 v[52:53], v[29:30], v[52:53], s[100:101]
	v_add_f64 v[23:24], v[35:36], -v[23:24]
	s_delay_alu instid0(VALU_DEP_2) | instskip(NEXT) | instid1(VALU_DEP_2)
	v_fma_f64 v[52:53], v[29:30], v[52:53], s[102:103]
	v_xor_b32_e32 v12, 0x80000000, v24
	s_delay_alu instid0(VALU_DEP_2) | instskip(SKIP_1) | instid1(VALU_DEP_2)
	v_fma_f64 v[52:53], v[29:30], v[52:53], s[10:11]
	v_xor_b32_e32 v24, v28, v11
	v_fma_f64 v[52:53], v[29:30], v[52:53], s[46:47]
	v_mul_f64 v[29:30], v[29:30], v[29:30]
	s_delay_alu instid0(VALU_DEP_1) | instskip(NEXT) | instid1(VALU_DEP_1)
	v_fma_f64 v[29:30], v[29:30], v[52:53], v[33:34]
	v_add_f64 v[25:26], v[48:49], v[29:30]
	v_and_b32_e32 v29, 1, v18
	v_dual_cndmask_b32 v11, 0, v27 :: v_dual_lshlrev_b32 v18, 30, v18
	s_delay_alu instid0(VALU_DEP_2) | instskip(NEXT) | instid1(VALU_DEP_2)
	v_cmp_eq_u32_e64 s6, 0, v29
	v_and_b32_e32 v18, 0x80000000, v18
	s_delay_alu instid0(VALU_DEP_2) | instskip(SKIP_1) | instid1(VALU_DEP_2)
	v_cndmask_b32_e64 v12, v12, v26, s6
	v_cndmask_b32_e64 v23, v23, v25, s6
	v_xor_b32_e32 v18, v12, v18
	v_cndmask_b32_e32 v12, 0x7ff80000, v24, vcc_lo
	s_delay_alu instid0(VALU_DEP_3) | instskip(NEXT) | instid1(VALU_DEP_3)
	v_cndmask_b32_e32 v23, 0, v23, vcc_lo
	v_cndmask_b32_e32 v24, 0x7ff80000, v18, vcc_lo
	s_delay_alu instid0(VALU_DEP_1)
	v_mul_f64 v[11:12], v[11:12], v[23:24]
.LBB162_166:                            ;   in Loop: Header=BB162_4 Depth=1
	s_or_b32 exec_lo, exec_lo, s51
	s_delay_alu instid0(VALU_DEP_1) | instskip(SKIP_2) | instid1(VALU_DEP_3)
	v_bfi_b32 v18, 0x7fffffff, 0, v12
	v_add_co_u32 v9, vcc_lo, v9, 0
	v_add_co_ci_u32_e32 v10, vcc_lo, -2.0, v10, vcc_lo
	v_dual_mov_b32 v11, v17 :: v_dual_mov_b32 v12, v18
.LBB162_167:                            ;   in Loop: Header=BB162_4 Depth=1
	s_or_b32 exec_lo, exec_lo, s50
	s_delay_alu instid0(SALU_CYCLE_1) | instskip(SKIP_1) | instid1(SALU_CYCLE_1)
	s_or_b32 exec_lo, exec_lo, s49
	s_and_saveexec_b32 s6, s2
	s_xor_b32 s2, exec_lo, s6
	s_cbranch_execnz .LBB162_160
.LBB162_168:                            ;   in Loop: Header=BB162_4 Depth=1
	s_or_b32 exec_lo, exec_lo, s2
	s_and_saveexec_b32 s2, s3
	s_cbranch_execz .LBB162_161
.LBB162_169:                            ;   in Loop: Header=BB162_4 Depth=1
	v_add_co_u32 v5, s3, s33, v44
	s_delay_alu instid0(VALU_DEP_1)
	v_add_co_ci_u32_e64 v6, null, s104, 0, s3
	global_store_b128 v[5:6], v[1:4], off
	s_or_b32 exec_lo, exec_lo, s2
	s_and_saveexec_b32 s2, s4
	s_cbranch_execnz .LBB162_162
.LBB162_170:                            ;   in Loop: Header=BB162_4 Depth=1
	s_or_b32 exec_lo, exec_lo, s2
	s_and_saveexec_b32 s2, s5
	s_cbranch_execz .LBB162_3
.LBB162_171:                            ;   in Loop: Header=BB162_4 Depth=1
	v_add_co_u32 v1, vcc_lo, s33, v21
	v_add_co_ci_u32_e32 v2, vcc_lo, s104, v22, vcc_lo
	global_store_b128 v[1:2], v[9:12], off offset:-8
	s_branch .LBB162_3
.LBB162_172:
	s_cbranch_execz .LBB162_174
	s_branch .LBB162_329
.LBB162_173:
.LBB162_174:
	v_dual_mov_b32 v16, 0 :: v_dual_lshlrev_b32 v1, 2, v0
	s_mov_b32 s33, 0
	s_mov_b32 s2, exec_lo
	s_delay_alu instid0(VALU_DEP_1) | instskip(NEXT) | instid1(VALU_DEP_1)
	v_mov_b32_e32 v2, v16
	v_cmpx_gt_i64_e64 s[8:9], v[1:2]
	s_cbranch_execz .LBB162_329
; %bb.175:
	s_load_b32 s0, s[0:1], 0xd3c
	v_readlane_b32 s18, v69, 0
	v_lshlrev_b32_e32 v1, 6, v0
	v_readlane_b32 s19, v69, 1
	v_mov_b32_e32 v19, v16
	s_mov_b32 s2, 0x54442d18
	s_mov_b32 s10, 0x6dc9c883
	s_mov_b32 s14, 0x33145c00
	s_mov_b32 s16, 0x252049c0
	s_mov_b32 s26, 0xdeb68feb
	s_mov_b32 s28, 0xb58c4d95
	s_mov_b32 s30, 0x15120e2c
	s_mov_b32 s34, 0xe09491df
	s_mov_b32 s36, 0x2033784d
	s_mov_b32 s38, 0x9ac36ae2
	s_mov_b32 s40, 0x1b451c21
	s_mov_b32 s42, 0x111185b7
	s_mov_b32 s44, 0x555554ee
	s_mov_b32 s46, 0xfefa39ef
	s_mov_b32 s50, 0x3b39803f
	s_waitcnt lgkmcnt(0)
	s_and_b32 s0, s0, 0xffff
	s_mov_b32 s54, 0x652b82fe
	s_lshl_b32 vcc_hi, s0, 2
	s_add_u32 s4, s18, s12
	v_add_lshl_u32 v18, v0, s0, 2
	s_addc_u32 s7, s19, s13
	s_lshl_b32 s104, s0, 6
	v_add_co_u32 v20, s0, s4, v1
	s_delay_alu instid0(VALU_DEP_1)
	v_add_co_ci_u32_e64 v21, null, s7, 0, s0
	s_mov_b32 s56, 0xf278e000
	s_mov_b32 s58, 0xf97b57a0
	;; [unrolled: 1-line block ×69, first 2 shown]
	s_branch .LBB162_180
.LBB162_176:                            ;   in Loop: Header=BB162_180 Depth=1
	s_or_b32 exec_lo, exec_lo, s0
	v_mul_f64 v[26:27], v[22:23], v[22:23]
	s_delay_alu instid0(VALU_DEP_2) | instskip(NEXT) | instid1(VALU_DEP_3)
	v_mul_f64 v[39:40], v[24:25], 0.5
	v_mul_f64 v[45:46], v[36:37], 0.5
	s_mov_b32 s18, s12
	s_delay_alu instid0(VALU_DEP_3) | instskip(SKIP_1) | instid1(VALU_DEP_2)
	v_mul_f64 v[28:29], v[26:27], 0.5
	v_mul_f64 v[41:42], v[22:23], -v[26:27]
	v_add_f64 v[30:31], -v[28:29], 1.0
	s_delay_alu instid0(VALU_DEP_1) | instskip(NEXT) | instid1(VALU_DEP_1)
	v_add_f64 v[32:33], -v[30:31], 1.0
	v_add_f64 v[28:29], v[32:33], -v[28:29]
	v_fma_f64 v[32:33], v[26:27], s[94:95], s[92:93]
	s_delay_alu instid0(VALU_DEP_2) | instskip(NEXT) | instid1(VALU_DEP_2)
	v_fma_f64 v[28:29], v[22:23], -v[24:25], v[28:29]
	v_fma_f64 v[32:33], v[26:27], v[32:33], s[96:97]
	s_delay_alu instid0(VALU_DEP_1) | instskip(NEXT) | instid1(VALU_DEP_1)
	v_fma_f64 v[32:33], v[26:27], v[32:33], s[98:99]
	v_fma_f64 v[32:33], v[26:27], v[32:33], s[72:73]
	s_delay_alu instid0(VALU_DEP_1) | instskip(NEXT) | instid1(VALU_DEP_1)
	v_fma_f64 v[32:33], v[41:42], v[32:33], v[39:40]
	v_fma_f64 v[24:25], v[26:27], v[32:33], -v[24:25]
	v_fma_f64 v[32:33], v[26:27], s[84:85], s[82:83]
	s_delay_alu instid0(VALU_DEP_2) | instskip(NEXT) | instid1(VALU_DEP_2)
	v_fma_f64 v[24:25], v[41:42], s[18:19], v[24:25]
	v_fma_f64 v[32:33], v[26:27], v[32:33], s[86:87]
	s_delay_alu instid0(VALU_DEP_2) | instskip(NEXT) | instid1(VALU_DEP_2)
	v_add_f64 v[22:23], v[22:23], -v[24:25]
	v_fma_f64 v[32:33], v[26:27], v[32:33], s[88:89]
	s_delay_alu instid0(VALU_DEP_1) | instskip(NEXT) | instid1(VALU_DEP_1)
	v_fma_f64 v[32:33], v[26:27], v[32:33], s[90:91]
	v_fma_f64 v[32:33], v[26:27], v[32:33], s[12:13]
	v_mul_f64 v[26:27], v[26:27], v[26:27]
	s_delay_alu instid0(VALU_DEP_1) | instskip(SKIP_1) | instid1(VALU_DEP_2)
	v_fma_f64 v[26:27], v[26:27], v[32:33], v[28:29]
	v_mul_f64 v[28:29], v[34:35], v[34:35]
	v_add_f64 v[26:27], v[30:31], v[26:27]
	s_delay_alu instid0(VALU_DEP_2) | instskip(SKIP_2) | instid1(VALU_DEP_1)
	v_mul_f64 v[32:33], v[28:29], 0.5
	v_mul_f64 v[47:48], v[34:35], -v[28:29]
	v_and_b32_e32 v24, 1, v38
	v_cmp_eq_u32_e32 vcc_lo, 0, v24
	v_cndmask_b32_e32 v27, v27, v23, vcc_lo
	v_add_f64 v[39:40], -v[32:33], 1.0
	v_cndmask_b32_e32 v26, v26, v22, vcc_lo
	v_cmp_class_f64_e64 vcc_lo, v[2:3], 0x1f8
	v_lshlrev_b32_e32 v2, 30, v38
	s_delay_alu instid0(VALU_DEP_1) | instskip(NEXT) | instid1(VALU_DEP_1)
	v_xor_b32_e32 v2, v2, v3
	v_and_b32_e32 v2, 0x80000000, v2
	v_add_f64 v[43:44], -v[39:40], 1.0
	s_delay_alu instid0(VALU_DEP_1) | instskip(SKIP_1) | instid1(VALU_DEP_2)
	v_add_f64 v[32:33], v[43:44], -v[32:33]
	v_fma_f64 v[43:44], v[28:29], s[94:95], s[92:93]
	v_fma_f64 v[32:33], v[34:35], -v[36:37], v[32:33]
	s_delay_alu instid0(VALU_DEP_2) | instskip(NEXT) | instid1(VALU_DEP_1)
	v_fma_f64 v[43:44], v[28:29], v[43:44], s[96:97]
	v_fma_f64 v[43:44], v[28:29], v[43:44], s[98:99]
	s_delay_alu instid0(VALU_DEP_1) | instskip(NEXT) | instid1(VALU_DEP_1)
	v_fma_f64 v[43:44], v[28:29], v[43:44], s[72:73]
	v_fma_f64 v[43:44], v[47:48], v[43:44], v[45:46]
	s_delay_alu instid0(VALU_DEP_1) | instskip(SKIP_1) | instid1(VALU_DEP_2)
	v_fma_f64 v[36:37], v[28:29], v[43:44], -v[36:37]
	v_fma_f64 v[43:44], v[28:29], s[84:85], s[82:83]
	v_fma_f64 v[22:23], v[47:48], s[18:19], v[36:37]
	s_delay_alu instid0(VALU_DEP_2) | instskip(NEXT) | instid1(VALU_DEP_2)
	v_fma_f64 v[43:44], v[28:29], v[43:44], s[86:87]
	v_add_f64 v[22:23], v[34:35], -v[22:23]
	s_delay_alu instid0(VALU_DEP_2) | instskip(NEXT) | instid1(VALU_DEP_2)
	v_fma_f64 v[43:44], v[28:29], v[43:44], s[88:89]
	v_xor_b32_e32 v3, 0x80000000, v23
	s_delay_alu instid0(VALU_DEP_2) | instskip(SKIP_1) | instid1(VALU_DEP_2)
	v_fma_f64 v[43:44], v[28:29], v[43:44], s[90:91]
	v_xor_b32_e32 v23, v27, v2
	v_fma_f64 v[43:44], v[28:29], v[43:44], s[12:13]
	v_mul_f64 v[28:29], v[28:29], v[28:29]
	s_delay_alu instid0(VALU_DEP_1) | instskip(NEXT) | instid1(VALU_DEP_1)
	v_fma_f64 v[28:29], v[28:29], v[43:44], v[32:33]
	v_add_f64 v[24:25], v[39:40], v[28:29]
	v_and_b32_e32 v28, 1, v17
	v_dual_cndmask_b32 v2, 0, v26 :: v_dual_lshlrev_b32 v17, 30, v17
	s_delay_alu instid0(VALU_DEP_2) | instskip(NEXT) | instid1(VALU_DEP_2)
	v_cmp_eq_u32_e64 s0, 0, v28
	v_and_b32_e32 v17, 0x80000000, v17
	s_delay_alu instid0(VALU_DEP_2) | instskip(SKIP_1) | instid1(VALU_DEP_2)
	v_cndmask_b32_e64 v3, v3, v25, s0
	v_cndmask_b32_e64 v22, v22, v24, s0
	v_xor_b32_e32 v17, v3, v17
	v_cndmask_b32_e32 v3, 0x7ff80000, v23, vcc_lo
	s_delay_alu instid0(VALU_DEP_3) | instskip(NEXT) | instid1(VALU_DEP_3)
	v_cndmask_b32_e32 v22, 0, v22, vcc_lo
	v_cndmask_b32_e32 v23, 0x7ff80000, v17, vcc_lo
	s_delay_alu instid0(VALU_DEP_1)
	v_mul_f64 v[2:3], v[2:3], v[22:23]
.LBB162_177:                            ;   in Loop: Header=BB162_180 Depth=1
	s_or_b32 exec_lo, exec_lo, s48
	s_delay_alu instid0(VALU_DEP_1) | instskip(SKIP_2) | instid1(VALU_DEP_3)
	v_bfi_b32 v17, 0x7fffffff, 0, v3
	v_add_co_u32 v0, vcc_lo, v0, 0
	v_add_co_ci_u32_e32 v1, vcc_lo, -2.0, v1, vcc_lo
	v_dual_mov_b32 v2, v16 :: v_dual_mov_b32 v3, v17
.LBB162_178:                            ;   in Loop: Header=BB162_180 Depth=1
	s_or_b32 exec_lo, exec_lo, s21
.LBB162_179:                            ;   in Loop: Header=BB162_180 Depth=1
	s_delay_alu instid0(SALU_CYCLE_1)
	s_or_b32 exec_lo, exec_lo, s20
	v_cmp_le_i64_e32 vcc_lo, s[8:9], v[18:19]
	v_cmp_lt_u64_e64 s0, 0xffff, v[18:19]
	s_clause 0x3
	global_store_b128 v[20:21], v[8:11], off
	global_store_b128 v[20:21], v[4:7], off offset:16
	global_store_b128 v[20:21], v[12:15], off offset:32
	;; [unrolled: 1-line block ×3, first 2 shown]
	s_or_b32 s0, vcc_lo, s0
	v_add_co_u32 v18, vcc_lo, v18, vcc_hi
	v_add_co_ci_u32_e32 v19, vcc_lo, 0, v19, vcc_lo
	v_add_co_u32 v20, vcc_lo, v20, s104
	v_add_co_ci_u32_e32 v21, vcc_lo, 0, v21, vcc_lo
	s_and_b32 s0, exec_lo, s0
	s_delay_alu instid0(SALU_CYCLE_1) | instskip(NEXT) | instid1(SALU_CYCLE_1)
	s_or_b32 s33, s0, s33
	s_and_not1_b32 exec_lo, exec_lo, s33
	s_cbranch_execz .LBB162_329
.LBB162_180:                            ; =>This Inner Loop Header: Depth=1
	s_clause 0x3
	global_load_b128 v[8:11], v[20:21], off
	global_load_b128 v[4:7], v[20:21], off offset:16
	global_load_b128 v[0:3], v[20:21], off offset:48
	;; [unrolled: 1-line block ×3, first 2 shown]
	s_mov_b32 s0, exec_lo
	s_waitcnt vmcnt(3)
	v_and_b32_e32 v17, 0x7fffffff, v9
	s_delay_alu instid0(VALU_DEP_1)
	v_cmpx_gt_u32_e32 0x7ff00000, v17
	s_xor_b32 s20, exec_lo, s0
	s_cbranch_execz .LBB162_202
; %bb.181:                              ;   in Loop: Header=BB162_180 Depth=1
	v_cmp_class_f64_e64 s0, v[10:11], 0x1f8
	s_delay_alu instid0(VALU_DEP_1) | instskip(NEXT) | instid1(SALU_CYCLE_1)
	s_and_saveexec_b32 s4, s0
	s_xor_b32 s21, exec_lo, s4
	s_cbranch_execz .LBB162_199
; %bb.182:                              ;   in Loop: Header=BB162_180 Depth=1
	s_mov_b32 s0, exec_lo
	v_cmpx_gt_u32_e32 0x40360000, v17
	s_xor_b32 s18, exec_lo, s0
	s_cbranch_execz .LBB162_188
; %bb.183:                              ;   in Loop: Header=BB162_180 Depth=1
	s_mov_b32 s4, exec_lo
                                        ; implicit-def: $vgpr17
                                        ; implicit-def: $vgpr22_vgpr23
                                        ; implicit-def: $vgpr24_vgpr25
	v_cmpx_ngt_f64_e64 0x41d00000, |v[10:11]|
	s_xor_b32 s4, exec_lo, s4
	s_cbranch_execz .LBB162_185
; %bb.184:                              ;   in Loop: Header=BB162_180 Depth=1
	v_ldexp_f64 v[22:23], |v[10:11]|, 0xffffff80
	v_cmp_le_f64_e64 vcc_lo, 0x7b000000, |v[10:11]|
	v_trig_preop_f64 v[24:25], |v[10:11]|, 0
	v_and_b32_e32 v17, 0x7fffffff, v11
	v_trig_preop_f64 v[28:29], |v[10:11]|, 1
	v_trig_preop_f64 v[32:33], |v[10:11]|, 2
	s_mov_b32 s0, s2
	s_mov_b32 s7, s5
	v_dual_cndmask_b32 v22, v10, v22 :: v_dual_cndmask_b32 v23, v17, v23
	s_delay_alu instid0(VALU_DEP_1) | instskip(NEXT) | instid1(VALU_DEP_4)
	v_mul_f64 v[26:27], v[24:25], v[22:23]
	v_mul_f64 v[30:31], v[28:29], v[22:23]
	s_delay_alu instid0(VALU_DEP_4) | instskip(NEXT) | instid1(VALU_DEP_3)
	v_mul_f64 v[34:35], v[32:33], v[22:23]
	v_fma_f64 v[24:25], v[24:25], v[22:23], -v[26:27]
	s_delay_alu instid0(VALU_DEP_3) | instskip(NEXT) | instid1(VALU_DEP_3)
	v_fma_f64 v[28:29], v[28:29], v[22:23], -v[30:31]
	v_fma_f64 v[22:23], v[32:33], v[22:23], -v[34:35]
	s_delay_alu instid0(VALU_DEP_3) | instskip(NEXT) | instid1(VALU_DEP_1)
	v_add_f64 v[32:33], v[30:31], v[24:25]
	v_add_f64 v[36:37], v[32:33], -v[30:31]
	s_delay_alu instid0(VALU_DEP_1) | instskip(SKIP_1) | instid1(VALU_DEP_1)
	v_add_f64 v[24:25], v[24:25], -v[36:37]
	v_add_f64 v[36:37], v[32:33], -v[36:37]
	;; [unrolled: 1-line block ×3, first 2 shown]
	v_add_f64 v[36:37], v[26:27], v[32:33]
	s_delay_alu instid0(VALU_DEP_2) | instskip(NEXT) | instid1(VALU_DEP_2)
	v_add_f64 v[24:25], v[24:25], v[30:31]
	v_add_f64 v[26:27], v[36:37], -v[26:27]
	v_add_f64 v[30:31], v[34:35], v[28:29]
	v_ldexp_f64 v[36:37], v[36:37], -2
	s_delay_alu instid0(VALU_DEP_3) | instskip(NEXT) | instid1(VALU_DEP_3)
	v_add_f64 v[26:27], v[32:33], -v[26:27]
	v_add_f64 v[32:33], v[30:31], -v[34:35]
	s_delay_alu instid0(VALU_DEP_3) | instskip(SKIP_1) | instid1(VALU_DEP_3)
	v_cmp_neq_f64_e64 vcc_lo, 0x7ff00000, |v[36:37]|
	v_fract_f64_e32 v[36:37], v[36:37]
	v_add_f64 v[28:29], v[28:29], -v[32:33]
	v_add_f64 v[32:33], v[30:31], -v[32:33]
	s_delay_alu instid0(VALU_DEP_3) | instskip(NEXT) | instid1(VALU_DEP_2)
	v_dual_cndmask_b32 v36, 0, v36 :: v_dual_cndmask_b32 v37, 0, v37
	v_add_f64 v[32:33], v[34:35], -v[32:33]
	v_add_f64 v[34:35], v[30:31], v[24:25]
	s_delay_alu instid0(VALU_DEP_2) | instskip(NEXT) | instid1(VALU_DEP_2)
	v_add_f64 v[28:29], v[28:29], v[32:33]
	v_add_f64 v[38:39], v[34:35], -v[30:31]
	v_add_f64 v[32:33], v[26:27], v[34:35]
	s_delay_alu instid0(VALU_DEP_2) | instskip(SKIP_1) | instid1(VALU_DEP_3)
	v_add_f64 v[24:25], v[24:25], -v[38:39]
	v_add_f64 v[38:39], v[34:35], -v[38:39]
	v_add_f64 v[26:27], v[32:33], -v[26:27]
	s_delay_alu instid0(VALU_DEP_2) | instskip(NEXT) | instid1(VALU_DEP_2)
	v_add_f64 v[30:31], v[30:31], -v[38:39]
	v_add_f64 v[26:27], v[34:35], -v[26:27]
	s_delay_alu instid0(VALU_DEP_2) | instskip(SKIP_1) | instid1(VALU_DEP_2)
	v_add_f64 v[24:25], v[24:25], v[30:31]
	v_ldexp_f64 v[30:31], v[36:37], 2
	v_add_f64 v[24:25], v[28:29], v[24:25]
	s_delay_alu instid0(VALU_DEP_2) | instskip(NEXT) | instid1(VALU_DEP_2)
	v_add_f64 v[36:37], v[32:33], v[30:31]
	v_add_f64 v[22:23], v[22:23], v[24:25]
	s_delay_alu instid0(VALU_DEP_2) | instskip(NEXT) | instid1(VALU_DEP_2)
	v_cmp_gt_f64_e32 vcc_lo, 0, v[36:37]
	v_add_f64 v[22:23], v[26:27], v[22:23]
	v_cndmask_b32_e64 v17, 0, 0x40100000, vcc_lo
	s_delay_alu instid0(VALU_DEP_1) | instskip(NEXT) | instid1(VALU_DEP_1)
	v_add_f64 v[24:25], v[30:31], v[16:17]
	v_add_f64 v[28:29], v[32:33], v[24:25]
	s_delay_alu instid0(VALU_DEP_1) | instskip(NEXT) | instid1(VALU_DEP_1)
	v_cvt_i32_f64_e32 v30, v[28:29]
	v_cvt_f64_i32_e32 v[28:29], v30
	s_delay_alu instid0(VALU_DEP_1) | instskip(NEXT) | instid1(VALU_DEP_1)
	v_add_f64 v[24:25], v[24:25], -v[28:29]
	v_add_f64 v[26:27], v[32:33], v[24:25]
	s_delay_alu instid0(VALU_DEP_1) | instskip(SKIP_1) | instid1(VALU_DEP_2)
	v_add_f64 v[24:25], v[26:27], -v[24:25]
	v_cmp_le_f64_e32 vcc_lo, 0.5, v[26:27]
	v_add_f64 v[24:25], v[32:33], -v[24:25]
	v_cndmask_b32_e64 v17, 0, 0x3ff00000, vcc_lo
	s_delay_alu instid0(VALU_DEP_1) | instskip(SKIP_1) | instid1(VALU_DEP_4)
	v_add_f64 v[26:27], v[26:27], -v[16:17]
	v_add_co_ci_u32_e32 v17, vcc_lo, 0, v30, vcc_lo
	v_add_f64 v[22:23], v[22:23], v[24:25]
	s_delay_alu instid0(VALU_DEP_1) | instskip(NEXT) | instid1(VALU_DEP_1)
	v_add_f64 v[24:25], v[26:27], v[22:23]
	v_add_f64 v[26:27], v[24:25], -v[26:27]
	s_delay_alu instid0(VALU_DEP_1) | instskip(SKIP_1) | instid1(VALU_DEP_1)
	v_add_f64 v[22:23], v[22:23], -v[26:27]
	v_mul_f64 v[26:27], v[24:25], s[0:1]
	v_fma_f64 v[28:29], v[24:25], s[0:1], -v[26:27]
	s_delay_alu instid0(VALU_DEP_1) | instskip(NEXT) | instid1(VALU_DEP_1)
	v_fma_f64 v[24:25], v[24:25], s[6:7], v[28:29]
	v_fma_f64 v[24:25], v[22:23], s[0:1], v[24:25]
	s_delay_alu instid0(VALU_DEP_1) | instskip(NEXT) | instid1(VALU_DEP_1)
	v_add_f64 v[22:23], v[26:27], v[24:25]
	v_add_f64 v[26:27], v[22:23], -v[26:27]
	s_delay_alu instid0(VALU_DEP_1)
	v_add_f64 v[24:25], v[24:25], -v[26:27]
.LBB162_185:                            ;   in Loop: Header=BB162_180 Depth=1
	s_and_not1_saveexec_b32 s0, s4
	s_cbranch_execz .LBB162_187
; %bb.186:                              ;   in Loop: Header=BB162_180 Depth=1
	v_mul_f64 v[22:23], |v[10:11]|, s[10:11]
	s_mov_b32 s4, s14
	s_delay_alu instid0(VALU_DEP_1) | instskip(NEXT) | instid1(VALU_DEP_1)
	v_rndne_f64_e32 v[26:27], v[22:23]
	v_fma_f64 v[22:23], v[26:27], s[2:3], |v[10:11]|
	v_mul_f64 v[24:25], v[26:27], s[14:15]
	v_cvt_i32_f64_e32 v17, v[26:27]
	s_delay_alu instid0(VALU_DEP_3) | instskip(NEXT) | instid1(VALU_DEP_3)
	v_fma_f64 v[30:31], v[26:27], s[14:15], v[22:23]
	v_add_f64 v[28:29], v[22:23], v[24:25]
	s_delay_alu instid0(VALU_DEP_1) | instskip(NEXT) | instid1(VALU_DEP_3)
	v_add_f64 v[22:23], v[22:23], -v[28:29]
	v_add_f64 v[28:29], v[28:29], -v[30:31]
	s_delay_alu instid0(VALU_DEP_2) | instskip(SKIP_1) | instid1(VALU_DEP_2)
	v_add_f64 v[22:23], v[22:23], v[24:25]
	v_fma_f64 v[24:25], v[26:27], s[4:5], v[24:25]
	v_add_f64 v[22:23], v[28:29], v[22:23]
	s_delay_alu instid0(VALU_DEP_1) | instskip(NEXT) | instid1(VALU_DEP_1)
	v_add_f64 v[22:23], v[22:23], -v[24:25]
	v_fma_f64 v[24:25], v[26:27], s[16:17], v[22:23]
	s_delay_alu instid0(VALU_DEP_1) | instskip(NEXT) | instid1(VALU_DEP_1)
	v_add_f64 v[22:23], v[30:31], v[24:25]
	v_add_f64 v[28:29], v[22:23], -v[30:31]
	s_delay_alu instid0(VALU_DEP_1)
	v_add_f64 v[24:25], v[24:25], -v[28:29]
.LBB162_187:                            ;   in Loop: Header=BB162_180 Depth=1
	s_or_b32 exec_lo, exec_lo, s0
	v_add_f64 v[26:27], |v[8:9]|, s[46:47]
	s_mov_b32 s48, s46
	s_mov_b32 s52, s54
	;; [unrolled: 1-line block ×5, first 2 shown]
	v_cmp_nge_f64_e64 vcc_lo, |v[8:9]|, s[80:81]
	v_cmp_gt_f64_e64 s0, 0x3e400000, |v[8:9]|
	s_mov_b32 s22, 0xa9a29f71
	s_mov_b32 s24, 0xc751c08c
	;; [unrolled: 1-line block ×4, first 2 shown]
	v_and_b32_e32 v17, 1, v17
	s_delay_alu instid0(VALU_DEP_4) | instskip(NEXT) | instid1(VALU_DEP_1)
	v_add_f64 v[28:29], v[26:27], -|v[8:9]|
	v_add_f64 v[30:31], v[28:29], -v[26:27]
	v_add_f64 v[28:29], v[28:29], s[48:49]
	s_delay_alu instid0(VALU_DEP_2) | instskip(NEXT) | instid1(VALU_DEP_1)
	v_add_f64 v[30:31], |v[8:9]|, v[30:31]
	v_add_f64 v[28:29], v[30:31], -v[28:29]
	s_delay_alu instid0(VALU_DEP_1) | instskip(NEXT) | instid1(VALU_DEP_1)
	v_add_f64 v[28:29], v[28:29], s[50:51]
	v_add_f64 v[30:31], v[26:27], v[28:29]
	s_delay_alu instid0(VALU_DEP_1) | instskip(NEXT) | instid1(VALU_DEP_1)
	v_add_f64 v[26:27], v[26:27], -v[30:31]
	v_add_f64 v[26:27], v[28:29], v[26:27]
	v_mul_f64 v[28:29], v[30:31], s[52:53]
	s_delay_alu instid0(VALU_DEP_1) | instskip(NEXT) | instid1(VALU_DEP_1)
	v_rndne_f64_e32 v[28:29], v[28:29]
	v_fma_f64 v[30:31], v[28:29], s[100:101], v[30:31]
	v_cvt_i32_f64_e32 v10, v[28:29]
	s_delay_alu instid0(VALU_DEP_2) | instskip(NEXT) | instid1(VALU_DEP_1)
	v_add_f64 v[32:33], v[26:27], v[30:31]
	v_add_f64 v[30:31], v[30:31], -v[32:33]
	s_delay_alu instid0(VALU_DEP_1) | instskip(SKIP_1) | instid1(VALU_DEP_1)
	v_add_f64 v[26:27], v[26:27], v[30:31]
	v_mul_f64 v[30:31], v[28:29], s[56:57]
	v_add_f64 v[34:35], v[32:33], v[30:31]
	s_delay_alu instid0(VALU_DEP_1) | instskip(NEXT) | instid1(VALU_DEP_1)
	v_add_f64 v[32:33], v[32:33], -v[34:35]
	v_add_f64 v[30:31], v[32:33], v[30:31]
	s_delay_alu instid0(VALU_DEP_1) | instskip(NEXT) | instid1(VALU_DEP_1)
	v_add_f64 v[26:27], v[26:27], v[30:31]
	v_add_f64 v[30:31], v[34:35], v[26:27]
	s_delay_alu instid0(VALU_DEP_1) | instskip(NEXT) | instid1(VALU_DEP_1)
	v_add_f64 v[32:33], v[34:35], -v[30:31]
	v_add_f64 v[26:27], v[26:27], v[32:33]
	v_mul_f64 v[32:33], v[28:29], s[58:59]
	s_delay_alu instid0(VALU_DEP_1) | instskip(NEXT) | instid1(VALU_DEP_1)
	v_add_f64 v[34:35], v[30:31], v[32:33]
	v_add_f64 v[30:31], v[30:31], -v[34:35]
	s_delay_alu instid0(VALU_DEP_1) | instskip(NEXT) | instid1(VALU_DEP_1)
	v_add_f64 v[30:31], v[30:31], v[32:33]
	v_add_f64 v[26:27], v[26:27], v[30:31]
	s_delay_alu instid0(VALU_DEP_1) | instskip(NEXT) | instid1(VALU_DEP_1)
	v_add_f64 v[30:31], v[34:35], v[26:27]
	v_add_f64 v[32:33], v[34:35], -v[30:31]
	s_delay_alu instid0(VALU_DEP_1) | instskip(SKIP_1) | instid1(VALU_DEP_2)
	v_add_f64 v[26:27], v[26:27], v[32:33]
	v_mul_f64 v[32:33], v[30:31], v[30:31]
	v_add_f64 v[36:37], v[26:27], v[26:27]
	s_delay_alu instid0(VALU_DEP_2) | instskip(NEXT) | instid1(VALU_DEP_1)
	v_fma_f64 v[34:35], v[30:31], v[30:31], -v[32:33]
	v_fma_f64 v[34:35], v[30:31], v[36:37], v[34:35]
	s_delay_alu instid0(VALU_DEP_1) | instskip(NEXT) | instid1(VALU_DEP_1)
	v_add_f64 v[36:37], v[32:33], v[34:35]
	v_add_f64 v[32:33], v[36:37], -v[32:33]
	s_delay_alu instid0(VALU_DEP_1) | instskip(SKIP_1) | instid1(VALU_DEP_1)
	v_add_f64 v[32:33], v[34:35], -v[32:33]
	v_fma_f64 v[34:35], v[30:31], s[62:63], s[60:61]
	v_fma_f64 v[34:35], v[30:31], v[34:35], s[64:65]
	s_delay_alu instid0(VALU_DEP_1) | instskip(NEXT) | instid1(VALU_DEP_1)
	v_fma_f64 v[34:35], v[30:31], v[34:35], s[66:67]
	v_fma_f64 v[34:35], v[30:31], v[34:35], s[68:69]
	s_delay_alu instid0(VALU_DEP_1) | instskip(NEXT) | instid1(VALU_DEP_1)
	;; [unrolled: 3-line block ×4, first 2 shown]
	v_fma_f64 v[34:35], v[30:31], v[34:35], s[78:79]
	v_mul_f64 v[38:39], v[36:37], v[34:35]
	s_delay_alu instid0(VALU_DEP_1) | instskip(NEXT) | instid1(VALU_DEP_1)
	v_fma_f64 v[36:37], v[36:37], v[34:35], -v[38:39]
	v_fma_f64 v[32:33], v[32:33], v[34:35], v[36:37]
	s_delay_alu instid0(VALU_DEP_1) | instskip(NEXT) | instid1(VALU_DEP_1)
	v_add_f64 v[34:35], v[38:39], v[32:33]
	v_add_f64 v[36:37], v[34:35], -v[38:39]
	s_delay_alu instid0(VALU_DEP_1) | instskip(SKIP_1) | instid1(VALU_DEP_2)
	v_add_f64 v[32:33], v[32:33], -v[36:37]
	v_add_f64 v[36:37], v[30:31], v[34:35]
	v_add_f64 v[26:27], v[26:27], v[32:33]
	s_delay_alu instid0(VALU_DEP_2) | instskip(NEXT) | instid1(VALU_DEP_1)
	v_add_f64 v[30:31], v[36:37], -v[30:31]
	v_add_f64 v[30:31], v[34:35], -v[30:31]
	s_delay_alu instid0(VALU_DEP_1) | instskip(NEXT) | instid1(VALU_DEP_1)
	v_add_f64 v[26:27], v[26:27], v[30:31]
	v_add_f64 v[30:31], v[36:37], v[26:27]
	s_delay_alu instid0(VALU_DEP_1) | instskip(NEXT) | instid1(VALU_DEP_1)
	v_add_f64 v[32:33], v[30:31], -v[36:37]
	v_add_f64 v[26:27], v[26:27], -v[32:33]
	v_add_f64 v[32:33], v[30:31], 1.0
	s_delay_alu instid0(VALU_DEP_1) | instskip(NEXT) | instid1(VALU_DEP_1)
	v_add_f64 v[34:35], v[32:33], -1.0
	v_add_f64 v[30:31], v[30:31], -v[34:35]
	s_delay_alu instid0(VALU_DEP_1) | instskip(NEXT) | instid1(VALU_DEP_1)
	v_add_f64 v[26:27], v[26:27], v[30:31]
	v_add_f64 v[28:29], v[32:33], v[26:27]
	s_delay_alu instid0(VALU_DEP_1) | instskip(SKIP_1) | instid1(VALU_DEP_2)
	v_add_f64 v[30:31], v[28:29], -v[32:33]
	v_ldexp_f64 v[28:29], v[28:29], v10
	v_add_f64 v[26:27], v[26:27], -v[30:31]
	s_delay_alu instid0(VALU_DEP_2) | instskip(NEXT) | instid1(VALU_DEP_1)
	v_rcp_f64_e32 v[32:33], v[28:29]
	v_ldexp_f64 v[26:27], v[26:27], v10
	v_and_b32_e32 v10, 0x7fffffff, v9
	s_waitcnt_depctr 0xfff
	v_fma_f64 v[34:35], -v[28:29], v[32:33], 1.0
	s_delay_alu instid0(VALU_DEP_1) | instskip(NEXT) | instid1(VALU_DEP_1)
	v_fma_f64 v[32:33], v[34:35], v[32:33], v[32:33]
	v_fma_f64 v[30:31], -v[28:29], v[32:33], 1.0
	s_delay_alu instid0(VALU_DEP_1) | instskip(NEXT) | instid1(VALU_DEP_1)
	v_fma_f64 v[30:31], v[30:31], v[32:33], v[32:33]
	v_mul_f64 v[32:33], v[28:29], v[30:31]
	s_delay_alu instid0(VALU_DEP_1) | instskip(NEXT) | instid1(VALU_DEP_1)
	v_fma_f64 v[34:35], v[30:31], v[28:29], -v[32:33]
	v_fma_f64 v[34:35], v[30:31], v[26:27], v[34:35]
	s_delay_alu instid0(VALU_DEP_1) | instskip(NEXT) | instid1(VALU_DEP_1)
	v_add_f64 v[36:37], v[32:33], v[34:35]
	v_add_f64 v[32:33], v[36:37], -v[32:33]
	s_delay_alu instid0(VALU_DEP_1) | instskip(SKIP_1) | instid1(VALU_DEP_1)
	v_add_f64 v[32:33], v[32:33], -v[34:35]
	v_add_f64 v[34:35], -v[36:37], 1.0
	v_add_f64 v[38:39], -v[34:35], 1.0
	s_delay_alu instid0(VALU_DEP_1) | instskip(NEXT) | instid1(VALU_DEP_1)
	v_add_f64 v[36:37], v[38:39], -v[36:37]
	v_add_f64 v[32:33], v[32:33], v[36:37]
	s_delay_alu instid0(VALU_DEP_1) | instskip(NEXT) | instid1(VALU_DEP_1)
	v_add_f64 v[36:37], v[34:35], v[32:33]
	v_add_f64 v[34:35], v[34:35], -v[36:37]
	s_delay_alu instid0(VALU_DEP_1) | instskip(SKIP_1) | instid1(VALU_DEP_1)
	v_add_f64 v[32:33], v[32:33], v[34:35]
	v_mul_f64 v[34:35], v[30:31], v[36:37]
	v_mul_f64 v[38:39], v[28:29], v[34:35]
	s_delay_alu instid0(VALU_DEP_1) | instskip(NEXT) | instid1(VALU_DEP_1)
	v_fma_f64 v[40:41], v[34:35], v[28:29], -v[38:39]
	v_fma_f64 v[40:41], v[34:35], v[26:27], v[40:41]
	s_delay_alu instid0(VALU_DEP_1) | instskip(NEXT) | instid1(VALU_DEP_1)
	v_add_f64 v[42:43], v[38:39], v[40:41]
	v_add_f64 v[44:45], v[36:37], -v[42:43]
	v_add_f64 v[38:39], v[42:43], -v[38:39]
	s_delay_alu instid0(VALU_DEP_2) | instskip(NEXT) | instid1(VALU_DEP_2)
	v_add_f64 v[36:37], v[36:37], -v[44:45]
	v_add_f64 v[38:39], v[38:39], -v[40:41]
	s_delay_alu instid0(VALU_DEP_2) | instskip(NEXT) | instid1(VALU_DEP_1)
	v_add_f64 v[36:37], v[36:37], -v[42:43]
	v_add_f64 v[32:33], v[32:33], v[36:37]
	v_add_f64 v[36:37], v[30:31], v[34:35]
	s_delay_alu instid0(VALU_DEP_2) | instskip(NEXT) | instid1(VALU_DEP_2)
	v_add_f64 v[32:33], v[38:39], v[32:33]
	v_add_f64 v[38:39], v[36:37], -v[30:31]
	s_delay_alu instid0(VALU_DEP_2) | instskip(NEXT) | instid1(VALU_DEP_2)
	v_add_f64 v[32:33], v[44:45], v[32:33]
	v_add_f64 v[34:35], v[34:35], -v[38:39]
	s_delay_alu instid0(VALU_DEP_2) | instskip(NEXT) | instid1(VALU_DEP_1)
	v_mul_f64 v[30:31], v[30:31], v[32:33]
	v_add_f64 v[30:31], v[34:35], v[30:31]
	s_delay_alu instid0(VALU_DEP_1) | instskip(NEXT) | instid1(VALU_DEP_1)
	v_add_f64 v[32:33], v[36:37], v[30:31]
	v_add_f64 v[34:35], v[32:33], -v[36:37]
	v_ldexp_f64 v[32:33], v[32:33], -2
	s_delay_alu instid0(VALU_DEP_2) | instskip(NEXT) | instid1(VALU_DEP_2)
	v_add_f64 v[30:31], v[30:31], -v[34:35]
	v_add_f64 v[36:37], v[28:29], -v[32:33]
	s_delay_alu instid0(VALU_DEP_1) | instskip(NEXT) | instid1(VALU_DEP_1)
	v_add_f64 v[28:29], v[28:29], -v[36:37]
	v_add_f64 v[28:29], v[28:29], -v[32:33]
	s_delay_alu instid0(VALU_DEP_1) | instskip(SKIP_1) | instid1(VALU_DEP_1)
	v_add_f64 v[26:27], v[26:27], v[28:29]
	v_ldexp_f64 v[28:29], v[30:31], -2
	v_add_f64 v[26:27], v[26:27], -v[28:29]
	s_delay_alu instid0(VALU_DEP_1) | instskip(SKIP_1) | instid1(VALU_DEP_2)
	v_add_f64 v[26:27], v[36:37], v[26:27]
	v_and_b32_e32 v36, 0x80000000, v11
	v_cndmask_b32_e32 v27, 0x7ff00000, v27, vcc_lo
	s_delay_alu instid0(VALU_DEP_3) | instskip(NEXT) | instid1(VALU_DEP_2)
	v_cndmask_b32_e32 v26, 0, v26, vcc_lo
	v_cndmask_b32_e64 v10, v27, v10, s0
	s_delay_alu instid0(VALU_DEP_2) | instskip(SKIP_1) | instid1(VALU_DEP_3)
	v_cndmask_b32_e64 v8, v26, v8, s0
	v_cmp_eq_u32_e64 s0, 0, v17
	v_bfi_b32 v9, 0x7fffffff, v10, v9
	s_delay_alu instid0(VALU_DEP_1) | instskip(NEXT) | instid1(VALU_DEP_1)
	v_fma_f64 v[26:27], v[8:9], v[8:9], 1.0
	v_cmp_gt_f64_e32 vcc_lo, 0x10000000, v[26:27]
	v_cndmask_b32_e64 v10, 0, 1, vcc_lo
	v_cndmask_b32_e64 v17, 0, 0xffffff80, vcc_lo
	s_delay_alu instid0(VALU_DEP_2) | instskip(NEXT) | instid1(VALU_DEP_1)
	v_lshlrev_b32_e32 v10, 8, v10
	v_ldexp_f64 v[26:27], v[26:27], v10
	v_mul_f64 v[10:11], v[22:23], v[22:23]
	s_delay_alu instid0(VALU_DEP_2) | instskip(SKIP_4) | instid1(VALU_DEP_1)
	v_rsq_f64_e32 v[28:29], v[26:27]
	v_cmp_class_f64_e64 vcc_lo, v[26:27], 0x260
	s_waitcnt_depctr 0xfff
	v_mul_f64 v[30:31], v[26:27], v[28:29]
	v_mul_f64 v[28:29], v[28:29], 0.5
	v_fma_f64 v[32:33], -v[28:29], v[30:31], 0.5
	s_delay_alu instid0(VALU_DEP_1) | instskip(SKIP_1) | instid1(VALU_DEP_2)
	v_fma_f64 v[30:31], v[30:31], v[32:33], v[30:31]
	v_fma_f64 v[28:29], v[28:29], v[32:33], v[28:29]
	v_fma_f64 v[32:33], -v[30:31], v[30:31], v[26:27]
	s_delay_alu instid0(VALU_DEP_1) | instskip(NEXT) | instid1(VALU_DEP_1)
	v_fma_f64 v[30:31], v[32:33], v[28:29], v[30:31]
	v_fma_f64 v[32:33], -v[30:31], v[30:31], v[26:27]
	s_delay_alu instid0(VALU_DEP_1) | instskip(SKIP_2) | instid1(VALU_DEP_1)
	v_fma_f64 v[28:29], v[32:33], v[28:29], v[30:31]
	v_add_f64 v[30:31], v[24:25], v[24:25]
	v_fma_f64 v[32:33], v[22:23], v[22:23], -v[10:11]
	v_fma_f64 v[30:31], v[22:23], v[30:31], v[32:33]
	s_delay_alu instid0(VALU_DEP_1) | instskip(NEXT) | instid1(VALU_DEP_1)
	v_add_f64 v[10:11], v[10:11], v[30:31]
	v_fma_f64 v[30:31], v[10:11], s[24:25], s[22:23]
	s_mov_b32 s22, 0x90a8aae0
	s_mov_b32 s23, 0x3f17746f
	s_delay_alu instid0(VALU_DEP_1) | instid1(SALU_CYCLE_1)
	v_fma_f64 v[30:31], v[10:11], v[30:31], s[22:23]
	s_mov_b32 s22, 0xa6fbf144
	s_mov_b32 s23, 0xbefbb44d
	s_delay_alu instid0(VALU_DEP_1) | instid1(SALU_CYCLE_1)
	;; [unrolled: 4-line block ×3, first 2 shown]
	v_fma_f64 v[30:31], v[10:11], v[30:31], s[22:23]
	s_delay_alu instid0(VALU_DEP_1) | instskip(NEXT) | instid1(VALU_DEP_1)
	v_fma_f64 v[30:31], v[10:11], v[30:31], s[26:27]
	v_fma_f64 v[30:31], v[10:11], v[30:31], s[28:29]
	s_delay_alu instid0(VALU_DEP_1) | instskip(NEXT) | instid1(VALU_DEP_1)
	v_fma_f64 v[30:31], v[10:11], v[30:31], s[30:31]
	;; [unrolled: 3-line block ×5, first 2 shown]
	v_mul_f64 v[10:11], v[10:11], v[30:31]
	s_delay_alu instid0(VALU_DEP_1) | instskip(NEXT) | instid1(VALU_DEP_1)
	v_mul_f64 v[30:31], v[22:23], v[10:11]
	v_fma_f64 v[10:11], v[22:23], v[10:11], -v[30:31]
	s_delay_alu instid0(VALU_DEP_1) | instskip(SKIP_1) | instid1(VALU_DEP_1)
	v_add_f64 v[10:11], v[24:25], v[10:11]
	v_add_f64 v[24:25], v[22:23], v[30:31]
	v_add_f64 v[22:23], v[24:25], -v[22:23]
	s_delay_alu instid0(VALU_DEP_1) | instskip(NEXT) | instid1(VALU_DEP_1)
	v_add_f64 v[22:23], v[30:31], -v[22:23]
	v_add_f64 v[10:11], v[10:11], v[22:23]
	s_delay_alu instid0(VALU_DEP_1) | instskip(NEXT) | instid1(VALU_DEP_1)
	v_add_f64 v[22:23], v[24:25], v[10:11]
	v_rcp_f64_e32 v[30:31], v[22:23]
	v_add_f64 v[24:25], v[22:23], -v[24:25]
	s_delay_alu instid0(VALU_DEP_1) | instskip(SKIP_2) | instid1(VALU_DEP_1)
	v_add_f64 v[10:11], v[10:11], -v[24:25]
	s_waitcnt_depctr 0xfff
	v_fma_f64 v[32:33], -v[22:23], v[30:31], 1.0
	v_fma_f64 v[30:31], v[32:33], v[30:31], v[30:31]
	s_delay_alu instid0(VALU_DEP_1) | instskip(NEXT) | instid1(VALU_DEP_1)
	v_fma_f64 v[32:33], -v[22:23], v[30:31], 1.0
	v_fma_f64 v[30:31], v[32:33], v[30:31], v[30:31]
	s_delay_alu instid0(VALU_DEP_1) | instskip(NEXT) | instid1(VALU_DEP_1)
	v_mul_f64 v[24:25], v[22:23], v[30:31]
	v_fma_f64 v[32:33], v[30:31], v[22:23], -v[24:25]
	s_delay_alu instid0(VALU_DEP_1) | instskip(NEXT) | instid1(VALU_DEP_1)
	v_fma_f64 v[10:11], v[30:31], v[10:11], v[32:33]
	v_add_f64 v[32:33], v[24:25], v[10:11]
	s_delay_alu instid0(VALU_DEP_1) | instskip(NEXT) | instid1(VALU_DEP_1)
	v_add_f64 v[24:25], v[32:33], -v[24:25]
	v_add_f64 v[10:11], v[24:25], -v[10:11]
	v_add_f64 v[24:25], -v[32:33], 1.0
	s_delay_alu instid0(VALU_DEP_1) | instskip(NEXT) | instid1(VALU_DEP_1)
	v_add_f64 v[34:35], -v[24:25], 1.0
	v_add_f64 v[32:33], v[34:35], -v[32:33]
	s_delay_alu instid0(VALU_DEP_1) | instskip(NEXT) | instid1(VALU_DEP_1)
	v_add_f64 v[10:11], v[10:11], v[32:33]
	v_add_f64 v[10:11], v[24:25], v[10:11]
	s_delay_alu instid0(VALU_DEP_1) | instskip(NEXT) | instid1(VALU_DEP_1)
	v_mul_f64 v[10:11], v[30:31], v[10:11]
	v_add_f64 v[10:11], v[30:31], v[10:11]
	s_delay_alu instid0(VALU_DEP_1) | instskip(NEXT) | instid1(VALU_DEP_2)
	v_xor_b32_e32 v11, 0x80000000, v11
	v_cndmask_b32_e64 v10, v10, v22, s0
	s_delay_alu instid0(VALU_DEP_2) | instskip(SKIP_1) | instid1(VALU_DEP_2)
	v_cndmask_b32_e64 v11, v11, v23, s0
	v_ldexp_f64 v[22:23], v[28:29], v17
	v_xor_b32_e32 v11, v11, v36
	s_delay_alu instid0(VALU_DEP_1) | instskip(NEXT) | instid1(VALU_DEP_3)
	v_fma_f64 v[24:25], v[10:11], v[10:11], 1.0
	v_dual_cndmask_b32 v23, v23, v27 :: v_dual_cndmask_b32 v22, v22, v26
	s_delay_alu instid0(VALU_DEP_2) | instskip(NEXT) | instid1(VALU_DEP_2)
	v_mul_f64 v[26:27], v[8:9], v[24:25]
	v_mul_f64 v[22:23], v[22:23], v[24:25]
	s_delay_alu instid0(VALU_DEP_2) | instskip(NEXT) | instid1(VALU_DEP_2)
	v_fma_f64 v[24:25], v[8:9], v[26:27], 1.0
	v_mul_f64 v[8:9], v[8:9], v[22:23]
	s_delay_alu instid0(VALU_DEP_1) | instskip(NEXT) | instid1(VALU_DEP_1)
	v_div_scale_f64 v[22:23], null, v[24:25], v[24:25], v[8:9]
	v_rcp_f64_e32 v[26:27], v[22:23]
	s_waitcnt_depctr 0xfff
	v_fma_f64 v[28:29], -v[22:23], v[26:27], 1.0
	s_delay_alu instid0(VALU_DEP_1) | instskip(NEXT) | instid1(VALU_DEP_1)
	v_fma_f64 v[26:27], v[26:27], v[28:29], v[26:27]
	v_fma_f64 v[28:29], -v[22:23], v[26:27], 1.0
	s_delay_alu instid0(VALU_DEP_1) | instskip(SKIP_1) | instid1(VALU_DEP_1)
	v_fma_f64 v[26:27], v[26:27], v[28:29], v[26:27]
	v_div_scale_f64 v[28:29], vcc_lo, v[8:9], v[24:25], v[8:9]
	v_mul_f64 v[30:31], v[28:29], v[26:27]
	s_delay_alu instid0(VALU_DEP_1) | instskip(NEXT) | instid1(VALU_DEP_1)
	v_fma_f64 v[22:23], -v[22:23], v[30:31], v[28:29]
	v_div_fmas_f64 v[22:23], v[22:23], v[26:27], v[30:31]
	v_div_scale_f64 v[26:27], null, v[24:25], v[24:25], v[10:11]
	s_delay_alu instid0(VALU_DEP_2) | instskip(NEXT) | instid1(VALU_DEP_2)
	v_div_fixup_f64 v[8:9], v[22:23], v[24:25], v[8:9]
	v_rcp_f64_e32 v[28:29], v[26:27]
	s_waitcnt_depctr 0xfff
	v_fma_f64 v[30:31], -v[26:27], v[28:29], 1.0
	s_delay_alu instid0(VALU_DEP_1) | instskip(NEXT) | instid1(VALU_DEP_1)
	v_fma_f64 v[28:29], v[28:29], v[30:31], v[28:29]
	v_fma_f64 v[30:31], -v[26:27], v[28:29], 1.0
	s_delay_alu instid0(VALU_DEP_1) | instskip(SKIP_1) | instid1(VALU_DEP_1)
	v_fma_f64 v[28:29], v[28:29], v[30:31], v[28:29]
	v_div_scale_f64 v[30:31], vcc_lo, v[10:11], v[24:25], v[10:11]
	v_mul_f64 v[32:33], v[30:31], v[28:29]
	s_delay_alu instid0(VALU_DEP_1) | instskip(NEXT) | instid1(VALU_DEP_1)
	v_fma_f64 v[26:27], -v[26:27], v[32:33], v[30:31]
	v_div_fmas_f64 v[26:27], v[26:27], v[28:29], v[32:33]
	s_delay_alu instid0(VALU_DEP_1)
	v_div_fixup_f64 v[10:11], v[26:27], v[24:25], v[10:11]
.LBB162_188:                            ;   in Loop: Header=BB162_180 Depth=1
	s_and_not1_saveexec_b32 s48, s18
	s_cbranch_execz .LBB162_191
; %bb.189:                              ;   in Loop: Header=BB162_180 Depth=1
	s_delay_alu instid0(VALU_DEP_1) | instskip(NEXT) | instid1(VALU_DEP_1)
	v_cmp_ngt_f64_e64 s18, 0x41d00000, |v[10:11]|
                                        ; implicit-def: $vgpr30
                                        ; implicit-def: $vgpr22_vgpr23
                                        ; implicit-def: $vgpr24_vgpr25
	s_and_saveexec_b32 s0, s18
	s_delay_alu instid0(SALU_CYCLE_1)
	s_xor_b32 s4, exec_lo, s0
	s_cbranch_execz .LBB162_192
; %bb.190:                              ;   in Loop: Header=BB162_180 Depth=1
	v_ldexp_f64 v[22:23], |v[10:11]|, 0xffffff80
	v_cmp_le_f64_e64 vcc_lo, 0x7b000000, |v[10:11]|
	v_trig_preop_f64 v[24:25], |v[10:11]|, 0
	v_and_b32_e32 v17, 0x7fffffff, v11
	v_trig_preop_f64 v[28:29], |v[10:11]|, 1
	v_trig_preop_f64 v[32:33], |v[10:11]|, 2
	s_mov_b32 s0, s2
	s_mov_b32 s7, s5
	v_dual_cndmask_b32 v22, v10, v22 :: v_dual_cndmask_b32 v23, v17, v23
	s_delay_alu instid0(VALU_DEP_1) | instskip(NEXT) | instid1(VALU_DEP_4)
	v_mul_f64 v[26:27], v[24:25], v[22:23]
	v_mul_f64 v[30:31], v[28:29], v[22:23]
	s_delay_alu instid0(VALU_DEP_4) | instskip(NEXT) | instid1(VALU_DEP_3)
	v_mul_f64 v[34:35], v[32:33], v[22:23]
	v_fma_f64 v[24:25], v[24:25], v[22:23], -v[26:27]
	s_delay_alu instid0(VALU_DEP_3) | instskip(NEXT) | instid1(VALU_DEP_3)
	v_fma_f64 v[28:29], v[28:29], v[22:23], -v[30:31]
	v_fma_f64 v[22:23], v[32:33], v[22:23], -v[34:35]
	s_delay_alu instid0(VALU_DEP_3) | instskip(NEXT) | instid1(VALU_DEP_1)
	v_add_f64 v[32:33], v[30:31], v[24:25]
	v_add_f64 v[36:37], v[32:33], -v[30:31]
	s_delay_alu instid0(VALU_DEP_1) | instskip(SKIP_1) | instid1(VALU_DEP_1)
	v_add_f64 v[24:25], v[24:25], -v[36:37]
	v_add_f64 v[36:37], v[32:33], -v[36:37]
	;; [unrolled: 1-line block ×3, first 2 shown]
	v_add_f64 v[36:37], v[26:27], v[32:33]
	s_delay_alu instid0(VALU_DEP_2) | instskip(NEXT) | instid1(VALU_DEP_2)
	v_add_f64 v[24:25], v[24:25], v[30:31]
	v_add_f64 v[26:27], v[36:37], -v[26:27]
	v_add_f64 v[30:31], v[34:35], v[28:29]
	v_ldexp_f64 v[36:37], v[36:37], -2
	s_delay_alu instid0(VALU_DEP_3) | instskip(NEXT) | instid1(VALU_DEP_3)
	v_add_f64 v[26:27], v[32:33], -v[26:27]
	v_add_f64 v[32:33], v[30:31], -v[34:35]
	s_delay_alu instid0(VALU_DEP_3) | instskip(SKIP_1) | instid1(VALU_DEP_3)
	v_cmp_neq_f64_e64 vcc_lo, 0x7ff00000, |v[36:37]|
	v_fract_f64_e32 v[36:37], v[36:37]
	v_add_f64 v[28:29], v[28:29], -v[32:33]
	v_add_f64 v[32:33], v[30:31], -v[32:33]
	s_delay_alu instid0(VALU_DEP_3) | instskip(NEXT) | instid1(VALU_DEP_2)
	v_dual_cndmask_b32 v36, 0, v36 :: v_dual_cndmask_b32 v37, 0, v37
	v_add_f64 v[32:33], v[34:35], -v[32:33]
	v_add_f64 v[34:35], v[30:31], v[24:25]
	s_delay_alu instid0(VALU_DEP_2) | instskip(NEXT) | instid1(VALU_DEP_2)
	v_add_f64 v[28:29], v[28:29], v[32:33]
	v_add_f64 v[38:39], v[34:35], -v[30:31]
	v_add_f64 v[32:33], v[26:27], v[34:35]
	s_delay_alu instid0(VALU_DEP_2) | instskip(SKIP_1) | instid1(VALU_DEP_3)
	v_add_f64 v[24:25], v[24:25], -v[38:39]
	v_add_f64 v[38:39], v[34:35], -v[38:39]
	;; [unrolled: 1-line block ×3, first 2 shown]
	s_delay_alu instid0(VALU_DEP_2) | instskip(NEXT) | instid1(VALU_DEP_2)
	v_add_f64 v[30:31], v[30:31], -v[38:39]
	v_add_f64 v[26:27], v[34:35], -v[26:27]
	s_delay_alu instid0(VALU_DEP_2) | instskip(SKIP_1) | instid1(VALU_DEP_2)
	v_add_f64 v[24:25], v[24:25], v[30:31]
	v_ldexp_f64 v[30:31], v[36:37], 2
	v_add_f64 v[24:25], v[28:29], v[24:25]
	s_delay_alu instid0(VALU_DEP_2) | instskip(NEXT) | instid1(VALU_DEP_2)
	v_add_f64 v[36:37], v[32:33], v[30:31]
	v_add_f64 v[22:23], v[22:23], v[24:25]
	s_delay_alu instid0(VALU_DEP_2) | instskip(NEXT) | instid1(VALU_DEP_2)
	v_cmp_gt_f64_e32 vcc_lo, 0, v[36:37]
	v_add_f64 v[22:23], v[26:27], v[22:23]
	v_cndmask_b32_e64 v17, 0, 0x40100000, vcc_lo
	s_delay_alu instid0(VALU_DEP_1) | instskip(NEXT) | instid1(VALU_DEP_1)
	v_add_f64 v[24:25], v[30:31], v[16:17]
	v_add_f64 v[28:29], v[32:33], v[24:25]
	s_delay_alu instid0(VALU_DEP_1) | instskip(NEXT) | instid1(VALU_DEP_1)
	v_cvt_i32_f64_e32 v30, v[28:29]
	v_cvt_f64_i32_e32 v[28:29], v30
	s_delay_alu instid0(VALU_DEP_1) | instskip(NEXT) | instid1(VALU_DEP_1)
	v_add_f64 v[24:25], v[24:25], -v[28:29]
	v_add_f64 v[26:27], v[32:33], v[24:25]
	s_delay_alu instid0(VALU_DEP_1) | instskip(SKIP_1) | instid1(VALU_DEP_2)
	v_add_f64 v[24:25], v[26:27], -v[24:25]
	v_cmp_le_f64_e32 vcc_lo, 0.5, v[26:27]
	v_add_f64 v[24:25], v[32:33], -v[24:25]
	v_cndmask_b32_e64 v17, 0, 0x3ff00000, vcc_lo
	v_add_co_ci_u32_e32 v30, vcc_lo, 0, v30, vcc_lo
	s_delay_alu instid0(VALU_DEP_2) | instskip(NEXT) | instid1(VALU_DEP_4)
	v_add_f64 v[26:27], v[26:27], -v[16:17]
	v_add_f64 v[22:23], v[22:23], v[24:25]
	s_delay_alu instid0(VALU_DEP_1) | instskip(NEXT) | instid1(VALU_DEP_1)
	v_add_f64 v[24:25], v[26:27], v[22:23]
	v_add_f64 v[26:27], v[24:25], -v[26:27]
	s_delay_alu instid0(VALU_DEP_1) | instskip(SKIP_1) | instid1(VALU_DEP_1)
	v_add_f64 v[22:23], v[22:23], -v[26:27]
	v_mul_f64 v[26:27], v[24:25], s[0:1]
	v_fma_f64 v[28:29], v[24:25], s[0:1], -v[26:27]
	s_delay_alu instid0(VALU_DEP_1) | instskip(NEXT) | instid1(VALU_DEP_1)
	v_fma_f64 v[24:25], v[24:25], s[6:7], v[28:29]
	v_fma_f64 v[24:25], v[22:23], s[0:1], v[24:25]
	s_delay_alu instid0(VALU_DEP_1) | instskip(NEXT) | instid1(VALU_DEP_1)
	v_add_f64 v[22:23], v[26:27], v[24:25]
	v_add_f64 v[26:27], v[22:23], -v[26:27]
	s_delay_alu instid0(VALU_DEP_1)
	v_add_f64 v[24:25], v[24:25], -v[26:27]
	s_and_not1_saveexec_b32 s0, s4
	s_cbranch_execz .LBB162_194
	s_branch .LBB162_193
.LBB162_191:                            ;   in Loop: Header=BB162_180 Depth=1
	s_or_b32 exec_lo, exec_lo, s48
	s_and_not1_saveexec_b32 s0, s21
	s_cbranch_execnz .LBB162_200
	s_branch .LBB162_201
.LBB162_192:                            ;   in Loop: Header=BB162_180 Depth=1
	s_and_not1_saveexec_b32 s0, s4
	s_cbranch_execz .LBB162_194
.LBB162_193:                            ;   in Loop: Header=BB162_180 Depth=1
	v_mul_f64 v[22:23], |v[10:11]|, s[10:11]
	s_mov_b32 s4, s14
	s_delay_alu instid0(VALU_DEP_1) | instskip(NEXT) | instid1(VALU_DEP_1)
	v_rndne_f64_e32 v[26:27], v[22:23]
	v_fma_f64 v[22:23], v[26:27], s[2:3], |v[10:11]|
	v_mul_f64 v[24:25], v[26:27], s[14:15]
	s_delay_alu instid0(VALU_DEP_2) | instskip(NEXT) | instid1(VALU_DEP_2)
	v_fma_f64 v[30:31], v[26:27], s[14:15], v[22:23]
	v_add_f64 v[28:29], v[22:23], v[24:25]
	s_delay_alu instid0(VALU_DEP_1) | instskip(NEXT) | instid1(VALU_DEP_3)
	v_add_f64 v[22:23], v[22:23], -v[28:29]
	v_add_f64 v[28:29], v[28:29], -v[30:31]
	s_delay_alu instid0(VALU_DEP_2) | instskip(SKIP_1) | instid1(VALU_DEP_2)
	v_add_f64 v[22:23], v[22:23], v[24:25]
	v_fma_f64 v[24:25], v[26:27], s[4:5], v[24:25]
	v_add_f64 v[22:23], v[28:29], v[22:23]
	s_delay_alu instid0(VALU_DEP_1) | instskip(NEXT) | instid1(VALU_DEP_1)
	v_add_f64 v[22:23], v[22:23], -v[24:25]
	v_fma_f64 v[24:25], v[26:27], s[16:17], v[22:23]
	s_delay_alu instid0(VALU_DEP_1) | instskip(NEXT) | instid1(VALU_DEP_1)
	v_add_f64 v[22:23], v[30:31], v[24:25]
	v_add_f64 v[28:29], v[22:23], -v[30:31]
	v_cvt_i32_f64_e32 v30, v[26:27]
	s_delay_alu instid0(VALU_DEP_2)
	v_add_f64 v[24:25], v[24:25], -v[28:29]
.LBB162_194:                            ;   in Loop: Header=BB162_180 Depth=1
	s_or_b32 exec_lo, exec_lo, s0
                                        ; implicit-def: $vgpr17
                                        ; implicit-def: $vgpr26_vgpr27
                                        ; implicit-def: $vgpr28_vgpr29
	s_and_saveexec_b32 s0, s18
	s_delay_alu instid0(SALU_CYCLE_1)
	s_xor_b32 s4, exec_lo, s0
	s_cbranch_execz .LBB162_196
; %bb.195:                              ;   in Loop: Header=BB162_180 Depth=1
	v_ldexp_f64 v[26:27], |v[10:11]|, 0xffffff80
	v_cmp_le_f64_e64 vcc_lo, 0x7b000000, |v[10:11]|
	v_trig_preop_f64 v[28:29], |v[10:11]|, 0
	v_and_b32_e32 v17, 0x7fffffff, v11
	v_trig_preop_f64 v[33:34], |v[10:11]|, 1
	v_trig_preop_f64 v[37:38], |v[10:11]|, 2
	s_mov_b32 s0, s2
	s_mov_b32 s7, s5
	v_dual_cndmask_b32 v26, v10, v26 :: v_dual_cndmask_b32 v27, v17, v27
	s_delay_alu instid0(VALU_DEP_1) | instskip(NEXT) | instid1(VALU_DEP_4)
	v_mul_f64 v[31:32], v[28:29], v[26:27]
	v_mul_f64 v[35:36], v[33:34], v[26:27]
	s_delay_alu instid0(VALU_DEP_4) | instskip(NEXT) | instid1(VALU_DEP_3)
	v_mul_f64 v[39:40], v[37:38], v[26:27]
	v_fma_f64 v[28:29], v[28:29], v[26:27], -v[31:32]
	s_delay_alu instid0(VALU_DEP_3) | instskip(NEXT) | instid1(VALU_DEP_3)
	v_fma_f64 v[33:34], v[33:34], v[26:27], -v[35:36]
	v_fma_f64 v[26:27], v[37:38], v[26:27], -v[39:40]
	s_delay_alu instid0(VALU_DEP_3) | instskip(NEXT) | instid1(VALU_DEP_1)
	v_add_f64 v[37:38], v[35:36], v[28:29]
	v_add_f64 v[41:42], v[37:38], -v[35:36]
	s_delay_alu instid0(VALU_DEP_1) | instskip(SKIP_1) | instid1(VALU_DEP_1)
	v_add_f64 v[28:29], v[28:29], -v[41:42]
	v_add_f64 v[41:42], v[37:38], -v[41:42]
	;; [unrolled: 1-line block ×3, first 2 shown]
	v_add_f64 v[41:42], v[31:32], v[37:38]
	s_delay_alu instid0(VALU_DEP_2) | instskip(NEXT) | instid1(VALU_DEP_2)
	v_add_f64 v[28:29], v[28:29], v[35:36]
	v_add_f64 v[31:32], v[41:42], -v[31:32]
	v_add_f64 v[35:36], v[39:40], v[33:34]
	v_ldexp_f64 v[41:42], v[41:42], -2
	s_delay_alu instid0(VALU_DEP_3) | instskip(NEXT) | instid1(VALU_DEP_3)
	v_add_f64 v[31:32], v[37:38], -v[31:32]
	v_add_f64 v[37:38], v[35:36], -v[39:40]
	s_delay_alu instid0(VALU_DEP_3) | instskip(SKIP_1) | instid1(VALU_DEP_3)
	v_cmp_neq_f64_e64 vcc_lo, 0x7ff00000, |v[41:42]|
	v_fract_f64_e32 v[41:42], v[41:42]
	v_add_f64 v[33:34], v[33:34], -v[37:38]
	v_add_f64 v[37:38], v[35:36], -v[37:38]
	s_delay_alu instid0(VALU_DEP_3) | instskip(NEXT) | instid1(VALU_DEP_2)
	v_dual_cndmask_b32 v42, 0, v42 :: v_dual_cndmask_b32 v41, 0, v41
	v_add_f64 v[37:38], v[39:40], -v[37:38]
	v_add_f64 v[39:40], v[35:36], v[28:29]
	s_delay_alu instid0(VALU_DEP_2) | instskip(NEXT) | instid1(VALU_DEP_2)
	v_add_f64 v[33:34], v[33:34], v[37:38]
	v_add_f64 v[43:44], v[39:40], -v[35:36]
	v_add_f64 v[37:38], v[31:32], v[39:40]
	s_delay_alu instid0(VALU_DEP_2) | instskip(SKIP_1) | instid1(VALU_DEP_3)
	v_add_f64 v[28:29], v[28:29], -v[43:44]
	v_add_f64 v[43:44], v[39:40], -v[43:44]
	;; [unrolled: 1-line block ×3, first 2 shown]
	s_delay_alu instid0(VALU_DEP_2) | instskip(NEXT) | instid1(VALU_DEP_2)
	v_add_f64 v[35:36], v[35:36], -v[43:44]
	v_add_f64 v[31:32], v[39:40], -v[31:32]
	s_delay_alu instid0(VALU_DEP_2) | instskip(SKIP_1) | instid1(VALU_DEP_2)
	v_add_f64 v[28:29], v[28:29], v[35:36]
	v_ldexp_f64 v[35:36], v[41:42], 2
	v_add_f64 v[28:29], v[33:34], v[28:29]
	s_delay_alu instid0(VALU_DEP_2) | instskip(NEXT) | instid1(VALU_DEP_2)
	v_add_f64 v[41:42], v[37:38], v[35:36]
	v_add_f64 v[26:27], v[26:27], v[28:29]
	s_delay_alu instid0(VALU_DEP_2) | instskip(NEXT) | instid1(VALU_DEP_2)
	v_cmp_gt_f64_e32 vcc_lo, 0, v[41:42]
	v_add_f64 v[26:27], v[31:32], v[26:27]
	v_cndmask_b32_e64 v17, 0, 0x40100000, vcc_lo
	s_delay_alu instid0(VALU_DEP_1) | instskip(NEXT) | instid1(VALU_DEP_1)
	v_add_f64 v[28:29], v[35:36], v[16:17]
	v_add_f64 v[33:34], v[37:38], v[28:29]
	s_delay_alu instid0(VALU_DEP_1) | instskip(NEXT) | instid1(VALU_DEP_1)
	v_cvt_i32_f64_e32 v35, v[33:34]
	v_cvt_f64_i32_e32 v[33:34], v35
	s_delay_alu instid0(VALU_DEP_1) | instskip(NEXT) | instid1(VALU_DEP_1)
	v_add_f64 v[28:29], v[28:29], -v[33:34]
	v_add_f64 v[31:32], v[37:38], v[28:29]
	s_delay_alu instid0(VALU_DEP_1) | instskip(SKIP_1) | instid1(VALU_DEP_2)
	v_add_f64 v[28:29], v[31:32], -v[28:29]
	v_cmp_le_f64_e32 vcc_lo, 0.5, v[31:32]
	v_add_f64 v[28:29], v[37:38], -v[28:29]
	v_cndmask_b32_e64 v17, 0, 0x3ff00000, vcc_lo
	s_delay_alu instid0(VALU_DEP_1) | instskip(SKIP_1) | instid1(VALU_DEP_4)
	v_add_f64 v[31:32], v[31:32], -v[16:17]
	v_add_co_ci_u32_e32 v17, vcc_lo, 0, v35, vcc_lo
	v_add_f64 v[26:27], v[26:27], v[28:29]
	s_delay_alu instid0(VALU_DEP_1) | instskip(NEXT) | instid1(VALU_DEP_1)
	v_add_f64 v[28:29], v[31:32], v[26:27]
	v_add_f64 v[31:32], v[28:29], -v[31:32]
	s_delay_alu instid0(VALU_DEP_1) | instskip(SKIP_1) | instid1(VALU_DEP_1)
	v_add_f64 v[26:27], v[26:27], -v[31:32]
	v_mul_f64 v[31:32], v[28:29], s[0:1]
	v_fma_f64 v[33:34], v[28:29], s[0:1], -v[31:32]
	s_delay_alu instid0(VALU_DEP_1) | instskip(NEXT) | instid1(VALU_DEP_1)
	v_fma_f64 v[28:29], v[28:29], s[6:7], v[33:34]
	v_fma_f64 v[28:29], v[26:27], s[0:1], v[28:29]
	s_delay_alu instid0(VALU_DEP_1) | instskip(NEXT) | instid1(VALU_DEP_1)
	v_add_f64 v[26:27], v[31:32], v[28:29]
	v_add_f64 v[31:32], v[26:27], -v[31:32]
	s_delay_alu instid0(VALU_DEP_1)
	v_add_f64 v[28:29], v[28:29], -v[31:32]
	s_and_not1_saveexec_b32 s0, s4
	s_cbranch_execnz .LBB162_197
	s_branch .LBB162_198
.LBB162_196:                            ;   in Loop: Header=BB162_180 Depth=1
	s_and_not1_saveexec_b32 s0, s4
	s_cbranch_execz .LBB162_198
.LBB162_197:                            ;   in Loop: Header=BB162_180 Depth=1
	v_mul_f64 v[26:27], |v[10:11]|, s[10:11]
	s_mov_b32 s4, s14
	s_delay_alu instid0(VALU_DEP_1) | instskip(NEXT) | instid1(VALU_DEP_1)
	v_rndne_f64_e32 v[31:32], v[26:27]
	v_fma_f64 v[26:27], v[31:32], s[2:3], |v[10:11]|
	v_mul_f64 v[28:29], v[31:32], s[14:15]
	v_cvt_i32_f64_e32 v17, v[31:32]
	s_delay_alu instid0(VALU_DEP_3) | instskip(NEXT) | instid1(VALU_DEP_3)
	v_fma_f64 v[35:36], v[31:32], s[14:15], v[26:27]
	v_add_f64 v[33:34], v[26:27], v[28:29]
	s_delay_alu instid0(VALU_DEP_1) | instskip(NEXT) | instid1(VALU_DEP_3)
	v_add_f64 v[26:27], v[26:27], -v[33:34]
	v_add_f64 v[33:34], v[33:34], -v[35:36]
	s_delay_alu instid0(VALU_DEP_2) | instskip(SKIP_1) | instid1(VALU_DEP_2)
	v_add_f64 v[26:27], v[26:27], v[28:29]
	v_fma_f64 v[28:29], v[31:32], s[4:5], v[28:29]
	v_add_f64 v[26:27], v[33:34], v[26:27]
	s_delay_alu instid0(VALU_DEP_1) | instskip(NEXT) | instid1(VALU_DEP_1)
	v_add_f64 v[26:27], v[26:27], -v[28:29]
	v_fma_f64 v[28:29], v[31:32], s[16:17], v[26:27]
	s_delay_alu instid0(VALU_DEP_1) | instskip(NEXT) | instid1(VALU_DEP_1)
	v_add_f64 v[26:27], v[35:36], v[28:29]
	v_add_f64 v[33:34], v[26:27], -v[35:36]
	s_delay_alu instid0(VALU_DEP_1)
	v_add_f64 v[28:29], v[28:29], -v[33:34]
.LBB162_198:                            ;   in Loop: Header=BB162_180 Depth=1
	s_or_b32 exec_lo, exec_lo, s0
	v_mul_f64 v[31:32], |v[8:9]|, s[54:55]
	v_mul_f64 v[37:38], v[22:23], v[22:23]
	v_mul_f64 v[39:40], v[26:27], v[26:27]
	s_delay_alu instid0(VALU_DEP_4)
	v_mul_f64 v[55:56], v[24:25], 0.5
	v_mul_f64 v[63:64], v[28:29], 0.5
	s_mov_b32 s103, s73
	s_mov_b32 s75, s13
	;; [unrolled: 1-line block ×4, first 2 shown]
	v_rndne_f64_e32 v[31:32], v[31:32]
	v_fma_f64 v[41:42], v[37:38], s[94:95], s[92:93]
	v_fma_f64 v[43:44], v[39:40], s[94:95], s[92:93]
	;; [unrolled: 1-line block ×3, first 2 shown]
	v_mul_f64 v[47:48], v[37:38], 0.5
	v_mul_f64 v[49:50], v[39:40], 0.5
	v_fma_f64 v[51:52], v[39:40], s[84:85], s[82:83]
	v_mul_f64 v[57:58], v[22:23], -v[37:38]
	v_mul_f64 v[65:66], v[26:27], -v[39:40]
	v_fma_f64 v[33:34], v[31:32], s[46:47], -|v[8:9]|
	v_fma_f64 v[41:42], v[37:38], v[41:42], s[96:97]
	v_fma_f64 v[43:44], v[39:40], v[43:44], s[96:97]
	;; [unrolled: 1-line block ×3, first 2 shown]
	v_add_f64 v[53:54], -v[47:48], 1.0
	v_add_f64 v[59:60], -v[49:50], 1.0
	v_fma_f64 v[51:52], v[39:40], v[51:52], s[86:87]
	v_fma_f64 v[33:34], v[31:32], s[50:51], v[33:34]
	v_fma_f64 v[41:42], v[37:38], v[41:42], s[98:99]
	v_fma_f64 v[43:44], v[39:40], v[43:44], s[98:99]
	v_fma_f64 v[45:46], v[37:38], v[45:46], s[88:89]
	v_add_f64 v[61:62], -v[53:54], 1.0
	v_add_f64 v[67:68], -v[59:60], 1.0
	v_fma_f64 v[51:52], v[39:40], v[51:52], s[88:89]
	v_fma_f64 v[35:36], v[33:34], s[62:63], s[60:61]
	;; [unrolled: 1-line block ×5, first 2 shown]
	v_add_f64 v[47:48], v[61:62], -v[47:48]
	v_add_f64 v[49:50], v[67:68], -v[49:50]
	v_fma_f64 v[51:52], v[39:40], v[51:52], s[90:91]
	v_fma_f64 v[35:36], v[33:34], v[35:36], s[64:65]
	;; [unrolled: 1-line block ×4, first 2 shown]
	v_mul_f64 v[55:56], v[37:38], v[37:38]
	v_fma_f64 v[45:46], v[37:38], v[45:46], s[12:13]
	v_fma_f64 v[47:48], v[22:23], -v[24:25], v[47:48]
	v_fma_f64 v[35:36], v[33:34], v[35:36], s[66:67]
	v_fma_f64 v[24:25], v[37:38], v[41:42], -v[24:25]
	v_fma_f64 v[37:38], v[39:40], v[43:44], -v[28:29]
	v_mul_f64 v[41:42], v[39:40], v[39:40]
	v_fma_f64 v[39:40], v[39:40], v[51:52], s[12:13]
	v_fma_f64 v[28:29], v[26:27], -v[28:29], v[49:50]
	v_fma_f64 v[43:44], v[55:56], v[45:46], v[47:48]
	v_fma_f64 v[35:36], v[33:34], v[35:36], s[68:69]
	;; [unrolled: 1-line block ×5, first 2 shown]
	v_add_f64 v[39:40], v[53:54], v[43:44]
	v_fma_f64 v[35:36], v[33:34], v[35:36], s[70:71]
	v_add_f64 v[22:23], v[22:23], -v[24:25]
	v_add_f64 v[26:27], v[26:27], -v[37:38]
	v_lshlrev_b32_e32 v10, 30, v30
	s_delay_alu instid0(VALU_DEP_4) | instskip(NEXT) | instid1(VALU_DEP_3)
	v_fma_f64 v[35:36], v[33:34], v[35:36], s[102:103]
	v_xor_b32_e32 v27, 0x80000000, v27
	v_and_b32_e32 v30, 1, v30
	s_delay_alu instid0(VALU_DEP_1) | instskip(SKIP_2) | instid1(VALU_DEP_1)
	v_cmp_eq_u32_e32 vcc_lo, 0, v30
	v_dual_cndmask_b32 v23, v40, v23 :: v_dual_cndmask_b32 v22, v39, v22
	v_fma_f64 v[35:36], v[33:34], v[35:36], s[74:75]
	v_fma_f64 v[35:36], v[33:34], v[35:36], s[76:77]
	s_delay_alu instid0(VALU_DEP_1) | instskip(NEXT) | instid1(VALU_DEP_1)
	v_fma_f64 v[35:36], v[33:34], v[35:36], s[78:79]
	v_fma_f64 v[24:25], v[33:34], v[35:36], 1.0
	v_xor_b32_e32 v35, v10, v11
	v_add_f64 v[10:11], v[59:60], v[28:29]
	v_cvt_i32_f64_e32 v29, v[31:32]
	s_delay_alu instid0(VALU_DEP_4) | instskip(NEXT) | instid1(VALU_DEP_1)
	v_fma_f64 v[24:25], v[33:34], v[24:25], 1.0
	v_ldexp_f64 v[24:25], v[24:25], v29
	v_and_b32_e32 v28, 0x80000000, v35
	s_delay_alu instid0(VALU_DEP_1) | instskip(SKIP_2) | instid1(VALU_DEP_3)
	v_xor_b32_e32 v23, v23, v28
	v_and_b32_e32 v28, 1, v17
	v_lshlrev_b32_e32 v17, 30, v17
	v_mul_f64 v[22:23], v[22:23], 4.0
	s_delay_alu instid0(VALU_DEP_3) | instskip(NEXT) | instid1(VALU_DEP_3)
	v_cmp_eq_u32_e32 vcc_lo, 0, v28
	v_dual_cndmask_b32 v10, v26, v10 :: v_dual_and_b32 v17, 0x80000000, v17
	v_cndmask_b32_e32 v11, v27, v11, vcc_lo
	v_cmp_nlt_f64_e64 vcc_lo, 0x4090cc00, |v[8:9]|
	s_delay_alu instid0(VALU_DEP_2) | instskip(SKIP_1) | instid1(VALU_DEP_1)
	v_xor_b32_e32 v11, v11, v17
	v_bfi_b32 v17, 0x7fffffff, s0, v9
	v_dual_mov_b32 v8, v16 :: v_dual_mov_b32 v9, v17
	s_delay_alu instid0(VALU_DEP_3) | instskip(SKIP_1) | instid1(VALU_DEP_1)
	v_mul_f64 v[10:11], v[22:23], v[10:11]
	v_dual_cndmask_b32 v23, 0, v25 :: v_dual_cndmask_b32 v22, 0, v24
	v_mul_f64 v[10:11], v[22:23], v[10:11]
	s_delay_alu instid0(VALU_DEP_1)
	v_mul_f64 v[10:11], v[22:23], v[10:11]
	s_or_b32 exec_lo, exec_lo, s48
.LBB162_199:                            ;   in Loop: Header=BB162_180 Depth=1
	s_and_not1_saveexec_b32 s0, s21
.LBB162_200:                            ;   in Loop: Header=BB162_180 Depth=1
	s_delay_alu instid0(VALU_DEP_1) | instskip(NEXT) | instid1(VALU_DEP_1)
	v_add_f64 v[10:11], v[10:11], -v[10:11]
	v_dual_mov_b32 v8, v10 :: v_dual_mov_b32 v9, v11
.LBB162_201:                            ;   in Loop: Header=BB162_180 Depth=1
	s_or_b32 exec_lo, exec_lo, s0
.LBB162_202:                            ;   in Loop: Header=BB162_180 Depth=1
	s_and_not1_saveexec_b32 s20, s20
	s_cbranch_execz .LBB162_218
; %bb.203:                              ;   in Loop: Header=BB162_180 Depth=1
	s_delay_alu instid0(VALU_DEP_1) | instskip(SKIP_1) | instid1(VALU_DEP_1)
	v_and_or_b32 v17, 0xfffff, v9, v8
	s_mov_b32 s0, exec_lo
	v_cmpx_ne_u32_e32 0, v17
	s_xor_b32 s0, exec_lo, s0
; %bb.204:                              ;   in Loop: Header=BB162_180 Depth=1
	s_delay_alu instid0(VALU_DEP_3) | instskip(SKIP_1) | instid1(VALU_DEP_2)
	v_mul_f64 v[22:23], v[8:9], v[10:11]
	v_cmp_eq_f64_e32 vcc_lo, 0, v[10:11]
	v_dual_cndmask_b32 v11, v23, v11 :: v_dual_cndmask_b32 v10, v22, v10
; %bb.205:                              ;   in Loop: Header=BB162_180 Depth=1
	s_and_not1_saveexec_b32 s21, s0
	s_cbranch_execz .LBB162_217
; %bb.206:                              ;   in Loop: Header=BB162_180 Depth=1
	s_mov_b32 s48, exec_lo
	s_delay_alu instid0(VALU_DEP_1)
	v_cmpx_neq_f64_e64 0x7ff00000, |v[10:11]|
	s_cbranch_execz .LBB162_216
; %bb.207:                              ;   in Loop: Header=BB162_180 Depth=1
	v_cmp_ngt_f64_e64 s18, 0x41d00000, |v[10:11]|
	v_trig_preop_f64 v[30:31], |v[10:11]|, 0
	v_trig_preop_f64 v[28:29], |v[10:11]|, 1
	v_ldexp_f64 v[32:33], |v[10:11]|, 0xffffff80
	v_trig_preop_f64 v[26:27], |v[10:11]|, 2
	v_and_b32_e32 v39, 0x7fffffff, v11
                                        ; implicit-def: $vgpr38
                                        ; implicit-def: $vgpr22_vgpr23
                                        ; implicit-def: $vgpr24_vgpr25
	s_and_saveexec_b32 s0, s18
	s_delay_alu instid0(SALU_CYCLE_1)
	s_xor_b32 s4, exec_lo, s0
	s_cbranch_execz .LBB162_209
; %bb.208:                              ;   in Loop: Header=BB162_180 Depth=1
	v_cmp_le_f64_e64 vcc_lo, 0x7b000000, |v[10:11]|
	s_mov_b32 s0, s2
	s_mov_b32 s7, s5
	s_delay_alu instid0(VALU_DEP_4) | instskip(NEXT) | instid1(VALU_DEP_1)
	v_dual_cndmask_b32 v23, v39, v33 :: v_dual_cndmask_b32 v22, v10, v32
	v_mul_f64 v[24:25], v[30:31], v[22:23]
	v_mul_f64 v[34:35], v[28:29], v[22:23]
	s_delay_alu instid0(VALU_DEP_2) | instskip(NEXT) | instid1(VALU_DEP_1)
	v_fma_f64 v[36:37], v[30:31], v[22:23], -v[24:25]
	v_add_f64 v[40:41], v[34:35], v[36:37]
	s_delay_alu instid0(VALU_DEP_1) | instskip(SKIP_1) | instid1(VALU_DEP_2)
	v_add_f64 v[42:43], v[40:41], -v[34:35]
	v_add_f64 v[44:45], v[24:25], v[40:41]
	v_add_f64 v[36:37], v[36:37], -v[42:43]
	s_delay_alu instid0(VALU_DEP_2) | instskip(SKIP_1) | instid1(VALU_DEP_2)
	v_add_f64 v[24:25], v[44:45], -v[24:25]
	v_add_f64 v[42:43], v[40:41], -v[42:43]
	;; [unrolled: 1-line block ×3, first 2 shown]
	s_delay_alu instid0(VALU_DEP_2) | instskip(SKIP_2) | instid1(VALU_DEP_3)
	v_add_f64 v[40:41], v[34:35], -v[42:43]
	v_fma_f64 v[34:35], v[28:29], v[22:23], -v[34:35]
	v_mul_f64 v[42:43], v[26:27], v[22:23]
	v_add_f64 v[36:37], v[36:37], v[40:41]
	v_ldexp_f64 v[40:41], v[44:45], -2
	s_delay_alu instid0(VALU_DEP_3) | instskip(SKIP_1) | instid1(VALU_DEP_3)
	v_add_f64 v[44:45], v[42:43], v[34:35]
	v_fma_f64 v[22:23], v[26:27], v[22:23], -v[42:43]
	v_cmp_neq_f64_e64 vcc_lo, 0x7ff00000, |v[40:41]|
	s_delay_alu instid0(VALU_DEP_3) | instskip(SKIP_2) | instid1(VALU_DEP_3)
	v_add_f64 v[48:49], v[44:45], v[36:37]
	v_add_f64 v[46:47], v[44:45], -v[42:43]
	v_fract_f64_e32 v[40:41], v[40:41]
	v_add_f64 v[50:51], v[48:49], -v[44:45]
	s_delay_alu instid0(VALU_DEP_3) | instskip(SKIP_1) | instid1(VALU_DEP_4)
	v_add_f64 v[34:35], v[34:35], -v[46:47]
	v_add_f64 v[46:47], v[44:45], -v[46:47]
	v_dual_cndmask_b32 v41, 0, v41 :: v_dual_cndmask_b32 v40, 0, v40
	s_delay_alu instid0(VALU_DEP_1) | instskip(SKIP_4) | instid1(VALU_DEP_3)
	v_ldexp_f64 v[40:41], v[40:41], 2
	v_add_f64 v[36:37], v[36:37], -v[50:51]
	v_add_f64 v[50:51], v[48:49], -v[50:51]
	;; [unrolled: 1-line block ×3, first 2 shown]
	v_add_f64 v[42:43], v[24:25], v[48:49]
	v_add_f64 v[44:45], v[44:45], -v[50:51]
	s_delay_alu instid0(VALU_DEP_3) | instskip(NEXT) | instid1(VALU_DEP_3)
	v_add_f64 v[34:35], v[34:35], v[46:47]
	v_add_f64 v[24:25], v[42:43], -v[24:25]
	s_delay_alu instid0(VALU_DEP_3) | instskip(SKIP_1) | instid1(VALU_DEP_3)
	v_add_f64 v[36:37], v[36:37], v[44:45]
	v_add_f64 v[44:45], v[42:43], v[40:41]
	v_add_f64 v[24:25], v[48:49], -v[24:25]
	s_delay_alu instid0(VALU_DEP_3) | instskip(NEXT) | instid1(VALU_DEP_3)
	v_add_f64 v[34:35], v[34:35], v[36:37]
	v_cmp_gt_f64_e32 vcc_lo, 0, v[44:45]
	s_delay_alu instid0(VALU_DEP_2) | instskip(SKIP_1) | instid1(VALU_DEP_1)
	v_add_f64 v[22:23], v[22:23], v[34:35]
	v_cndmask_b32_e64 v17, 0, 0x40100000, vcc_lo
	v_add_f64 v[34:35], v[40:41], v[16:17]
	s_delay_alu instid0(VALU_DEP_3) | instskip(NEXT) | instid1(VALU_DEP_2)
	v_add_f64 v[22:23], v[24:25], v[22:23]
	v_add_f64 v[36:37], v[42:43], v[34:35]
	s_delay_alu instid0(VALU_DEP_1) | instskip(NEXT) | instid1(VALU_DEP_1)
	v_cvt_i32_f64_e32 v38, v[36:37]
	v_cvt_f64_i32_e32 v[36:37], v38
	s_delay_alu instid0(VALU_DEP_1) | instskip(NEXT) | instid1(VALU_DEP_1)
	v_add_f64 v[34:35], v[34:35], -v[36:37]
	v_add_f64 v[24:25], v[42:43], v[34:35]
	s_delay_alu instid0(VALU_DEP_1) | instskip(SKIP_1) | instid1(VALU_DEP_2)
	v_add_f64 v[34:35], v[24:25], -v[34:35]
	v_cmp_le_f64_e32 vcc_lo, 0.5, v[24:25]
	v_add_f64 v[34:35], v[42:43], -v[34:35]
	v_cndmask_b32_e64 v17, 0, 0x3ff00000, vcc_lo
	v_add_co_ci_u32_e32 v38, vcc_lo, 0, v38, vcc_lo
	s_delay_alu instid0(VALU_DEP_2) | instskip(NEXT) | instid1(VALU_DEP_4)
	v_add_f64 v[24:25], v[24:25], -v[16:17]
	v_add_f64 v[22:23], v[22:23], v[34:35]
	s_delay_alu instid0(VALU_DEP_1) | instskip(NEXT) | instid1(VALU_DEP_1)
	v_add_f64 v[34:35], v[24:25], v[22:23]
	v_add_f64 v[24:25], v[34:35], -v[24:25]
	s_delay_alu instid0(VALU_DEP_1) | instskip(SKIP_1) | instid1(VALU_DEP_1)
	v_add_f64 v[22:23], v[22:23], -v[24:25]
	v_mul_f64 v[24:25], v[34:35], s[0:1]
	v_fma_f64 v[36:37], v[34:35], s[0:1], -v[24:25]
	s_delay_alu instid0(VALU_DEP_1) | instskip(NEXT) | instid1(VALU_DEP_1)
	v_fma_f64 v[34:35], v[34:35], s[6:7], v[36:37]
	v_fma_f64 v[34:35], v[22:23], s[0:1], v[34:35]
	s_delay_alu instid0(VALU_DEP_1) | instskip(NEXT) | instid1(VALU_DEP_1)
	v_add_f64 v[22:23], v[24:25], v[34:35]
	v_add_f64 v[24:25], v[22:23], -v[24:25]
	s_delay_alu instid0(VALU_DEP_1)
	v_add_f64 v[24:25], v[34:35], -v[24:25]
	s_and_not1_saveexec_b32 s0, s4
	s_cbranch_execz .LBB162_211
	s_branch .LBB162_210
.LBB162_209:                            ;   in Loop: Header=BB162_180 Depth=1
	s_and_not1_saveexec_b32 s0, s4
	s_cbranch_execz .LBB162_211
.LBB162_210:                            ;   in Loop: Header=BB162_180 Depth=1
	v_mul_f64 v[22:23], |v[10:11]|, s[10:11]
	s_mov_b32 s4, s14
	s_delay_alu instid0(VALU_DEP_1) | instskip(NEXT) | instid1(VALU_DEP_1)
	v_rndne_f64_e32 v[34:35], v[22:23]
	v_fma_f64 v[22:23], v[34:35], s[2:3], |v[10:11]|
	v_mul_f64 v[24:25], v[34:35], s[14:15]
	v_cvt_i32_f64_e32 v38, v[34:35]
	s_delay_alu instid0(VALU_DEP_3) | instskip(NEXT) | instid1(VALU_DEP_3)
	v_fma_f64 v[40:41], v[34:35], s[14:15], v[22:23]
	v_add_f64 v[36:37], v[22:23], v[24:25]
	s_delay_alu instid0(VALU_DEP_1) | instskip(NEXT) | instid1(VALU_DEP_3)
	v_add_f64 v[22:23], v[22:23], -v[36:37]
	v_add_f64 v[36:37], v[36:37], -v[40:41]
	s_delay_alu instid0(VALU_DEP_2) | instskip(SKIP_1) | instid1(VALU_DEP_2)
	v_add_f64 v[22:23], v[22:23], v[24:25]
	v_fma_f64 v[24:25], v[34:35], s[4:5], v[24:25]
	v_add_f64 v[22:23], v[36:37], v[22:23]
	s_delay_alu instid0(VALU_DEP_1) | instskip(NEXT) | instid1(VALU_DEP_1)
	v_add_f64 v[22:23], v[22:23], -v[24:25]
	v_fma_f64 v[24:25], v[34:35], s[16:17], v[22:23]
	s_delay_alu instid0(VALU_DEP_1) | instskip(NEXT) | instid1(VALU_DEP_1)
	v_add_f64 v[22:23], v[40:41], v[24:25]
	v_add_f64 v[36:37], v[22:23], -v[40:41]
	s_delay_alu instid0(VALU_DEP_1)
	v_add_f64 v[24:25], v[24:25], -v[36:37]
.LBB162_211:                            ;   in Loop: Header=BB162_180 Depth=1
	s_or_b32 exec_lo, exec_lo, s0
                                        ; implicit-def: $vgpr17
                                        ; implicit-def: $vgpr34_vgpr35
                                        ; implicit-def: $vgpr36_vgpr37
	s_and_saveexec_b32 s0, s18
	s_delay_alu instid0(SALU_CYCLE_1)
	s_xor_b32 s4, exec_lo, s0
	s_cbranch_execz .LBB162_213
; %bb.212:                              ;   in Loop: Header=BB162_180 Depth=1
	v_cmp_le_f64_e64 vcc_lo, 0x7b000000, |v[10:11]|
	s_mov_b32 s0, s2
	s_mov_b32 s7, s5
	s_delay_alu instid0(VALU_DEP_4) | instskip(NEXT) | instid1(VALU_DEP_1)
	v_dual_cndmask_b32 v33, v39, v33 :: v_dual_cndmask_b32 v32, v10, v32
	v_mul_f64 v[34:35], v[30:31], v[32:33]
	v_mul_f64 v[36:37], v[28:29], v[32:33]
	;; [unrolled: 1-line block ×3, first 2 shown]
	s_delay_alu instid0(VALU_DEP_3) | instskip(NEXT) | instid1(VALU_DEP_3)
	v_fma_f64 v[30:31], v[30:31], v[32:33], -v[34:35]
	v_fma_f64 v[28:29], v[28:29], v[32:33], -v[36:37]
	s_delay_alu instid0(VALU_DEP_3) | instskip(NEXT) | instid1(VALU_DEP_3)
	v_fma_f64 v[26:27], v[26:27], v[32:33], -v[39:40]
	v_add_f64 v[32:33], v[36:37], v[30:31]
	s_delay_alu instid0(VALU_DEP_1) | instskip(NEXT) | instid1(VALU_DEP_1)
	v_add_f64 v[41:42], v[32:33], -v[36:37]
	v_add_f64 v[30:31], v[30:31], -v[41:42]
	;; [unrolled: 1-line block ×3, first 2 shown]
	s_delay_alu instid0(VALU_DEP_1) | instskip(SKIP_1) | instid1(VALU_DEP_2)
	v_add_f64 v[36:37], v[36:37], -v[41:42]
	v_add_f64 v[41:42], v[34:35], v[32:33]
	v_add_f64 v[30:31], v[30:31], v[36:37]
	s_delay_alu instid0(VALU_DEP_2) | instskip(SKIP_1) | instid1(VALU_DEP_2)
	v_add_f64 v[34:35], v[41:42], -v[34:35]
	v_ldexp_f64 v[41:42], v[41:42], -2
	v_add_f64 v[32:33], v[32:33], -v[34:35]
	v_add_f64 v[34:35], v[39:40], v[28:29]
	s_delay_alu instid0(VALU_DEP_3) | instskip(SKIP_1) | instid1(VALU_DEP_3)
	v_cmp_neq_f64_e64 vcc_lo, 0x7ff00000, |v[41:42]|
	v_fract_f64_e32 v[41:42], v[41:42]
	v_add_f64 v[36:37], v[34:35], -v[39:40]
	s_delay_alu instid0(VALU_DEP_2) | instskip(NEXT) | instid1(VALU_DEP_2)
	v_dual_cndmask_b32 v42, 0, v42 :: v_dual_cndmask_b32 v41, 0, v41
	v_add_f64 v[28:29], v[28:29], -v[36:37]
	v_add_f64 v[36:37], v[34:35], -v[36:37]
	s_delay_alu instid0(VALU_DEP_1) | instskip(SKIP_1) | instid1(VALU_DEP_2)
	v_add_f64 v[36:37], v[39:40], -v[36:37]
	v_add_f64 v[39:40], v[34:35], v[30:31]
	v_add_f64 v[28:29], v[28:29], v[36:37]
	s_delay_alu instid0(VALU_DEP_2) | instskip(SKIP_1) | instid1(VALU_DEP_2)
	v_add_f64 v[43:44], v[39:40], -v[34:35]
	v_add_f64 v[36:37], v[32:33], v[39:40]
	v_add_f64 v[30:31], v[30:31], -v[43:44]
	v_add_f64 v[43:44], v[39:40], -v[43:44]
	s_delay_alu instid0(VALU_DEP_1) | instskip(NEXT) | instid1(VALU_DEP_1)
	v_add_f64 v[34:35], v[34:35], -v[43:44]
	v_add_f64 v[30:31], v[30:31], v[34:35]
	v_ldexp_f64 v[34:35], v[41:42], 2
	s_delay_alu instid0(VALU_DEP_2) | instskip(NEXT) | instid1(VALU_DEP_2)
	v_add_f64 v[28:29], v[28:29], v[30:31]
	v_add_f64 v[41:42], v[36:37], v[34:35]
	v_add_f64 v[30:31], v[36:37], -v[32:33]
	s_delay_alu instid0(VALU_DEP_3) | instskip(NEXT) | instid1(VALU_DEP_3)
	v_add_f64 v[26:27], v[26:27], v[28:29]
	v_cmp_gt_f64_e32 vcc_lo, 0, v[41:42]
	s_delay_alu instid0(VALU_DEP_3) | instskip(SKIP_1) | instid1(VALU_DEP_2)
	v_add_f64 v[30:31], v[39:40], -v[30:31]
	v_cndmask_b32_e64 v17, 0, 0x40100000, vcc_lo
	v_add_f64 v[26:27], v[30:31], v[26:27]
	s_delay_alu instid0(VALU_DEP_2) | instskip(NEXT) | instid1(VALU_DEP_1)
	v_add_f64 v[28:29], v[34:35], v[16:17]
	v_add_f64 v[32:33], v[36:37], v[28:29]
	s_delay_alu instid0(VALU_DEP_1) | instskip(NEXT) | instid1(VALU_DEP_1)
	v_cvt_i32_f64_e32 v39, v[32:33]
	v_cvt_f64_i32_e32 v[32:33], v39
	s_delay_alu instid0(VALU_DEP_1) | instskip(NEXT) | instid1(VALU_DEP_1)
	v_add_f64 v[28:29], v[28:29], -v[32:33]
	v_add_f64 v[30:31], v[36:37], v[28:29]
	s_delay_alu instid0(VALU_DEP_1) | instskip(SKIP_1) | instid1(VALU_DEP_2)
	v_add_f64 v[28:29], v[30:31], -v[28:29]
	v_cmp_le_f64_e32 vcc_lo, 0.5, v[30:31]
	v_add_f64 v[28:29], v[36:37], -v[28:29]
	v_cndmask_b32_e64 v17, 0, 0x3ff00000, vcc_lo
	s_delay_alu instid0(VALU_DEP_1) | instskip(SKIP_1) | instid1(VALU_DEP_4)
	v_add_f64 v[30:31], v[30:31], -v[16:17]
	v_add_co_ci_u32_e32 v17, vcc_lo, 0, v39, vcc_lo
	v_add_f64 v[26:27], v[26:27], v[28:29]
	s_delay_alu instid0(VALU_DEP_1) | instskip(NEXT) | instid1(VALU_DEP_1)
	v_add_f64 v[28:29], v[30:31], v[26:27]
	v_add_f64 v[30:31], v[28:29], -v[30:31]
	s_delay_alu instid0(VALU_DEP_1) | instskip(SKIP_1) | instid1(VALU_DEP_1)
	v_add_f64 v[26:27], v[26:27], -v[30:31]
	v_mul_f64 v[30:31], v[28:29], s[0:1]
	v_fma_f64 v[32:33], v[28:29], s[0:1], -v[30:31]
	s_delay_alu instid0(VALU_DEP_1) | instskip(NEXT) | instid1(VALU_DEP_1)
	v_fma_f64 v[28:29], v[28:29], s[6:7], v[32:33]
	v_fma_f64 v[26:27], v[26:27], s[0:1], v[28:29]
	s_delay_alu instid0(VALU_DEP_1) | instskip(NEXT) | instid1(VALU_DEP_1)
	v_add_f64 v[34:35], v[30:31], v[26:27]
	v_add_f64 v[28:29], v[34:35], -v[30:31]
	s_delay_alu instid0(VALU_DEP_1)
	v_add_f64 v[36:37], v[26:27], -v[28:29]
	s_and_not1_saveexec_b32 s0, s4
	s_cbranch_execnz .LBB162_214
	s_branch .LBB162_215
.LBB162_213:                            ;   in Loop: Header=BB162_180 Depth=1
	s_and_not1_saveexec_b32 s0, s4
	s_cbranch_execz .LBB162_215
.LBB162_214:                            ;   in Loop: Header=BB162_180 Depth=1
	v_mul_f64 v[26:27], |v[10:11]|, s[10:11]
	s_mov_b32 s4, s14
	s_delay_alu instid0(VALU_DEP_1) | instskip(NEXT) | instid1(VALU_DEP_1)
	v_rndne_f64_e32 v[26:27], v[26:27]
	v_fma_f64 v[28:29], v[26:27], s[2:3], |v[10:11]|
	v_mul_f64 v[30:31], v[26:27], s[14:15]
	v_cvt_i32_f64_e32 v17, v[26:27]
	s_delay_alu instid0(VALU_DEP_3) | instskip(NEXT) | instid1(VALU_DEP_3)
	v_fma_f64 v[36:37], v[26:27], s[14:15], v[28:29]
	v_add_f64 v[32:33], v[28:29], v[30:31]
	s_delay_alu instid0(VALU_DEP_1) | instskip(NEXT) | instid1(VALU_DEP_3)
	v_add_f64 v[28:29], v[28:29], -v[32:33]
	v_add_f64 v[32:33], v[32:33], -v[36:37]
	s_delay_alu instid0(VALU_DEP_2) | instskip(SKIP_1) | instid1(VALU_DEP_2)
	v_add_f64 v[28:29], v[28:29], v[30:31]
	v_fma_f64 v[30:31], v[26:27], s[4:5], v[30:31]
	v_add_f64 v[28:29], v[32:33], v[28:29]
	s_delay_alu instid0(VALU_DEP_1) | instskip(NEXT) | instid1(VALU_DEP_1)
	v_add_f64 v[28:29], v[28:29], -v[30:31]
	v_fma_f64 v[28:29], v[26:27], s[16:17], v[28:29]
	s_delay_alu instid0(VALU_DEP_1) | instskip(NEXT) | instid1(VALU_DEP_1)
	v_add_f64 v[34:35], v[36:37], v[28:29]
	v_add_f64 v[30:31], v[34:35], -v[36:37]
	s_delay_alu instid0(VALU_DEP_1)
	v_add_f64 v[36:37], v[28:29], -v[30:31]
.LBB162_215:                            ;   in Loop: Header=BB162_180 Depth=1
	s_or_b32 exec_lo, exec_lo, s0
	v_mul_f64 v[26:27], v[22:23], v[22:23]
	s_delay_alu instid0(VALU_DEP_2) | instskip(NEXT) | instid1(VALU_DEP_3)
	v_mul_f64 v[39:40], v[24:25], 0.5
	v_mul_f64 v[45:46], v[36:37], 0.5
	s_mov_b32 s18, s12
	s_delay_alu instid0(VALU_DEP_3) | instskip(SKIP_1) | instid1(VALU_DEP_2)
	v_mul_f64 v[28:29], v[26:27], 0.5
	v_mul_f64 v[41:42], v[22:23], -v[26:27]
	v_add_f64 v[30:31], -v[28:29], 1.0
	s_delay_alu instid0(VALU_DEP_1) | instskip(NEXT) | instid1(VALU_DEP_1)
	v_add_f64 v[32:33], -v[30:31], 1.0
	v_add_f64 v[28:29], v[32:33], -v[28:29]
	v_fma_f64 v[32:33], v[26:27], s[94:95], s[92:93]
	s_delay_alu instid0(VALU_DEP_2) | instskip(NEXT) | instid1(VALU_DEP_2)
	v_fma_f64 v[28:29], v[22:23], -v[24:25], v[28:29]
	v_fma_f64 v[32:33], v[26:27], v[32:33], s[96:97]
	s_delay_alu instid0(VALU_DEP_1) | instskip(NEXT) | instid1(VALU_DEP_1)
	v_fma_f64 v[32:33], v[26:27], v[32:33], s[98:99]
	v_fma_f64 v[32:33], v[26:27], v[32:33], s[72:73]
	s_delay_alu instid0(VALU_DEP_1) | instskip(NEXT) | instid1(VALU_DEP_1)
	v_fma_f64 v[32:33], v[41:42], v[32:33], v[39:40]
	v_fma_f64 v[24:25], v[26:27], v[32:33], -v[24:25]
	v_fma_f64 v[32:33], v[26:27], s[84:85], s[82:83]
	s_delay_alu instid0(VALU_DEP_2) | instskip(NEXT) | instid1(VALU_DEP_2)
	v_fma_f64 v[24:25], v[41:42], s[18:19], v[24:25]
	v_fma_f64 v[32:33], v[26:27], v[32:33], s[86:87]
	s_delay_alu instid0(VALU_DEP_2) | instskip(NEXT) | instid1(VALU_DEP_2)
	v_add_f64 v[22:23], v[22:23], -v[24:25]
	v_fma_f64 v[32:33], v[26:27], v[32:33], s[88:89]
	s_delay_alu instid0(VALU_DEP_1) | instskip(NEXT) | instid1(VALU_DEP_1)
	v_fma_f64 v[32:33], v[26:27], v[32:33], s[90:91]
	v_fma_f64 v[32:33], v[26:27], v[32:33], s[12:13]
	v_mul_f64 v[26:27], v[26:27], v[26:27]
	s_delay_alu instid0(VALU_DEP_1) | instskip(SKIP_1) | instid1(VALU_DEP_2)
	v_fma_f64 v[26:27], v[26:27], v[32:33], v[28:29]
	v_mul_f64 v[28:29], v[34:35], v[34:35]
	v_add_f64 v[26:27], v[30:31], v[26:27]
	s_delay_alu instid0(VALU_DEP_2) | instskip(SKIP_2) | instid1(VALU_DEP_1)
	v_mul_f64 v[32:33], v[28:29], 0.5
	v_mul_f64 v[47:48], v[34:35], -v[28:29]
	v_and_b32_e32 v24, 1, v38
	v_cmp_eq_u32_e32 vcc_lo, 0, v24
	v_cndmask_b32_e32 v27, v27, v23, vcc_lo
	v_add_f64 v[39:40], -v[32:33], 1.0
	v_cndmask_b32_e32 v26, v26, v22, vcc_lo
	v_cmp_class_f64_e64 vcc_lo, v[10:11], 0x1f8
	v_lshlrev_b32_e32 v10, 30, v38
	s_delay_alu instid0(VALU_DEP_1) | instskip(NEXT) | instid1(VALU_DEP_1)
	v_xor_b32_e32 v10, v10, v11
	v_and_b32_e32 v10, 0x80000000, v10
	v_add_f64 v[43:44], -v[39:40], 1.0
	s_delay_alu instid0(VALU_DEP_1) | instskip(SKIP_1) | instid1(VALU_DEP_2)
	v_add_f64 v[32:33], v[43:44], -v[32:33]
	v_fma_f64 v[43:44], v[28:29], s[94:95], s[92:93]
	v_fma_f64 v[32:33], v[34:35], -v[36:37], v[32:33]
	s_delay_alu instid0(VALU_DEP_2) | instskip(NEXT) | instid1(VALU_DEP_1)
	v_fma_f64 v[43:44], v[28:29], v[43:44], s[96:97]
	v_fma_f64 v[43:44], v[28:29], v[43:44], s[98:99]
	s_delay_alu instid0(VALU_DEP_1) | instskip(NEXT) | instid1(VALU_DEP_1)
	v_fma_f64 v[43:44], v[28:29], v[43:44], s[72:73]
	v_fma_f64 v[43:44], v[47:48], v[43:44], v[45:46]
	s_delay_alu instid0(VALU_DEP_1) | instskip(SKIP_1) | instid1(VALU_DEP_2)
	v_fma_f64 v[36:37], v[28:29], v[43:44], -v[36:37]
	v_fma_f64 v[43:44], v[28:29], s[84:85], s[82:83]
	v_fma_f64 v[22:23], v[47:48], s[18:19], v[36:37]
	s_delay_alu instid0(VALU_DEP_2) | instskip(NEXT) | instid1(VALU_DEP_2)
	v_fma_f64 v[43:44], v[28:29], v[43:44], s[86:87]
	v_add_f64 v[22:23], v[34:35], -v[22:23]
	s_delay_alu instid0(VALU_DEP_2) | instskip(NEXT) | instid1(VALU_DEP_2)
	v_fma_f64 v[43:44], v[28:29], v[43:44], s[88:89]
	v_xor_b32_e32 v11, 0x80000000, v23
	s_delay_alu instid0(VALU_DEP_2) | instskip(SKIP_1) | instid1(VALU_DEP_2)
	v_fma_f64 v[43:44], v[28:29], v[43:44], s[90:91]
	v_xor_b32_e32 v23, v27, v10
	v_fma_f64 v[43:44], v[28:29], v[43:44], s[12:13]
	v_mul_f64 v[28:29], v[28:29], v[28:29]
	s_delay_alu instid0(VALU_DEP_1) | instskip(NEXT) | instid1(VALU_DEP_1)
	v_fma_f64 v[28:29], v[28:29], v[43:44], v[32:33]
	v_add_f64 v[24:25], v[39:40], v[28:29]
	v_and_b32_e32 v28, 1, v17
	v_dual_cndmask_b32 v10, 0, v26 :: v_dual_lshlrev_b32 v17, 30, v17
	s_delay_alu instid0(VALU_DEP_2) | instskip(NEXT) | instid1(VALU_DEP_2)
	v_cmp_eq_u32_e64 s0, 0, v28
	v_and_b32_e32 v17, 0x80000000, v17
	s_delay_alu instid0(VALU_DEP_2) | instskip(SKIP_1) | instid1(VALU_DEP_2)
	v_cndmask_b32_e64 v11, v11, v25, s0
	v_cndmask_b32_e64 v22, v22, v24, s0
	v_xor_b32_e32 v17, v11, v17
	v_cndmask_b32_e32 v11, 0x7ff80000, v23, vcc_lo
	s_delay_alu instid0(VALU_DEP_3) | instskip(NEXT) | instid1(VALU_DEP_3)
	v_cndmask_b32_e32 v22, 0, v22, vcc_lo
	v_cndmask_b32_e32 v23, 0x7ff80000, v17, vcc_lo
	s_delay_alu instid0(VALU_DEP_1)
	v_mul_f64 v[10:11], v[10:11], v[22:23]
.LBB162_216:                            ;   in Loop: Header=BB162_180 Depth=1
	s_or_b32 exec_lo, exec_lo, s48
	s_delay_alu instid0(VALU_DEP_1) | instskip(SKIP_2) | instid1(VALU_DEP_3)
	v_bfi_b32 v17, 0x7fffffff, 0, v11
	v_add_co_u32 v8, vcc_lo, v8, 0
	v_add_co_ci_u32_e32 v9, vcc_lo, -2.0, v9, vcc_lo
	v_dual_mov_b32 v10, v16 :: v_dual_mov_b32 v11, v17
.LBB162_217:                            ;   in Loop: Header=BB162_180 Depth=1
	s_or_b32 exec_lo, exec_lo, s21
.LBB162_218:                            ;   in Loop: Header=BB162_180 Depth=1
	s_delay_alu instid0(SALU_CYCLE_1) | instskip(SKIP_3) | instid1(VALU_DEP_1)
	s_or_b32 exec_lo, exec_lo, s20
	s_waitcnt vmcnt(2)
	v_and_b32_e32 v17, 0x7fffffff, v5
	s_mov_b32 s0, exec_lo
	v_cmpx_gt_u32_e32 0x7ff00000, v17
	s_xor_b32 s20, exec_lo, s0
	s_cbranch_execz .LBB162_240
; %bb.219:                              ;   in Loop: Header=BB162_180 Depth=1
	v_cmp_class_f64_e64 s0, v[6:7], 0x1f8
	s_delay_alu instid0(VALU_DEP_1) | instskip(NEXT) | instid1(SALU_CYCLE_1)
	s_and_saveexec_b32 s4, s0
	s_xor_b32 s21, exec_lo, s4
	s_cbranch_execz .LBB162_237
; %bb.220:                              ;   in Loop: Header=BB162_180 Depth=1
	s_mov_b32 s0, exec_lo
	v_cmpx_gt_u32_e32 0x40360000, v17
	s_xor_b32 s18, exec_lo, s0
	s_cbranch_execz .LBB162_226
; %bb.221:                              ;   in Loop: Header=BB162_180 Depth=1
	s_mov_b32 s4, exec_lo
                                        ; implicit-def: $vgpr17
                                        ; implicit-def: $vgpr22_vgpr23
                                        ; implicit-def: $vgpr24_vgpr25
	v_cmpx_ngt_f64_e64 0x41d00000, |v[6:7]|
	s_xor_b32 s4, exec_lo, s4
	s_cbranch_execz .LBB162_223
; %bb.222:                              ;   in Loop: Header=BB162_180 Depth=1
	v_ldexp_f64 v[22:23], |v[6:7]|, 0xffffff80
	v_cmp_le_f64_e64 vcc_lo, 0x7b000000, |v[6:7]|
	v_trig_preop_f64 v[24:25], |v[6:7]|, 0
	v_and_b32_e32 v17, 0x7fffffff, v7
	v_trig_preop_f64 v[28:29], |v[6:7]|, 1
	v_trig_preop_f64 v[32:33], |v[6:7]|, 2
	s_mov_b32 s0, s2
	s_mov_b32 s7, s5
	v_dual_cndmask_b32 v22, v6, v22 :: v_dual_cndmask_b32 v23, v17, v23
	s_delay_alu instid0(VALU_DEP_1) | instskip(NEXT) | instid1(VALU_DEP_4)
	v_mul_f64 v[26:27], v[24:25], v[22:23]
	v_mul_f64 v[30:31], v[28:29], v[22:23]
	s_delay_alu instid0(VALU_DEP_4) | instskip(NEXT) | instid1(VALU_DEP_3)
	v_mul_f64 v[34:35], v[32:33], v[22:23]
	v_fma_f64 v[24:25], v[24:25], v[22:23], -v[26:27]
	s_delay_alu instid0(VALU_DEP_3) | instskip(NEXT) | instid1(VALU_DEP_3)
	v_fma_f64 v[28:29], v[28:29], v[22:23], -v[30:31]
	v_fma_f64 v[22:23], v[32:33], v[22:23], -v[34:35]
	s_delay_alu instid0(VALU_DEP_3) | instskip(NEXT) | instid1(VALU_DEP_1)
	v_add_f64 v[32:33], v[30:31], v[24:25]
	v_add_f64 v[36:37], v[32:33], -v[30:31]
	s_delay_alu instid0(VALU_DEP_1) | instskip(SKIP_1) | instid1(VALU_DEP_1)
	v_add_f64 v[24:25], v[24:25], -v[36:37]
	v_add_f64 v[36:37], v[32:33], -v[36:37]
	;; [unrolled: 1-line block ×3, first 2 shown]
	v_add_f64 v[36:37], v[26:27], v[32:33]
	s_delay_alu instid0(VALU_DEP_2) | instskip(NEXT) | instid1(VALU_DEP_2)
	v_add_f64 v[24:25], v[24:25], v[30:31]
	v_add_f64 v[26:27], v[36:37], -v[26:27]
	v_add_f64 v[30:31], v[34:35], v[28:29]
	v_ldexp_f64 v[36:37], v[36:37], -2
	s_delay_alu instid0(VALU_DEP_3) | instskip(NEXT) | instid1(VALU_DEP_3)
	v_add_f64 v[26:27], v[32:33], -v[26:27]
	v_add_f64 v[32:33], v[30:31], -v[34:35]
	s_delay_alu instid0(VALU_DEP_3) | instskip(SKIP_1) | instid1(VALU_DEP_3)
	v_cmp_neq_f64_e64 vcc_lo, 0x7ff00000, |v[36:37]|
	v_fract_f64_e32 v[36:37], v[36:37]
	v_add_f64 v[28:29], v[28:29], -v[32:33]
	v_add_f64 v[32:33], v[30:31], -v[32:33]
	s_delay_alu instid0(VALU_DEP_3) | instskip(NEXT) | instid1(VALU_DEP_2)
	v_dual_cndmask_b32 v36, 0, v36 :: v_dual_cndmask_b32 v37, 0, v37
	v_add_f64 v[32:33], v[34:35], -v[32:33]
	v_add_f64 v[34:35], v[30:31], v[24:25]
	s_delay_alu instid0(VALU_DEP_2) | instskip(NEXT) | instid1(VALU_DEP_2)
	v_add_f64 v[28:29], v[28:29], v[32:33]
	v_add_f64 v[38:39], v[34:35], -v[30:31]
	v_add_f64 v[32:33], v[26:27], v[34:35]
	s_delay_alu instid0(VALU_DEP_2) | instskip(SKIP_1) | instid1(VALU_DEP_3)
	v_add_f64 v[24:25], v[24:25], -v[38:39]
	v_add_f64 v[38:39], v[34:35], -v[38:39]
	;; [unrolled: 1-line block ×3, first 2 shown]
	s_delay_alu instid0(VALU_DEP_2) | instskip(NEXT) | instid1(VALU_DEP_2)
	v_add_f64 v[30:31], v[30:31], -v[38:39]
	v_add_f64 v[26:27], v[34:35], -v[26:27]
	s_delay_alu instid0(VALU_DEP_2) | instskip(SKIP_1) | instid1(VALU_DEP_2)
	v_add_f64 v[24:25], v[24:25], v[30:31]
	v_ldexp_f64 v[30:31], v[36:37], 2
	v_add_f64 v[24:25], v[28:29], v[24:25]
	s_delay_alu instid0(VALU_DEP_2) | instskip(NEXT) | instid1(VALU_DEP_2)
	v_add_f64 v[36:37], v[32:33], v[30:31]
	v_add_f64 v[22:23], v[22:23], v[24:25]
	s_delay_alu instid0(VALU_DEP_2) | instskip(NEXT) | instid1(VALU_DEP_2)
	v_cmp_gt_f64_e32 vcc_lo, 0, v[36:37]
	v_add_f64 v[22:23], v[26:27], v[22:23]
	v_cndmask_b32_e64 v17, 0, 0x40100000, vcc_lo
	s_delay_alu instid0(VALU_DEP_1) | instskip(NEXT) | instid1(VALU_DEP_1)
	v_add_f64 v[24:25], v[30:31], v[16:17]
	v_add_f64 v[28:29], v[32:33], v[24:25]
	s_delay_alu instid0(VALU_DEP_1) | instskip(NEXT) | instid1(VALU_DEP_1)
	v_cvt_i32_f64_e32 v30, v[28:29]
	v_cvt_f64_i32_e32 v[28:29], v30
	s_delay_alu instid0(VALU_DEP_1) | instskip(NEXT) | instid1(VALU_DEP_1)
	v_add_f64 v[24:25], v[24:25], -v[28:29]
	v_add_f64 v[26:27], v[32:33], v[24:25]
	s_delay_alu instid0(VALU_DEP_1) | instskip(SKIP_1) | instid1(VALU_DEP_2)
	v_add_f64 v[24:25], v[26:27], -v[24:25]
	v_cmp_le_f64_e32 vcc_lo, 0.5, v[26:27]
	v_add_f64 v[24:25], v[32:33], -v[24:25]
	v_cndmask_b32_e64 v17, 0, 0x3ff00000, vcc_lo
	s_delay_alu instid0(VALU_DEP_1) | instskip(SKIP_1) | instid1(VALU_DEP_4)
	v_add_f64 v[26:27], v[26:27], -v[16:17]
	v_add_co_ci_u32_e32 v17, vcc_lo, 0, v30, vcc_lo
	v_add_f64 v[22:23], v[22:23], v[24:25]
	s_delay_alu instid0(VALU_DEP_1) | instskip(NEXT) | instid1(VALU_DEP_1)
	v_add_f64 v[24:25], v[26:27], v[22:23]
	v_add_f64 v[26:27], v[24:25], -v[26:27]
	s_delay_alu instid0(VALU_DEP_1) | instskip(SKIP_1) | instid1(VALU_DEP_1)
	v_add_f64 v[22:23], v[22:23], -v[26:27]
	v_mul_f64 v[26:27], v[24:25], s[0:1]
	v_fma_f64 v[28:29], v[24:25], s[0:1], -v[26:27]
	s_delay_alu instid0(VALU_DEP_1) | instskip(NEXT) | instid1(VALU_DEP_1)
	v_fma_f64 v[24:25], v[24:25], s[6:7], v[28:29]
	v_fma_f64 v[24:25], v[22:23], s[0:1], v[24:25]
	s_delay_alu instid0(VALU_DEP_1) | instskip(NEXT) | instid1(VALU_DEP_1)
	v_add_f64 v[22:23], v[26:27], v[24:25]
	v_add_f64 v[26:27], v[22:23], -v[26:27]
	s_delay_alu instid0(VALU_DEP_1)
	v_add_f64 v[24:25], v[24:25], -v[26:27]
.LBB162_223:                            ;   in Loop: Header=BB162_180 Depth=1
	s_and_not1_saveexec_b32 s0, s4
	s_cbranch_execz .LBB162_225
; %bb.224:                              ;   in Loop: Header=BB162_180 Depth=1
	v_mul_f64 v[22:23], |v[6:7]|, s[10:11]
	s_mov_b32 s4, s14
	s_delay_alu instid0(VALU_DEP_1) | instskip(NEXT) | instid1(VALU_DEP_1)
	v_rndne_f64_e32 v[26:27], v[22:23]
	v_fma_f64 v[22:23], v[26:27], s[2:3], |v[6:7]|
	v_mul_f64 v[24:25], v[26:27], s[14:15]
	v_cvt_i32_f64_e32 v17, v[26:27]
	s_delay_alu instid0(VALU_DEP_3) | instskip(NEXT) | instid1(VALU_DEP_3)
	v_fma_f64 v[30:31], v[26:27], s[14:15], v[22:23]
	v_add_f64 v[28:29], v[22:23], v[24:25]
	s_delay_alu instid0(VALU_DEP_1) | instskip(NEXT) | instid1(VALU_DEP_3)
	v_add_f64 v[22:23], v[22:23], -v[28:29]
	v_add_f64 v[28:29], v[28:29], -v[30:31]
	s_delay_alu instid0(VALU_DEP_2) | instskip(SKIP_1) | instid1(VALU_DEP_2)
	v_add_f64 v[22:23], v[22:23], v[24:25]
	v_fma_f64 v[24:25], v[26:27], s[4:5], v[24:25]
	v_add_f64 v[22:23], v[28:29], v[22:23]
	s_delay_alu instid0(VALU_DEP_1) | instskip(NEXT) | instid1(VALU_DEP_1)
	v_add_f64 v[22:23], v[22:23], -v[24:25]
	v_fma_f64 v[24:25], v[26:27], s[16:17], v[22:23]
	s_delay_alu instid0(VALU_DEP_1) | instskip(NEXT) | instid1(VALU_DEP_1)
	v_add_f64 v[22:23], v[30:31], v[24:25]
	v_add_f64 v[28:29], v[22:23], -v[30:31]
	s_delay_alu instid0(VALU_DEP_1)
	v_add_f64 v[24:25], v[24:25], -v[28:29]
.LBB162_225:                            ;   in Loop: Header=BB162_180 Depth=1
	s_or_b32 exec_lo, exec_lo, s0
	v_add_f64 v[26:27], |v[4:5]|, s[46:47]
	s_mov_b32 s48, s46
	s_mov_b32 s52, s54
	;; [unrolled: 1-line block ×5, first 2 shown]
	v_cmp_nge_f64_e64 vcc_lo, |v[4:5]|, s[80:81]
	v_cmp_gt_f64_e64 s0, 0x3e400000, |v[4:5]|
	s_mov_b32 s22, 0xa9a29f71
	s_mov_b32 s24, 0xc751c08c
	;; [unrolled: 1-line block ×4, first 2 shown]
	v_and_b32_e32 v17, 1, v17
	s_delay_alu instid0(VALU_DEP_4) | instskip(NEXT) | instid1(VALU_DEP_1)
	v_add_f64 v[28:29], v[26:27], -|v[4:5]|
	v_add_f64 v[30:31], v[28:29], -v[26:27]
	v_add_f64 v[28:29], v[28:29], s[48:49]
	s_delay_alu instid0(VALU_DEP_2) | instskip(NEXT) | instid1(VALU_DEP_1)
	v_add_f64 v[30:31], |v[4:5]|, v[30:31]
	v_add_f64 v[28:29], v[30:31], -v[28:29]
	s_delay_alu instid0(VALU_DEP_1) | instskip(NEXT) | instid1(VALU_DEP_1)
	v_add_f64 v[28:29], v[28:29], s[50:51]
	v_add_f64 v[30:31], v[26:27], v[28:29]
	s_delay_alu instid0(VALU_DEP_1) | instskip(NEXT) | instid1(VALU_DEP_1)
	v_add_f64 v[26:27], v[26:27], -v[30:31]
	v_add_f64 v[26:27], v[28:29], v[26:27]
	v_mul_f64 v[28:29], v[30:31], s[52:53]
	s_delay_alu instid0(VALU_DEP_1) | instskip(NEXT) | instid1(VALU_DEP_1)
	v_rndne_f64_e32 v[28:29], v[28:29]
	v_fma_f64 v[30:31], v[28:29], s[100:101], v[30:31]
	v_cvt_i32_f64_e32 v6, v[28:29]
	s_delay_alu instid0(VALU_DEP_2) | instskip(NEXT) | instid1(VALU_DEP_1)
	v_add_f64 v[32:33], v[26:27], v[30:31]
	v_add_f64 v[30:31], v[30:31], -v[32:33]
	s_delay_alu instid0(VALU_DEP_1) | instskip(SKIP_1) | instid1(VALU_DEP_1)
	v_add_f64 v[26:27], v[26:27], v[30:31]
	v_mul_f64 v[30:31], v[28:29], s[56:57]
	v_add_f64 v[34:35], v[32:33], v[30:31]
	s_delay_alu instid0(VALU_DEP_1) | instskip(NEXT) | instid1(VALU_DEP_1)
	v_add_f64 v[32:33], v[32:33], -v[34:35]
	v_add_f64 v[30:31], v[32:33], v[30:31]
	s_delay_alu instid0(VALU_DEP_1) | instskip(NEXT) | instid1(VALU_DEP_1)
	v_add_f64 v[26:27], v[26:27], v[30:31]
	v_add_f64 v[30:31], v[34:35], v[26:27]
	s_delay_alu instid0(VALU_DEP_1) | instskip(NEXT) | instid1(VALU_DEP_1)
	v_add_f64 v[32:33], v[34:35], -v[30:31]
	v_add_f64 v[26:27], v[26:27], v[32:33]
	v_mul_f64 v[32:33], v[28:29], s[58:59]
	s_delay_alu instid0(VALU_DEP_1) | instskip(NEXT) | instid1(VALU_DEP_1)
	v_add_f64 v[34:35], v[30:31], v[32:33]
	v_add_f64 v[30:31], v[30:31], -v[34:35]
	s_delay_alu instid0(VALU_DEP_1) | instskip(NEXT) | instid1(VALU_DEP_1)
	v_add_f64 v[30:31], v[30:31], v[32:33]
	v_add_f64 v[26:27], v[26:27], v[30:31]
	s_delay_alu instid0(VALU_DEP_1) | instskip(NEXT) | instid1(VALU_DEP_1)
	v_add_f64 v[30:31], v[34:35], v[26:27]
	v_add_f64 v[32:33], v[34:35], -v[30:31]
	s_delay_alu instid0(VALU_DEP_1) | instskip(SKIP_1) | instid1(VALU_DEP_2)
	v_add_f64 v[26:27], v[26:27], v[32:33]
	v_mul_f64 v[32:33], v[30:31], v[30:31]
	v_add_f64 v[36:37], v[26:27], v[26:27]
	s_delay_alu instid0(VALU_DEP_2) | instskip(NEXT) | instid1(VALU_DEP_1)
	v_fma_f64 v[34:35], v[30:31], v[30:31], -v[32:33]
	v_fma_f64 v[34:35], v[30:31], v[36:37], v[34:35]
	s_delay_alu instid0(VALU_DEP_1) | instskip(NEXT) | instid1(VALU_DEP_1)
	v_add_f64 v[36:37], v[32:33], v[34:35]
	v_add_f64 v[32:33], v[36:37], -v[32:33]
	s_delay_alu instid0(VALU_DEP_1) | instskip(SKIP_1) | instid1(VALU_DEP_1)
	v_add_f64 v[32:33], v[34:35], -v[32:33]
	v_fma_f64 v[34:35], v[30:31], s[62:63], s[60:61]
	v_fma_f64 v[34:35], v[30:31], v[34:35], s[64:65]
	s_delay_alu instid0(VALU_DEP_1) | instskip(NEXT) | instid1(VALU_DEP_1)
	v_fma_f64 v[34:35], v[30:31], v[34:35], s[66:67]
	v_fma_f64 v[34:35], v[30:31], v[34:35], s[68:69]
	s_delay_alu instid0(VALU_DEP_1) | instskip(NEXT) | instid1(VALU_DEP_1)
	;; [unrolled: 3-line block ×4, first 2 shown]
	v_fma_f64 v[34:35], v[30:31], v[34:35], s[78:79]
	v_mul_f64 v[38:39], v[36:37], v[34:35]
	s_delay_alu instid0(VALU_DEP_1) | instskip(NEXT) | instid1(VALU_DEP_1)
	v_fma_f64 v[36:37], v[36:37], v[34:35], -v[38:39]
	v_fma_f64 v[32:33], v[32:33], v[34:35], v[36:37]
	s_delay_alu instid0(VALU_DEP_1) | instskip(NEXT) | instid1(VALU_DEP_1)
	v_add_f64 v[34:35], v[38:39], v[32:33]
	v_add_f64 v[36:37], v[34:35], -v[38:39]
	s_delay_alu instid0(VALU_DEP_1) | instskip(SKIP_1) | instid1(VALU_DEP_2)
	v_add_f64 v[32:33], v[32:33], -v[36:37]
	v_add_f64 v[36:37], v[30:31], v[34:35]
	v_add_f64 v[26:27], v[26:27], v[32:33]
	s_delay_alu instid0(VALU_DEP_2) | instskip(NEXT) | instid1(VALU_DEP_1)
	v_add_f64 v[30:31], v[36:37], -v[30:31]
	v_add_f64 v[30:31], v[34:35], -v[30:31]
	s_delay_alu instid0(VALU_DEP_1) | instskip(NEXT) | instid1(VALU_DEP_1)
	v_add_f64 v[26:27], v[26:27], v[30:31]
	v_add_f64 v[30:31], v[36:37], v[26:27]
	s_delay_alu instid0(VALU_DEP_1) | instskip(NEXT) | instid1(VALU_DEP_1)
	v_add_f64 v[32:33], v[30:31], -v[36:37]
	v_add_f64 v[26:27], v[26:27], -v[32:33]
	v_add_f64 v[32:33], v[30:31], 1.0
	s_delay_alu instid0(VALU_DEP_1) | instskip(NEXT) | instid1(VALU_DEP_1)
	v_add_f64 v[34:35], v[32:33], -1.0
	v_add_f64 v[30:31], v[30:31], -v[34:35]
	s_delay_alu instid0(VALU_DEP_1) | instskip(NEXT) | instid1(VALU_DEP_1)
	v_add_f64 v[26:27], v[26:27], v[30:31]
	v_add_f64 v[28:29], v[32:33], v[26:27]
	s_delay_alu instid0(VALU_DEP_1) | instskip(SKIP_1) | instid1(VALU_DEP_2)
	v_add_f64 v[30:31], v[28:29], -v[32:33]
	v_ldexp_f64 v[28:29], v[28:29], v6
	v_add_f64 v[26:27], v[26:27], -v[30:31]
	s_delay_alu instid0(VALU_DEP_2) | instskip(NEXT) | instid1(VALU_DEP_1)
	v_rcp_f64_e32 v[32:33], v[28:29]
	v_ldexp_f64 v[26:27], v[26:27], v6
	v_and_b32_e32 v6, 0x7fffffff, v5
	s_waitcnt_depctr 0xfff
	v_fma_f64 v[34:35], -v[28:29], v[32:33], 1.0
	s_delay_alu instid0(VALU_DEP_1) | instskip(NEXT) | instid1(VALU_DEP_1)
	v_fma_f64 v[32:33], v[34:35], v[32:33], v[32:33]
	v_fma_f64 v[30:31], -v[28:29], v[32:33], 1.0
	s_delay_alu instid0(VALU_DEP_1) | instskip(NEXT) | instid1(VALU_DEP_1)
	v_fma_f64 v[30:31], v[30:31], v[32:33], v[32:33]
	v_mul_f64 v[32:33], v[28:29], v[30:31]
	s_delay_alu instid0(VALU_DEP_1) | instskip(NEXT) | instid1(VALU_DEP_1)
	v_fma_f64 v[34:35], v[30:31], v[28:29], -v[32:33]
	v_fma_f64 v[34:35], v[30:31], v[26:27], v[34:35]
	s_delay_alu instid0(VALU_DEP_1) | instskip(NEXT) | instid1(VALU_DEP_1)
	v_add_f64 v[36:37], v[32:33], v[34:35]
	v_add_f64 v[32:33], v[36:37], -v[32:33]
	s_delay_alu instid0(VALU_DEP_1) | instskip(SKIP_1) | instid1(VALU_DEP_1)
	v_add_f64 v[32:33], v[32:33], -v[34:35]
	v_add_f64 v[34:35], -v[36:37], 1.0
	v_add_f64 v[38:39], -v[34:35], 1.0
	s_delay_alu instid0(VALU_DEP_1) | instskip(NEXT) | instid1(VALU_DEP_1)
	v_add_f64 v[36:37], v[38:39], -v[36:37]
	v_add_f64 v[32:33], v[32:33], v[36:37]
	s_delay_alu instid0(VALU_DEP_1) | instskip(NEXT) | instid1(VALU_DEP_1)
	v_add_f64 v[36:37], v[34:35], v[32:33]
	v_add_f64 v[34:35], v[34:35], -v[36:37]
	s_delay_alu instid0(VALU_DEP_1) | instskip(SKIP_1) | instid1(VALU_DEP_1)
	v_add_f64 v[32:33], v[32:33], v[34:35]
	v_mul_f64 v[34:35], v[30:31], v[36:37]
	v_mul_f64 v[38:39], v[28:29], v[34:35]
	s_delay_alu instid0(VALU_DEP_1) | instskip(NEXT) | instid1(VALU_DEP_1)
	v_fma_f64 v[40:41], v[34:35], v[28:29], -v[38:39]
	v_fma_f64 v[40:41], v[34:35], v[26:27], v[40:41]
	s_delay_alu instid0(VALU_DEP_1) | instskip(NEXT) | instid1(VALU_DEP_1)
	v_add_f64 v[42:43], v[38:39], v[40:41]
	v_add_f64 v[44:45], v[36:37], -v[42:43]
	v_add_f64 v[38:39], v[42:43], -v[38:39]
	s_delay_alu instid0(VALU_DEP_2) | instskip(NEXT) | instid1(VALU_DEP_2)
	v_add_f64 v[36:37], v[36:37], -v[44:45]
	v_add_f64 v[38:39], v[38:39], -v[40:41]
	s_delay_alu instid0(VALU_DEP_2) | instskip(NEXT) | instid1(VALU_DEP_1)
	v_add_f64 v[36:37], v[36:37], -v[42:43]
	v_add_f64 v[32:33], v[32:33], v[36:37]
	v_add_f64 v[36:37], v[30:31], v[34:35]
	s_delay_alu instid0(VALU_DEP_2) | instskip(NEXT) | instid1(VALU_DEP_2)
	v_add_f64 v[32:33], v[38:39], v[32:33]
	v_add_f64 v[38:39], v[36:37], -v[30:31]
	s_delay_alu instid0(VALU_DEP_2) | instskip(NEXT) | instid1(VALU_DEP_2)
	v_add_f64 v[32:33], v[44:45], v[32:33]
	v_add_f64 v[34:35], v[34:35], -v[38:39]
	s_delay_alu instid0(VALU_DEP_2) | instskip(NEXT) | instid1(VALU_DEP_1)
	v_mul_f64 v[30:31], v[30:31], v[32:33]
	v_add_f64 v[30:31], v[34:35], v[30:31]
	s_delay_alu instid0(VALU_DEP_1) | instskip(NEXT) | instid1(VALU_DEP_1)
	v_add_f64 v[32:33], v[36:37], v[30:31]
	v_add_f64 v[34:35], v[32:33], -v[36:37]
	v_ldexp_f64 v[32:33], v[32:33], -2
	s_delay_alu instid0(VALU_DEP_2) | instskip(NEXT) | instid1(VALU_DEP_2)
	v_add_f64 v[30:31], v[30:31], -v[34:35]
	v_add_f64 v[36:37], v[28:29], -v[32:33]
	s_delay_alu instid0(VALU_DEP_1) | instskip(NEXT) | instid1(VALU_DEP_1)
	v_add_f64 v[28:29], v[28:29], -v[36:37]
	v_add_f64 v[28:29], v[28:29], -v[32:33]
	s_delay_alu instid0(VALU_DEP_1) | instskip(SKIP_1) | instid1(VALU_DEP_1)
	v_add_f64 v[26:27], v[26:27], v[28:29]
	v_ldexp_f64 v[28:29], v[30:31], -2
	v_add_f64 v[26:27], v[26:27], -v[28:29]
	s_delay_alu instid0(VALU_DEP_1) | instskip(SKIP_1) | instid1(VALU_DEP_2)
	v_add_f64 v[26:27], v[36:37], v[26:27]
	v_and_b32_e32 v36, 0x80000000, v7
	v_cndmask_b32_e32 v27, 0x7ff00000, v27, vcc_lo
	s_delay_alu instid0(VALU_DEP_3) | instskip(NEXT) | instid1(VALU_DEP_2)
	v_cndmask_b32_e32 v26, 0, v26, vcc_lo
	v_cndmask_b32_e64 v6, v27, v6, s0
	s_delay_alu instid0(VALU_DEP_2) | instskip(SKIP_1) | instid1(VALU_DEP_3)
	v_cndmask_b32_e64 v4, v26, v4, s0
	v_cmp_eq_u32_e64 s0, 0, v17
	v_bfi_b32 v5, 0x7fffffff, v6, v5
	s_delay_alu instid0(VALU_DEP_1) | instskip(NEXT) | instid1(VALU_DEP_1)
	v_fma_f64 v[26:27], v[4:5], v[4:5], 1.0
	v_cmp_gt_f64_e32 vcc_lo, 0x10000000, v[26:27]
	v_cndmask_b32_e64 v6, 0, 1, vcc_lo
	v_cndmask_b32_e64 v17, 0, 0xffffff80, vcc_lo
	s_delay_alu instid0(VALU_DEP_2) | instskip(NEXT) | instid1(VALU_DEP_1)
	v_lshlrev_b32_e32 v6, 8, v6
	v_ldexp_f64 v[26:27], v[26:27], v6
	v_mul_f64 v[6:7], v[22:23], v[22:23]
	s_delay_alu instid0(VALU_DEP_2) | instskip(SKIP_4) | instid1(VALU_DEP_1)
	v_rsq_f64_e32 v[28:29], v[26:27]
	v_cmp_class_f64_e64 vcc_lo, v[26:27], 0x260
	s_waitcnt_depctr 0xfff
	v_mul_f64 v[30:31], v[26:27], v[28:29]
	v_mul_f64 v[28:29], v[28:29], 0.5
	v_fma_f64 v[32:33], -v[28:29], v[30:31], 0.5
	s_delay_alu instid0(VALU_DEP_1) | instskip(SKIP_1) | instid1(VALU_DEP_2)
	v_fma_f64 v[30:31], v[30:31], v[32:33], v[30:31]
	v_fma_f64 v[28:29], v[28:29], v[32:33], v[28:29]
	v_fma_f64 v[32:33], -v[30:31], v[30:31], v[26:27]
	s_delay_alu instid0(VALU_DEP_1) | instskip(NEXT) | instid1(VALU_DEP_1)
	v_fma_f64 v[30:31], v[32:33], v[28:29], v[30:31]
	v_fma_f64 v[32:33], -v[30:31], v[30:31], v[26:27]
	s_delay_alu instid0(VALU_DEP_1) | instskip(SKIP_2) | instid1(VALU_DEP_1)
	v_fma_f64 v[28:29], v[32:33], v[28:29], v[30:31]
	v_add_f64 v[30:31], v[24:25], v[24:25]
	v_fma_f64 v[32:33], v[22:23], v[22:23], -v[6:7]
	v_fma_f64 v[30:31], v[22:23], v[30:31], v[32:33]
	s_delay_alu instid0(VALU_DEP_1) | instskip(NEXT) | instid1(VALU_DEP_1)
	v_add_f64 v[6:7], v[6:7], v[30:31]
	v_fma_f64 v[30:31], v[6:7], s[24:25], s[22:23]
	s_mov_b32 s22, 0x90a8aae0
	s_mov_b32 s23, 0x3f17746f
	s_delay_alu instid0(VALU_DEP_1) | instid1(SALU_CYCLE_1)
	v_fma_f64 v[30:31], v[6:7], v[30:31], s[22:23]
	s_mov_b32 s22, 0xa6fbf144
	s_mov_b32 s23, 0xbefbb44d
	s_delay_alu instid0(VALU_DEP_1) | instid1(SALU_CYCLE_1)
	v_fma_f64 v[30:31], v[6:7], v[30:31], s[22:23]
	s_mov_b32 s22, 0xa7943acf
	s_mov_b32 s23, 0x3f21e634
	s_delay_alu instid0(VALU_DEP_1) | instid1(SALU_CYCLE_1)
	v_fma_f64 v[30:31], v[6:7], v[30:31], s[22:23]
	s_delay_alu instid0(VALU_DEP_1) | instskip(NEXT) | instid1(VALU_DEP_1)
	v_fma_f64 v[30:31], v[6:7], v[30:31], s[26:27]
	v_fma_f64 v[30:31], v[6:7], v[30:31], s[28:29]
	s_delay_alu instid0(VALU_DEP_1) | instskip(NEXT) | instid1(VALU_DEP_1)
	v_fma_f64 v[30:31], v[6:7], v[30:31], s[30:31]
	;; [unrolled: 3-line block ×5, first 2 shown]
	v_mul_f64 v[6:7], v[6:7], v[30:31]
	s_delay_alu instid0(VALU_DEP_1) | instskip(NEXT) | instid1(VALU_DEP_1)
	v_mul_f64 v[30:31], v[22:23], v[6:7]
	v_fma_f64 v[6:7], v[22:23], v[6:7], -v[30:31]
	s_delay_alu instid0(VALU_DEP_1) | instskip(SKIP_1) | instid1(VALU_DEP_1)
	v_add_f64 v[6:7], v[24:25], v[6:7]
	v_add_f64 v[24:25], v[22:23], v[30:31]
	v_add_f64 v[22:23], v[24:25], -v[22:23]
	s_delay_alu instid0(VALU_DEP_1) | instskip(NEXT) | instid1(VALU_DEP_1)
	v_add_f64 v[22:23], v[30:31], -v[22:23]
	v_add_f64 v[6:7], v[6:7], v[22:23]
	s_delay_alu instid0(VALU_DEP_1) | instskip(NEXT) | instid1(VALU_DEP_1)
	v_add_f64 v[22:23], v[24:25], v[6:7]
	v_rcp_f64_e32 v[30:31], v[22:23]
	v_add_f64 v[24:25], v[22:23], -v[24:25]
	s_delay_alu instid0(VALU_DEP_1) | instskip(SKIP_2) | instid1(VALU_DEP_1)
	v_add_f64 v[6:7], v[6:7], -v[24:25]
	s_waitcnt_depctr 0xfff
	v_fma_f64 v[32:33], -v[22:23], v[30:31], 1.0
	v_fma_f64 v[30:31], v[32:33], v[30:31], v[30:31]
	s_delay_alu instid0(VALU_DEP_1) | instskip(NEXT) | instid1(VALU_DEP_1)
	v_fma_f64 v[32:33], -v[22:23], v[30:31], 1.0
	v_fma_f64 v[30:31], v[32:33], v[30:31], v[30:31]
	s_delay_alu instid0(VALU_DEP_1) | instskip(NEXT) | instid1(VALU_DEP_1)
	v_mul_f64 v[24:25], v[22:23], v[30:31]
	v_fma_f64 v[32:33], v[30:31], v[22:23], -v[24:25]
	s_delay_alu instid0(VALU_DEP_1) | instskip(NEXT) | instid1(VALU_DEP_1)
	v_fma_f64 v[6:7], v[30:31], v[6:7], v[32:33]
	v_add_f64 v[32:33], v[24:25], v[6:7]
	s_delay_alu instid0(VALU_DEP_1) | instskip(NEXT) | instid1(VALU_DEP_1)
	v_add_f64 v[24:25], v[32:33], -v[24:25]
	v_add_f64 v[6:7], v[24:25], -v[6:7]
	v_add_f64 v[24:25], -v[32:33], 1.0
	s_delay_alu instid0(VALU_DEP_1) | instskip(NEXT) | instid1(VALU_DEP_1)
	v_add_f64 v[34:35], -v[24:25], 1.0
	v_add_f64 v[32:33], v[34:35], -v[32:33]
	s_delay_alu instid0(VALU_DEP_1) | instskip(NEXT) | instid1(VALU_DEP_1)
	v_add_f64 v[6:7], v[6:7], v[32:33]
	v_add_f64 v[6:7], v[24:25], v[6:7]
	s_delay_alu instid0(VALU_DEP_1) | instskip(NEXT) | instid1(VALU_DEP_1)
	v_mul_f64 v[6:7], v[30:31], v[6:7]
	v_add_f64 v[6:7], v[30:31], v[6:7]
	s_delay_alu instid0(VALU_DEP_1) | instskip(NEXT) | instid1(VALU_DEP_2)
	v_xor_b32_e32 v7, 0x80000000, v7
	v_cndmask_b32_e64 v6, v6, v22, s0
	s_delay_alu instid0(VALU_DEP_2) | instskip(SKIP_1) | instid1(VALU_DEP_2)
	v_cndmask_b32_e64 v7, v7, v23, s0
	v_ldexp_f64 v[22:23], v[28:29], v17
	v_xor_b32_e32 v7, v7, v36
	s_delay_alu instid0(VALU_DEP_1) | instskip(NEXT) | instid1(VALU_DEP_3)
	v_fma_f64 v[24:25], v[6:7], v[6:7], 1.0
	v_dual_cndmask_b32 v23, v23, v27 :: v_dual_cndmask_b32 v22, v22, v26
	s_delay_alu instid0(VALU_DEP_2) | instskip(NEXT) | instid1(VALU_DEP_2)
	v_mul_f64 v[26:27], v[4:5], v[24:25]
	v_mul_f64 v[22:23], v[22:23], v[24:25]
	s_delay_alu instid0(VALU_DEP_2) | instskip(NEXT) | instid1(VALU_DEP_2)
	v_fma_f64 v[24:25], v[4:5], v[26:27], 1.0
	v_mul_f64 v[4:5], v[4:5], v[22:23]
	s_delay_alu instid0(VALU_DEP_1) | instskip(NEXT) | instid1(VALU_DEP_1)
	v_div_scale_f64 v[22:23], null, v[24:25], v[24:25], v[4:5]
	v_rcp_f64_e32 v[26:27], v[22:23]
	s_waitcnt_depctr 0xfff
	v_fma_f64 v[28:29], -v[22:23], v[26:27], 1.0
	s_delay_alu instid0(VALU_DEP_1) | instskip(NEXT) | instid1(VALU_DEP_1)
	v_fma_f64 v[26:27], v[26:27], v[28:29], v[26:27]
	v_fma_f64 v[28:29], -v[22:23], v[26:27], 1.0
	s_delay_alu instid0(VALU_DEP_1) | instskip(SKIP_1) | instid1(VALU_DEP_1)
	v_fma_f64 v[26:27], v[26:27], v[28:29], v[26:27]
	v_div_scale_f64 v[28:29], vcc_lo, v[4:5], v[24:25], v[4:5]
	v_mul_f64 v[30:31], v[28:29], v[26:27]
	s_delay_alu instid0(VALU_DEP_1) | instskip(NEXT) | instid1(VALU_DEP_1)
	v_fma_f64 v[22:23], -v[22:23], v[30:31], v[28:29]
	v_div_fmas_f64 v[22:23], v[22:23], v[26:27], v[30:31]
	v_div_scale_f64 v[26:27], null, v[24:25], v[24:25], v[6:7]
	s_delay_alu instid0(VALU_DEP_2) | instskip(NEXT) | instid1(VALU_DEP_2)
	v_div_fixup_f64 v[4:5], v[22:23], v[24:25], v[4:5]
	v_rcp_f64_e32 v[28:29], v[26:27]
	s_waitcnt_depctr 0xfff
	v_fma_f64 v[30:31], -v[26:27], v[28:29], 1.0
	s_delay_alu instid0(VALU_DEP_1) | instskip(NEXT) | instid1(VALU_DEP_1)
	v_fma_f64 v[28:29], v[28:29], v[30:31], v[28:29]
	v_fma_f64 v[30:31], -v[26:27], v[28:29], 1.0
	s_delay_alu instid0(VALU_DEP_1) | instskip(SKIP_1) | instid1(VALU_DEP_1)
	v_fma_f64 v[28:29], v[28:29], v[30:31], v[28:29]
	v_div_scale_f64 v[30:31], vcc_lo, v[6:7], v[24:25], v[6:7]
	v_mul_f64 v[32:33], v[30:31], v[28:29]
	s_delay_alu instid0(VALU_DEP_1) | instskip(NEXT) | instid1(VALU_DEP_1)
	v_fma_f64 v[26:27], -v[26:27], v[32:33], v[30:31]
	v_div_fmas_f64 v[26:27], v[26:27], v[28:29], v[32:33]
	s_delay_alu instid0(VALU_DEP_1)
	v_div_fixup_f64 v[6:7], v[26:27], v[24:25], v[6:7]
.LBB162_226:                            ;   in Loop: Header=BB162_180 Depth=1
	s_and_not1_saveexec_b32 s48, s18
	s_cbranch_execz .LBB162_236
; %bb.227:                              ;   in Loop: Header=BB162_180 Depth=1
	s_delay_alu instid0(VALU_DEP_1) | instskip(NEXT) | instid1(VALU_DEP_1)
	v_cmp_ngt_f64_e64 s18, 0x41d00000, |v[6:7]|
                                        ; implicit-def: $vgpr30
                                        ; implicit-def: $vgpr22_vgpr23
                                        ; implicit-def: $vgpr24_vgpr25
	s_and_saveexec_b32 s0, s18
	s_delay_alu instid0(SALU_CYCLE_1)
	s_xor_b32 s4, exec_lo, s0
	s_cbranch_execz .LBB162_229
; %bb.228:                              ;   in Loop: Header=BB162_180 Depth=1
	v_ldexp_f64 v[22:23], |v[6:7]|, 0xffffff80
	v_cmp_le_f64_e64 vcc_lo, 0x7b000000, |v[6:7]|
	v_trig_preop_f64 v[24:25], |v[6:7]|, 0
	v_and_b32_e32 v17, 0x7fffffff, v7
	v_trig_preop_f64 v[28:29], |v[6:7]|, 1
	v_trig_preop_f64 v[32:33], |v[6:7]|, 2
	s_mov_b32 s0, s2
	s_mov_b32 s7, s5
	v_dual_cndmask_b32 v22, v6, v22 :: v_dual_cndmask_b32 v23, v17, v23
	s_delay_alu instid0(VALU_DEP_1) | instskip(NEXT) | instid1(VALU_DEP_4)
	v_mul_f64 v[26:27], v[24:25], v[22:23]
	v_mul_f64 v[30:31], v[28:29], v[22:23]
	s_delay_alu instid0(VALU_DEP_4) | instskip(NEXT) | instid1(VALU_DEP_3)
	v_mul_f64 v[34:35], v[32:33], v[22:23]
	v_fma_f64 v[24:25], v[24:25], v[22:23], -v[26:27]
	s_delay_alu instid0(VALU_DEP_3) | instskip(NEXT) | instid1(VALU_DEP_3)
	v_fma_f64 v[28:29], v[28:29], v[22:23], -v[30:31]
	v_fma_f64 v[22:23], v[32:33], v[22:23], -v[34:35]
	s_delay_alu instid0(VALU_DEP_3) | instskip(NEXT) | instid1(VALU_DEP_1)
	v_add_f64 v[32:33], v[30:31], v[24:25]
	v_add_f64 v[36:37], v[32:33], -v[30:31]
	s_delay_alu instid0(VALU_DEP_1) | instskip(SKIP_1) | instid1(VALU_DEP_1)
	v_add_f64 v[24:25], v[24:25], -v[36:37]
	v_add_f64 v[36:37], v[32:33], -v[36:37]
	;; [unrolled: 1-line block ×3, first 2 shown]
	v_add_f64 v[36:37], v[26:27], v[32:33]
	s_delay_alu instid0(VALU_DEP_2) | instskip(NEXT) | instid1(VALU_DEP_2)
	v_add_f64 v[24:25], v[24:25], v[30:31]
	v_add_f64 v[26:27], v[36:37], -v[26:27]
	v_add_f64 v[30:31], v[34:35], v[28:29]
	v_ldexp_f64 v[36:37], v[36:37], -2
	s_delay_alu instid0(VALU_DEP_3) | instskip(NEXT) | instid1(VALU_DEP_3)
	v_add_f64 v[26:27], v[32:33], -v[26:27]
	v_add_f64 v[32:33], v[30:31], -v[34:35]
	s_delay_alu instid0(VALU_DEP_3) | instskip(SKIP_1) | instid1(VALU_DEP_3)
	v_cmp_neq_f64_e64 vcc_lo, 0x7ff00000, |v[36:37]|
	v_fract_f64_e32 v[36:37], v[36:37]
	v_add_f64 v[28:29], v[28:29], -v[32:33]
	v_add_f64 v[32:33], v[30:31], -v[32:33]
	s_delay_alu instid0(VALU_DEP_3) | instskip(NEXT) | instid1(VALU_DEP_2)
	v_dual_cndmask_b32 v36, 0, v36 :: v_dual_cndmask_b32 v37, 0, v37
	v_add_f64 v[32:33], v[34:35], -v[32:33]
	v_add_f64 v[34:35], v[30:31], v[24:25]
	s_delay_alu instid0(VALU_DEP_2) | instskip(NEXT) | instid1(VALU_DEP_2)
	v_add_f64 v[28:29], v[28:29], v[32:33]
	v_add_f64 v[38:39], v[34:35], -v[30:31]
	v_add_f64 v[32:33], v[26:27], v[34:35]
	s_delay_alu instid0(VALU_DEP_2) | instskip(SKIP_1) | instid1(VALU_DEP_3)
	v_add_f64 v[24:25], v[24:25], -v[38:39]
	v_add_f64 v[38:39], v[34:35], -v[38:39]
	;; [unrolled: 1-line block ×3, first 2 shown]
	s_delay_alu instid0(VALU_DEP_2) | instskip(NEXT) | instid1(VALU_DEP_2)
	v_add_f64 v[30:31], v[30:31], -v[38:39]
	v_add_f64 v[26:27], v[34:35], -v[26:27]
	s_delay_alu instid0(VALU_DEP_2) | instskip(SKIP_1) | instid1(VALU_DEP_2)
	v_add_f64 v[24:25], v[24:25], v[30:31]
	v_ldexp_f64 v[30:31], v[36:37], 2
	v_add_f64 v[24:25], v[28:29], v[24:25]
	s_delay_alu instid0(VALU_DEP_2) | instskip(NEXT) | instid1(VALU_DEP_2)
	v_add_f64 v[36:37], v[32:33], v[30:31]
	v_add_f64 v[22:23], v[22:23], v[24:25]
	s_delay_alu instid0(VALU_DEP_2) | instskip(NEXT) | instid1(VALU_DEP_2)
	v_cmp_gt_f64_e32 vcc_lo, 0, v[36:37]
	v_add_f64 v[22:23], v[26:27], v[22:23]
	v_cndmask_b32_e64 v17, 0, 0x40100000, vcc_lo
	s_delay_alu instid0(VALU_DEP_1) | instskip(NEXT) | instid1(VALU_DEP_1)
	v_add_f64 v[24:25], v[30:31], v[16:17]
	v_add_f64 v[28:29], v[32:33], v[24:25]
	s_delay_alu instid0(VALU_DEP_1) | instskip(NEXT) | instid1(VALU_DEP_1)
	v_cvt_i32_f64_e32 v30, v[28:29]
	v_cvt_f64_i32_e32 v[28:29], v30
	s_delay_alu instid0(VALU_DEP_1) | instskip(NEXT) | instid1(VALU_DEP_1)
	v_add_f64 v[24:25], v[24:25], -v[28:29]
	v_add_f64 v[26:27], v[32:33], v[24:25]
	s_delay_alu instid0(VALU_DEP_1) | instskip(SKIP_1) | instid1(VALU_DEP_2)
	v_add_f64 v[24:25], v[26:27], -v[24:25]
	v_cmp_le_f64_e32 vcc_lo, 0.5, v[26:27]
	v_add_f64 v[24:25], v[32:33], -v[24:25]
	v_cndmask_b32_e64 v17, 0, 0x3ff00000, vcc_lo
	v_add_co_ci_u32_e32 v30, vcc_lo, 0, v30, vcc_lo
	s_delay_alu instid0(VALU_DEP_2) | instskip(NEXT) | instid1(VALU_DEP_4)
	v_add_f64 v[26:27], v[26:27], -v[16:17]
	v_add_f64 v[22:23], v[22:23], v[24:25]
	s_delay_alu instid0(VALU_DEP_1) | instskip(NEXT) | instid1(VALU_DEP_1)
	v_add_f64 v[24:25], v[26:27], v[22:23]
	v_add_f64 v[26:27], v[24:25], -v[26:27]
	s_delay_alu instid0(VALU_DEP_1) | instskip(SKIP_1) | instid1(VALU_DEP_1)
	v_add_f64 v[22:23], v[22:23], -v[26:27]
	v_mul_f64 v[26:27], v[24:25], s[0:1]
	v_fma_f64 v[28:29], v[24:25], s[0:1], -v[26:27]
	s_delay_alu instid0(VALU_DEP_1) | instskip(NEXT) | instid1(VALU_DEP_1)
	v_fma_f64 v[24:25], v[24:25], s[6:7], v[28:29]
	v_fma_f64 v[24:25], v[22:23], s[0:1], v[24:25]
	s_delay_alu instid0(VALU_DEP_1) | instskip(NEXT) | instid1(VALU_DEP_1)
	v_add_f64 v[22:23], v[26:27], v[24:25]
	v_add_f64 v[26:27], v[22:23], -v[26:27]
	s_delay_alu instid0(VALU_DEP_1)
	v_add_f64 v[24:25], v[24:25], -v[26:27]
	s_and_not1_saveexec_b32 s0, s4
	s_cbranch_execz .LBB162_231
	s_branch .LBB162_230
.LBB162_229:                            ;   in Loop: Header=BB162_180 Depth=1
	s_and_not1_saveexec_b32 s0, s4
	s_cbranch_execz .LBB162_231
.LBB162_230:                            ;   in Loop: Header=BB162_180 Depth=1
	v_mul_f64 v[22:23], |v[6:7]|, s[10:11]
	s_mov_b32 s4, s14
	s_delay_alu instid0(VALU_DEP_1) | instskip(NEXT) | instid1(VALU_DEP_1)
	v_rndne_f64_e32 v[26:27], v[22:23]
	v_fma_f64 v[22:23], v[26:27], s[2:3], |v[6:7]|
	v_mul_f64 v[24:25], v[26:27], s[14:15]
	s_delay_alu instid0(VALU_DEP_2) | instskip(NEXT) | instid1(VALU_DEP_2)
	v_fma_f64 v[30:31], v[26:27], s[14:15], v[22:23]
	v_add_f64 v[28:29], v[22:23], v[24:25]
	s_delay_alu instid0(VALU_DEP_1) | instskip(NEXT) | instid1(VALU_DEP_3)
	v_add_f64 v[22:23], v[22:23], -v[28:29]
	v_add_f64 v[28:29], v[28:29], -v[30:31]
	s_delay_alu instid0(VALU_DEP_2) | instskip(SKIP_1) | instid1(VALU_DEP_2)
	v_add_f64 v[22:23], v[22:23], v[24:25]
	v_fma_f64 v[24:25], v[26:27], s[4:5], v[24:25]
	v_add_f64 v[22:23], v[28:29], v[22:23]
	s_delay_alu instid0(VALU_DEP_1) | instskip(NEXT) | instid1(VALU_DEP_1)
	v_add_f64 v[22:23], v[22:23], -v[24:25]
	v_fma_f64 v[24:25], v[26:27], s[16:17], v[22:23]
	s_delay_alu instid0(VALU_DEP_1) | instskip(NEXT) | instid1(VALU_DEP_1)
	v_add_f64 v[22:23], v[30:31], v[24:25]
	v_add_f64 v[28:29], v[22:23], -v[30:31]
	v_cvt_i32_f64_e32 v30, v[26:27]
	s_delay_alu instid0(VALU_DEP_2)
	v_add_f64 v[24:25], v[24:25], -v[28:29]
.LBB162_231:                            ;   in Loop: Header=BB162_180 Depth=1
	s_or_b32 exec_lo, exec_lo, s0
                                        ; implicit-def: $vgpr17
                                        ; implicit-def: $vgpr26_vgpr27
                                        ; implicit-def: $vgpr28_vgpr29
	s_and_saveexec_b32 s0, s18
	s_delay_alu instid0(SALU_CYCLE_1)
	s_xor_b32 s4, exec_lo, s0
	s_cbranch_execz .LBB162_233
; %bb.232:                              ;   in Loop: Header=BB162_180 Depth=1
	v_ldexp_f64 v[26:27], |v[6:7]|, 0xffffff80
	v_cmp_le_f64_e64 vcc_lo, 0x7b000000, |v[6:7]|
	v_trig_preop_f64 v[28:29], |v[6:7]|, 0
	v_and_b32_e32 v17, 0x7fffffff, v7
	v_trig_preop_f64 v[33:34], |v[6:7]|, 1
	v_trig_preop_f64 v[37:38], |v[6:7]|, 2
	s_mov_b32 s0, s2
	s_mov_b32 s7, s5
	v_dual_cndmask_b32 v26, v6, v26 :: v_dual_cndmask_b32 v27, v17, v27
	s_delay_alu instid0(VALU_DEP_1) | instskip(NEXT) | instid1(VALU_DEP_4)
	v_mul_f64 v[31:32], v[28:29], v[26:27]
	v_mul_f64 v[35:36], v[33:34], v[26:27]
	s_delay_alu instid0(VALU_DEP_4) | instskip(NEXT) | instid1(VALU_DEP_3)
	v_mul_f64 v[39:40], v[37:38], v[26:27]
	v_fma_f64 v[28:29], v[28:29], v[26:27], -v[31:32]
	s_delay_alu instid0(VALU_DEP_3) | instskip(NEXT) | instid1(VALU_DEP_3)
	v_fma_f64 v[33:34], v[33:34], v[26:27], -v[35:36]
	v_fma_f64 v[26:27], v[37:38], v[26:27], -v[39:40]
	s_delay_alu instid0(VALU_DEP_3) | instskip(NEXT) | instid1(VALU_DEP_1)
	v_add_f64 v[37:38], v[35:36], v[28:29]
	v_add_f64 v[41:42], v[37:38], -v[35:36]
	s_delay_alu instid0(VALU_DEP_1) | instskip(SKIP_1) | instid1(VALU_DEP_1)
	v_add_f64 v[28:29], v[28:29], -v[41:42]
	v_add_f64 v[41:42], v[37:38], -v[41:42]
	;; [unrolled: 1-line block ×3, first 2 shown]
	v_add_f64 v[41:42], v[31:32], v[37:38]
	s_delay_alu instid0(VALU_DEP_2) | instskip(NEXT) | instid1(VALU_DEP_2)
	v_add_f64 v[28:29], v[28:29], v[35:36]
	v_add_f64 v[31:32], v[41:42], -v[31:32]
	v_add_f64 v[35:36], v[39:40], v[33:34]
	v_ldexp_f64 v[41:42], v[41:42], -2
	s_delay_alu instid0(VALU_DEP_3) | instskip(NEXT) | instid1(VALU_DEP_3)
	v_add_f64 v[31:32], v[37:38], -v[31:32]
	v_add_f64 v[37:38], v[35:36], -v[39:40]
	s_delay_alu instid0(VALU_DEP_3) | instskip(SKIP_1) | instid1(VALU_DEP_3)
	v_cmp_neq_f64_e64 vcc_lo, 0x7ff00000, |v[41:42]|
	v_fract_f64_e32 v[41:42], v[41:42]
	v_add_f64 v[33:34], v[33:34], -v[37:38]
	v_add_f64 v[37:38], v[35:36], -v[37:38]
	s_delay_alu instid0(VALU_DEP_3) | instskip(NEXT) | instid1(VALU_DEP_2)
	v_dual_cndmask_b32 v42, 0, v42 :: v_dual_cndmask_b32 v41, 0, v41
	v_add_f64 v[37:38], v[39:40], -v[37:38]
	v_add_f64 v[39:40], v[35:36], v[28:29]
	s_delay_alu instid0(VALU_DEP_2) | instskip(NEXT) | instid1(VALU_DEP_2)
	v_add_f64 v[33:34], v[33:34], v[37:38]
	v_add_f64 v[43:44], v[39:40], -v[35:36]
	v_add_f64 v[37:38], v[31:32], v[39:40]
	s_delay_alu instid0(VALU_DEP_2) | instskip(SKIP_1) | instid1(VALU_DEP_3)
	v_add_f64 v[28:29], v[28:29], -v[43:44]
	v_add_f64 v[43:44], v[39:40], -v[43:44]
	;; [unrolled: 1-line block ×3, first 2 shown]
	s_delay_alu instid0(VALU_DEP_2) | instskip(NEXT) | instid1(VALU_DEP_2)
	v_add_f64 v[35:36], v[35:36], -v[43:44]
	v_add_f64 v[31:32], v[39:40], -v[31:32]
	s_delay_alu instid0(VALU_DEP_2) | instskip(SKIP_1) | instid1(VALU_DEP_2)
	v_add_f64 v[28:29], v[28:29], v[35:36]
	v_ldexp_f64 v[35:36], v[41:42], 2
	v_add_f64 v[28:29], v[33:34], v[28:29]
	s_delay_alu instid0(VALU_DEP_2) | instskip(NEXT) | instid1(VALU_DEP_2)
	v_add_f64 v[41:42], v[37:38], v[35:36]
	v_add_f64 v[26:27], v[26:27], v[28:29]
	s_delay_alu instid0(VALU_DEP_2) | instskip(NEXT) | instid1(VALU_DEP_2)
	v_cmp_gt_f64_e32 vcc_lo, 0, v[41:42]
	v_add_f64 v[26:27], v[31:32], v[26:27]
	v_cndmask_b32_e64 v17, 0, 0x40100000, vcc_lo
	s_delay_alu instid0(VALU_DEP_1) | instskip(NEXT) | instid1(VALU_DEP_1)
	v_add_f64 v[28:29], v[35:36], v[16:17]
	v_add_f64 v[33:34], v[37:38], v[28:29]
	s_delay_alu instid0(VALU_DEP_1) | instskip(NEXT) | instid1(VALU_DEP_1)
	v_cvt_i32_f64_e32 v35, v[33:34]
	v_cvt_f64_i32_e32 v[33:34], v35
	s_delay_alu instid0(VALU_DEP_1) | instskip(NEXT) | instid1(VALU_DEP_1)
	v_add_f64 v[28:29], v[28:29], -v[33:34]
	v_add_f64 v[31:32], v[37:38], v[28:29]
	s_delay_alu instid0(VALU_DEP_1) | instskip(SKIP_1) | instid1(VALU_DEP_2)
	v_add_f64 v[28:29], v[31:32], -v[28:29]
	v_cmp_le_f64_e32 vcc_lo, 0.5, v[31:32]
	v_add_f64 v[28:29], v[37:38], -v[28:29]
	v_cndmask_b32_e64 v17, 0, 0x3ff00000, vcc_lo
	s_delay_alu instid0(VALU_DEP_1) | instskip(SKIP_1) | instid1(VALU_DEP_4)
	v_add_f64 v[31:32], v[31:32], -v[16:17]
	v_add_co_ci_u32_e32 v17, vcc_lo, 0, v35, vcc_lo
	v_add_f64 v[26:27], v[26:27], v[28:29]
	s_delay_alu instid0(VALU_DEP_1) | instskip(NEXT) | instid1(VALU_DEP_1)
	v_add_f64 v[28:29], v[31:32], v[26:27]
	v_add_f64 v[31:32], v[28:29], -v[31:32]
	s_delay_alu instid0(VALU_DEP_1) | instskip(SKIP_1) | instid1(VALU_DEP_1)
	v_add_f64 v[26:27], v[26:27], -v[31:32]
	v_mul_f64 v[31:32], v[28:29], s[0:1]
	v_fma_f64 v[33:34], v[28:29], s[0:1], -v[31:32]
	s_delay_alu instid0(VALU_DEP_1) | instskip(NEXT) | instid1(VALU_DEP_1)
	v_fma_f64 v[28:29], v[28:29], s[6:7], v[33:34]
	v_fma_f64 v[28:29], v[26:27], s[0:1], v[28:29]
	s_delay_alu instid0(VALU_DEP_1) | instskip(NEXT) | instid1(VALU_DEP_1)
	v_add_f64 v[26:27], v[31:32], v[28:29]
	v_add_f64 v[31:32], v[26:27], -v[31:32]
	s_delay_alu instid0(VALU_DEP_1)
	v_add_f64 v[28:29], v[28:29], -v[31:32]
	s_and_not1_saveexec_b32 s0, s4
	s_cbranch_execnz .LBB162_234
	s_branch .LBB162_235
.LBB162_233:                            ;   in Loop: Header=BB162_180 Depth=1
	s_and_not1_saveexec_b32 s0, s4
	s_cbranch_execz .LBB162_235
.LBB162_234:                            ;   in Loop: Header=BB162_180 Depth=1
	v_mul_f64 v[26:27], |v[6:7]|, s[10:11]
	s_mov_b32 s4, s14
	s_delay_alu instid0(VALU_DEP_1) | instskip(NEXT) | instid1(VALU_DEP_1)
	v_rndne_f64_e32 v[31:32], v[26:27]
	v_fma_f64 v[26:27], v[31:32], s[2:3], |v[6:7]|
	v_mul_f64 v[28:29], v[31:32], s[14:15]
	v_cvt_i32_f64_e32 v17, v[31:32]
	s_delay_alu instid0(VALU_DEP_3) | instskip(NEXT) | instid1(VALU_DEP_3)
	v_fma_f64 v[35:36], v[31:32], s[14:15], v[26:27]
	v_add_f64 v[33:34], v[26:27], v[28:29]
	s_delay_alu instid0(VALU_DEP_1) | instskip(NEXT) | instid1(VALU_DEP_3)
	v_add_f64 v[26:27], v[26:27], -v[33:34]
	v_add_f64 v[33:34], v[33:34], -v[35:36]
	s_delay_alu instid0(VALU_DEP_2) | instskip(SKIP_1) | instid1(VALU_DEP_2)
	v_add_f64 v[26:27], v[26:27], v[28:29]
	v_fma_f64 v[28:29], v[31:32], s[4:5], v[28:29]
	v_add_f64 v[26:27], v[33:34], v[26:27]
	s_delay_alu instid0(VALU_DEP_1) | instskip(NEXT) | instid1(VALU_DEP_1)
	v_add_f64 v[26:27], v[26:27], -v[28:29]
	v_fma_f64 v[28:29], v[31:32], s[16:17], v[26:27]
	s_delay_alu instid0(VALU_DEP_1) | instskip(NEXT) | instid1(VALU_DEP_1)
	v_add_f64 v[26:27], v[35:36], v[28:29]
	v_add_f64 v[33:34], v[26:27], -v[35:36]
	s_delay_alu instid0(VALU_DEP_1)
	v_add_f64 v[28:29], v[28:29], -v[33:34]
.LBB162_235:                            ;   in Loop: Header=BB162_180 Depth=1
	s_or_b32 exec_lo, exec_lo, s0
	v_mul_f64 v[31:32], |v[4:5]|, s[54:55]
	v_mul_f64 v[37:38], v[22:23], v[22:23]
	v_mul_f64 v[39:40], v[26:27], v[26:27]
	s_delay_alu instid0(VALU_DEP_4)
	v_mul_f64 v[55:56], v[24:25], 0.5
	v_mul_f64 v[63:64], v[28:29], 0.5
	s_mov_b32 s103, s73
	s_mov_b32 s75, s13
	;; [unrolled: 1-line block ×4, first 2 shown]
	v_rndne_f64_e32 v[31:32], v[31:32]
	v_fma_f64 v[41:42], v[37:38], s[94:95], s[92:93]
	v_fma_f64 v[43:44], v[39:40], s[94:95], s[92:93]
	v_fma_f64 v[45:46], v[37:38], s[84:85], s[82:83]
	v_mul_f64 v[47:48], v[37:38], 0.5
	v_mul_f64 v[49:50], v[39:40], 0.5
	v_fma_f64 v[51:52], v[39:40], s[84:85], s[82:83]
	v_mul_f64 v[57:58], v[22:23], -v[37:38]
	v_mul_f64 v[65:66], v[26:27], -v[39:40]
	v_fma_f64 v[33:34], v[31:32], s[46:47], -|v[4:5]|
	v_fma_f64 v[41:42], v[37:38], v[41:42], s[96:97]
	v_fma_f64 v[43:44], v[39:40], v[43:44], s[96:97]
	;; [unrolled: 1-line block ×3, first 2 shown]
	v_add_f64 v[53:54], -v[47:48], 1.0
	v_add_f64 v[59:60], -v[49:50], 1.0
	v_fma_f64 v[51:52], v[39:40], v[51:52], s[86:87]
	v_fma_f64 v[33:34], v[31:32], s[50:51], v[33:34]
	;; [unrolled: 1-line block ×5, first 2 shown]
	v_add_f64 v[61:62], -v[53:54], 1.0
	v_add_f64 v[67:68], -v[59:60], 1.0
	v_fma_f64 v[51:52], v[39:40], v[51:52], s[88:89]
	v_fma_f64 v[35:36], v[33:34], s[62:63], s[60:61]
	;; [unrolled: 1-line block ×5, first 2 shown]
	v_add_f64 v[47:48], v[61:62], -v[47:48]
	v_add_f64 v[49:50], v[67:68], -v[49:50]
	v_fma_f64 v[51:52], v[39:40], v[51:52], s[90:91]
	v_fma_f64 v[35:36], v[33:34], v[35:36], s[64:65]
	v_fma_f64 v[41:42], v[57:58], v[41:42], v[55:56]
	v_fma_f64 v[43:44], v[65:66], v[43:44], v[63:64]
	v_mul_f64 v[55:56], v[37:38], v[37:38]
	v_fma_f64 v[45:46], v[37:38], v[45:46], s[12:13]
	v_fma_f64 v[47:48], v[22:23], -v[24:25], v[47:48]
	v_fma_f64 v[35:36], v[33:34], v[35:36], s[66:67]
	v_fma_f64 v[24:25], v[37:38], v[41:42], -v[24:25]
	v_fma_f64 v[37:38], v[39:40], v[43:44], -v[28:29]
	v_mul_f64 v[41:42], v[39:40], v[39:40]
	v_fma_f64 v[39:40], v[39:40], v[51:52], s[12:13]
	v_fma_f64 v[28:29], v[26:27], -v[28:29], v[49:50]
	v_fma_f64 v[43:44], v[55:56], v[45:46], v[47:48]
	v_fma_f64 v[35:36], v[33:34], v[35:36], s[68:69]
	;; [unrolled: 1-line block ×5, first 2 shown]
	v_add_f64 v[39:40], v[53:54], v[43:44]
	v_fma_f64 v[35:36], v[33:34], v[35:36], s[70:71]
	v_add_f64 v[22:23], v[22:23], -v[24:25]
	v_add_f64 v[26:27], v[26:27], -v[37:38]
	v_lshlrev_b32_e32 v6, 30, v30
	s_delay_alu instid0(VALU_DEP_4) | instskip(NEXT) | instid1(VALU_DEP_3)
	v_fma_f64 v[35:36], v[33:34], v[35:36], s[102:103]
	v_xor_b32_e32 v27, 0x80000000, v27
	v_and_b32_e32 v30, 1, v30
	s_delay_alu instid0(VALU_DEP_1) | instskip(SKIP_2) | instid1(VALU_DEP_1)
	v_cmp_eq_u32_e32 vcc_lo, 0, v30
	v_dual_cndmask_b32 v23, v40, v23 :: v_dual_cndmask_b32 v22, v39, v22
	v_fma_f64 v[35:36], v[33:34], v[35:36], s[74:75]
	v_fma_f64 v[35:36], v[33:34], v[35:36], s[76:77]
	s_delay_alu instid0(VALU_DEP_1) | instskip(NEXT) | instid1(VALU_DEP_1)
	v_fma_f64 v[35:36], v[33:34], v[35:36], s[78:79]
	v_fma_f64 v[24:25], v[33:34], v[35:36], 1.0
	v_xor_b32_e32 v35, v6, v7
	v_add_f64 v[6:7], v[59:60], v[28:29]
	v_cvt_i32_f64_e32 v29, v[31:32]
	s_delay_alu instid0(VALU_DEP_4) | instskip(NEXT) | instid1(VALU_DEP_1)
	v_fma_f64 v[24:25], v[33:34], v[24:25], 1.0
	v_ldexp_f64 v[24:25], v[24:25], v29
	v_and_b32_e32 v28, 0x80000000, v35
	s_delay_alu instid0(VALU_DEP_1) | instskip(SKIP_2) | instid1(VALU_DEP_3)
	v_xor_b32_e32 v23, v23, v28
	v_and_b32_e32 v28, 1, v17
	v_lshlrev_b32_e32 v17, 30, v17
	v_mul_f64 v[22:23], v[22:23], 4.0
	s_delay_alu instid0(VALU_DEP_3) | instskip(NEXT) | instid1(VALU_DEP_3)
	v_cmp_eq_u32_e32 vcc_lo, 0, v28
	v_dual_cndmask_b32 v6, v26, v6 :: v_dual_and_b32 v17, 0x80000000, v17
	v_cndmask_b32_e32 v7, v27, v7, vcc_lo
	v_cmp_nlt_f64_e64 vcc_lo, 0x4090cc00, |v[4:5]|
	s_delay_alu instid0(VALU_DEP_2) | instskip(SKIP_1) | instid1(VALU_DEP_1)
	v_xor_b32_e32 v7, v7, v17
	v_bfi_b32 v17, 0x7fffffff, s0, v5
	v_dual_mov_b32 v4, v16 :: v_dual_mov_b32 v5, v17
	s_delay_alu instid0(VALU_DEP_3) | instskip(SKIP_1) | instid1(VALU_DEP_1)
	v_mul_f64 v[6:7], v[22:23], v[6:7]
	v_dual_cndmask_b32 v23, 0, v25 :: v_dual_cndmask_b32 v22, 0, v24
	v_mul_f64 v[6:7], v[22:23], v[6:7]
	s_delay_alu instid0(VALU_DEP_1)
	v_mul_f64 v[6:7], v[22:23], v[6:7]
.LBB162_236:                            ;   in Loop: Header=BB162_180 Depth=1
	s_or_b32 exec_lo, exec_lo, s48
.LBB162_237:                            ;   in Loop: Header=BB162_180 Depth=1
	s_and_not1_saveexec_b32 s0, s21
; %bb.238:                              ;   in Loop: Header=BB162_180 Depth=1
	s_delay_alu instid0(VALU_DEP_1) | instskip(NEXT) | instid1(VALU_DEP_1)
	v_add_f64 v[6:7], v[6:7], -v[6:7]
	v_dual_mov_b32 v4, v6 :: v_dual_mov_b32 v5, v7
; %bb.239:                              ;   in Loop: Header=BB162_180 Depth=1
	s_or_b32 exec_lo, exec_lo, s0
.LBB162_240:                            ;   in Loop: Header=BB162_180 Depth=1
	s_and_not1_saveexec_b32 s20, s20
	s_cbranch_execz .LBB162_256
; %bb.241:                              ;   in Loop: Header=BB162_180 Depth=1
	s_delay_alu instid0(VALU_DEP_1) | instskip(SKIP_1) | instid1(VALU_DEP_1)
	v_and_or_b32 v17, 0xfffff, v5, v4
	s_mov_b32 s0, exec_lo
	v_cmpx_ne_u32_e32 0, v17
	s_xor_b32 s0, exec_lo, s0
; %bb.242:                              ;   in Loop: Header=BB162_180 Depth=1
	v_mul_f64 v[22:23], v[4:5], v[6:7]
	v_cmp_eq_f64_e32 vcc_lo, 0, v[6:7]
	s_delay_alu instid0(VALU_DEP_2)
	v_dual_cndmask_b32 v7, v23, v7 :: v_dual_cndmask_b32 v6, v22, v6
; %bb.243:                              ;   in Loop: Header=BB162_180 Depth=1
	s_and_not1_saveexec_b32 s21, s0
	s_cbranch_execz .LBB162_255
; %bb.244:                              ;   in Loop: Header=BB162_180 Depth=1
	s_mov_b32 s48, exec_lo
	s_delay_alu instid0(VALU_DEP_1)
	v_cmpx_neq_f64_e64 0x7ff00000, |v[6:7]|
	s_cbranch_execz .LBB162_254
; %bb.245:                              ;   in Loop: Header=BB162_180 Depth=1
	v_cmp_ngt_f64_e64 s18, 0x41d00000, |v[6:7]|
	v_trig_preop_f64 v[30:31], |v[6:7]|, 0
	v_trig_preop_f64 v[28:29], |v[6:7]|, 1
	v_ldexp_f64 v[32:33], |v[6:7]|, 0xffffff80
	v_trig_preop_f64 v[26:27], |v[6:7]|, 2
	v_and_b32_e32 v39, 0x7fffffff, v7
                                        ; implicit-def: $vgpr38
                                        ; implicit-def: $vgpr22_vgpr23
                                        ; implicit-def: $vgpr24_vgpr25
	s_and_saveexec_b32 s0, s18
	s_delay_alu instid0(SALU_CYCLE_1)
	s_xor_b32 s4, exec_lo, s0
	s_cbranch_execz .LBB162_247
; %bb.246:                              ;   in Loop: Header=BB162_180 Depth=1
	v_cmp_le_f64_e64 vcc_lo, 0x7b000000, |v[6:7]|
	s_mov_b32 s0, s2
	s_mov_b32 s7, s5
	s_delay_alu instid0(VALU_DEP_4) | instskip(NEXT) | instid1(VALU_DEP_1)
	v_dual_cndmask_b32 v23, v39, v33 :: v_dual_cndmask_b32 v22, v6, v32
	v_mul_f64 v[24:25], v[30:31], v[22:23]
	v_mul_f64 v[34:35], v[28:29], v[22:23]
	s_delay_alu instid0(VALU_DEP_2) | instskip(NEXT) | instid1(VALU_DEP_1)
	v_fma_f64 v[36:37], v[30:31], v[22:23], -v[24:25]
	v_add_f64 v[40:41], v[34:35], v[36:37]
	s_delay_alu instid0(VALU_DEP_1) | instskip(SKIP_1) | instid1(VALU_DEP_2)
	v_add_f64 v[42:43], v[40:41], -v[34:35]
	v_add_f64 v[44:45], v[24:25], v[40:41]
	v_add_f64 v[36:37], v[36:37], -v[42:43]
	s_delay_alu instid0(VALU_DEP_2) | instskip(SKIP_1) | instid1(VALU_DEP_2)
	v_add_f64 v[24:25], v[44:45], -v[24:25]
	v_add_f64 v[42:43], v[40:41], -v[42:43]
	;; [unrolled: 1-line block ×3, first 2 shown]
	s_delay_alu instid0(VALU_DEP_2) | instskip(SKIP_2) | instid1(VALU_DEP_3)
	v_add_f64 v[40:41], v[34:35], -v[42:43]
	v_fma_f64 v[34:35], v[28:29], v[22:23], -v[34:35]
	v_mul_f64 v[42:43], v[26:27], v[22:23]
	v_add_f64 v[36:37], v[36:37], v[40:41]
	v_ldexp_f64 v[40:41], v[44:45], -2
	s_delay_alu instid0(VALU_DEP_3) | instskip(SKIP_1) | instid1(VALU_DEP_3)
	v_add_f64 v[44:45], v[42:43], v[34:35]
	v_fma_f64 v[22:23], v[26:27], v[22:23], -v[42:43]
	v_cmp_neq_f64_e64 vcc_lo, 0x7ff00000, |v[40:41]|
	s_delay_alu instid0(VALU_DEP_3) | instskip(SKIP_2) | instid1(VALU_DEP_3)
	v_add_f64 v[48:49], v[44:45], v[36:37]
	v_add_f64 v[46:47], v[44:45], -v[42:43]
	v_fract_f64_e32 v[40:41], v[40:41]
	v_add_f64 v[50:51], v[48:49], -v[44:45]
	s_delay_alu instid0(VALU_DEP_3) | instskip(SKIP_1) | instid1(VALU_DEP_4)
	v_add_f64 v[34:35], v[34:35], -v[46:47]
	v_add_f64 v[46:47], v[44:45], -v[46:47]
	v_dual_cndmask_b32 v41, 0, v41 :: v_dual_cndmask_b32 v40, 0, v40
	s_delay_alu instid0(VALU_DEP_1) | instskip(SKIP_4) | instid1(VALU_DEP_3)
	v_ldexp_f64 v[40:41], v[40:41], 2
	v_add_f64 v[36:37], v[36:37], -v[50:51]
	v_add_f64 v[50:51], v[48:49], -v[50:51]
	;; [unrolled: 1-line block ×3, first 2 shown]
	v_add_f64 v[42:43], v[24:25], v[48:49]
	v_add_f64 v[44:45], v[44:45], -v[50:51]
	s_delay_alu instid0(VALU_DEP_3) | instskip(NEXT) | instid1(VALU_DEP_3)
	v_add_f64 v[34:35], v[34:35], v[46:47]
	v_add_f64 v[24:25], v[42:43], -v[24:25]
	s_delay_alu instid0(VALU_DEP_3) | instskip(SKIP_1) | instid1(VALU_DEP_3)
	v_add_f64 v[36:37], v[36:37], v[44:45]
	v_add_f64 v[44:45], v[42:43], v[40:41]
	v_add_f64 v[24:25], v[48:49], -v[24:25]
	s_delay_alu instid0(VALU_DEP_3) | instskip(NEXT) | instid1(VALU_DEP_3)
	v_add_f64 v[34:35], v[34:35], v[36:37]
	v_cmp_gt_f64_e32 vcc_lo, 0, v[44:45]
	s_delay_alu instid0(VALU_DEP_2) | instskip(SKIP_1) | instid1(VALU_DEP_1)
	v_add_f64 v[22:23], v[22:23], v[34:35]
	v_cndmask_b32_e64 v17, 0, 0x40100000, vcc_lo
	v_add_f64 v[34:35], v[40:41], v[16:17]
	s_delay_alu instid0(VALU_DEP_3) | instskip(NEXT) | instid1(VALU_DEP_2)
	v_add_f64 v[22:23], v[24:25], v[22:23]
	v_add_f64 v[36:37], v[42:43], v[34:35]
	s_delay_alu instid0(VALU_DEP_1) | instskip(NEXT) | instid1(VALU_DEP_1)
	v_cvt_i32_f64_e32 v38, v[36:37]
	v_cvt_f64_i32_e32 v[36:37], v38
	s_delay_alu instid0(VALU_DEP_1) | instskip(NEXT) | instid1(VALU_DEP_1)
	v_add_f64 v[34:35], v[34:35], -v[36:37]
	v_add_f64 v[24:25], v[42:43], v[34:35]
	s_delay_alu instid0(VALU_DEP_1) | instskip(SKIP_1) | instid1(VALU_DEP_2)
	v_add_f64 v[34:35], v[24:25], -v[34:35]
	v_cmp_le_f64_e32 vcc_lo, 0.5, v[24:25]
	v_add_f64 v[34:35], v[42:43], -v[34:35]
	v_cndmask_b32_e64 v17, 0, 0x3ff00000, vcc_lo
	v_add_co_ci_u32_e32 v38, vcc_lo, 0, v38, vcc_lo
	s_delay_alu instid0(VALU_DEP_2) | instskip(NEXT) | instid1(VALU_DEP_4)
	v_add_f64 v[24:25], v[24:25], -v[16:17]
	v_add_f64 v[22:23], v[22:23], v[34:35]
	s_delay_alu instid0(VALU_DEP_1) | instskip(NEXT) | instid1(VALU_DEP_1)
	v_add_f64 v[34:35], v[24:25], v[22:23]
	v_add_f64 v[24:25], v[34:35], -v[24:25]
	s_delay_alu instid0(VALU_DEP_1) | instskip(SKIP_1) | instid1(VALU_DEP_1)
	v_add_f64 v[22:23], v[22:23], -v[24:25]
	v_mul_f64 v[24:25], v[34:35], s[0:1]
	v_fma_f64 v[36:37], v[34:35], s[0:1], -v[24:25]
	s_delay_alu instid0(VALU_DEP_1) | instskip(NEXT) | instid1(VALU_DEP_1)
	v_fma_f64 v[34:35], v[34:35], s[6:7], v[36:37]
	v_fma_f64 v[34:35], v[22:23], s[0:1], v[34:35]
	s_delay_alu instid0(VALU_DEP_1) | instskip(NEXT) | instid1(VALU_DEP_1)
	v_add_f64 v[22:23], v[24:25], v[34:35]
	v_add_f64 v[24:25], v[22:23], -v[24:25]
	s_delay_alu instid0(VALU_DEP_1)
	v_add_f64 v[24:25], v[34:35], -v[24:25]
	s_and_not1_saveexec_b32 s0, s4
	s_cbranch_execz .LBB162_249
	s_branch .LBB162_248
.LBB162_247:                            ;   in Loop: Header=BB162_180 Depth=1
	s_and_not1_saveexec_b32 s0, s4
	s_cbranch_execz .LBB162_249
.LBB162_248:                            ;   in Loop: Header=BB162_180 Depth=1
	v_mul_f64 v[22:23], |v[6:7]|, s[10:11]
	s_mov_b32 s4, s14
	s_delay_alu instid0(VALU_DEP_1) | instskip(NEXT) | instid1(VALU_DEP_1)
	v_rndne_f64_e32 v[34:35], v[22:23]
	v_fma_f64 v[22:23], v[34:35], s[2:3], |v[6:7]|
	v_mul_f64 v[24:25], v[34:35], s[14:15]
	v_cvt_i32_f64_e32 v38, v[34:35]
	s_delay_alu instid0(VALU_DEP_3) | instskip(NEXT) | instid1(VALU_DEP_3)
	v_fma_f64 v[40:41], v[34:35], s[14:15], v[22:23]
	v_add_f64 v[36:37], v[22:23], v[24:25]
	s_delay_alu instid0(VALU_DEP_1) | instskip(NEXT) | instid1(VALU_DEP_3)
	v_add_f64 v[22:23], v[22:23], -v[36:37]
	v_add_f64 v[36:37], v[36:37], -v[40:41]
	s_delay_alu instid0(VALU_DEP_2) | instskip(SKIP_1) | instid1(VALU_DEP_2)
	v_add_f64 v[22:23], v[22:23], v[24:25]
	v_fma_f64 v[24:25], v[34:35], s[4:5], v[24:25]
	v_add_f64 v[22:23], v[36:37], v[22:23]
	s_delay_alu instid0(VALU_DEP_1) | instskip(NEXT) | instid1(VALU_DEP_1)
	v_add_f64 v[22:23], v[22:23], -v[24:25]
	v_fma_f64 v[24:25], v[34:35], s[16:17], v[22:23]
	s_delay_alu instid0(VALU_DEP_1) | instskip(NEXT) | instid1(VALU_DEP_1)
	v_add_f64 v[22:23], v[40:41], v[24:25]
	v_add_f64 v[36:37], v[22:23], -v[40:41]
	s_delay_alu instid0(VALU_DEP_1)
	v_add_f64 v[24:25], v[24:25], -v[36:37]
.LBB162_249:                            ;   in Loop: Header=BB162_180 Depth=1
	s_or_b32 exec_lo, exec_lo, s0
                                        ; implicit-def: $vgpr17
                                        ; implicit-def: $vgpr34_vgpr35
                                        ; implicit-def: $vgpr36_vgpr37
	s_and_saveexec_b32 s0, s18
	s_delay_alu instid0(SALU_CYCLE_1)
	s_xor_b32 s4, exec_lo, s0
	s_cbranch_execz .LBB162_251
; %bb.250:                              ;   in Loop: Header=BB162_180 Depth=1
	v_cmp_le_f64_e64 vcc_lo, 0x7b000000, |v[6:7]|
	s_mov_b32 s0, s2
	s_mov_b32 s7, s5
	s_delay_alu instid0(VALU_DEP_4) | instskip(NEXT) | instid1(VALU_DEP_1)
	v_dual_cndmask_b32 v33, v39, v33 :: v_dual_cndmask_b32 v32, v6, v32
	v_mul_f64 v[34:35], v[30:31], v[32:33]
	v_mul_f64 v[36:37], v[28:29], v[32:33]
	;; [unrolled: 1-line block ×3, first 2 shown]
	s_delay_alu instid0(VALU_DEP_3) | instskip(NEXT) | instid1(VALU_DEP_3)
	v_fma_f64 v[30:31], v[30:31], v[32:33], -v[34:35]
	v_fma_f64 v[28:29], v[28:29], v[32:33], -v[36:37]
	s_delay_alu instid0(VALU_DEP_3) | instskip(NEXT) | instid1(VALU_DEP_3)
	v_fma_f64 v[26:27], v[26:27], v[32:33], -v[39:40]
	v_add_f64 v[32:33], v[36:37], v[30:31]
	s_delay_alu instid0(VALU_DEP_1) | instskip(NEXT) | instid1(VALU_DEP_1)
	v_add_f64 v[41:42], v[32:33], -v[36:37]
	v_add_f64 v[30:31], v[30:31], -v[41:42]
	;; [unrolled: 1-line block ×3, first 2 shown]
	s_delay_alu instid0(VALU_DEP_1) | instskip(SKIP_1) | instid1(VALU_DEP_2)
	v_add_f64 v[36:37], v[36:37], -v[41:42]
	v_add_f64 v[41:42], v[34:35], v[32:33]
	v_add_f64 v[30:31], v[30:31], v[36:37]
	s_delay_alu instid0(VALU_DEP_2) | instskip(SKIP_1) | instid1(VALU_DEP_2)
	v_add_f64 v[34:35], v[41:42], -v[34:35]
	v_ldexp_f64 v[41:42], v[41:42], -2
	v_add_f64 v[32:33], v[32:33], -v[34:35]
	v_add_f64 v[34:35], v[39:40], v[28:29]
	s_delay_alu instid0(VALU_DEP_3) | instskip(SKIP_1) | instid1(VALU_DEP_3)
	v_cmp_neq_f64_e64 vcc_lo, 0x7ff00000, |v[41:42]|
	v_fract_f64_e32 v[41:42], v[41:42]
	v_add_f64 v[36:37], v[34:35], -v[39:40]
	s_delay_alu instid0(VALU_DEP_2) | instskip(NEXT) | instid1(VALU_DEP_2)
	v_dual_cndmask_b32 v42, 0, v42 :: v_dual_cndmask_b32 v41, 0, v41
	v_add_f64 v[28:29], v[28:29], -v[36:37]
	v_add_f64 v[36:37], v[34:35], -v[36:37]
	s_delay_alu instid0(VALU_DEP_1) | instskip(SKIP_1) | instid1(VALU_DEP_2)
	v_add_f64 v[36:37], v[39:40], -v[36:37]
	v_add_f64 v[39:40], v[34:35], v[30:31]
	v_add_f64 v[28:29], v[28:29], v[36:37]
	s_delay_alu instid0(VALU_DEP_2) | instskip(SKIP_1) | instid1(VALU_DEP_2)
	v_add_f64 v[43:44], v[39:40], -v[34:35]
	v_add_f64 v[36:37], v[32:33], v[39:40]
	v_add_f64 v[30:31], v[30:31], -v[43:44]
	v_add_f64 v[43:44], v[39:40], -v[43:44]
	s_delay_alu instid0(VALU_DEP_1) | instskip(NEXT) | instid1(VALU_DEP_1)
	v_add_f64 v[34:35], v[34:35], -v[43:44]
	v_add_f64 v[30:31], v[30:31], v[34:35]
	v_ldexp_f64 v[34:35], v[41:42], 2
	s_delay_alu instid0(VALU_DEP_2) | instskip(NEXT) | instid1(VALU_DEP_2)
	v_add_f64 v[28:29], v[28:29], v[30:31]
	v_add_f64 v[41:42], v[36:37], v[34:35]
	v_add_f64 v[30:31], v[36:37], -v[32:33]
	s_delay_alu instid0(VALU_DEP_3) | instskip(NEXT) | instid1(VALU_DEP_3)
	v_add_f64 v[26:27], v[26:27], v[28:29]
	v_cmp_gt_f64_e32 vcc_lo, 0, v[41:42]
	s_delay_alu instid0(VALU_DEP_3) | instskip(SKIP_1) | instid1(VALU_DEP_2)
	v_add_f64 v[30:31], v[39:40], -v[30:31]
	v_cndmask_b32_e64 v17, 0, 0x40100000, vcc_lo
	v_add_f64 v[26:27], v[30:31], v[26:27]
	s_delay_alu instid0(VALU_DEP_2) | instskip(NEXT) | instid1(VALU_DEP_1)
	v_add_f64 v[28:29], v[34:35], v[16:17]
	v_add_f64 v[32:33], v[36:37], v[28:29]
	s_delay_alu instid0(VALU_DEP_1) | instskip(NEXT) | instid1(VALU_DEP_1)
	v_cvt_i32_f64_e32 v39, v[32:33]
	v_cvt_f64_i32_e32 v[32:33], v39
	s_delay_alu instid0(VALU_DEP_1) | instskip(NEXT) | instid1(VALU_DEP_1)
	v_add_f64 v[28:29], v[28:29], -v[32:33]
	v_add_f64 v[30:31], v[36:37], v[28:29]
	s_delay_alu instid0(VALU_DEP_1) | instskip(SKIP_1) | instid1(VALU_DEP_2)
	v_add_f64 v[28:29], v[30:31], -v[28:29]
	v_cmp_le_f64_e32 vcc_lo, 0.5, v[30:31]
	v_add_f64 v[28:29], v[36:37], -v[28:29]
	v_cndmask_b32_e64 v17, 0, 0x3ff00000, vcc_lo
	s_delay_alu instid0(VALU_DEP_1) | instskip(SKIP_1) | instid1(VALU_DEP_4)
	v_add_f64 v[30:31], v[30:31], -v[16:17]
	v_add_co_ci_u32_e32 v17, vcc_lo, 0, v39, vcc_lo
	v_add_f64 v[26:27], v[26:27], v[28:29]
	s_delay_alu instid0(VALU_DEP_1) | instskip(NEXT) | instid1(VALU_DEP_1)
	v_add_f64 v[28:29], v[30:31], v[26:27]
	v_add_f64 v[30:31], v[28:29], -v[30:31]
	s_delay_alu instid0(VALU_DEP_1) | instskip(SKIP_1) | instid1(VALU_DEP_1)
	v_add_f64 v[26:27], v[26:27], -v[30:31]
	v_mul_f64 v[30:31], v[28:29], s[0:1]
	v_fma_f64 v[32:33], v[28:29], s[0:1], -v[30:31]
	s_delay_alu instid0(VALU_DEP_1) | instskip(NEXT) | instid1(VALU_DEP_1)
	v_fma_f64 v[28:29], v[28:29], s[6:7], v[32:33]
	v_fma_f64 v[26:27], v[26:27], s[0:1], v[28:29]
	s_delay_alu instid0(VALU_DEP_1) | instskip(NEXT) | instid1(VALU_DEP_1)
	v_add_f64 v[34:35], v[30:31], v[26:27]
	v_add_f64 v[28:29], v[34:35], -v[30:31]
	s_delay_alu instid0(VALU_DEP_1)
	v_add_f64 v[36:37], v[26:27], -v[28:29]
	s_and_not1_saveexec_b32 s0, s4
	s_cbranch_execnz .LBB162_252
	s_branch .LBB162_253
.LBB162_251:                            ;   in Loop: Header=BB162_180 Depth=1
	s_and_not1_saveexec_b32 s0, s4
	s_cbranch_execz .LBB162_253
.LBB162_252:                            ;   in Loop: Header=BB162_180 Depth=1
	v_mul_f64 v[26:27], |v[6:7]|, s[10:11]
	s_mov_b32 s4, s14
	s_delay_alu instid0(VALU_DEP_1) | instskip(NEXT) | instid1(VALU_DEP_1)
	v_rndne_f64_e32 v[26:27], v[26:27]
	v_fma_f64 v[28:29], v[26:27], s[2:3], |v[6:7]|
	v_mul_f64 v[30:31], v[26:27], s[14:15]
	v_cvt_i32_f64_e32 v17, v[26:27]
	s_delay_alu instid0(VALU_DEP_3) | instskip(NEXT) | instid1(VALU_DEP_3)
	v_fma_f64 v[36:37], v[26:27], s[14:15], v[28:29]
	v_add_f64 v[32:33], v[28:29], v[30:31]
	s_delay_alu instid0(VALU_DEP_1) | instskip(NEXT) | instid1(VALU_DEP_3)
	v_add_f64 v[28:29], v[28:29], -v[32:33]
	v_add_f64 v[32:33], v[32:33], -v[36:37]
	s_delay_alu instid0(VALU_DEP_2) | instskip(SKIP_1) | instid1(VALU_DEP_2)
	v_add_f64 v[28:29], v[28:29], v[30:31]
	v_fma_f64 v[30:31], v[26:27], s[4:5], v[30:31]
	v_add_f64 v[28:29], v[32:33], v[28:29]
	s_delay_alu instid0(VALU_DEP_1) | instskip(NEXT) | instid1(VALU_DEP_1)
	v_add_f64 v[28:29], v[28:29], -v[30:31]
	v_fma_f64 v[28:29], v[26:27], s[16:17], v[28:29]
	s_delay_alu instid0(VALU_DEP_1) | instskip(NEXT) | instid1(VALU_DEP_1)
	v_add_f64 v[34:35], v[36:37], v[28:29]
	v_add_f64 v[30:31], v[34:35], -v[36:37]
	s_delay_alu instid0(VALU_DEP_1)
	v_add_f64 v[36:37], v[28:29], -v[30:31]
.LBB162_253:                            ;   in Loop: Header=BB162_180 Depth=1
	s_or_b32 exec_lo, exec_lo, s0
	v_mul_f64 v[26:27], v[22:23], v[22:23]
	s_delay_alu instid0(VALU_DEP_2) | instskip(NEXT) | instid1(VALU_DEP_3)
	v_mul_f64 v[39:40], v[24:25], 0.5
	v_mul_f64 v[45:46], v[36:37], 0.5
	s_mov_b32 s18, s12
	s_delay_alu instid0(VALU_DEP_3) | instskip(SKIP_1) | instid1(VALU_DEP_2)
	v_mul_f64 v[28:29], v[26:27], 0.5
	v_mul_f64 v[41:42], v[22:23], -v[26:27]
	v_add_f64 v[30:31], -v[28:29], 1.0
	s_delay_alu instid0(VALU_DEP_1) | instskip(NEXT) | instid1(VALU_DEP_1)
	v_add_f64 v[32:33], -v[30:31], 1.0
	v_add_f64 v[28:29], v[32:33], -v[28:29]
	v_fma_f64 v[32:33], v[26:27], s[94:95], s[92:93]
	s_delay_alu instid0(VALU_DEP_2) | instskip(NEXT) | instid1(VALU_DEP_2)
	v_fma_f64 v[28:29], v[22:23], -v[24:25], v[28:29]
	v_fma_f64 v[32:33], v[26:27], v[32:33], s[96:97]
	s_delay_alu instid0(VALU_DEP_1) | instskip(NEXT) | instid1(VALU_DEP_1)
	v_fma_f64 v[32:33], v[26:27], v[32:33], s[98:99]
	v_fma_f64 v[32:33], v[26:27], v[32:33], s[72:73]
	s_delay_alu instid0(VALU_DEP_1) | instskip(NEXT) | instid1(VALU_DEP_1)
	v_fma_f64 v[32:33], v[41:42], v[32:33], v[39:40]
	v_fma_f64 v[24:25], v[26:27], v[32:33], -v[24:25]
	v_fma_f64 v[32:33], v[26:27], s[84:85], s[82:83]
	s_delay_alu instid0(VALU_DEP_2) | instskip(NEXT) | instid1(VALU_DEP_2)
	v_fma_f64 v[24:25], v[41:42], s[18:19], v[24:25]
	v_fma_f64 v[32:33], v[26:27], v[32:33], s[86:87]
	s_delay_alu instid0(VALU_DEP_2) | instskip(NEXT) | instid1(VALU_DEP_2)
	v_add_f64 v[22:23], v[22:23], -v[24:25]
	v_fma_f64 v[32:33], v[26:27], v[32:33], s[88:89]
	s_delay_alu instid0(VALU_DEP_1) | instskip(NEXT) | instid1(VALU_DEP_1)
	v_fma_f64 v[32:33], v[26:27], v[32:33], s[90:91]
	v_fma_f64 v[32:33], v[26:27], v[32:33], s[12:13]
	v_mul_f64 v[26:27], v[26:27], v[26:27]
	s_delay_alu instid0(VALU_DEP_1) | instskip(SKIP_1) | instid1(VALU_DEP_2)
	v_fma_f64 v[26:27], v[26:27], v[32:33], v[28:29]
	v_mul_f64 v[28:29], v[34:35], v[34:35]
	v_add_f64 v[26:27], v[30:31], v[26:27]
	s_delay_alu instid0(VALU_DEP_2) | instskip(SKIP_2) | instid1(VALU_DEP_1)
	v_mul_f64 v[32:33], v[28:29], 0.5
	v_mul_f64 v[47:48], v[34:35], -v[28:29]
	v_and_b32_e32 v24, 1, v38
	v_cmp_eq_u32_e32 vcc_lo, 0, v24
	v_cndmask_b32_e32 v27, v27, v23, vcc_lo
	v_add_f64 v[39:40], -v[32:33], 1.0
	v_cndmask_b32_e32 v26, v26, v22, vcc_lo
	v_cmp_class_f64_e64 vcc_lo, v[6:7], 0x1f8
	v_lshlrev_b32_e32 v6, 30, v38
	s_delay_alu instid0(VALU_DEP_1) | instskip(NEXT) | instid1(VALU_DEP_1)
	v_xor_b32_e32 v6, v6, v7
	v_and_b32_e32 v6, 0x80000000, v6
	v_add_f64 v[43:44], -v[39:40], 1.0
	s_delay_alu instid0(VALU_DEP_1) | instskip(SKIP_1) | instid1(VALU_DEP_2)
	v_add_f64 v[32:33], v[43:44], -v[32:33]
	v_fma_f64 v[43:44], v[28:29], s[94:95], s[92:93]
	v_fma_f64 v[32:33], v[34:35], -v[36:37], v[32:33]
	s_delay_alu instid0(VALU_DEP_2) | instskip(NEXT) | instid1(VALU_DEP_1)
	v_fma_f64 v[43:44], v[28:29], v[43:44], s[96:97]
	v_fma_f64 v[43:44], v[28:29], v[43:44], s[98:99]
	s_delay_alu instid0(VALU_DEP_1) | instskip(NEXT) | instid1(VALU_DEP_1)
	v_fma_f64 v[43:44], v[28:29], v[43:44], s[72:73]
	v_fma_f64 v[43:44], v[47:48], v[43:44], v[45:46]
	s_delay_alu instid0(VALU_DEP_1) | instskip(SKIP_1) | instid1(VALU_DEP_2)
	v_fma_f64 v[36:37], v[28:29], v[43:44], -v[36:37]
	v_fma_f64 v[43:44], v[28:29], s[84:85], s[82:83]
	v_fma_f64 v[22:23], v[47:48], s[18:19], v[36:37]
	s_delay_alu instid0(VALU_DEP_2) | instskip(NEXT) | instid1(VALU_DEP_2)
	v_fma_f64 v[43:44], v[28:29], v[43:44], s[86:87]
	v_add_f64 v[22:23], v[34:35], -v[22:23]
	s_delay_alu instid0(VALU_DEP_2) | instskip(NEXT) | instid1(VALU_DEP_2)
	v_fma_f64 v[43:44], v[28:29], v[43:44], s[88:89]
	v_xor_b32_e32 v7, 0x80000000, v23
	s_delay_alu instid0(VALU_DEP_2) | instskip(SKIP_1) | instid1(VALU_DEP_2)
	v_fma_f64 v[43:44], v[28:29], v[43:44], s[90:91]
	v_xor_b32_e32 v23, v27, v6
	v_fma_f64 v[43:44], v[28:29], v[43:44], s[12:13]
	v_mul_f64 v[28:29], v[28:29], v[28:29]
	s_delay_alu instid0(VALU_DEP_1) | instskip(NEXT) | instid1(VALU_DEP_1)
	v_fma_f64 v[28:29], v[28:29], v[43:44], v[32:33]
	v_add_f64 v[24:25], v[39:40], v[28:29]
	v_and_b32_e32 v28, 1, v17
	v_dual_cndmask_b32 v6, 0, v26 :: v_dual_lshlrev_b32 v17, 30, v17
	s_delay_alu instid0(VALU_DEP_2) | instskip(NEXT) | instid1(VALU_DEP_2)
	v_cmp_eq_u32_e64 s0, 0, v28
	v_and_b32_e32 v17, 0x80000000, v17
	s_delay_alu instid0(VALU_DEP_2) | instskip(SKIP_1) | instid1(VALU_DEP_2)
	v_cndmask_b32_e64 v7, v7, v25, s0
	v_cndmask_b32_e64 v22, v22, v24, s0
	v_xor_b32_e32 v17, v7, v17
	v_cndmask_b32_e32 v7, 0x7ff80000, v23, vcc_lo
	s_delay_alu instid0(VALU_DEP_3) | instskip(NEXT) | instid1(VALU_DEP_3)
	v_cndmask_b32_e32 v22, 0, v22, vcc_lo
	v_cndmask_b32_e32 v23, 0x7ff80000, v17, vcc_lo
	s_delay_alu instid0(VALU_DEP_1)
	v_mul_f64 v[6:7], v[6:7], v[22:23]
.LBB162_254:                            ;   in Loop: Header=BB162_180 Depth=1
	s_or_b32 exec_lo, exec_lo, s48
	s_delay_alu instid0(VALU_DEP_1) | instskip(SKIP_2) | instid1(VALU_DEP_3)
	v_bfi_b32 v17, 0x7fffffff, 0, v7
	v_add_co_u32 v4, vcc_lo, v4, 0
	v_add_co_ci_u32_e32 v5, vcc_lo, -2.0, v5, vcc_lo
	v_dual_mov_b32 v6, v16 :: v_dual_mov_b32 v7, v17
.LBB162_255:                            ;   in Loop: Header=BB162_180 Depth=1
	s_or_b32 exec_lo, exec_lo, s21
.LBB162_256:                            ;   in Loop: Header=BB162_180 Depth=1
	s_delay_alu instid0(SALU_CYCLE_1) | instskip(SKIP_3) | instid1(VALU_DEP_1)
	s_or_b32 exec_lo, exec_lo, s20
	s_waitcnt vmcnt(0)
	v_and_b32_e32 v17, 0x7fffffff, v13
	s_mov_b32 s0, exec_lo
	v_cmpx_gt_u32_e32 0x7ff00000, v17
	s_xor_b32 s20, exec_lo, s0
	s_cbranch_execz .LBB162_278
; %bb.257:                              ;   in Loop: Header=BB162_180 Depth=1
	v_cmp_class_f64_e64 s0, v[14:15], 0x1f8
	s_delay_alu instid0(VALU_DEP_1) | instskip(NEXT) | instid1(SALU_CYCLE_1)
	s_and_saveexec_b32 s4, s0
	s_xor_b32 s21, exec_lo, s4
	s_cbranch_execz .LBB162_275
; %bb.258:                              ;   in Loop: Header=BB162_180 Depth=1
	s_mov_b32 s0, exec_lo
	v_cmpx_gt_u32_e32 0x40360000, v17
	s_xor_b32 s18, exec_lo, s0
	s_cbranch_execz .LBB162_264
; %bb.259:                              ;   in Loop: Header=BB162_180 Depth=1
	s_mov_b32 s4, exec_lo
                                        ; implicit-def: $vgpr17
                                        ; implicit-def: $vgpr22_vgpr23
                                        ; implicit-def: $vgpr24_vgpr25
	v_cmpx_ngt_f64_e64 0x41d00000, |v[14:15]|
	s_xor_b32 s4, exec_lo, s4
	s_cbranch_execz .LBB162_261
; %bb.260:                              ;   in Loop: Header=BB162_180 Depth=1
	v_ldexp_f64 v[22:23], |v[14:15]|, 0xffffff80
	v_cmp_le_f64_e64 vcc_lo, 0x7b000000, |v[14:15]|
	v_trig_preop_f64 v[24:25], |v[14:15]|, 0
	v_and_b32_e32 v17, 0x7fffffff, v15
	v_trig_preop_f64 v[28:29], |v[14:15]|, 1
	v_trig_preop_f64 v[32:33], |v[14:15]|, 2
	s_mov_b32 s0, s2
	s_mov_b32 s7, s5
	v_dual_cndmask_b32 v22, v14, v22 :: v_dual_cndmask_b32 v23, v17, v23
	s_delay_alu instid0(VALU_DEP_1) | instskip(NEXT) | instid1(VALU_DEP_4)
	v_mul_f64 v[26:27], v[24:25], v[22:23]
	v_mul_f64 v[30:31], v[28:29], v[22:23]
	s_delay_alu instid0(VALU_DEP_4) | instskip(NEXT) | instid1(VALU_DEP_3)
	v_mul_f64 v[34:35], v[32:33], v[22:23]
	v_fma_f64 v[24:25], v[24:25], v[22:23], -v[26:27]
	s_delay_alu instid0(VALU_DEP_3) | instskip(NEXT) | instid1(VALU_DEP_3)
	v_fma_f64 v[28:29], v[28:29], v[22:23], -v[30:31]
	v_fma_f64 v[22:23], v[32:33], v[22:23], -v[34:35]
	s_delay_alu instid0(VALU_DEP_3) | instskip(NEXT) | instid1(VALU_DEP_1)
	v_add_f64 v[32:33], v[30:31], v[24:25]
	v_add_f64 v[36:37], v[32:33], -v[30:31]
	s_delay_alu instid0(VALU_DEP_1) | instskip(SKIP_1) | instid1(VALU_DEP_1)
	v_add_f64 v[24:25], v[24:25], -v[36:37]
	v_add_f64 v[36:37], v[32:33], -v[36:37]
	;; [unrolled: 1-line block ×3, first 2 shown]
	v_add_f64 v[36:37], v[26:27], v[32:33]
	s_delay_alu instid0(VALU_DEP_2) | instskip(NEXT) | instid1(VALU_DEP_2)
	v_add_f64 v[24:25], v[24:25], v[30:31]
	v_add_f64 v[26:27], v[36:37], -v[26:27]
	v_add_f64 v[30:31], v[34:35], v[28:29]
	v_ldexp_f64 v[36:37], v[36:37], -2
	s_delay_alu instid0(VALU_DEP_3) | instskip(NEXT) | instid1(VALU_DEP_3)
	v_add_f64 v[26:27], v[32:33], -v[26:27]
	v_add_f64 v[32:33], v[30:31], -v[34:35]
	s_delay_alu instid0(VALU_DEP_3) | instskip(SKIP_1) | instid1(VALU_DEP_3)
	v_cmp_neq_f64_e64 vcc_lo, 0x7ff00000, |v[36:37]|
	v_fract_f64_e32 v[36:37], v[36:37]
	v_add_f64 v[28:29], v[28:29], -v[32:33]
	v_add_f64 v[32:33], v[30:31], -v[32:33]
	s_delay_alu instid0(VALU_DEP_3) | instskip(NEXT) | instid1(VALU_DEP_2)
	v_dual_cndmask_b32 v36, 0, v36 :: v_dual_cndmask_b32 v37, 0, v37
	v_add_f64 v[32:33], v[34:35], -v[32:33]
	v_add_f64 v[34:35], v[30:31], v[24:25]
	s_delay_alu instid0(VALU_DEP_2) | instskip(NEXT) | instid1(VALU_DEP_2)
	v_add_f64 v[28:29], v[28:29], v[32:33]
	v_add_f64 v[38:39], v[34:35], -v[30:31]
	v_add_f64 v[32:33], v[26:27], v[34:35]
	s_delay_alu instid0(VALU_DEP_2) | instskip(SKIP_1) | instid1(VALU_DEP_3)
	v_add_f64 v[24:25], v[24:25], -v[38:39]
	v_add_f64 v[38:39], v[34:35], -v[38:39]
	;; [unrolled: 1-line block ×3, first 2 shown]
	s_delay_alu instid0(VALU_DEP_2) | instskip(NEXT) | instid1(VALU_DEP_2)
	v_add_f64 v[30:31], v[30:31], -v[38:39]
	v_add_f64 v[26:27], v[34:35], -v[26:27]
	s_delay_alu instid0(VALU_DEP_2) | instskip(SKIP_1) | instid1(VALU_DEP_2)
	v_add_f64 v[24:25], v[24:25], v[30:31]
	v_ldexp_f64 v[30:31], v[36:37], 2
	v_add_f64 v[24:25], v[28:29], v[24:25]
	s_delay_alu instid0(VALU_DEP_2) | instskip(NEXT) | instid1(VALU_DEP_2)
	v_add_f64 v[36:37], v[32:33], v[30:31]
	v_add_f64 v[22:23], v[22:23], v[24:25]
	s_delay_alu instid0(VALU_DEP_2) | instskip(NEXT) | instid1(VALU_DEP_2)
	v_cmp_gt_f64_e32 vcc_lo, 0, v[36:37]
	v_add_f64 v[22:23], v[26:27], v[22:23]
	v_cndmask_b32_e64 v17, 0, 0x40100000, vcc_lo
	s_delay_alu instid0(VALU_DEP_1) | instskip(NEXT) | instid1(VALU_DEP_1)
	v_add_f64 v[24:25], v[30:31], v[16:17]
	v_add_f64 v[28:29], v[32:33], v[24:25]
	s_delay_alu instid0(VALU_DEP_1) | instskip(NEXT) | instid1(VALU_DEP_1)
	v_cvt_i32_f64_e32 v30, v[28:29]
	v_cvt_f64_i32_e32 v[28:29], v30
	s_delay_alu instid0(VALU_DEP_1) | instskip(NEXT) | instid1(VALU_DEP_1)
	v_add_f64 v[24:25], v[24:25], -v[28:29]
	v_add_f64 v[26:27], v[32:33], v[24:25]
	s_delay_alu instid0(VALU_DEP_1) | instskip(SKIP_1) | instid1(VALU_DEP_2)
	v_add_f64 v[24:25], v[26:27], -v[24:25]
	v_cmp_le_f64_e32 vcc_lo, 0.5, v[26:27]
	v_add_f64 v[24:25], v[32:33], -v[24:25]
	v_cndmask_b32_e64 v17, 0, 0x3ff00000, vcc_lo
	s_delay_alu instid0(VALU_DEP_1) | instskip(SKIP_1) | instid1(VALU_DEP_4)
	v_add_f64 v[26:27], v[26:27], -v[16:17]
	v_add_co_ci_u32_e32 v17, vcc_lo, 0, v30, vcc_lo
	v_add_f64 v[22:23], v[22:23], v[24:25]
	s_delay_alu instid0(VALU_DEP_1) | instskip(NEXT) | instid1(VALU_DEP_1)
	v_add_f64 v[24:25], v[26:27], v[22:23]
	v_add_f64 v[26:27], v[24:25], -v[26:27]
	s_delay_alu instid0(VALU_DEP_1) | instskip(SKIP_1) | instid1(VALU_DEP_1)
	v_add_f64 v[22:23], v[22:23], -v[26:27]
	v_mul_f64 v[26:27], v[24:25], s[0:1]
	v_fma_f64 v[28:29], v[24:25], s[0:1], -v[26:27]
	s_delay_alu instid0(VALU_DEP_1) | instskip(NEXT) | instid1(VALU_DEP_1)
	v_fma_f64 v[24:25], v[24:25], s[6:7], v[28:29]
	v_fma_f64 v[24:25], v[22:23], s[0:1], v[24:25]
	s_delay_alu instid0(VALU_DEP_1) | instskip(NEXT) | instid1(VALU_DEP_1)
	v_add_f64 v[22:23], v[26:27], v[24:25]
	v_add_f64 v[26:27], v[22:23], -v[26:27]
	s_delay_alu instid0(VALU_DEP_1)
	v_add_f64 v[24:25], v[24:25], -v[26:27]
.LBB162_261:                            ;   in Loop: Header=BB162_180 Depth=1
	s_and_not1_saveexec_b32 s0, s4
	s_cbranch_execz .LBB162_263
; %bb.262:                              ;   in Loop: Header=BB162_180 Depth=1
	v_mul_f64 v[22:23], |v[14:15]|, s[10:11]
	s_mov_b32 s4, s14
	s_delay_alu instid0(VALU_DEP_1) | instskip(NEXT) | instid1(VALU_DEP_1)
	v_rndne_f64_e32 v[26:27], v[22:23]
	v_fma_f64 v[22:23], v[26:27], s[2:3], |v[14:15]|
	v_mul_f64 v[24:25], v[26:27], s[14:15]
	v_cvt_i32_f64_e32 v17, v[26:27]
	s_delay_alu instid0(VALU_DEP_3) | instskip(NEXT) | instid1(VALU_DEP_3)
	v_fma_f64 v[30:31], v[26:27], s[14:15], v[22:23]
	v_add_f64 v[28:29], v[22:23], v[24:25]
	s_delay_alu instid0(VALU_DEP_1) | instskip(NEXT) | instid1(VALU_DEP_3)
	v_add_f64 v[22:23], v[22:23], -v[28:29]
	v_add_f64 v[28:29], v[28:29], -v[30:31]
	s_delay_alu instid0(VALU_DEP_2) | instskip(SKIP_1) | instid1(VALU_DEP_2)
	v_add_f64 v[22:23], v[22:23], v[24:25]
	v_fma_f64 v[24:25], v[26:27], s[4:5], v[24:25]
	v_add_f64 v[22:23], v[28:29], v[22:23]
	s_delay_alu instid0(VALU_DEP_1) | instskip(NEXT) | instid1(VALU_DEP_1)
	v_add_f64 v[22:23], v[22:23], -v[24:25]
	v_fma_f64 v[24:25], v[26:27], s[16:17], v[22:23]
	s_delay_alu instid0(VALU_DEP_1) | instskip(NEXT) | instid1(VALU_DEP_1)
	v_add_f64 v[22:23], v[30:31], v[24:25]
	v_add_f64 v[28:29], v[22:23], -v[30:31]
	s_delay_alu instid0(VALU_DEP_1)
	v_add_f64 v[24:25], v[24:25], -v[28:29]
.LBB162_263:                            ;   in Loop: Header=BB162_180 Depth=1
	s_or_b32 exec_lo, exec_lo, s0
	v_add_f64 v[26:27], |v[12:13]|, s[46:47]
	s_mov_b32 s48, s46
	s_mov_b32 s52, s54
	;; [unrolled: 1-line block ×5, first 2 shown]
	v_cmp_nge_f64_e64 vcc_lo, |v[12:13]|, s[80:81]
	v_cmp_gt_f64_e64 s0, 0x3e400000, |v[12:13]|
	s_mov_b32 s22, 0xa9a29f71
	s_mov_b32 s24, 0xc751c08c
	;; [unrolled: 1-line block ×4, first 2 shown]
	v_and_b32_e32 v17, 1, v17
	s_delay_alu instid0(VALU_DEP_4) | instskip(NEXT) | instid1(VALU_DEP_1)
	v_add_f64 v[28:29], v[26:27], -|v[12:13]|
	v_add_f64 v[30:31], v[28:29], -v[26:27]
	v_add_f64 v[28:29], v[28:29], s[48:49]
	s_delay_alu instid0(VALU_DEP_2) | instskip(NEXT) | instid1(VALU_DEP_1)
	v_add_f64 v[30:31], |v[12:13]|, v[30:31]
	v_add_f64 v[28:29], v[30:31], -v[28:29]
	s_delay_alu instid0(VALU_DEP_1) | instskip(NEXT) | instid1(VALU_DEP_1)
	v_add_f64 v[28:29], v[28:29], s[50:51]
	v_add_f64 v[30:31], v[26:27], v[28:29]
	s_delay_alu instid0(VALU_DEP_1) | instskip(NEXT) | instid1(VALU_DEP_1)
	v_add_f64 v[26:27], v[26:27], -v[30:31]
	v_add_f64 v[26:27], v[28:29], v[26:27]
	v_mul_f64 v[28:29], v[30:31], s[52:53]
	s_delay_alu instid0(VALU_DEP_1) | instskip(NEXT) | instid1(VALU_DEP_1)
	v_rndne_f64_e32 v[28:29], v[28:29]
	v_fma_f64 v[30:31], v[28:29], s[100:101], v[30:31]
	v_cvt_i32_f64_e32 v14, v[28:29]
	s_delay_alu instid0(VALU_DEP_2) | instskip(NEXT) | instid1(VALU_DEP_1)
	v_add_f64 v[32:33], v[26:27], v[30:31]
	v_add_f64 v[30:31], v[30:31], -v[32:33]
	s_delay_alu instid0(VALU_DEP_1) | instskip(SKIP_1) | instid1(VALU_DEP_1)
	v_add_f64 v[26:27], v[26:27], v[30:31]
	v_mul_f64 v[30:31], v[28:29], s[56:57]
	v_add_f64 v[34:35], v[32:33], v[30:31]
	s_delay_alu instid0(VALU_DEP_1) | instskip(NEXT) | instid1(VALU_DEP_1)
	v_add_f64 v[32:33], v[32:33], -v[34:35]
	v_add_f64 v[30:31], v[32:33], v[30:31]
	s_delay_alu instid0(VALU_DEP_1) | instskip(NEXT) | instid1(VALU_DEP_1)
	v_add_f64 v[26:27], v[26:27], v[30:31]
	v_add_f64 v[30:31], v[34:35], v[26:27]
	s_delay_alu instid0(VALU_DEP_1) | instskip(NEXT) | instid1(VALU_DEP_1)
	v_add_f64 v[32:33], v[34:35], -v[30:31]
	v_add_f64 v[26:27], v[26:27], v[32:33]
	v_mul_f64 v[32:33], v[28:29], s[58:59]
	s_delay_alu instid0(VALU_DEP_1) | instskip(NEXT) | instid1(VALU_DEP_1)
	v_add_f64 v[34:35], v[30:31], v[32:33]
	v_add_f64 v[30:31], v[30:31], -v[34:35]
	s_delay_alu instid0(VALU_DEP_1) | instskip(NEXT) | instid1(VALU_DEP_1)
	v_add_f64 v[30:31], v[30:31], v[32:33]
	v_add_f64 v[26:27], v[26:27], v[30:31]
	s_delay_alu instid0(VALU_DEP_1) | instskip(NEXT) | instid1(VALU_DEP_1)
	v_add_f64 v[30:31], v[34:35], v[26:27]
	v_add_f64 v[32:33], v[34:35], -v[30:31]
	s_delay_alu instid0(VALU_DEP_1) | instskip(SKIP_1) | instid1(VALU_DEP_2)
	v_add_f64 v[26:27], v[26:27], v[32:33]
	v_mul_f64 v[32:33], v[30:31], v[30:31]
	v_add_f64 v[36:37], v[26:27], v[26:27]
	s_delay_alu instid0(VALU_DEP_2) | instskip(NEXT) | instid1(VALU_DEP_1)
	v_fma_f64 v[34:35], v[30:31], v[30:31], -v[32:33]
	v_fma_f64 v[34:35], v[30:31], v[36:37], v[34:35]
	s_delay_alu instid0(VALU_DEP_1) | instskip(NEXT) | instid1(VALU_DEP_1)
	v_add_f64 v[36:37], v[32:33], v[34:35]
	v_add_f64 v[32:33], v[36:37], -v[32:33]
	s_delay_alu instid0(VALU_DEP_1) | instskip(SKIP_1) | instid1(VALU_DEP_1)
	v_add_f64 v[32:33], v[34:35], -v[32:33]
	v_fma_f64 v[34:35], v[30:31], s[62:63], s[60:61]
	v_fma_f64 v[34:35], v[30:31], v[34:35], s[64:65]
	s_delay_alu instid0(VALU_DEP_1) | instskip(NEXT) | instid1(VALU_DEP_1)
	v_fma_f64 v[34:35], v[30:31], v[34:35], s[66:67]
	v_fma_f64 v[34:35], v[30:31], v[34:35], s[68:69]
	s_delay_alu instid0(VALU_DEP_1) | instskip(NEXT) | instid1(VALU_DEP_1)
	;; [unrolled: 3-line block ×4, first 2 shown]
	v_fma_f64 v[34:35], v[30:31], v[34:35], s[78:79]
	v_mul_f64 v[38:39], v[36:37], v[34:35]
	s_delay_alu instid0(VALU_DEP_1) | instskip(NEXT) | instid1(VALU_DEP_1)
	v_fma_f64 v[36:37], v[36:37], v[34:35], -v[38:39]
	v_fma_f64 v[32:33], v[32:33], v[34:35], v[36:37]
	s_delay_alu instid0(VALU_DEP_1) | instskip(NEXT) | instid1(VALU_DEP_1)
	v_add_f64 v[34:35], v[38:39], v[32:33]
	v_add_f64 v[36:37], v[34:35], -v[38:39]
	s_delay_alu instid0(VALU_DEP_1) | instskip(SKIP_1) | instid1(VALU_DEP_2)
	v_add_f64 v[32:33], v[32:33], -v[36:37]
	v_add_f64 v[36:37], v[30:31], v[34:35]
	v_add_f64 v[26:27], v[26:27], v[32:33]
	s_delay_alu instid0(VALU_DEP_2) | instskip(NEXT) | instid1(VALU_DEP_1)
	v_add_f64 v[30:31], v[36:37], -v[30:31]
	v_add_f64 v[30:31], v[34:35], -v[30:31]
	s_delay_alu instid0(VALU_DEP_1) | instskip(NEXT) | instid1(VALU_DEP_1)
	v_add_f64 v[26:27], v[26:27], v[30:31]
	v_add_f64 v[30:31], v[36:37], v[26:27]
	s_delay_alu instid0(VALU_DEP_1) | instskip(NEXT) | instid1(VALU_DEP_1)
	v_add_f64 v[32:33], v[30:31], -v[36:37]
	v_add_f64 v[26:27], v[26:27], -v[32:33]
	v_add_f64 v[32:33], v[30:31], 1.0
	s_delay_alu instid0(VALU_DEP_1) | instskip(NEXT) | instid1(VALU_DEP_1)
	v_add_f64 v[34:35], v[32:33], -1.0
	v_add_f64 v[30:31], v[30:31], -v[34:35]
	s_delay_alu instid0(VALU_DEP_1) | instskip(NEXT) | instid1(VALU_DEP_1)
	v_add_f64 v[26:27], v[26:27], v[30:31]
	v_add_f64 v[28:29], v[32:33], v[26:27]
	s_delay_alu instid0(VALU_DEP_1) | instskip(SKIP_1) | instid1(VALU_DEP_2)
	v_add_f64 v[30:31], v[28:29], -v[32:33]
	v_ldexp_f64 v[28:29], v[28:29], v14
	v_add_f64 v[26:27], v[26:27], -v[30:31]
	s_delay_alu instid0(VALU_DEP_2) | instskip(NEXT) | instid1(VALU_DEP_1)
	v_rcp_f64_e32 v[32:33], v[28:29]
	v_ldexp_f64 v[26:27], v[26:27], v14
	v_and_b32_e32 v14, 0x7fffffff, v13
	s_waitcnt_depctr 0xfff
	v_fma_f64 v[34:35], -v[28:29], v[32:33], 1.0
	s_delay_alu instid0(VALU_DEP_1) | instskip(NEXT) | instid1(VALU_DEP_1)
	v_fma_f64 v[32:33], v[34:35], v[32:33], v[32:33]
	v_fma_f64 v[30:31], -v[28:29], v[32:33], 1.0
	s_delay_alu instid0(VALU_DEP_1) | instskip(NEXT) | instid1(VALU_DEP_1)
	v_fma_f64 v[30:31], v[30:31], v[32:33], v[32:33]
	v_mul_f64 v[32:33], v[28:29], v[30:31]
	s_delay_alu instid0(VALU_DEP_1) | instskip(NEXT) | instid1(VALU_DEP_1)
	v_fma_f64 v[34:35], v[30:31], v[28:29], -v[32:33]
	v_fma_f64 v[34:35], v[30:31], v[26:27], v[34:35]
	s_delay_alu instid0(VALU_DEP_1) | instskip(NEXT) | instid1(VALU_DEP_1)
	v_add_f64 v[36:37], v[32:33], v[34:35]
	v_add_f64 v[32:33], v[36:37], -v[32:33]
	s_delay_alu instid0(VALU_DEP_1) | instskip(SKIP_1) | instid1(VALU_DEP_1)
	v_add_f64 v[32:33], v[32:33], -v[34:35]
	v_add_f64 v[34:35], -v[36:37], 1.0
	v_add_f64 v[38:39], -v[34:35], 1.0
	s_delay_alu instid0(VALU_DEP_1) | instskip(NEXT) | instid1(VALU_DEP_1)
	v_add_f64 v[36:37], v[38:39], -v[36:37]
	v_add_f64 v[32:33], v[32:33], v[36:37]
	s_delay_alu instid0(VALU_DEP_1) | instskip(NEXT) | instid1(VALU_DEP_1)
	v_add_f64 v[36:37], v[34:35], v[32:33]
	v_add_f64 v[34:35], v[34:35], -v[36:37]
	s_delay_alu instid0(VALU_DEP_1) | instskip(SKIP_1) | instid1(VALU_DEP_1)
	v_add_f64 v[32:33], v[32:33], v[34:35]
	v_mul_f64 v[34:35], v[30:31], v[36:37]
	v_mul_f64 v[38:39], v[28:29], v[34:35]
	s_delay_alu instid0(VALU_DEP_1) | instskip(NEXT) | instid1(VALU_DEP_1)
	v_fma_f64 v[40:41], v[34:35], v[28:29], -v[38:39]
	v_fma_f64 v[40:41], v[34:35], v[26:27], v[40:41]
	s_delay_alu instid0(VALU_DEP_1) | instskip(NEXT) | instid1(VALU_DEP_1)
	v_add_f64 v[42:43], v[38:39], v[40:41]
	v_add_f64 v[44:45], v[36:37], -v[42:43]
	v_add_f64 v[38:39], v[42:43], -v[38:39]
	s_delay_alu instid0(VALU_DEP_2) | instskip(NEXT) | instid1(VALU_DEP_2)
	v_add_f64 v[36:37], v[36:37], -v[44:45]
	v_add_f64 v[38:39], v[38:39], -v[40:41]
	s_delay_alu instid0(VALU_DEP_2) | instskip(NEXT) | instid1(VALU_DEP_1)
	v_add_f64 v[36:37], v[36:37], -v[42:43]
	v_add_f64 v[32:33], v[32:33], v[36:37]
	v_add_f64 v[36:37], v[30:31], v[34:35]
	s_delay_alu instid0(VALU_DEP_2) | instskip(NEXT) | instid1(VALU_DEP_2)
	v_add_f64 v[32:33], v[38:39], v[32:33]
	v_add_f64 v[38:39], v[36:37], -v[30:31]
	s_delay_alu instid0(VALU_DEP_2) | instskip(NEXT) | instid1(VALU_DEP_2)
	v_add_f64 v[32:33], v[44:45], v[32:33]
	v_add_f64 v[34:35], v[34:35], -v[38:39]
	s_delay_alu instid0(VALU_DEP_2) | instskip(NEXT) | instid1(VALU_DEP_1)
	v_mul_f64 v[30:31], v[30:31], v[32:33]
	v_add_f64 v[30:31], v[34:35], v[30:31]
	s_delay_alu instid0(VALU_DEP_1) | instskip(NEXT) | instid1(VALU_DEP_1)
	v_add_f64 v[32:33], v[36:37], v[30:31]
	v_add_f64 v[34:35], v[32:33], -v[36:37]
	v_ldexp_f64 v[32:33], v[32:33], -2
	s_delay_alu instid0(VALU_DEP_2) | instskip(NEXT) | instid1(VALU_DEP_2)
	v_add_f64 v[30:31], v[30:31], -v[34:35]
	v_add_f64 v[36:37], v[28:29], -v[32:33]
	s_delay_alu instid0(VALU_DEP_1) | instskip(NEXT) | instid1(VALU_DEP_1)
	v_add_f64 v[28:29], v[28:29], -v[36:37]
	v_add_f64 v[28:29], v[28:29], -v[32:33]
	s_delay_alu instid0(VALU_DEP_1) | instskip(SKIP_1) | instid1(VALU_DEP_1)
	v_add_f64 v[26:27], v[26:27], v[28:29]
	v_ldexp_f64 v[28:29], v[30:31], -2
	v_add_f64 v[26:27], v[26:27], -v[28:29]
	s_delay_alu instid0(VALU_DEP_1) | instskip(SKIP_1) | instid1(VALU_DEP_2)
	v_add_f64 v[26:27], v[36:37], v[26:27]
	v_and_b32_e32 v36, 0x80000000, v15
	v_cndmask_b32_e32 v27, 0x7ff00000, v27, vcc_lo
	s_delay_alu instid0(VALU_DEP_3) | instskip(NEXT) | instid1(VALU_DEP_2)
	v_cndmask_b32_e32 v26, 0, v26, vcc_lo
	v_cndmask_b32_e64 v14, v27, v14, s0
	s_delay_alu instid0(VALU_DEP_2) | instskip(SKIP_1) | instid1(VALU_DEP_3)
	v_cndmask_b32_e64 v12, v26, v12, s0
	v_cmp_eq_u32_e64 s0, 0, v17
	v_bfi_b32 v13, 0x7fffffff, v14, v13
	s_delay_alu instid0(VALU_DEP_1) | instskip(NEXT) | instid1(VALU_DEP_1)
	v_fma_f64 v[26:27], v[12:13], v[12:13], 1.0
	v_cmp_gt_f64_e32 vcc_lo, 0x10000000, v[26:27]
	v_cndmask_b32_e64 v14, 0, 1, vcc_lo
	v_cndmask_b32_e64 v17, 0, 0xffffff80, vcc_lo
	s_delay_alu instid0(VALU_DEP_2) | instskip(NEXT) | instid1(VALU_DEP_1)
	v_lshlrev_b32_e32 v14, 8, v14
	v_ldexp_f64 v[26:27], v[26:27], v14
	v_mul_f64 v[14:15], v[22:23], v[22:23]
	s_delay_alu instid0(VALU_DEP_2) | instskip(SKIP_4) | instid1(VALU_DEP_1)
	v_rsq_f64_e32 v[28:29], v[26:27]
	v_cmp_class_f64_e64 vcc_lo, v[26:27], 0x260
	s_waitcnt_depctr 0xfff
	v_mul_f64 v[30:31], v[26:27], v[28:29]
	v_mul_f64 v[28:29], v[28:29], 0.5
	v_fma_f64 v[32:33], -v[28:29], v[30:31], 0.5
	s_delay_alu instid0(VALU_DEP_1) | instskip(SKIP_1) | instid1(VALU_DEP_2)
	v_fma_f64 v[30:31], v[30:31], v[32:33], v[30:31]
	v_fma_f64 v[28:29], v[28:29], v[32:33], v[28:29]
	v_fma_f64 v[32:33], -v[30:31], v[30:31], v[26:27]
	s_delay_alu instid0(VALU_DEP_1) | instskip(NEXT) | instid1(VALU_DEP_1)
	v_fma_f64 v[30:31], v[32:33], v[28:29], v[30:31]
	v_fma_f64 v[32:33], -v[30:31], v[30:31], v[26:27]
	s_delay_alu instid0(VALU_DEP_1) | instskip(SKIP_2) | instid1(VALU_DEP_1)
	v_fma_f64 v[28:29], v[32:33], v[28:29], v[30:31]
	v_add_f64 v[30:31], v[24:25], v[24:25]
	v_fma_f64 v[32:33], v[22:23], v[22:23], -v[14:15]
	v_fma_f64 v[30:31], v[22:23], v[30:31], v[32:33]
	s_delay_alu instid0(VALU_DEP_1) | instskip(NEXT) | instid1(VALU_DEP_1)
	v_add_f64 v[14:15], v[14:15], v[30:31]
	v_fma_f64 v[30:31], v[14:15], s[24:25], s[22:23]
	s_mov_b32 s22, 0x90a8aae0
	s_mov_b32 s23, 0x3f17746f
	s_delay_alu instid0(VALU_DEP_1) | instid1(SALU_CYCLE_1)
	v_fma_f64 v[30:31], v[14:15], v[30:31], s[22:23]
	s_mov_b32 s22, 0xa6fbf144
	s_mov_b32 s23, 0xbefbb44d
	s_delay_alu instid0(VALU_DEP_1) | instid1(SALU_CYCLE_1)
	;; [unrolled: 4-line block ×3, first 2 shown]
	v_fma_f64 v[30:31], v[14:15], v[30:31], s[22:23]
	s_delay_alu instid0(VALU_DEP_1) | instskip(NEXT) | instid1(VALU_DEP_1)
	v_fma_f64 v[30:31], v[14:15], v[30:31], s[26:27]
	v_fma_f64 v[30:31], v[14:15], v[30:31], s[28:29]
	s_delay_alu instid0(VALU_DEP_1) | instskip(NEXT) | instid1(VALU_DEP_1)
	v_fma_f64 v[30:31], v[14:15], v[30:31], s[30:31]
	;; [unrolled: 3-line block ×5, first 2 shown]
	v_mul_f64 v[14:15], v[14:15], v[30:31]
	s_delay_alu instid0(VALU_DEP_1) | instskip(NEXT) | instid1(VALU_DEP_1)
	v_mul_f64 v[30:31], v[22:23], v[14:15]
	v_fma_f64 v[14:15], v[22:23], v[14:15], -v[30:31]
	s_delay_alu instid0(VALU_DEP_1) | instskip(SKIP_1) | instid1(VALU_DEP_1)
	v_add_f64 v[14:15], v[24:25], v[14:15]
	v_add_f64 v[24:25], v[22:23], v[30:31]
	v_add_f64 v[22:23], v[24:25], -v[22:23]
	s_delay_alu instid0(VALU_DEP_1) | instskip(NEXT) | instid1(VALU_DEP_1)
	v_add_f64 v[22:23], v[30:31], -v[22:23]
	v_add_f64 v[14:15], v[14:15], v[22:23]
	s_delay_alu instid0(VALU_DEP_1) | instskip(NEXT) | instid1(VALU_DEP_1)
	v_add_f64 v[22:23], v[24:25], v[14:15]
	v_rcp_f64_e32 v[30:31], v[22:23]
	v_add_f64 v[24:25], v[22:23], -v[24:25]
	s_delay_alu instid0(VALU_DEP_1) | instskip(SKIP_2) | instid1(VALU_DEP_1)
	v_add_f64 v[14:15], v[14:15], -v[24:25]
	s_waitcnt_depctr 0xfff
	v_fma_f64 v[32:33], -v[22:23], v[30:31], 1.0
	v_fma_f64 v[30:31], v[32:33], v[30:31], v[30:31]
	s_delay_alu instid0(VALU_DEP_1) | instskip(NEXT) | instid1(VALU_DEP_1)
	v_fma_f64 v[32:33], -v[22:23], v[30:31], 1.0
	v_fma_f64 v[30:31], v[32:33], v[30:31], v[30:31]
	s_delay_alu instid0(VALU_DEP_1) | instskip(NEXT) | instid1(VALU_DEP_1)
	v_mul_f64 v[24:25], v[22:23], v[30:31]
	v_fma_f64 v[32:33], v[30:31], v[22:23], -v[24:25]
	s_delay_alu instid0(VALU_DEP_1) | instskip(NEXT) | instid1(VALU_DEP_1)
	v_fma_f64 v[14:15], v[30:31], v[14:15], v[32:33]
	v_add_f64 v[32:33], v[24:25], v[14:15]
	s_delay_alu instid0(VALU_DEP_1) | instskip(NEXT) | instid1(VALU_DEP_1)
	v_add_f64 v[24:25], v[32:33], -v[24:25]
	v_add_f64 v[14:15], v[24:25], -v[14:15]
	v_add_f64 v[24:25], -v[32:33], 1.0
	s_delay_alu instid0(VALU_DEP_1) | instskip(NEXT) | instid1(VALU_DEP_1)
	v_add_f64 v[34:35], -v[24:25], 1.0
	v_add_f64 v[32:33], v[34:35], -v[32:33]
	s_delay_alu instid0(VALU_DEP_1) | instskip(NEXT) | instid1(VALU_DEP_1)
	v_add_f64 v[14:15], v[14:15], v[32:33]
	v_add_f64 v[14:15], v[24:25], v[14:15]
	s_delay_alu instid0(VALU_DEP_1) | instskip(NEXT) | instid1(VALU_DEP_1)
	v_mul_f64 v[14:15], v[30:31], v[14:15]
	v_add_f64 v[14:15], v[30:31], v[14:15]
	s_delay_alu instid0(VALU_DEP_1) | instskip(NEXT) | instid1(VALU_DEP_2)
	v_xor_b32_e32 v15, 0x80000000, v15
	v_cndmask_b32_e64 v14, v14, v22, s0
	s_delay_alu instid0(VALU_DEP_2) | instskip(SKIP_1) | instid1(VALU_DEP_2)
	v_cndmask_b32_e64 v15, v15, v23, s0
	v_ldexp_f64 v[22:23], v[28:29], v17
	v_xor_b32_e32 v15, v15, v36
	s_delay_alu instid0(VALU_DEP_1) | instskip(NEXT) | instid1(VALU_DEP_3)
	v_fma_f64 v[24:25], v[14:15], v[14:15], 1.0
	v_dual_cndmask_b32 v23, v23, v27 :: v_dual_cndmask_b32 v22, v22, v26
	s_delay_alu instid0(VALU_DEP_2) | instskip(NEXT) | instid1(VALU_DEP_2)
	v_mul_f64 v[26:27], v[12:13], v[24:25]
	v_mul_f64 v[22:23], v[22:23], v[24:25]
	s_delay_alu instid0(VALU_DEP_2) | instskip(NEXT) | instid1(VALU_DEP_2)
	v_fma_f64 v[24:25], v[12:13], v[26:27], 1.0
	v_mul_f64 v[12:13], v[12:13], v[22:23]
	s_delay_alu instid0(VALU_DEP_1) | instskip(NEXT) | instid1(VALU_DEP_1)
	v_div_scale_f64 v[22:23], null, v[24:25], v[24:25], v[12:13]
	v_rcp_f64_e32 v[26:27], v[22:23]
	s_waitcnt_depctr 0xfff
	v_fma_f64 v[28:29], -v[22:23], v[26:27], 1.0
	s_delay_alu instid0(VALU_DEP_1) | instskip(NEXT) | instid1(VALU_DEP_1)
	v_fma_f64 v[26:27], v[26:27], v[28:29], v[26:27]
	v_fma_f64 v[28:29], -v[22:23], v[26:27], 1.0
	s_delay_alu instid0(VALU_DEP_1) | instskip(SKIP_1) | instid1(VALU_DEP_1)
	v_fma_f64 v[26:27], v[26:27], v[28:29], v[26:27]
	v_div_scale_f64 v[28:29], vcc_lo, v[12:13], v[24:25], v[12:13]
	v_mul_f64 v[30:31], v[28:29], v[26:27]
	s_delay_alu instid0(VALU_DEP_1) | instskip(NEXT) | instid1(VALU_DEP_1)
	v_fma_f64 v[22:23], -v[22:23], v[30:31], v[28:29]
	v_div_fmas_f64 v[22:23], v[22:23], v[26:27], v[30:31]
	v_div_scale_f64 v[26:27], null, v[24:25], v[24:25], v[14:15]
	s_delay_alu instid0(VALU_DEP_2) | instskip(NEXT) | instid1(VALU_DEP_2)
	v_div_fixup_f64 v[12:13], v[22:23], v[24:25], v[12:13]
	v_rcp_f64_e32 v[28:29], v[26:27]
	s_waitcnt_depctr 0xfff
	v_fma_f64 v[30:31], -v[26:27], v[28:29], 1.0
	s_delay_alu instid0(VALU_DEP_1) | instskip(NEXT) | instid1(VALU_DEP_1)
	v_fma_f64 v[28:29], v[28:29], v[30:31], v[28:29]
	v_fma_f64 v[30:31], -v[26:27], v[28:29], 1.0
	s_delay_alu instid0(VALU_DEP_1) | instskip(SKIP_1) | instid1(VALU_DEP_1)
	v_fma_f64 v[28:29], v[28:29], v[30:31], v[28:29]
	v_div_scale_f64 v[30:31], vcc_lo, v[14:15], v[24:25], v[14:15]
	v_mul_f64 v[32:33], v[30:31], v[28:29]
	s_delay_alu instid0(VALU_DEP_1) | instskip(NEXT) | instid1(VALU_DEP_1)
	v_fma_f64 v[26:27], -v[26:27], v[32:33], v[30:31]
	v_div_fmas_f64 v[26:27], v[26:27], v[28:29], v[32:33]
	s_delay_alu instid0(VALU_DEP_1)
	v_div_fixup_f64 v[14:15], v[26:27], v[24:25], v[14:15]
.LBB162_264:                            ;   in Loop: Header=BB162_180 Depth=1
	s_and_not1_saveexec_b32 s48, s18
	s_cbranch_execz .LBB162_274
; %bb.265:                              ;   in Loop: Header=BB162_180 Depth=1
	s_delay_alu instid0(VALU_DEP_1) | instskip(NEXT) | instid1(VALU_DEP_1)
	v_cmp_ngt_f64_e64 s18, 0x41d00000, |v[14:15]|
                                        ; implicit-def: $vgpr30
                                        ; implicit-def: $vgpr22_vgpr23
                                        ; implicit-def: $vgpr24_vgpr25
	s_and_saveexec_b32 s0, s18
	s_delay_alu instid0(SALU_CYCLE_1)
	s_xor_b32 s4, exec_lo, s0
	s_cbranch_execz .LBB162_267
; %bb.266:                              ;   in Loop: Header=BB162_180 Depth=1
	v_ldexp_f64 v[22:23], |v[14:15]|, 0xffffff80
	v_cmp_le_f64_e64 vcc_lo, 0x7b000000, |v[14:15]|
	v_trig_preop_f64 v[24:25], |v[14:15]|, 0
	v_and_b32_e32 v17, 0x7fffffff, v15
	v_trig_preop_f64 v[28:29], |v[14:15]|, 1
	v_trig_preop_f64 v[32:33], |v[14:15]|, 2
	s_mov_b32 s0, s2
	s_mov_b32 s7, s5
	v_dual_cndmask_b32 v22, v14, v22 :: v_dual_cndmask_b32 v23, v17, v23
	s_delay_alu instid0(VALU_DEP_1) | instskip(NEXT) | instid1(VALU_DEP_4)
	v_mul_f64 v[26:27], v[24:25], v[22:23]
	v_mul_f64 v[30:31], v[28:29], v[22:23]
	s_delay_alu instid0(VALU_DEP_4) | instskip(NEXT) | instid1(VALU_DEP_3)
	v_mul_f64 v[34:35], v[32:33], v[22:23]
	v_fma_f64 v[24:25], v[24:25], v[22:23], -v[26:27]
	s_delay_alu instid0(VALU_DEP_3) | instskip(NEXT) | instid1(VALU_DEP_3)
	v_fma_f64 v[28:29], v[28:29], v[22:23], -v[30:31]
	v_fma_f64 v[22:23], v[32:33], v[22:23], -v[34:35]
	s_delay_alu instid0(VALU_DEP_3) | instskip(NEXT) | instid1(VALU_DEP_1)
	v_add_f64 v[32:33], v[30:31], v[24:25]
	v_add_f64 v[36:37], v[32:33], -v[30:31]
	s_delay_alu instid0(VALU_DEP_1) | instskip(SKIP_1) | instid1(VALU_DEP_1)
	v_add_f64 v[24:25], v[24:25], -v[36:37]
	v_add_f64 v[36:37], v[32:33], -v[36:37]
	;; [unrolled: 1-line block ×3, first 2 shown]
	v_add_f64 v[36:37], v[26:27], v[32:33]
	s_delay_alu instid0(VALU_DEP_2) | instskip(NEXT) | instid1(VALU_DEP_2)
	v_add_f64 v[24:25], v[24:25], v[30:31]
	v_add_f64 v[26:27], v[36:37], -v[26:27]
	v_add_f64 v[30:31], v[34:35], v[28:29]
	v_ldexp_f64 v[36:37], v[36:37], -2
	s_delay_alu instid0(VALU_DEP_3) | instskip(NEXT) | instid1(VALU_DEP_3)
	v_add_f64 v[26:27], v[32:33], -v[26:27]
	v_add_f64 v[32:33], v[30:31], -v[34:35]
	s_delay_alu instid0(VALU_DEP_3) | instskip(SKIP_1) | instid1(VALU_DEP_3)
	v_cmp_neq_f64_e64 vcc_lo, 0x7ff00000, |v[36:37]|
	v_fract_f64_e32 v[36:37], v[36:37]
	v_add_f64 v[28:29], v[28:29], -v[32:33]
	v_add_f64 v[32:33], v[30:31], -v[32:33]
	s_delay_alu instid0(VALU_DEP_3) | instskip(NEXT) | instid1(VALU_DEP_2)
	v_dual_cndmask_b32 v36, 0, v36 :: v_dual_cndmask_b32 v37, 0, v37
	v_add_f64 v[32:33], v[34:35], -v[32:33]
	v_add_f64 v[34:35], v[30:31], v[24:25]
	s_delay_alu instid0(VALU_DEP_2) | instskip(NEXT) | instid1(VALU_DEP_2)
	v_add_f64 v[28:29], v[28:29], v[32:33]
	v_add_f64 v[38:39], v[34:35], -v[30:31]
	v_add_f64 v[32:33], v[26:27], v[34:35]
	s_delay_alu instid0(VALU_DEP_2) | instskip(SKIP_1) | instid1(VALU_DEP_3)
	v_add_f64 v[24:25], v[24:25], -v[38:39]
	v_add_f64 v[38:39], v[34:35], -v[38:39]
	;; [unrolled: 1-line block ×3, first 2 shown]
	s_delay_alu instid0(VALU_DEP_2) | instskip(NEXT) | instid1(VALU_DEP_2)
	v_add_f64 v[30:31], v[30:31], -v[38:39]
	v_add_f64 v[26:27], v[34:35], -v[26:27]
	s_delay_alu instid0(VALU_DEP_2) | instskip(SKIP_1) | instid1(VALU_DEP_2)
	v_add_f64 v[24:25], v[24:25], v[30:31]
	v_ldexp_f64 v[30:31], v[36:37], 2
	v_add_f64 v[24:25], v[28:29], v[24:25]
	s_delay_alu instid0(VALU_DEP_2) | instskip(NEXT) | instid1(VALU_DEP_2)
	v_add_f64 v[36:37], v[32:33], v[30:31]
	v_add_f64 v[22:23], v[22:23], v[24:25]
	s_delay_alu instid0(VALU_DEP_2) | instskip(NEXT) | instid1(VALU_DEP_2)
	v_cmp_gt_f64_e32 vcc_lo, 0, v[36:37]
	v_add_f64 v[22:23], v[26:27], v[22:23]
	v_cndmask_b32_e64 v17, 0, 0x40100000, vcc_lo
	s_delay_alu instid0(VALU_DEP_1) | instskip(NEXT) | instid1(VALU_DEP_1)
	v_add_f64 v[24:25], v[30:31], v[16:17]
	v_add_f64 v[28:29], v[32:33], v[24:25]
	s_delay_alu instid0(VALU_DEP_1) | instskip(NEXT) | instid1(VALU_DEP_1)
	v_cvt_i32_f64_e32 v30, v[28:29]
	v_cvt_f64_i32_e32 v[28:29], v30
	s_delay_alu instid0(VALU_DEP_1) | instskip(NEXT) | instid1(VALU_DEP_1)
	v_add_f64 v[24:25], v[24:25], -v[28:29]
	v_add_f64 v[26:27], v[32:33], v[24:25]
	s_delay_alu instid0(VALU_DEP_1) | instskip(SKIP_1) | instid1(VALU_DEP_2)
	v_add_f64 v[24:25], v[26:27], -v[24:25]
	v_cmp_le_f64_e32 vcc_lo, 0.5, v[26:27]
	v_add_f64 v[24:25], v[32:33], -v[24:25]
	v_cndmask_b32_e64 v17, 0, 0x3ff00000, vcc_lo
	v_add_co_ci_u32_e32 v30, vcc_lo, 0, v30, vcc_lo
	s_delay_alu instid0(VALU_DEP_2) | instskip(NEXT) | instid1(VALU_DEP_4)
	v_add_f64 v[26:27], v[26:27], -v[16:17]
	v_add_f64 v[22:23], v[22:23], v[24:25]
	s_delay_alu instid0(VALU_DEP_1) | instskip(NEXT) | instid1(VALU_DEP_1)
	v_add_f64 v[24:25], v[26:27], v[22:23]
	v_add_f64 v[26:27], v[24:25], -v[26:27]
	s_delay_alu instid0(VALU_DEP_1) | instskip(SKIP_1) | instid1(VALU_DEP_1)
	v_add_f64 v[22:23], v[22:23], -v[26:27]
	v_mul_f64 v[26:27], v[24:25], s[0:1]
	v_fma_f64 v[28:29], v[24:25], s[0:1], -v[26:27]
	s_delay_alu instid0(VALU_DEP_1) | instskip(NEXT) | instid1(VALU_DEP_1)
	v_fma_f64 v[24:25], v[24:25], s[6:7], v[28:29]
	v_fma_f64 v[24:25], v[22:23], s[0:1], v[24:25]
	s_delay_alu instid0(VALU_DEP_1) | instskip(NEXT) | instid1(VALU_DEP_1)
	v_add_f64 v[22:23], v[26:27], v[24:25]
	v_add_f64 v[26:27], v[22:23], -v[26:27]
	s_delay_alu instid0(VALU_DEP_1)
	v_add_f64 v[24:25], v[24:25], -v[26:27]
	s_and_not1_saveexec_b32 s0, s4
	s_cbranch_execz .LBB162_269
	s_branch .LBB162_268
.LBB162_267:                            ;   in Loop: Header=BB162_180 Depth=1
	s_and_not1_saveexec_b32 s0, s4
	s_cbranch_execz .LBB162_269
.LBB162_268:                            ;   in Loop: Header=BB162_180 Depth=1
	v_mul_f64 v[22:23], |v[14:15]|, s[10:11]
	s_mov_b32 s4, s14
	s_delay_alu instid0(VALU_DEP_1) | instskip(NEXT) | instid1(VALU_DEP_1)
	v_rndne_f64_e32 v[26:27], v[22:23]
	v_fma_f64 v[22:23], v[26:27], s[2:3], |v[14:15]|
	v_mul_f64 v[24:25], v[26:27], s[14:15]
	s_delay_alu instid0(VALU_DEP_2) | instskip(NEXT) | instid1(VALU_DEP_2)
	v_fma_f64 v[30:31], v[26:27], s[14:15], v[22:23]
	v_add_f64 v[28:29], v[22:23], v[24:25]
	s_delay_alu instid0(VALU_DEP_1) | instskip(NEXT) | instid1(VALU_DEP_3)
	v_add_f64 v[22:23], v[22:23], -v[28:29]
	v_add_f64 v[28:29], v[28:29], -v[30:31]
	s_delay_alu instid0(VALU_DEP_2) | instskip(SKIP_1) | instid1(VALU_DEP_2)
	v_add_f64 v[22:23], v[22:23], v[24:25]
	v_fma_f64 v[24:25], v[26:27], s[4:5], v[24:25]
	v_add_f64 v[22:23], v[28:29], v[22:23]
	s_delay_alu instid0(VALU_DEP_1) | instskip(NEXT) | instid1(VALU_DEP_1)
	v_add_f64 v[22:23], v[22:23], -v[24:25]
	v_fma_f64 v[24:25], v[26:27], s[16:17], v[22:23]
	s_delay_alu instid0(VALU_DEP_1) | instskip(NEXT) | instid1(VALU_DEP_1)
	v_add_f64 v[22:23], v[30:31], v[24:25]
	v_add_f64 v[28:29], v[22:23], -v[30:31]
	v_cvt_i32_f64_e32 v30, v[26:27]
	s_delay_alu instid0(VALU_DEP_2)
	v_add_f64 v[24:25], v[24:25], -v[28:29]
.LBB162_269:                            ;   in Loop: Header=BB162_180 Depth=1
	s_or_b32 exec_lo, exec_lo, s0
                                        ; implicit-def: $vgpr17
                                        ; implicit-def: $vgpr26_vgpr27
                                        ; implicit-def: $vgpr28_vgpr29
	s_and_saveexec_b32 s0, s18
	s_delay_alu instid0(SALU_CYCLE_1)
	s_xor_b32 s4, exec_lo, s0
	s_cbranch_execz .LBB162_271
; %bb.270:                              ;   in Loop: Header=BB162_180 Depth=1
	v_ldexp_f64 v[26:27], |v[14:15]|, 0xffffff80
	v_cmp_le_f64_e64 vcc_lo, 0x7b000000, |v[14:15]|
	v_trig_preop_f64 v[28:29], |v[14:15]|, 0
	v_and_b32_e32 v17, 0x7fffffff, v15
	v_trig_preop_f64 v[33:34], |v[14:15]|, 1
	v_trig_preop_f64 v[37:38], |v[14:15]|, 2
	s_mov_b32 s0, s2
	s_mov_b32 s7, s5
	v_dual_cndmask_b32 v26, v14, v26 :: v_dual_cndmask_b32 v27, v17, v27
	s_delay_alu instid0(VALU_DEP_1) | instskip(NEXT) | instid1(VALU_DEP_4)
	v_mul_f64 v[31:32], v[28:29], v[26:27]
	v_mul_f64 v[35:36], v[33:34], v[26:27]
	s_delay_alu instid0(VALU_DEP_4) | instskip(NEXT) | instid1(VALU_DEP_3)
	v_mul_f64 v[39:40], v[37:38], v[26:27]
	v_fma_f64 v[28:29], v[28:29], v[26:27], -v[31:32]
	s_delay_alu instid0(VALU_DEP_3) | instskip(NEXT) | instid1(VALU_DEP_3)
	v_fma_f64 v[33:34], v[33:34], v[26:27], -v[35:36]
	v_fma_f64 v[26:27], v[37:38], v[26:27], -v[39:40]
	s_delay_alu instid0(VALU_DEP_3) | instskip(NEXT) | instid1(VALU_DEP_1)
	v_add_f64 v[37:38], v[35:36], v[28:29]
	v_add_f64 v[41:42], v[37:38], -v[35:36]
	s_delay_alu instid0(VALU_DEP_1) | instskip(SKIP_1) | instid1(VALU_DEP_1)
	v_add_f64 v[28:29], v[28:29], -v[41:42]
	v_add_f64 v[41:42], v[37:38], -v[41:42]
	;; [unrolled: 1-line block ×3, first 2 shown]
	v_add_f64 v[41:42], v[31:32], v[37:38]
	s_delay_alu instid0(VALU_DEP_2) | instskip(NEXT) | instid1(VALU_DEP_2)
	v_add_f64 v[28:29], v[28:29], v[35:36]
	v_add_f64 v[31:32], v[41:42], -v[31:32]
	v_add_f64 v[35:36], v[39:40], v[33:34]
	v_ldexp_f64 v[41:42], v[41:42], -2
	s_delay_alu instid0(VALU_DEP_3) | instskip(NEXT) | instid1(VALU_DEP_3)
	v_add_f64 v[31:32], v[37:38], -v[31:32]
	v_add_f64 v[37:38], v[35:36], -v[39:40]
	s_delay_alu instid0(VALU_DEP_3) | instskip(SKIP_1) | instid1(VALU_DEP_3)
	v_cmp_neq_f64_e64 vcc_lo, 0x7ff00000, |v[41:42]|
	v_fract_f64_e32 v[41:42], v[41:42]
	v_add_f64 v[33:34], v[33:34], -v[37:38]
	v_add_f64 v[37:38], v[35:36], -v[37:38]
	s_delay_alu instid0(VALU_DEP_3) | instskip(NEXT) | instid1(VALU_DEP_2)
	v_dual_cndmask_b32 v42, 0, v42 :: v_dual_cndmask_b32 v41, 0, v41
	v_add_f64 v[37:38], v[39:40], -v[37:38]
	v_add_f64 v[39:40], v[35:36], v[28:29]
	s_delay_alu instid0(VALU_DEP_2) | instskip(NEXT) | instid1(VALU_DEP_2)
	v_add_f64 v[33:34], v[33:34], v[37:38]
	v_add_f64 v[43:44], v[39:40], -v[35:36]
	v_add_f64 v[37:38], v[31:32], v[39:40]
	s_delay_alu instid0(VALU_DEP_2) | instskip(SKIP_1) | instid1(VALU_DEP_3)
	v_add_f64 v[28:29], v[28:29], -v[43:44]
	v_add_f64 v[43:44], v[39:40], -v[43:44]
	;; [unrolled: 1-line block ×3, first 2 shown]
	s_delay_alu instid0(VALU_DEP_2) | instskip(NEXT) | instid1(VALU_DEP_2)
	v_add_f64 v[35:36], v[35:36], -v[43:44]
	v_add_f64 v[31:32], v[39:40], -v[31:32]
	s_delay_alu instid0(VALU_DEP_2) | instskip(SKIP_1) | instid1(VALU_DEP_2)
	v_add_f64 v[28:29], v[28:29], v[35:36]
	v_ldexp_f64 v[35:36], v[41:42], 2
	v_add_f64 v[28:29], v[33:34], v[28:29]
	s_delay_alu instid0(VALU_DEP_2) | instskip(NEXT) | instid1(VALU_DEP_2)
	v_add_f64 v[41:42], v[37:38], v[35:36]
	v_add_f64 v[26:27], v[26:27], v[28:29]
	s_delay_alu instid0(VALU_DEP_2) | instskip(NEXT) | instid1(VALU_DEP_2)
	v_cmp_gt_f64_e32 vcc_lo, 0, v[41:42]
	v_add_f64 v[26:27], v[31:32], v[26:27]
	v_cndmask_b32_e64 v17, 0, 0x40100000, vcc_lo
	s_delay_alu instid0(VALU_DEP_1) | instskip(NEXT) | instid1(VALU_DEP_1)
	v_add_f64 v[28:29], v[35:36], v[16:17]
	v_add_f64 v[33:34], v[37:38], v[28:29]
	s_delay_alu instid0(VALU_DEP_1) | instskip(NEXT) | instid1(VALU_DEP_1)
	v_cvt_i32_f64_e32 v35, v[33:34]
	v_cvt_f64_i32_e32 v[33:34], v35
	s_delay_alu instid0(VALU_DEP_1) | instskip(NEXT) | instid1(VALU_DEP_1)
	v_add_f64 v[28:29], v[28:29], -v[33:34]
	v_add_f64 v[31:32], v[37:38], v[28:29]
	s_delay_alu instid0(VALU_DEP_1) | instskip(SKIP_1) | instid1(VALU_DEP_2)
	v_add_f64 v[28:29], v[31:32], -v[28:29]
	v_cmp_le_f64_e32 vcc_lo, 0.5, v[31:32]
	v_add_f64 v[28:29], v[37:38], -v[28:29]
	v_cndmask_b32_e64 v17, 0, 0x3ff00000, vcc_lo
	s_delay_alu instid0(VALU_DEP_1) | instskip(SKIP_1) | instid1(VALU_DEP_4)
	v_add_f64 v[31:32], v[31:32], -v[16:17]
	v_add_co_ci_u32_e32 v17, vcc_lo, 0, v35, vcc_lo
	v_add_f64 v[26:27], v[26:27], v[28:29]
	s_delay_alu instid0(VALU_DEP_1) | instskip(NEXT) | instid1(VALU_DEP_1)
	v_add_f64 v[28:29], v[31:32], v[26:27]
	v_add_f64 v[31:32], v[28:29], -v[31:32]
	s_delay_alu instid0(VALU_DEP_1) | instskip(SKIP_1) | instid1(VALU_DEP_1)
	v_add_f64 v[26:27], v[26:27], -v[31:32]
	v_mul_f64 v[31:32], v[28:29], s[0:1]
	v_fma_f64 v[33:34], v[28:29], s[0:1], -v[31:32]
	s_delay_alu instid0(VALU_DEP_1) | instskip(NEXT) | instid1(VALU_DEP_1)
	v_fma_f64 v[28:29], v[28:29], s[6:7], v[33:34]
	v_fma_f64 v[28:29], v[26:27], s[0:1], v[28:29]
	s_delay_alu instid0(VALU_DEP_1) | instskip(NEXT) | instid1(VALU_DEP_1)
	v_add_f64 v[26:27], v[31:32], v[28:29]
	v_add_f64 v[31:32], v[26:27], -v[31:32]
	s_delay_alu instid0(VALU_DEP_1)
	v_add_f64 v[28:29], v[28:29], -v[31:32]
	s_and_not1_saveexec_b32 s0, s4
	s_cbranch_execnz .LBB162_272
	s_branch .LBB162_273
.LBB162_271:                            ;   in Loop: Header=BB162_180 Depth=1
	s_and_not1_saveexec_b32 s0, s4
	s_cbranch_execz .LBB162_273
.LBB162_272:                            ;   in Loop: Header=BB162_180 Depth=1
	v_mul_f64 v[26:27], |v[14:15]|, s[10:11]
	s_mov_b32 s4, s14
	s_delay_alu instid0(VALU_DEP_1) | instskip(NEXT) | instid1(VALU_DEP_1)
	v_rndne_f64_e32 v[31:32], v[26:27]
	v_fma_f64 v[26:27], v[31:32], s[2:3], |v[14:15]|
	v_mul_f64 v[28:29], v[31:32], s[14:15]
	v_cvt_i32_f64_e32 v17, v[31:32]
	s_delay_alu instid0(VALU_DEP_3) | instskip(NEXT) | instid1(VALU_DEP_3)
	v_fma_f64 v[35:36], v[31:32], s[14:15], v[26:27]
	v_add_f64 v[33:34], v[26:27], v[28:29]
	s_delay_alu instid0(VALU_DEP_1) | instskip(NEXT) | instid1(VALU_DEP_3)
	v_add_f64 v[26:27], v[26:27], -v[33:34]
	v_add_f64 v[33:34], v[33:34], -v[35:36]
	s_delay_alu instid0(VALU_DEP_2) | instskip(SKIP_1) | instid1(VALU_DEP_2)
	v_add_f64 v[26:27], v[26:27], v[28:29]
	v_fma_f64 v[28:29], v[31:32], s[4:5], v[28:29]
	v_add_f64 v[26:27], v[33:34], v[26:27]
	s_delay_alu instid0(VALU_DEP_1) | instskip(NEXT) | instid1(VALU_DEP_1)
	v_add_f64 v[26:27], v[26:27], -v[28:29]
	v_fma_f64 v[28:29], v[31:32], s[16:17], v[26:27]
	s_delay_alu instid0(VALU_DEP_1) | instskip(NEXT) | instid1(VALU_DEP_1)
	v_add_f64 v[26:27], v[35:36], v[28:29]
	v_add_f64 v[33:34], v[26:27], -v[35:36]
	s_delay_alu instid0(VALU_DEP_1)
	v_add_f64 v[28:29], v[28:29], -v[33:34]
.LBB162_273:                            ;   in Loop: Header=BB162_180 Depth=1
	s_or_b32 exec_lo, exec_lo, s0
	v_mul_f64 v[31:32], |v[12:13]|, s[54:55]
	v_mul_f64 v[37:38], v[22:23], v[22:23]
	v_mul_f64 v[39:40], v[26:27], v[26:27]
	s_delay_alu instid0(VALU_DEP_4)
	v_mul_f64 v[55:56], v[24:25], 0.5
	v_mul_f64 v[63:64], v[28:29], 0.5
	s_mov_b32 s103, s73
	s_mov_b32 s75, s13
	;; [unrolled: 1-line block ×4, first 2 shown]
	v_rndne_f64_e32 v[31:32], v[31:32]
	v_fma_f64 v[41:42], v[37:38], s[94:95], s[92:93]
	v_fma_f64 v[43:44], v[39:40], s[94:95], s[92:93]
	;; [unrolled: 1-line block ×3, first 2 shown]
	v_mul_f64 v[47:48], v[37:38], 0.5
	v_mul_f64 v[49:50], v[39:40], 0.5
	v_fma_f64 v[51:52], v[39:40], s[84:85], s[82:83]
	v_mul_f64 v[57:58], v[22:23], -v[37:38]
	v_mul_f64 v[65:66], v[26:27], -v[39:40]
	v_fma_f64 v[33:34], v[31:32], s[46:47], -|v[12:13]|
	v_fma_f64 v[41:42], v[37:38], v[41:42], s[96:97]
	v_fma_f64 v[43:44], v[39:40], v[43:44], s[96:97]
	;; [unrolled: 1-line block ×3, first 2 shown]
	v_add_f64 v[53:54], -v[47:48], 1.0
	v_add_f64 v[59:60], -v[49:50], 1.0
	v_fma_f64 v[51:52], v[39:40], v[51:52], s[86:87]
	v_fma_f64 v[33:34], v[31:32], s[50:51], v[33:34]
	;; [unrolled: 1-line block ×5, first 2 shown]
	v_add_f64 v[61:62], -v[53:54], 1.0
	v_add_f64 v[67:68], -v[59:60], 1.0
	v_fma_f64 v[51:52], v[39:40], v[51:52], s[88:89]
	v_fma_f64 v[35:36], v[33:34], s[62:63], s[60:61]
	;; [unrolled: 1-line block ×5, first 2 shown]
	v_add_f64 v[47:48], v[61:62], -v[47:48]
	v_add_f64 v[49:50], v[67:68], -v[49:50]
	v_fma_f64 v[51:52], v[39:40], v[51:52], s[90:91]
	v_fma_f64 v[35:36], v[33:34], v[35:36], s[64:65]
	;; [unrolled: 1-line block ×4, first 2 shown]
	v_mul_f64 v[55:56], v[37:38], v[37:38]
	v_fma_f64 v[45:46], v[37:38], v[45:46], s[12:13]
	v_fma_f64 v[47:48], v[22:23], -v[24:25], v[47:48]
	v_fma_f64 v[35:36], v[33:34], v[35:36], s[66:67]
	v_fma_f64 v[24:25], v[37:38], v[41:42], -v[24:25]
	v_fma_f64 v[37:38], v[39:40], v[43:44], -v[28:29]
	v_mul_f64 v[41:42], v[39:40], v[39:40]
	v_fma_f64 v[39:40], v[39:40], v[51:52], s[12:13]
	v_fma_f64 v[28:29], v[26:27], -v[28:29], v[49:50]
	v_fma_f64 v[43:44], v[55:56], v[45:46], v[47:48]
	v_fma_f64 v[35:36], v[33:34], v[35:36], s[68:69]
	;; [unrolled: 1-line block ×5, first 2 shown]
	v_add_f64 v[39:40], v[53:54], v[43:44]
	v_fma_f64 v[35:36], v[33:34], v[35:36], s[70:71]
	v_add_f64 v[22:23], v[22:23], -v[24:25]
	v_add_f64 v[26:27], v[26:27], -v[37:38]
	v_lshlrev_b32_e32 v14, 30, v30
	s_delay_alu instid0(VALU_DEP_4) | instskip(NEXT) | instid1(VALU_DEP_3)
	v_fma_f64 v[35:36], v[33:34], v[35:36], s[102:103]
	v_xor_b32_e32 v27, 0x80000000, v27
	v_and_b32_e32 v30, 1, v30
	s_delay_alu instid0(VALU_DEP_1) | instskip(SKIP_2) | instid1(VALU_DEP_1)
	v_cmp_eq_u32_e32 vcc_lo, 0, v30
	v_dual_cndmask_b32 v23, v40, v23 :: v_dual_cndmask_b32 v22, v39, v22
	v_fma_f64 v[35:36], v[33:34], v[35:36], s[74:75]
	v_fma_f64 v[35:36], v[33:34], v[35:36], s[76:77]
	s_delay_alu instid0(VALU_DEP_1) | instskip(NEXT) | instid1(VALU_DEP_1)
	v_fma_f64 v[35:36], v[33:34], v[35:36], s[78:79]
	v_fma_f64 v[24:25], v[33:34], v[35:36], 1.0
	v_xor_b32_e32 v35, v14, v15
	v_add_f64 v[14:15], v[59:60], v[28:29]
	v_cvt_i32_f64_e32 v29, v[31:32]
	s_delay_alu instid0(VALU_DEP_4) | instskip(NEXT) | instid1(VALU_DEP_1)
	v_fma_f64 v[24:25], v[33:34], v[24:25], 1.0
	v_ldexp_f64 v[24:25], v[24:25], v29
	v_and_b32_e32 v28, 0x80000000, v35
	s_delay_alu instid0(VALU_DEP_1) | instskip(SKIP_2) | instid1(VALU_DEP_3)
	v_xor_b32_e32 v23, v23, v28
	v_and_b32_e32 v28, 1, v17
	v_lshlrev_b32_e32 v17, 30, v17
	v_mul_f64 v[22:23], v[22:23], 4.0
	s_delay_alu instid0(VALU_DEP_3) | instskip(NEXT) | instid1(VALU_DEP_3)
	v_cmp_eq_u32_e32 vcc_lo, 0, v28
	v_dual_cndmask_b32 v14, v26, v14 :: v_dual_and_b32 v17, 0x80000000, v17
	v_cndmask_b32_e32 v15, v27, v15, vcc_lo
	v_cmp_nlt_f64_e64 vcc_lo, 0x4090cc00, |v[12:13]|
	s_delay_alu instid0(VALU_DEP_2) | instskip(SKIP_1) | instid1(VALU_DEP_1)
	v_xor_b32_e32 v15, v15, v17
	v_bfi_b32 v17, 0x7fffffff, s0, v13
	v_dual_mov_b32 v12, v16 :: v_dual_mov_b32 v13, v17
	s_delay_alu instid0(VALU_DEP_3) | instskip(SKIP_1) | instid1(VALU_DEP_1)
	v_mul_f64 v[14:15], v[22:23], v[14:15]
	v_dual_cndmask_b32 v23, 0, v25 :: v_dual_cndmask_b32 v22, 0, v24
	v_mul_f64 v[14:15], v[22:23], v[14:15]
	s_delay_alu instid0(VALU_DEP_1)
	v_mul_f64 v[14:15], v[22:23], v[14:15]
.LBB162_274:                            ;   in Loop: Header=BB162_180 Depth=1
	s_or_b32 exec_lo, exec_lo, s48
.LBB162_275:                            ;   in Loop: Header=BB162_180 Depth=1
	s_and_not1_saveexec_b32 s0, s21
; %bb.276:                              ;   in Loop: Header=BB162_180 Depth=1
	s_delay_alu instid0(VALU_DEP_1) | instskip(NEXT) | instid1(VALU_DEP_1)
	v_add_f64 v[14:15], v[14:15], -v[14:15]
	v_dual_mov_b32 v12, v14 :: v_dual_mov_b32 v13, v15
; %bb.277:                              ;   in Loop: Header=BB162_180 Depth=1
	s_or_b32 exec_lo, exec_lo, s0
.LBB162_278:                            ;   in Loop: Header=BB162_180 Depth=1
	s_and_not1_saveexec_b32 s20, s20
	s_cbranch_execz .LBB162_294
; %bb.279:                              ;   in Loop: Header=BB162_180 Depth=1
	s_delay_alu instid0(VALU_DEP_1) | instskip(SKIP_1) | instid1(VALU_DEP_1)
	v_and_or_b32 v17, 0xfffff, v13, v12
	s_mov_b32 s0, exec_lo
	v_cmpx_ne_u32_e32 0, v17
	s_xor_b32 s0, exec_lo, s0
; %bb.280:                              ;   in Loop: Header=BB162_180 Depth=1
	v_mul_f64 v[22:23], v[12:13], v[14:15]
	v_cmp_eq_f64_e32 vcc_lo, 0, v[14:15]
	s_delay_alu instid0(VALU_DEP_2)
	v_dual_cndmask_b32 v15, v23, v15 :: v_dual_cndmask_b32 v14, v22, v14
; %bb.281:                              ;   in Loop: Header=BB162_180 Depth=1
	s_and_not1_saveexec_b32 s21, s0
	s_cbranch_execz .LBB162_293
; %bb.282:                              ;   in Loop: Header=BB162_180 Depth=1
	s_mov_b32 s48, exec_lo
	s_delay_alu instid0(VALU_DEP_1)
	v_cmpx_neq_f64_e64 0x7ff00000, |v[14:15]|
	s_cbranch_execz .LBB162_292
; %bb.283:                              ;   in Loop: Header=BB162_180 Depth=1
	v_cmp_ngt_f64_e64 s18, 0x41d00000, |v[14:15]|
	v_trig_preop_f64 v[30:31], |v[14:15]|, 0
	v_trig_preop_f64 v[28:29], |v[14:15]|, 1
	v_ldexp_f64 v[32:33], |v[14:15]|, 0xffffff80
	v_trig_preop_f64 v[26:27], |v[14:15]|, 2
	v_and_b32_e32 v39, 0x7fffffff, v15
                                        ; implicit-def: $vgpr38
                                        ; implicit-def: $vgpr22_vgpr23
                                        ; implicit-def: $vgpr24_vgpr25
	s_and_saveexec_b32 s0, s18
	s_delay_alu instid0(SALU_CYCLE_1)
	s_xor_b32 s4, exec_lo, s0
	s_cbranch_execz .LBB162_285
; %bb.284:                              ;   in Loop: Header=BB162_180 Depth=1
	v_cmp_le_f64_e64 vcc_lo, 0x7b000000, |v[14:15]|
	s_mov_b32 s0, s2
	s_mov_b32 s7, s5
	s_delay_alu instid0(VALU_DEP_4) | instskip(NEXT) | instid1(VALU_DEP_1)
	v_dual_cndmask_b32 v23, v39, v33 :: v_dual_cndmask_b32 v22, v14, v32
	v_mul_f64 v[24:25], v[30:31], v[22:23]
	v_mul_f64 v[34:35], v[28:29], v[22:23]
	s_delay_alu instid0(VALU_DEP_2) | instskip(NEXT) | instid1(VALU_DEP_1)
	v_fma_f64 v[36:37], v[30:31], v[22:23], -v[24:25]
	v_add_f64 v[40:41], v[34:35], v[36:37]
	s_delay_alu instid0(VALU_DEP_1) | instskip(SKIP_1) | instid1(VALU_DEP_2)
	v_add_f64 v[42:43], v[40:41], -v[34:35]
	v_add_f64 v[44:45], v[24:25], v[40:41]
	v_add_f64 v[36:37], v[36:37], -v[42:43]
	s_delay_alu instid0(VALU_DEP_2) | instskip(SKIP_1) | instid1(VALU_DEP_2)
	v_add_f64 v[24:25], v[44:45], -v[24:25]
	v_add_f64 v[42:43], v[40:41], -v[42:43]
	;; [unrolled: 1-line block ×3, first 2 shown]
	s_delay_alu instid0(VALU_DEP_2) | instskip(SKIP_2) | instid1(VALU_DEP_3)
	v_add_f64 v[40:41], v[34:35], -v[42:43]
	v_fma_f64 v[34:35], v[28:29], v[22:23], -v[34:35]
	v_mul_f64 v[42:43], v[26:27], v[22:23]
	v_add_f64 v[36:37], v[36:37], v[40:41]
	v_ldexp_f64 v[40:41], v[44:45], -2
	s_delay_alu instid0(VALU_DEP_3) | instskip(SKIP_1) | instid1(VALU_DEP_3)
	v_add_f64 v[44:45], v[42:43], v[34:35]
	v_fma_f64 v[22:23], v[26:27], v[22:23], -v[42:43]
	v_cmp_neq_f64_e64 vcc_lo, 0x7ff00000, |v[40:41]|
	s_delay_alu instid0(VALU_DEP_3) | instskip(SKIP_2) | instid1(VALU_DEP_3)
	v_add_f64 v[48:49], v[44:45], v[36:37]
	v_add_f64 v[46:47], v[44:45], -v[42:43]
	v_fract_f64_e32 v[40:41], v[40:41]
	v_add_f64 v[50:51], v[48:49], -v[44:45]
	s_delay_alu instid0(VALU_DEP_3) | instskip(SKIP_1) | instid1(VALU_DEP_4)
	v_add_f64 v[34:35], v[34:35], -v[46:47]
	v_add_f64 v[46:47], v[44:45], -v[46:47]
	v_dual_cndmask_b32 v41, 0, v41 :: v_dual_cndmask_b32 v40, 0, v40
	s_delay_alu instid0(VALU_DEP_1) | instskip(SKIP_4) | instid1(VALU_DEP_3)
	v_ldexp_f64 v[40:41], v[40:41], 2
	v_add_f64 v[36:37], v[36:37], -v[50:51]
	v_add_f64 v[50:51], v[48:49], -v[50:51]
	;; [unrolled: 1-line block ×3, first 2 shown]
	v_add_f64 v[42:43], v[24:25], v[48:49]
	v_add_f64 v[44:45], v[44:45], -v[50:51]
	s_delay_alu instid0(VALU_DEP_3) | instskip(NEXT) | instid1(VALU_DEP_3)
	v_add_f64 v[34:35], v[34:35], v[46:47]
	v_add_f64 v[24:25], v[42:43], -v[24:25]
	s_delay_alu instid0(VALU_DEP_3) | instskip(SKIP_1) | instid1(VALU_DEP_3)
	v_add_f64 v[36:37], v[36:37], v[44:45]
	v_add_f64 v[44:45], v[42:43], v[40:41]
	v_add_f64 v[24:25], v[48:49], -v[24:25]
	s_delay_alu instid0(VALU_DEP_3) | instskip(NEXT) | instid1(VALU_DEP_3)
	v_add_f64 v[34:35], v[34:35], v[36:37]
	v_cmp_gt_f64_e32 vcc_lo, 0, v[44:45]
	s_delay_alu instid0(VALU_DEP_2) | instskip(SKIP_1) | instid1(VALU_DEP_1)
	v_add_f64 v[22:23], v[22:23], v[34:35]
	v_cndmask_b32_e64 v17, 0, 0x40100000, vcc_lo
	v_add_f64 v[34:35], v[40:41], v[16:17]
	s_delay_alu instid0(VALU_DEP_3) | instskip(NEXT) | instid1(VALU_DEP_2)
	v_add_f64 v[22:23], v[24:25], v[22:23]
	v_add_f64 v[36:37], v[42:43], v[34:35]
	s_delay_alu instid0(VALU_DEP_1) | instskip(NEXT) | instid1(VALU_DEP_1)
	v_cvt_i32_f64_e32 v38, v[36:37]
	v_cvt_f64_i32_e32 v[36:37], v38
	s_delay_alu instid0(VALU_DEP_1) | instskip(NEXT) | instid1(VALU_DEP_1)
	v_add_f64 v[34:35], v[34:35], -v[36:37]
	v_add_f64 v[24:25], v[42:43], v[34:35]
	s_delay_alu instid0(VALU_DEP_1) | instskip(SKIP_1) | instid1(VALU_DEP_2)
	v_add_f64 v[34:35], v[24:25], -v[34:35]
	v_cmp_le_f64_e32 vcc_lo, 0.5, v[24:25]
	v_add_f64 v[34:35], v[42:43], -v[34:35]
	v_cndmask_b32_e64 v17, 0, 0x3ff00000, vcc_lo
	v_add_co_ci_u32_e32 v38, vcc_lo, 0, v38, vcc_lo
	s_delay_alu instid0(VALU_DEP_2) | instskip(NEXT) | instid1(VALU_DEP_4)
	v_add_f64 v[24:25], v[24:25], -v[16:17]
	v_add_f64 v[22:23], v[22:23], v[34:35]
	s_delay_alu instid0(VALU_DEP_1) | instskip(NEXT) | instid1(VALU_DEP_1)
	v_add_f64 v[34:35], v[24:25], v[22:23]
	v_add_f64 v[24:25], v[34:35], -v[24:25]
	s_delay_alu instid0(VALU_DEP_1) | instskip(SKIP_1) | instid1(VALU_DEP_1)
	v_add_f64 v[22:23], v[22:23], -v[24:25]
	v_mul_f64 v[24:25], v[34:35], s[0:1]
	v_fma_f64 v[36:37], v[34:35], s[0:1], -v[24:25]
	s_delay_alu instid0(VALU_DEP_1) | instskip(NEXT) | instid1(VALU_DEP_1)
	v_fma_f64 v[34:35], v[34:35], s[6:7], v[36:37]
	v_fma_f64 v[34:35], v[22:23], s[0:1], v[34:35]
	s_delay_alu instid0(VALU_DEP_1) | instskip(NEXT) | instid1(VALU_DEP_1)
	v_add_f64 v[22:23], v[24:25], v[34:35]
	v_add_f64 v[24:25], v[22:23], -v[24:25]
	s_delay_alu instid0(VALU_DEP_1)
	v_add_f64 v[24:25], v[34:35], -v[24:25]
	s_and_not1_saveexec_b32 s0, s4
	s_cbranch_execz .LBB162_287
	s_branch .LBB162_286
.LBB162_285:                            ;   in Loop: Header=BB162_180 Depth=1
	s_and_not1_saveexec_b32 s0, s4
	s_cbranch_execz .LBB162_287
.LBB162_286:                            ;   in Loop: Header=BB162_180 Depth=1
	v_mul_f64 v[22:23], |v[14:15]|, s[10:11]
	s_mov_b32 s4, s14
	s_delay_alu instid0(VALU_DEP_1) | instskip(NEXT) | instid1(VALU_DEP_1)
	v_rndne_f64_e32 v[34:35], v[22:23]
	v_fma_f64 v[22:23], v[34:35], s[2:3], |v[14:15]|
	v_mul_f64 v[24:25], v[34:35], s[14:15]
	v_cvt_i32_f64_e32 v38, v[34:35]
	s_delay_alu instid0(VALU_DEP_3) | instskip(NEXT) | instid1(VALU_DEP_3)
	v_fma_f64 v[40:41], v[34:35], s[14:15], v[22:23]
	v_add_f64 v[36:37], v[22:23], v[24:25]
	s_delay_alu instid0(VALU_DEP_1) | instskip(NEXT) | instid1(VALU_DEP_3)
	v_add_f64 v[22:23], v[22:23], -v[36:37]
	v_add_f64 v[36:37], v[36:37], -v[40:41]
	s_delay_alu instid0(VALU_DEP_2) | instskip(SKIP_1) | instid1(VALU_DEP_2)
	v_add_f64 v[22:23], v[22:23], v[24:25]
	v_fma_f64 v[24:25], v[34:35], s[4:5], v[24:25]
	v_add_f64 v[22:23], v[36:37], v[22:23]
	s_delay_alu instid0(VALU_DEP_1) | instskip(NEXT) | instid1(VALU_DEP_1)
	v_add_f64 v[22:23], v[22:23], -v[24:25]
	v_fma_f64 v[24:25], v[34:35], s[16:17], v[22:23]
	s_delay_alu instid0(VALU_DEP_1) | instskip(NEXT) | instid1(VALU_DEP_1)
	v_add_f64 v[22:23], v[40:41], v[24:25]
	v_add_f64 v[36:37], v[22:23], -v[40:41]
	s_delay_alu instid0(VALU_DEP_1)
	v_add_f64 v[24:25], v[24:25], -v[36:37]
.LBB162_287:                            ;   in Loop: Header=BB162_180 Depth=1
	s_or_b32 exec_lo, exec_lo, s0
                                        ; implicit-def: $vgpr17
                                        ; implicit-def: $vgpr34_vgpr35
                                        ; implicit-def: $vgpr36_vgpr37
	s_and_saveexec_b32 s0, s18
	s_delay_alu instid0(SALU_CYCLE_1)
	s_xor_b32 s4, exec_lo, s0
	s_cbranch_execz .LBB162_289
; %bb.288:                              ;   in Loop: Header=BB162_180 Depth=1
	v_cmp_le_f64_e64 vcc_lo, 0x7b000000, |v[14:15]|
	s_mov_b32 s0, s2
	s_mov_b32 s7, s5
	s_delay_alu instid0(VALU_DEP_4) | instskip(NEXT) | instid1(VALU_DEP_1)
	v_dual_cndmask_b32 v33, v39, v33 :: v_dual_cndmask_b32 v32, v14, v32
	v_mul_f64 v[34:35], v[30:31], v[32:33]
	v_mul_f64 v[36:37], v[28:29], v[32:33]
	;; [unrolled: 1-line block ×3, first 2 shown]
	s_delay_alu instid0(VALU_DEP_3) | instskip(NEXT) | instid1(VALU_DEP_3)
	v_fma_f64 v[30:31], v[30:31], v[32:33], -v[34:35]
	v_fma_f64 v[28:29], v[28:29], v[32:33], -v[36:37]
	s_delay_alu instid0(VALU_DEP_3) | instskip(NEXT) | instid1(VALU_DEP_3)
	v_fma_f64 v[26:27], v[26:27], v[32:33], -v[39:40]
	v_add_f64 v[32:33], v[36:37], v[30:31]
	s_delay_alu instid0(VALU_DEP_1) | instskip(NEXT) | instid1(VALU_DEP_1)
	v_add_f64 v[41:42], v[32:33], -v[36:37]
	v_add_f64 v[30:31], v[30:31], -v[41:42]
	;; [unrolled: 1-line block ×3, first 2 shown]
	s_delay_alu instid0(VALU_DEP_1) | instskip(SKIP_1) | instid1(VALU_DEP_2)
	v_add_f64 v[36:37], v[36:37], -v[41:42]
	v_add_f64 v[41:42], v[34:35], v[32:33]
	v_add_f64 v[30:31], v[30:31], v[36:37]
	s_delay_alu instid0(VALU_DEP_2) | instskip(SKIP_1) | instid1(VALU_DEP_2)
	v_add_f64 v[34:35], v[41:42], -v[34:35]
	v_ldexp_f64 v[41:42], v[41:42], -2
	v_add_f64 v[32:33], v[32:33], -v[34:35]
	v_add_f64 v[34:35], v[39:40], v[28:29]
	s_delay_alu instid0(VALU_DEP_3) | instskip(SKIP_1) | instid1(VALU_DEP_3)
	v_cmp_neq_f64_e64 vcc_lo, 0x7ff00000, |v[41:42]|
	v_fract_f64_e32 v[41:42], v[41:42]
	v_add_f64 v[36:37], v[34:35], -v[39:40]
	s_delay_alu instid0(VALU_DEP_2) | instskip(NEXT) | instid1(VALU_DEP_2)
	v_dual_cndmask_b32 v42, 0, v42 :: v_dual_cndmask_b32 v41, 0, v41
	v_add_f64 v[28:29], v[28:29], -v[36:37]
	v_add_f64 v[36:37], v[34:35], -v[36:37]
	s_delay_alu instid0(VALU_DEP_1) | instskip(SKIP_1) | instid1(VALU_DEP_2)
	v_add_f64 v[36:37], v[39:40], -v[36:37]
	v_add_f64 v[39:40], v[34:35], v[30:31]
	v_add_f64 v[28:29], v[28:29], v[36:37]
	s_delay_alu instid0(VALU_DEP_2) | instskip(SKIP_1) | instid1(VALU_DEP_2)
	v_add_f64 v[43:44], v[39:40], -v[34:35]
	v_add_f64 v[36:37], v[32:33], v[39:40]
	v_add_f64 v[30:31], v[30:31], -v[43:44]
	v_add_f64 v[43:44], v[39:40], -v[43:44]
	s_delay_alu instid0(VALU_DEP_1) | instskip(NEXT) | instid1(VALU_DEP_1)
	v_add_f64 v[34:35], v[34:35], -v[43:44]
	v_add_f64 v[30:31], v[30:31], v[34:35]
	v_ldexp_f64 v[34:35], v[41:42], 2
	s_delay_alu instid0(VALU_DEP_2) | instskip(NEXT) | instid1(VALU_DEP_2)
	v_add_f64 v[28:29], v[28:29], v[30:31]
	v_add_f64 v[41:42], v[36:37], v[34:35]
	v_add_f64 v[30:31], v[36:37], -v[32:33]
	s_delay_alu instid0(VALU_DEP_3) | instskip(NEXT) | instid1(VALU_DEP_3)
	v_add_f64 v[26:27], v[26:27], v[28:29]
	v_cmp_gt_f64_e32 vcc_lo, 0, v[41:42]
	s_delay_alu instid0(VALU_DEP_3) | instskip(SKIP_1) | instid1(VALU_DEP_2)
	v_add_f64 v[30:31], v[39:40], -v[30:31]
	v_cndmask_b32_e64 v17, 0, 0x40100000, vcc_lo
	v_add_f64 v[26:27], v[30:31], v[26:27]
	s_delay_alu instid0(VALU_DEP_2) | instskip(NEXT) | instid1(VALU_DEP_1)
	v_add_f64 v[28:29], v[34:35], v[16:17]
	v_add_f64 v[32:33], v[36:37], v[28:29]
	s_delay_alu instid0(VALU_DEP_1) | instskip(NEXT) | instid1(VALU_DEP_1)
	v_cvt_i32_f64_e32 v39, v[32:33]
	v_cvt_f64_i32_e32 v[32:33], v39
	s_delay_alu instid0(VALU_DEP_1) | instskip(NEXT) | instid1(VALU_DEP_1)
	v_add_f64 v[28:29], v[28:29], -v[32:33]
	v_add_f64 v[30:31], v[36:37], v[28:29]
	s_delay_alu instid0(VALU_DEP_1) | instskip(SKIP_1) | instid1(VALU_DEP_2)
	v_add_f64 v[28:29], v[30:31], -v[28:29]
	v_cmp_le_f64_e32 vcc_lo, 0.5, v[30:31]
	v_add_f64 v[28:29], v[36:37], -v[28:29]
	v_cndmask_b32_e64 v17, 0, 0x3ff00000, vcc_lo
	s_delay_alu instid0(VALU_DEP_1) | instskip(SKIP_1) | instid1(VALU_DEP_4)
	v_add_f64 v[30:31], v[30:31], -v[16:17]
	v_add_co_ci_u32_e32 v17, vcc_lo, 0, v39, vcc_lo
	v_add_f64 v[26:27], v[26:27], v[28:29]
	s_delay_alu instid0(VALU_DEP_1) | instskip(NEXT) | instid1(VALU_DEP_1)
	v_add_f64 v[28:29], v[30:31], v[26:27]
	v_add_f64 v[30:31], v[28:29], -v[30:31]
	s_delay_alu instid0(VALU_DEP_1) | instskip(SKIP_1) | instid1(VALU_DEP_1)
	v_add_f64 v[26:27], v[26:27], -v[30:31]
	v_mul_f64 v[30:31], v[28:29], s[0:1]
	v_fma_f64 v[32:33], v[28:29], s[0:1], -v[30:31]
	s_delay_alu instid0(VALU_DEP_1) | instskip(NEXT) | instid1(VALU_DEP_1)
	v_fma_f64 v[28:29], v[28:29], s[6:7], v[32:33]
	v_fma_f64 v[26:27], v[26:27], s[0:1], v[28:29]
	s_delay_alu instid0(VALU_DEP_1) | instskip(NEXT) | instid1(VALU_DEP_1)
	v_add_f64 v[34:35], v[30:31], v[26:27]
	v_add_f64 v[28:29], v[34:35], -v[30:31]
	s_delay_alu instid0(VALU_DEP_1)
	v_add_f64 v[36:37], v[26:27], -v[28:29]
	s_and_not1_saveexec_b32 s0, s4
	s_cbranch_execnz .LBB162_290
	s_branch .LBB162_291
.LBB162_289:                            ;   in Loop: Header=BB162_180 Depth=1
	s_and_not1_saveexec_b32 s0, s4
	s_cbranch_execz .LBB162_291
.LBB162_290:                            ;   in Loop: Header=BB162_180 Depth=1
	v_mul_f64 v[26:27], |v[14:15]|, s[10:11]
	s_mov_b32 s4, s14
	s_delay_alu instid0(VALU_DEP_1) | instskip(NEXT) | instid1(VALU_DEP_1)
	v_rndne_f64_e32 v[26:27], v[26:27]
	v_fma_f64 v[28:29], v[26:27], s[2:3], |v[14:15]|
	v_mul_f64 v[30:31], v[26:27], s[14:15]
	v_cvt_i32_f64_e32 v17, v[26:27]
	s_delay_alu instid0(VALU_DEP_3) | instskip(NEXT) | instid1(VALU_DEP_3)
	v_fma_f64 v[36:37], v[26:27], s[14:15], v[28:29]
	v_add_f64 v[32:33], v[28:29], v[30:31]
	s_delay_alu instid0(VALU_DEP_1) | instskip(NEXT) | instid1(VALU_DEP_3)
	v_add_f64 v[28:29], v[28:29], -v[32:33]
	v_add_f64 v[32:33], v[32:33], -v[36:37]
	s_delay_alu instid0(VALU_DEP_2) | instskip(SKIP_1) | instid1(VALU_DEP_2)
	v_add_f64 v[28:29], v[28:29], v[30:31]
	v_fma_f64 v[30:31], v[26:27], s[4:5], v[30:31]
	v_add_f64 v[28:29], v[32:33], v[28:29]
	s_delay_alu instid0(VALU_DEP_1) | instskip(NEXT) | instid1(VALU_DEP_1)
	v_add_f64 v[28:29], v[28:29], -v[30:31]
	v_fma_f64 v[28:29], v[26:27], s[16:17], v[28:29]
	s_delay_alu instid0(VALU_DEP_1) | instskip(NEXT) | instid1(VALU_DEP_1)
	v_add_f64 v[34:35], v[36:37], v[28:29]
	v_add_f64 v[30:31], v[34:35], -v[36:37]
	s_delay_alu instid0(VALU_DEP_1)
	v_add_f64 v[36:37], v[28:29], -v[30:31]
.LBB162_291:                            ;   in Loop: Header=BB162_180 Depth=1
	s_or_b32 exec_lo, exec_lo, s0
	v_mul_f64 v[26:27], v[22:23], v[22:23]
	s_delay_alu instid0(VALU_DEP_2) | instskip(NEXT) | instid1(VALU_DEP_3)
	v_mul_f64 v[39:40], v[24:25], 0.5
	v_mul_f64 v[45:46], v[36:37], 0.5
	s_mov_b32 s18, s12
	s_delay_alu instid0(VALU_DEP_3) | instskip(SKIP_1) | instid1(VALU_DEP_2)
	v_mul_f64 v[28:29], v[26:27], 0.5
	v_mul_f64 v[41:42], v[22:23], -v[26:27]
	v_add_f64 v[30:31], -v[28:29], 1.0
	s_delay_alu instid0(VALU_DEP_1) | instskip(NEXT) | instid1(VALU_DEP_1)
	v_add_f64 v[32:33], -v[30:31], 1.0
	v_add_f64 v[28:29], v[32:33], -v[28:29]
	v_fma_f64 v[32:33], v[26:27], s[94:95], s[92:93]
	s_delay_alu instid0(VALU_DEP_2) | instskip(NEXT) | instid1(VALU_DEP_2)
	v_fma_f64 v[28:29], v[22:23], -v[24:25], v[28:29]
	v_fma_f64 v[32:33], v[26:27], v[32:33], s[96:97]
	s_delay_alu instid0(VALU_DEP_1) | instskip(NEXT) | instid1(VALU_DEP_1)
	v_fma_f64 v[32:33], v[26:27], v[32:33], s[98:99]
	v_fma_f64 v[32:33], v[26:27], v[32:33], s[72:73]
	s_delay_alu instid0(VALU_DEP_1) | instskip(NEXT) | instid1(VALU_DEP_1)
	v_fma_f64 v[32:33], v[41:42], v[32:33], v[39:40]
	v_fma_f64 v[24:25], v[26:27], v[32:33], -v[24:25]
	v_fma_f64 v[32:33], v[26:27], s[84:85], s[82:83]
	s_delay_alu instid0(VALU_DEP_2) | instskip(NEXT) | instid1(VALU_DEP_2)
	v_fma_f64 v[24:25], v[41:42], s[18:19], v[24:25]
	v_fma_f64 v[32:33], v[26:27], v[32:33], s[86:87]
	s_delay_alu instid0(VALU_DEP_2) | instskip(NEXT) | instid1(VALU_DEP_2)
	v_add_f64 v[22:23], v[22:23], -v[24:25]
	v_fma_f64 v[32:33], v[26:27], v[32:33], s[88:89]
	s_delay_alu instid0(VALU_DEP_1) | instskip(NEXT) | instid1(VALU_DEP_1)
	v_fma_f64 v[32:33], v[26:27], v[32:33], s[90:91]
	v_fma_f64 v[32:33], v[26:27], v[32:33], s[12:13]
	v_mul_f64 v[26:27], v[26:27], v[26:27]
	s_delay_alu instid0(VALU_DEP_1) | instskip(SKIP_1) | instid1(VALU_DEP_2)
	v_fma_f64 v[26:27], v[26:27], v[32:33], v[28:29]
	v_mul_f64 v[28:29], v[34:35], v[34:35]
	v_add_f64 v[26:27], v[30:31], v[26:27]
	s_delay_alu instid0(VALU_DEP_2) | instskip(SKIP_2) | instid1(VALU_DEP_1)
	v_mul_f64 v[32:33], v[28:29], 0.5
	v_mul_f64 v[47:48], v[34:35], -v[28:29]
	v_and_b32_e32 v24, 1, v38
	v_cmp_eq_u32_e32 vcc_lo, 0, v24
	v_cndmask_b32_e32 v27, v27, v23, vcc_lo
	v_add_f64 v[39:40], -v[32:33], 1.0
	v_cndmask_b32_e32 v26, v26, v22, vcc_lo
	v_cmp_class_f64_e64 vcc_lo, v[14:15], 0x1f8
	v_lshlrev_b32_e32 v14, 30, v38
	s_delay_alu instid0(VALU_DEP_1) | instskip(NEXT) | instid1(VALU_DEP_1)
	v_xor_b32_e32 v14, v14, v15
	v_and_b32_e32 v14, 0x80000000, v14
	v_add_f64 v[43:44], -v[39:40], 1.0
	s_delay_alu instid0(VALU_DEP_1) | instskip(SKIP_1) | instid1(VALU_DEP_2)
	v_add_f64 v[32:33], v[43:44], -v[32:33]
	v_fma_f64 v[43:44], v[28:29], s[94:95], s[92:93]
	v_fma_f64 v[32:33], v[34:35], -v[36:37], v[32:33]
	s_delay_alu instid0(VALU_DEP_2) | instskip(NEXT) | instid1(VALU_DEP_1)
	v_fma_f64 v[43:44], v[28:29], v[43:44], s[96:97]
	v_fma_f64 v[43:44], v[28:29], v[43:44], s[98:99]
	s_delay_alu instid0(VALU_DEP_1) | instskip(NEXT) | instid1(VALU_DEP_1)
	v_fma_f64 v[43:44], v[28:29], v[43:44], s[72:73]
	v_fma_f64 v[43:44], v[47:48], v[43:44], v[45:46]
	s_delay_alu instid0(VALU_DEP_1) | instskip(SKIP_1) | instid1(VALU_DEP_2)
	v_fma_f64 v[36:37], v[28:29], v[43:44], -v[36:37]
	v_fma_f64 v[43:44], v[28:29], s[84:85], s[82:83]
	v_fma_f64 v[22:23], v[47:48], s[18:19], v[36:37]
	s_delay_alu instid0(VALU_DEP_2) | instskip(NEXT) | instid1(VALU_DEP_2)
	v_fma_f64 v[43:44], v[28:29], v[43:44], s[86:87]
	v_add_f64 v[22:23], v[34:35], -v[22:23]
	s_delay_alu instid0(VALU_DEP_2) | instskip(NEXT) | instid1(VALU_DEP_2)
	v_fma_f64 v[43:44], v[28:29], v[43:44], s[88:89]
	v_xor_b32_e32 v15, 0x80000000, v23
	s_delay_alu instid0(VALU_DEP_2) | instskip(SKIP_1) | instid1(VALU_DEP_2)
	v_fma_f64 v[43:44], v[28:29], v[43:44], s[90:91]
	v_xor_b32_e32 v23, v27, v14
	v_fma_f64 v[43:44], v[28:29], v[43:44], s[12:13]
	v_mul_f64 v[28:29], v[28:29], v[28:29]
	s_delay_alu instid0(VALU_DEP_1) | instskip(NEXT) | instid1(VALU_DEP_1)
	v_fma_f64 v[28:29], v[28:29], v[43:44], v[32:33]
	v_add_f64 v[24:25], v[39:40], v[28:29]
	v_and_b32_e32 v28, 1, v17
	v_dual_cndmask_b32 v14, 0, v26 :: v_dual_lshlrev_b32 v17, 30, v17
	s_delay_alu instid0(VALU_DEP_2) | instskip(NEXT) | instid1(VALU_DEP_2)
	v_cmp_eq_u32_e64 s0, 0, v28
	v_and_b32_e32 v17, 0x80000000, v17
	s_delay_alu instid0(VALU_DEP_2) | instskip(SKIP_1) | instid1(VALU_DEP_2)
	v_cndmask_b32_e64 v15, v15, v25, s0
	v_cndmask_b32_e64 v22, v22, v24, s0
	v_xor_b32_e32 v17, v15, v17
	v_cndmask_b32_e32 v15, 0x7ff80000, v23, vcc_lo
	s_delay_alu instid0(VALU_DEP_3) | instskip(NEXT) | instid1(VALU_DEP_3)
	v_cndmask_b32_e32 v22, 0, v22, vcc_lo
	v_cndmask_b32_e32 v23, 0x7ff80000, v17, vcc_lo
	s_delay_alu instid0(VALU_DEP_1)
	v_mul_f64 v[14:15], v[14:15], v[22:23]
.LBB162_292:                            ;   in Loop: Header=BB162_180 Depth=1
	s_or_b32 exec_lo, exec_lo, s48
	s_delay_alu instid0(VALU_DEP_1) | instskip(SKIP_2) | instid1(VALU_DEP_3)
	v_bfi_b32 v17, 0x7fffffff, 0, v15
	v_add_co_u32 v12, vcc_lo, v12, 0
	v_add_co_ci_u32_e32 v13, vcc_lo, -2.0, v13, vcc_lo
	v_dual_mov_b32 v14, v16 :: v_dual_mov_b32 v15, v17
.LBB162_293:                            ;   in Loop: Header=BB162_180 Depth=1
	s_or_b32 exec_lo, exec_lo, s21
.LBB162_294:                            ;   in Loop: Header=BB162_180 Depth=1
	s_delay_alu instid0(SALU_CYCLE_1) | instskip(SKIP_2) | instid1(VALU_DEP_1)
	s_or_b32 exec_lo, exec_lo, s20
	v_and_b32_e32 v17, 0x7fffffff, v1
	s_mov_b32 s0, exec_lo
	v_cmpx_gt_u32_e32 0x7ff00000, v17
	s_xor_b32 s20, exec_lo, s0
	s_cbranch_execz .LBB162_316
; %bb.295:                              ;   in Loop: Header=BB162_180 Depth=1
	v_cmp_class_f64_e64 s0, v[2:3], 0x1f8
	s_delay_alu instid0(VALU_DEP_1) | instskip(NEXT) | instid1(SALU_CYCLE_1)
	s_and_saveexec_b32 s4, s0
	s_xor_b32 s21, exec_lo, s4
	s_cbranch_execz .LBB162_313
; %bb.296:                              ;   in Loop: Header=BB162_180 Depth=1
	s_mov_b32 s0, exec_lo
	v_cmpx_gt_u32_e32 0x40360000, v17
	s_xor_b32 s18, exec_lo, s0
	s_cbranch_execz .LBB162_302
; %bb.297:                              ;   in Loop: Header=BB162_180 Depth=1
	s_mov_b32 s4, exec_lo
                                        ; implicit-def: $vgpr17
                                        ; implicit-def: $vgpr22_vgpr23
                                        ; implicit-def: $vgpr24_vgpr25
	v_cmpx_ngt_f64_e64 0x41d00000, |v[2:3]|
	s_xor_b32 s4, exec_lo, s4
	s_cbranch_execz .LBB162_299
; %bb.298:                              ;   in Loop: Header=BB162_180 Depth=1
	v_ldexp_f64 v[22:23], |v[2:3]|, 0xffffff80
	v_cmp_le_f64_e64 vcc_lo, 0x7b000000, |v[2:3]|
	v_trig_preop_f64 v[24:25], |v[2:3]|, 0
	v_and_b32_e32 v17, 0x7fffffff, v3
	v_trig_preop_f64 v[28:29], |v[2:3]|, 1
	v_trig_preop_f64 v[32:33], |v[2:3]|, 2
	s_mov_b32 s0, s2
	s_mov_b32 s7, s5
	v_dual_cndmask_b32 v22, v2, v22 :: v_dual_cndmask_b32 v23, v17, v23
	s_delay_alu instid0(VALU_DEP_1) | instskip(NEXT) | instid1(VALU_DEP_4)
	v_mul_f64 v[26:27], v[24:25], v[22:23]
	v_mul_f64 v[30:31], v[28:29], v[22:23]
	s_delay_alu instid0(VALU_DEP_4) | instskip(NEXT) | instid1(VALU_DEP_3)
	v_mul_f64 v[34:35], v[32:33], v[22:23]
	v_fma_f64 v[24:25], v[24:25], v[22:23], -v[26:27]
	s_delay_alu instid0(VALU_DEP_3) | instskip(NEXT) | instid1(VALU_DEP_3)
	v_fma_f64 v[28:29], v[28:29], v[22:23], -v[30:31]
	v_fma_f64 v[22:23], v[32:33], v[22:23], -v[34:35]
	s_delay_alu instid0(VALU_DEP_3) | instskip(NEXT) | instid1(VALU_DEP_1)
	v_add_f64 v[32:33], v[30:31], v[24:25]
	v_add_f64 v[36:37], v[32:33], -v[30:31]
	s_delay_alu instid0(VALU_DEP_1) | instskip(SKIP_1) | instid1(VALU_DEP_1)
	v_add_f64 v[24:25], v[24:25], -v[36:37]
	v_add_f64 v[36:37], v[32:33], -v[36:37]
	;; [unrolled: 1-line block ×3, first 2 shown]
	v_add_f64 v[36:37], v[26:27], v[32:33]
	s_delay_alu instid0(VALU_DEP_2) | instskip(NEXT) | instid1(VALU_DEP_2)
	v_add_f64 v[24:25], v[24:25], v[30:31]
	v_add_f64 v[26:27], v[36:37], -v[26:27]
	v_add_f64 v[30:31], v[34:35], v[28:29]
	v_ldexp_f64 v[36:37], v[36:37], -2
	s_delay_alu instid0(VALU_DEP_3) | instskip(NEXT) | instid1(VALU_DEP_3)
	v_add_f64 v[26:27], v[32:33], -v[26:27]
	v_add_f64 v[32:33], v[30:31], -v[34:35]
	s_delay_alu instid0(VALU_DEP_3) | instskip(SKIP_1) | instid1(VALU_DEP_3)
	v_cmp_neq_f64_e64 vcc_lo, 0x7ff00000, |v[36:37]|
	v_fract_f64_e32 v[36:37], v[36:37]
	v_add_f64 v[28:29], v[28:29], -v[32:33]
	v_add_f64 v[32:33], v[30:31], -v[32:33]
	s_delay_alu instid0(VALU_DEP_3) | instskip(NEXT) | instid1(VALU_DEP_2)
	v_dual_cndmask_b32 v36, 0, v36 :: v_dual_cndmask_b32 v37, 0, v37
	v_add_f64 v[32:33], v[34:35], -v[32:33]
	v_add_f64 v[34:35], v[30:31], v[24:25]
	s_delay_alu instid0(VALU_DEP_2) | instskip(NEXT) | instid1(VALU_DEP_2)
	v_add_f64 v[28:29], v[28:29], v[32:33]
	v_add_f64 v[38:39], v[34:35], -v[30:31]
	v_add_f64 v[32:33], v[26:27], v[34:35]
	s_delay_alu instid0(VALU_DEP_2) | instskip(SKIP_1) | instid1(VALU_DEP_3)
	v_add_f64 v[24:25], v[24:25], -v[38:39]
	v_add_f64 v[38:39], v[34:35], -v[38:39]
	;; [unrolled: 1-line block ×3, first 2 shown]
	s_delay_alu instid0(VALU_DEP_2) | instskip(NEXT) | instid1(VALU_DEP_2)
	v_add_f64 v[30:31], v[30:31], -v[38:39]
	v_add_f64 v[26:27], v[34:35], -v[26:27]
	s_delay_alu instid0(VALU_DEP_2) | instskip(SKIP_1) | instid1(VALU_DEP_2)
	v_add_f64 v[24:25], v[24:25], v[30:31]
	v_ldexp_f64 v[30:31], v[36:37], 2
	v_add_f64 v[24:25], v[28:29], v[24:25]
	s_delay_alu instid0(VALU_DEP_2) | instskip(NEXT) | instid1(VALU_DEP_2)
	v_add_f64 v[36:37], v[32:33], v[30:31]
	v_add_f64 v[22:23], v[22:23], v[24:25]
	s_delay_alu instid0(VALU_DEP_2) | instskip(NEXT) | instid1(VALU_DEP_2)
	v_cmp_gt_f64_e32 vcc_lo, 0, v[36:37]
	v_add_f64 v[22:23], v[26:27], v[22:23]
	v_cndmask_b32_e64 v17, 0, 0x40100000, vcc_lo
	s_delay_alu instid0(VALU_DEP_1) | instskip(NEXT) | instid1(VALU_DEP_1)
	v_add_f64 v[24:25], v[30:31], v[16:17]
	v_add_f64 v[28:29], v[32:33], v[24:25]
	s_delay_alu instid0(VALU_DEP_1) | instskip(NEXT) | instid1(VALU_DEP_1)
	v_cvt_i32_f64_e32 v30, v[28:29]
	v_cvt_f64_i32_e32 v[28:29], v30
	s_delay_alu instid0(VALU_DEP_1) | instskip(NEXT) | instid1(VALU_DEP_1)
	v_add_f64 v[24:25], v[24:25], -v[28:29]
	v_add_f64 v[26:27], v[32:33], v[24:25]
	s_delay_alu instid0(VALU_DEP_1) | instskip(SKIP_1) | instid1(VALU_DEP_2)
	v_add_f64 v[24:25], v[26:27], -v[24:25]
	v_cmp_le_f64_e32 vcc_lo, 0.5, v[26:27]
	v_add_f64 v[24:25], v[32:33], -v[24:25]
	v_cndmask_b32_e64 v17, 0, 0x3ff00000, vcc_lo
	s_delay_alu instid0(VALU_DEP_1) | instskip(SKIP_1) | instid1(VALU_DEP_4)
	v_add_f64 v[26:27], v[26:27], -v[16:17]
	v_add_co_ci_u32_e32 v17, vcc_lo, 0, v30, vcc_lo
	v_add_f64 v[22:23], v[22:23], v[24:25]
	s_delay_alu instid0(VALU_DEP_1) | instskip(NEXT) | instid1(VALU_DEP_1)
	v_add_f64 v[24:25], v[26:27], v[22:23]
	v_add_f64 v[26:27], v[24:25], -v[26:27]
	s_delay_alu instid0(VALU_DEP_1) | instskip(SKIP_1) | instid1(VALU_DEP_1)
	v_add_f64 v[22:23], v[22:23], -v[26:27]
	v_mul_f64 v[26:27], v[24:25], s[0:1]
	v_fma_f64 v[28:29], v[24:25], s[0:1], -v[26:27]
	s_delay_alu instid0(VALU_DEP_1) | instskip(NEXT) | instid1(VALU_DEP_1)
	v_fma_f64 v[24:25], v[24:25], s[6:7], v[28:29]
	v_fma_f64 v[24:25], v[22:23], s[0:1], v[24:25]
	s_delay_alu instid0(VALU_DEP_1) | instskip(NEXT) | instid1(VALU_DEP_1)
	v_add_f64 v[22:23], v[26:27], v[24:25]
	v_add_f64 v[26:27], v[22:23], -v[26:27]
	s_delay_alu instid0(VALU_DEP_1)
	v_add_f64 v[24:25], v[24:25], -v[26:27]
.LBB162_299:                            ;   in Loop: Header=BB162_180 Depth=1
	s_and_not1_saveexec_b32 s0, s4
	s_cbranch_execz .LBB162_301
; %bb.300:                              ;   in Loop: Header=BB162_180 Depth=1
	v_mul_f64 v[22:23], |v[2:3]|, s[10:11]
	s_mov_b32 s4, s14
	s_delay_alu instid0(VALU_DEP_1) | instskip(NEXT) | instid1(VALU_DEP_1)
	v_rndne_f64_e32 v[26:27], v[22:23]
	v_fma_f64 v[22:23], v[26:27], s[2:3], |v[2:3]|
	v_mul_f64 v[24:25], v[26:27], s[14:15]
	v_cvt_i32_f64_e32 v17, v[26:27]
	s_delay_alu instid0(VALU_DEP_3) | instskip(NEXT) | instid1(VALU_DEP_3)
	v_fma_f64 v[30:31], v[26:27], s[14:15], v[22:23]
	v_add_f64 v[28:29], v[22:23], v[24:25]
	s_delay_alu instid0(VALU_DEP_1) | instskip(NEXT) | instid1(VALU_DEP_3)
	v_add_f64 v[22:23], v[22:23], -v[28:29]
	v_add_f64 v[28:29], v[28:29], -v[30:31]
	s_delay_alu instid0(VALU_DEP_2) | instskip(SKIP_1) | instid1(VALU_DEP_2)
	v_add_f64 v[22:23], v[22:23], v[24:25]
	v_fma_f64 v[24:25], v[26:27], s[4:5], v[24:25]
	v_add_f64 v[22:23], v[28:29], v[22:23]
	s_delay_alu instid0(VALU_DEP_1) | instskip(NEXT) | instid1(VALU_DEP_1)
	v_add_f64 v[22:23], v[22:23], -v[24:25]
	v_fma_f64 v[24:25], v[26:27], s[16:17], v[22:23]
	s_delay_alu instid0(VALU_DEP_1) | instskip(NEXT) | instid1(VALU_DEP_1)
	v_add_f64 v[22:23], v[30:31], v[24:25]
	v_add_f64 v[28:29], v[22:23], -v[30:31]
	s_delay_alu instid0(VALU_DEP_1)
	v_add_f64 v[24:25], v[24:25], -v[28:29]
.LBB162_301:                            ;   in Loop: Header=BB162_180 Depth=1
	s_or_b32 exec_lo, exec_lo, s0
	v_add_f64 v[26:27], |v[0:1]|, s[46:47]
	s_mov_b32 s48, s46
	s_mov_b32 s52, s54
	;; [unrolled: 1-line block ×5, first 2 shown]
	v_cmp_nge_f64_e64 vcc_lo, |v[0:1]|, s[80:81]
	v_cmp_gt_f64_e64 s0, 0x3e400000, |v[0:1]|
	s_mov_b32 s22, 0xa9a29f71
	s_mov_b32 s24, 0xc751c08c
	;; [unrolled: 1-line block ×4, first 2 shown]
	v_and_b32_e32 v17, 1, v17
	s_delay_alu instid0(VALU_DEP_4) | instskip(NEXT) | instid1(VALU_DEP_1)
	v_add_f64 v[28:29], v[26:27], -|v[0:1]|
	v_add_f64 v[30:31], v[28:29], -v[26:27]
	v_add_f64 v[28:29], v[28:29], s[48:49]
	s_delay_alu instid0(VALU_DEP_2) | instskip(NEXT) | instid1(VALU_DEP_1)
	v_add_f64 v[30:31], |v[0:1]|, v[30:31]
	v_add_f64 v[28:29], v[30:31], -v[28:29]
	s_delay_alu instid0(VALU_DEP_1) | instskip(NEXT) | instid1(VALU_DEP_1)
	v_add_f64 v[28:29], v[28:29], s[50:51]
	v_add_f64 v[30:31], v[26:27], v[28:29]
	s_delay_alu instid0(VALU_DEP_1) | instskip(NEXT) | instid1(VALU_DEP_1)
	v_add_f64 v[26:27], v[26:27], -v[30:31]
	v_add_f64 v[26:27], v[28:29], v[26:27]
	v_mul_f64 v[28:29], v[30:31], s[52:53]
	s_delay_alu instid0(VALU_DEP_1) | instskip(NEXT) | instid1(VALU_DEP_1)
	v_rndne_f64_e32 v[28:29], v[28:29]
	v_fma_f64 v[30:31], v[28:29], s[100:101], v[30:31]
	v_cvt_i32_f64_e32 v2, v[28:29]
	s_delay_alu instid0(VALU_DEP_2) | instskip(NEXT) | instid1(VALU_DEP_1)
	v_add_f64 v[32:33], v[26:27], v[30:31]
	v_add_f64 v[30:31], v[30:31], -v[32:33]
	s_delay_alu instid0(VALU_DEP_1) | instskip(SKIP_1) | instid1(VALU_DEP_1)
	v_add_f64 v[26:27], v[26:27], v[30:31]
	v_mul_f64 v[30:31], v[28:29], s[56:57]
	v_add_f64 v[34:35], v[32:33], v[30:31]
	s_delay_alu instid0(VALU_DEP_1) | instskip(NEXT) | instid1(VALU_DEP_1)
	v_add_f64 v[32:33], v[32:33], -v[34:35]
	v_add_f64 v[30:31], v[32:33], v[30:31]
	s_delay_alu instid0(VALU_DEP_1) | instskip(NEXT) | instid1(VALU_DEP_1)
	v_add_f64 v[26:27], v[26:27], v[30:31]
	v_add_f64 v[30:31], v[34:35], v[26:27]
	s_delay_alu instid0(VALU_DEP_1) | instskip(NEXT) | instid1(VALU_DEP_1)
	v_add_f64 v[32:33], v[34:35], -v[30:31]
	v_add_f64 v[26:27], v[26:27], v[32:33]
	v_mul_f64 v[32:33], v[28:29], s[58:59]
	s_delay_alu instid0(VALU_DEP_1) | instskip(NEXT) | instid1(VALU_DEP_1)
	v_add_f64 v[34:35], v[30:31], v[32:33]
	v_add_f64 v[30:31], v[30:31], -v[34:35]
	s_delay_alu instid0(VALU_DEP_1) | instskip(NEXT) | instid1(VALU_DEP_1)
	v_add_f64 v[30:31], v[30:31], v[32:33]
	v_add_f64 v[26:27], v[26:27], v[30:31]
	s_delay_alu instid0(VALU_DEP_1) | instskip(NEXT) | instid1(VALU_DEP_1)
	v_add_f64 v[30:31], v[34:35], v[26:27]
	v_add_f64 v[32:33], v[34:35], -v[30:31]
	s_delay_alu instid0(VALU_DEP_1) | instskip(SKIP_1) | instid1(VALU_DEP_2)
	v_add_f64 v[26:27], v[26:27], v[32:33]
	v_mul_f64 v[32:33], v[30:31], v[30:31]
	v_add_f64 v[36:37], v[26:27], v[26:27]
	s_delay_alu instid0(VALU_DEP_2) | instskip(NEXT) | instid1(VALU_DEP_1)
	v_fma_f64 v[34:35], v[30:31], v[30:31], -v[32:33]
	v_fma_f64 v[34:35], v[30:31], v[36:37], v[34:35]
	s_delay_alu instid0(VALU_DEP_1) | instskip(NEXT) | instid1(VALU_DEP_1)
	v_add_f64 v[36:37], v[32:33], v[34:35]
	v_add_f64 v[32:33], v[36:37], -v[32:33]
	s_delay_alu instid0(VALU_DEP_1) | instskip(SKIP_1) | instid1(VALU_DEP_1)
	v_add_f64 v[32:33], v[34:35], -v[32:33]
	v_fma_f64 v[34:35], v[30:31], s[62:63], s[60:61]
	v_fma_f64 v[34:35], v[30:31], v[34:35], s[64:65]
	s_delay_alu instid0(VALU_DEP_1) | instskip(NEXT) | instid1(VALU_DEP_1)
	v_fma_f64 v[34:35], v[30:31], v[34:35], s[66:67]
	v_fma_f64 v[34:35], v[30:31], v[34:35], s[68:69]
	s_delay_alu instid0(VALU_DEP_1) | instskip(NEXT) | instid1(VALU_DEP_1)
	;; [unrolled: 3-line block ×4, first 2 shown]
	v_fma_f64 v[34:35], v[30:31], v[34:35], s[78:79]
	v_mul_f64 v[38:39], v[36:37], v[34:35]
	s_delay_alu instid0(VALU_DEP_1) | instskip(NEXT) | instid1(VALU_DEP_1)
	v_fma_f64 v[36:37], v[36:37], v[34:35], -v[38:39]
	v_fma_f64 v[32:33], v[32:33], v[34:35], v[36:37]
	s_delay_alu instid0(VALU_DEP_1) | instskip(NEXT) | instid1(VALU_DEP_1)
	v_add_f64 v[34:35], v[38:39], v[32:33]
	v_add_f64 v[36:37], v[34:35], -v[38:39]
	s_delay_alu instid0(VALU_DEP_1) | instskip(SKIP_1) | instid1(VALU_DEP_2)
	v_add_f64 v[32:33], v[32:33], -v[36:37]
	v_add_f64 v[36:37], v[30:31], v[34:35]
	v_add_f64 v[26:27], v[26:27], v[32:33]
	s_delay_alu instid0(VALU_DEP_2) | instskip(NEXT) | instid1(VALU_DEP_1)
	v_add_f64 v[30:31], v[36:37], -v[30:31]
	v_add_f64 v[30:31], v[34:35], -v[30:31]
	s_delay_alu instid0(VALU_DEP_1) | instskip(NEXT) | instid1(VALU_DEP_1)
	v_add_f64 v[26:27], v[26:27], v[30:31]
	v_add_f64 v[30:31], v[36:37], v[26:27]
	s_delay_alu instid0(VALU_DEP_1) | instskip(NEXT) | instid1(VALU_DEP_1)
	v_add_f64 v[32:33], v[30:31], -v[36:37]
	v_add_f64 v[26:27], v[26:27], -v[32:33]
	v_add_f64 v[32:33], v[30:31], 1.0
	s_delay_alu instid0(VALU_DEP_1) | instskip(NEXT) | instid1(VALU_DEP_1)
	v_add_f64 v[34:35], v[32:33], -1.0
	v_add_f64 v[30:31], v[30:31], -v[34:35]
	s_delay_alu instid0(VALU_DEP_1) | instskip(NEXT) | instid1(VALU_DEP_1)
	v_add_f64 v[26:27], v[26:27], v[30:31]
	v_add_f64 v[28:29], v[32:33], v[26:27]
	s_delay_alu instid0(VALU_DEP_1) | instskip(SKIP_1) | instid1(VALU_DEP_2)
	v_add_f64 v[30:31], v[28:29], -v[32:33]
	v_ldexp_f64 v[28:29], v[28:29], v2
	v_add_f64 v[26:27], v[26:27], -v[30:31]
	s_delay_alu instid0(VALU_DEP_2) | instskip(NEXT) | instid1(VALU_DEP_1)
	v_rcp_f64_e32 v[32:33], v[28:29]
	v_ldexp_f64 v[26:27], v[26:27], v2
	v_and_b32_e32 v2, 0x7fffffff, v1
	s_waitcnt_depctr 0xfff
	v_fma_f64 v[34:35], -v[28:29], v[32:33], 1.0
	s_delay_alu instid0(VALU_DEP_1) | instskip(NEXT) | instid1(VALU_DEP_1)
	v_fma_f64 v[32:33], v[34:35], v[32:33], v[32:33]
	v_fma_f64 v[30:31], -v[28:29], v[32:33], 1.0
	s_delay_alu instid0(VALU_DEP_1) | instskip(NEXT) | instid1(VALU_DEP_1)
	v_fma_f64 v[30:31], v[30:31], v[32:33], v[32:33]
	v_mul_f64 v[32:33], v[28:29], v[30:31]
	s_delay_alu instid0(VALU_DEP_1) | instskip(NEXT) | instid1(VALU_DEP_1)
	v_fma_f64 v[34:35], v[30:31], v[28:29], -v[32:33]
	v_fma_f64 v[34:35], v[30:31], v[26:27], v[34:35]
	s_delay_alu instid0(VALU_DEP_1) | instskip(NEXT) | instid1(VALU_DEP_1)
	v_add_f64 v[36:37], v[32:33], v[34:35]
	v_add_f64 v[32:33], v[36:37], -v[32:33]
	s_delay_alu instid0(VALU_DEP_1) | instskip(SKIP_1) | instid1(VALU_DEP_1)
	v_add_f64 v[32:33], v[32:33], -v[34:35]
	v_add_f64 v[34:35], -v[36:37], 1.0
	v_add_f64 v[38:39], -v[34:35], 1.0
	s_delay_alu instid0(VALU_DEP_1) | instskip(NEXT) | instid1(VALU_DEP_1)
	v_add_f64 v[36:37], v[38:39], -v[36:37]
	v_add_f64 v[32:33], v[32:33], v[36:37]
	s_delay_alu instid0(VALU_DEP_1) | instskip(NEXT) | instid1(VALU_DEP_1)
	v_add_f64 v[36:37], v[34:35], v[32:33]
	v_add_f64 v[34:35], v[34:35], -v[36:37]
	s_delay_alu instid0(VALU_DEP_1) | instskip(SKIP_1) | instid1(VALU_DEP_1)
	v_add_f64 v[32:33], v[32:33], v[34:35]
	v_mul_f64 v[34:35], v[30:31], v[36:37]
	v_mul_f64 v[38:39], v[28:29], v[34:35]
	s_delay_alu instid0(VALU_DEP_1) | instskip(NEXT) | instid1(VALU_DEP_1)
	v_fma_f64 v[40:41], v[34:35], v[28:29], -v[38:39]
	v_fma_f64 v[40:41], v[34:35], v[26:27], v[40:41]
	s_delay_alu instid0(VALU_DEP_1) | instskip(NEXT) | instid1(VALU_DEP_1)
	v_add_f64 v[42:43], v[38:39], v[40:41]
	v_add_f64 v[44:45], v[36:37], -v[42:43]
	v_add_f64 v[38:39], v[42:43], -v[38:39]
	s_delay_alu instid0(VALU_DEP_2) | instskip(NEXT) | instid1(VALU_DEP_2)
	v_add_f64 v[36:37], v[36:37], -v[44:45]
	v_add_f64 v[38:39], v[38:39], -v[40:41]
	s_delay_alu instid0(VALU_DEP_2) | instskip(NEXT) | instid1(VALU_DEP_1)
	v_add_f64 v[36:37], v[36:37], -v[42:43]
	v_add_f64 v[32:33], v[32:33], v[36:37]
	v_add_f64 v[36:37], v[30:31], v[34:35]
	s_delay_alu instid0(VALU_DEP_2) | instskip(NEXT) | instid1(VALU_DEP_2)
	v_add_f64 v[32:33], v[38:39], v[32:33]
	v_add_f64 v[38:39], v[36:37], -v[30:31]
	s_delay_alu instid0(VALU_DEP_2) | instskip(NEXT) | instid1(VALU_DEP_2)
	v_add_f64 v[32:33], v[44:45], v[32:33]
	v_add_f64 v[34:35], v[34:35], -v[38:39]
	s_delay_alu instid0(VALU_DEP_2) | instskip(NEXT) | instid1(VALU_DEP_1)
	v_mul_f64 v[30:31], v[30:31], v[32:33]
	v_add_f64 v[30:31], v[34:35], v[30:31]
	s_delay_alu instid0(VALU_DEP_1) | instskip(NEXT) | instid1(VALU_DEP_1)
	v_add_f64 v[32:33], v[36:37], v[30:31]
	v_add_f64 v[34:35], v[32:33], -v[36:37]
	v_ldexp_f64 v[32:33], v[32:33], -2
	s_delay_alu instid0(VALU_DEP_2) | instskip(NEXT) | instid1(VALU_DEP_2)
	v_add_f64 v[30:31], v[30:31], -v[34:35]
	v_add_f64 v[36:37], v[28:29], -v[32:33]
	s_delay_alu instid0(VALU_DEP_1) | instskip(NEXT) | instid1(VALU_DEP_1)
	v_add_f64 v[28:29], v[28:29], -v[36:37]
	v_add_f64 v[28:29], v[28:29], -v[32:33]
	s_delay_alu instid0(VALU_DEP_1) | instskip(SKIP_1) | instid1(VALU_DEP_1)
	v_add_f64 v[26:27], v[26:27], v[28:29]
	v_ldexp_f64 v[28:29], v[30:31], -2
	v_add_f64 v[26:27], v[26:27], -v[28:29]
	s_delay_alu instid0(VALU_DEP_1) | instskip(SKIP_1) | instid1(VALU_DEP_2)
	v_add_f64 v[26:27], v[36:37], v[26:27]
	v_and_b32_e32 v36, 0x80000000, v3
	v_cndmask_b32_e32 v27, 0x7ff00000, v27, vcc_lo
	s_delay_alu instid0(VALU_DEP_3) | instskip(NEXT) | instid1(VALU_DEP_2)
	v_cndmask_b32_e32 v26, 0, v26, vcc_lo
	v_cndmask_b32_e64 v2, v27, v2, s0
	s_delay_alu instid0(VALU_DEP_2) | instskip(SKIP_1) | instid1(VALU_DEP_3)
	v_cndmask_b32_e64 v0, v26, v0, s0
	v_cmp_eq_u32_e64 s0, 0, v17
	v_bfi_b32 v1, 0x7fffffff, v2, v1
	s_delay_alu instid0(VALU_DEP_1) | instskip(NEXT) | instid1(VALU_DEP_1)
	v_fma_f64 v[26:27], v[0:1], v[0:1], 1.0
	v_cmp_gt_f64_e32 vcc_lo, 0x10000000, v[26:27]
	v_cndmask_b32_e64 v2, 0, 1, vcc_lo
	v_cndmask_b32_e64 v17, 0, 0xffffff80, vcc_lo
	s_delay_alu instid0(VALU_DEP_2) | instskip(NEXT) | instid1(VALU_DEP_1)
	v_lshlrev_b32_e32 v2, 8, v2
	v_ldexp_f64 v[26:27], v[26:27], v2
	v_mul_f64 v[2:3], v[22:23], v[22:23]
	s_delay_alu instid0(VALU_DEP_2) | instskip(SKIP_4) | instid1(VALU_DEP_1)
	v_rsq_f64_e32 v[28:29], v[26:27]
	v_cmp_class_f64_e64 vcc_lo, v[26:27], 0x260
	s_waitcnt_depctr 0xfff
	v_mul_f64 v[30:31], v[26:27], v[28:29]
	v_mul_f64 v[28:29], v[28:29], 0.5
	v_fma_f64 v[32:33], -v[28:29], v[30:31], 0.5
	s_delay_alu instid0(VALU_DEP_1) | instskip(SKIP_1) | instid1(VALU_DEP_2)
	v_fma_f64 v[30:31], v[30:31], v[32:33], v[30:31]
	v_fma_f64 v[28:29], v[28:29], v[32:33], v[28:29]
	v_fma_f64 v[32:33], -v[30:31], v[30:31], v[26:27]
	s_delay_alu instid0(VALU_DEP_1) | instskip(NEXT) | instid1(VALU_DEP_1)
	v_fma_f64 v[30:31], v[32:33], v[28:29], v[30:31]
	v_fma_f64 v[32:33], -v[30:31], v[30:31], v[26:27]
	s_delay_alu instid0(VALU_DEP_1) | instskip(SKIP_2) | instid1(VALU_DEP_1)
	v_fma_f64 v[28:29], v[32:33], v[28:29], v[30:31]
	v_add_f64 v[30:31], v[24:25], v[24:25]
	v_fma_f64 v[32:33], v[22:23], v[22:23], -v[2:3]
	v_fma_f64 v[30:31], v[22:23], v[30:31], v[32:33]
	s_delay_alu instid0(VALU_DEP_1) | instskip(NEXT) | instid1(VALU_DEP_1)
	v_add_f64 v[2:3], v[2:3], v[30:31]
	v_fma_f64 v[30:31], v[2:3], s[24:25], s[22:23]
	s_mov_b32 s22, 0x90a8aae0
	s_mov_b32 s23, 0x3f17746f
	s_delay_alu instid0(VALU_DEP_1) | instid1(SALU_CYCLE_1)
	v_fma_f64 v[30:31], v[2:3], v[30:31], s[22:23]
	s_mov_b32 s22, 0xa6fbf144
	s_mov_b32 s23, 0xbefbb44d
	s_delay_alu instid0(VALU_DEP_1) | instid1(SALU_CYCLE_1)
	;; [unrolled: 4-line block ×3, first 2 shown]
	v_fma_f64 v[30:31], v[2:3], v[30:31], s[22:23]
	s_delay_alu instid0(VALU_DEP_1) | instskip(NEXT) | instid1(VALU_DEP_1)
	v_fma_f64 v[30:31], v[2:3], v[30:31], s[26:27]
	v_fma_f64 v[30:31], v[2:3], v[30:31], s[28:29]
	s_delay_alu instid0(VALU_DEP_1) | instskip(NEXT) | instid1(VALU_DEP_1)
	v_fma_f64 v[30:31], v[2:3], v[30:31], s[30:31]
	;; [unrolled: 3-line block ×5, first 2 shown]
	v_mul_f64 v[2:3], v[2:3], v[30:31]
	s_delay_alu instid0(VALU_DEP_1) | instskip(NEXT) | instid1(VALU_DEP_1)
	v_mul_f64 v[30:31], v[22:23], v[2:3]
	v_fma_f64 v[2:3], v[22:23], v[2:3], -v[30:31]
	s_delay_alu instid0(VALU_DEP_1) | instskip(SKIP_1) | instid1(VALU_DEP_1)
	v_add_f64 v[2:3], v[24:25], v[2:3]
	v_add_f64 v[24:25], v[22:23], v[30:31]
	v_add_f64 v[22:23], v[24:25], -v[22:23]
	s_delay_alu instid0(VALU_DEP_1) | instskip(NEXT) | instid1(VALU_DEP_1)
	v_add_f64 v[22:23], v[30:31], -v[22:23]
	v_add_f64 v[2:3], v[2:3], v[22:23]
	s_delay_alu instid0(VALU_DEP_1) | instskip(NEXT) | instid1(VALU_DEP_1)
	v_add_f64 v[22:23], v[24:25], v[2:3]
	v_rcp_f64_e32 v[30:31], v[22:23]
	v_add_f64 v[24:25], v[22:23], -v[24:25]
	s_delay_alu instid0(VALU_DEP_1) | instskip(SKIP_2) | instid1(VALU_DEP_1)
	v_add_f64 v[2:3], v[2:3], -v[24:25]
	s_waitcnt_depctr 0xfff
	v_fma_f64 v[32:33], -v[22:23], v[30:31], 1.0
	v_fma_f64 v[30:31], v[32:33], v[30:31], v[30:31]
	s_delay_alu instid0(VALU_DEP_1) | instskip(NEXT) | instid1(VALU_DEP_1)
	v_fma_f64 v[32:33], -v[22:23], v[30:31], 1.0
	v_fma_f64 v[30:31], v[32:33], v[30:31], v[30:31]
	s_delay_alu instid0(VALU_DEP_1) | instskip(NEXT) | instid1(VALU_DEP_1)
	v_mul_f64 v[24:25], v[22:23], v[30:31]
	v_fma_f64 v[32:33], v[30:31], v[22:23], -v[24:25]
	s_delay_alu instid0(VALU_DEP_1) | instskip(NEXT) | instid1(VALU_DEP_1)
	v_fma_f64 v[2:3], v[30:31], v[2:3], v[32:33]
	v_add_f64 v[32:33], v[24:25], v[2:3]
	s_delay_alu instid0(VALU_DEP_1) | instskip(NEXT) | instid1(VALU_DEP_1)
	v_add_f64 v[24:25], v[32:33], -v[24:25]
	v_add_f64 v[2:3], v[24:25], -v[2:3]
	v_add_f64 v[24:25], -v[32:33], 1.0
	s_delay_alu instid0(VALU_DEP_1) | instskip(NEXT) | instid1(VALU_DEP_1)
	v_add_f64 v[34:35], -v[24:25], 1.0
	v_add_f64 v[32:33], v[34:35], -v[32:33]
	s_delay_alu instid0(VALU_DEP_1) | instskip(NEXT) | instid1(VALU_DEP_1)
	v_add_f64 v[2:3], v[2:3], v[32:33]
	v_add_f64 v[2:3], v[24:25], v[2:3]
	s_delay_alu instid0(VALU_DEP_1) | instskip(NEXT) | instid1(VALU_DEP_1)
	v_mul_f64 v[2:3], v[30:31], v[2:3]
	v_add_f64 v[2:3], v[30:31], v[2:3]
	s_delay_alu instid0(VALU_DEP_1) | instskip(NEXT) | instid1(VALU_DEP_2)
	v_xor_b32_e32 v3, 0x80000000, v3
	v_cndmask_b32_e64 v2, v2, v22, s0
	s_delay_alu instid0(VALU_DEP_2) | instskip(SKIP_1) | instid1(VALU_DEP_2)
	v_cndmask_b32_e64 v3, v3, v23, s0
	v_ldexp_f64 v[22:23], v[28:29], v17
	v_xor_b32_e32 v3, v3, v36
	s_delay_alu instid0(VALU_DEP_1) | instskip(NEXT) | instid1(VALU_DEP_3)
	v_fma_f64 v[24:25], v[2:3], v[2:3], 1.0
	v_dual_cndmask_b32 v23, v23, v27 :: v_dual_cndmask_b32 v22, v22, v26
	s_delay_alu instid0(VALU_DEP_2) | instskip(NEXT) | instid1(VALU_DEP_2)
	v_mul_f64 v[26:27], v[0:1], v[24:25]
	v_mul_f64 v[22:23], v[22:23], v[24:25]
	s_delay_alu instid0(VALU_DEP_2) | instskip(NEXT) | instid1(VALU_DEP_2)
	v_fma_f64 v[24:25], v[0:1], v[26:27], 1.0
	v_mul_f64 v[0:1], v[0:1], v[22:23]
	s_delay_alu instid0(VALU_DEP_1) | instskip(NEXT) | instid1(VALU_DEP_1)
	v_div_scale_f64 v[22:23], null, v[24:25], v[24:25], v[0:1]
	v_rcp_f64_e32 v[26:27], v[22:23]
	s_waitcnt_depctr 0xfff
	v_fma_f64 v[28:29], -v[22:23], v[26:27], 1.0
	s_delay_alu instid0(VALU_DEP_1) | instskip(NEXT) | instid1(VALU_DEP_1)
	v_fma_f64 v[26:27], v[26:27], v[28:29], v[26:27]
	v_fma_f64 v[28:29], -v[22:23], v[26:27], 1.0
	s_delay_alu instid0(VALU_DEP_1) | instskip(SKIP_1) | instid1(VALU_DEP_1)
	v_fma_f64 v[26:27], v[26:27], v[28:29], v[26:27]
	v_div_scale_f64 v[28:29], vcc_lo, v[0:1], v[24:25], v[0:1]
	v_mul_f64 v[30:31], v[28:29], v[26:27]
	s_delay_alu instid0(VALU_DEP_1) | instskip(NEXT) | instid1(VALU_DEP_1)
	v_fma_f64 v[22:23], -v[22:23], v[30:31], v[28:29]
	v_div_fmas_f64 v[22:23], v[22:23], v[26:27], v[30:31]
	v_div_scale_f64 v[26:27], null, v[24:25], v[24:25], v[2:3]
	s_delay_alu instid0(VALU_DEP_2) | instskip(NEXT) | instid1(VALU_DEP_2)
	v_div_fixup_f64 v[0:1], v[22:23], v[24:25], v[0:1]
	v_rcp_f64_e32 v[28:29], v[26:27]
	s_waitcnt_depctr 0xfff
	v_fma_f64 v[30:31], -v[26:27], v[28:29], 1.0
	s_delay_alu instid0(VALU_DEP_1) | instskip(NEXT) | instid1(VALU_DEP_1)
	v_fma_f64 v[28:29], v[28:29], v[30:31], v[28:29]
	v_fma_f64 v[30:31], -v[26:27], v[28:29], 1.0
	s_delay_alu instid0(VALU_DEP_1) | instskip(SKIP_1) | instid1(VALU_DEP_1)
	v_fma_f64 v[28:29], v[28:29], v[30:31], v[28:29]
	v_div_scale_f64 v[30:31], vcc_lo, v[2:3], v[24:25], v[2:3]
	v_mul_f64 v[32:33], v[30:31], v[28:29]
	s_delay_alu instid0(VALU_DEP_1) | instskip(NEXT) | instid1(VALU_DEP_1)
	v_fma_f64 v[26:27], -v[26:27], v[32:33], v[30:31]
	v_div_fmas_f64 v[26:27], v[26:27], v[28:29], v[32:33]
	s_delay_alu instid0(VALU_DEP_1)
	v_div_fixup_f64 v[2:3], v[26:27], v[24:25], v[2:3]
.LBB162_302:                            ;   in Loop: Header=BB162_180 Depth=1
	s_and_not1_saveexec_b32 s48, s18
	s_cbranch_execz .LBB162_312
; %bb.303:                              ;   in Loop: Header=BB162_180 Depth=1
	s_delay_alu instid0(VALU_DEP_1) | instskip(NEXT) | instid1(VALU_DEP_1)
	v_cmp_ngt_f64_e64 s18, 0x41d00000, |v[2:3]|
                                        ; implicit-def: $vgpr30
                                        ; implicit-def: $vgpr22_vgpr23
                                        ; implicit-def: $vgpr24_vgpr25
	s_and_saveexec_b32 s0, s18
	s_delay_alu instid0(SALU_CYCLE_1)
	s_xor_b32 s4, exec_lo, s0
	s_cbranch_execz .LBB162_305
; %bb.304:                              ;   in Loop: Header=BB162_180 Depth=1
	v_ldexp_f64 v[22:23], |v[2:3]|, 0xffffff80
	v_cmp_le_f64_e64 vcc_lo, 0x7b000000, |v[2:3]|
	v_trig_preop_f64 v[24:25], |v[2:3]|, 0
	v_and_b32_e32 v17, 0x7fffffff, v3
	v_trig_preop_f64 v[28:29], |v[2:3]|, 1
	v_trig_preop_f64 v[32:33], |v[2:3]|, 2
	s_mov_b32 s0, s2
	s_mov_b32 s7, s5
	v_dual_cndmask_b32 v22, v2, v22 :: v_dual_cndmask_b32 v23, v17, v23
	s_delay_alu instid0(VALU_DEP_1) | instskip(NEXT) | instid1(VALU_DEP_4)
	v_mul_f64 v[26:27], v[24:25], v[22:23]
	v_mul_f64 v[30:31], v[28:29], v[22:23]
	s_delay_alu instid0(VALU_DEP_4) | instskip(NEXT) | instid1(VALU_DEP_3)
	v_mul_f64 v[34:35], v[32:33], v[22:23]
	v_fma_f64 v[24:25], v[24:25], v[22:23], -v[26:27]
	s_delay_alu instid0(VALU_DEP_3) | instskip(NEXT) | instid1(VALU_DEP_3)
	v_fma_f64 v[28:29], v[28:29], v[22:23], -v[30:31]
	v_fma_f64 v[22:23], v[32:33], v[22:23], -v[34:35]
	s_delay_alu instid0(VALU_DEP_3) | instskip(NEXT) | instid1(VALU_DEP_1)
	v_add_f64 v[32:33], v[30:31], v[24:25]
	v_add_f64 v[36:37], v[32:33], -v[30:31]
	s_delay_alu instid0(VALU_DEP_1) | instskip(SKIP_1) | instid1(VALU_DEP_1)
	v_add_f64 v[24:25], v[24:25], -v[36:37]
	v_add_f64 v[36:37], v[32:33], -v[36:37]
	v_add_f64 v[30:31], v[30:31], -v[36:37]
	v_add_f64 v[36:37], v[26:27], v[32:33]
	s_delay_alu instid0(VALU_DEP_2) | instskip(NEXT) | instid1(VALU_DEP_2)
	v_add_f64 v[24:25], v[24:25], v[30:31]
	v_add_f64 v[26:27], v[36:37], -v[26:27]
	v_add_f64 v[30:31], v[34:35], v[28:29]
	v_ldexp_f64 v[36:37], v[36:37], -2
	s_delay_alu instid0(VALU_DEP_3) | instskip(NEXT) | instid1(VALU_DEP_3)
	v_add_f64 v[26:27], v[32:33], -v[26:27]
	v_add_f64 v[32:33], v[30:31], -v[34:35]
	s_delay_alu instid0(VALU_DEP_3) | instskip(SKIP_1) | instid1(VALU_DEP_3)
	v_cmp_neq_f64_e64 vcc_lo, 0x7ff00000, |v[36:37]|
	v_fract_f64_e32 v[36:37], v[36:37]
	v_add_f64 v[28:29], v[28:29], -v[32:33]
	v_add_f64 v[32:33], v[30:31], -v[32:33]
	s_delay_alu instid0(VALU_DEP_3) | instskip(NEXT) | instid1(VALU_DEP_2)
	v_dual_cndmask_b32 v36, 0, v36 :: v_dual_cndmask_b32 v37, 0, v37
	v_add_f64 v[32:33], v[34:35], -v[32:33]
	v_add_f64 v[34:35], v[30:31], v[24:25]
	s_delay_alu instid0(VALU_DEP_2) | instskip(NEXT) | instid1(VALU_DEP_2)
	v_add_f64 v[28:29], v[28:29], v[32:33]
	v_add_f64 v[38:39], v[34:35], -v[30:31]
	v_add_f64 v[32:33], v[26:27], v[34:35]
	s_delay_alu instid0(VALU_DEP_2) | instskip(SKIP_1) | instid1(VALU_DEP_3)
	v_add_f64 v[24:25], v[24:25], -v[38:39]
	v_add_f64 v[38:39], v[34:35], -v[38:39]
	;; [unrolled: 1-line block ×3, first 2 shown]
	s_delay_alu instid0(VALU_DEP_2) | instskip(NEXT) | instid1(VALU_DEP_2)
	v_add_f64 v[30:31], v[30:31], -v[38:39]
	v_add_f64 v[26:27], v[34:35], -v[26:27]
	s_delay_alu instid0(VALU_DEP_2) | instskip(SKIP_1) | instid1(VALU_DEP_2)
	v_add_f64 v[24:25], v[24:25], v[30:31]
	v_ldexp_f64 v[30:31], v[36:37], 2
	v_add_f64 v[24:25], v[28:29], v[24:25]
	s_delay_alu instid0(VALU_DEP_2) | instskip(NEXT) | instid1(VALU_DEP_2)
	v_add_f64 v[36:37], v[32:33], v[30:31]
	v_add_f64 v[22:23], v[22:23], v[24:25]
	s_delay_alu instid0(VALU_DEP_2) | instskip(NEXT) | instid1(VALU_DEP_2)
	v_cmp_gt_f64_e32 vcc_lo, 0, v[36:37]
	v_add_f64 v[22:23], v[26:27], v[22:23]
	v_cndmask_b32_e64 v17, 0, 0x40100000, vcc_lo
	s_delay_alu instid0(VALU_DEP_1) | instskip(NEXT) | instid1(VALU_DEP_1)
	v_add_f64 v[24:25], v[30:31], v[16:17]
	v_add_f64 v[28:29], v[32:33], v[24:25]
	s_delay_alu instid0(VALU_DEP_1) | instskip(NEXT) | instid1(VALU_DEP_1)
	v_cvt_i32_f64_e32 v30, v[28:29]
	v_cvt_f64_i32_e32 v[28:29], v30
	s_delay_alu instid0(VALU_DEP_1) | instskip(NEXT) | instid1(VALU_DEP_1)
	v_add_f64 v[24:25], v[24:25], -v[28:29]
	v_add_f64 v[26:27], v[32:33], v[24:25]
	s_delay_alu instid0(VALU_DEP_1) | instskip(SKIP_1) | instid1(VALU_DEP_2)
	v_add_f64 v[24:25], v[26:27], -v[24:25]
	v_cmp_le_f64_e32 vcc_lo, 0.5, v[26:27]
	v_add_f64 v[24:25], v[32:33], -v[24:25]
	v_cndmask_b32_e64 v17, 0, 0x3ff00000, vcc_lo
	v_add_co_ci_u32_e32 v30, vcc_lo, 0, v30, vcc_lo
	s_delay_alu instid0(VALU_DEP_2) | instskip(NEXT) | instid1(VALU_DEP_4)
	v_add_f64 v[26:27], v[26:27], -v[16:17]
	v_add_f64 v[22:23], v[22:23], v[24:25]
	s_delay_alu instid0(VALU_DEP_1) | instskip(NEXT) | instid1(VALU_DEP_1)
	v_add_f64 v[24:25], v[26:27], v[22:23]
	v_add_f64 v[26:27], v[24:25], -v[26:27]
	s_delay_alu instid0(VALU_DEP_1) | instskip(SKIP_1) | instid1(VALU_DEP_1)
	v_add_f64 v[22:23], v[22:23], -v[26:27]
	v_mul_f64 v[26:27], v[24:25], s[0:1]
	v_fma_f64 v[28:29], v[24:25], s[0:1], -v[26:27]
	s_delay_alu instid0(VALU_DEP_1) | instskip(NEXT) | instid1(VALU_DEP_1)
	v_fma_f64 v[24:25], v[24:25], s[6:7], v[28:29]
	v_fma_f64 v[24:25], v[22:23], s[0:1], v[24:25]
	s_delay_alu instid0(VALU_DEP_1) | instskip(NEXT) | instid1(VALU_DEP_1)
	v_add_f64 v[22:23], v[26:27], v[24:25]
	v_add_f64 v[26:27], v[22:23], -v[26:27]
	s_delay_alu instid0(VALU_DEP_1)
	v_add_f64 v[24:25], v[24:25], -v[26:27]
	s_and_not1_saveexec_b32 s0, s4
	s_cbranch_execz .LBB162_307
	s_branch .LBB162_306
.LBB162_305:                            ;   in Loop: Header=BB162_180 Depth=1
	s_and_not1_saveexec_b32 s0, s4
	s_cbranch_execz .LBB162_307
.LBB162_306:                            ;   in Loop: Header=BB162_180 Depth=1
	v_mul_f64 v[22:23], |v[2:3]|, s[10:11]
	s_mov_b32 s4, s14
	s_delay_alu instid0(VALU_DEP_1) | instskip(NEXT) | instid1(VALU_DEP_1)
	v_rndne_f64_e32 v[26:27], v[22:23]
	v_fma_f64 v[22:23], v[26:27], s[2:3], |v[2:3]|
	v_mul_f64 v[24:25], v[26:27], s[14:15]
	s_delay_alu instid0(VALU_DEP_2) | instskip(NEXT) | instid1(VALU_DEP_2)
	v_fma_f64 v[30:31], v[26:27], s[14:15], v[22:23]
	v_add_f64 v[28:29], v[22:23], v[24:25]
	s_delay_alu instid0(VALU_DEP_1) | instskip(NEXT) | instid1(VALU_DEP_3)
	v_add_f64 v[22:23], v[22:23], -v[28:29]
	v_add_f64 v[28:29], v[28:29], -v[30:31]
	s_delay_alu instid0(VALU_DEP_2) | instskip(SKIP_1) | instid1(VALU_DEP_2)
	v_add_f64 v[22:23], v[22:23], v[24:25]
	v_fma_f64 v[24:25], v[26:27], s[4:5], v[24:25]
	v_add_f64 v[22:23], v[28:29], v[22:23]
	s_delay_alu instid0(VALU_DEP_1) | instskip(NEXT) | instid1(VALU_DEP_1)
	v_add_f64 v[22:23], v[22:23], -v[24:25]
	v_fma_f64 v[24:25], v[26:27], s[16:17], v[22:23]
	s_delay_alu instid0(VALU_DEP_1) | instskip(NEXT) | instid1(VALU_DEP_1)
	v_add_f64 v[22:23], v[30:31], v[24:25]
	v_add_f64 v[28:29], v[22:23], -v[30:31]
	v_cvt_i32_f64_e32 v30, v[26:27]
	s_delay_alu instid0(VALU_DEP_2)
	v_add_f64 v[24:25], v[24:25], -v[28:29]
.LBB162_307:                            ;   in Loop: Header=BB162_180 Depth=1
	s_or_b32 exec_lo, exec_lo, s0
                                        ; implicit-def: $vgpr17
                                        ; implicit-def: $vgpr26_vgpr27
                                        ; implicit-def: $vgpr28_vgpr29
	s_and_saveexec_b32 s0, s18
	s_delay_alu instid0(SALU_CYCLE_1)
	s_xor_b32 s4, exec_lo, s0
	s_cbranch_execz .LBB162_309
; %bb.308:                              ;   in Loop: Header=BB162_180 Depth=1
	v_ldexp_f64 v[26:27], |v[2:3]|, 0xffffff80
	v_cmp_le_f64_e64 vcc_lo, 0x7b000000, |v[2:3]|
	v_trig_preop_f64 v[28:29], |v[2:3]|, 0
	v_and_b32_e32 v17, 0x7fffffff, v3
	v_trig_preop_f64 v[33:34], |v[2:3]|, 1
	v_trig_preop_f64 v[37:38], |v[2:3]|, 2
	s_mov_b32 s0, s2
	s_mov_b32 s7, s5
	v_dual_cndmask_b32 v26, v2, v26 :: v_dual_cndmask_b32 v27, v17, v27
	s_delay_alu instid0(VALU_DEP_1) | instskip(NEXT) | instid1(VALU_DEP_4)
	v_mul_f64 v[31:32], v[28:29], v[26:27]
	v_mul_f64 v[35:36], v[33:34], v[26:27]
	s_delay_alu instid0(VALU_DEP_4) | instskip(NEXT) | instid1(VALU_DEP_3)
	v_mul_f64 v[39:40], v[37:38], v[26:27]
	v_fma_f64 v[28:29], v[28:29], v[26:27], -v[31:32]
	s_delay_alu instid0(VALU_DEP_3) | instskip(NEXT) | instid1(VALU_DEP_3)
	v_fma_f64 v[33:34], v[33:34], v[26:27], -v[35:36]
	v_fma_f64 v[26:27], v[37:38], v[26:27], -v[39:40]
	s_delay_alu instid0(VALU_DEP_3) | instskip(NEXT) | instid1(VALU_DEP_1)
	v_add_f64 v[37:38], v[35:36], v[28:29]
	v_add_f64 v[41:42], v[37:38], -v[35:36]
	s_delay_alu instid0(VALU_DEP_1) | instskip(SKIP_1) | instid1(VALU_DEP_1)
	v_add_f64 v[28:29], v[28:29], -v[41:42]
	v_add_f64 v[41:42], v[37:38], -v[41:42]
	;; [unrolled: 1-line block ×3, first 2 shown]
	v_add_f64 v[41:42], v[31:32], v[37:38]
	s_delay_alu instid0(VALU_DEP_2) | instskip(NEXT) | instid1(VALU_DEP_2)
	v_add_f64 v[28:29], v[28:29], v[35:36]
	v_add_f64 v[31:32], v[41:42], -v[31:32]
	v_add_f64 v[35:36], v[39:40], v[33:34]
	v_ldexp_f64 v[41:42], v[41:42], -2
	s_delay_alu instid0(VALU_DEP_3) | instskip(NEXT) | instid1(VALU_DEP_3)
	v_add_f64 v[31:32], v[37:38], -v[31:32]
	v_add_f64 v[37:38], v[35:36], -v[39:40]
	s_delay_alu instid0(VALU_DEP_3) | instskip(SKIP_1) | instid1(VALU_DEP_3)
	v_cmp_neq_f64_e64 vcc_lo, 0x7ff00000, |v[41:42]|
	v_fract_f64_e32 v[41:42], v[41:42]
	v_add_f64 v[33:34], v[33:34], -v[37:38]
	v_add_f64 v[37:38], v[35:36], -v[37:38]
	s_delay_alu instid0(VALU_DEP_3) | instskip(NEXT) | instid1(VALU_DEP_2)
	v_dual_cndmask_b32 v42, 0, v42 :: v_dual_cndmask_b32 v41, 0, v41
	v_add_f64 v[37:38], v[39:40], -v[37:38]
	v_add_f64 v[39:40], v[35:36], v[28:29]
	s_delay_alu instid0(VALU_DEP_2) | instskip(NEXT) | instid1(VALU_DEP_2)
	v_add_f64 v[33:34], v[33:34], v[37:38]
	v_add_f64 v[43:44], v[39:40], -v[35:36]
	v_add_f64 v[37:38], v[31:32], v[39:40]
	s_delay_alu instid0(VALU_DEP_2) | instskip(SKIP_1) | instid1(VALU_DEP_3)
	v_add_f64 v[28:29], v[28:29], -v[43:44]
	v_add_f64 v[43:44], v[39:40], -v[43:44]
	;; [unrolled: 1-line block ×3, first 2 shown]
	s_delay_alu instid0(VALU_DEP_2) | instskip(NEXT) | instid1(VALU_DEP_2)
	v_add_f64 v[35:36], v[35:36], -v[43:44]
	v_add_f64 v[31:32], v[39:40], -v[31:32]
	s_delay_alu instid0(VALU_DEP_2) | instskip(SKIP_1) | instid1(VALU_DEP_2)
	v_add_f64 v[28:29], v[28:29], v[35:36]
	v_ldexp_f64 v[35:36], v[41:42], 2
	v_add_f64 v[28:29], v[33:34], v[28:29]
	s_delay_alu instid0(VALU_DEP_2) | instskip(NEXT) | instid1(VALU_DEP_2)
	v_add_f64 v[41:42], v[37:38], v[35:36]
	v_add_f64 v[26:27], v[26:27], v[28:29]
	s_delay_alu instid0(VALU_DEP_2) | instskip(NEXT) | instid1(VALU_DEP_2)
	v_cmp_gt_f64_e32 vcc_lo, 0, v[41:42]
	v_add_f64 v[26:27], v[31:32], v[26:27]
	v_cndmask_b32_e64 v17, 0, 0x40100000, vcc_lo
	s_delay_alu instid0(VALU_DEP_1) | instskip(NEXT) | instid1(VALU_DEP_1)
	v_add_f64 v[28:29], v[35:36], v[16:17]
	v_add_f64 v[33:34], v[37:38], v[28:29]
	s_delay_alu instid0(VALU_DEP_1) | instskip(NEXT) | instid1(VALU_DEP_1)
	v_cvt_i32_f64_e32 v35, v[33:34]
	v_cvt_f64_i32_e32 v[33:34], v35
	s_delay_alu instid0(VALU_DEP_1) | instskip(NEXT) | instid1(VALU_DEP_1)
	v_add_f64 v[28:29], v[28:29], -v[33:34]
	v_add_f64 v[31:32], v[37:38], v[28:29]
	s_delay_alu instid0(VALU_DEP_1) | instskip(SKIP_1) | instid1(VALU_DEP_2)
	v_add_f64 v[28:29], v[31:32], -v[28:29]
	v_cmp_le_f64_e32 vcc_lo, 0.5, v[31:32]
	v_add_f64 v[28:29], v[37:38], -v[28:29]
	v_cndmask_b32_e64 v17, 0, 0x3ff00000, vcc_lo
	s_delay_alu instid0(VALU_DEP_1) | instskip(SKIP_1) | instid1(VALU_DEP_4)
	v_add_f64 v[31:32], v[31:32], -v[16:17]
	v_add_co_ci_u32_e32 v17, vcc_lo, 0, v35, vcc_lo
	v_add_f64 v[26:27], v[26:27], v[28:29]
	s_delay_alu instid0(VALU_DEP_1) | instskip(NEXT) | instid1(VALU_DEP_1)
	v_add_f64 v[28:29], v[31:32], v[26:27]
	v_add_f64 v[31:32], v[28:29], -v[31:32]
	s_delay_alu instid0(VALU_DEP_1) | instskip(SKIP_1) | instid1(VALU_DEP_1)
	v_add_f64 v[26:27], v[26:27], -v[31:32]
	v_mul_f64 v[31:32], v[28:29], s[0:1]
	v_fma_f64 v[33:34], v[28:29], s[0:1], -v[31:32]
	s_delay_alu instid0(VALU_DEP_1) | instskip(NEXT) | instid1(VALU_DEP_1)
	v_fma_f64 v[28:29], v[28:29], s[6:7], v[33:34]
	v_fma_f64 v[28:29], v[26:27], s[0:1], v[28:29]
	s_delay_alu instid0(VALU_DEP_1) | instskip(NEXT) | instid1(VALU_DEP_1)
	v_add_f64 v[26:27], v[31:32], v[28:29]
	v_add_f64 v[31:32], v[26:27], -v[31:32]
	s_delay_alu instid0(VALU_DEP_1)
	v_add_f64 v[28:29], v[28:29], -v[31:32]
	s_and_not1_saveexec_b32 s0, s4
	s_cbranch_execnz .LBB162_310
	s_branch .LBB162_311
.LBB162_309:                            ;   in Loop: Header=BB162_180 Depth=1
	s_and_not1_saveexec_b32 s0, s4
	s_cbranch_execz .LBB162_311
.LBB162_310:                            ;   in Loop: Header=BB162_180 Depth=1
	v_mul_f64 v[26:27], |v[2:3]|, s[10:11]
	s_mov_b32 s4, s14
	s_delay_alu instid0(VALU_DEP_1) | instskip(NEXT) | instid1(VALU_DEP_1)
	v_rndne_f64_e32 v[31:32], v[26:27]
	v_fma_f64 v[26:27], v[31:32], s[2:3], |v[2:3]|
	v_mul_f64 v[28:29], v[31:32], s[14:15]
	v_cvt_i32_f64_e32 v17, v[31:32]
	s_delay_alu instid0(VALU_DEP_3) | instskip(NEXT) | instid1(VALU_DEP_3)
	v_fma_f64 v[35:36], v[31:32], s[14:15], v[26:27]
	v_add_f64 v[33:34], v[26:27], v[28:29]
	s_delay_alu instid0(VALU_DEP_1) | instskip(NEXT) | instid1(VALU_DEP_3)
	v_add_f64 v[26:27], v[26:27], -v[33:34]
	v_add_f64 v[33:34], v[33:34], -v[35:36]
	s_delay_alu instid0(VALU_DEP_2) | instskip(SKIP_1) | instid1(VALU_DEP_2)
	v_add_f64 v[26:27], v[26:27], v[28:29]
	v_fma_f64 v[28:29], v[31:32], s[4:5], v[28:29]
	v_add_f64 v[26:27], v[33:34], v[26:27]
	s_delay_alu instid0(VALU_DEP_1) | instskip(NEXT) | instid1(VALU_DEP_1)
	v_add_f64 v[26:27], v[26:27], -v[28:29]
	v_fma_f64 v[28:29], v[31:32], s[16:17], v[26:27]
	s_delay_alu instid0(VALU_DEP_1) | instskip(NEXT) | instid1(VALU_DEP_1)
	v_add_f64 v[26:27], v[35:36], v[28:29]
	v_add_f64 v[33:34], v[26:27], -v[35:36]
	s_delay_alu instid0(VALU_DEP_1)
	v_add_f64 v[28:29], v[28:29], -v[33:34]
.LBB162_311:                            ;   in Loop: Header=BB162_180 Depth=1
	s_or_b32 exec_lo, exec_lo, s0
	v_mul_f64 v[31:32], |v[0:1]|, s[54:55]
	v_mul_f64 v[37:38], v[22:23], v[22:23]
	v_mul_f64 v[39:40], v[26:27], v[26:27]
	s_delay_alu instid0(VALU_DEP_4)
	v_mul_f64 v[55:56], v[24:25], 0.5
	v_mul_f64 v[63:64], v[28:29], 0.5
	s_mov_b32 s103, s73
	s_mov_b32 s75, s13
	;; [unrolled: 1-line block ×4, first 2 shown]
	v_rndne_f64_e32 v[31:32], v[31:32]
	v_fma_f64 v[41:42], v[37:38], s[94:95], s[92:93]
	v_fma_f64 v[43:44], v[39:40], s[94:95], s[92:93]
	;; [unrolled: 1-line block ×3, first 2 shown]
	v_mul_f64 v[47:48], v[37:38], 0.5
	v_mul_f64 v[49:50], v[39:40], 0.5
	v_fma_f64 v[51:52], v[39:40], s[84:85], s[82:83]
	v_mul_f64 v[57:58], v[22:23], -v[37:38]
	v_mul_f64 v[65:66], v[26:27], -v[39:40]
	v_fma_f64 v[33:34], v[31:32], s[46:47], -|v[0:1]|
	v_fma_f64 v[41:42], v[37:38], v[41:42], s[96:97]
	v_fma_f64 v[43:44], v[39:40], v[43:44], s[96:97]
	;; [unrolled: 1-line block ×3, first 2 shown]
	v_add_f64 v[53:54], -v[47:48], 1.0
	v_add_f64 v[59:60], -v[49:50], 1.0
	v_fma_f64 v[51:52], v[39:40], v[51:52], s[86:87]
	v_fma_f64 v[33:34], v[31:32], s[50:51], v[33:34]
	;; [unrolled: 1-line block ×5, first 2 shown]
	v_add_f64 v[61:62], -v[53:54], 1.0
	v_add_f64 v[67:68], -v[59:60], 1.0
	v_fma_f64 v[51:52], v[39:40], v[51:52], s[88:89]
	v_fma_f64 v[35:36], v[33:34], s[62:63], s[60:61]
	;; [unrolled: 1-line block ×5, first 2 shown]
	v_add_f64 v[47:48], v[61:62], -v[47:48]
	v_add_f64 v[49:50], v[67:68], -v[49:50]
	v_fma_f64 v[51:52], v[39:40], v[51:52], s[90:91]
	v_fma_f64 v[35:36], v[33:34], v[35:36], s[64:65]
	;; [unrolled: 1-line block ×4, first 2 shown]
	v_mul_f64 v[55:56], v[37:38], v[37:38]
	v_fma_f64 v[45:46], v[37:38], v[45:46], s[12:13]
	v_fma_f64 v[47:48], v[22:23], -v[24:25], v[47:48]
	v_fma_f64 v[35:36], v[33:34], v[35:36], s[66:67]
	v_fma_f64 v[24:25], v[37:38], v[41:42], -v[24:25]
	v_fma_f64 v[37:38], v[39:40], v[43:44], -v[28:29]
	v_mul_f64 v[41:42], v[39:40], v[39:40]
	v_fma_f64 v[39:40], v[39:40], v[51:52], s[12:13]
	v_fma_f64 v[28:29], v[26:27], -v[28:29], v[49:50]
	v_fma_f64 v[43:44], v[55:56], v[45:46], v[47:48]
	v_fma_f64 v[35:36], v[33:34], v[35:36], s[68:69]
	;; [unrolled: 1-line block ×5, first 2 shown]
	v_add_f64 v[39:40], v[53:54], v[43:44]
	v_fma_f64 v[35:36], v[33:34], v[35:36], s[70:71]
	v_add_f64 v[22:23], v[22:23], -v[24:25]
	v_add_f64 v[26:27], v[26:27], -v[37:38]
	v_lshlrev_b32_e32 v2, 30, v30
	s_delay_alu instid0(VALU_DEP_4) | instskip(NEXT) | instid1(VALU_DEP_3)
	v_fma_f64 v[35:36], v[33:34], v[35:36], s[102:103]
	v_xor_b32_e32 v27, 0x80000000, v27
	v_and_b32_e32 v30, 1, v30
	s_delay_alu instid0(VALU_DEP_1) | instskip(SKIP_2) | instid1(VALU_DEP_1)
	v_cmp_eq_u32_e32 vcc_lo, 0, v30
	v_dual_cndmask_b32 v23, v40, v23 :: v_dual_cndmask_b32 v22, v39, v22
	v_fma_f64 v[35:36], v[33:34], v[35:36], s[74:75]
	v_fma_f64 v[35:36], v[33:34], v[35:36], s[76:77]
	s_delay_alu instid0(VALU_DEP_1) | instskip(NEXT) | instid1(VALU_DEP_1)
	v_fma_f64 v[35:36], v[33:34], v[35:36], s[78:79]
	v_fma_f64 v[24:25], v[33:34], v[35:36], 1.0
	v_xor_b32_e32 v35, v2, v3
	v_add_f64 v[2:3], v[59:60], v[28:29]
	v_cvt_i32_f64_e32 v29, v[31:32]
	s_delay_alu instid0(VALU_DEP_4) | instskip(NEXT) | instid1(VALU_DEP_1)
	v_fma_f64 v[24:25], v[33:34], v[24:25], 1.0
	v_ldexp_f64 v[24:25], v[24:25], v29
	v_and_b32_e32 v28, 0x80000000, v35
	s_delay_alu instid0(VALU_DEP_1) | instskip(SKIP_2) | instid1(VALU_DEP_3)
	v_xor_b32_e32 v23, v23, v28
	v_and_b32_e32 v28, 1, v17
	v_lshlrev_b32_e32 v17, 30, v17
	v_mul_f64 v[22:23], v[22:23], 4.0
	s_delay_alu instid0(VALU_DEP_3) | instskip(NEXT) | instid1(VALU_DEP_3)
	v_cmp_eq_u32_e32 vcc_lo, 0, v28
	v_dual_cndmask_b32 v2, v26, v2 :: v_dual_and_b32 v17, 0x80000000, v17
	v_cndmask_b32_e32 v3, v27, v3, vcc_lo
	v_cmp_nlt_f64_e64 vcc_lo, 0x4090cc00, |v[0:1]|
	s_delay_alu instid0(VALU_DEP_2) | instskip(SKIP_1) | instid1(VALU_DEP_1)
	v_xor_b32_e32 v3, v3, v17
	v_bfi_b32 v17, 0x7fffffff, s0, v1
	v_dual_mov_b32 v0, v16 :: v_dual_mov_b32 v1, v17
	s_delay_alu instid0(VALU_DEP_3) | instskip(SKIP_1) | instid1(VALU_DEP_1)
	v_mul_f64 v[2:3], v[22:23], v[2:3]
	v_dual_cndmask_b32 v23, 0, v25 :: v_dual_cndmask_b32 v22, 0, v24
	v_mul_f64 v[2:3], v[22:23], v[2:3]
	s_delay_alu instid0(VALU_DEP_1)
	v_mul_f64 v[2:3], v[22:23], v[2:3]
.LBB162_312:                            ;   in Loop: Header=BB162_180 Depth=1
	s_or_b32 exec_lo, exec_lo, s48
.LBB162_313:                            ;   in Loop: Header=BB162_180 Depth=1
	s_and_not1_saveexec_b32 s0, s21
; %bb.314:                              ;   in Loop: Header=BB162_180 Depth=1
	s_delay_alu instid0(VALU_DEP_1) | instskip(NEXT) | instid1(VALU_DEP_1)
	v_add_f64 v[2:3], v[2:3], -v[2:3]
	v_dual_mov_b32 v0, v2 :: v_dual_mov_b32 v1, v3
; %bb.315:                              ;   in Loop: Header=BB162_180 Depth=1
	s_or_b32 exec_lo, exec_lo, s0
.LBB162_316:                            ;   in Loop: Header=BB162_180 Depth=1
	s_and_not1_saveexec_b32 s20, s20
	s_cbranch_execz .LBB162_179
; %bb.317:                              ;   in Loop: Header=BB162_180 Depth=1
	s_delay_alu instid0(VALU_DEP_1) | instskip(SKIP_1) | instid1(VALU_DEP_1)
	v_and_or_b32 v17, 0xfffff, v1, v0
	s_mov_b32 s0, exec_lo
	v_cmpx_ne_u32_e32 0, v17
	s_xor_b32 s0, exec_lo, s0
; %bb.318:                              ;   in Loop: Header=BB162_180 Depth=1
	v_mul_f64 v[22:23], v[0:1], v[2:3]
	v_cmp_eq_f64_e32 vcc_lo, 0, v[2:3]
	s_delay_alu instid0(VALU_DEP_2)
	v_dual_cndmask_b32 v3, v23, v3 :: v_dual_cndmask_b32 v2, v22, v2
; %bb.319:                              ;   in Loop: Header=BB162_180 Depth=1
	s_and_not1_saveexec_b32 s21, s0
	s_cbranch_execz .LBB162_178
; %bb.320:                              ;   in Loop: Header=BB162_180 Depth=1
	s_mov_b32 s48, exec_lo
	s_delay_alu instid0(VALU_DEP_1)
	v_cmpx_neq_f64_e64 0x7ff00000, |v[2:3]|
	s_cbranch_execz .LBB162_177
; %bb.321:                              ;   in Loop: Header=BB162_180 Depth=1
	v_cmp_ngt_f64_e64 s18, 0x41d00000, |v[2:3]|
	v_trig_preop_f64 v[30:31], |v[2:3]|, 0
	v_trig_preop_f64 v[28:29], |v[2:3]|, 1
	v_ldexp_f64 v[32:33], |v[2:3]|, 0xffffff80
	v_trig_preop_f64 v[26:27], |v[2:3]|, 2
	v_and_b32_e32 v39, 0x7fffffff, v3
                                        ; implicit-def: $vgpr38
                                        ; implicit-def: $vgpr22_vgpr23
                                        ; implicit-def: $vgpr24_vgpr25
	s_and_saveexec_b32 s0, s18
	s_delay_alu instid0(SALU_CYCLE_1)
	s_xor_b32 s4, exec_lo, s0
	s_cbranch_execz .LBB162_323
; %bb.322:                              ;   in Loop: Header=BB162_180 Depth=1
	v_cmp_le_f64_e64 vcc_lo, 0x7b000000, |v[2:3]|
	s_mov_b32 s0, s2
	s_mov_b32 s7, s5
	s_delay_alu instid0(VALU_DEP_4) | instskip(NEXT) | instid1(VALU_DEP_1)
	v_dual_cndmask_b32 v23, v39, v33 :: v_dual_cndmask_b32 v22, v2, v32
	v_mul_f64 v[24:25], v[30:31], v[22:23]
	v_mul_f64 v[34:35], v[28:29], v[22:23]
	s_delay_alu instid0(VALU_DEP_2) | instskip(NEXT) | instid1(VALU_DEP_1)
	v_fma_f64 v[36:37], v[30:31], v[22:23], -v[24:25]
	v_add_f64 v[40:41], v[34:35], v[36:37]
	s_delay_alu instid0(VALU_DEP_1) | instskip(SKIP_1) | instid1(VALU_DEP_2)
	v_add_f64 v[42:43], v[40:41], -v[34:35]
	v_add_f64 v[44:45], v[24:25], v[40:41]
	v_add_f64 v[36:37], v[36:37], -v[42:43]
	s_delay_alu instid0(VALU_DEP_2) | instskip(SKIP_1) | instid1(VALU_DEP_2)
	v_add_f64 v[24:25], v[44:45], -v[24:25]
	v_add_f64 v[42:43], v[40:41], -v[42:43]
	v_add_f64 v[24:25], v[40:41], -v[24:25]
	s_delay_alu instid0(VALU_DEP_2) | instskip(SKIP_2) | instid1(VALU_DEP_3)
	v_add_f64 v[40:41], v[34:35], -v[42:43]
	v_fma_f64 v[34:35], v[28:29], v[22:23], -v[34:35]
	v_mul_f64 v[42:43], v[26:27], v[22:23]
	v_add_f64 v[36:37], v[36:37], v[40:41]
	v_ldexp_f64 v[40:41], v[44:45], -2
	s_delay_alu instid0(VALU_DEP_3) | instskip(SKIP_1) | instid1(VALU_DEP_3)
	v_add_f64 v[44:45], v[42:43], v[34:35]
	v_fma_f64 v[22:23], v[26:27], v[22:23], -v[42:43]
	v_cmp_neq_f64_e64 vcc_lo, 0x7ff00000, |v[40:41]|
	s_delay_alu instid0(VALU_DEP_3) | instskip(SKIP_2) | instid1(VALU_DEP_3)
	v_add_f64 v[48:49], v[44:45], v[36:37]
	v_add_f64 v[46:47], v[44:45], -v[42:43]
	v_fract_f64_e32 v[40:41], v[40:41]
	v_add_f64 v[50:51], v[48:49], -v[44:45]
	s_delay_alu instid0(VALU_DEP_3) | instskip(SKIP_1) | instid1(VALU_DEP_4)
	v_add_f64 v[34:35], v[34:35], -v[46:47]
	v_add_f64 v[46:47], v[44:45], -v[46:47]
	v_dual_cndmask_b32 v41, 0, v41 :: v_dual_cndmask_b32 v40, 0, v40
	s_delay_alu instid0(VALU_DEP_1) | instskip(SKIP_4) | instid1(VALU_DEP_3)
	v_ldexp_f64 v[40:41], v[40:41], 2
	v_add_f64 v[36:37], v[36:37], -v[50:51]
	v_add_f64 v[50:51], v[48:49], -v[50:51]
	v_add_f64 v[46:47], v[42:43], -v[46:47]
	v_add_f64 v[42:43], v[24:25], v[48:49]
	v_add_f64 v[44:45], v[44:45], -v[50:51]
	s_delay_alu instid0(VALU_DEP_3) | instskip(NEXT) | instid1(VALU_DEP_3)
	v_add_f64 v[34:35], v[34:35], v[46:47]
	v_add_f64 v[24:25], v[42:43], -v[24:25]
	s_delay_alu instid0(VALU_DEP_3) | instskip(SKIP_1) | instid1(VALU_DEP_3)
	v_add_f64 v[36:37], v[36:37], v[44:45]
	v_add_f64 v[44:45], v[42:43], v[40:41]
	v_add_f64 v[24:25], v[48:49], -v[24:25]
	s_delay_alu instid0(VALU_DEP_3) | instskip(NEXT) | instid1(VALU_DEP_3)
	v_add_f64 v[34:35], v[34:35], v[36:37]
	v_cmp_gt_f64_e32 vcc_lo, 0, v[44:45]
	s_delay_alu instid0(VALU_DEP_2) | instskip(SKIP_1) | instid1(VALU_DEP_1)
	v_add_f64 v[22:23], v[22:23], v[34:35]
	v_cndmask_b32_e64 v17, 0, 0x40100000, vcc_lo
	v_add_f64 v[34:35], v[40:41], v[16:17]
	s_delay_alu instid0(VALU_DEP_3) | instskip(NEXT) | instid1(VALU_DEP_2)
	v_add_f64 v[22:23], v[24:25], v[22:23]
	v_add_f64 v[36:37], v[42:43], v[34:35]
	s_delay_alu instid0(VALU_DEP_1) | instskip(NEXT) | instid1(VALU_DEP_1)
	v_cvt_i32_f64_e32 v38, v[36:37]
	v_cvt_f64_i32_e32 v[36:37], v38
	s_delay_alu instid0(VALU_DEP_1) | instskip(NEXT) | instid1(VALU_DEP_1)
	v_add_f64 v[34:35], v[34:35], -v[36:37]
	v_add_f64 v[24:25], v[42:43], v[34:35]
	s_delay_alu instid0(VALU_DEP_1) | instskip(SKIP_1) | instid1(VALU_DEP_2)
	v_add_f64 v[34:35], v[24:25], -v[34:35]
	v_cmp_le_f64_e32 vcc_lo, 0.5, v[24:25]
	v_add_f64 v[34:35], v[42:43], -v[34:35]
	v_cndmask_b32_e64 v17, 0, 0x3ff00000, vcc_lo
	v_add_co_ci_u32_e32 v38, vcc_lo, 0, v38, vcc_lo
	s_delay_alu instid0(VALU_DEP_2) | instskip(NEXT) | instid1(VALU_DEP_4)
	v_add_f64 v[24:25], v[24:25], -v[16:17]
	v_add_f64 v[22:23], v[22:23], v[34:35]
	s_delay_alu instid0(VALU_DEP_1) | instskip(NEXT) | instid1(VALU_DEP_1)
	v_add_f64 v[34:35], v[24:25], v[22:23]
	v_add_f64 v[24:25], v[34:35], -v[24:25]
	s_delay_alu instid0(VALU_DEP_1) | instskip(SKIP_1) | instid1(VALU_DEP_1)
	v_add_f64 v[22:23], v[22:23], -v[24:25]
	v_mul_f64 v[24:25], v[34:35], s[0:1]
	v_fma_f64 v[36:37], v[34:35], s[0:1], -v[24:25]
	s_delay_alu instid0(VALU_DEP_1) | instskip(NEXT) | instid1(VALU_DEP_1)
	v_fma_f64 v[34:35], v[34:35], s[6:7], v[36:37]
	v_fma_f64 v[34:35], v[22:23], s[0:1], v[34:35]
	s_delay_alu instid0(VALU_DEP_1) | instskip(NEXT) | instid1(VALU_DEP_1)
	v_add_f64 v[22:23], v[24:25], v[34:35]
	v_add_f64 v[24:25], v[22:23], -v[24:25]
	s_delay_alu instid0(VALU_DEP_1)
	v_add_f64 v[24:25], v[34:35], -v[24:25]
	s_and_not1_saveexec_b32 s0, s4
	s_cbranch_execz .LBB162_325
	s_branch .LBB162_324
.LBB162_323:                            ;   in Loop: Header=BB162_180 Depth=1
	s_and_not1_saveexec_b32 s0, s4
	s_cbranch_execz .LBB162_325
.LBB162_324:                            ;   in Loop: Header=BB162_180 Depth=1
	v_mul_f64 v[22:23], |v[2:3]|, s[10:11]
	s_mov_b32 s4, s14
	s_delay_alu instid0(VALU_DEP_1) | instskip(NEXT) | instid1(VALU_DEP_1)
	v_rndne_f64_e32 v[34:35], v[22:23]
	v_fma_f64 v[22:23], v[34:35], s[2:3], |v[2:3]|
	v_mul_f64 v[24:25], v[34:35], s[14:15]
	v_cvt_i32_f64_e32 v38, v[34:35]
	s_delay_alu instid0(VALU_DEP_3) | instskip(NEXT) | instid1(VALU_DEP_3)
	v_fma_f64 v[40:41], v[34:35], s[14:15], v[22:23]
	v_add_f64 v[36:37], v[22:23], v[24:25]
	s_delay_alu instid0(VALU_DEP_1) | instskip(NEXT) | instid1(VALU_DEP_3)
	v_add_f64 v[22:23], v[22:23], -v[36:37]
	v_add_f64 v[36:37], v[36:37], -v[40:41]
	s_delay_alu instid0(VALU_DEP_2) | instskip(SKIP_1) | instid1(VALU_DEP_2)
	v_add_f64 v[22:23], v[22:23], v[24:25]
	v_fma_f64 v[24:25], v[34:35], s[4:5], v[24:25]
	v_add_f64 v[22:23], v[36:37], v[22:23]
	s_delay_alu instid0(VALU_DEP_1) | instskip(NEXT) | instid1(VALU_DEP_1)
	v_add_f64 v[22:23], v[22:23], -v[24:25]
	v_fma_f64 v[24:25], v[34:35], s[16:17], v[22:23]
	s_delay_alu instid0(VALU_DEP_1) | instskip(NEXT) | instid1(VALU_DEP_1)
	v_add_f64 v[22:23], v[40:41], v[24:25]
	v_add_f64 v[36:37], v[22:23], -v[40:41]
	s_delay_alu instid0(VALU_DEP_1)
	v_add_f64 v[24:25], v[24:25], -v[36:37]
.LBB162_325:                            ;   in Loop: Header=BB162_180 Depth=1
	s_or_b32 exec_lo, exec_lo, s0
                                        ; implicit-def: $vgpr17
                                        ; implicit-def: $vgpr34_vgpr35
                                        ; implicit-def: $vgpr36_vgpr37
	s_and_saveexec_b32 s0, s18
	s_delay_alu instid0(SALU_CYCLE_1)
	s_xor_b32 s4, exec_lo, s0
	s_cbranch_execz .LBB162_327
; %bb.326:                              ;   in Loop: Header=BB162_180 Depth=1
	v_cmp_le_f64_e64 vcc_lo, 0x7b000000, |v[2:3]|
	s_mov_b32 s0, s2
	s_mov_b32 s7, s5
	s_delay_alu instid0(VALU_DEP_4) | instskip(NEXT) | instid1(VALU_DEP_1)
	v_dual_cndmask_b32 v33, v39, v33 :: v_dual_cndmask_b32 v32, v2, v32
	v_mul_f64 v[34:35], v[30:31], v[32:33]
	v_mul_f64 v[36:37], v[28:29], v[32:33]
	v_mul_f64 v[39:40], v[26:27], v[32:33]
	s_delay_alu instid0(VALU_DEP_3) | instskip(NEXT) | instid1(VALU_DEP_3)
	v_fma_f64 v[30:31], v[30:31], v[32:33], -v[34:35]
	v_fma_f64 v[28:29], v[28:29], v[32:33], -v[36:37]
	s_delay_alu instid0(VALU_DEP_3) | instskip(NEXT) | instid1(VALU_DEP_3)
	v_fma_f64 v[26:27], v[26:27], v[32:33], -v[39:40]
	v_add_f64 v[32:33], v[36:37], v[30:31]
	s_delay_alu instid0(VALU_DEP_1) | instskip(NEXT) | instid1(VALU_DEP_1)
	v_add_f64 v[41:42], v[32:33], -v[36:37]
	v_add_f64 v[30:31], v[30:31], -v[41:42]
	;; [unrolled: 1-line block ×3, first 2 shown]
	s_delay_alu instid0(VALU_DEP_1) | instskip(SKIP_1) | instid1(VALU_DEP_2)
	v_add_f64 v[36:37], v[36:37], -v[41:42]
	v_add_f64 v[41:42], v[34:35], v[32:33]
	v_add_f64 v[30:31], v[30:31], v[36:37]
	s_delay_alu instid0(VALU_DEP_2) | instskip(SKIP_1) | instid1(VALU_DEP_2)
	v_add_f64 v[34:35], v[41:42], -v[34:35]
	v_ldexp_f64 v[41:42], v[41:42], -2
	v_add_f64 v[32:33], v[32:33], -v[34:35]
	v_add_f64 v[34:35], v[39:40], v[28:29]
	s_delay_alu instid0(VALU_DEP_3) | instskip(SKIP_1) | instid1(VALU_DEP_3)
	v_cmp_neq_f64_e64 vcc_lo, 0x7ff00000, |v[41:42]|
	v_fract_f64_e32 v[41:42], v[41:42]
	v_add_f64 v[36:37], v[34:35], -v[39:40]
	s_delay_alu instid0(VALU_DEP_2) | instskip(NEXT) | instid1(VALU_DEP_2)
	v_dual_cndmask_b32 v42, 0, v42 :: v_dual_cndmask_b32 v41, 0, v41
	v_add_f64 v[28:29], v[28:29], -v[36:37]
	v_add_f64 v[36:37], v[34:35], -v[36:37]
	s_delay_alu instid0(VALU_DEP_1) | instskip(SKIP_1) | instid1(VALU_DEP_2)
	v_add_f64 v[36:37], v[39:40], -v[36:37]
	v_add_f64 v[39:40], v[34:35], v[30:31]
	v_add_f64 v[28:29], v[28:29], v[36:37]
	s_delay_alu instid0(VALU_DEP_2) | instskip(SKIP_1) | instid1(VALU_DEP_2)
	v_add_f64 v[43:44], v[39:40], -v[34:35]
	v_add_f64 v[36:37], v[32:33], v[39:40]
	v_add_f64 v[30:31], v[30:31], -v[43:44]
	v_add_f64 v[43:44], v[39:40], -v[43:44]
	s_delay_alu instid0(VALU_DEP_1) | instskip(NEXT) | instid1(VALU_DEP_1)
	v_add_f64 v[34:35], v[34:35], -v[43:44]
	v_add_f64 v[30:31], v[30:31], v[34:35]
	v_ldexp_f64 v[34:35], v[41:42], 2
	s_delay_alu instid0(VALU_DEP_2) | instskip(NEXT) | instid1(VALU_DEP_2)
	v_add_f64 v[28:29], v[28:29], v[30:31]
	v_add_f64 v[41:42], v[36:37], v[34:35]
	v_add_f64 v[30:31], v[36:37], -v[32:33]
	s_delay_alu instid0(VALU_DEP_3) | instskip(NEXT) | instid1(VALU_DEP_3)
	v_add_f64 v[26:27], v[26:27], v[28:29]
	v_cmp_gt_f64_e32 vcc_lo, 0, v[41:42]
	s_delay_alu instid0(VALU_DEP_3) | instskip(SKIP_1) | instid1(VALU_DEP_2)
	v_add_f64 v[30:31], v[39:40], -v[30:31]
	v_cndmask_b32_e64 v17, 0, 0x40100000, vcc_lo
	v_add_f64 v[26:27], v[30:31], v[26:27]
	s_delay_alu instid0(VALU_DEP_2) | instskip(NEXT) | instid1(VALU_DEP_1)
	v_add_f64 v[28:29], v[34:35], v[16:17]
	v_add_f64 v[32:33], v[36:37], v[28:29]
	s_delay_alu instid0(VALU_DEP_1) | instskip(NEXT) | instid1(VALU_DEP_1)
	v_cvt_i32_f64_e32 v39, v[32:33]
	v_cvt_f64_i32_e32 v[32:33], v39
	s_delay_alu instid0(VALU_DEP_1) | instskip(NEXT) | instid1(VALU_DEP_1)
	v_add_f64 v[28:29], v[28:29], -v[32:33]
	v_add_f64 v[30:31], v[36:37], v[28:29]
	s_delay_alu instid0(VALU_DEP_1) | instskip(SKIP_1) | instid1(VALU_DEP_2)
	v_add_f64 v[28:29], v[30:31], -v[28:29]
	v_cmp_le_f64_e32 vcc_lo, 0.5, v[30:31]
	v_add_f64 v[28:29], v[36:37], -v[28:29]
	v_cndmask_b32_e64 v17, 0, 0x3ff00000, vcc_lo
	s_delay_alu instid0(VALU_DEP_1) | instskip(SKIP_1) | instid1(VALU_DEP_4)
	v_add_f64 v[30:31], v[30:31], -v[16:17]
	v_add_co_ci_u32_e32 v17, vcc_lo, 0, v39, vcc_lo
	v_add_f64 v[26:27], v[26:27], v[28:29]
	s_delay_alu instid0(VALU_DEP_1) | instskip(NEXT) | instid1(VALU_DEP_1)
	v_add_f64 v[28:29], v[30:31], v[26:27]
	v_add_f64 v[30:31], v[28:29], -v[30:31]
	s_delay_alu instid0(VALU_DEP_1) | instskip(SKIP_1) | instid1(VALU_DEP_1)
	v_add_f64 v[26:27], v[26:27], -v[30:31]
	v_mul_f64 v[30:31], v[28:29], s[0:1]
	v_fma_f64 v[32:33], v[28:29], s[0:1], -v[30:31]
	s_delay_alu instid0(VALU_DEP_1) | instskip(NEXT) | instid1(VALU_DEP_1)
	v_fma_f64 v[28:29], v[28:29], s[6:7], v[32:33]
	v_fma_f64 v[26:27], v[26:27], s[0:1], v[28:29]
	s_delay_alu instid0(VALU_DEP_1) | instskip(NEXT) | instid1(VALU_DEP_1)
	v_add_f64 v[34:35], v[30:31], v[26:27]
	v_add_f64 v[28:29], v[34:35], -v[30:31]
	s_delay_alu instid0(VALU_DEP_1)
	v_add_f64 v[36:37], v[26:27], -v[28:29]
	s_and_not1_saveexec_b32 s0, s4
	s_cbranch_execz .LBB162_176
	s_branch .LBB162_328
.LBB162_327:                            ;   in Loop: Header=BB162_180 Depth=1
	s_and_not1_saveexec_b32 s0, s4
	s_cbranch_execz .LBB162_176
.LBB162_328:                            ;   in Loop: Header=BB162_180 Depth=1
	v_mul_f64 v[26:27], |v[2:3]|, s[10:11]
	s_mov_b32 s4, s14
	s_delay_alu instid0(VALU_DEP_1) | instskip(NEXT) | instid1(VALU_DEP_1)
	v_rndne_f64_e32 v[26:27], v[26:27]
	v_fma_f64 v[28:29], v[26:27], s[2:3], |v[2:3]|
	v_mul_f64 v[30:31], v[26:27], s[14:15]
	v_cvt_i32_f64_e32 v17, v[26:27]
	s_delay_alu instid0(VALU_DEP_3) | instskip(NEXT) | instid1(VALU_DEP_3)
	v_fma_f64 v[36:37], v[26:27], s[14:15], v[28:29]
	v_add_f64 v[32:33], v[28:29], v[30:31]
	s_delay_alu instid0(VALU_DEP_1) | instskip(NEXT) | instid1(VALU_DEP_3)
	v_add_f64 v[28:29], v[28:29], -v[32:33]
	v_add_f64 v[32:33], v[32:33], -v[36:37]
	s_delay_alu instid0(VALU_DEP_2) | instskip(SKIP_1) | instid1(VALU_DEP_2)
	v_add_f64 v[28:29], v[28:29], v[30:31]
	v_fma_f64 v[30:31], v[26:27], s[4:5], v[30:31]
	v_add_f64 v[28:29], v[32:33], v[28:29]
	s_delay_alu instid0(VALU_DEP_1) | instskip(NEXT) | instid1(VALU_DEP_1)
	v_add_f64 v[28:29], v[28:29], -v[30:31]
	v_fma_f64 v[28:29], v[26:27], s[16:17], v[28:29]
	s_delay_alu instid0(VALU_DEP_1) | instskip(NEXT) | instid1(VALU_DEP_1)
	v_add_f64 v[34:35], v[36:37], v[28:29]
	v_add_f64 v[30:31], v[34:35], -v[36:37]
	s_delay_alu instid0(VALU_DEP_1)
	v_add_f64 v[36:37], v[28:29], -v[30:31]
	s_branch .LBB162_176
.LBB162_329:
	s_nop 0
	s_sendmsg sendmsg(MSG_DEALLOC_VGPRS)
	s_endpgm
	.section	.rodata,"a",@progbits
	.p2align	6, 0x0
	.amdhsa_kernel _ZN2at6native12_GLOBAL__N_125multi_tensor_apply_kernelINS1_18TensorListMetadataILi1EEENS1_14UnaryOpFunctorIN3c107complexIdEELi1ELi1ELi0EEEJNS0_4TanhIS8_EEEEEvT_T0_DpT1_
		.amdhsa_group_segment_fixed_size 0
		.amdhsa_private_segment_fixed_size 0
		.amdhsa_kernarg_size 3632
		.amdhsa_user_sgpr_count 15
		.amdhsa_user_sgpr_dispatch_ptr 0
		.amdhsa_user_sgpr_queue_ptr 0
		.amdhsa_user_sgpr_kernarg_segment_ptr 1
		.amdhsa_user_sgpr_dispatch_id 0
		.amdhsa_user_sgpr_private_segment_size 0
		.amdhsa_wavefront_size32 1
		.amdhsa_uses_dynamic_stack 0
		.amdhsa_enable_private_segment 0
		.amdhsa_system_sgpr_workgroup_id_x 1
		.amdhsa_system_sgpr_workgroup_id_y 0
		.amdhsa_system_sgpr_workgroup_id_z 0
		.amdhsa_system_sgpr_workgroup_info 0
		.amdhsa_system_vgpr_workitem_id 0
		.amdhsa_next_free_vgpr 70
		.amdhsa_next_free_sgpr 105
		.amdhsa_reserve_vcc 1
		.amdhsa_float_round_mode_32 0
		.amdhsa_float_round_mode_16_64 0
		.amdhsa_float_denorm_mode_32 3
		.amdhsa_float_denorm_mode_16_64 3
		.amdhsa_dx10_clamp 1
		.amdhsa_ieee_mode 1
		.amdhsa_fp16_overflow 0
		.amdhsa_workgroup_processor_mode 1
		.amdhsa_memory_ordered 1
		.amdhsa_forward_progress 0
		.amdhsa_shared_vgpr_count 0
		.amdhsa_exception_fp_ieee_invalid_op 0
		.amdhsa_exception_fp_denorm_src 0
		.amdhsa_exception_fp_ieee_div_zero 0
		.amdhsa_exception_fp_ieee_overflow 0
		.amdhsa_exception_fp_ieee_underflow 0
		.amdhsa_exception_fp_ieee_inexact 0
		.amdhsa_exception_int_div_zero 0
	.end_amdhsa_kernel
	.section	.text._ZN2at6native12_GLOBAL__N_125multi_tensor_apply_kernelINS1_18TensorListMetadataILi1EEENS1_14UnaryOpFunctorIN3c107complexIdEELi1ELi1ELi0EEEJNS0_4TanhIS8_EEEEEvT_T0_DpT1_,"axG",@progbits,_ZN2at6native12_GLOBAL__N_125multi_tensor_apply_kernelINS1_18TensorListMetadataILi1EEENS1_14UnaryOpFunctorIN3c107complexIdEELi1ELi1ELi0EEEJNS0_4TanhIS8_EEEEEvT_T0_DpT1_,comdat
.Lfunc_end162:
	.size	_ZN2at6native12_GLOBAL__N_125multi_tensor_apply_kernelINS1_18TensorListMetadataILi1EEENS1_14UnaryOpFunctorIN3c107complexIdEELi1ELi1ELi0EEEJNS0_4TanhIS8_EEEEEvT_T0_DpT1_, .Lfunc_end162-_ZN2at6native12_GLOBAL__N_125multi_tensor_apply_kernelINS1_18TensorListMetadataILi1EEENS1_14UnaryOpFunctorIN3c107complexIdEELi1ELi1ELi0EEEJNS0_4TanhIS8_EEEEEvT_T0_DpT1_
                                        ; -- End function
	.section	.AMDGPU.csdata,"",@progbits
; Kernel info:
; codeLenInByte = 69016
; NumSgprs: 107
; NumVgprs: 70
; ScratchSize: 0
; MemoryBound: 1
; FloatMode: 240
; IeeeMode: 1
; LDSByteSize: 0 bytes/workgroup (compile time only)
; SGPRBlocks: 13
; VGPRBlocks: 8
; NumSGPRsForWavesPerEU: 107
; NumVGPRsForWavesPerEU: 70
; Occupancy: 16
; WaveLimiterHint : 0
; COMPUTE_PGM_RSRC2:SCRATCH_EN: 0
; COMPUTE_PGM_RSRC2:USER_SGPR: 15
; COMPUTE_PGM_RSRC2:TRAP_HANDLER: 0
; COMPUTE_PGM_RSRC2:TGID_X_EN: 1
; COMPUTE_PGM_RSRC2:TGID_Y_EN: 0
; COMPUTE_PGM_RSRC2:TGID_Z_EN: 0
; COMPUTE_PGM_RSRC2:TIDIG_COMP_CNT: 0
	.section	.text._ZN2at6native12_GLOBAL__N_125multi_tensor_apply_kernelINS1_18TensorListMetadataILi1EEENS1_14UnaryOpFunctorIN3c107complexIfEELi1ELi1ELi0EEEJNS0_4TanhIS8_EEEEEvT_T0_DpT1_,"axG",@progbits,_ZN2at6native12_GLOBAL__N_125multi_tensor_apply_kernelINS1_18TensorListMetadataILi1EEENS1_14UnaryOpFunctorIN3c107complexIfEELi1ELi1ELi0EEEJNS0_4TanhIS8_EEEEEvT_T0_DpT1_,comdat
	.globl	_ZN2at6native12_GLOBAL__N_125multi_tensor_apply_kernelINS1_18TensorListMetadataILi1EEENS1_14UnaryOpFunctorIN3c107complexIfEELi1ELi1ELi0EEEJNS0_4TanhIS8_EEEEEvT_T0_DpT1_ ; -- Begin function _ZN2at6native12_GLOBAL__N_125multi_tensor_apply_kernelINS1_18TensorListMetadataILi1EEENS1_14UnaryOpFunctorIN3c107complexIfEELi1ELi1ELi0EEEJNS0_4TanhIS8_EEEEEvT_T0_DpT1_
	.p2align	8
	.type	_ZN2at6native12_GLOBAL__N_125multi_tensor_apply_kernelINS1_18TensorListMetadataILi1EEENS1_14UnaryOpFunctorIN3c107complexIfEELi1ELi1ELi0EEEJNS0_4TanhIS8_EEEEEvT_T0_DpT1_,@function
_ZN2at6native12_GLOBAL__N_125multi_tensor_apply_kernelINS1_18TensorListMetadataILi1EEENS1_14UnaryOpFunctorIN3c107complexIfEELi1ELi1ELi0EEEJNS0_4TanhIS8_EEEEEvT_T0_DpT1_: ; @_ZN2at6native12_GLOBAL__N_125multi_tensor_apply_kernelINS1_18TensorListMetadataILi1EEENS1_14UnaryOpFunctorIN3c107complexIfEELi1ELi1ELi0EEEJNS0_4TanhIS8_EEEEEvT_T0_DpT1_
; %bb.0:
	v_mov_b32_e32 v1, s15
	s_add_u32 s2, s0, s15
	s_mul_hi_u32 s3, s15, 3
	s_mul_i32 s15, s15, 3
	s_addc_u32 s4, s1, 0
	global_load_u8 v1, v1, s[0:1] offset:1760
	s_add_u32 s2, s2, s15
	s_addc_u32 s3, s4, s3
	s_mov_b32 s7, 0
	s_load_b32 s2, s[2:3], 0x820
	s_waitcnt vmcnt(0)
	v_readfirstlane_b32 s5, v1
	s_delay_alu instid0(VALU_DEP_1)
	s_lshl_b32 s3, s5, 3
	s_clause 0x1
	s_load_b64 s[12:13], s[0:1], s3 offset:0x0
	s_load_b64 s[4:5], s[0:1], s3 offset:0x370
	s_waitcnt lgkmcnt(0)
	s_ashr_i32 s3, s2, 31
	s_delay_alu instid0(SALU_CYCLE_1) | instskip(NEXT) | instid1(SALU_CYCLE_1)
	s_lshl_b64 s[14:15], s[2:3], 19
	s_add_u32 s9, s12, s14
	s_addc_u32 s20, s13, s15
	s_lshl_b64 s[2:3], s[2:3], 16
	s_and_b32 s6, s9, 31
	s_sub_u32 s10, s4, s2
	s_subb_u32 s11, s5, s3
	s_and_b32 s2, s4, 3
	s_mov_b32 s3, s7
	s_delay_alu instid0(SALU_CYCLE_1) | instskip(NEXT) | instid1(SALU_CYCLE_1)
	s_or_b64 s[2:3], s[6:7], s[2:3]
	s_cmp_eq_u64 s[2:3], 0
	s_cbranch_scc1 .LBB163_173
; %bb.1:
	v_cmp_lt_i64_e64 s2, s[10:11], 1
	s_delay_alu instid0(VALU_DEP_1)
	s_and_b32 vcc_lo, exec_lo, s2
	s_cbranch_vccnz .LBB163_172
; %bb.2:
	s_load_b32 s2, s[0:1], 0xd3c
	v_dual_mov_b32 v2, 0 :: v_dual_lshlrev_b32 v3, 3, v0
	v_cmp_gt_u64_e64 s3, 0x10000, s[10:11]
	s_mov_b64 s[18:19], 0
	s_mov_b32 s23, 0x7fffff
	s_mov_b32 s24, 0xbc8cedd3
	;; [unrolled: 1-line block ×6, first 2 shown]
	s_waitcnt lgkmcnt(0)
	s_and_b32 s2, s2, 0xffff
	s_and_b32 s3, s3, exec_lo
	v_add_co_u32 v15, s5, v0, s2
	v_mov_b32_e32 v4, v2
	s_cselect_b32 s17, s11, 0
	s_cselect_b32 s16, s10, 0x10000
	s_delay_alu instid0(VALU_DEP_2)
	v_lshlrev_b32_e32 v19, 3, v15
	s_lshl_b32 s3, s2, 1
	v_mad_u64_u32 v[5:6], null, s2, 24, v[3:4]
	s_mul_i32 s4, s2, 3
	s_lshl_b32 s21, s2, 2
	s_lshl_b32 s22, s2, 5
	;; [unrolled: 1-line block ×3, first 2 shown]
	v_add_co_u32 v4, s4, s4, v0
	v_add_co_u32 v1, s2, s2, v3
	s_delay_alu instid0(VALU_DEP_1)
	v_add_co_ci_u32_e64 v18, null, 0, 0, s2
	v_add_co_u32 v21, s2, s3, v0
	v_add_co_ci_u32_e64 v16, null, 0, 0, s5
	v_add_co_ci_u32_e64 v17, null, 0, 0, s4
	v_or_b32_e32 v20, 4, v1
	v_or_b32_e32 v5, 4, v5
	v_add_co_ci_u32_e64 v22, null, 0, 0, s2
	s_branch .LBB163_4
.LBB163_3:                              ;   in Loop: Header=BB163_4 Depth=1
	s_or_b32 exec_lo, exec_lo, s2
	s_add_u32 s18, s18, s21
	s_addc_u32 s19, s19, 0
	s_delay_alu instid0(SALU_CYCLE_1) | instskip(SKIP_1) | instid1(VALU_DEP_1)
	v_cmp_ge_i64_e64 s2, s[18:19], s[10:11]
	v_cmp_lt_u64_e64 s3, 0xffff, s[18:19]
	s_or_b32 s2, s2, s3
	s_add_u32 s9, s9, s22
	s_addc_u32 s20, s20, 0
	s_and_b32 vcc_lo, exec_lo, s2
	s_cbranch_vccnz .LBB163_172
.LBB163_4:                              ; =>This Inner Loop Header: Depth=1
	v_add_co_u32 v7, s2, v0, s18
	s_delay_alu instid0(VALU_DEP_1) | instskip(SKIP_1) | instid1(VALU_DEP_2)
	v_add_co_ci_u32_e64 v8, null, 0, s19, s2
	v_dual_mov_b32 v10, 0 :: v_dual_mov_b32 v9, 0
	v_cmp_gt_u64_e64 s2, s[16:17], v[7:8]
	s_delay_alu instid0(VALU_DEP_1)
	s_and_saveexec_b32 s3, s2
	s_cbranch_execz .LBB163_6
; %bb.5:                                ;   in Loop: Header=BB163_4 Depth=1
	v_add_co_u32 v7, s4, s9, v3
	s_delay_alu instid0(VALU_DEP_1)
	v_add_co_ci_u32_e64 v8, null, s20, 0, s4
	global_load_b64 v[9:10], v[7:8], off
.LBB163_6:                              ;   in Loop: Header=BB163_4 Depth=1
	s_or_b32 exec_lo, exec_lo, s3
	v_add_co_u32 v11, vcc_lo, v15, s18
	v_add_co_ci_u32_e32 v12, vcc_lo, s19, v16, vcc_lo
	v_mov_b32_e32 v8, 0
	s_delay_alu instid0(VALU_DEP_2) | instskip(SKIP_1) | instid1(VALU_DEP_2)
	v_cmp_gt_u64_e64 s3, s[16:17], v[11:12]
	v_dual_mov_b32 v11, 0 :: v_dual_mov_b32 v12, 0
	s_and_saveexec_b32 s4, s3
	s_cbranch_execz .LBB163_8
; %bb.7:                                ;   in Loop: Header=BB163_4 Depth=1
	v_add_co_u32 v11, s5, s9, v19
	s_delay_alu instid0(VALU_DEP_1)
	v_add_co_ci_u32_e64 v12, null, s20, 0, s5
	global_load_b64 v[11:12], v[11:12], off
.LBB163_8:                              ;   in Loop: Header=BB163_4 Depth=1
	s_or_b32 exec_lo, exec_lo, s4
	v_add_co_u32 v13, vcc_lo, v21, s18
	v_add_co_ci_u32_e32 v14, vcc_lo, s19, v22, vcc_lo
	v_mov_b32_e32 v7, 0
	s_delay_alu instid0(VALU_DEP_2) | instskip(NEXT) | instid1(VALU_DEP_1)
	v_cmp_gt_u64_e64 s4, s[16:17], v[13:14]
	s_and_saveexec_b32 s5, s4
	s_cbranch_execz .LBB163_10
; %bb.9:                                ;   in Loop: Header=BB163_4 Depth=1
	v_add_co_u32 v7, vcc_lo, s9, v20
	v_add_co_ci_u32_e32 v8, vcc_lo, s20, v18, vcc_lo
	global_load_b64 v[7:8], v[7:8], off offset:-4
.LBB163_10:                             ;   in Loop: Header=BB163_4 Depth=1
	s_or_b32 exec_lo, exec_lo, s5
	v_add_co_u32 v13, vcc_lo, v4, s18
	v_add_co_ci_u32_e32 v14, vcc_lo, s19, v17, vcc_lo
	s_delay_alu instid0(VALU_DEP_1) | instskip(SKIP_1) | instid1(VALU_DEP_2)
	v_cmp_gt_u64_e64 s5, s[16:17], v[13:14]
	v_dual_mov_b32 v14, 0 :: v_dual_mov_b32 v13, 0
	s_and_saveexec_b32 s6, s5
	s_cbranch_execz .LBB163_12
; %bb.11:                               ;   in Loop: Header=BB163_4 Depth=1
	v_add_co_u32 v13, vcc_lo, s9, v5
	v_add_co_ci_u32_e32 v14, vcc_lo, s20, v6, vcc_lo
	global_load_b64 v[13:14], v[13:14], off offset:-4
.LBB163_12:                             ;   in Loop: Header=BB163_4 Depth=1
	s_or_b32 exec_lo, exec_lo, s6
	s_waitcnt vmcnt(0)
	v_and_b32_e32 v1, 0x7fffffff, v9
	s_mov_b32 s6, exec_lo
	s_delay_alu instid0(VALU_DEP_1)
	v_cmpx_gt_u32_e32 0x7f800000, v1
	s_xor_b32 s29, exec_lo, s6
	s_cbranch_execz .LBB163_34
; %bb.13:                               ;   in Loop: Header=BB163_4 Depth=1
	v_cmp_class_f32_e64 s6, v10, 0x1f8
	s_delay_alu instid0(VALU_DEP_1) | instskip(NEXT) | instid1(SALU_CYCLE_1)
	s_and_saveexec_b32 s7, s6
	s_xor_b32 s30, exec_lo, s7
	s_cbranch_execz .LBB163_31
; %bb.14:                               ;   in Loop: Header=BB163_4 Depth=1
	v_and_b32_e32 v23, 0x7fffffff, v10
	s_mov_b32 s6, exec_lo
	v_cmpx_gt_u32_e32 0x41300000, v1
	s_xor_b32 s31, exec_lo, s6
	s_cbranch_execz .LBB163_20
; %bb.15:                               ;   in Loop: Header=BB163_4 Depth=1
                                        ; implicit-def: $vgpr1
                                        ; implicit-def: $vgpr24
	s_mov_b32 s7, exec_lo
	v_cmpx_ngt_f32_e64 0x48000000, |v10|
	s_xor_b32 s33, exec_lo, s7
	s_cbranch_execz .LBB163_17
; %bb.16:                               ;   in Loop: Header=BB163_4 Depth=1
	v_and_or_b32 v32, v23, s23, 0x800000
	v_lshrrev_b32_e32 v29, 23, v23
	s_delay_alu instid0(VALU_DEP_2) | instskip(NEXT) | instid1(VALU_DEP_2)
	v_mad_u64_u32 v[24:25], null, 0xfe5163ab, v32, 0
	v_add_nc_u32_e32 v30, 0xffffff88, v29
	s_delay_alu instid0(VALU_DEP_1) | instskip(NEXT) | instid1(VALU_DEP_3)
	v_cmp_lt_u32_e32 vcc_lo, 63, v30
	v_mov_b32_e32 v1, v25
	v_cndmask_b32_e64 v31, 0, 0xffffffc0, vcc_lo
	s_delay_alu instid0(VALU_DEP_2) | instskip(NEXT) | instid1(VALU_DEP_2)
	v_mad_u64_u32 v[25:26], null, 0x3c439041, v32, v[1:2]
	v_add_nc_u32_e32 v31, v31, v30
	s_delay_alu instid0(VALU_DEP_2) | instskip(NEXT) | instid1(VALU_DEP_2)
	v_mov_b32_e32 v1, v26
	v_cmp_lt_u32_e64 s6, 31, v31
	s_delay_alu instid0(VALU_DEP_2) | instskip(NEXT) | instid1(VALU_DEP_2)
	v_mad_u64_u32 v[26:27], null, 0xdb629599, v32, v[1:2]
	v_cndmask_b32_e64 v33, 0, 0xffffffe0, s6
	s_delay_alu instid0(VALU_DEP_1) | instskip(NEXT) | instid1(VALU_DEP_3)
	v_add_nc_u32_e32 v33, v33, v31
	v_dual_mov_b32 v1, v27 :: v_dual_cndmask_b32 v24, v26, v24
	s_delay_alu instid0(VALU_DEP_2) | instskip(NEXT) | instid1(VALU_DEP_2)
	v_cmp_lt_u32_e64 s7, 31, v33
	v_mad_u64_u32 v[27:28], null, 0xf534ddc0, v32, v[1:2]
	s_delay_alu instid0(VALU_DEP_1) | instskip(NEXT) | instid1(VALU_DEP_2)
	v_mov_b32_e32 v1, v28
	v_cndmask_b32_e32 v25, v27, v25, vcc_lo
	s_delay_alu instid0(VALU_DEP_2) | instskip(NEXT) | instid1(VALU_DEP_2)
	v_mad_u64_u32 v[28:29], null, 0xfc2757d1, v32, v[1:2]
	v_cndmask_b32_e64 v24, v25, v24, s6
	s_delay_alu instid0(VALU_DEP_2) | instskip(NEXT) | instid1(VALU_DEP_1)
	v_mov_b32_e32 v1, v29
	v_mad_u64_u32 v[29:30], null, 0x4e441529, v32, v[1:2]
	s_delay_alu instid0(VALU_DEP_1) | instskip(NEXT) | instid1(VALU_DEP_1)
	v_mov_b32_e32 v1, v30
	v_mad_u64_u32 v[30:31], null, 0xa2f9836e, v32, v[1:2]
	v_cndmask_b32_e64 v1, 0, 0xffffffe0, s7
	s_delay_alu instid0(VALU_DEP_4) | instskip(NEXT) | instid1(VALU_DEP_2)
	v_cndmask_b32_e32 v32, v29, v27, vcc_lo
	v_dual_cndmask_b32 v30, v30, v28 :: v_dual_add_nc_u32 v1, v1, v33
	s_delay_alu instid0(VALU_DEP_4) | instskip(NEXT) | instid1(VALU_DEP_2)
	v_dual_cndmask_b32 v29, v31, v29 :: v_dual_cndmask_b32 v28, v28, v26
	v_sub_nc_u32_e32 v31, 32, v1
	s_delay_alu instid0(VALU_DEP_3) | instskip(NEXT) | instid1(VALU_DEP_3)
	v_cndmask_b32_e64 v27, v30, v32, s6
	v_cndmask_b32_e64 v29, v29, v30, s6
	s_delay_alu instid0(VALU_DEP_4) | instskip(SKIP_2) | instid1(VALU_DEP_4)
	v_cndmask_b32_e64 v30, v32, v28, s6
	v_cndmask_b32_e64 v28, v28, v25, s6
	v_cmp_eq_u32_e64 s8, 0, v1
	v_cndmask_b32_e64 v29, v29, v27, s7
	s_delay_alu instid0(VALU_DEP_4) | instskip(NEXT) | instid1(VALU_DEP_4)
	v_cndmask_b32_e64 v27, v27, v30, s7
	v_cndmask_b32_e64 v30, v30, v28, s7
	v_cndmask_b32_e64 v24, v28, v24, s7
	s_delay_alu instid0(VALU_DEP_3) | instskip(NEXT) | instid1(VALU_DEP_3)
	v_alignbit_b32 v32, v29, v27, v31
	v_alignbit_b32 v33, v27, v30, v31
	s_delay_alu instid0(VALU_DEP_3) | instskip(NEXT) | instid1(VALU_DEP_3)
	v_alignbit_b32 v31, v30, v24, v31
	v_cndmask_b32_e64 v1, v32, v29, s8
	s_delay_alu instid0(VALU_DEP_3) | instskip(NEXT) | instid1(VALU_DEP_3)
	v_cndmask_b32_e64 v26, v33, v27, s8
	v_cndmask_b32_e64 v30, v31, v30, s8
	s_delay_alu instid0(VALU_DEP_3) | instskip(NEXT) | instid1(VALU_DEP_3)
	v_bfe_u32 v27, v1, 29, 1
	v_alignbit_b32 v25, v1, v26, 30
	s_delay_alu instid0(VALU_DEP_3) | instskip(SKIP_1) | instid1(VALU_DEP_4)
	v_alignbit_b32 v26, v26, v30, 30
	v_alignbit_b32 v24, v30, v24, 30
	v_sub_nc_u32_e32 v29, 0, v27
	s_delay_alu instid0(VALU_DEP_1) | instskip(SKIP_3) | instid1(VALU_DEP_4)
	v_xor_b32_e32 v28, v25, v29
	v_cmp_ne_u32_e32 vcc_lo, v25, v29
	v_xor_b32_e32 v26, v26, v29
	v_xor_b32_e32 v24, v24, v29
	v_clz_i32_u32_e32 v32, v28
	s_delay_alu instid0(VALU_DEP_1) | instskip(NEXT) | instid1(VALU_DEP_1)
	v_add_nc_u32_e32 v31, 1, v32
	v_cndmask_b32_e32 v25, 33, v31, vcc_lo
	s_delay_alu instid0(VALU_DEP_1) | instskip(NEXT) | instid1(VALU_DEP_1)
	v_sub_nc_u32_e32 v30, 32, v25
	v_alignbit_b32 v28, v28, v26, v30
	v_alignbit_b32 v24, v26, v24, v30
	v_lshrrev_b32_e32 v26, 29, v1
	v_lshrrev_b32_e32 v1, 30, v1
	s_delay_alu instid0(VALU_DEP_3) | instskip(NEXT) | instid1(VALU_DEP_3)
	v_alignbit_b32 v29, v28, v24, 9
	v_lshlrev_b32_e32 v26, 31, v26
	v_alignbit_b32 v28, v25, v28, 9
	s_delay_alu instid0(VALU_DEP_4) | instskip(NEXT) | instid1(VALU_DEP_4)
	v_add_nc_u32_e32 v1, v27, v1
	v_clz_i32_u32_e32 v30, v29
	s_delay_alu instid0(VALU_DEP_3) | instskip(SKIP_1) | instid1(VALU_DEP_3)
	v_or_b32_e32 v28, v28, v26
	v_or_b32_e32 v26, 0x33800000, v26
	v_min_u32_e32 v30, 32, v30
	s_delay_alu instid0(VALU_DEP_3) | instskip(NEXT) | instid1(VALU_DEP_2)
	v_xor_b32_e32 v28, 1.0, v28
	v_sub_nc_u32_e32 v31, 31, v30
	v_add_lshl_u32 v25, v30, v25, 23
	s_delay_alu instid0(VALU_DEP_3) | instskip(NEXT) | instid1(VALU_DEP_3)
	v_mul_f32_e32 v30, 0x3fc90fda, v28
	v_alignbit_b32 v24, v29, v24, v31
	s_delay_alu instid0(VALU_DEP_3) | instskip(NEXT) | instid1(VALU_DEP_3)
	v_sub_nc_u32_e32 v25, v26, v25
	v_fma_f32 v26, 0x3fc90fda, v28, -v30
	s_delay_alu instid0(VALU_DEP_3) | instskip(NEXT) | instid1(VALU_DEP_2)
	v_lshrrev_b32_e32 v24, 9, v24
	v_fmac_f32_e32 v26, 0x33a22168, v28
	s_delay_alu instid0(VALU_DEP_2) | instskip(NEXT) | instid1(VALU_DEP_1)
	v_or_b32_e32 v24, v25, v24
	v_fmac_f32_e32 v26, 0x3fc90fda, v24
	s_delay_alu instid0(VALU_DEP_1)
	v_add_f32_e32 v24, v30, v26
.LBB163_17:                             ;   in Loop: Header=BB163_4 Depth=1
	s_and_not1_saveexec_b32 s6, s33
; %bb.18:                               ;   in Loop: Header=BB163_4 Depth=1
	v_mul_f32_e64 v1, 0x3f22f983, |v10|
	s_delay_alu instid0(VALU_DEP_1) | instskip(NEXT) | instid1(VALU_DEP_1)
	v_rndne_f32_e32 v1, v1
	v_fma_f32 v24, 0xbfc90fda, v1, |v10|
	s_delay_alu instid0(VALU_DEP_1) | instskip(NEXT) | instid1(VALU_DEP_1)
	v_fmac_f32_e32 v24, 0xb3a22168, v1
	v_fmac_f32_e32 v24, 0xa7c234c4, v1
	v_cvt_i32_f32_e32 v1, v1
; %bb.19:                               ;   in Loop: Header=BB163_4 Depth=1
	s_or_b32 exec_lo, exec_lo, s6
	v_add_f32_e64 v25, 0xbf317218, |v9|
	v_cmp_nlt_f32_e64 vcc_lo, 0x42b2d4fc, |v9|
	v_cmp_gt_f32_e64 s6, 0x39800000, |v9|
	v_and_b32_e32 v1, 1, v1
	s_delay_alu instid0(VALU_DEP_4) | instskip(NEXT) | instid1(VALU_DEP_1)
	v_sub_f32_e64 v26, v25, |v9|
	v_dual_sub_f32 v27, v26, v25 :: v_dual_add_f32 v26, 0x3f317218, v26
	s_delay_alu instid0(VALU_DEP_1) | instskip(NEXT) | instid1(VALU_DEP_1)
	v_add_f32_e64 v27, |v9|, v27
	v_sub_f32_e32 v26, v27, v26
	s_delay_alu instid0(VALU_DEP_1) | instskip(NEXT) | instid1(VALU_DEP_1)
	v_add_f32_e32 v26, 0x3102e308, v26
	v_add_f32_e32 v27, v25, v26
	s_delay_alu instid0(VALU_DEP_1) | instskip(NEXT) | instid1(VALU_DEP_1)
	v_sub_f32_e32 v25, v25, v27
	v_dual_mul_f32 v28, 0x3fb8aa3b, v27 :: v_dual_add_f32 v25, v26, v25
	s_delay_alu instid0(VALU_DEP_1) | instskip(NEXT) | instid1(VALU_DEP_1)
	v_rndne_f32_e32 v28, v28
	v_mul_f32_e32 v26, 0x35bfbc00, v28
	v_fmac_f32_e32 v27, 0xbf317200, v28
	s_delay_alu instid0(VALU_DEP_1) | instskip(NEXT) | instid1(VALU_DEP_1)
	v_add_f32_e32 v29, v25, v27
	v_dual_sub_f32 v30, v29, v26 :: v_dual_sub_f32 v27, v27, v29
	s_delay_alu instid0(VALU_DEP_1) | instskip(NEXT) | instid1(VALU_DEP_1)
	v_sub_f32_e32 v29, v29, v30
	v_sub_f32_e32 v26, v29, v26
	s_delay_alu instid0(VALU_DEP_3) | instskip(NEXT) | instid1(VALU_DEP_1)
	v_add_f32_e32 v25, v25, v27
	v_dual_add_f32 v25, v25, v26 :: v_dual_mul_f32 v26, 0x2ea39ef3, v28
	s_delay_alu instid0(VALU_DEP_1) | instskip(NEXT) | instid1(VALU_DEP_1)
	v_add_f32_e32 v27, v30, v25
	v_dual_sub_f32 v29, v27, v26 :: v_dual_sub_f32 v30, v30, v27
	s_delay_alu instid0(VALU_DEP_1) | instskip(NEXT) | instid1(VALU_DEP_2)
	v_sub_f32_e32 v27, v27, v29
	v_add_f32_e32 v25, v25, v30
	s_delay_alu instid0(VALU_DEP_2) | instskip(NEXT) | instid1(VALU_DEP_1)
	v_sub_f32_e32 v26, v27, v26
	v_add_f32_e32 v25, v25, v26
	s_delay_alu instid0(VALU_DEP_1) | instskip(NEXT) | instid1(VALU_DEP_1)
	v_add_f32_e32 v26, v29, v25
	v_sub_f32_e32 v27, v29, v26
	v_mul_f32_e32 v29, v26, v26
	s_delay_alu instid0(VALU_DEP_2) | instskip(SKIP_1) | instid1(VALU_DEP_3)
	v_add_f32_e32 v25, v25, v27
	v_fmaak_f32 v27, s26, v26, 0x3c091de6
	v_fma_f32 v30, v26, v26, -v29
	s_delay_alu instid0(VALU_DEP_3) | instskip(NEXT) | instid1(VALU_DEP_3)
	v_add_f32_e32 v31, v25, v25
	v_fmaak_f32 v27, v26, v27, 0x3d2aadcc
	s_delay_alu instid0(VALU_DEP_2) | instskip(NEXT) | instid1(VALU_DEP_2)
	v_fmac_f32_e32 v30, v26, v31
	v_fmaak_f32 v27, v26, v27, 0x3e2aaa47
	s_delay_alu instid0(VALU_DEP_2) | instskip(NEXT) | instid1(VALU_DEP_2)
	v_add_f32_e32 v31, v29, v30
	v_fmaak_f32 v27, v26, v27, 0x3efffffc
	s_delay_alu instid0(VALU_DEP_2) | instskip(NEXT) | instid1(VALU_DEP_1)
	v_sub_f32_e32 v29, v31, v29
	v_dual_mul_f32 v32, v27, v31 :: v_dual_sub_f32 v29, v30, v29
	s_delay_alu instid0(VALU_DEP_1) | instskip(NEXT) | instid1(VALU_DEP_1)
	v_fma_f32 v30, v31, v27, -v32
	v_fmac_f32_e32 v30, v29, v27
	s_delay_alu instid0(VALU_DEP_1) | instskip(NEXT) | instid1(VALU_DEP_1)
	v_add_f32_e32 v27, v32, v30
	v_sub_f32_e32 v31, v27, v32
	v_add_f32_e32 v29, v26, v27
	s_delay_alu instid0(VALU_DEP_2) | instskip(NEXT) | instid1(VALU_DEP_2)
	v_sub_f32_e32 v30, v30, v31
	v_sub_f32_e32 v26, v29, v26
	s_delay_alu instid0(VALU_DEP_1) | instskip(NEXT) | instid1(VALU_DEP_3)
	v_sub_f32_e32 v26, v27, v26
	v_add_f32_e32 v25, v25, v30
	s_delay_alu instid0(VALU_DEP_1) | instskip(NEXT) | instid1(VALU_DEP_1)
	v_add_f32_e32 v25, v25, v26
	v_add_f32_e32 v26, v29, v25
	s_delay_alu instid0(VALU_DEP_1) | instskip(NEXT) | instid1(VALU_DEP_1)
	v_add_f32_e32 v27, 1.0, v26
	v_dual_sub_f32 v29, v26, v29 :: v_dual_add_f32 v30, -1.0, v27
	s_delay_alu instid0(VALU_DEP_1) | instskip(NEXT) | instid1(VALU_DEP_1)
	v_dual_sub_f32 v25, v25, v29 :: v_dual_sub_f32 v26, v26, v30
	v_add_f32_e32 v25, v25, v26
	v_cvt_i32_f32_e32 v26, v28
	s_delay_alu instid0(VALU_DEP_2) | instskip(NEXT) | instid1(VALU_DEP_1)
	v_add_f32_e32 v28, v27, v25
	v_ldexp_f32 v29, v28, v26
	s_delay_alu instid0(VALU_DEP_1) | instskip(SKIP_1) | instid1(VALU_DEP_1)
	v_rcp_f32_e32 v30, v29
	v_sub_f32_e32 v27, v28, v27
	v_sub_f32_e32 v25, v25, v27
	s_waitcnt_depctr 0xfff
	v_mul_f32_e32 v27, v29, v30
	v_ldexp_f32 v25, v25, v26
	s_delay_alu instid0(VALU_DEP_2) | instskip(NEXT) | instid1(VALU_DEP_1)
	v_fma_f32 v26, v30, v29, -v27
	v_fmac_f32_e32 v26, v30, v25
	s_delay_alu instid0(VALU_DEP_1) | instskip(NEXT) | instid1(VALU_DEP_1)
	v_add_f32_e32 v28, v27, v26
	v_sub_f32_e32 v31, 1.0, v28
	v_sub_f32_e32 v27, v28, v27
	s_delay_alu instid0(VALU_DEP_2) | instskip(NEXT) | instid1(VALU_DEP_1)
	v_sub_f32_e32 v32, 1.0, v31
	v_dual_sub_f32 v26, v27, v26 :: v_dual_sub_f32 v27, v32, v28
	s_delay_alu instid0(VALU_DEP_1) | instskip(NEXT) | instid1(VALU_DEP_1)
	v_add_f32_e32 v26, v26, v27
	v_add_f32_e32 v27, v31, v26
	s_delay_alu instid0(VALU_DEP_1) | instskip(NEXT) | instid1(VALU_DEP_1)
	v_mul_f32_e32 v28, v30, v27
	v_dual_sub_f32 v31, v31, v27 :: v_dual_mul_f32 v32, v29, v28
	s_delay_alu instid0(VALU_DEP_1) | instskip(NEXT) | instid1(VALU_DEP_2)
	v_add_f32_e32 v26, v26, v31
	v_fma_f32 v33, v28, v29, -v32
	s_delay_alu instid0(VALU_DEP_1) | instskip(NEXT) | instid1(VALU_DEP_1)
	v_fmac_f32_e32 v33, v28, v25
	v_add_f32_e32 v34, v32, v33
	s_delay_alu instid0(VALU_DEP_1) | instskip(SKIP_1) | instid1(VALU_DEP_2)
	v_sub_f32_e32 v35, v27, v34
	v_sub_f32_e32 v31, v34, v32
	;; [unrolled: 1-line block ×3, first 2 shown]
	s_delay_alu instid0(VALU_DEP_2) | instskip(NEXT) | instid1(VALU_DEP_2)
	v_sub_f32_e32 v31, v31, v33
	v_sub_f32_e32 v27, v27, v34
	s_delay_alu instid0(VALU_DEP_1) | instskip(NEXT) | instid1(VALU_DEP_1)
	v_add_f32_e32 v26, v26, v27
	v_dual_add_f32 v27, v30, v28 :: v_dual_add_f32 v26, v31, v26
	s_delay_alu instid0(VALU_DEP_1) | instskip(NEXT) | instid1(VALU_DEP_2)
	v_sub_f32_e32 v31, v27, v30
	v_add_f32_e32 v26, v35, v26
	s_delay_alu instid0(VALU_DEP_2) | instskip(NEXT) | instid1(VALU_DEP_2)
	v_sub_f32_e32 v28, v28, v31
	v_mul_f32_e32 v26, v30, v26
	s_delay_alu instid0(VALU_DEP_1) | instskip(NEXT) | instid1(VALU_DEP_1)
	v_add_f32_e32 v26, v28, v26
	v_add_f32_e32 v28, v27, v26
	s_delay_alu instid0(VALU_DEP_1) | instskip(SKIP_1) | instid1(VALU_DEP_1)
	v_ldexp_f32 v30, v28, -2
	v_sub_f32_e32 v27, v28, v27
	v_dual_sub_f32 v31, v29, v30 :: v_dual_sub_f32 v26, v26, v27
	s_delay_alu instid0(VALU_DEP_1) | instskip(NEXT) | instid1(VALU_DEP_2)
	v_sub_f32_e32 v28, v29, v31
	v_ldexp_f32 v26, v26, -2
	s_delay_alu instid0(VALU_DEP_2) | instskip(NEXT) | instid1(VALU_DEP_1)
	v_sub_f32_e32 v27, v28, v30
	v_add_f32_e32 v25, v25, v27
	s_delay_alu instid0(VALU_DEP_1) | instskip(NEXT) | instid1(VALU_DEP_1)
	v_dual_sub_f32 v25, v25, v26 :: v_dual_mul_f32 v26, v24, v24
	v_add_f32_e32 v25, v31, v25
	s_delay_alu instid0(VALU_DEP_2) | instskip(NEXT) | instid1(VALU_DEP_2)
	v_fmaak_f32 v27, s25, v26, 0xbf039337
	v_cndmask_b32_e32 v25, 0x7f800000, v25, vcc_lo
	s_delay_alu instid0(VALU_DEP_2) | instskip(NEXT) | instid1(VALU_DEP_2)
	v_fmaak_f32 v27, v26, v27, 0x3f93f425
	v_cndmask_b32_e64 v25, v25, |v9|, s6
	s_delay_alu instid0(VALU_DEP_2) | instskip(NEXT) | instid1(VALU_DEP_1)
	v_rcp_f32_e32 v27, v27
	v_bfi_b32 v9, 0x7fffffff, v25, v9
	v_fmaak_f32 v25, s24, v26, 0x3ec54587
	s_delay_alu instid0(VALU_DEP_2) | instskip(SKIP_4) | instid1(VALU_DEP_2)
	v_fma_f32 v28, v9, v9, 1.0
	s_waitcnt_depctr 0xfff
	v_mul_f32_e32 v25, v25, v27
	v_mul_f32_e32 v27, 0x4f800000, v28
	v_cmp_gt_f32_e32 vcc_lo, 0xf800000, v28
	v_dual_mul_f32 v25, v26, v25 :: v_dual_cndmask_b32 v26, v28, v27
	s_delay_alu instid0(VALU_DEP_1) | instskip(NEXT) | instid1(VALU_DEP_2)
	v_fma_f32 v27, v25, v24, v24
	v_sqrt_f32_e32 v28, v26
	s_delay_alu instid0(VALU_DEP_1) | instskip(SKIP_1) | instid1(VALU_DEP_1)
	v_rcp_f32_e32 v29, v27
	v_sub_f32_e32 v30, v27, v24
	v_fma_f32 v24, v25, v24, -v30
	s_waitcnt_depctr 0xfff
	v_add_nc_u32_e32 v31, -1, v28
	v_fma_f32 v25, v27, -v29, 1.0
	v_add_nc_u32_e32 v30, 1, v28
	s_delay_alu instid0(VALU_DEP_3) | instskip(NEXT) | instid1(VALU_DEP_3)
	v_fma_f32 v32, -v31, v28, v26
	v_fma_f32 v24, v24, -v29, v25
	s_delay_alu instid0(VALU_DEP_3) | instskip(NEXT) | instid1(VALU_DEP_3)
	v_fma_f32 v25, -v30, v28, v26
	v_cmp_ge_f32_e64 s6, 0, v32
	s_delay_alu instid0(VALU_DEP_3) | instskip(NEXT) | instid1(VALU_DEP_2)
	v_fma_f32 v24, v24, -v29, -v29
	v_cndmask_b32_e64 v28, v28, v31, s6
	s_delay_alu instid0(VALU_DEP_4) | instskip(NEXT) | instid1(VALU_DEP_1)
	v_cmp_lt_f32_e64 s6, 0, v25
	v_cndmask_b32_e64 v25, v28, v30, s6
	v_cmp_eq_u32_e64 s6, 0, v1
	s_delay_alu instid0(VALU_DEP_1) | instskip(NEXT) | instid1(VALU_DEP_3)
	v_cndmask_b32_e64 v1, v24, v27, s6
	v_mul_f32_e32 v24, 0x37800000, v25
	s_delay_alu instid0(VALU_DEP_2) | instskip(NEXT) | instid1(VALU_DEP_2)
	v_xor3_b32 v1, v23, v1, v10
	v_cndmask_b32_e32 v10, v25, v24, vcc_lo
	v_cmp_class_f32_e64 vcc_lo, v26, 0x260
	s_delay_alu instid0(VALU_DEP_3) | instskip(NEXT) | instid1(VALU_DEP_3)
	v_fma_f32 v23, v1, v1, 1.0
	v_cndmask_b32_e32 v10, v10, v26, vcc_lo
	s_delay_alu instid0(VALU_DEP_2) | instskip(NEXT) | instid1(VALU_DEP_2)
	v_mul_f32_e32 v24, v9, v23
	v_mul_f32_e32 v10, v10, v23
	s_delay_alu instid0(VALU_DEP_2) | instskip(NEXT) | instid1(VALU_DEP_2)
	v_fma_f32 v23, v9, v24, 1.0
	v_mul_f32_e32 v9, v9, v10
	s_delay_alu instid0(VALU_DEP_2) | instskip(NEXT) | instid1(VALU_DEP_2)
	v_div_scale_f32 v24, null, v23, v23, v1
	v_div_scale_f32 v10, null, v23, v23, v9
	v_div_scale_f32 v29, vcc_lo, v9, v23, v9
	s_delay_alu instid0(VALU_DEP_3) | instskip(NEXT) | instid1(VALU_DEP_2)
	v_rcp_f32_e32 v26, v24
	v_rcp_f32_e32 v25, v10
	s_waitcnt_depctr 0xfff
	v_fma_f32 v28, -v24, v26, 1.0
	v_fma_f32 v27, -v10, v25, 1.0
	s_delay_alu instid0(VALU_DEP_1) | instskip(SKIP_1) | instid1(VALU_DEP_2)
	v_dual_fmac_f32 v26, v28, v26 :: v_dual_fmac_f32 v25, v27, v25
	v_div_scale_f32 v27, s6, v1, v23, v1
	v_mul_f32_e32 v28, v29, v25
	s_delay_alu instid0(VALU_DEP_2) | instskip(NEXT) | instid1(VALU_DEP_2)
	v_mul_f32_e32 v30, v27, v26
	v_fma_f32 v31, -v10, v28, v29
	s_delay_alu instid0(VALU_DEP_2) | instskip(NEXT) | instid1(VALU_DEP_2)
	v_fma_f32 v32, -v24, v30, v27
	v_fmac_f32_e32 v28, v31, v25
	s_delay_alu instid0(VALU_DEP_2) | instskip(NEXT) | instid1(VALU_DEP_2)
	v_fmac_f32_e32 v30, v32, v26
	v_fma_f32 v10, -v10, v28, v29
	s_delay_alu instid0(VALU_DEP_2) | instskip(NEXT) | instid1(VALU_DEP_2)
	v_fma_f32 v24, -v24, v30, v27
	v_div_fmas_f32 v10, v10, v25, v28
	s_mov_b32 vcc_lo, s6
	s_delay_alu instid0(VALU_DEP_2) | instskip(NEXT) | instid1(VALU_DEP_2)
	v_div_fmas_f32 v24, v24, v26, v30
	v_div_fixup_f32 v9, v10, v23, v9
	s_delay_alu instid0(VALU_DEP_2)
	v_div_fixup_f32 v10, v24, v23, v1
                                        ; implicit-def: $vgpr23
.LBB163_20:                             ;   in Loop: Header=BB163_4 Depth=1
	s_and_not1_saveexec_b32 s31, s31
	s_cbranch_execz .LBB163_23
; %bb.21:                               ;   in Loop: Header=BB163_4 Depth=1
	v_lshrrev_b32_e32 v1, 23, v23
	s_delay_alu instid0(VALU_DEP_2) | instskip(SKIP_1) | instid1(VALU_DEP_3)
	v_cmp_ngt_f32_e64 s33, 0x48000000, |v10|
	v_and_or_b32 v26, v23, s23, 0x800000
                                        ; implicit-def: $vgpr25
                                        ; implicit-def: $vgpr24
	v_add_nc_u32_e32 v27, 0xffffff88, v1
	s_delay_alu instid0(VALU_DEP_3) | instskip(NEXT) | instid1(SALU_CYCLE_1)
	s_and_saveexec_b32 s6, s33
	s_xor_b32 s34, exec_lo, s6
	s_cbranch_execz .LBB163_24
; %bb.22:                               ;   in Loop: Header=BB163_4 Depth=1
	v_mad_u64_u32 v[24:25], null, 0xfe5163ab, v26, 0
	v_cmp_lt_u32_e32 vcc_lo, 63, v27
	s_delay_alu instid0(VALU_DEP_2) | instskip(SKIP_1) | instid1(VALU_DEP_2)
	v_mov_b32_e32 v1, v25
	v_cndmask_b32_e64 v25, 0, 0xffffffc0, vcc_lo
	v_mad_u64_u32 v[28:29], null, 0x3c439041, v26, v[1:2]
	s_delay_alu instid0(VALU_DEP_2) | instskip(NEXT) | instid1(VALU_DEP_1)
	v_add_nc_u32_e32 v25, v25, v27
	v_cmp_lt_u32_e64 s6, 31, v25
	s_delay_alu instid0(VALU_DEP_3) | instskip(NEXT) | instid1(VALU_DEP_2)
	v_mov_b32_e32 v1, v29
	v_cndmask_b32_e64 v34, 0, 0xffffffe0, s6
	s_delay_alu instid0(VALU_DEP_2) | instskip(NEXT) | instid1(VALU_DEP_2)
	v_mad_u64_u32 v[29:30], null, 0xdb629599, v26, v[1:2]
	v_add_nc_u32_e32 v25, v34, v25
	s_delay_alu instid0(VALU_DEP_2) | instskip(NEXT) | instid1(VALU_DEP_2)
	v_dual_mov_b32 v1, v30 :: v_dual_cndmask_b32 v24, v29, v24
	v_cmp_lt_u32_e64 s7, 31, v25
	s_delay_alu instid0(VALU_DEP_2) | instskip(NEXT) | instid1(VALU_DEP_1)
	v_mad_u64_u32 v[30:31], null, 0xf534ddc0, v26, v[1:2]
	v_mov_b32_e32 v1, v31
	s_delay_alu instid0(VALU_DEP_1) | instskip(NEXT) | instid1(VALU_DEP_1)
	v_mad_u64_u32 v[31:32], null, 0xfc2757d1, v26, v[1:2]
	v_mov_b32_e32 v1, v32
	s_delay_alu instid0(VALU_DEP_1) | instskip(NEXT) | instid1(VALU_DEP_1)
	v_mad_u64_u32 v[32:33], null, 0x4e441529, v26, v[1:2]
	v_mov_b32_e32 v1, v33
	s_delay_alu instid0(VALU_DEP_2) | instskip(NEXT) | instid1(VALU_DEP_2)
	v_cndmask_b32_e32 v35, v32, v30, vcc_lo
	v_mad_u64_u32 v[33:34], null, 0xa2f9836e, v26, v[1:2]
	v_cndmask_b32_e64 v1, 0, 0xffffffe0, s7
	s_delay_alu instid0(VALU_DEP_1) | instskip(NEXT) | instid1(VALU_DEP_3)
	v_add_nc_u32_e32 v1, v1, v25
	v_dual_cndmask_b32 v33, v33, v31 :: v_dual_cndmask_b32 v32, v34, v32
	v_cndmask_b32_e32 v31, v31, v29, vcc_lo
	v_cndmask_b32_e32 v25, v30, v28, vcc_lo
	s_delay_alu instid0(VALU_DEP_4) | instskip(NEXT) | instid1(VALU_DEP_4)
	v_cmp_eq_u32_e64 s8, 0, v1
	v_cndmask_b32_e64 v28, v33, v35, s6
	v_cndmask_b32_e64 v30, v32, v33, s6
	;; [unrolled: 1-line block ×3, first 2 shown]
	v_sub_nc_u32_e32 v33, 32, v1
	v_cndmask_b32_e64 v31, v31, v25, s6
	v_cndmask_b32_e64 v24, v25, v24, s6
	v_cndmask_b32_e64 v30, v30, v28, s7
	v_cndmask_b32_e64 v28, v28, v32, s7
	s_delay_alu instid0(VALU_DEP_4) | instskip(NEXT) | instid1(VALU_DEP_4)
	v_cndmask_b32_e64 v32, v32, v31, s7
	v_cndmask_b32_e64 v24, v31, v24, s7
	s_delay_alu instid0(VALU_DEP_3) | instskip(NEXT) | instid1(VALU_DEP_3)
	v_alignbit_b32 v34, v30, v28, v33
	v_alignbit_b32 v35, v28, v32, v33
	s_delay_alu instid0(VALU_DEP_3) | instskip(NEXT) | instid1(VALU_DEP_3)
	v_alignbit_b32 v33, v32, v24, v33
	v_cndmask_b32_e64 v1, v34, v30, s8
	s_delay_alu instid0(VALU_DEP_3) | instskip(NEXT) | instid1(VALU_DEP_3)
	v_cndmask_b32_e64 v28, v35, v28, s8
	v_cndmask_b32_e64 v32, v33, v32, s8
	s_delay_alu instid0(VALU_DEP_3) | instskip(NEXT) | instid1(VALU_DEP_3)
	v_bfe_u32 v29, v1, 29, 1
	v_alignbit_b32 v25, v1, v28, 30
	s_delay_alu instid0(VALU_DEP_3) | instskip(SKIP_1) | instid1(VALU_DEP_4)
	v_alignbit_b32 v28, v28, v32, 30
	v_alignbit_b32 v24, v32, v24, 30
	v_sub_nc_u32_e32 v30, 0, v29
	s_delay_alu instid0(VALU_DEP_1) | instskip(SKIP_3) | instid1(VALU_DEP_4)
	v_xor_b32_e32 v31, v25, v30
	v_cmp_ne_u32_e32 vcc_lo, v25, v30
	v_xor_b32_e32 v28, v28, v30
	v_xor_b32_e32 v24, v24, v30
	v_clz_i32_u32_e32 v34, v31
	s_delay_alu instid0(VALU_DEP_1) | instskip(NEXT) | instid1(VALU_DEP_1)
	v_add_nc_u32_e32 v33, 1, v34
	v_cndmask_b32_e32 v25, 33, v33, vcc_lo
	s_delay_alu instid0(VALU_DEP_1) | instskip(NEXT) | instid1(VALU_DEP_1)
	v_sub_nc_u32_e32 v32, 32, v25
	v_alignbit_b32 v30, v31, v28, v32
	v_alignbit_b32 v24, v28, v24, v32
	v_lshrrev_b32_e32 v28, 29, v1
	v_lshrrev_b32_e32 v1, 30, v1
	s_delay_alu instid0(VALU_DEP_3) | instskip(NEXT) | instid1(VALU_DEP_3)
	v_alignbit_b32 v31, v30, v24, 9
	v_lshlrev_b32_e32 v28, 31, v28
	v_alignbit_b32 v30, v25, v30, 9
	s_delay_alu instid0(VALU_DEP_3) | instskip(NEXT) | instid1(VALU_DEP_2)
	v_clz_i32_u32_e32 v32, v31
	v_or_b32_e32 v30, v30, v28
	v_or_b32_e32 v28, 0x33800000, v28
	s_delay_alu instid0(VALU_DEP_3) | instskip(NEXT) | instid1(VALU_DEP_3)
	v_min_u32_e32 v32, 32, v32
	v_xor_b32_e32 v30, 1.0, v30
	s_delay_alu instid0(VALU_DEP_2) | instskip(SKIP_1) | instid1(VALU_DEP_3)
	v_sub_nc_u32_e32 v33, 31, v32
	v_add_lshl_u32 v25, v32, v25, 23
	v_mul_f32_e32 v32, 0x3fc90fda, v30
	s_delay_alu instid0(VALU_DEP_3) | instskip(NEXT) | instid1(VALU_DEP_3)
	v_alignbit_b32 v24, v31, v24, v33
	v_sub_nc_u32_e32 v25, v28, v25
	s_delay_alu instid0(VALU_DEP_3) | instskip(NEXT) | instid1(VALU_DEP_3)
	v_fma_f32 v28, 0x3fc90fda, v30, -v32
	v_lshrrev_b32_e32 v24, 9, v24
	s_delay_alu instid0(VALU_DEP_2) | instskip(NEXT) | instid1(VALU_DEP_2)
	v_fmac_f32_e32 v28, 0x33a22168, v30
	v_or_b32_e32 v24, v25, v24
	s_delay_alu instid0(VALU_DEP_1) | instskip(NEXT) | instid1(VALU_DEP_1)
	v_dual_fmac_f32 v28, 0x3fc90fda, v24 :: v_dual_add_nc_u32 v25, v29, v1
	v_add_f32_e32 v24, v32, v28
	s_and_not1_saveexec_b32 s6, s34
	s_branch .LBB163_25
.LBB163_23:                             ;   in Loop: Header=BB163_4 Depth=1
	s_or_b32 exec_lo, exec_lo, s31
	s_and_not1_saveexec_b32 s6, s30
	s_cbranch_execnz .LBB163_32
	s_branch .LBB163_33
.LBB163_24:                             ;   in Loop: Header=BB163_4 Depth=1
	s_and_not1_saveexec_b32 s6, s34
.LBB163_25:                             ;   in Loop: Header=BB163_4 Depth=1
	v_mul_f32_e64 v1, 0x3f22f983, |v10|
	s_delay_alu instid0(VALU_DEP_1) | instskip(NEXT) | instid1(VALU_DEP_1)
	v_rndne_f32_e32 v1, v1
	v_fma_f32 v24, 0xbfc90fda, v1, |v10|
	v_cvt_i32_f32_e32 v25, v1
	s_delay_alu instid0(VALU_DEP_2) | instskip(NEXT) | instid1(VALU_DEP_1)
	v_fmac_f32_e32 v24, 0xb3a22168, v1
	v_fmac_f32_e32 v24, 0xa7c234c4, v1
; %bb.26:                               ;   in Loop: Header=BB163_4 Depth=1
	s_or_b32 exec_lo, exec_lo, s6
                                        ; implicit-def: $vgpr28
                                        ; implicit-def: $vgpr1
	s_and_saveexec_b32 s6, s33
	s_delay_alu instid0(SALU_CYCLE_1)
	s_xor_b32 s33, exec_lo, s6
	s_cbranch_execz .LBB163_28
; %bb.27:                               ;   in Loop: Header=BB163_4 Depth=1
	v_mad_u64_u32 v[28:29], null, 0xfe5163ab, v26, 0
	v_cmp_lt_u32_e32 vcc_lo, 63, v27
	v_cndmask_b32_e64 v34, 0, 0xffffffc0, vcc_lo
	s_delay_alu instid0(VALU_DEP_3) | instskip(NEXT) | instid1(VALU_DEP_2)
	v_mov_b32_e32 v1, v29
	v_add_nc_u32_e32 v27, v34, v27
	s_delay_alu instid0(VALU_DEP_2) | instskip(NEXT) | instid1(VALU_DEP_2)
	v_mad_u64_u32 v[29:30], null, 0x3c439041, v26, v[1:2]
	v_cmp_lt_u32_e64 s6, 31, v27
	s_delay_alu instid0(VALU_DEP_2) | instskip(NEXT) | instid1(VALU_DEP_2)
	v_mov_b32_e32 v1, v30
	v_cndmask_b32_e64 v35, 0, 0xffffffe0, s6
	s_delay_alu instid0(VALU_DEP_2) | instskip(NEXT) | instid1(VALU_DEP_2)
	v_mad_u64_u32 v[30:31], null, 0xdb629599, v26, v[1:2]
	v_add_nc_u32_e32 v27, v35, v27
	s_delay_alu instid0(VALU_DEP_1) | instskip(NEXT) | instid1(VALU_DEP_3)
	v_cmp_lt_u32_e64 s7, 31, v27
	v_dual_mov_b32 v1, v31 :: v_dual_cndmask_b32 v28, v30, v28
	s_delay_alu instid0(VALU_DEP_1) | instskip(NEXT) | instid1(VALU_DEP_1)
	v_mad_u64_u32 v[31:32], null, 0xf534ddc0, v26, v[1:2]
	v_mov_b32_e32 v1, v32
	s_delay_alu instid0(VALU_DEP_1) | instskip(NEXT) | instid1(VALU_DEP_1)
	v_mad_u64_u32 v[32:33], null, 0xfc2757d1, v26, v[1:2]
	v_mov_b32_e32 v1, v33
	;; [unrolled: 3-line block ×3, first 2 shown]
	s_delay_alu instid0(VALU_DEP_1) | instskip(SKIP_1) | instid1(VALU_DEP_4)
	v_mad_u64_u32 v[34:35], null, 0xa2f9836e, v26, v[1:2]
	v_cndmask_b32_e64 v1, 0, 0xffffffe0, s7
	v_cndmask_b32_e32 v26, v33, v31, vcc_lo
	s_delay_alu instid0(VALU_DEP_2) | instskip(NEXT) | instid1(VALU_DEP_4)
	v_dual_cndmask_b32 v34, v34, v32 :: v_dual_add_nc_u32 v1, v1, v27
	v_dual_cndmask_b32 v33, v35, v33 :: v_dual_cndmask_b32 v32, v32, v30
	v_cndmask_b32_e32 v27, v31, v29, vcc_lo
	s_delay_alu instid0(VALU_DEP_3) | instskip(NEXT) | instid1(VALU_DEP_4)
	v_cmp_eq_u32_e64 s8, 0, v1
	v_cndmask_b32_e64 v29, v34, v26, s6
	s_delay_alu instid0(VALU_DEP_4)
	v_cndmask_b32_e64 v31, v33, v34, s6
	v_cndmask_b32_e64 v26, v26, v32, s6
	v_sub_nc_u32_e32 v33, 32, v1
	v_cndmask_b32_e64 v32, v32, v27, s6
	v_cndmask_b32_e64 v27, v27, v28, s6
	;; [unrolled: 1-line block ×4, first 2 shown]
	s_delay_alu instid0(VALU_DEP_4) | instskip(NEXT) | instid1(VALU_DEP_4)
	v_cndmask_b32_e64 v26, v26, v32, s7
	v_cndmask_b32_e64 v27, v32, v27, s7
	s_delay_alu instid0(VALU_DEP_3) | instskip(NEXT) | instid1(VALU_DEP_3)
	v_alignbit_b32 v34, v31, v29, v33
	v_alignbit_b32 v35, v29, v26, v33
	s_delay_alu instid0(VALU_DEP_3) | instskip(NEXT) | instid1(VALU_DEP_3)
	v_alignbit_b32 v33, v26, v27, v33
	v_cndmask_b32_e64 v1, v34, v31, s8
	s_delay_alu instid0(VALU_DEP_3) | instskip(NEXT) | instid1(VALU_DEP_3)
	v_cndmask_b32_e64 v29, v35, v29, s8
	v_cndmask_b32_e64 v26, v33, v26, s8
	s_delay_alu instid0(VALU_DEP_3) | instskip(NEXT) | instid1(VALU_DEP_3)
	v_bfe_u32 v30, v1, 29, 1
	v_alignbit_b32 v28, v1, v29, 30
	s_delay_alu instid0(VALU_DEP_3) | instskip(SKIP_1) | instid1(VALU_DEP_4)
	v_alignbit_b32 v29, v29, v26, 30
	v_alignbit_b32 v26, v26, v27, 30
	v_sub_nc_u32_e32 v31, 0, v30
	s_delay_alu instid0(VALU_DEP_1) | instskip(SKIP_3) | instid1(VALU_DEP_4)
	v_xor_b32_e32 v32, v28, v31
	v_cmp_ne_u32_e32 vcc_lo, v28, v31
	v_xor_b32_e32 v27, v29, v31
	v_xor_b32_e32 v26, v26, v31
	v_clz_i32_u32_e32 v34, v32
	s_delay_alu instid0(VALU_DEP_1) | instskip(NEXT) | instid1(VALU_DEP_1)
	v_add_nc_u32_e32 v33, 1, v34
	v_cndmask_b32_e32 v28, 33, v33, vcc_lo
	s_delay_alu instid0(VALU_DEP_1) | instskip(NEXT) | instid1(VALU_DEP_1)
	v_sub_nc_u32_e32 v29, 32, v28
	v_alignbit_b32 v31, v32, v27, v29
	v_alignbit_b32 v26, v27, v26, v29
	v_lshrrev_b32_e32 v27, 29, v1
	s_delay_alu instid0(VALU_DEP_2) | instskip(NEXT) | instid1(VALU_DEP_2)
	v_alignbit_b32 v29, v31, v26, 9
	v_lshlrev_b32_e32 v27, 31, v27
	v_alignbit_b32 v31, v28, v31, 9
	s_delay_alu instid0(VALU_DEP_3) | instskip(NEXT) | instid1(VALU_DEP_2)
	v_clz_i32_u32_e32 v32, v29
	v_or_b32_e32 v31, v31, v27
	v_or_b32_e32 v27, 0x33800000, v27
	s_delay_alu instid0(VALU_DEP_3) | instskip(NEXT) | instid1(VALU_DEP_3)
	v_min_u32_e32 v32, 32, v32
	v_xor_b32_e32 v31, 1.0, v31
	s_delay_alu instid0(VALU_DEP_2) | instskip(SKIP_1) | instid1(VALU_DEP_3)
	v_sub_nc_u32_e32 v33, 31, v32
	v_add_lshl_u32 v28, v32, v28, 23
	v_mul_f32_e32 v32, 0x3fc90fda, v31
	s_delay_alu instid0(VALU_DEP_3) | instskip(NEXT) | instid1(VALU_DEP_3)
	v_alignbit_b32 v26, v29, v26, v33
	v_sub_nc_u32_e32 v27, v27, v28
	s_delay_alu instid0(VALU_DEP_3) | instskip(NEXT) | instid1(VALU_DEP_3)
	v_fma_f32 v28, 0x3fc90fda, v31, -v32
	v_lshrrev_b32_e32 v26, 9, v26
	s_delay_alu instid0(VALU_DEP_2) | instskip(NEXT) | instid1(VALU_DEP_2)
	v_fmac_f32_e32 v28, 0x33a22168, v31
	v_or_b32_e32 v26, v27, v26
	s_delay_alu instid0(VALU_DEP_1) | instskip(SKIP_1) | instid1(VALU_DEP_1)
	v_fmac_f32_e32 v28, 0x3fc90fda, v26
	v_lshrrev_b32_e32 v26, 30, v1
	v_dual_add_f32 v1, v32, v28 :: v_dual_add_nc_u32 v28, v30, v26
	s_and_not1_saveexec_b32 s6, s33
	s_cbranch_execnz .LBB163_29
	s_branch .LBB163_30
.LBB163_28:                             ;   in Loop: Header=BB163_4 Depth=1
	s_and_not1_saveexec_b32 s6, s33
.LBB163_29:                             ;   in Loop: Header=BB163_4 Depth=1
	v_mul_f32_e64 v1, 0x3f22f983, |v10|
	s_delay_alu instid0(VALU_DEP_1) | instskip(NEXT) | instid1(VALU_DEP_1)
	v_rndne_f32_e32 v26, v1
	v_fma_f32 v1, 0xbfc90fda, v26, |v10|
	v_cvt_i32_f32_e32 v28, v26
	s_delay_alu instid0(VALU_DEP_2) | instskip(NEXT) | instid1(VALU_DEP_1)
	v_fmac_f32_e32 v1, 0xb3a22168, v26
	v_fmac_f32_e32 v1, 0xa7c234c4, v26
.LBB163_30:                             ;   in Loop: Header=BB163_4 Depth=1
	s_or_b32 exec_lo, exec_lo, s6
	v_dual_mul_f32 v26, v24, v24 :: v_dual_and_b32 v27, 1, v25
	v_mul_f32_e64 v29, 0xbfb8aa3b, |v9|
	v_lshlrev_b32_e32 v25, 30, v25
	v_mul_f32_e32 v32, v1, v1
	s_delay_alu instid0(VALU_DEP_4)
	v_fmaak_f32 v30, s27, v26, 0x3c0881c4
	v_fmaak_f32 v31, s28, v26, 0xbab64f3b
	v_rndne_f32_e32 v33, v29
	v_fma_f32 v34, 0xbfb8aa3b, |v9|, -v29
	v_cmp_eq_u32_e32 vcc_lo, 0, v27
	v_fmaak_f32 v30, v26, v30, 0xbe2aaa9d
	v_and_b32_e32 v25, 0x80000000, v25
	v_sub_f32_e32 v29, v29, v33
	v_fmaak_f32 v35, s27, v32, 0x3c0881c4
	v_fma_f32 v34, 0xb2a5705f, |v9|, v34
	v_mul_f32_e32 v30, v26, v30
	v_fmaak_f32 v31, v26, v31, 0x3d2aabf7
	v_fmaak_f32 v36, s28, v32, 0xbab64f3b
	v_and_b32_e32 v27, 1, v28
	v_add_f32_e32 v29, v29, v34
	v_fmac_f32_e32 v24, v24, v30
	v_xor_b32_e32 v23, v23, v25
	v_fmaak_f32 v30, v32, v36, 0x3d2aabf7
	v_fmaak_f32 v31, v26, v31, 0xbf000004
	v_exp_f32_e32 v29, v29
	v_cvt_i32_f32_e32 v25, v33
	v_lshlrev_b32_e32 v28, 30, v28
	s_delay_alu instid0(VALU_DEP_3) | instskip(NEXT) | instid1(VALU_DEP_1)
	v_fma_f32 v26, v26, v31, 1.0
	v_dual_fmaak_f32 v35, v32, v35, 0xbe2aaa9d :: v_dual_cndmask_b32 v24, v26, v24
	s_delay_alu instid0(VALU_DEP_1) | instskip(SKIP_1) | instid1(VALU_DEP_3)
	v_mul_f32_e32 v31, v32, v35
	v_cmp_eq_u32_e32 vcc_lo, 0, v27
	v_xor3_b32 v10, v23, v24, v10
	s_delay_alu instid0(VALU_DEP_3) | instskip(NEXT) | instid1(TRANS32_DEP_1)
	v_dual_fmac_f32 v1, v1, v31 :: v_dual_fmaak_f32 v26, v32, v30, 0xbf000004
	v_ldexp_f32 v23, v29, v25
	s_delay_alu instid0(VALU_DEP_3) | instskip(NEXT) | instid1(VALU_DEP_3)
	v_mul_f32_e32 v10, 4.0, v10
	v_fma_f32 v26, v32, v26, 1.0
	s_delay_alu instid0(VALU_DEP_1) | instskip(SKIP_2) | instid1(VALU_DEP_1)
	v_cndmask_b32_e64 v1, -v1, v26, vcc_lo
	v_cmp_nlt_f32_e64 vcc_lo, 0x42ce8ed0, |v9|
	v_dual_cndmask_b32 v23, 0, v23 :: v_dual_and_b32 v24, 0x80000000, v28
	v_xor_b32_e32 v1, v24, v1
	v_cmp_ngt_f32_e64 vcc_lo, 0xc2b17218, |v9|
	v_bfi_b32 v9, 0x7fffffff, 1.0, v9
	s_delay_alu instid0(VALU_DEP_3) | instskip(SKIP_1) | instid1(VALU_DEP_1)
	v_mul_f32_e32 v1, v10, v1
	v_cndmask_b32_e32 v23, 0x7f800000, v23, vcc_lo
	v_mul_f32_e32 v1, v23, v1
	s_delay_alu instid0(VALU_DEP_1)
	v_mul_f32_e32 v10, v23, v1
	s_or_b32 exec_lo, exec_lo, s31
.LBB163_31:                             ;   in Loop: Header=BB163_4 Depth=1
	s_and_not1_saveexec_b32 s6, s30
.LBB163_32:                             ;   in Loop: Header=BB163_4 Depth=1
	s_delay_alu instid0(VALU_DEP_1) | instskip(NEXT) | instid1(VALU_DEP_1)
	v_sub_f32_e32 v10, v10, v10
	v_mov_b32_e32 v9, v10
.LBB163_33:                             ;   in Loop: Header=BB163_4 Depth=1
	s_or_b32 exec_lo, exec_lo, s6
.LBB163_34:                             ;   in Loop: Header=BB163_4 Depth=1
	s_and_not1_saveexec_b32 s29, s29
	s_cbranch_execz .LBB163_50
; %bb.35:                               ;   in Loop: Header=BB163_4 Depth=1
	s_delay_alu instid0(VALU_DEP_1) | instskip(SKIP_1) | instid1(VALU_DEP_1)
	v_and_b32_e32 v1, 0x7fffff, v9
	s_mov_b32 s6, exec_lo
	v_cmpx_ne_u32_e32 0, v1
	s_xor_b32 s6, exec_lo, s6
; %bb.36:                               ;   in Loop: Header=BB163_4 Depth=1
	v_mul_f32_e32 v1, v10, v9
	v_cmp_eq_f32_e32 vcc_lo, 0, v10
	s_delay_alu instid0(VALU_DEP_2)
	v_cndmask_b32_e32 v10, v1, v10, vcc_lo
; %bb.37:                               ;   in Loop: Header=BB163_4 Depth=1
	s_and_not1_saveexec_b32 s30, s6
	s_cbranch_execz .LBB163_49
; %bb.38:                               ;   in Loop: Header=BB163_4 Depth=1
	s_mov_b32 s31, exec_lo
	s_delay_alu instid0(VALU_DEP_1)
	v_cmpx_neq_f32_e64 0x7f800000, |v10|
	s_cbranch_execz .LBB163_48
; %bb.39:                               ;   in Loop: Header=BB163_4 Depth=1
	v_and_b32_e32 v23, 0x7fffffff, v10
	v_cmp_ngt_f32_e64 s33, 0x48000000, |v10|
                                        ; implicit-def: $vgpr25
                                        ; implicit-def: $vgpr24
	s_delay_alu instid0(VALU_DEP_2) | instskip(SKIP_1) | instid1(VALU_DEP_2)
	v_lshrrev_b32_e32 v1, 23, v23
	v_and_or_b32 v26, v23, s23, 0x800000
	v_add_nc_u32_e32 v27, 0xffffff88, v1
	s_delay_alu instid0(VALU_DEP_4) | instskip(NEXT) | instid1(SALU_CYCLE_1)
	s_and_saveexec_b32 s6, s33
	s_xor_b32 s34, exec_lo, s6
	s_cbranch_execz .LBB163_41
; %bb.40:                               ;   in Loop: Header=BB163_4 Depth=1
	v_mad_u64_u32 v[24:25], null, 0xfe5163ab, v26, 0
	v_cmp_lt_u32_e32 vcc_lo, 63, v27
	s_delay_alu instid0(VALU_DEP_2) | instskip(SKIP_1) | instid1(VALU_DEP_2)
	v_mov_b32_e32 v1, v25
	v_cndmask_b32_e64 v25, 0, 0xffffffc0, vcc_lo
	v_mad_u64_u32 v[28:29], null, 0x3c439041, v26, v[1:2]
	s_delay_alu instid0(VALU_DEP_2) | instskip(NEXT) | instid1(VALU_DEP_1)
	v_add_nc_u32_e32 v25, v25, v27
	v_cmp_lt_u32_e64 s6, 31, v25
	s_delay_alu instid0(VALU_DEP_3) | instskip(NEXT) | instid1(VALU_DEP_2)
	v_mov_b32_e32 v1, v29
	v_cndmask_b32_e64 v34, 0, 0xffffffe0, s6
	s_delay_alu instid0(VALU_DEP_2) | instskip(NEXT) | instid1(VALU_DEP_2)
	v_mad_u64_u32 v[29:30], null, 0xdb629599, v26, v[1:2]
	v_add_nc_u32_e32 v25, v34, v25
	s_delay_alu instid0(VALU_DEP_2) | instskip(NEXT) | instid1(VALU_DEP_2)
	v_dual_mov_b32 v1, v30 :: v_dual_cndmask_b32 v24, v29, v24
	v_cmp_lt_u32_e64 s7, 31, v25
	s_delay_alu instid0(VALU_DEP_2) | instskip(NEXT) | instid1(VALU_DEP_1)
	v_mad_u64_u32 v[30:31], null, 0xf534ddc0, v26, v[1:2]
	v_mov_b32_e32 v1, v31
	s_delay_alu instid0(VALU_DEP_1) | instskip(NEXT) | instid1(VALU_DEP_1)
	v_mad_u64_u32 v[31:32], null, 0xfc2757d1, v26, v[1:2]
	v_mov_b32_e32 v1, v32
	s_delay_alu instid0(VALU_DEP_1) | instskip(NEXT) | instid1(VALU_DEP_1)
	v_mad_u64_u32 v[32:33], null, 0x4e441529, v26, v[1:2]
	v_mov_b32_e32 v1, v33
	s_delay_alu instid0(VALU_DEP_2) | instskip(NEXT) | instid1(VALU_DEP_2)
	v_cndmask_b32_e32 v35, v32, v30, vcc_lo
	v_mad_u64_u32 v[33:34], null, 0xa2f9836e, v26, v[1:2]
	v_cndmask_b32_e64 v1, 0, 0xffffffe0, s7
	s_delay_alu instid0(VALU_DEP_1) | instskip(NEXT) | instid1(VALU_DEP_3)
	v_add_nc_u32_e32 v1, v1, v25
	v_dual_cndmask_b32 v33, v33, v31 :: v_dual_cndmask_b32 v32, v34, v32
	v_cndmask_b32_e32 v31, v31, v29, vcc_lo
	v_cndmask_b32_e32 v25, v30, v28, vcc_lo
	s_delay_alu instid0(VALU_DEP_4) | instskip(NEXT) | instid1(VALU_DEP_4)
	v_cmp_eq_u32_e64 s8, 0, v1
	v_cndmask_b32_e64 v28, v33, v35, s6
	v_cndmask_b32_e64 v30, v32, v33, s6
	;; [unrolled: 1-line block ×3, first 2 shown]
	v_sub_nc_u32_e32 v33, 32, v1
	v_cndmask_b32_e64 v31, v31, v25, s6
	v_cndmask_b32_e64 v24, v25, v24, s6
	;; [unrolled: 1-line block ×4, first 2 shown]
	s_delay_alu instid0(VALU_DEP_4) | instskip(NEXT) | instid1(VALU_DEP_4)
	v_cndmask_b32_e64 v32, v32, v31, s7
	v_cndmask_b32_e64 v24, v31, v24, s7
	s_delay_alu instid0(VALU_DEP_3) | instskip(NEXT) | instid1(VALU_DEP_3)
	v_alignbit_b32 v34, v30, v28, v33
	v_alignbit_b32 v35, v28, v32, v33
	s_delay_alu instid0(VALU_DEP_3) | instskip(NEXT) | instid1(VALU_DEP_3)
	v_alignbit_b32 v33, v32, v24, v33
	v_cndmask_b32_e64 v1, v34, v30, s8
	s_delay_alu instid0(VALU_DEP_3) | instskip(NEXT) | instid1(VALU_DEP_3)
	v_cndmask_b32_e64 v28, v35, v28, s8
	v_cndmask_b32_e64 v32, v33, v32, s8
	s_delay_alu instid0(VALU_DEP_3) | instskip(NEXT) | instid1(VALU_DEP_3)
	v_bfe_u32 v29, v1, 29, 1
	v_alignbit_b32 v25, v1, v28, 30
	s_delay_alu instid0(VALU_DEP_3) | instskip(SKIP_1) | instid1(VALU_DEP_4)
	v_alignbit_b32 v28, v28, v32, 30
	v_alignbit_b32 v24, v32, v24, 30
	v_sub_nc_u32_e32 v30, 0, v29
	s_delay_alu instid0(VALU_DEP_1) | instskip(SKIP_3) | instid1(VALU_DEP_4)
	v_xor_b32_e32 v31, v25, v30
	v_cmp_ne_u32_e32 vcc_lo, v25, v30
	v_xor_b32_e32 v28, v28, v30
	v_xor_b32_e32 v24, v24, v30
	v_clz_i32_u32_e32 v34, v31
	s_delay_alu instid0(VALU_DEP_1) | instskip(NEXT) | instid1(VALU_DEP_1)
	v_add_nc_u32_e32 v33, 1, v34
	v_cndmask_b32_e32 v25, 33, v33, vcc_lo
	s_delay_alu instid0(VALU_DEP_1) | instskip(NEXT) | instid1(VALU_DEP_1)
	v_sub_nc_u32_e32 v32, 32, v25
	v_alignbit_b32 v30, v31, v28, v32
	v_alignbit_b32 v24, v28, v24, v32
	v_lshrrev_b32_e32 v28, 29, v1
	v_lshrrev_b32_e32 v1, 30, v1
	s_delay_alu instid0(VALU_DEP_3) | instskip(NEXT) | instid1(VALU_DEP_3)
	v_alignbit_b32 v31, v30, v24, 9
	v_lshlrev_b32_e32 v28, 31, v28
	v_alignbit_b32 v30, v25, v30, 9
	s_delay_alu instid0(VALU_DEP_3) | instskip(NEXT) | instid1(VALU_DEP_2)
	v_clz_i32_u32_e32 v32, v31
	v_or_b32_e32 v30, v30, v28
	v_or_b32_e32 v28, 0x33800000, v28
	s_delay_alu instid0(VALU_DEP_3) | instskip(NEXT) | instid1(VALU_DEP_3)
	v_min_u32_e32 v32, 32, v32
	v_xor_b32_e32 v30, 1.0, v30
	s_delay_alu instid0(VALU_DEP_2) | instskip(SKIP_1) | instid1(VALU_DEP_3)
	v_sub_nc_u32_e32 v33, 31, v32
	v_add_lshl_u32 v25, v32, v25, 23
	v_mul_f32_e32 v32, 0x3fc90fda, v30
	s_delay_alu instid0(VALU_DEP_3) | instskip(NEXT) | instid1(VALU_DEP_3)
	v_alignbit_b32 v24, v31, v24, v33
	v_sub_nc_u32_e32 v25, v28, v25
	s_delay_alu instid0(VALU_DEP_3) | instskip(NEXT) | instid1(VALU_DEP_3)
	v_fma_f32 v28, 0x3fc90fda, v30, -v32
	v_lshrrev_b32_e32 v24, 9, v24
	s_delay_alu instid0(VALU_DEP_2) | instskip(NEXT) | instid1(VALU_DEP_2)
	v_fmac_f32_e32 v28, 0x33a22168, v30
	v_or_b32_e32 v24, v25, v24
	s_delay_alu instid0(VALU_DEP_1) | instskip(NEXT) | instid1(VALU_DEP_1)
	v_dual_fmac_f32 v28, 0x3fc90fda, v24 :: v_dual_add_nc_u32 v25, v29, v1
	v_add_f32_e32 v24, v32, v28
.LBB163_41:                             ;   in Loop: Header=BB163_4 Depth=1
	s_or_saveexec_b32 s6, s34
	v_mul_f32_e64 v1, 0x3f22f983, |v10|
	s_delay_alu instid0(VALU_DEP_1)
	v_rndne_f32_e32 v29, v1
	s_xor_b32 exec_lo, exec_lo, s6
; %bb.42:                               ;   in Loop: Header=BB163_4 Depth=1
	s_delay_alu instid0(VALU_DEP_1) | instskip(SKIP_1) | instid1(VALU_DEP_2)
	v_fma_f32 v24, 0xbfc90fda, v29, |v10|
	v_cvt_i32_f32_e32 v25, v29
	v_fmac_f32_e32 v24, 0xb3a22168, v29
	s_delay_alu instid0(VALU_DEP_1)
	v_fmac_f32_e32 v24, 0xa7c234c4, v29
; %bb.43:                               ;   in Loop: Header=BB163_4 Depth=1
	s_or_b32 exec_lo, exec_lo, s6
                                        ; implicit-def: $vgpr28
                                        ; implicit-def: $vgpr1
	s_and_saveexec_b32 s6, s33
	s_delay_alu instid0(SALU_CYCLE_1)
	s_xor_b32 s33, exec_lo, s6
	s_cbranch_execz .LBB163_45
; %bb.44:                               ;   in Loop: Header=BB163_4 Depth=1
	v_mad_u64_u32 v[28:29], null, 0xfe5163ab, v26, 0
	v_cmp_lt_u32_e32 vcc_lo, 63, v27
	v_cndmask_b32_e64 v34, 0, 0xffffffc0, vcc_lo
	s_delay_alu instid0(VALU_DEP_3) | instskip(NEXT) | instid1(VALU_DEP_2)
	v_mov_b32_e32 v1, v29
	v_add_nc_u32_e32 v27, v34, v27
	s_delay_alu instid0(VALU_DEP_2) | instskip(NEXT) | instid1(VALU_DEP_2)
	v_mad_u64_u32 v[29:30], null, 0x3c439041, v26, v[1:2]
	v_cmp_lt_u32_e64 s6, 31, v27
	s_delay_alu instid0(VALU_DEP_2) | instskip(NEXT) | instid1(VALU_DEP_2)
	v_mov_b32_e32 v1, v30
	v_cndmask_b32_e64 v35, 0, 0xffffffe0, s6
	s_delay_alu instid0(VALU_DEP_2) | instskip(NEXT) | instid1(VALU_DEP_2)
	v_mad_u64_u32 v[30:31], null, 0xdb629599, v26, v[1:2]
	v_add_nc_u32_e32 v27, v35, v27
	s_delay_alu instid0(VALU_DEP_1) | instskip(NEXT) | instid1(VALU_DEP_3)
	v_cmp_lt_u32_e64 s7, 31, v27
	v_dual_mov_b32 v1, v31 :: v_dual_cndmask_b32 v28, v30, v28
	s_delay_alu instid0(VALU_DEP_1) | instskip(NEXT) | instid1(VALU_DEP_1)
	v_mad_u64_u32 v[31:32], null, 0xf534ddc0, v26, v[1:2]
	v_mov_b32_e32 v1, v32
	s_delay_alu instid0(VALU_DEP_1) | instskip(NEXT) | instid1(VALU_DEP_1)
	v_mad_u64_u32 v[32:33], null, 0xfc2757d1, v26, v[1:2]
	v_mov_b32_e32 v1, v33
	;; [unrolled: 3-line block ×3, first 2 shown]
	s_delay_alu instid0(VALU_DEP_1) | instskip(SKIP_1) | instid1(VALU_DEP_4)
	v_mad_u64_u32 v[34:35], null, 0xa2f9836e, v26, v[1:2]
	v_cndmask_b32_e64 v1, 0, 0xffffffe0, s7
	v_cndmask_b32_e32 v26, v33, v31, vcc_lo
	s_delay_alu instid0(VALU_DEP_2) | instskip(NEXT) | instid1(VALU_DEP_4)
	v_dual_cndmask_b32 v34, v34, v32 :: v_dual_add_nc_u32 v1, v1, v27
	v_dual_cndmask_b32 v33, v35, v33 :: v_dual_cndmask_b32 v32, v32, v30
	v_cndmask_b32_e32 v27, v31, v29, vcc_lo
	s_delay_alu instid0(VALU_DEP_3) | instskip(NEXT) | instid1(VALU_DEP_4)
	v_cmp_eq_u32_e64 s8, 0, v1
	v_cndmask_b32_e64 v29, v34, v26, s6
	s_delay_alu instid0(VALU_DEP_4)
	v_cndmask_b32_e64 v31, v33, v34, s6
	v_cndmask_b32_e64 v26, v26, v32, s6
	v_sub_nc_u32_e32 v33, 32, v1
	v_cndmask_b32_e64 v32, v32, v27, s6
	v_cndmask_b32_e64 v27, v27, v28, s6
	;; [unrolled: 1-line block ×4, first 2 shown]
	s_delay_alu instid0(VALU_DEP_4) | instskip(NEXT) | instid1(VALU_DEP_4)
	v_cndmask_b32_e64 v26, v26, v32, s7
	v_cndmask_b32_e64 v27, v32, v27, s7
	s_delay_alu instid0(VALU_DEP_3) | instskip(NEXT) | instid1(VALU_DEP_3)
	v_alignbit_b32 v34, v31, v29, v33
	v_alignbit_b32 v35, v29, v26, v33
	s_delay_alu instid0(VALU_DEP_3) | instskip(NEXT) | instid1(VALU_DEP_3)
	v_alignbit_b32 v33, v26, v27, v33
	v_cndmask_b32_e64 v1, v34, v31, s8
	s_delay_alu instid0(VALU_DEP_3) | instskip(NEXT) | instid1(VALU_DEP_3)
	v_cndmask_b32_e64 v29, v35, v29, s8
	v_cndmask_b32_e64 v26, v33, v26, s8
	s_delay_alu instid0(VALU_DEP_3) | instskip(NEXT) | instid1(VALU_DEP_3)
	v_bfe_u32 v30, v1, 29, 1
	v_alignbit_b32 v28, v1, v29, 30
	s_delay_alu instid0(VALU_DEP_3) | instskip(SKIP_1) | instid1(VALU_DEP_4)
	v_alignbit_b32 v29, v29, v26, 30
	v_alignbit_b32 v26, v26, v27, 30
	v_sub_nc_u32_e32 v31, 0, v30
	s_delay_alu instid0(VALU_DEP_1) | instskip(SKIP_3) | instid1(VALU_DEP_4)
	v_xor_b32_e32 v32, v28, v31
	v_cmp_ne_u32_e32 vcc_lo, v28, v31
	v_xor_b32_e32 v27, v29, v31
	v_xor_b32_e32 v26, v26, v31
	v_clz_i32_u32_e32 v34, v32
	s_delay_alu instid0(VALU_DEP_1) | instskip(NEXT) | instid1(VALU_DEP_1)
	v_add_nc_u32_e32 v33, 1, v34
	v_cndmask_b32_e32 v28, 33, v33, vcc_lo
	s_delay_alu instid0(VALU_DEP_1) | instskip(NEXT) | instid1(VALU_DEP_1)
	v_sub_nc_u32_e32 v29, 32, v28
	v_alignbit_b32 v31, v32, v27, v29
	v_alignbit_b32 v26, v27, v26, v29
	v_lshrrev_b32_e32 v27, 29, v1
	s_delay_alu instid0(VALU_DEP_2) | instskip(NEXT) | instid1(VALU_DEP_2)
	v_alignbit_b32 v29, v31, v26, 9
	v_lshlrev_b32_e32 v27, 31, v27
	v_alignbit_b32 v31, v28, v31, 9
	s_delay_alu instid0(VALU_DEP_3) | instskip(NEXT) | instid1(VALU_DEP_2)
	v_clz_i32_u32_e32 v32, v29
	v_or_b32_e32 v31, v31, v27
	v_or_b32_e32 v27, 0x33800000, v27
	s_delay_alu instid0(VALU_DEP_3) | instskip(NEXT) | instid1(VALU_DEP_3)
	v_min_u32_e32 v32, 32, v32
	v_xor_b32_e32 v31, 1.0, v31
	s_delay_alu instid0(VALU_DEP_2) | instskip(SKIP_1) | instid1(VALU_DEP_3)
	v_sub_nc_u32_e32 v33, 31, v32
	v_add_lshl_u32 v28, v32, v28, 23
	v_mul_f32_e32 v32, 0x3fc90fda, v31
	s_delay_alu instid0(VALU_DEP_3) | instskip(NEXT) | instid1(VALU_DEP_3)
	v_alignbit_b32 v26, v29, v26, v33
	v_sub_nc_u32_e32 v27, v27, v28
	s_delay_alu instid0(VALU_DEP_3) | instskip(NEXT) | instid1(VALU_DEP_3)
	v_fma_f32 v28, 0x3fc90fda, v31, -v32
                                        ; implicit-def: $vgpr29
	v_lshrrev_b32_e32 v26, 9, v26
	s_delay_alu instid0(VALU_DEP_2) | instskip(NEXT) | instid1(VALU_DEP_2)
	v_fmac_f32_e32 v28, 0x33a22168, v31
	v_or_b32_e32 v26, v27, v26
	s_delay_alu instid0(VALU_DEP_1) | instskip(SKIP_1) | instid1(VALU_DEP_1)
	v_fmac_f32_e32 v28, 0x3fc90fda, v26
	v_lshrrev_b32_e32 v26, 30, v1
	v_dual_add_f32 v1, v32, v28 :: v_dual_add_nc_u32 v28, v30, v26
	s_and_not1_saveexec_b32 s6, s33
	s_cbranch_execnz .LBB163_46
	s_branch .LBB163_47
.LBB163_45:                             ;   in Loop: Header=BB163_4 Depth=1
	s_and_not1_saveexec_b32 s6, s33
.LBB163_46:                             ;   in Loop: Header=BB163_4 Depth=1
	v_fma_f32 v1, 0xbfc90fda, v29, |v10|
	v_cvt_i32_f32_e32 v28, v29
	s_delay_alu instid0(VALU_DEP_2) | instskip(NEXT) | instid1(VALU_DEP_1)
	v_fmac_f32_e32 v1, 0xb3a22168, v29
	v_fmac_f32_e32 v1, 0xa7c234c4, v29
.LBB163_47:                             ;   in Loop: Header=BB163_4 Depth=1
	s_or_b32 exec_lo, exec_lo, s6
	v_dual_mul_f32 v26, v24, v24 :: v_dual_and_b32 v27, 1, v25
	s_delay_alu instid0(VALU_DEP_2) | instskip(SKIP_1) | instid1(VALU_DEP_3)
	v_dual_mul_f32 v29, v1, v1 :: v_dual_and_b32 v32, 1, v28
	v_lshlrev_b32_e32 v28, 30, v28
	v_fmaak_f32 v30, s27, v26, 0x3c0881c4
	v_fmaak_f32 v31, s28, v26, 0xbab64f3b
	v_lshlrev_b32_e32 v25, 30, v25
	v_fmaak_f32 v33, s27, v29, 0x3c0881c4
	v_fmaak_f32 v34, s28, v29, 0xbab64f3b
	;; [unrolled: 1-line block ×4, first 2 shown]
	v_cmp_eq_u32_e32 vcc_lo, 0, v27
	v_fmaak_f32 v33, v29, v33, 0xbe2aaa9d
	v_fmaak_f32 v34, v29, v34, 0x3d2aabf7
	v_mul_f32_e32 v30, v26, v30
	v_fmaak_f32 v31, v26, v31, 0xbf000004
	v_and_b32_e32 v25, 0x80000000, v25
	s_delay_alu instid0(VALU_DEP_4) | instskip(NEXT) | instid1(VALU_DEP_4)
	v_fmaak_f32 v34, v29, v34, 0xbf000004
	v_fmac_f32_e32 v24, v24, v30
	s_delay_alu instid0(VALU_DEP_4) | instskip(SKIP_3) | instid1(VALU_DEP_3)
	v_fma_f32 v26, v26, v31, 1.0
	v_mul_f32_e32 v33, v29, v33
	v_xor_b32_e32 v23, v23, v25
	v_fma_f32 v25, v29, v34, 1.0
	v_dual_cndmask_b32 v24, v26, v24 :: v_dual_fmac_f32 v1, v1, v33
	v_and_b32_e32 v26, 0x80000000, v28
	v_cmp_eq_u32_e32 vcc_lo, 0, v32
	s_delay_alu instid0(VALU_DEP_3) | instskip(NEXT) | instid1(VALU_DEP_4)
	v_xor3_b32 v23, v23, v24, v10
	v_cndmask_b32_e64 v1, -v1, v25, vcc_lo
	v_cmp_class_f32_e64 vcc_lo, v10, 0x1f8
	s_delay_alu instid0(VALU_DEP_2) | instskip(NEXT) | instid1(VALU_DEP_1)
	v_xor_b32_e32 v1, v26, v1
	v_mul_f32_e32 v1, v23, v1
	s_delay_alu instid0(VALU_DEP_1)
	v_cndmask_b32_e32 v10, 0x7fc00000, v1, vcc_lo
.LBB163_48:                             ;   in Loop: Header=BB163_4 Depth=1
	s_or_b32 exec_lo, exec_lo, s31
	v_add_nc_u32_e32 v9, -2.0, v9
	s_delay_alu instid0(VALU_DEP_2)
	v_bfi_b32 v10, 0x7fffffff, 0, v10
.LBB163_49:                             ;   in Loop: Header=BB163_4 Depth=1
	s_or_b32 exec_lo, exec_lo, s30
.LBB163_50:                             ;   in Loop: Header=BB163_4 Depth=1
	s_delay_alu instid0(SALU_CYCLE_1) | instskip(SKIP_2) | instid1(VALU_DEP_1)
	s_or_b32 exec_lo, exec_lo, s29
	v_and_b32_e32 v1, 0x7fffffff, v11
	s_mov_b32 s6, exec_lo
	v_cmpx_gt_u32_e32 0x7f800000, v1
	s_xor_b32 s29, exec_lo, s6
	s_cbranch_execz .LBB163_72
; %bb.51:                               ;   in Loop: Header=BB163_4 Depth=1
	v_cmp_class_f32_e64 s6, v12, 0x1f8
	s_delay_alu instid0(VALU_DEP_1) | instskip(NEXT) | instid1(SALU_CYCLE_1)
	s_and_saveexec_b32 s7, s6
	s_xor_b32 s30, exec_lo, s7
	s_cbranch_execz .LBB163_69
; %bb.52:                               ;   in Loop: Header=BB163_4 Depth=1
	v_and_b32_e32 v23, 0x7fffffff, v12
	s_mov_b32 s6, exec_lo
	v_cmpx_gt_u32_e32 0x41300000, v1
	s_xor_b32 s31, exec_lo, s6
	s_cbranch_execz .LBB163_58
; %bb.53:                               ;   in Loop: Header=BB163_4 Depth=1
                                        ; implicit-def: $vgpr1
                                        ; implicit-def: $vgpr24
	s_mov_b32 s7, exec_lo
	v_cmpx_ngt_f32_e64 0x48000000, |v12|
	s_xor_b32 s33, exec_lo, s7
	s_cbranch_execz .LBB163_55
; %bb.54:                               ;   in Loop: Header=BB163_4 Depth=1
	v_and_or_b32 v32, v23, s23, 0x800000
	v_lshrrev_b32_e32 v29, 23, v23
	s_delay_alu instid0(VALU_DEP_2) | instskip(NEXT) | instid1(VALU_DEP_2)
	v_mad_u64_u32 v[24:25], null, 0xfe5163ab, v32, 0
	v_add_nc_u32_e32 v30, 0xffffff88, v29
	s_delay_alu instid0(VALU_DEP_1) | instskip(NEXT) | instid1(VALU_DEP_3)
	v_cmp_lt_u32_e32 vcc_lo, 63, v30
	v_mov_b32_e32 v1, v25
	v_cndmask_b32_e64 v31, 0, 0xffffffc0, vcc_lo
	s_delay_alu instid0(VALU_DEP_2) | instskip(NEXT) | instid1(VALU_DEP_2)
	v_mad_u64_u32 v[25:26], null, 0x3c439041, v32, v[1:2]
	v_add_nc_u32_e32 v31, v31, v30
	s_delay_alu instid0(VALU_DEP_2) | instskip(NEXT) | instid1(VALU_DEP_2)
	v_mov_b32_e32 v1, v26
	v_cmp_lt_u32_e64 s6, 31, v31
	s_delay_alu instid0(VALU_DEP_2) | instskip(NEXT) | instid1(VALU_DEP_2)
	v_mad_u64_u32 v[26:27], null, 0xdb629599, v32, v[1:2]
	v_cndmask_b32_e64 v33, 0, 0xffffffe0, s6
	s_delay_alu instid0(VALU_DEP_1) | instskip(NEXT) | instid1(VALU_DEP_3)
	v_add_nc_u32_e32 v33, v33, v31
	v_dual_mov_b32 v1, v27 :: v_dual_cndmask_b32 v24, v26, v24
	s_delay_alu instid0(VALU_DEP_2) | instskip(NEXT) | instid1(VALU_DEP_2)
	v_cmp_lt_u32_e64 s7, 31, v33
	v_mad_u64_u32 v[27:28], null, 0xf534ddc0, v32, v[1:2]
	s_delay_alu instid0(VALU_DEP_1) | instskip(NEXT) | instid1(VALU_DEP_2)
	v_mov_b32_e32 v1, v28
	v_cndmask_b32_e32 v25, v27, v25, vcc_lo
	s_delay_alu instid0(VALU_DEP_2) | instskip(NEXT) | instid1(VALU_DEP_2)
	v_mad_u64_u32 v[28:29], null, 0xfc2757d1, v32, v[1:2]
	v_cndmask_b32_e64 v24, v25, v24, s6
	s_delay_alu instid0(VALU_DEP_2) | instskip(NEXT) | instid1(VALU_DEP_1)
	v_mov_b32_e32 v1, v29
	v_mad_u64_u32 v[29:30], null, 0x4e441529, v32, v[1:2]
	s_delay_alu instid0(VALU_DEP_1) | instskip(NEXT) | instid1(VALU_DEP_1)
	v_mov_b32_e32 v1, v30
	v_mad_u64_u32 v[30:31], null, 0xa2f9836e, v32, v[1:2]
	v_cndmask_b32_e64 v1, 0, 0xffffffe0, s7
	s_delay_alu instid0(VALU_DEP_4) | instskip(NEXT) | instid1(VALU_DEP_2)
	v_cndmask_b32_e32 v32, v29, v27, vcc_lo
	v_dual_cndmask_b32 v30, v30, v28 :: v_dual_add_nc_u32 v1, v1, v33
	s_delay_alu instid0(VALU_DEP_4) | instskip(NEXT) | instid1(VALU_DEP_2)
	v_dual_cndmask_b32 v29, v31, v29 :: v_dual_cndmask_b32 v28, v28, v26
	v_sub_nc_u32_e32 v31, 32, v1
	s_delay_alu instid0(VALU_DEP_3) | instskip(NEXT) | instid1(VALU_DEP_3)
	v_cndmask_b32_e64 v27, v30, v32, s6
	v_cndmask_b32_e64 v29, v29, v30, s6
	s_delay_alu instid0(VALU_DEP_4) | instskip(SKIP_2) | instid1(VALU_DEP_4)
	v_cndmask_b32_e64 v30, v32, v28, s6
	v_cndmask_b32_e64 v28, v28, v25, s6
	v_cmp_eq_u32_e64 s8, 0, v1
	v_cndmask_b32_e64 v29, v29, v27, s7
	s_delay_alu instid0(VALU_DEP_4) | instskip(NEXT) | instid1(VALU_DEP_4)
	v_cndmask_b32_e64 v27, v27, v30, s7
	v_cndmask_b32_e64 v30, v30, v28, s7
	;; [unrolled: 1-line block ×3, first 2 shown]
	s_delay_alu instid0(VALU_DEP_3) | instskip(NEXT) | instid1(VALU_DEP_3)
	v_alignbit_b32 v32, v29, v27, v31
	v_alignbit_b32 v33, v27, v30, v31
	s_delay_alu instid0(VALU_DEP_3) | instskip(NEXT) | instid1(VALU_DEP_3)
	v_alignbit_b32 v31, v30, v24, v31
	v_cndmask_b32_e64 v1, v32, v29, s8
	s_delay_alu instid0(VALU_DEP_3) | instskip(NEXT) | instid1(VALU_DEP_3)
	v_cndmask_b32_e64 v26, v33, v27, s8
	v_cndmask_b32_e64 v30, v31, v30, s8
	s_delay_alu instid0(VALU_DEP_3) | instskip(NEXT) | instid1(VALU_DEP_3)
	v_bfe_u32 v27, v1, 29, 1
	v_alignbit_b32 v25, v1, v26, 30
	s_delay_alu instid0(VALU_DEP_3) | instskip(SKIP_1) | instid1(VALU_DEP_4)
	v_alignbit_b32 v26, v26, v30, 30
	v_alignbit_b32 v24, v30, v24, 30
	v_sub_nc_u32_e32 v29, 0, v27
	s_delay_alu instid0(VALU_DEP_1) | instskip(SKIP_3) | instid1(VALU_DEP_4)
	v_xor_b32_e32 v28, v25, v29
	v_cmp_ne_u32_e32 vcc_lo, v25, v29
	v_xor_b32_e32 v26, v26, v29
	v_xor_b32_e32 v24, v24, v29
	v_clz_i32_u32_e32 v32, v28
	s_delay_alu instid0(VALU_DEP_1) | instskip(NEXT) | instid1(VALU_DEP_1)
	v_add_nc_u32_e32 v31, 1, v32
	v_cndmask_b32_e32 v25, 33, v31, vcc_lo
	s_delay_alu instid0(VALU_DEP_1) | instskip(NEXT) | instid1(VALU_DEP_1)
	v_sub_nc_u32_e32 v30, 32, v25
	v_alignbit_b32 v28, v28, v26, v30
	v_alignbit_b32 v24, v26, v24, v30
	v_lshrrev_b32_e32 v26, 29, v1
	v_lshrrev_b32_e32 v1, 30, v1
	s_delay_alu instid0(VALU_DEP_3) | instskip(NEXT) | instid1(VALU_DEP_3)
	v_alignbit_b32 v29, v28, v24, 9
	v_lshlrev_b32_e32 v26, 31, v26
	v_alignbit_b32 v28, v25, v28, 9
	s_delay_alu instid0(VALU_DEP_4) | instskip(NEXT) | instid1(VALU_DEP_4)
	v_add_nc_u32_e32 v1, v27, v1
	v_clz_i32_u32_e32 v30, v29
	s_delay_alu instid0(VALU_DEP_3) | instskip(SKIP_1) | instid1(VALU_DEP_3)
	v_or_b32_e32 v28, v28, v26
	v_or_b32_e32 v26, 0x33800000, v26
	v_min_u32_e32 v30, 32, v30
	s_delay_alu instid0(VALU_DEP_3) | instskip(NEXT) | instid1(VALU_DEP_2)
	v_xor_b32_e32 v28, 1.0, v28
	v_sub_nc_u32_e32 v31, 31, v30
	v_add_lshl_u32 v25, v30, v25, 23
	s_delay_alu instid0(VALU_DEP_3) | instskip(NEXT) | instid1(VALU_DEP_3)
	v_mul_f32_e32 v30, 0x3fc90fda, v28
	v_alignbit_b32 v24, v29, v24, v31
	s_delay_alu instid0(VALU_DEP_3) | instskip(NEXT) | instid1(VALU_DEP_3)
	v_sub_nc_u32_e32 v25, v26, v25
	v_fma_f32 v26, 0x3fc90fda, v28, -v30
	s_delay_alu instid0(VALU_DEP_3) | instskip(NEXT) | instid1(VALU_DEP_2)
	v_lshrrev_b32_e32 v24, 9, v24
	v_fmac_f32_e32 v26, 0x33a22168, v28
	s_delay_alu instid0(VALU_DEP_2) | instskip(NEXT) | instid1(VALU_DEP_1)
	v_or_b32_e32 v24, v25, v24
	v_fmac_f32_e32 v26, 0x3fc90fda, v24
	s_delay_alu instid0(VALU_DEP_1)
	v_add_f32_e32 v24, v30, v26
.LBB163_55:                             ;   in Loop: Header=BB163_4 Depth=1
	s_and_not1_saveexec_b32 s6, s33
; %bb.56:                               ;   in Loop: Header=BB163_4 Depth=1
	v_mul_f32_e64 v1, 0x3f22f983, |v12|
	s_delay_alu instid0(VALU_DEP_1) | instskip(NEXT) | instid1(VALU_DEP_1)
	v_rndne_f32_e32 v1, v1
	v_fma_f32 v24, 0xbfc90fda, v1, |v12|
	s_delay_alu instid0(VALU_DEP_1) | instskip(NEXT) | instid1(VALU_DEP_1)
	v_fmac_f32_e32 v24, 0xb3a22168, v1
	v_fmac_f32_e32 v24, 0xa7c234c4, v1
	v_cvt_i32_f32_e32 v1, v1
; %bb.57:                               ;   in Loop: Header=BB163_4 Depth=1
	s_or_b32 exec_lo, exec_lo, s6
	v_add_f32_e64 v25, 0xbf317218, |v11|
	v_cmp_nlt_f32_e64 vcc_lo, 0x42b2d4fc, |v11|
	v_cmp_gt_f32_e64 s6, 0x39800000, |v11|
	v_and_b32_e32 v1, 1, v1
	s_delay_alu instid0(VALU_DEP_4) | instskip(NEXT) | instid1(VALU_DEP_1)
	v_sub_f32_e64 v26, v25, |v11|
	v_dual_sub_f32 v27, v26, v25 :: v_dual_add_f32 v26, 0x3f317218, v26
	s_delay_alu instid0(VALU_DEP_1) | instskip(NEXT) | instid1(VALU_DEP_1)
	v_add_f32_e64 v27, |v11|, v27
	v_sub_f32_e32 v26, v27, v26
	s_delay_alu instid0(VALU_DEP_1) | instskip(NEXT) | instid1(VALU_DEP_1)
	v_add_f32_e32 v26, 0x3102e308, v26
	v_add_f32_e32 v27, v25, v26
	s_delay_alu instid0(VALU_DEP_1) | instskip(NEXT) | instid1(VALU_DEP_1)
	v_sub_f32_e32 v25, v25, v27
	v_dual_mul_f32 v28, 0x3fb8aa3b, v27 :: v_dual_add_f32 v25, v26, v25
	s_delay_alu instid0(VALU_DEP_1) | instskip(NEXT) | instid1(VALU_DEP_1)
	v_rndne_f32_e32 v28, v28
	v_mul_f32_e32 v26, 0x35bfbc00, v28
	v_fmac_f32_e32 v27, 0xbf317200, v28
	s_delay_alu instid0(VALU_DEP_1) | instskip(NEXT) | instid1(VALU_DEP_1)
	v_add_f32_e32 v29, v25, v27
	v_dual_sub_f32 v30, v29, v26 :: v_dual_sub_f32 v27, v27, v29
	s_delay_alu instid0(VALU_DEP_1) | instskip(NEXT) | instid1(VALU_DEP_1)
	v_sub_f32_e32 v29, v29, v30
	v_sub_f32_e32 v26, v29, v26
	s_delay_alu instid0(VALU_DEP_3) | instskip(NEXT) | instid1(VALU_DEP_1)
	v_add_f32_e32 v25, v25, v27
	v_dual_add_f32 v25, v25, v26 :: v_dual_mul_f32 v26, 0x2ea39ef3, v28
	s_delay_alu instid0(VALU_DEP_1) | instskip(NEXT) | instid1(VALU_DEP_1)
	v_add_f32_e32 v27, v30, v25
	v_dual_sub_f32 v29, v27, v26 :: v_dual_sub_f32 v30, v30, v27
	s_delay_alu instid0(VALU_DEP_1) | instskip(NEXT) | instid1(VALU_DEP_2)
	v_sub_f32_e32 v27, v27, v29
	v_add_f32_e32 v25, v25, v30
	s_delay_alu instid0(VALU_DEP_2) | instskip(NEXT) | instid1(VALU_DEP_1)
	v_sub_f32_e32 v26, v27, v26
	v_add_f32_e32 v25, v25, v26
	s_delay_alu instid0(VALU_DEP_1) | instskip(NEXT) | instid1(VALU_DEP_1)
	v_add_f32_e32 v26, v29, v25
	v_sub_f32_e32 v27, v29, v26
	v_mul_f32_e32 v29, v26, v26
	s_delay_alu instid0(VALU_DEP_2) | instskip(SKIP_1) | instid1(VALU_DEP_3)
	v_add_f32_e32 v25, v25, v27
	v_fmaak_f32 v27, s26, v26, 0x3c091de6
	v_fma_f32 v30, v26, v26, -v29
	s_delay_alu instid0(VALU_DEP_3) | instskip(NEXT) | instid1(VALU_DEP_3)
	v_add_f32_e32 v31, v25, v25
	v_fmaak_f32 v27, v26, v27, 0x3d2aadcc
	s_delay_alu instid0(VALU_DEP_2) | instskip(NEXT) | instid1(VALU_DEP_2)
	v_fmac_f32_e32 v30, v26, v31
	v_fmaak_f32 v27, v26, v27, 0x3e2aaa47
	s_delay_alu instid0(VALU_DEP_2) | instskip(NEXT) | instid1(VALU_DEP_2)
	v_add_f32_e32 v31, v29, v30
	v_fmaak_f32 v27, v26, v27, 0x3efffffc
	s_delay_alu instid0(VALU_DEP_2) | instskip(NEXT) | instid1(VALU_DEP_1)
	v_sub_f32_e32 v29, v31, v29
	v_dual_mul_f32 v32, v27, v31 :: v_dual_sub_f32 v29, v30, v29
	s_delay_alu instid0(VALU_DEP_1) | instskip(NEXT) | instid1(VALU_DEP_1)
	v_fma_f32 v30, v31, v27, -v32
	v_fmac_f32_e32 v30, v29, v27
	s_delay_alu instid0(VALU_DEP_1) | instskip(NEXT) | instid1(VALU_DEP_1)
	v_add_f32_e32 v27, v32, v30
	v_sub_f32_e32 v31, v27, v32
	v_add_f32_e32 v29, v26, v27
	s_delay_alu instid0(VALU_DEP_2) | instskip(NEXT) | instid1(VALU_DEP_2)
	v_sub_f32_e32 v30, v30, v31
	v_sub_f32_e32 v26, v29, v26
	s_delay_alu instid0(VALU_DEP_1) | instskip(NEXT) | instid1(VALU_DEP_3)
	v_sub_f32_e32 v26, v27, v26
	v_add_f32_e32 v25, v25, v30
	s_delay_alu instid0(VALU_DEP_1) | instskip(NEXT) | instid1(VALU_DEP_1)
	v_add_f32_e32 v25, v25, v26
	v_add_f32_e32 v26, v29, v25
	s_delay_alu instid0(VALU_DEP_1) | instskip(NEXT) | instid1(VALU_DEP_1)
	v_add_f32_e32 v27, 1.0, v26
	v_dual_sub_f32 v29, v26, v29 :: v_dual_add_f32 v30, -1.0, v27
	s_delay_alu instid0(VALU_DEP_1) | instskip(NEXT) | instid1(VALU_DEP_1)
	v_dual_sub_f32 v25, v25, v29 :: v_dual_sub_f32 v26, v26, v30
	v_add_f32_e32 v25, v25, v26
	v_cvt_i32_f32_e32 v26, v28
	s_delay_alu instid0(VALU_DEP_2) | instskip(NEXT) | instid1(VALU_DEP_1)
	v_add_f32_e32 v28, v27, v25
	v_ldexp_f32 v29, v28, v26
	s_delay_alu instid0(VALU_DEP_1) | instskip(SKIP_1) | instid1(VALU_DEP_1)
	v_rcp_f32_e32 v30, v29
	v_sub_f32_e32 v27, v28, v27
	v_sub_f32_e32 v25, v25, v27
	s_waitcnt_depctr 0xfff
	v_mul_f32_e32 v27, v29, v30
	v_ldexp_f32 v25, v25, v26
	s_delay_alu instid0(VALU_DEP_2) | instskip(NEXT) | instid1(VALU_DEP_1)
	v_fma_f32 v26, v30, v29, -v27
	v_fmac_f32_e32 v26, v30, v25
	s_delay_alu instid0(VALU_DEP_1) | instskip(NEXT) | instid1(VALU_DEP_1)
	v_add_f32_e32 v28, v27, v26
	v_sub_f32_e32 v31, 1.0, v28
	v_sub_f32_e32 v27, v28, v27
	s_delay_alu instid0(VALU_DEP_2) | instskip(NEXT) | instid1(VALU_DEP_1)
	v_sub_f32_e32 v32, 1.0, v31
	v_dual_sub_f32 v26, v27, v26 :: v_dual_sub_f32 v27, v32, v28
	s_delay_alu instid0(VALU_DEP_1) | instskip(NEXT) | instid1(VALU_DEP_1)
	v_add_f32_e32 v26, v26, v27
	v_add_f32_e32 v27, v31, v26
	s_delay_alu instid0(VALU_DEP_1) | instskip(NEXT) | instid1(VALU_DEP_1)
	v_mul_f32_e32 v28, v30, v27
	v_dual_sub_f32 v31, v31, v27 :: v_dual_mul_f32 v32, v29, v28
	s_delay_alu instid0(VALU_DEP_1) | instskip(NEXT) | instid1(VALU_DEP_2)
	v_add_f32_e32 v26, v26, v31
	v_fma_f32 v33, v28, v29, -v32
	s_delay_alu instid0(VALU_DEP_1) | instskip(NEXT) | instid1(VALU_DEP_1)
	v_fmac_f32_e32 v33, v28, v25
	v_add_f32_e32 v34, v32, v33
	s_delay_alu instid0(VALU_DEP_1) | instskip(SKIP_1) | instid1(VALU_DEP_2)
	v_sub_f32_e32 v35, v27, v34
	v_sub_f32_e32 v31, v34, v32
	v_sub_f32_e32 v27, v27, v35
	s_delay_alu instid0(VALU_DEP_2) | instskip(NEXT) | instid1(VALU_DEP_2)
	v_sub_f32_e32 v31, v31, v33
	v_sub_f32_e32 v27, v27, v34
	s_delay_alu instid0(VALU_DEP_1) | instskip(NEXT) | instid1(VALU_DEP_1)
	v_add_f32_e32 v26, v26, v27
	v_dual_add_f32 v27, v30, v28 :: v_dual_add_f32 v26, v31, v26
	s_delay_alu instid0(VALU_DEP_1) | instskip(NEXT) | instid1(VALU_DEP_2)
	v_sub_f32_e32 v31, v27, v30
	v_add_f32_e32 v26, v35, v26
	s_delay_alu instid0(VALU_DEP_2) | instskip(NEXT) | instid1(VALU_DEP_2)
	v_sub_f32_e32 v28, v28, v31
	v_mul_f32_e32 v26, v30, v26
	s_delay_alu instid0(VALU_DEP_1) | instskip(NEXT) | instid1(VALU_DEP_1)
	v_add_f32_e32 v26, v28, v26
	v_add_f32_e32 v28, v27, v26
	s_delay_alu instid0(VALU_DEP_1) | instskip(SKIP_1) | instid1(VALU_DEP_1)
	v_ldexp_f32 v30, v28, -2
	v_sub_f32_e32 v27, v28, v27
	v_dual_sub_f32 v31, v29, v30 :: v_dual_sub_f32 v26, v26, v27
	s_delay_alu instid0(VALU_DEP_1) | instskip(NEXT) | instid1(VALU_DEP_2)
	v_sub_f32_e32 v28, v29, v31
	v_ldexp_f32 v26, v26, -2
	s_delay_alu instid0(VALU_DEP_2) | instskip(NEXT) | instid1(VALU_DEP_1)
	v_sub_f32_e32 v27, v28, v30
	v_add_f32_e32 v25, v25, v27
	s_delay_alu instid0(VALU_DEP_1) | instskip(NEXT) | instid1(VALU_DEP_1)
	v_dual_sub_f32 v25, v25, v26 :: v_dual_mul_f32 v26, v24, v24
	v_add_f32_e32 v25, v31, v25
	s_delay_alu instid0(VALU_DEP_2) | instskip(NEXT) | instid1(VALU_DEP_2)
	v_fmaak_f32 v27, s25, v26, 0xbf039337
	v_cndmask_b32_e32 v25, 0x7f800000, v25, vcc_lo
	s_delay_alu instid0(VALU_DEP_2) | instskip(NEXT) | instid1(VALU_DEP_2)
	v_fmaak_f32 v27, v26, v27, 0x3f93f425
	v_cndmask_b32_e64 v25, v25, |v11|, s6
	s_delay_alu instid0(VALU_DEP_2) | instskip(NEXT) | instid1(VALU_DEP_1)
	v_rcp_f32_e32 v27, v27
	v_bfi_b32 v11, 0x7fffffff, v25, v11
	v_fmaak_f32 v25, s24, v26, 0x3ec54587
	s_delay_alu instid0(VALU_DEP_2) | instskip(SKIP_4) | instid1(VALU_DEP_2)
	v_fma_f32 v28, v11, v11, 1.0
	s_waitcnt_depctr 0xfff
	v_mul_f32_e32 v25, v25, v27
	v_mul_f32_e32 v27, 0x4f800000, v28
	v_cmp_gt_f32_e32 vcc_lo, 0xf800000, v28
	v_dual_mul_f32 v25, v26, v25 :: v_dual_cndmask_b32 v26, v28, v27
	s_delay_alu instid0(VALU_DEP_1) | instskip(NEXT) | instid1(VALU_DEP_2)
	v_fma_f32 v27, v25, v24, v24
	v_sqrt_f32_e32 v28, v26
	s_delay_alu instid0(VALU_DEP_1) | instskip(SKIP_1) | instid1(VALU_DEP_1)
	v_rcp_f32_e32 v29, v27
	v_sub_f32_e32 v30, v27, v24
	v_fma_f32 v24, v25, v24, -v30
	s_waitcnt_depctr 0xfff
	v_add_nc_u32_e32 v31, -1, v28
	v_fma_f32 v25, v27, -v29, 1.0
	v_add_nc_u32_e32 v30, 1, v28
	s_delay_alu instid0(VALU_DEP_3) | instskip(NEXT) | instid1(VALU_DEP_3)
	v_fma_f32 v32, -v31, v28, v26
	v_fma_f32 v24, v24, -v29, v25
	s_delay_alu instid0(VALU_DEP_3) | instskip(NEXT) | instid1(VALU_DEP_3)
	v_fma_f32 v25, -v30, v28, v26
	v_cmp_ge_f32_e64 s6, 0, v32
	s_delay_alu instid0(VALU_DEP_3) | instskip(NEXT) | instid1(VALU_DEP_2)
	v_fma_f32 v24, v24, -v29, -v29
	v_cndmask_b32_e64 v28, v28, v31, s6
	s_delay_alu instid0(VALU_DEP_4) | instskip(NEXT) | instid1(VALU_DEP_1)
	v_cmp_lt_f32_e64 s6, 0, v25
	v_cndmask_b32_e64 v25, v28, v30, s6
	v_cmp_eq_u32_e64 s6, 0, v1
	s_delay_alu instid0(VALU_DEP_1) | instskip(NEXT) | instid1(VALU_DEP_3)
	v_cndmask_b32_e64 v1, v24, v27, s6
	v_mul_f32_e32 v24, 0x37800000, v25
	s_delay_alu instid0(VALU_DEP_2) | instskip(NEXT) | instid1(VALU_DEP_2)
	v_xor3_b32 v1, v23, v1, v12
	v_cndmask_b32_e32 v12, v25, v24, vcc_lo
	v_cmp_class_f32_e64 vcc_lo, v26, 0x260
	s_delay_alu instid0(VALU_DEP_3) | instskip(NEXT) | instid1(VALU_DEP_3)
	v_fma_f32 v23, v1, v1, 1.0
	v_cndmask_b32_e32 v12, v12, v26, vcc_lo
	s_delay_alu instid0(VALU_DEP_2) | instskip(NEXT) | instid1(VALU_DEP_2)
	v_mul_f32_e32 v24, v11, v23
	v_mul_f32_e32 v12, v12, v23
	s_delay_alu instid0(VALU_DEP_2) | instskip(NEXT) | instid1(VALU_DEP_2)
	v_fma_f32 v23, v11, v24, 1.0
	v_mul_f32_e32 v11, v11, v12
	s_delay_alu instid0(VALU_DEP_2) | instskip(NEXT) | instid1(VALU_DEP_2)
	v_div_scale_f32 v24, null, v23, v23, v1
	v_div_scale_f32 v12, null, v23, v23, v11
	v_div_scale_f32 v29, vcc_lo, v11, v23, v11
	s_delay_alu instid0(VALU_DEP_3) | instskip(NEXT) | instid1(VALU_DEP_2)
	v_rcp_f32_e32 v26, v24
	v_rcp_f32_e32 v25, v12
	s_waitcnt_depctr 0xfff
	v_fma_f32 v28, -v24, v26, 1.0
	v_fma_f32 v27, -v12, v25, 1.0
	s_delay_alu instid0(VALU_DEP_1) | instskip(SKIP_1) | instid1(VALU_DEP_2)
	v_dual_fmac_f32 v26, v28, v26 :: v_dual_fmac_f32 v25, v27, v25
	v_div_scale_f32 v27, s6, v1, v23, v1
	v_mul_f32_e32 v28, v29, v25
	s_delay_alu instid0(VALU_DEP_2) | instskip(NEXT) | instid1(VALU_DEP_2)
	v_mul_f32_e32 v30, v27, v26
	v_fma_f32 v31, -v12, v28, v29
	s_delay_alu instid0(VALU_DEP_2) | instskip(NEXT) | instid1(VALU_DEP_2)
	v_fma_f32 v32, -v24, v30, v27
	v_fmac_f32_e32 v28, v31, v25
	s_delay_alu instid0(VALU_DEP_2) | instskip(NEXT) | instid1(VALU_DEP_2)
	v_fmac_f32_e32 v30, v32, v26
	v_fma_f32 v12, -v12, v28, v29
	s_delay_alu instid0(VALU_DEP_2) | instskip(NEXT) | instid1(VALU_DEP_2)
	v_fma_f32 v24, -v24, v30, v27
	v_div_fmas_f32 v12, v12, v25, v28
	s_mov_b32 vcc_lo, s6
	s_delay_alu instid0(VALU_DEP_2) | instskip(NEXT) | instid1(VALU_DEP_2)
	v_div_fmas_f32 v24, v24, v26, v30
	v_div_fixup_f32 v11, v12, v23, v11
	s_delay_alu instid0(VALU_DEP_2)
	v_div_fixup_f32 v12, v24, v23, v1
                                        ; implicit-def: $vgpr23
.LBB163_58:                             ;   in Loop: Header=BB163_4 Depth=1
	s_and_not1_saveexec_b32 s31, s31
	s_cbranch_execz .LBB163_68
; %bb.59:                               ;   in Loop: Header=BB163_4 Depth=1
	v_lshrrev_b32_e32 v1, 23, v23
	s_delay_alu instid0(VALU_DEP_2) | instskip(SKIP_1) | instid1(VALU_DEP_3)
	v_cmp_ngt_f32_e64 s33, 0x48000000, |v12|
	v_and_or_b32 v25, v23, s23, 0x800000
                                        ; implicit-def: $vgpr26
                                        ; implicit-def: $vgpr24
	v_add_nc_u32_e32 v27, 0xffffff88, v1
	s_delay_alu instid0(VALU_DEP_3) | instskip(NEXT) | instid1(SALU_CYCLE_1)
	s_and_saveexec_b32 s6, s33
	s_xor_b32 s34, exec_lo, s6
	s_cbranch_execz .LBB163_61
; %bb.60:                               ;   in Loop: Header=BB163_4 Depth=1
	v_mad_u64_u32 v[28:29], null, 0xfe5163ab, v25, 0
	v_cmp_lt_u32_e32 vcc_lo, 63, v27
	v_cndmask_b32_e64 v24, 0, 0xffffffc0, vcc_lo
	s_delay_alu instid0(VALU_DEP_1) | instskip(NEXT) | instid1(VALU_DEP_1)
	v_dual_mov_b32 v1, v29 :: v_dual_add_nc_u32 v24, v24, v27
	v_mad_u64_u32 v[29:30], null, 0x3c439041, v25, v[1:2]
	s_delay_alu instid0(VALU_DEP_2) | instskip(NEXT) | instid1(VALU_DEP_2)
	v_cmp_lt_u32_e64 s6, 31, v24
	v_mov_b32_e32 v1, v30
	s_delay_alu instid0(VALU_DEP_2) | instskip(NEXT) | instid1(VALU_DEP_2)
	v_cndmask_b32_e64 v26, 0, 0xffffffe0, s6
	v_mad_u64_u32 v[30:31], null, 0xdb629599, v25, v[1:2]
	s_delay_alu instid0(VALU_DEP_2) | instskip(NEXT) | instid1(VALU_DEP_1)
	v_add_nc_u32_e32 v24, v26, v24
	v_cmp_lt_u32_e64 s7, 31, v24
	s_delay_alu instid0(VALU_DEP_3) | instskip(NEXT) | instid1(VALU_DEP_1)
	v_dual_mov_b32 v1, v31 :: v_dual_cndmask_b32 v28, v30, v28
	v_mad_u64_u32 v[31:32], null, 0xf534ddc0, v25, v[1:2]
	s_delay_alu instid0(VALU_DEP_1) | instskip(NEXT) | instid1(VALU_DEP_1)
	v_mov_b32_e32 v1, v32
	v_mad_u64_u32 v[32:33], null, 0xfc2757d1, v25, v[1:2]
	s_delay_alu instid0(VALU_DEP_1) | instskip(NEXT) | instid1(VALU_DEP_1)
	v_mov_b32_e32 v1, v33
	v_mad_u64_u32 v[33:34], null, 0x4e441529, v25, v[1:2]
	s_delay_alu instid0(VALU_DEP_1) | instskip(NEXT) | instid1(VALU_DEP_1)
	v_dual_mov_b32 v1, v34 :: v_dual_cndmask_b32 v26, v33, v31
	v_mad_u64_u32 v[34:35], null, 0xa2f9836e, v25, v[1:2]
	v_cndmask_b32_e64 v1, 0, 0xffffffe0, s7
	s_delay_alu instid0(VALU_DEP_1) | instskip(NEXT) | instid1(VALU_DEP_3)
	v_add_nc_u32_e32 v1, v1, v24
	v_dual_cndmask_b32 v34, v34, v32 :: v_dual_cndmask_b32 v33, v35, v33
	v_cndmask_b32_e32 v32, v32, v30, vcc_lo
	v_cndmask_b32_e32 v24, v31, v29, vcc_lo
	s_delay_alu instid0(VALU_DEP_4) | instskip(NEXT) | instid1(VALU_DEP_4)
	v_cmp_eq_u32_e64 s8, 0, v1
	v_cndmask_b32_e64 v29, v34, v26, s6
	v_cndmask_b32_e64 v31, v33, v34, s6
	;; [unrolled: 1-line block ×3, first 2 shown]
	v_sub_nc_u32_e32 v33, 32, v1
	v_cndmask_b32_e64 v32, v32, v24, s6
	v_cndmask_b32_e64 v24, v24, v28, s6
	;; [unrolled: 1-line block ×4, first 2 shown]
	s_delay_alu instid0(VALU_DEP_4) | instskip(NEXT) | instid1(VALU_DEP_4)
	v_cndmask_b32_e64 v26, v26, v32, s7
	v_cndmask_b32_e64 v24, v32, v24, s7
	s_delay_alu instid0(VALU_DEP_3) | instskip(NEXT) | instid1(VALU_DEP_3)
	v_alignbit_b32 v34, v31, v29, v33
	v_alignbit_b32 v35, v29, v26, v33
	s_delay_alu instid0(VALU_DEP_3) | instskip(NEXT) | instid1(VALU_DEP_3)
	v_alignbit_b32 v33, v26, v24, v33
	v_cndmask_b32_e64 v1, v34, v31, s8
	s_delay_alu instid0(VALU_DEP_3) | instskip(NEXT) | instid1(VALU_DEP_3)
	v_cndmask_b32_e64 v29, v35, v29, s8
	v_cndmask_b32_e64 v26, v33, v26, s8
	s_delay_alu instid0(VALU_DEP_3) | instskip(NEXT) | instid1(VALU_DEP_3)
	v_bfe_u32 v30, v1, 29, 1
	v_alignbit_b32 v28, v1, v29, 30
	s_delay_alu instid0(VALU_DEP_3) | instskip(SKIP_1) | instid1(VALU_DEP_4)
	v_alignbit_b32 v29, v29, v26, 30
	v_alignbit_b32 v24, v26, v24, 30
	v_sub_nc_u32_e32 v31, 0, v30
	s_delay_alu instid0(VALU_DEP_1) | instskip(SKIP_3) | instid1(VALU_DEP_4)
	v_xor_b32_e32 v32, v28, v31
	v_cmp_ne_u32_e32 vcc_lo, v28, v31
	v_xor_b32_e32 v26, v29, v31
	v_xor_b32_e32 v24, v24, v31
	v_clz_i32_u32_e32 v34, v32
	s_delay_alu instid0(VALU_DEP_1) | instskip(NEXT) | instid1(VALU_DEP_1)
	v_add_nc_u32_e32 v33, 1, v34
	v_cndmask_b32_e32 v28, 33, v33, vcc_lo
	s_delay_alu instid0(VALU_DEP_1) | instskip(NEXT) | instid1(VALU_DEP_1)
	v_sub_nc_u32_e32 v29, 32, v28
	v_alignbit_b32 v31, v32, v26, v29
	v_alignbit_b32 v24, v26, v24, v29
	v_lshrrev_b32_e32 v26, 29, v1
	v_lshrrev_b32_e32 v1, 30, v1
	s_delay_alu instid0(VALU_DEP_3) | instskip(NEXT) | instid1(VALU_DEP_3)
	v_alignbit_b32 v29, v31, v24, 9
	v_lshlrev_b32_e32 v26, 31, v26
	v_alignbit_b32 v31, v28, v31, 9
	s_delay_alu instid0(VALU_DEP_3) | instskip(NEXT) | instid1(VALU_DEP_2)
	v_clz_i32_u32_e32 v32, v29
	v_or_b32_e32 v31, v31, v26
	v_or_b32_e32 v26, 0x33800000, v26
	s_delay_alu instid0(VALU_DEP_3) | instskip(NEXT) | instid1(VALU_DEP_3)
	v_min_u32_e32 v32, 32, v32
	v_xor_b32_e32 v31, 1.0, v31
	s_delay_alu instid0(VALU_DEP_2) | instskip(SKIP_1) | instid1(VALU_DEP_3)
	v_sub_nc_u32_e32 v33, 31, v32
	v_add_lshl_u32 v28, v32, v28, 23
	v_mul_f32_e32 v32, 0x3fc90fda, v31
	s_delay_alu instid0(VALU_DEP_3) | instskip(NEXT) | instid1(VALU_DEP_3)
	v_alignbit_b32 v24, v29, v24, v33
	v_sub_nc_u32_e32 v26, v26, v28
	s_delay_alu instid0(VALU_DEP_3) | instskip(NEXT) | instid1(VALU_DEP_3)
	v_fma_f32 v28, 0x3fc90fda, v31, -v32
	v_lshrrev_b32_e32 v24, 9, v24
	s_delay_alu instid0(VALU_DEP_2) | instskip(NEXT) | instid1(VALU_DEP_2)
	v_fmac_f32_e32 v28, 0x33a22168, v31
	v_or_b32_e32 v24, v26, v24
	v_add_nc_u32_e32 v26, v30, v1
	s_delay_alu instid0(VALU_DEP_2) | instskip(NEXT) | instid1(VALU_DEP_1)
	v_fmac_f32_e32 v28, 0x3fc90fda, v24
	v_add_f32_e32 v24, v32, v28
	s_and_not1_saveexec_b32 s6, s34
	s_branch .LBB163_62
.LBB163_61:                             ;   in Loop: Header=BB163_4 Depth=1
	s_and_not1_saveexec_b32 s6, s34
.LBB163_62:                             ;   in Loop: Header=BB163_4 Depth=1
	v_mul_f32_e64 v1, 0x3f22f983, |v12|
	s_delay_alu instid0(VALU_DEP_1) | instskip(NEXT) | instid1(VALU_DEP_1)
	v_rndne_f32_e32 v1, v1
	v_fma_f32 v24, 0xbfc90fda, v1, |v12|
	v_cvt_i32_f32_e32 v26, v1
	s_delay_alu instid0(VALU_DEP_2) | instskip(NEXT) | instid1(VALU_DEP_1)
	v_fmac_f32_e32 v24, 0xb3a22168, v1
	v_fmac_f32_e32 v24, 0xa7c234c4, v1
; %bb.63:                               ;   in Loop: Header=BB163_4 Depth=1
	s_or_b32 exec_lo, exec_lo, s6
                                        ; implicit-def: $vgpr28
                                        ; implicit-def: $vgpr1
	s_and_saveexec_b32 s6, s33
	s_delay_alu instid0(SALU_CYCLE_1)
	s_xor_b32 s33, exec_lo, s6
	s_cbranch_execz .LBB163_65
; %bb.64:                               ;   in Loop: Header=BB163_4 Depth=1
	v_mad_u64_u32 v[28:29], null, 0xfe5163ab, v25, 0
	v_cmp_lt_u32_e32 vcc_lo, 63, v27
	v_cndmask_b32_e64 v34, 0, 0xffffffc0, vcc_lo
	s_delay_alu instid0(VALU_DEP_3) | instskip(NEXT) | instid1(VALU_DEP_2)
	v_mov_b32_e32 v1, v29
	v_add_nc_u32_e32 v27, v34, v27
	s_delay_alu instid0(VALU_DEP_2) | instskip(NEXT) | instid1(VALU_DEP_2)
	v_mad_u64_u32 v[29:30], null, 0x3c439041, v25, v[1:2]
	v_cmp_lt_u32_e64 s6, 31, v27
	s_delay_alu instid0(VALU_DEP_2) | instskip(NEXT) | instid1(VALU_DEP_2)
	v_mov_b32_e32 v1, v30
	v_cndmask_b32_e64 v35, 0, 0xffffffe0, s6
	s_delay_alu instid0(VALU_DEP_2) | instskip(NEXT) | instid1(VALU_DEP_2)
	v_mad_u64_u32 v[30:31], null, 0xdb629599, v25, v[1:2]
	v_add_nc_u32_e32 v27, v35, v27
	s_delay_alu instid0(VALU_DEP_1) | instskip(NEXT) | instid1(VALU_DEP_3)
	v_cmp_lt_u32_e64 s7, 31, v27
	v_dual_mov_b32 v1, v31 :: v_dual_cndmask_b32 v28, v30, v28
	s_delay_alu instid0(VALU_DEP_1) | instskip(NEXT) | instid1(VALU_DEP_1)
	v_mad_u64_u32 v[31:32], null, 0xf534ddc0, v25, v[1:2]
	v_mov_b32_e32 v1, v32
	s_delay_alu instid0(VALU_DEP_1) | instskip(NEXT) | instid1(VALU_DEP_1)
	v_mad_u64_u32 v[32:33], null, 0xfc2757d1, v25, v[1:2]
	v_mov_b32_e32 v1, v33
	;; [unrolled: 3-line block ×3, first 2 shown]
	s_delay_alu instid0(VALU_DEP_1) | instskip(SKIP_1) | instid1(VALU_DEP_4)
	v_mad_u64_u32 v[34:35], null, 0xa2f9836e, v25, v[1:2]
	v_cndmask_b32_e64 v1, 0, 0xffffffe0, s7
	v_cndmask_b32_e32 v25, v33, v31, vcc_lo
	s_delay_alu instid0(VALU_DEP_2) | instskip(NEXT) | instid1(VALU_DEP_4)
	v_dual_cndmask_b32 v34, v34, v32 :: v_dual_add_nc_u32 v1, v1, v27
	v_dual_cndmask_b32 v33, v35, v33 :: v_dual_cndmask_b32 v32, v32, v30
	v_cndmask_b32_e32 v27, v31, v29, vcc_lo
	s_delay_alu instid0(VALU_DEP_3) | instskip(NEXT) | instid1(VALU_DEP_4)
	v_cmp_eq_u32_e64 s8, 0, v1
	v_cndmask_b32_e64 v29, v34, v25, s6
	s_delay_alu instid0(VALU_DEP_4)
	v_cndmask_b32_e64 v31, v33, v34, s6
	v_cndmask_b32_e64 v25, v25, v32, s6
	v_sub_nc_u32_e32 v33, 32, v1
	v_cndmask_b32_e64 v32, v32, v27, s6
	v_cndmask_b32_e64 v27, v27, v28, s6
	;; [unrolled: 1-line block ×4, first 2 shown]
	s_delay_alu instid0(VALU_DEP_4) | instskip(NEXT) | instid1(VALU_DEP_4)
	v_cndmask_b32_e64 v25, v25, v32, s7
	v_cndmask_b32_e64 v27, v32, v27, s7
	s_delay_alu instid0(VALU_DEP_3) | instskip(NEXT) | instid1(VALU_DEP_3)
	v_alignbit_b32 v34, v31, v29, v33
	v_alignbit_b32 v35, v29, v25, v33
	s_delay_alu instid0(VALU_DEP_3) | instskip(NEXT) | instid1(VALU_DEP_3)
	v_alignbit_b32 v33, v25, v27, v33
	v_cndmask_b32_e64 v1, v34, v31, s8
	s_delay_alu instid0(VALU_DEP_3) | instskip(NEXT) | instid1(VALU_DEP_3)
	v_cndmask_b32_e64 v29, v35, v29, s8
	v_cndmask_b32_e64 v25, v33, v25, s8
	s_delay_alu instid0(VALU_DEP_3) | instskip(NEXT) | instid1(VALU_DEP_3)
	v_bfe_u32 v30, v1, 29, 1
	v_alignbit_b32 v28, v1, v29, 30
	s_delay_alu instid0(VALU_DEP_3) | instskip(SKIP_1) | instid1(VALU_DEP_4)
	v_alignbit_b32 v29, v29, v25, 30
	v_alignbit_b32 v25, v25, v27, 30
	v_sub_nc_u32_e32 v31, 0, v30
	s_delay_alu instid0(VALU_DEP_1) | instskip(SKIP_3) | instid1(VALU_DEP_4)
	v_xor_b32_e32 v32, v28, v31
	v_cmp_ne_u32_e32 vcc_lo, v28, v31
	v_xor_b32_e32 v27, v29, v31
	v_xor_b32_e32 v25, v25, v31
	v_clz_i32_u32_e32 v34, v32
	s_delay_alu instid0(VALU_DEP_1) | instskip(NEXT) | instid1(VALU_DEP_1)
	v_add_nc_u32_e32 v33, 1, v34
	v_cndmask_b32_e32 v28, 33, v33, vcc_lo
	s_delay_alu instid0(VALU_DEP_1) | instskip(NEXT) | instid1(VALU_DEP_1)
	v_sub_nc_u32_e32 v29, 32, v28
	v_alignbit_b32 v31, v32, v27, v29
	v_alignbit_b32 v25, v27, v25, v29
	v_lshrrev_b32_e32 v27, 29, v1
	s_delay_alu instid0(VALU_DEP_2) | instskip(NEXT) | instid1(VALU_DEP_2)
	v_alignbit_b32 v29, v31, v25, 9
	v_lshlrev_b32_e32 v27, 31, v27
	v_alignbit_b32 v31, v28, v31, 9
	s_delay_alu instid0(VALU_DEP_3) | instskip(NEXT) | instid1(VALU_DEP_2)
	v_clz_i32_u32_e32 v32, v29
	v_or_b32_e32 v31, v31, v27
	v_or_b32_e32 v27, 0x33800000, v27
	s_delay_alu instid0(VALU_DEP_3) | instskip(NEXT) | instid1(VALU_DEP_3)
	v_min_u32_e32 v32, 32, v32
	v_xor_b32_e32 v31, 1.0, v31
	s_delay_alu instid0(VALU_DEP_2) | instskip(SKIP_1) | instid1(VALU_DEP_3)
	v_sub_nc_u32_e32 v33, 31, v32
	v_add_lshl_u32 v28, v32, v28, 23
	v_mul_f32_e32 v32, 0x3fc90fda, v31
	s_delay_alu instid0(VALU_DEP_3) | instskip(NEXT) | instid1(VALU_DEP_3)
	v_alignbit_b32 v25, v29, v25, v33
	v_sub_nc_u32_e32 v27, v27, v28
	s_delay_alu instid0(VALU_DEP_3) | instskip(NEXT) | instid1(VALU_DEP_3)
	v_fma_f32 v28, 0x3fc90fda, v31, -v32
	v_lshrrev_b32_e32 v25, 9, v25
	s_delay_alu instid0(VALU_DEP_2) | instskip(NEXT) | instid1(VALU_DEP_2)
	v_fmac_f32_e32 v28, 0x33a22168, v31
	v_or_b32_e32 v25, v27, v25
	s_delay_alu instid0(VALU_DEP_1) | instskip(SKIP_1) | instid1(VALU_DEP_1)
	v_fmac_f32_e32 v28, 0x3fc90fda, v25
	v_lshrrev_b32_e32 v25, 30, v1
	v_dual_add_f32 v1, v32, v28 :: v_dual_add_nc_u32 v28, v30, v25
	s_and_not1_saveexec_b32 s6, s33
	s_cbranch_execnz .LBB163_66
	s_branch .LBB163_67
.LBB163_65:                             ;   in Loop: Header=BB163_4 Depth=1
	s_and_not1_saveexec_b32 s6, s33
.LBB163_66:                             ;   in Loop: Header=BB163_4 Depth=1
	v_mul_f32_e64 v1, 0x3f22f983, |v12|
	s_delay_alu instid0(VALU_DEP_1) | instskip(NEXT) | instid1(VALU_DEP_1)
	v_rndne_f32_e32 v25, v1
	v_fma_f32 v1, 0xbfc90fda, v25, |v12|
	v_cvt_i32_f32_e32 v28, v25
	s_delay_alu instid0(VALU_DEP_2) | instskip(NEXT) | instid1(VALU_DEP_1)
	v_fmac_f32_e32 v1, 0xb3a22168, v25
	v_fmac_f32_e32 v1, 0xa7c234c4, v25
.LBB163_67:                             ;   in Loop: Header=BB163_4 Depth=1
	s_or_b32 exec_lo, exec_lo, s6
	v_mul_f32_e32 v25, v24, v24
	s_delay_alu instid0(VALU_DEP_2) | instskip(SKIP_2) | instid1(VALU_DEP_4)
	v_dual_mul_f32 v32, v1, v1 :: v_dual_and_b32 v27, 1, v26
	v_lshlrev_b32_e32 v26, 30, v26
	v_mul_f32_e64 v29, 0xbfb8aa3b, |v11|
	v_fmaak_f32 v30, s27, v25, 0x3c0881c4
	s_delay_alu instid0(VALU_DEP_4)
	v_cmp_eq_u32_e32 vcc_lo, 0, v27
	v_and_b32_e32 v27, 1, v28
	v_fmaak_f32 v35, s27, v32, 0x3c0881c4
	v_rndne_f32_e32 v33, v29
	v_fmaak_f32 v30, v25, v30, 0xbe2aaa9d
	v_fma_f32 v34, 0xbfb8aa3b, |v11|, -v29
	v_fmaak_f32 v36, s28, v32, 0xbab64f3b
	v_fmaak_f32 v35, v32, v35, 0xbe2aaa9d
	s_delay_alu instid0(VALU_DEP_4) | instskip(SKIP_3) | instid1(VALU_DEP_4)
	v_dual_fmaak_f32 v31, s28, v25, 0xbab64f3b :: v_dual_mul_f32 v30, v25, v30
	v_sub_f32_e32 v29, v29, v33
	v_fma_f32 v34, 0xb2a5705f, |v11|, v34
	v_and_b32_e32 v26, 0x80000000, v26
	v_dual_fmaak_f32 v31, v25, v31, 0x3d2aabf7 :: v_dual_fmac_f32 v24, v24, v30
	s_delay_alu instid0(VALU_DEP_3) | instskip(NEXT) | instid1(VALU_DEP_2)
	v_dual_fmaak_f32 v30, v32, v36, 0x3d2aabf7 :: v_dual_add_f32 v29, v29, v34
	v_dual_fmaak_f32 v31, v25, v31, 0xbf000004 :: v_dual_lshlrev_b32 v28, 30, v28
	s_delay_alu instid0(VALU_DEP_2) | instskip(NEXT) | instid1(VALU_DEP_1)
	v_exp_f32_e32 v29, v29
	v_fma_f32 v25, v25, v31, 1.0
	v_mul_f32_e32 v31, v32, v35
	v_xor_b32_e32 v23, v23, v26
	v_cvt_i32_f32_e32 v26, v33
	s_delay_alu instid0(VALU_DEP_4) | instskip(NEXT) | instid1(VALU_DEP_4)
	v_dual_cndmask_b32 v24, v25, v24 :: v_dual_fmaak_f32 v25, v32, v30, 0xbf000004
	v_fmac_f32_e32 v1, v1, v31
	v_cmp_eq_u32_e32 vcc_lo, 0, v27
	s_delay_alu instid0(VALU_DEP_3) | instskip(SKIP_3) | instid1(VALU_DEP_2)
	v_xor3_b32 v12, v23, v24, v12
	v_and_b32_e32 v24, 0x80000000, v28
	v_fma_f32 v25, v32, v25, 1.0
	v_ldexp_f32 v23, v29, v26
	v_cndmask_b32_e64 v1, -v1, v25, vcc_lo
	v_cmp_nlt_f32_e64 vcc_lo, 0x42ce8ed0, |v11|
	v_mul_f32_e32 v12, 4.0, v12
	s_delay_alu instid0(VALU_DEP_3) | instskip(SKIP_3) | instid1(VALU_DEP_4)
	v_xor_b32_e32 v1, v24, v1
	v_cndmask_b32_e32 v23, 0, v23, vcc_lo
	v_cmp_ngt_f32_e64 vcc_lo, 0xc2b17218, |v11|
	v_bfi_b32 v11, 0x7fffffff, 1.0, v11
	v_mul_f32_e32 v1, v12, v1
	s_delay_alu instid0(VALU_DEP_4) | instskip(NEXT) | instid1(VALU_DEP_1)
	v_cndmask_b32_e32 v23, 0x7f800000, v23, vcc_lo
	v_mul_f32_e32 v1, v23, v1
	s_delay_alu instid0(VALU_DEP_1)
	v_mul_f32_e32 v12, v23, v1
.LBB163_68:                             ;   in Loop: Header=BB163_4 Depth=1
	s_or_b32 exec_lo, exec_lo, s31
.LBB163_69:                             ;   in Loop: Header=BB163_4 Depth=1
	s_and_not1_saveexec_b32 s6, s30
; %bb.70:                               ;   in Loop: Header=BB163_4 Depth=1
	s_delay_alu instid0(VALU_DEP_1) | instskip(NEXT) | instid1(VALU_DEP_1)
	v_sub_f32_e32 v12, v12, v12
	v_mov_b32_e32 v11, v12
; %bb.71:                               ;   in Loop: Header=BB163_4 Depth=1
	s_or_b32 exec_lo, exec_lo, s6
.LBB163_72:                             ;   in Loop: Header=BB163_4 Depth=1
	s_and_not1_saveexec_b32 s29, s29
	s_cbranch_execz .LBB163_88
; %bb.73:                               ;   in Loop: Header=BB163_4 Depth=1
	s_delay_alu instid0(VALU_DEP_1) | instskip(SKIP_1) | instid1(VALU_DEP_1)
	v_and_b32_e32 v1, 0x7fffff, v11
	s_mov_b32 s6, exec_lo
	v_cmpx_ne_u32_e32 0, v1
	s_xor_b32 s6, exec_lo, s6
; %bb.74:                               ;   in Loop: Header=BB163_4 Depth=1
	v_mul_f32_e32 v1, v12, v11
	v_cmp_eq_f32_e32 vcc_lo, 0, v12
	s_delay_alu instid0(VALU_DEP_2)
	v_cndmask_b32_e32 v12, v1, v12, vcc_lo
; %bb.75:                               ;   in Loop: Header=BB163_4 Depth=1
	s_and_not1_saveexec_b32 s30, s6
	s_cbranch_execz .LBB163_87
; %bb.76:                               ;   in Loop: Header=BB163_4 Depth=1
	s_mov_b32 s31, exec_lo
	s_delay_alu instid0(VALU_DEP_1)
	v_cmpx_neq_f32_e64 0x7f800000, |v12|
	s_cbranch_execz .LBB163_86
; %bb.77:                               ;   in Loop: Header=BB163_4 Depth=1
	v_and_b32_e32 v23, 0x7fffffff, v12
	v_cmp_ngt_f32_e64 s33, 0x48000000, |v12|
                                        ; implicit-def: $vgpr25
                                        ; implicit-def: $vgpr24
	s_delay_alu instid0(VALU_DEP_2) | instskip(SKIP_1) | instid1(VALU_DEP_2)
	v_lshrrev_b32_e32 v1, 23, v23
	v_and_or_b32 v26, v23, s23, 0x800000
	v_add_nc_u32_e32 v27, 0xffffff88, v1
	s_delay_alu instid0(VALU_DEP_4) | instskip(NEXT) | instid1(SALU_CYCLE_1)
	s_and_saveexec_b32 s6, s33
	s_xor_b32 s34, exec_lo, s6
	s_cbranch_execz .LBB163_79
; %bb.78:                               ;   in Loop: Header=BB163_4 Depth=1
	v_mad_u64_u32 v[24:25], null, 0xfe5163ab, v26, 0
	v_cmp_lt_u32_e32 vcc_lo, 63, v27
	s_delay_alu instid0(VALU_DEP_2) | instskip(SKIP_1) | instid1(VALU_DEP_2)
	v_mov_b32_e32 v1, v25
	v_cndmask_b32_e64 v25, 0, 0xffffffc0, vcc_lo
	v_mad_u64_u32 v[28:29], null, 0x3c439041, v26, v[1:2]
	s_delay_alu instid0(VALU_DEP_2) | instskip(NEXT) | instid1(VALU_DEP_1)
	v_add_nc_u32_e32 v25, v25, v27
	v_cmp_lt_u32_e64 s6, 31, v25
	s_delay_alu instid0(VALU_DEP_3) | instskip(NEXT) | instid1(VALU_DEP_2)
	v_mov_b32_e32 v1, v29
	v_cndmask_b32_e64 v34, 0, 0xffffffe0, s6
	s_delay_alu instid0(VALU_DEP_2) | instskip(NEXT) | instid1(VALU_DEP_2)
	v_mad_u64_u32 v[29:30], null, 0xdb629599, v26, v[1:2]
	v_add_nc_u32_e32 v25, v34, v25
	s_delay_alu instid0(VALU_DEP_2) | instskip(NEXT) | instid1(VALU_DEP_2)
	v_dual_mov_b32 v1, v30 :: v_dual_cndmask_b32 v24, v29, v24
	v_cmp_lt_u32_e64 s7, 31, v25
	s_delay_alu instid0(VALU_DEP_2) | instskip(NEXT) | instid1(VALU_DEP_1)
	v_mad_u64_u32 v[30:31], null, 0xf534ddc0, v26, v[1:2]
	v_mov_b32_e32 v1, v31
	s_delay_alu instid0(VALU_DEP_1) | instskip(NEXT) | instid1(VALU_DEP_1)
	v_mad_u64_u32 v[31:32], null, 0xfc2757d1, v26, v[1:2]
	v_mov_b32_e32 v1, v32
	s_delay_alu instid0(VALU_DEP_1) | instskip(NEXT) | instid1(VALU_DEP_1)
	v_mad_u64_u32 v[32:33], null, 0x4e441529, v26, v[1:2]
	v_mov_b32_e32 v1, v33
	s_delay_alu instid0(VALU_DEP_2) | instskip(NEXT) | instid1(VALU_DEP_2)
	v_cndmask_b32_e32 v35, v32, v30, vcc_lo
	v_mad_u64_u32 v[33:34], null, 0xa2f9836e, v26, v[1:2]
	v_cndmask_b32_e64 v1, 0, 0xffffffe0, s7
	s_delay_alu instid0(VALU_DEP_1) | instskip(NEXT) | instid1(VALU_DEP_3)
	v_add_nc_u32_e32 v1, v1, v25
	v_dual_cndmask_b32 v33, v33, v31 :: v_dual_cndmask_b32 v32, v34, v32
	v_cndmask_b32_e32 v31, v31, v29, vcc_lo
	v_cndmask_b32_e32 v25, v30, v28, vcc_lo
	s_delay_alu instid0(VALU_DEP_4) | instskip(NEXT) | instid1(VALU_DEP_4)
	v_cmp_eq_u32_e64 s8, 0, v1
	v_cndmask_b32_e64 v28, v33, v35, s6
	v_cndmask_b32_e64 v30, v32, v33, s6
	;; [unrolled: 1-line block ×3, first 2 shown]
	v_sub_nc_u32_e32 v33, 32, v1
	v_cndmask_b32_e64 v31, v31, v25, s6
	v_cndmask_b32_e64 v24, v25, v24, s6
	;; [unrolled: 1-line block ×4, first 2 shown]
	s_delay_alu instid0(VALU_DEP_4) | instskip(NEXT) | instid1(VALU_DEP_4)
	v_cndmask_b32_e64 v32, v32, v31, s7
	v_cndmask_b32_e64 v24, v31, v24, s7
	s_delay_alu instid0(VALU_DEP_3) | instskip(NEXT) | instid1(VALU_DEP_3)
	v_alignbit_b32 v34, v30, v28, v33
	v_alignbit_b32 v35, v28, v32, v33
	s_delay_alu instid0(VALU_DEP_3) | instskip(NEXT) | instid1(VALU_DEP_3)
	v_alignbit_b32 v33, v32, v24, v33
	v_cndmask_b32_e64 v1, v34, v30, s8
	s_delay_alu instid0(VALU_DEP_3) | instskip(NEXT) | instid1(VALU_DEP_3)
	v_cndmask_b32_e64 v28, v35, v28, s8
	v_cndmask_b32_e64 v32, v33, v32, s8
	s_delay_alu instid0(VALU_DEP_3) | instskip(NEXT) | instid1(VALU_DEP_3)
	v_bfe_u32 v29, v1, 29, 1
	v_alignbit_b32 v25, v1, v28, 30
	s_delay_alu instid0(VALU_DEP_3) | instskip(SKIP_1) | instid1(VALU_DEP_4)
	v_alignbit_b32 v28, v28, v32, 30
	v_alignbit_b32 v24, v32, v24, 30
	v_sub_nc_u32_e32 v30, 0, v29
	s_delay_alu instid0(VALU_DEP_1) | instskip(SKIP_3) | instid1(VALU_DEP_4)
	v_xor_b32_e32 v31, v25, v30
	v_cmp_ne_u32_e32 vcc_lo, v25, v30
	v_xor_b32_e32 v28, v28, v30
	v_xor_b32_e32 v24, v24, v30
	v_clz_i32_u32_e32 v34, v31
	s_delay_alu instid0(VALU_DEP_1) | instskip(NEXT) | instid1(VALU_DEP_1)
	v_add_nc_u32_e32 v33, 1, v34
	v_cndmask_b32_e32 v25, 33, v33, vcc_lo
	s_delay_alu instid0(VALU_DEP_1) | instskip(NEXT) | instid1(VALU_DEP_1)
	v_sub_nc_u32_e32 v32, 32, v25
	v_alignbit_b32 v30, v31, v28, v32
	v_alignbit_b32 v24, v28, v24, v32
	v_lshrrev_b32_e32 v28, 29, v1
	v_lshrrev_b32_e32 v1, 30, v1
	s_delay_alu instid0(VALU_DEP_3) | instskip(NEXT) | instid1(VALU_DEP_3)
	v_alignbit_b32 v31, v30, v24, 9
	v_lshlrev_b32_e32 v28, 31, v28
	v_alignbit_b32 v30, v25, v30, 9
	s_delay_alu instid0(VALU_DEP_3) | instskip(NEXT) | instid1(VALU_DEP_2)
	v_clz_i32_u32_e32 v32, v31
	v_or_b32_e32 v30, v30, v28
	v_or_b32_e32 v28, 0x33800000, v28
	s_delay_alu instid0(VALU_DEP_3) | instskip(NEXT) | instid1(VALU_DEP_3)
	v_min_u32_e32 v32, 32, v32
	v_xor_b32_e32 v30, 1.0, v30
	s_delay_alu instid0(VALU_DEP_2) | instskip(SKIP_1) | instid1(VALU_DEP_3)
	v_sub_nc_u32_e32 v33, 31, v32
	v_add_lshl_u32 v25, v32, v25, 23
	v_mul_f32_e32 v32, 0x3fc90fda, v30
	s_delay_alu instid0(VALU_DEP_3) | instskip(NEXT) | instid1(VALU_DEP_3)
	v_alignbit_b32 v24, v31, v24, v33
	v_sub_nc_u32_e32 v25, v28, v25
	s_delay_alu instid0(VALU_DEP_3) | instskip(NEXT) | instid1(VALU_DEP_3)
	v_fma_f32 v28, 0x3fc90fda, v30, -v32
	v_lshrrev_b32_e32 v24, 9, v24
	s_delay_alu instid0(VALU_DEP_2) | instskip(NEXT) | instid1(VALU_DEP_2)
	v_fmac_f32_e32 v28, 0x33a22168, v30
	v_or_b32_e32 v24, v25, v24
	s_delay_alu instid0(VALU_DEP_1) | instskip(NEXT) | instid1(VALU_DEP_1)
	v_dual_fmac_f32 v28, 0x3fc90fda, v24 :: v_dual_add_nc_u32 v25, v29, v1
	v_add_f32_e32 v24, v32, v28
.LBB163_79:                             ;   in Loop: Header=BB163_4 Depth=1
	s_or_saveexec_b32 s6, s34
	v_mul_f32_e64 v1, 0x3f22f983, |v12|
	s_delay_alu instid0(VALU_DEP_1)
	v_rndne_f32_e32 v29, v1
	s_xor_b32 exec_lo, exec_lo, s6
; %bb.80:                               ;   in Loop: Header=BB163_4 Depth=1
	s_delay_alu instid0(VALU_DEP_1) | instskip(SKIP_1) | instid1(VALU_DEP_2)
	v_fma_f32 v24, 0xbfc90fda, v29, |v12|
	v_cvt_i32_f32_e32 v25, v29
	v_fmac_f32_e32 v24, 0xb3a22168, v29
	s_delay_alu instid0(VALU_DEP_1)
	v_fmac_f32_e32 v24, 0xa7c234c4, v29
; %bb.81:                               ;   in Loop: Header=BB163_4 Depth=1
	s_or_b32 exec_lo, exec_lo, s6
                                        ; implicit-def: $vgpr28
                                        ; implicit-def: $vgpr1
	s_and_saveexec_b32 s6, s33
	s_delay_alu instid0(SALU_CYCLE_1)
	s_xor_b32 s33, exec_lo, s6
	s_cbranch_execz .LBB163_83
; %bb.82:                               ;   in Loop: Header=BB163_4 Depth=1
	v_mad_u64_u32 v[28:29], null, 0xfe5163ab, v26, 0
	v_cmp_lt_u32_e32 vcc_lo, 63, v27
	v_cndmask_b32_e64 v34, 0, 0xffffffc0, vcc_lo
	s_delay_alu instid0(VALU_DEP_3) | instskip(NEXT) | instid1(VALU_DEP_2)
	v_mov_b32_e32 v1, v29
	v_add_nc_u32_e32 v27, v34, v27
	s_delay_alu instid0(VALU_DEP_2) | instskip(NEXT) | instid1(VALU_DEP_2)
	v_mad_u64_u32 v[29:30], null, 0x3c439041, v26, v[1:2]
	v_cmp_lt_u32_e64 s6, 31, v27
	s_delay_alu instid0(VALU_DEP_2) | instskip(NEXT) | instid1(VALU_DEP_2)
	v_mov_b32_e32 v1, v30
	v_cndmask_b32_e64 v35, 0, 0xffffffe0, s6
	s_delay_alu instid0(VALU_DEP_2) | instskip(NEXT) | instid1(VALU_DEP_2)
	v_mad_u64_u32 v[30:31], null, 0xdb629599, v26, v[1:2]
	v_add_nc_u32_e32 v27, v35, v27
	s_delay_alu instid0(VALU_DEP_1) | instskip(NEXT) | instid1(VALU_DEP_3)
	v_cmp_lt_u32_e64 s7, 31, v27
	v_dual_mov_b32 v1, v31 :: v_dual_cndmask_b32 v28, v30, v28
	s_delay_alu instid0(VALU_DEP_1) | instskip(NEXT) | instid1(VALU_DEP_1)
	v_mad_u64_u32 v[31:32], null, 0xf534ddc0, v26, v[1:2]
	v_mov_b32_e32 v1, v32
	s_delay_alu instid0(VALU_DEP_1) | instskip(NEXT) | instid1(VALU_DEP_1)
	v_mad_u64_u32 v[32:33], null, 0xfc2757d1, v26, v[1:2]
	v_mov_b32_e32 v1, v33
	;; [unrolled: 3-line block ×3, first 2 shown]
	s_delay_alu instid0(VALU_DEP_1) | instskip(SKIP_1) | instid1(VALU_DEP_4)
	v_mad_u64_u32 v[34:35], null, 0xa2f9836e, v26, v[1:2]
	v_cndmask_b32_e64 v1, 0, 0xffffffe0, s7
	v_cndmask_b32_e32 v26, v33, v31, vcc_lo
	s_delay_alu instid0(VALU_DEP_2) | instskip(NEXT) | instid1(VALU_DEP_4)
	v_dual_cndmask_b32 v34, v34, v32 :: v_dual_add_nc_u32 v1, v1, v27
	v_dual_cndmask_b32 v33, v35, v33 :: v_dual_cndmask_b32 v32, v32, v30
	v_cndmask_b32_e32 v27, v31, v29, vcc_lo
	s_delay_alu instid0(VALU_DEP_3) | instskip(NEXT) | instid1(VALU_DEP_4)
	v_cmp_eq_u32_e64 s8, 0, v1
	v_cndmask_b32_e64 v29, v34, v26, s6
	s_delay_alu instid0(VALU_DEP_4)
	v_cndmask_b32_e64 v31, v33, v34, s6
	v_cndmask_b32_e64 v26, v26, v32, s6
	v_sub_nc_u32_e32 v33, 32, v1
	v_cndmask_b32_e64 v32, v32, v27, s6
	v_cndmask_b32_e64 v27, v27, v28, s6
	;; [unrolled: 1-line block ×4, first 2 shown]
	s_delay_alu instid0(VALU_DEP_4) | instskip(NEXT) | instid1(VALU_DEP_4)
	v_cndmask_b32_e64 v26, v26, v32, s7
	v_cndmask_b32_e64 v27, v32, v27, s7
	s_delay_alu instid0(VALU_DEP_3) | instskip(NEXT) | instid1(VALU_DEP_3)
	v_alignbit_b32 v34, v31, v29, v33
	v_alignbit_b32 v35, v29, v26, v33
	s_delay_alu instid0(VALU_DEP_3) | instskip(NEXT) | instid1(VALU_DEP_3)
	v_alignbit_b32 v33, v26, v27, v33
	v_cndmask_b32_e64 v1, v34, v31, s8
	s_delay_alu instid0(VALU_DEP_3) | instskip(NEXT) | instid1(VALU_DEP_3)
	v_cndmask_b32_e64 v29, v35, v29, s8
	v_cndmask_b32_e64 v26, v33, v26, s8
	s_delay_alu instid0(VALU_DEP_3) | instskip(NEXT) | instid1(VALU_DEP_3)
	v_bfe_u32 v30, v1, 29, 1
	v_alignbit_b32 v28, v1, v29, 30
	s_delay_alu instid0(VALU_DEP_3) | instskip(SKIP_1) | instid1(VALU_DEP_4)
	v_alignbit_b32 v29, v29, v26, 30
	v_alignbit_b32 v26, v26, v27, 30
	v_sub_nc_u32_e32 v31, 0, v30
	s_delay_alu instid0(VALU_DEP_1) | instskip(SKIP_3) | instid1(VALU_DEP_4)
	v_xor_b32_e32 v32, v28, v31
	v_cmp_ne_u32_e32 vcc_lo, v28, v31
	v_xor_b32_e32 v27, v29, v31
	v_xor_b32_e32 v26, v26, v31
	v_clz_i32_u32_e32 v34, v32
	s_delay_alu instid0(VALU_DEP_1) | instskip(NEXT) | instid1(VALU_DEP_1)
	v_add_nc_u32_e32 v33, 1, v34
	v_cndmask_b32_e32 v28, 33, v33, vcc_lo
	s_delay_alu instid0(VALU_DEP_1) | instskip(NEXT) | instid1(VALU_DEP_1)
	v_sub_nc_u32_e32 v29, 32, v28
	v_alignbit_b32 v31, v32, v27, v29
	v_alignbit_b32 v26, v27, v26, v29
	v_lshrrev_b32_e32 v27, 29, v1
	s_delay_alu instid0(VALU_DEP_2) | instskip(NEXT) | instid1(VALU_DEP_2)
	v_alignbit_b32 v29, v31, v26, 9
	v_lshlrev_b32_e32 v27, 31, v27
	v_alignbit_b32 v31, v28, v31, 9
	s_delay_alu instid0(VALU_DEP_3) | instskip(NEXT) | instid1(VALU_DEP_2)
	v_clz_i32_u32_e32 v32, v29
	v_or_b32_e32 v31, v31, v27
	v_or_b32_e32 v27, 0x33800000, v27
	s_delay_alu instid0(VALU_DEP_3) | instskip(NEXT) | instid1(VALU_DEP_3)
	v_min_u32_e32 v32, 32, v32
	v_xor_b32_e32 v31, 1.0, v31
	s_delay_alu instid0(VALU_DEP_2) | instskip(SKIP_1) | instid1(VALU_DEP_3)
	v_sub_nc_u32_e32 v33, 31, v32
	v_add_lshl_u32 v28, v32, v28, 23
	v_mul_f32_e32 v32, 0x3fc90fda, v31
	s_delay_alu instid0(VALU_DEP_3) | instskip(NEXT) | instid1(VALU_DEP_3)
	v_alignbit_b32 v26, v29, v26, v33
	v_sub_nc_u32_e32 v27, v27, v28
	s_delay_alu instid0(VALU_DEP_3) | instskip(NEXT) | instid1(VALU_DEP_3)
	v_fma_f32 v28, 0x3fc90fda, v31, -v32
                                        ; implicit-def: $vgpr29
	v_lshrrev_b32_e32 v26, 9, v26
	s_delay_alu instid0(VALU_DEP_2) | instskip(NEXT) | instid1(VALU_DEP_2)
	v_fmac_f32_e32 v28, 0x33a22168, v31
	v_or_b32_e32 v26, v27, v26
	s_delay_alu instid0(VALU_DEP_1) | instskip(SKIP_1) | instid1(VALU_DEP_1)
	v_fmac_f32_e32 v28, 0x3fc90fda, v26
	v_lshrrev_b32_e32 v26, 30, v1
	v_dual_add_f32 v1, v32, v28 :: v_dual_add_nc_u32 v28, v30, v26
	s_and_not1_saveexec_b32 s6, s33
	s_cbranch_execnz .LBB163_84
	s_branch .LBB163_85
.LBB163_83:                             ;   in Loop: Header=BB163_4 Depth=1
	s_and_not1_saveexec_b32 s6, s33
.LBB163_84:                             ;   in Loop: Header=BB163_4 Depth=1
	v_fma_f32 v1, 0xbfc90fda, v29, |v12|
	v_cvt_i32_f32_e32 v28, v29
	s_delay_alu instid0(VALU_DEP_2) | instskip(NEXT) | instid1(VALU_DEP_1)
	v_fmac_f32_e32 v1, 0xb3a22168, v29
	v_fmac_f32_e32 v1, 0xa7c234c4, v29
.LBB163_85:                             ;   in Loop: Header=BB163_4 Depth=1
	s_or_b32 exec_lo, exec_lo, s6
	v_dual_mul_f32 v26, v24, v24 :: v_dual_and_b32 v27, 1, v25
	s_delay_alu instid0(VALU_DEP_2) | instskip(SKIP_1) | instid1(VALU_DEP_3)
	v_dual_mul_f32 v29, v1, v1 :: v_dual_and_b32 v32, 1, v28
	v_lshlrev_b32_e32 v28, 30, v28
	v_fmaak_f32 v30, s27, v26, 0x3c0881c4
	v_fmaak_f32 v31, s28, v26, 0xbab64f3b
	v_lshlrev_b32_e32 v25, 30, v25
	v_fmaak_f32 v33, s27, v29, 0x3c0881c4
	v_fmaak_f32 v34, s28, v29, 0xbab64f3b
	;; [unrolled: 1-line block ×4, first 2 shown]
	v_cmp_eq_u32_e32 vcc_lo, 0, v27
	v_fmaak_f32 v33, v29, v33, 0xbe2aaa9d
	v_fmaak_f32 v34, v29, v34, 0x3d2aabf7
	v_mul_f32_e32 v30, v26, v30
	v_fmaak_f32 v31, v26, v31, 0xbf000004
	v_and_b32_e32 v25, 0x80000000, v25
	s_delay_alu instid0(VALU_DEP_4) | instskip(NEXT) | instid1(VALU_DEP_4)
	v_fmaak_f32 v34, v29, v34, 0xbf000004
	v_fmac_f32_e32 v24, v24, v30
	s_delay_alu instid0(VALU_DEP_4) | instskip(SKIP_3) | instid1(VALU_DEP_3)
	v_fma_f32 v26, v26, v31, 1.0
	v_mul_f32_e32 v33, v29, v33
	v_xor_b32_e32 v23, v23, v25
	v_fma_f32 v25, v29, v34, 1.0
	v_dual_cndmask_b32 v24, v26, v24 :: v_dual_fmac_f32 v1, v1, v33
	v_and_b32_e32 v26, 0x80000000, v28
	v_cmp_eq_u32_e32 vcc_lo, 0, v32
	s_delay_alu instid0(VALU_DEP_3) | instskip(NEXT) | instid1(VALU_DEP_4)
	v_xor3_b32 v23, v23, v24, v12
	v_cndmask_b32_e64 v1, -v1, v25, vcc_lo
	v_cmp_class_f32_e64 vcc_lo, v12, 0x1f8
	s_delay_alu instid0(VALU_DEP_2) | instskip(NEXT) | instid1(VALU_DEP_1)
	v_xor_b32_e32 v1, v26, v1
	v_mul_f32_e32 v1, v23, v1
	s_delay_alu instid0(VALU_DEP_1)
	v_cndmask_b32_e32 v12, 0x7fc00000, v1, vcc_lo
.LBB163_86:                             ;   in Loop: Header=BB163_4 Depth=1
	s_or_b32 exec_lo, exec_lo, s31
	v_add_nc_u32_e32 v11, -2.0, v11
	s_delay_alu instid0(VALU_DEP_2)
	v_bfi_b32 v12, 0x7fffffff, 0, v12
.LBB163_87:                             ;   in Loop: Header=BB163_4 Depth=1
	s_or_b32 exec_lo, exec_lo, s30
.LBB163_88:                             ;   in Loop: Header=BB163_4 Depth=1
	s_delay_alu instid0(SALU_CYCLE_1) | instskip(SKIP_2) | instid1(VALU_DEP_1)
	s_or_b32 exec_lo, exec_lo, s29
	v_and_b32_e32 v1, 0x7fffffff, v7
	s_mov_b32 s6, exec_lo
	v_cmpx_gt_u32_e32 0x7f800000, v1
	s_xor_b32 s29, exec_lo, s6
	s_cbranch_execz .LBB163_110
; %bb.89:                               ;   in Loop: Header=BB163_4 Depth=1
	v_cmp_class_f32_e64 s6, v8, 0x1f8
	s_delay_alu instid0(VALU_DEP_1) | instskip(NEXT) | instid1(SALU_CYCLE_1)
	s_and_saveexec_b32 s7, s6
	s_xor_b32 s30, exec_lo, s7
	s_cbranch_execz .LBB163_107
; %bb.90:                               ;   in Loop: Header=BB163_4 Depth=1
	v_and_b32_e32 v23, 0x7fffffff, v8
	s_mov_b32 s6, exec_lo
	v_cmpx_gt_u32_e32 0x41300000, v1
	s_xor_b32 s31, exec_lo, s6
	s_cbranch_execz .LBB163_96
; %bb.91:                               ;   in Loop: Header=BB163_4 Depth=1
                                        ; implicit-def: $vgpr1
                                        ; implicit-def: $vgpr24
	s_mov_b32 s7, exec_lo
	v_cmpx_ngt_f32_e64 0x48000000, |v8|
	s_xor_b32 s33, exec_lo, s7
	s_cbranch_execz .LBB163_93
; %bb.92:                               ;   in Loop: Header=BB163_4 Depth=1
	v_and_or_b32 v32, v23, s23, 0x800000
	v_lshrrev_b32_e32 v29, 23, v23
	s_delay_alu instid0(VALU_DEP_2) | instskip(NEXT) | instid1(VALU_DEP_2)
	v_mad_u64_u32 v[24:25], null, 0xfe5163ab, v32, 0
	v_add_nc_u32_e32 v30, 0xffffff88, v29
	s_delay_alu instid0(VALU_DEP_1) | instskip(NEXT) | instid1(VALU_DEP_3)
	v_cmp_lt_u32_e32 vcc_lo, 63, v30
	v_mov_b32_e32 v1, v25
	v_cndmask_b32_e64 v31, 0, 0xffffffc0, vcc_lo
	s_delay_alu instid0(VALU_DEP_2) | instskip(NEXT) | instid1(VALU_DEP_2)
	v_mad_u64_u32 v[25:26], null, 0x3c439041, v32, v[1:2]
	v_add_nc_u32_e32 v31, v31, v30
	s_delay_alu instid0(VALU_DEP_2) | instskip(NEXT) | instid1(VALU_DEP_2)
	v_mov_b32_e32 v1, v26
	v_cmp_lt_u32_e64 s6, 31, v31
	s_delay_alu instid0(VALU_DEP_2) | instskip(NEXT) | instid1(VALU_DEP_2)
	v_mad_u64_u32 v[26:27], null, 0xdb629599, v32, v[1:2]
	v_cndmask_b32_e64 v33, 0, 0xffffffe0, s6
	s_delay_alu instid0(VALU_DEP_1) | instskip(NEXT) | instid1(VALU_DEP_3)
	v_add_nc_u32_e32 v33, v33, v31
	v_dual_mov_b32 v1, v27 :: v_dual_cndmask_b32 v24, v26, v24
	s_delay_alu instid0(VALU_DEP_2) | instskip(NEXT) | instid1(VALU_DEP_2)
	v_cmp_lt_u32_e64 s7, 31, v33
	v_mad_u64_u32 v[27:28], null, 0xf534ddc0, v32, v[1:2]
	s_delay_alu instid0(VALU_DEP_1) | instskip(NEXT) | instid1(VALU_DEP_2)
	v_mov_b32_e32 v1, v28
	v_cndmask_b32_e32 v25, v27, v25, vcc_lo
	s_delay_alu instid0(VALU_DEP_2) | instskip(NEXT) | instid1(VALU_DEP_2)
	v_mad_u64_u32 v[28:29], null, 0xfc2757d1, v32, v[1:2]
	v_cndmask_b32_e64 v24, v25, v24, s6
	s_delay_alu instid0(VALU_DEP_2) | instskip(NEXT) | instid1(VALU_DEP_1)
	v_mov_b32_e32 v1, v29
	v_mad_u64_u32 v[29:30], null, 0x4e441529, v32, v[1:2]
	s_delay_alu instid0(VALU_DEP_1) | instskip(NEXT) | instid1(VALU_DEP_1)
	v_mov_b32_e32 v1, v30
	v_mad_u64_u32 v[30:31], null, 0xa2f9836e, v32, v[1:2]
	v_cndmask_b32_e64 v1, 0, 0xffffffe0, s7
	s_delay_alu instid0(VALU_DEP_4) | instskip(NEXT) | instid1(VALU_DEP_2)
	v_cndmask_b32_e32 v32, v29, v27, vcc_lo
	v_dual_cndmask_b32 v30, v30, v28 :: v_dual_add_nc_u32 v1, v1, v33
	s_delay_alu instid0(VALU_DEP_4) | instskip(NEXT) | instid1(VALU_DEP_2)
	v_dual_cndmask_b32 v29, v31, v29 :: v_dual_cndmask_b32 v28, v28, v26
	v_sub_nc_u32_e32 v31, 32, v1
	s_delay_alu instid0(VALU_DEP_3) | instskip(NEXT) | instid1(VALU_DEP_3)
	v_cndmask_b32_e64 v27, v30, v32, s6
	v_cndmask_b32_e64 v29, v29, v30, s6
	s_delay_alu instid0(VALU_DEP_4) | instskip(SKIP_2) | instid1(VALU_DEP_4)
	v_cndmask_b32_e64 v30, v32, v28, s6
	v_cndmask_b32_e64 v28, v28, v25, s6
	v_cmp_eq_u32_e64 s8, 0, v1
	v_cndmask_b32_e64 v29, v29, v27, s7
	s_delay_alu instid0(VALU_DEP_4) | instskip(NEXT) | instid1(VALU_DEP_4)
	v_cndmask_b32_e64 v27, v27, v30, s7
	v_cndmask_b32_e64 v30, v30, v28, s7
	;; [unrolled: 1-line block ×3, first 2 shown]
	s_delay_alu instid0(VALU_DEP_3) | instskip(NEXT) | instid1(VALU_DEP_3)
	v_alignbit_b32 v32, v29, v27, v31
	v_alignbit_b32 v33, v27, v30, v31
	s_delay_alu instid0(VALU_DEP_3) | instskip(NEXT) | instid1(VALU_DEP_3)
	v_alignbit_b32 v31, v30, v24, v31
	v_cndmask_b32_e64 v1, v32, v29, s8
	s_delay_alu instid0(VALU_DEP_3) | instskip(NEXT) | instid1(VALU_DEP_3)
	v_cndmask_b32_e64 v26, v33, v27, s8
	v_cndmask_b32_e64 v30, v31, v30, s8
	s_delay_alu instid0(VALU_DEP_3) | instskip(NEXT) | instid1(VALU_DEP_3)
	v_bfe_u32 v27, v1, 29, 1
	v_alignbit_b32 v25, v1, v26, 30
	s_delay_alu instid0(VALU_DEP_3) | instskip(SKIP_1) | instid1(VALU_DEP_4)
	v_alignbit_b32 v26, v26, v30, 30
	v_alignbit_b32 v24, v30, v24, 30
	v_sub_nc_u32_e32 v29, 0, v27
	s_delay_alu instid0(VALU_DEP_1) | instskip(SKIP_3) | instid1(VALU_DEP_4)
	v_xor_b32_e32 v28, v25, v29
	v_cmp_ne_u32_e32 vcc_lo, v25, v29
	v_xor_b32_e32 v26, v26, v29
	v_xor_b32_e32 v24, v24, v29
	v_clz_i32_u32_e32 v32, v28
	s_delay_alu instid0(VALU_DEP_1) | instskip(NEXT) | instid1(VALU_DEP_1)
	v_add_nc_u32_e32 v31, 1, v32
	v_cndmask_b32_e32 v25, 33, v31, vcc_lo
	s_delay_alu instid0(VALU_DEP_1) | instskip(NEXT) | instid1(VALU_DEP_1)
	v_sub_nc_u32_e32 v30, 32, v25
	v_alignbit_b32 v28, v28, v26, v30
	v_alignbit_b32 v24, v26, v24, v30
	v_lshrrev_b32_e32 v26, 29, v1
	v_lshrrev_b32_e32 v1, 30, v1
	s_delay_alu instid0(VALU_DEP_3) | instskip(NEXT) | instid1(VALU_DEP_3)
	v_alignbit_b32 v29, v28, v24, 9
	v_lshlrev_b32_e32 v26, 31, v26
	v_alignbit_b32 v28, v25, v28, 9
	s_delay_alu instid0(VALU_DEP_4) | instskip(NEXT) | instid1(VALU_DEP_4)
	v_add_nc_u32_e32 v1, v27, v1
	v_clz_i32_u32_e32 v30, v29
	s_delay_alu instid0(VALU_DEP_3) | instskip(SKIP_1) | instid1(VALU_DEP_3)
	v_or_b32_e32 v28, v28, v26
	v_or_b32_e32 v26, 0x33800000, v26
	v_min_u32_e32 v30, 32, v30
	s_delay_alu instid0(VALU_DEP_3) | instskip(NEXT) | instid1(VALU_DEP_2)
	v_xor_b32_e32 v28, 1.0, v28
	v_sub_nc_u32_e32 v31, 31, v30
	v_add_lshl_u32 v25, v30, v25, 23
	s_delay_alu instid0(VALU_DEP_3) | instskip(NEXT) | instid1(VALU_DEP_3)
	v_mul_f32_e32 v30, 0x3fc90fda, v28
	v_alignbit_b32 v24, v29, v24, v31
	s_delay_alu instid0(VALU_DEP_3) | instskip(NEXT) | instid1(VALU_DEP_3)
	v_sub_nc_u32_e32 v25, v26, v25
	v_fma_f32 v26, 0x3fc90fda, v28, -v30
	s_delay_alu instid0(VALU_DEP_3) | instskip(NEXT) | instid1(VALU_DEP_2)
	v_lshrrev_b32_e32 v24, 9, v24
	v_fmac_f32_e32 v26, 0x33a22168, v28
	s_delay_alu instid0(VALU_DEP_2) | instskip(NEXT) | instid1(VALU_DEP_1)
	v_or_b32_e32 v24, v25, v24
	v_fmac_f32_e32 v26, 0x3fc90fda, v24
	s_delay_alu instid0(VALU_DEP_1)
	v_add_f32_e32 v24, v30, v26
.LBB163_93:                             ;   in Loop: Header=BB163_4 Depth=1
	s_and_not1_saveexec_b32 s6, s33
; %bb.94:                               ;   in Loop: Header=BB163_4 Depth=1
	v_mul_f32_e64 v1, 0x3f22f983, |v8|
	s_delay_alu instid0(VALU_DEP_1) | instskip(NEXT) | instid1(VALU_DEP_1)
	v_rndne_f32_e32 v1, v1
	v_fma_f32 v24, 0xbfc90fda, v1, |v8|
	s_delay_alu instid0(VALU_DEP_1) | instskip(NEXT) | instid1(VALU_DEP_1)
	v_fmac_f32_e32 v24, 0xb3a22168, v1
	v_fmac_f32_e32 v24, 0xa7c234c4, v1
	v_cvt_i32_f32_e32 v1, v1
; %bb.95:                               ;   in Loop: Header=BB163_4 Depth=1
	s_or_b32 exec_lo, exec_lo, s6
	v_add_f32_e64 v25, 0xbf317218, |v7|
	v_cmp_nlt_f32_e64 vcc_lo, 0x42b2d4fc, |v7|
	v_cmp_gt_f32_e64 s6, 0x39800000, |v7|
	v_and_b32_e32 v1, 1, v1
	s_delay_alu instid0(VALU_DEP_4) | instskip(NEXT) | instid1(VALU_DEP_1)
	v_sub_f32_e64 v26, v25, |v7|
	v_dual_sub_f32 v27, v26, v25 :: v_dual_add_f32 v26, 0x3f317218, v26
	s_delay_alu instid0(VALU_DEP_1) | instskip(NEXT) | instid1(VALU_DEP_1)
	v_add_f32_e64 v27, |v7|, v27
	v_sub_f32_e32 v26, v27, v26
	s_delay_alu instid0(VALU_DEP_1) | instskip(NEXT) | instid1(VALU_DEP_1)
	v_add_f32_e32 v26, 0x3102e308, v26
	v_add_f32_e32 v27, v25, v26
	s_delay_alu instid0(VALU_DEP_1) | instskip(NEXT) | instid1(VALU_DEP_1)
	v_sub_f32_e32 v25, v25, v27
	v_dual_mul_f32 v28, 0x3fb8aa3b, v27 :: v_dual_add_f32 v25, v26, v25
	s_delay_alu instid0(VALU_DEP_1) | instskip(NEXT) | instid1(VALU_DEP_1)
	v_rndne_f32_e32 v28, v28
	v_mul_f32_e32 v26, 0x35bfbc00, v28
	v_fmac_f32_e32 v27, 0xbf317200, v28
	s_delay_alu instid0(VALU_DEP_1) | instskip(NEXT) | instid1(VALU_DEP_1)
	v_add_f32_e32 v29, v25, v27
	v_dual_sub_f32 v30, v29, v26 :: v_dual_sub_f32 v27, v27, v29
	s_delay_alu instid0(VALU_DEP_1) | instskip(NEXT) | instid1(VALU_DEP_1)
	v_sub_f32_e32 v29, v29, v30
	v_sub_f32_e32 v26, v29, v26
	s_delay_alu instid0(VALU_DEP_3) | instskip(NEXT) | instid1(VALU_DEP_1)
	v_add_f32_e32 v25, v25, v27
	v_dual_add_f32 v25, v25, v26 :: v_dual_mul_f32 v26, 0x2ea39ef3, v28
	s_delay_alu instid0(VALU_DEP_1) | instskip(NEXT) | instid1(VALU_DEP_1)
	v_add_f32_e32 v27, v30, v25
	v_dual_sub_f32 v29, v27, v26 :: v_dual_sub_f32 v30, v30, v27
	s_delay_alu instid0(VALU_DEP_1) | instskip(NEXT) | instid1(VALU_DEP_2)
	v_sub_f32_e32 v27, v27, v29
	v_add_f32_e32 v25, v25, v30
	s_delay_alu instid0(VALU_DEP_2) | instskip(NEXT) | instid1(VALU_DEP_1)
	v_sub_f32_e32 v26, v27, v26
	v_add_f32_e32 v25, v25, v26
	s_delay_alu instid0(VALU_DEP_1) | instskip(NEXT) | instid1(VALU_DEP_1)
	v_add_f32_e32 v26, v29, v25
	v_sub_f32_e32 v27, v29, v26
	v_mul_f32_e32 v29, v26, v26
	s_delay_alu instid0(VALU_DEP_2) | instskip(SKIP_1) | instid1(VALU_DEP_3)
	v_add_f32_e32 v25, v25, v27
	v_fmaak_f32 v27, s26, v26, 0x3c091de6
	v_fma_f32 v30, v26, v26, -v29
	s_delay_alu instid0(VALU_DEP_3) | instskip(NEXT) | instid1(VALU_DEP_3)
	v_add_f32_e32 v31, v25, v25
	v_fmaak_f32 v27, v26, v27, 0x3d2aadcc
	s_delay_alu instid0(VALU_DEP_2) | instskip(NEXT) | instid1(VALU_DEP_2)
	v_fmac_f32_e32 v30, v26, v31
	v_fmaak_f32 v27, v26, v27, 0x3e2aaa47
	s_delay_alu instid0(VALU_DEP_2) | instskip(NEXT) | instid1(VALU_DEP_2)
	v_add_f32_e32 v31, v29, v30
	v_fmaak_f32 v27, v26, v27, 0x3efffffc
	s_delay_alu instid0(VALU_DEP_2) | instskip(NEXT) | instid1(VALU_DEP_1)
	v_sub_f32_e32 v29, v31, v29
	v_dual_mul_f32 v32, v27, v31 :: v_dual_sub_f32 v29, v30, v29
	s_delay_alu instid0(VALU_DEP_1) | instskip(NEXT) | instid1(VALU_DEP_1)
	v_fma_f32 v30, v31, v27, -v32
	v_fmac_f32_e32 v30, v29, v27
	s_delay_alu instid0(VALU_DEP_1) | instskip(NEXT) | instid1(VALU_DEP_1)
	v_add_f32_e32 v27, v32, v30
	v_sub_f32_e32 v31, v27, v32
	v_add_f32_e32 v29, v26, v27
	s_delay_alu instid0(VALU_DEP_2) | instskip(NEXT) | instid1(VALU_DEP_2)
	v_sub_f32_e32 v30, v30, v31
	v_sub_f32_e32 v26, v29, v26
	s_delay_alu instid0(VALU_DEP_1) | instskip(NEXT) | instid1(VALU_DEP_3)
	v_sub_f32_e32 v26, v27, v26
	v_add_f32_e32 v25, v25, v30
	s_delay_alu instid0(VALU_DEP_1) | instskip(NEXT) | instid1(VALU_DEP_1)
	v_add_f32_e32 v25, v25, v26
	v_add_f32_e32 v26, v29, v25
	s_delay_alu instid0(VALU_DEP_1) | instskip(NEXT) | instid1(VALU_DEP_1)
	v_add_f32_e32 v27, 1.0, v26
	v_dual_sub_f32 v29, v26, v29 :: v_dual_add_f32 v30, -1.0, v27
	s_delay_alu instid0(VALU_DEP_1) | instskip(NEXT) | instid1(VALU_DEP_1)
	v_dual_sub_f32 v25, v25, v29 :: v_dual_sub_f32 v26, v26, v30
	v_add_f32_e32 v25, v25, v26
	v_cvt_i32_f32_e32 v26, v28
	s_delay_alu instid0(VALU_DEP_2) | instskip(NEXT) | instid1(VALU_DEP_1)
	v_add_f32_e32 v28, v27, v25
	v_ldexp_f32 v29, v28, v26
	s_delay_alu instid0(VALU_DEP_1) | instskip(SKIP_1) | instid1(VALU_DEP_1)
	v_rcp_f32_e32 v30, v29
	v_sub_f32_e32 v27, v28, v27
	v_sub_f32_e32 v25, v25, v27
	s_waitcnt_depctr 0xfff
	v_mul_f32_e32 v27, v29, v30
	v_ldexp_f32 v25, v25, v26
	s_delay_alu instid0(VALU_DEP_2) | instskip(NEXT) | instid1(VALU_DEP_1)
	v_fma_f32 v26, v30, v29, -v27
	v_fmac_f32_e32 v26, v30, v25
	s_delay_alu instid0(VALU_DEP_1) | instskip(NEXT) | instid1(VALU_DEP_1)
	v_add_f32_e32 v28, v27, v26
	v_sub_f32_e32 v31, 1.0, v28
	v_sub_f32_e32 v27, v28, v27
	s_delay_alu instid0(VALU_DEP_2) | instskip(NEXT) | instid1(VALU_DEP_1)
	v_sub_f32_e32 v32, 1.0, v31
	v_dual_sub_f32 v26, v27, v26 :: v_dual_sub_f32 v27, v32, v28
	s_delay_alu instid0(VALU_DEP_1) | instskip(NEXT) | instid1(VALU_DEP_1)
	v_add_f32_e32 v26, v26, v27
	v_add_f32_e32 v27, v31, v26
	s_delay_alu instid0(VALU_DEP_1) | instskip(NEXT) | instid1(VALU_DEP_1)
	v_mul_f32_e32 v28, v30, v27
	v_dual_sub_f32 v31, v31, v27 :: v_dual_mul_f32 v32, v29, v28
	s_delay_alu instid0(VALU_DEP_1) | instskip(NEXT) | instid1(VALU_DEP_2)
	v_add_f32_e32 v26, v26, v31
	v_fma_f32 v33, v28, v29, -v32
	s_delay_alu instid0(VALU_DEP_1) | instskip(NEXT) | instid1(VALU_DEP_1)
	v_fmac_f32_e32 v33, v28, v25
	v_add_f32_e32 v34, v32, v33
	s_delay_alu instid0(VALU_DEP_1) | instskip(SKIP_1) | instid1(VALU_DEP_2)
	v_sub_f32_e32 v35, v27, v34
	v_sub_f32_e32 v31, v34, v32
	;; [unrolled: 1-line block ×3, first 2 shown]
	s_delay_alu instid0(VALU_DEP_2) | instskip(NEXT) | instid1(VALU_DEP_2)
	v_sub_f32_e32 v31, v31, v33
	v_sub_f32_e32 v27, v27, v34
	s_delay_alu instid0(VALU_DEP_1) | instskip(NEXT) | instid1(VALU_DEP_1)
	v_add_f32_e32 v26, v26, v27
	v_dual_add_f32 v27, v30, v28 :: v_dual_add_f32 v26, v31, v26
	s_delay_alu instid0(VALU_DEP_1) | instskip(NEXT) | instid1(VALU_DEP_2)
	v_sub_f32_e32 v31, v27, v30
	v_add_f32_e32 v26, v35, v26
	s_delay_alu instid0(VALU_DEP_2) | instskip(NEXT) | instid1(VALU_DEP_2)
	v_sub_f32_e32 v28, v28, v31
	v_mul_f32_e32 v26, v30, v26
	s_delay_alu instid0(VALU_DEP_1) | instskip(NEXT) | instid1(VALU_DEP_1)
	v_add_f32_e32 v26, v28, v26
	v_add_f32_e32 v28, v27, v26
	s_delay_alu instid0(VALU_DEP_1) | instskip(SKIP_1) | instid1(VALU_DEP_1)
	v_ldexp_f32 v30, v28, -2
	v_sub_f32_e32 v27, v28, v27
	v_dual_sub_f32 v31, v29, v30 :: v_dual_sub_f32 v26, v26, v27
	s_delay_alu instid0(VALU_DEP_1) | instskip(NEXT) | instid1(VALU_DEP_2)
	v_sub_f32_e32 v28, v29, v31
	v_ldexp_f32 v26, v26, -2
	s_delay_alu instid0(VALU_DEP_2) | instskip(NEXT) | instid1(VALU_DEP_1)
	v_sub_f32_e32 v27, v28, v30
	v_add_f32_e32 v25, v25, v27
	s_delay_alu instid0(VALU_DEP_1) | instskip(NEXT) | instid1(VALU_DEP_1)
	v_dual_sub_f32 v25, v25, v26 :: v_dual_mul_f32 v26, v24, v24
	v_add_f32_e32 v25, v31, v25
	s_delay_alu instid0(VALU_DEP_2) | instskip(NEXT) | instid1(VALU_DEP_2)
	v_fmaak_f32 v27, s25, v26, 0xbf039337
	v_cndmask_b32_e32 v25, 0x7f800000, v25, vcc_lo
	s_delay_alu instid0(VALU_DEP_2) | instskip(NEXT) | instid1(VALU_DEP_2)
	v_fmaak_f32 v27, v26, v27, 0x3f93f425
	v_cndmask_b32_e64 v25, v25, |v7|, s6
	s_delay_alu instid0(VALU_DEP_2) | instskip(NEXT) | instid1(VALU_DEP_1)
	v_rcp_f32_e32 v27, v27
	v_bfi_b32 v7, 0x7fffffff, v25, v7
	v_fmaak_f32 v25, s24, v26, 0x3ec54587
	s_delay_alu instid0(VALU_DEP_2) | instskip(SKIP_4) | instid1(VALU_DEP_2)
	v_fma_f32 v28, v7, v7, 1.0
	s_waitcnt_depctr 0xfff
	v_mul_f32_e32 v25, v25, v27
	v_mul_f32_e32 v27, 0x4f800000, v28
	v_cmp_gt_f32_e32 vcc_lo, 0xf800000, v28
	v_dual_mul_f32 v25, v26, v25 :: v_dual_cndmask_b32 v26, v28, v27
	s_delay_alu instid0(VALU_DEP_1) | instskip(NEXT) | instid1(VALU_DEP_2)
	v_fma_f32 v27, v25, v24, v24
	v_sqrt_f32_e32 v28, v26
	s_delay_alu instid0(VALU_DEP_1) | instskip(SKIP_1) | instid1(VALU_DEP_1)
	v_rcp_f32_e32 v29, v27
	v_sub_f32_e32 v30, v27, v24
	v_fma_f32 v24, v25, v24, -v30
	s_waitcnt_depctr 0xfff
	v_add_nc_u32_e32 v31, -1, v28
	v_fma_f32 v25, v27, -v29, 1.0
	v_add_nc_u32_e32 v30, 1, v28
	s_delay_alu instid0(VALU_DEP_3) | instskip(NEXT) | instid1(VALU_DEP_3)
	v_fma_f32 v32, -v31, v28, v26
	v_fma_f32 v24, v24, -v29, v25
	s_delay_alu instid0(VALU_DEP_3) | instskip(NEXT) | instid1(VALU_DEP_3)
	v_fma_f32 v25, -v30, v28, v26
	v_cmp_ge_f32_e64 s6, 0, v32
	s_delay_alu instid0(VALU_DEP_3) | instskip(NEXT) | instid1(VALU_DEP_2)
	v_fma_f32 v24, v24, -v29, -v29
	v_cndmask_b32_e64 v28, v28, v31, s6
	s_delay_alu instid0(VALU_DEP_4) | instskip(NEXT) | instid1(VALU_DEP_1)
	v_cmp_lt_f32_e64 s6, 0, v25
	v_cndmask_b32_e64 v25, v28, v30, s6
	v_cmp_eq_u32_e64 s6, 0, v1
	s_delay_alu instid0(VALU_DEP_1) | instskip(NEXT) | instid1(VALU_DEP_3)
	v_cndmask_b32_e64 v1, v24, v27, s6
	v_mul_f32_e32 v24, 0x37800000, v25
	s_delay_alu instid0(VALU_DEP_2) | instskip(NEXT) | instid1(VALU_DEP_2)
	v_xor3_b32 v1, v23, v1, v8
	v_cndmask_b32_e32 v8, v25, v24, vcc_lo
	v_cmp_class_f32_e64 vcc_lo, v26, 0x260
	s_delay_alu instid0(VALU_DEP_3) | instskip(NEXT) | instid1(VALU_DEP_3)
	v_fma_f32 v23, v1, v1, 1.0
	v_cndmask_b32_e32 v8, v8, v26, vcc_lo
	s_delay_alu instid0(VALU_DEP_2) | instskip(NEXT) | instid1(VALU_DEP_2)
	v_mul_f32_e32 v24, v7, v23
	v_mul_f32_e32 v8, v8, v23
	s_delay_alu instid0(VALU_DEP_2) | instskip(NEXT) | instid1(VALU_DEP_2)
	v_fma_f32 v23, v7, v24, 1.0
	v_mul_f32_e32 v7, v7, v8
	s_delay_alu instid0(VALU_DEP_2) | instskip(NEXT) | instid1(VALU_DEP_2)
	v_div_scale_f32 v24, null, v23, v23, v1
	v_div_scale_f32 v8, null, v23, v23, v7
	v_div_scale_f32 v29, vcc_lo, v7, v23, v7
	s_delay_alu instid0(VALU_DEP_3) | instskip(NEXT) | instid1(VALU_DEP_2)
	v_rcp_f32_e32 v26, v24
	v_rcp_f32_e32 v25, v8
	s_waitcnt_depctr 0xfff
	v_fma_f32 v28, -v24, v26, 1.0
	v_fma_f32 v27, -v8, v25, 1.0
	s_delay_alu instid0(VALU_DEP_1) | instskip(SKIP_1) | instid1(VALU_DEP_2)
	v_dual_fmac_f32 v26, v28, v26 :: v_dual_fmac_f32 v25, v27, v25
	v_div_scale_f32 v27, s6, v1, v23, v1
	v_mul_f32_e32 v28, v29, v25
	s_delay_alu instid0(VALU_DEP_2) | instskip(NEXT) | instid1(VALU_DEP_2)
	v_mul_f32_e32 v30, v27, v26
	v_fma_f32 v31, -v8, v28, v29
	s_delay_alu instid0(VALU_DEP_2) | instskip(NEXT) | instid1(VALU_DEP_2)
	v_fma_f32 v32, -v24, v30, v27
	v_fmac_f32_e32 v28, v31, v25
	s_delay_alu instid0(VALU_DEP_2) | instskip(NEXT) | instid1(VALU_DEP_2)
	v_fmac_f32_e32 v30, v32, v26
	v_fma_f32 v8, -v8, v28, v29
	s_delay_alu instid0(VALU_DEP_2) | instskip(NEXT) | instid1(VALU_DEP_2)
	v_fma_f32 v24, -v24, v30, v27
	v_div_fmas_f32 v8, v8, v25, v28
	s_mov_b32 vcc_lo, s6
	s_delay_alu instid0(VALU_DEP_2) | instskip(NEXT) | instid1(VALU_DEP_2)
	v_div_fmas_f32 v24, v24, v26, v30
	v_div_fixup_f32 v7, v8, v23, v7
	s_delay_alu instid0(VALU_DEP_2)
	v_div_fixup_f32 v8, v24, v23, v1
                                        ; implicit-def: $vgpr23
.LBB163_96:                             ;   in Loop: Header=BB163_4 Depth=1
	s_and_not1_saveexec_b32 s31, s31
	s_cbranch_execz .LBB163_106
; %bb.97:                               ;   in Loop: Header=BB163_4 Depth=1
	v_lshrrev_b32_e32 v1, 23, v23
	s_delay_alu instid0(VALU_DEP_2) | instskip(SKIP_1) | instid1(VALU_DEP_3)
	v_cmp_ngt_f32_e64 s33, 0x48000000, |v8|
	v_and_or_b32 v25, v23, s23, 0x800000
                                        ; implicit-def: $vgpr26
                                        ; implicit-def: $vgpr24
	v_add_nc_u32_e32 v27, 0xffffff88, v1
	s_delay_alu instid0(VALU_DEP_3) | instskip(NEXT) | instid1(SALU_CYCLE_1)
	s_and_saveexec_b32 s6, s33
	s_xor_b32 s34, exec_lo, s6
	s_cbranch_execz .LBB163_99
; %bb.98:                               ;   in Loop: Header=BB163_4 Depth=1
	v_mad_u64_u32 v[28:29], null, 0xfe5163ab, v25, 0
	v_cmp_lt_u32_e32 vcc_lo, 63, v27
	v_cndmask_b32_e64 v24, 0, 0xffffffc0, vcc_lo
	s_delay_alu instid0(VALU_DEP_1) | instskip(NEXT) | instid1(VALU_DEP_1)
	v_dual_mov_b32 v1, v29 :: v_dual_add_nc_u32 v24, v24, v27
	v_mad_u64_u32 v[29:30], null, 0x3c439041, v25, v[1:2]
	s_delay_alu instid0(VALU_DEP_2) | instskip(NEXT) | instid1(VALU_DEP_2)
	v_cmp_lt_u32_e64 s6, 31, v24
	v_mov_b32_e32 v1, v30
	s_delay_alu instid0(VALU_DEP_2) | instskip(NEXT) | instid1(VALU_DEP_2)
	v_cndmask_b32_e64 v26, 0, 0xffffffe0, s6
	v_mad_u64_u32 v[30:31], null, 0xdb629599, v25, v[1:2]
	s_delay_alu instid0(VALU_DEP_2) | instskip(NEXT) | instid1(VALU_DEP_1)
	v_add_nc_u32_e32 v24, v26, v24
	v_cmp_lt_u32_e64 s7, 31, v24
	s_delay_alu instid0(VALU_DEP_3) | instskip(NEXT) | instid1(VALU_DEP_1)
	v_dual_mov_b32 v1, v31 :: v_dual_cndmask_b32 v28, v30, v28
	v_mad_u64_u32 v[31:32], null, 0xf534ddc0, v25, v[1:2]
	s_delay_alu instid0(VALU_DEP_1) | instskip(NEXT) | instid1(VALU_DEP_1)
	v_mov_b32_e32 v1, v32
	v_mad_u64_u32 v[32:33], null, 0xfc2757d1, v25, v[1:2]
	s_delay_alu instid0(VALU_DEP_1) | instskip(NEXT) | instid1(VALU_DEP_1)
	v_mov_b32_e32 v1, v33
	v_mad_u64_u32 v[33:34], null, 0x4e441529, v25, v[1:2]
	s_delay_alu instid0(VALU_DEP_1) | instskip(NEXT) | instid1(VALU_DEP_1)
	v_dual_mov_b32 v1, v34 :: v_dual_cndmask_b32 v26, v33, v31
	v_mad_u64_u32 v[34:35], null, 0xa2f9836e, v25, v[1:2]
	v_cndmask_b32_e64 v1, 0, 0xffffffe0, s7
	s_delay_alu instid0(VALU_DEP_1) | instskip(NEXT) | instid1(VALU_DEP_3)
	v_add_nc_u32_e32 v1, v1, v24
	v_dual_cndmask_b32 v34, v34, v32 :: v_dual_cndmask_b32 v33, v35, v33
	v_cndmask_b32_e32 v32, v32, v30, vcc_lo
	v_cndmask_b32_e32 v24, v31, v29, vcc_lo
	s_delay_alu instid0(VALU_DEP_4) | instskip(NEXT) | instid1(VALU_DEP_4)
	v_cmp_eq_u32_e64 s8, 0, v1
	v_cndmask_b32_e64 v29, v34, v26, s6
	v_cndmask_b32_e64 v31, v33, v34, s6
	;; [unrolled: 1-line block ×3, first 2 shown]
	v_sub_nc_u32_e32 v33, 32, v1
	v_cndmask_b32_e64 v32, v32, v24, s6
	v_cndmask_b32_e64 v24, v24, v28, s6
	;; [unrolled: 1-line block ×4, first 2 shown]
	s_delay_alu instid0(VALU_DEP_4) | instskip(NEXT) | instid1(VALU_DEP_4)
	v_cndmask_b32_e64 v26, v26, v32, s7
	v_cndmask_b32_e64 v24, v32, v24, s7
	s_delay_alu instid0(VALU_DEP_3) | instskip(NEXT) | instid1(VALU_DEP_3)
	v_alignbit_b32 v34, v31, v29, v33
	v_alignbit_b32 v35, v29, v26, v33
	s_delay_alu instid0(VALU_DEP_3) | instskip(NEXT) | instid1(VALU_DEP_3)
	v_alignbit_b32 v33, v26, v24, v33
	v_cndmask_b32_e64 v1, v34, v31, s8
	s_delay_alu instid0(VALU_DEP_3) | instskip(NEXT) | instid1(VALU_DEP_3)
	v_cndmask_b32_e64 v29, v35, v29, s8
	v_cndmask_b32_e64 v26, v33, v26, s8
	s_delay_alu instid0(VALU_DEP_3) | instskip(NEXT) | instid1(VALU_DEP_3)
	v_bfe_u32 v30, v1, 29, 1
	v_alignbit_b32 v28, v1, v29, 30
	s_delay_alu instid0(VALU_DEP_3) | instskip(SKIP_1) | instid1(VALU_DEP_4)
	v_alignbit_b32 v29, v29, v26, 30
	v_alignbit_b32 v24, v26, v24, 30
	v_sub_nc_u32_e32 v31, 0, v30
	s_delay_alu instid0(VALU_DEP_1) | instskip(SKIP_3) | instid1(VALU_DEP_4)
	v_xor_b32_e32 v32, v28, v31
	v_cmp_ne_u32_e32 vcc_lo, v28, v31
	v_xor_b32_e32 v26, v29, v31
	v_xor_b32_e32 v24, v24, v31
	v_clz_i32_u32_e32 v34, v32
	s_delay_alu instid0(VALU_DEP_1) | instskip(NEXT) | instid1(VALU_DEP_1)
	v_add_nc_u32_e32 v33, 1, v34
	v_cndmask_b32_e32 v28, 33, v33, vcc_lo
	s_delay_alu instid0(VALU_DEP_1) | instskip(NEXT) | instid1(VALU_DEP_1)
	v_sub_nc_u32_e32 v29, 32, v28
	v_alignbit_b32 v31, v32, v26, v29
	v_alignbit_b32 v24, v26, v24, v29
	v_lshrrev_b32_e32 v26, 29, v1
	v_lshrrev_b32_e32 v1, 30, v1
	s_delay_alu instid0(VALU_DEP_3) | instskip(NEXT) | instid1(VALU_DEP_3)
	v_alignbit_b32 v29, v31, v24, 9
	v_lshlrev_b32_e32 v26, 31, v26
	v_alignbit_b32 v31, v28, v31, 9
	s_delay_alu instid0(VALU_DEP_3) | instskip(NEXT) | instid1(VALU_DEP_2)
	v_clz_i32_u32_e32 v32, v29
	v_or_b32_e32 v31, v31, v26
	v_or_b32_e32 v26, 0x33800000, v26
	s_delay_alu instid0(VALU_DEP_3) | instskip(NEXT) | instid1(VALU_DEP_3)
	v_min_u32_e32 v32, 32, v32
	v_xor_b32_e32 v31, 1.0, v31
	s_delay_alu instid0(VALU_DEP_2) | instskip(SKIP_1) | instid1(VALU_DEP_3)
	v_sub_nc_u32_e32 v33, 31, v32
	v_add_lshl_u32 v28, v32, v28, 23
	v_mul_f32_e32 v32, 0x3fc90fda, v31
	s_delay_alu instid0(VALU_DEP_3) | instskip(NEXT) | instid1(VALU_DEP_3)
	v_alignbit_b32 v24, v29, v24, v33
	v_sub_nc_u32_e32 v26, v26, v28
	s_delay_alu instid0(VALU_DEP_3) | instskip(NEXT) | instid1(VALU_DEP_3)
	v_fma_f32 v28, 0x3fc90fda, v31, -v32
	v_lshrrev_b32_e32 v24, 9, v24
	s_delay_alu instid0(VALU_DEP_2) | instskip(NEXT) | instid1(VALU_DEP_2)
	v_fmac_f32_e32 v28, 0x33a22168, v31
	v_or_b32_e32 v24, v26, v24
	v_add_nc_u32_e32 v26, v30, v1
	s_delay_alu instid0(VALU_DEP_2) | instskip(NEXT) | instid1(VALU_DEP_1)
	v_fmac_f32_e32 v28, 0x3fc90fda, v24
	v_add_f32_e32 v24, v32, v28
	s_and_not1_saveexec_b32 s6, s34
	s_branch .LBB163_100
.LBB163_99:                             ;   in Loop: Header=BB163_4 Depth=1
	s_and_not1_saveexec_b32 s6, s34
.LBB163_100:                            ;   in Loop: Header=BB163_4 Depth=1
	v_mul_f32_e64 v1, 0x3f22f983, |v8|
	s_delay_alu instid0(VALU_DEP_1) | instskip(NEXT) | instid1(VALU_DEP_1)
	v_rndne_f32_e32 v1, v1
	v_fma_f32 v24, 0xbfc90fda, v1, |v8|
	v_cvt_i32_f32_e32 v26, v1
	s_delay_alu instid0(VALU_DEP_2) | instskip(NEXT) | instid1(VALU_DEP_1)
	v_fmac_f32_e32 v24, 0xb3a22168, v1
	v_fmac_f32_e32 v24, 0xa7c234c4, v1
; %bb.101:                              ;   in Loop: Header=BB163_4 Depth=1
	s_or_b32 exec_lo, exec_lo, s6
                                        ; implicit-def: $vgpr28
                                        ; implicit-def: $vgpr1
	s_and_saveexec_b32 s6, s33
	s_delay_alu instid0(SALU_CYCLE_1)
	s_xor_b32 s33, exec_lo, s6
	s_cbranch_execz .LBB163_103
; %bb.102:                              ;   in Loop: Header=BB163_4 Depth=1
	v_mad_u64_u32 v[28:29], null, 0xfe5163ab, v25, 0
	v_cmp_lt_u32_e32 vcc_lo, 63, v27
	v_cndmask_b32_e64 v34, 0, 0xffffffc0, vcc_lo
	s_delay_alu instid0(VALU_DEP_3) | instskip(NEXT) | instid1(VALU_DEP_2)
	v_mov_b32_e32 v1, v29
	v_add_nc_u32_e32 v27, v34, v27
	s_delay_alu instid0(VALU_DEP_2) | instskip(NEXT) | instid1(VALU_DEP_2)
	v_mad_u64_u32 v[29:30], null, 0x3c439041, v25, v[1:2]
	v_cmp_lt_u32_e64 s6, 31, v27
	s_delay_alu instid0(VALU_DEP_2) | instskip(NEXT) | instid1(VALU_DEP_2)
	v_mov_b32_e32 v1, v30
	v_cndmask_b32_e64 v35, 0, 0xffffffe0, s6
	s_delay_alu instid0(VALU_DEP_2) | instskip(NEXT) | instid1(VALU_DEP_2)
	v_mad_u64_u32 v[30:31], null, 0xdb629599, v25, v[1:2]
	v_add_nc_u32_e32 v27, v35, v27
	s_delay_alu instid0(VALU_DEP_1) | instskip(NEXT) | instid1(VALU_DEP_3)
	v_cmp_lt_u32_e64 s7, 31, v27
	v_dual_mov_b32 v1, v31 :: v_dual_cndmask_b32 v28, v30, v28
	s_delay_alu instid0(VALU_DEP_1) | instskip(NEXT) | instid1(VALU_DEP_1)
	v_mad_u64_u32 v[31:32], null, 0xf534ddc0, v25, v[1:2]
	v_mov_b32_e32 v1, v32
	s_delay_alu instid0(VALU_DEP_1) | instskip(NEXT) | instid1(VALU_DEP_1)
	v_mad_u64_u32 v[32:33], null, 0xfc2757d1, v25, v[1:2]
	v_mov_b32_e32 v1, v33
	;; [unrolled: 3-line block ×3, first 2 shown]
	s_delay_alu instid0(VALU_DEP_1) | instskip(SKIP_1) | instid1(VALU_DEP_4)
	v_mad_u64_u32 v[34:35], null, 0xa2f9836e, v25, v[1:2]
	v_cndmask_b32_e64 v1, 0, 0xffffffe0, s7
	v_cndmask_b32_e32 v25, v33, v31, vcc_lo
	s_delay_alu instid0(VALU_DEP_2) | instskip(NEXT) | instid1(VALU_DEP_4)
	v_dual_cndmask_b32 v34, v34, v32 :: v_dual_add_nc_u32 v1, v1, v27
	v_dual_cndmask_b32 v33, v35, v33 :: v_dual_cndmask_b32 v32, v32, v30
	v_cndmask_b32_e32 v27, v31, v29, vcc_lo
	s_delay_alu instid0(VALU_DEP_3) | instskip(NEXT) | instid1(VALU_DEP_4)
	v_cmp_eq_u32_e64 s8, 0, v1
	v_cndmask_b32_e64 v29, v34, v25, s6
	s_delay_alu instid0(VALU_DEP_4)
	v_cndmask_b32_e64 v31, v33, v34, s6
	v_cndmask_b32_e64 v25, v25, v32, s6
	v_sub_nc_u32_e32 v33, 32, v1
	v_cndmask_b32_e64 v32, v32, v27, s6
	v_cndmask_b32_e64 v27, v27, v28, s6
	;; [unrolled: 1-line block ×4, first 2 shown]
	s_delay_alu instid0(VALU_DEP_4) | instskip(NEXT) | instid1(VALU_DEP_4)
	v_cndmask_b32_e64 v25, v25, v32, s7
	v_cndmask_b32_e64 v27, v32, v27, s7
	s_delay_alu instid0(VALU_DEP_3) | instskip(NEXT) | instid1(VALU_DEP_3)
	v_alignbit_b32 v34, v31, v29, v33
	v_alignbit_b32 v35, v29, v25, v33
	s_delay_alu instid0(VALU_DEP_3) | instskip(NEXT) | instid1(VALU_DEP_3)
	v_alignbit_b32 v33, v25, v27, v33
	v_cndmask_b32_e64 v1, v34, v31, s8
	s_delay_alu instid0(VALU_DEP_3) | instskip(NEXT) | instid1(VALU_DEP_3)
	v_cndmask_b32_e64 v29, v35, v29, s8
	v_cndmask_b32_e64 v25, v33, v25, s8
	s_delay_alu instid0(VALU_DEP_3) | instskip(NEXT) | instid1(VALU_DEP_3)
	v_bfe_u32 v30, v1, 29, 1
	v_alignbit_b32 v28, v1, v29, 30
	s_delay_alu instid0(VALU_DEP_3) | instskip(SKIP_1) | instid1(VALU_DEP_4)
	v_alignbit_b32 v29, v29, v25, 30
	v_alignbit_b32 v25, v25, v27, 30
	v_sub_nc_u32_e32 v31, 0, v30
	s_delay_alu instid0(VALU_DEP_1) | instskip(SKIP_3) | instid1(VALU_DEP_4)
	v_xor_b32_e32 v32, v28, v31
	v_cmp_ne_u32_e32 vcc_lo, v28, v31
	v_xor_b32_e32 v27, v29, v31
	v_xor_b32_e32 v25, v25, v31
	v_clz_i32_u32_e32 v34, v32
	s_delay_alu instid0(VALU_DEP_1) | instskip(NEXT) | instid1(VALU_DEP_1)
	v_add_nc_u32_e32 v33, 1, v34
	v_cndmask_b32_e32 v28, 33, v33, vcc_lo
	s_delay_alu instid0(VALU_DEP_1) | instskip(NEXT) | instid1(VALU_DEP_1)
	v_sub_nc_u32_e32 v29, 32, v28
	v_alignbit_b32 v31, v32, v27, v29
	v_alignbit_b32 v25, v27, v25, v29
	v_lshrrev_b32_e32 v27, 29, v1
	s_delay_alu instid0(VALU_DEP_2) | instskip(NEXT) | instid1(VALU_DEP_2)
	v_alignbit_b32 v29, v31, v25, 9
	v_lshlrev_b32_e32 v27, 31, v27
	v_alignbit_b32 v31, v28, v31, 9
	s_delay_alu instid0(VALU_DEP_3) | instskip(NEXT) | instid1(VALU_DEP_2)
	v_clz_i32_u32_e32 v32, v29
	v_or_b32_e32 v31, v31, v27
	v_or_b32_e32 v27, 0x33800000, v27
	s_delay_alu instid0(VALU_DEP_3) | instskip(NEXT) | instid1(VALU_DEP_3)
	v_min_u32_e32 v32, 32, v32
	v_xor_b32_e32 v31, 1.0, v31
	s_delay_alu instid0(VALU_DEP_2) | instskip(SKIP_1) | instid1(VALU_DEP_3)
	v_sub_nc_u32_e32 v33, 31, v32
	v_add_lshl_u32 v28, v32, v28, 23
	v_mul_f32_e32 v32, 0x3fc90fda, v31
	s_delay_alu instid0(VALU_DEP_3) | instskip(NEXT) | instid1(VALU_DEP_3)
	v_alignbit_b32 v25, v29, v25, v33
	v_sub_nc_u32_e32 v27, v27, v28
	s_delay_alu instid0(VALU_DEP_3) | instskip(NEXT) | instid1(VALU_DEP_3)
	v_fma_f32 v28, 0x3fc90fda, v31, -v32
	v_lshrrev_b32_e32 v25, 9, v25
	s_delay_alu instid0(VALU_DEP_2) | instskip(NEXT) | instid1(VALU_DEP_2)
	v_fmac_f32_e32 v28, 0x33a22168, v31
	v_or_b32_e32 v25, v27, v25
	s_delay_alu instid0(VALU_DEP_1) | instskip(SKIP_1) | instid1(VALU_DEP_1)
	v_fmac_f32_e32 v28, 0x3fc90fda, v25
	v_lshrrev_b32_e32 v25, 30, v1
	v_dual_add_f32 v1, v32, v28 :: v_dual_add_nc_u32 v28, v30, v25
	s_and_not1_saveexec_b32 s6, s33
	s_cbranch_execnz .LBB163_104
	s_branch .LBB163_105
.LBB163_103:                            ;   in Loop: Header=BB163_4 Depth=1
	s_and_not1_saveexec_b32 s6, s33
.LBB163_104:                            ;   in Loop: Header=BB163_4 Depth=1
	v_mul_f32_e64 v1, 0x3f22f983, |v8|
	s_delay_alu instid0(VALU_DEP_1) | instskip(NEXT) | instid1(VALU_DEP_1)
	v_rndne_f32_e32 v25, v1
	v_fma_f32 v1, 0xbfc90fda, v25, |v8|
	v_cvt_i32_f32_e32 v28, v25
	s_delay_alu instid0(VALU_DEP_2) | instskip(NEXT) | instid1(VALU_DEP_1)
	v_fmac_f32_e32 v1, 0xb3a22168, v25
	v_fmac_f32_e32 v1, 0xa7c234c4, v25
.LBB163_105:                            ;   in Loop: Header=BB163_4 Depth=1
	s_or_b32 exec_lo, exec_lo, s6
	v_mul_f32_e32 v25, v24, v24
	s_delay_alu instid0(VALU_DEP_2) | instskip(SKIP_2) | instid1(VALU_DEP_4)
	v_dual_mul_f32 v32, v1, v1 :: v_dual_and_b32 v27, 1, v26
	v_lshlrev_b32_e32 v26, 30, v26
	v_mul_f32_e64 v29, 0xbfb8aa3b, |v7|
	v_fmaak_f32 v30, s27, v25, 0x3c0881c4
	s_delay_alu instid0(VALU_DEP_4)
	v_cmp_eq_u32_e32 vcc_lo, 0, v27
	v_and_b32_e32 v27, 1, v28
	v_fmaak_f32 v35, s27, v32, 0x3c0881c4
	v_rndne_f32_e32 v33, v29
	v_fmaak_f32 v30, v25, v30, 0xbe2aaa9d
	v_fma_f32 v34, 0xbfb8aa3b, |v7|, -v29
	v_fmaak_f32 v36, s28, v32, 0xbab64f3b
	v_fmaak_f32 v35, v32, v35, 0xbe2aaa9d
	s_delay_alu instid0(VALU_DEP_4) | instskip(SKIP_3) | instid1(VALU_DEP_4)
	v_dual_fmaak_f32 v31, s28, v25, 0xbab64f3b :: v_dual_mul_f32 v30, v25, v30
	v_sub_f32_e32 v29, v29, v33
	v_fma_f32 v34, 0xb2a5705f, |v7|, v34
	v_and_b32_e32 v26, 0x80000000, v26
	v_dual_fmaak_f32 v31, v25, v31, 0x3d2aabf7 :: v_dual_fmac_f32 v24, v24, v30
	s_delay_alu instid0(VALU_DEP_3) | instskip(NEXT) | instid1(VALU_DEP_2)
	v_dual_fmaak_f32 v30, v32, v36, 0x3d2aabf7 :: v_dual_add_f32 v29, v29, v34
	v_dual_fmaak_f32 v31, v25, v31, 0xbf000004 :: v_dual_lshlrev_b32 v28, 30, v28
	s_delay_alu instid0(VALU_DEP_2) | instskip(NEXT) | instid1(VALU_DEP_1)
	v_exp_f32_e32 v29, v29
	v_fma_f32 v25, v25, v31, 1.0
	v_mul_f32_e32 v31, v32, v35
	v_xor_b32_e32 v23, v23, v26
	v_cvt_i32_f32_e32 v26, v33
	s_delay_alu instid0(VALU_DEP_4) | instskip(NEXT) | instid1(VALU_DEP_4)
	v_dual_cndmask_b32 v24, v25, v24 :: v_dual_fmaak_f32 v25, v32, v30, 0xbf000004
	v_fmac_f32_e32 v1, v1, v31
	v_cmp_eq_u32_e32 vcc_lo, 0, v27
	s_delay_alu instid0(VALU_DEP_3) | instskip(SKIP_3) | instid1(VALU_DEP_2)
	v_xor3_b32 v8, v23, v24, v8
	v_and_b32_e32 v24, 0x80000000, v28
	v_fma_f32 v25, v32, v25, 1.0
	v_ldexp_f32 v23, v29, v26
	v_cndmask_b32_e64 v1, -v1, v25, vcc_lo
	v_cmp_nlt_f32_e64 vcc_lo, 0x42ce8ed0, |v7|
	v_mul_f32_e32 v8, 4.0, v8
	s_delay_alu instid0(VALU_DEP_3) | instskip(SKIP_3) | instid1(VALU_DEP_4)
	v_xor_b32_e32 v1, v24, v1
	v_cndmask_b32_e32 v23, 0, v23, vcc_lo
	v_cmp_ngt_f32_e64 vcc_lo, 0xc2b17218, |v7|
	v_bfi_b32 v7, 0x7fffffff, 1.0, v7
	v_mul_f32_e32 v1, v8, v1
	s_delay_alu instid0(VALU_DEP_4) | instskip(NEXT) | instid1(VALU_DEP_1)
	v_cndmask_b32_e32 v23, 0x7f800000, v23, vcc_lo
	v_mul_f32_e32 v1, v23, v1
	s_delay_alu instid0(VALU_DEP_1)
	v_mul_f32_e32 v8, v23, v1
.LBB163_106:                            ;   in Loop: Header=BB163_4 Depth=1
	s_or_b32 exec_lo, exec_lo, s31
.LBB163_107:                            ;   in Loop: Header=BB163_4 Depth=1
	s_and_not1_saveexec_b32 s6, s30
; %bb.108:                              ;   in Loop: Header=BB163_4 Depth=1
	s_delay_alu instid0(VALU_DEP_1) | instskip(NEXT) | instid1(VALU_DEP_1)
	v_sub_f32_e32 v8, v8, v8
	v_mov_b32_e32 v7, v8
; %bb.109:                              ;   in Loop: Header=BB163_4 Depth=1
	s_or_b32 exec_lo, exec_lo, s6
.LBB163_110:                            ;   in Loop: Header=BB163_4 Depth=1
	s_and_not1_saveexec_b32 s29, s29
	s_cbranch_execz .LBB163_126
; %bb.111:                              ;   in Loop: Header=BB163_4 Depth=1
	s_delay_alu instid0(VALU_DEP_1) | instskip(SKIP_1) | instid1(VALU_DEP_1)
	v_and_b32_e32 v1, 0x7fffff, v7
	s_mov_b32 s6, exec_lo
	v_cmpx_ne_u32_e32 0, v1
	s_xor_b32 s6, exec_lo, s6
; %bb.112:                              ;   in Loop: Header=BB163_4 Depth=1
	v_mul_f32_e32 v1, v8, v7
	v_cmp_eq_f32_e32 vcc_lo, 0, v8
	s_delay_alu instid0(VALU_DEP_2)
	v_cndmask_b32_e32 v8, v1, v8, vcc_lo
; %bb.113:                              ;   in Loop: Header=BB163_4 Depth=1
	s_and_not1_saveexec_b32 s30, s6
	s_cbranch_execz .LBB163_125
; %bb.114:                              ;   in Loop: Header=BB163_4 Depth=1
	s_mov_b32 s31, exec_lo
	s_delay_alu instid0(VALU_DEP_1)
	v_cmpx_neq_f32_e64 0x7f800000, |v8|
	s_cbranch_execz .LBB163_124
; %bb.115:                              ;   in Loop: Header=BB163_4 Depth=1
	v_and_b32_e32 v23, 0x7fffffff, v8
	v_cmp_ngt_f32_e64 s33, 0x48000000, |v8|
                                        ; implicit-def: $vgpr25
                                        ; implicit-def: $vgpr24
	s_delay_alu instid0(VALU_DEP_2) | instskip(SKIP_1) | instid1(VALU_DEP_2)
	v_lshrrev_b32_e32 v1, 23, v23
	v_and_or_b32 v26, v23, s23, 0x800000
	v_add_nc_u32_e32 v27, 0xffffff88, v1
	s_delay_alu instid0(VALU_DEP_4) | instskip(NEXT) | instid1(SALU_CYCLE_1)
	s_and_saveexec_b32 s6, s33
	s_xor_b32 s34, exec_lo, s6
	s_cbranch_execz .LBB163_117
; %bb.116:                              ;   in Loop: Header=BB163_4 Depth=1
	v_mad_u64_u32 v[24:25], null, 0xfe5163ab, v26, 0
	v_cmp_lt_u32_e32 vcc_lo, 63, v27
	s_delay_alu instid0(VALU_DEP_2) | instskip(SKIP_1) | instid1(VALU_DEP_2)
	v_mov_b32_e32 v1, v25
	v_cndmask_b32_e64 v25, 0, 0xffffffc0, vcc_lo
	v_mad_u64_u32 v[28:29], null, 0x3c439041, v26, v[1:2]
	s_delay_alu instid0(VALU_DEP_2) | instskip(NEXT) | instid1(VALU_DEP_1)
	v_add_nc_u32_e32 v25, v25, v27
	v_cmp_lt_u32_e64 s6, 31, v25
	s_delay_alu instid0(VALU_DEP_3) | instskip(NEXT) | instid1(VALU_DEP_2)
	v_mov_b32_e32 v1, v29
	v_cndmask_b32_e64 v34, 0, 0xffffffe0, s6
	s_delay_alu instid0(VALU_DEP_2) | instskip(NEXT) | instid1(VALU_DEP_2)
	v_mad_u64_u32 v[29:30], null, 0xdb629599, v26, v[1:2]
	v_add_nc_u32_e32 v25, v34, v25
	s_delay_alu instid0(VALU_DEP_2) | instskip(NEXT) | instid1(VALU_DEP_2)
	v_dual_mov_b32 v1, v30 :: v_dual_cndmask_b32 v24, v29, v24
	v_cmp_lt_u32_e64 s7, 31, v25
	s_delay_alu instid0(VALU_DEP_2) | instskip(NEXT) | instid1(VALU_DEP_1)
	v_mad_u64_u32 v[30:31], null, 0xf534ddc0, v26, v[1:2]
	v_mov_b32_e32 v1, v31
	s_delay_alu instid0(VALU_DEP_1) | instskip(NEXT) | instid1(VALU_DEP_1)
	v_mad_u64_u32 v[31:32], null, 0xfc2757d1, v26, v[1:2]
	v_mov_b32_e32 v1, v32
	s_delay_alu instid0(VALU_DEP_1) | instskip(NEXT) | instid1(VALU_DEP_1)
	v_mad_u64_u32 v[32:33], null, 0x4e441529, v26, v[1:2]
	v_mov_b32_e32 v1, v33
	s_delay_alu instid0(VALU_DEP_2) | instskip(NEXT) | instid1(VALU_DEP_2)
	v_cndmask_b32_e32 v35, v32, v30, vcc_lo
	v_mad_u64_u32 v[33:34], null, 0xa2f9836e, v26, v[1:2]
	v_cndmask_b32_e64 v1, 0, 0xffffffe0, s7
	s_delay_alu instid0(VALU_DEP_1) | instskip(NEXT) | instid1(VALU_DEP_3)
	v_add_nc_u32_e32 v1, v1, v25
	v_dual_cndmask_b32 v33, v33, v31 :: v_dual_cndmask_b32 v32, v34, v32
	v_cndmask_b32_e32 v31, v31, v29, vcc_lo
	v_cndmask_b32_e32 v25, v30, v28, vcc_lo
	s_delay_alu instid0(VALU_DEP_4) | instskip(NEXT) | instid1(VALU_DEP_4)
	v_cmp_eq_u32_e64 s8, 0, v1
	v_cndmask_b32_e64 v28, v33, v35, s6
	v_cndmask_b32_e64 v30, v32, v33, s6
	;; [unrolled: 1-line block ×3, first 2 shown]
	v_sub_nc_u32_e32 v33, 32, v1
	v_cndmask_b32_e64 v31, v31, v25, s6
	v_cndmask_b32_e64 v24, v25, v24, s6
	;; [unrolled: 1-line block ×4, first 2 shown]
	s_delay_alu instid0(VALU_DEP_4) | instskip(NEXT) | instid1(VALU_DEP_4)
	v_cndmask_b32_e64 v32, v32, v31, s7
	v_cndmask_b32_e64 v24, v31, v24, s7
	s_delay_alu instid0(VALU_DEP_3) | instskip(NEXT) | instid1(VALU_DEP_3)
	v_alignbit_b32 v34, v30, v28, v33
	v_alignbit_b32 v35, v28, v32, v33
	s_delay_alu instid0(VALU_DEP_3) | instskip(NEXT) | instid1(VALU_DEP_3)
	v_alignbit_b32 v33, v32, v24, v33
	v_cndmask_b32_e64 v1, v34, v30, s8
	s_delay_alu instid0(VALU_DEP_3) | instskip(NEXT) | instid1(VALU_DEP_3)
	v_cndmask_b32_e64 v28, v35, v28, s8
	v_cndmask_b32_e64 v32, v33, v32, s8
	s_delay_alu instid0(VALU_DEP_3) | instskip(NEXT) | instid1(VALU_DEP_3)
	v_bfe_u32 v29, v1, 29, 1
	v_alignbit_b32 v25, v1, v28, 30
	s_delay_alu instid0(VALU_DEP_3) | instskip(SKIP_1) | instid1(VALU_DEP_4)
	v_alignbit_b32 v28, v28, v32, 30
	v_alignbit_b32 v24, v32, v24, 30
	v_sub_nc_u32_e32 v30, 0, v29
	s_delay_alu instid0(VALU_DEP_1) | instskip(SKIP_3) | instid1(VALU_DEP_4)
	v_xor_b32_e32 v31, v25, v30
	v_cmp_ne_u32_e32 vcc_lo, v25, v30
	v_xor_b32_e32 v28, v28, v30
	v_xor_b32_e32 v24, v24, v30
	v_clz_i32_u32_e32 v34, v31
	s_delay_alu instid0(VALU_DEP_1) | instskip(NEXT) | instid1(VALU_DEP_1)
	v_add_nc_u32_e32 v33, 1, v34
	v_cndmask_b32_e32 v25, 33, v33, vcc_lo
	s_delay_alu instid0(VALU_DEP_1) | instskip(NEXT) | instid1(VALU_DEP_1)
	v_sub_nc_u32_e32 v32, 32, v25
	v_alignbit_b32 v30, v31, v28, v32
	v_alignbit_b32 v24, v28, v24, v32
	v_lshrrev_b32_e32 v28, 29, v1
	v_lshrrev_b32_e32 v1, 30, v1
	s_delay_alu instid0(VALU_DEP_3) | instskip(NEXT) | instid1(VALU_DEP_3)
	v_alignbit_b32 v31, v30, v24, 9
	v_lshlrev_b32_e32 v28, 31, v28
	v_alignbit_b32 v30, v25, v30, 9
	s_delay_alu instid0(VALU_DEP_3) | instskip(NEXT) | instid1(VALU_DEP_2)
	v_clz_i32_u32_e32 v32, v31
	v_or_b32_e32 v30, v30, v28
	v_or_b32_e32 v28, 0x33800000, v28
	s_delay_alu instid0(VALU_DEP_3) | instskip(NEXT) | instid1(VALU_DEP_3)
	v_min_u32_e32 v32, 32, v32
	v_xor_b32_e32 v30, 1.0, v30
	s_delay_alu instid0(VALU_DEP_2) | instskip(SKIP_1) | instid1(VALU_DEP_3)
	v_sub_nc_u32_e32 v33, 31, v32
	v_add_lshl_u32 v25, v32, v25, 23
	v_mul_f32_e32 v32, 0x3fc90fda, v30
	s_delay_alu instid0(VALU_DEP_3) | instskip(NEXT) | instid1(VALU_DEP_3)
	v_alignbit_b32 v24, v31, v24, v33
	v_sub_nc_u32_e32 v25, v28, v25
	s_delay_alu instid0(VALU_DEP_3) | instskip(NEXT) | instid1(VALU_DEP_3)
	v_fma_f32 v28, 0x3fc90fda, v30, -v32
	v_lshrrev_b32_e32 v24, 9, v24
	s_delay_alu instid0(VALU_DEP_2) | instskip(NEXT) | instid1(VALU_DEP_2)
	v_fmac_f32_e32 v28, 0x33a22168, v30
	v_or_b32_e32 v24, v25, v24
	s_delay_alu instid0(VALU_DEP_1) | instskip(NEXT) | instid1(VALU_DEP_1)
	v_dual_fmac_f32 v28, 0x3fc90fda, v24 :: v_dual_add_nc_u32 v25, v29, v1
	v_add_f32_e32 v24, v32, v28
.LBB163_117:                            ;   in Loop: Header=BB163_4 Depth=1
	s_or_saveexec_b32 s6, s34
	v_mul_f32_e64 v1, 0x3f22f983, |v8|
	s_delay_alu instid0(VALU_DEP_1)
	v_rndne_f32_e32 v29, v1
	s_xor_b32 exec_lo, exec_lo, s6
; %bb.118:                              ;   in Loop: Header=BB163_4 Depth=1
	s_delay_alu instid0(VALU_DEP_1) | instskip(SKIP_1) | instid1(VALU_DEP_2)
	v_fma_f32 v24, 0xbfc90fda, v29, |v8|
	v_cvt_i32_f32_e32 v25, v29
	v_fmac_f32_e32 v24, 0xb3a22168, v29
	s_delay_alu instid0(VALU_DEP_1)
	v_fmac_f32_e32 v24, 0xa7c234c4, v29
; %bb.119:                              ;   in Loop: Header=BB163_4 Depth=1
	s_or_b32 exec_lo, exec_lo, s6
                                        ; implicit-def: $vgpr28
                                        ; implicit-def: $vgpr1
	s_and_saveexec_b32 s6, s33
	s_delay_alu instid0(SALU_CYCLE_1)
	s_xor_b32 s33, exec_lo, s6
	s_cbranch_execz .LBB163_121
; %bb.120:                              ;   in Loop: Header=BB163_4 Depth=1
	v_mad_u64_u32 v[28:29], null, 0xfe5163ab, v26, 0
	v_cmp_lt_u32_e32 vcc_lo, 63, v27
	v_cndmask_b32_e64 v34, 0, 0xffffffc0, vcc_lo
	s_delay_alu instid0(VALU_DEP_3) | instskip(NEXT) | instid1(VALU_DEP_2)
	v_mov_b32_e32 v1, v29
	v_add_nc_u32_e32 v27, v34, v27
	s_delay_alu instid0(VALU_DEP_2) | instskip(NEXT) | instid1(VALU_DEP_2)
	v_mad_u64_u32 v[29:30], null, 0x3c439041, v26, v[1:2]
	v_cmp_lt_u32_e64 s6, 31, v27
	s_delay_alu instid0(VALU_DEP_2) | instskip(NEXT) | instid1(VALU_DEP_2)
	v_mov_b32_e32 v1, v30
	v_cndmask_b32_e64 v35, 0, 0xffffffe0, s6
	s_delay_alu instid0(VALU_DEP_2) | instskip(NEXT) | instid1(VALU_DEP_2)
	v_mad_u64_u32 v[30:31], null, 0xdb629599, v26, v[1:2]
	v_add_nc_u32_e32 v27, v35, v27
	s_delay_alu instid0(VALU_DEP_1) | instskip(NEXT) | instid1(VALU_DEP_3)
	v_cmp_lt_u32_e64 s7, 31, v27
	v_dual_mov_b32 v1, v31 :: v_dual_cndmask_b32 v28, v30, v28
	s_delay_alu instid0(VALU_DEP_1) | instskip(NEXT) | instid1(VALU_DEP_1)
	v_mad_u64_u32 v[31:32], null, 0xf534ddc0, v26, v[1:2]
	v_mov_b32_e32 v1, v32
	s_delay_alu instid0(VALU_DEP_1) | instskip(NEXT) | instid1(VALU_DEP_1)
	v_mad_u64_u32 v[32:33], null, 0xfc2757d1, v26, v[1:2]
	v_mov_b32_e32 v1, v33
	;; [unrolled: 3-line block ×3, first 2 shown]
	s_delay_alu instid0(VALU_DEP_1) | instskip(SKIP_1) | instid1(VALU_DEP_4)
	v_mad_u64_u32 v[34:35], null, 0xa2f9836e, v26, v[1:2]
	v_cndmask_b32_e64 v1, 0, 0xffffffe0, s7
	v_cndmask_b32_e32 v26, v33, v31, vcc_lo
	s_delay_alu instid0(VALU_DEP_2) | instskip(NEXT) | instid1(VALU_DEP_4)
	v_dual_cndmask_b32 v34, v34, v32 :: v_dual_add_nc_u32 v1, v1, v27
	v_dual_cndmask_b32 v33, v35, v33 :: v_dual_cndmask_b32 v32, v32, v30
	v_cndmask_b32_e32 v27, v31, v29, vcc_lo
	s_delay_alu instid0(VALU_DEP_3) | instskip(NEXT) | instid1(VALU_DEP_4)
	v_cmp_eq_u32_e64 s8, 0, v1
	v_cndmask_b32_e64 v29, v34, v26, s6
	s_delay_alu instid0(VALU_DEP_4)
	v_cndmask_b32_e64 v31, v33, v34, s6
	v_cndmask_b32_e64 v26, v26, v32, s6
	v_sub_nc_u32_e32 v33, 32, v1
	v_cndmask_b32_e64 v32, v32, v27, s6
	v_cndmask_b32_e64 v27, v27, v28, s6
	;; [unrolled: 1-line block ×4, first 2 shown]
	s_delay_alu instid0(VALU_DEP_4) | instskip(NEXT) | instid1(VALU_DEP_4)
	v_cndmask_b32_e64 v26, v26, v32, s7
	v_cndmask_b32_e64 v27, v32, v27, s7
	s_delay_alu instid0(VALU_DEP_3) | instskip(NEXT) | instid1(VALU_DEP_3)
	v_alignbit_b32 v34, v31, v29, v33
	v_alignbit_b32 v35, v29, v26, v33
	s_delay_alu instid0(VALU_DEP_3) | instskip(NEXT) | instid1(VALU_DEP_3)
	v_alignbit_b32 v33, v26, v27, v33
	v_cndmask_b32_e64 v1, v34, v31, s8
	s_delay_alu instid0(VALU_DEP_3) | instskip(NEXT) | instid1(VALU_DEP_3)
	v_cndmask_b32_e64 v29, v35, v29, s8
	v_cndmask_b32_e64 v26, v33, v26, s8
	s_delay_alu instid0(VALU_DEP_3) | instskip(NEXT) | instid1(VALU_DEP_3)
	v_bfe_u32 v30, v1, 29, 1
	v_alignbit_b32 v28, v1, v29, 30
	s_delay_alu instid0(VALU_DEP_3) | instskip(SKIP_1) | instid1(VALU_DEP_4)
	v_alignbit_b32 v29, v29, v26, 30
	v_alignbit_b32 v26, v26, v27, 30
	v_sub_nc_u32_e32 v31, 0, v30
	s_delay_alu instid0(VALU_DEP_1) | instskip(SKIP_3) | instid1(VALU_DEP_4)
	v_xor_b32_e32 v32, v28, v31
	v_cmp_ne_u32_e32 vcc_lo, v28, v31
	v_xor_b32_e32 v27, v29, v31
	v_xor_b32_e32 v26, v26, v31
	v_clz_i32_u32_e32 v34, v32
	s_delay_alu instid0(VALU_DEP_1) | instskip(NEXT) | instid1(VALU_DEP_1)
	v_add_nc_u32_e32 v33, 1, v34
	v_cndmask_b32_e32 v28, 33, v33, vcc_lo
	s_delay_alu instid0(VALU_DEP_1) | instskip(NEXT) | instid1(VALU_DEP_1)
	v_sub_nc_u32_e32 v29, 32, v28
	v_alignbit_b32 v31, v32, v27, v29
	v_alignbit_b32 v26, v27, v26, v29
	v_lshrrev_b32_e32 v27, 29, v1
	s_delay_alu instid0(VALU_DEP_2) | instskip(NEXT) | instid1(VALU_DEP_2)
	v_alignbit_b32 v29, v31, v26, 9
	v_lshlrev_b32_e32 v27, 31, v27
	v_alignbit_b32 v31, v28, v31, 9
	s_delay_alu instid0(VALU_DEP_3) | instskip(NEXT) | instid1(VALU_DEP_2)
	v_clz_i32_u32_e32 v32, v29
	v_or_b32_e32 v31, v31, v27
	v_or_b32_e32 v27, 0x33800000, v27
	s_delay_alu instid0(VALU_DEP_3) | instskip(NEXT) | instid1(VALU_DEP_3)
	v_min_u32_e32 v32, 32, v32
	v_xor_b32_e32 v31, 1.0, v31
	s_delay_alu instid0(VALU_DEP_2) | instskip(SKIP_1) | instid1(VALU_DEP_3)
	v_sub_nc_u32_e32 v33, 31, v32
	v_add_lshl_u32 v28, v32, v28, 23
	v_mul_f32_e32 v32, 0x3fc90fda, v31
	s_delay_alu instid0(VALU_DEP_3) | instskip(NEXT) | instid1(VALU_DEP_3)
	v_alignbit_b32 v26, v29, v26, v33
	v_sub_nc_u32_e32 v27, v27, v28
	s_delay_alu instid0(VALU_DEP_3) | instskip(NEXT) | instid1(VALU_DEP_3)
	v_fma_f32 v28, 0x3fc90fda, v31, -v32
                                        ; implicit-def: $vgpr29
	v_lshrrev_b32_e32 v26, 9, v26
	s_delay_alu instid0(VALU_DEP_2) | instskip(NEXT) | instid1(VALU_DEP_2)
	v_fmac_f32_e32 v28, 0x33a22168, v31
	v_or_b32_e32 v26, v27, v26
	s_delay_alu instid0(VALU_DEP_1) | instskip(SKIP_1) | instid1(VALU_DEP_1)
	v_fmac_f32_e32 v28, 0x3fc90fda, v26
	v_lshrrev_b32_e32 v26, 30, v1
	v_dual_add_f32 v1, v32, v28 :: v_dual_add_nc_u32 v28, v30, v26
	s_and_not1_saveexec_b32 s6, s33
	s_cbranch_execnz .LBB163_122
	s_branch .LBB163_123
.LBB163_121:                            ;   in Loop: Header=BB163_4 Depth=1
	s_and_not1_saveexec_b32 s6, s33
.LBB163_122:                            ;   in Loop: Header=BB163_4 Depth=1
	v_fma_f32 v1, 0xbfc90fda, v29, |v8|
	v_cvt_i32_f32_e32 v28, v29
	s_delay_alu instid0(VALU_DEP_2) | instskip(NEXT) | instid1(VALU_DEP_1)
	v_fmac_f32_e32 v1, 0xb3a22168, v29
	v_fmac_f32_e32 v1, 0xa7c234c4, v29
.LBB163_123:                            ;   in Loop: Header=BB163_4 Depth=1
	s_or_b32 exec_lo, exec_lo, s6
	v_dual_mul_f32 v26, v24, v24 :: v_dual_and_b32 v27, 1, v25
	s_delay_alu instid0(VALU_DEP_2) | instskip(SKIP_1) | instid1(VALU_DEP_3)
	v_dual_mul_f32 v29, v1, v1 :: v_dual_and_b32 v32, 1, v28
	v_lshlrev_b32_e32 v28, 30, v28
	v_fmaak_f32 v30, s27, v26, 0x3c0881c4
	v_fmaak_f32 v31, s28, v26, 0xbab64f3b
	v_lshlrev_b32_e32 v25, 30, v25
	v_fmaak_f32 v33, s27, v29, 0x3c0881c4
	v_fmaak_f32 v34, s28, v29, 0xbab64f3b
	;; [unrolled: 1-line block ×4, first 2 shown]
	v_cmp_eq_u32_e32 vcc_lo, 0, v27
	v_fmaak_f32 v33, v29, v33, 0xbe2aaa9d
	v_fmaak_f32 v34, v29, v34, 0x3d2aabf7
	v_mul_f32_e32 v30, v26, v30
	v_fmaak_f32 v31, v26, v31, 0xbf000004
	v_and_b32_e32 v25, 0x80000000, v25
	s_delay_alu instid0(VALU_DEP_4) | instskip(NEXT) | instid1(VALU_DEP_4)
	v_fmaak_f32 v34, v29, v34, 0xbf000004
	v_fmac_f32_e32 v24, v24, v30
	s_delay_alu instid0(VALU_DEP_4) | instskip(SKIP_3) | instid1(VALU_DEP_3)
	v_fma_f32 v26, v26, v31, 1.0
	v_mul_f32_e32 v33, v29, v33
	v_xor_b32_e32 v23, v23, v25
	v_fma_f32 v25, v29, v34, 1.0
	v_dual_cndmask_b32 v24, v26, v24 :: v_dual_fmac_f32 v1, v1, v33
	v_and_b32_e32 v26, 0x80000000, v28
	v_cmp_eq_u32_e32 vcc_lo, 0, v32
	s_delay_alu instid0(VALU_DEP_3) | instskip(NEXT) | instid1(VALU_DEP_4)
	v_xor3_b32 v23, v23, v24, v8
	v_cndmask_b32_e64 v1, -v1, v25, vcc_lo
	v_cmp_class_f32_e64 vcc_lo, v8, 0x1f8
	s_delay_alu instid0(VALU_DEP_2) | instskip(NEXT) | instid1(VALU_DEP_1)
	v_xor_b32_e32 v1, v26, v1
	v_mul_f32_e32 v1, v23, v1
	s_delay_alu instid0(VALU_DEP_1)
	v_cndmask_b32_e32 v8, 0x7fc00000, v1, vcc_lo
.LBB163_124:                            ;   in Loop: Header=BB163_4 Depth=1
	s_or_b32 exec_lo, exec_lo, s31
	v_add_nc_u32_e32 v7, -2.0, v7
	s_delay_alu instid0(VALU_DEP_2)
	v_bfi_b32 v8, 0x7fffffff, 0, v8
.LBB163_125:                            ;   in Loop: Header=BB163_4 Depth=1
	s_or_b32 exec_lo, exec_lo, s30
.LBB163_126:                            ;   in Loop: Header=BB163_4 Depth=1
	s_delay_alu instid0(SALU_CYCLE_1) | instskip(SKIP_2) | instid1(VALU_DEP_1)
	s_or_b32 exec_lo, exec_lo, s29
	v_and_b32_e32 v1, 0x7fffffff, v13
	s_mov_b32 s6, exec_lo
	v_cmpx_gt_u32_e32 0x7f800000, v1
	s_xor_b32 s29, exec_lo, s6
	s_cbranch_execz .LBB163_137
; %bb.127:                              ;   in Loop: Header=BB163_4 Depth=1
	v_cmp_class_f32_e64 s6, v14, 0x1f8
	s_delay_alu instid0(VALU_DEP_1) | instskip(NEXT) | instid1(SALU_CYCLE_1)
	s_and_saveexec_b32 s7, s6
	s_xor_b32 s30, exec_lo, s7
	s_cbranch_execz .LBB163_164
; %bb.128:                              ;   in Loop: Header=BB163_4 Depth=1
	v_and_b32_e32 v23, 0x7fffffff, v14
	s_mov_b32 s6, exec_lo
	v_cmpx_gt_u32_e32 0x41300000, v1
	s_xor_b32 s31, exec_lo, s6
	s_cbranch_execz .LBB163_134
; %bb.129:                              ;   in Loop: Header=BB163_4 Depth=1
                                        ; implicit-def: $vgpr1
                                        ; implicit-def: $vgpr24
	s_mov_b32 s7, exec_lo
	v_cmpx_ngt_f32_e64 0x48000000, |v14|
	s_xor_b32 s33, exec_lo, s7
	s_cbranch_execz .LBB163_131
; %bb.130:                              ;   in Loop: Header=BB163_4 Depth=1
	v_and_or_b32 v32, v23, s23, 0x800000
	v_lshrrev_b32_e32 v29, 23, v23
	s_delay_alu instid0(VALU_DEP_2) | instskip(NEXT) | instid1(VALU_DEP_2)
	v_mad_u64_u32 v[24:25], null, 0xfe5163ab, v32, 0
	v_add_nc_u32_e32 v30, 0xffffff88, v29
	s_delay_alu instid0(VALU_DEP_1) | instskip(NEXT) | instid1(VALU_DEP_3)
	v_cmp_lt_u32_e32 vcc_lo, 63, v30
	v_mov_b32_e32 v1, v25
	v_cndmask_b32_e64 v31, 0, 0xffffffc0, vcc_lo
	s_delay_alu instid0(VALU_DEP_2) | instskip(NEXT) | instid1(VALU_DEP_2)
	v_mad_u64_u32 v[25:26], null, 0x3c439041, v32, v[1:2]
	v_add_nc_u32_e32 v31, v31, v30
	s_delay_alu instid0(VALU_DEP_2) | instskip(NEXT) | instid1(VALU_DEP_2)
	v_mov_b32_e32 v1, v26
	v_cmp_lt_u32_e64 s6, 31, v31
	s_delay_alu instid0(VALU_DEP_2) | instskip(NEXT) | instid1(VALU_DEP_2)
	v_mad_u64_u32 v[26:27], null, 0xdb629599, v32, v[1:2]
	v_cndmask_b32_e64 v33, 0, 0xffffffe0, s6
	s_delay_alu instid0(VALU_DEP_1) | instskip(NEXT) | instid1(VALU_DEP_3)
	v_add_nc_u32_e32 v33, v33, v31
	v_dual_mov_b32 v1, v27 :: v_dual_cndmask_b32 v24, v26, v24
	s_delay_alu instid0(VALU_DEP_2) | instskip(NEXT) | instid1(VALU_DEP_2)
	v_cmp_lt_u32_e64 s7, 31, v33
	v_mad_u64_u32 v[27:28], null, 0xf534ddc0, v32, v[1:2]
	s_delay_alu instid0(VALU_DEP_1) | instskip(NEXT) | instid1(VALU_DEP_2)
	v_mov_b32_e32 v1, v28
	v_cndmask_b32_e32 v25, v27, v25, vcc_lo
	s_delay_alu instid0(VALU_DEP_2) | instskip(NEXT) | instid1(VALU_DEP_2)
	v_mad_u64_u32 v[28:29], null, 0xfc2757d1, v32, v[1:2]
	v_cndmask_b32_e64 v24, v25, v24, s6
	s_delay_alu instid0(VALU_DEP_2) | instskip(NEXT) | instid1(VALU_DEP_1)
	v_mov_b32_e32 v1, v29
	v_mad_u64_u32 v[29:30], null, 0x4e441529, v32, v[1:2]
	s_delay_alu instid0(VALU_DEP_1) | instskip(NEXT) | instid1(VALU_DEP_1)
	v_mov_b32_e32 v1, v30
	v_mad_u64_u32 v[30:31], null, 0xa2f9836e, v32, v[1:2]
	v_cndmask_b32_e64 v1, 0, 0xffffffe0, s7
	s_delay_alu instid0(VALU_DEP_4) | instskip(NEXT) | instid1(VALU_DEP_2)
	v_cndmask_b32_e32 v32, v29, v27, vcc_lo
	v_dual_cndmask_b32 v30, v30, v28 :: v_dual_add_nc_u32 v1, v1, v33
	s_delay_alu instid0(VALU_DEP_4) | instskip(NEXT) | instid1(VALU_DEP_2)
	v_dual_cndmask_b32 v29, v31, v29 :: v_dual_cndmask_b32 v28, v28, v26
	v_sub_nc_u32_e32 v31, 32, v1
	s_delay_alu instid0(VALU_DEP_3) | instskip(NEXT) | instid1(VALU_DEP_3)
	v_cndmask_b32_e64 v27, v30, v32, s6
	v_cndmask_b32_e64 v29, v29, v30, s6
	s_delay_alu instid0(VALU_DEP_4) | instskip(SKIP_2) | instid1(VALU_DEP_4)
	v_cndmask_b32_e64 v30, v32, v28, s6
	v_cndmask_b32_e64 v28, v28, v25, s6
	v_cmp_eq_u32_e64 s8, 0, v1
	v_cndmask_b32_e64 v29, v29, v27, s7
	s_delay_alu instid0(VALU_DEP_4) | instskip(NEXT) | instid1(VALU_DEP_4)
	v_cndmask_b32_e64 v27, v27, v30, s7
	v_cndmask_b32_e64 v30, v30, v28, s7
	;; [unrolled: 1-line block ×3, first 2 shown]
	s_delay_alu instid0(VALU_DEP_3) | instskip(NEXT) | instid1(VALU_DEP_3)
	v_alignbit_b32 v32, v29, v27, v31
	v_alignbit_b32 v33, v27, v30, v31
	s_delay_alu instid0(VALU_DEP_3) | instskip(NEXT) | instid1(VALU_DEP_3)
	v_alignbit_b32 v31, v30, v24, v31
	v_cndmask_b32_e64 v1, v32, v29, s8
	s_delay_alu instid0(VALU_DEP_3) | instskip(NEXT) | instid1(VALU_DEP_3)
	v_cndmask_b32_e64 v26, v33, v27, s8
	v_cndmask_b32_e64 v30, v31, v30, s8
	s_delay_alu instid0(VALU_DEP_3) | instskip(NEXT) | instid1(VALU_DEP_3)
	v_bfe_u32 v27, v1, 29, 1
	v_alignbit_b32 v25, v1, v26, 30
	s_delay_alu instid0(VALU_DEP_3) | instskip(SKIP_1) | instid1(VALU_DEP_4)
	v_alignbit_b32 v26, v26, v30, 30
	v_alignbit_b32 v24, v30, v24, 30
	v_sub_nc_u32_e32 v29, 0, v27
	s_delay_alu instid0(VALU_DEP_1) | instskip(SKIP_3) | instid1(VALU_DEP_4)
	v_xor_b32_e32 v28, v25, v29
	v_cmp_ne_u32_e32 vcc_lo, v25, v29
	v_xor_b32_e32 v26, v26, v29
	v_xor_b32_e32 v24, v24, v29
	v_clz_i32_u32_e32 v32, v28
	s_delay_alu instid0(VALU_DEP_1) | instskip(NEXT) | instid1(VALU_DEP_1)
	v_add_nc_u32_e32 v31, 1, v32
	v_cndmask_b32_e32 v25, 33, v31, vcc_lo
	s_delay_alu instid0(VALU_DEP_1) | instskip(NEXT) | instid1(VALU_DEP_1)
	v_sub_nc_u32_e32 v30, 32, v25
	v_alignbit_b32 v28, v28, v26, v30
	v_alignbit_b32 v24, v26, v24, v30
	v_lshrrev_b32_e32 v26, 29, v1
	v_lshrrev_b32_e32 v1, 30, v1
	s_delay_alu instid0(VALU_DEP_3) | instskip(NEXT) | instid1(VALU_DEP_3)
	v_alignbit_b32 v29, v28, v24, 9
	v_lshlrev_b32_e32 v26, 31, v26
	v_alignbit_b32 v28, v25, v28, 9
	s_delay_alu instid0(VALU_DEP_4) | instskip(NEXT) | instid1(VALU_DEP_4)
	v_add_nc_u32_e32 v1, v27, v1
	v_clz_i32_u32_e32 v30, v29
	s_delay_alu instid0(VALU_DEP_3) | instskip(SKIP_1) | instid1(VALU_DEP_3)
	v_or_b32_e32 v28, v28, v26
	v_or_b32_e32 v26, 0x33800000, v26
	v_min_u32_e32 v30, 32, v30
	s_delay_alu instid0(VALU_DEP_3) | instskip(NEXT) | instid1(VALU_DEP_2)
	v_xor_b32_e32 v28, 1.0, v28
	v_sub_nc_u32_e32 v31, 31, v30
	v_add_lshl_u32 v25, v30, v25, 23
	s_delay_alu instid0(VALU_DEP_3) | instskip(NEXT) | instid1(VALU_DEP_3)
	v_mul_f32_e32 v30, 0x3fc90fda, v28
	v_alignbit_b32 v24, v29, v24, v31
	s_delay_alu instid0(VALU_DEP_3) | instskip(NEXT) | instid1(VALU_DEP_3)
	v_sub_nc_u32_e32 v25, v26, v25
	v_fma_f32 v26, 0x3fc90fda, v28, -v30
	s_delay_alu instid0(VALU_DEP_3) | instskip(NEXT) | instid1(VALU_DEP_2)
	v_lshrrev_b32_e32 v24, 9, v24
	v_fmac_f32_e32 v26, 0x33a22168, v28
	s_delay_alu instid0(VALU_DEP_2) | instskip(NEXT) | instid1(VALU_DEP_1)
	v_or_b32_e32 v24, v25, v24
	v_fmac_f32_e32 v26, 0x3fc90fda, v24
	s_delay_alu instid0(VALU_DEP_1)
	v_add_f32_e32 v24, v30, v26
.LBB163_131:                            ;   in Loop: Header=BB163_4 Depth=1
	s_and_not1_saveexec_b32 s6, s33
; %bb.132:                              ;   in Loop: Header=BB163_4 Depth=1
	v_mul_f32_e64 v1, 0x3f22f983, |v14|
	s_delay_alu instid0(VALU_DEP_1) | instskip(NEXT) | instid1(VALU_DEP_1)
	v_rndne_f32_e32 v1, v1
	v_fma_f32 v24, 0xbfc90fda, v1, |v14|
	s_delay_alu instid0(VALU_DEP_1) | instskip(NEXT) | instid1(VALU_DEP_1)
	v_fmac_f32_e32 v24, 0xb3a22168, v1
	v_fmac_f32_e32 v24, 0xa7c234c4, v1
	v_cvt_i32_f32_e32 v1, v1
; %bb.133:                              ;   in Loop: Header=BB163_4 Depth=1
	s_or_b32 exec_lo, exec_lo, s6
	v_add_f32_e64 v25, 0xbf317218, |v13|
	v_cmp_nlt_f32_e64 vcc_lo, 0x42b2d4fc, |v13|
	v_cmp_gt_f32_e64 s6, 0x39800000, |v13|
	v_and_b32_e32 v1, 1, v1
	s_delay_alu instid0(VALU_DEP_4) | instskip(NEXT) | instid1(VALU_DEP_1)
	v_sub_f32_e64 v26, v25, |v13|
	v_dual_sub_f32 v27, v26, v25 :: v_dual_add_f32 v26, 0x3f317218, v26
	s_delay_alu instid0(VALU_DEP_1) | instskip(NEXT) | instid1(VALU_DEP_1)
	v_add_f32_e64 v27, |v13|, v27
	v_sub_f32_e32 v26, v27, v26
	s_delay_alu instid0(VALU_DEP_1) | instskip(NEXT) | instid1(VALU_DEP_1)
	v_add_f32_e32 v26, 0x3102e308, v26
	v_add_f32_e32 v27, v25, v26
	s_delay_alu instid0(VALU_DEP_1) | instskip(NEXT) | instid1(VALU_DEP_1)
	v_sub_f32_e32 v25, v25, v27
	v_dual_mul_f32 v28, 0x3fb8aa3b, v27 :: v_dual_add_f32 v25, v26, v25
	s_delay_alu instid0(VALU_DEP_1) | instskip(NEXT) | instid1(VALU_DEP_1)
	v_rndne_f32_e32 v28, v28
	v_mul_f32_e32 v26, 0x35bfbc00, v28
	v_fmac_f32_e32 v27, 0xbf317200, v28
	s_delay_alu instid0(VALU_DEP_1) | instskip(NEXT) | instid1(VALU_DEP_1)
	v_add_f32_e32 v29, v25, v27
	v_dual_sub_f32 v30, v29, v26 :: v_dual_sub_f32 v27, v27, v29
	s_delay_alu instid0(VALU_DEP_1) | instskip(NEXT) | instid1(VALU_DEP_1)
	v_sub_f32_e32 v29, v29, v30
	v_sub_f32_e32 v26, v29, v26
	s_delay_alu instid0(VALU_DEP_3) | instskip(NEXT) | instid1(VALU_DEP_1)
	v_add_f32_e32 v25, v25, v27
	v_dual_add_f32 v25, v25, v26 :: v_dual_mul_f32 v26, 0x2ea39ef3, v28
	s_delay_alu instid0(VALU_DEP_1) | instskip(NEXT) | instid1(VALU_DEP_1)
	v_add_f32_e32 v27, v30, v25
	v_dual_sub_f32 v29, v27, v26 :: v_dual_sub_f32 v30, v30, v27
	s_delay_alu instid0(VALU_DEP_1) | instskip(NEXT) | instid1(VALU_DEP_2)
	v_sub_f32_e32 v27, v27, v29
	v_add_f32_e32 v25, v25, v30
	s_delay_alu instid0(VALU_DEP_2) | instskip(NEXT) | instid1(VALU_DEP_1)
	v_sub_f32_e32 v26, v27, v26
	v_add_f32_e32 v25, v25, v26
	s_delay_alu instid0(VALU_DEP_1) | instskip(NEXT) | instid1(VALU_DEP_1)
	v_add_f32_e32 v26, v29, v25
	v_sub_f32_e32 v27, v29, v26
	v_mul_f32_e32 v29, v26, v26
	s_delay_alu instid0(VALU_DEP_2) | instskip(SKIP_1) | instid1(VALU_DEP_3)
	v_add_f32_e32 v25, v25, v27
	v_fmaak_f32 v27, s26, v26, 0x3c091de6
	v_fma_f32 v30, v26, v26, -v29
	s_delay_alu instid0(VALU_DEP_3) | instskip(NEXT) | instid1(VALU_DEP_3)
	v_add_f32_e32 v31, v25, v25
	v_fmaak_f32 v27, v26, v27, 0x3d2aadcc
	s_delay_alu instid0(VALU_DEP_2) | instskip(NEXT) | instid1(VALU_DEP_2)
	v_fmac_f32_e32 v30, v26, v31
	v_fmaak_f32 v27, v26, v27, 0x3e2aaa47
	s_delay_alu instid0(VALU_DEP_2) | instskip(NEXT) | instid1(VALU_DEP_2)
	v_add_f32_e32 v31, v29, v30
	v_fmaak_f32 v27, v26, v27, 0x3efffffc
	s_delay_alu instid0(VALU_DEP_2) | instskip(NEXT) | instid1(VALU_DEP_1)
	v_sub_f32_e32 v29, v31, v29
	v_dual_mul_f32 v32, v27, v31 :: v_dual_sub_f32 v29, v30, v29
	s_delay_alu instid0(VALU_DEP_1) | instskip(NEXT) | instid1(VALU_DEP_1)
	v_fma_f32 v30, v31, v27, -v32
	v_fmac_f32_e32 v30, v29, v27
	s_delay_alu instid0(VALU_DEP_1) | instskip(NEXT) | instid1(VALU_DEP_1)
	v_add_f32_e32 v27, v32, v30
	v_sub_f32_e32 v31, v27, v32
	v_add_f32_e32 v29, v26, v27
	s_delay_alu instid0(VALU_DEP_2) | instskip(NEXT) | instid1(VALU_DEP_2)
	v_sub_f32_e32 v30, v30, v31
	v_sub_f32_e32 v26, v29, v26
	s_delay_alu instid0(VALU_DEP_1) | instskip(NEXT) | instid1(VALU_DEP_3)
	v_sub_f32_e32 v26, v27, v26
	v_add_f32_e32 v25, v25, v30
	s_delay_alu instid0(VALU_DEP_1) | instskip(NEXT) | instid1(VALU_DEP_1)
	v_add_f32_e32 v25, v25, v26
	v_add_f32_e32 v26, v29, v25
	s_delay_alu instid0(VALU_DEP_1) | instskip(NEXT) | instid1(VALU_DEP_1)
	v_add_f32_e32 v27, 1.0, v26
	v_dual_sub_f32 v29, v26, v29 :: v_dual_add_f32 v30, -1.0, v27
	s_delay_alu instid0(VALU_DEP_1) | instskip(NEXT) | instid1(VALU_DEP_1)
	v_dual_sub_f32 v25, v25, v29 :: v_dual_sub_f32 v26, v26, v30
	v_add_f32_e32 v25, v25, v26
	v_cvt_i32_f32_e32 v26, v28
	s_delay_alu instid0(VALU_DEP_2) | instskip(NEXT) | instid1(VALU_DEP_1)
	v_add_f32_e32 v28, v27, v25
	v_ldexp_f32 v29, v28, v26
	s_delay_alu instid0(VALU_DEP_1) | instskip(SKIP_1) | instid1(VALU_DEP_1)
	v_rcp_f32_e32 v30, v29
	v_sub_f32_e32 v27, v28, v27
	v_sub_f32_e32 v25, v25, v27
	s_waitcnt_depctr 0xfff
	v_mul_f32_e32 v27, v29, v30
	v_ldexp_f32 v25, v25, v26
	s_delay_alu instid0(VALU_DEP_2) | instskip(NEXT) | instid1(VALU_DEP_1)
	v_fma_f32 v26, v30, v29, -v27
	v_fmac_f32_e32 v26, v30, v25
	s_delay_alu instid0(VALU_DEP_1) | instskip(NEXT) | instid1(VALU_DEP_1)
	v_add_f32_e32 v28, v27, v26
	v_sub_f32_e32 v31, 1.0, v28
	v_sub_f32_e32 v27, v28, v27
	s_delay_alu instid0(VALU_DEP_2) | instskip(NEXT) | instid1(VALU_DEP_1)
	v_sub_f32_e32 v32, 1.0, v31
	v_dual_sub_f32 v26, v27, v26 :: v_dual_sub_f32 v27, v32, v28
	s_delay_alu instid0(VALU_DEP_1) | instskip(NEXT) | instid1(VALU_DEP_1)
	v_add_f32_e32 v26, v26, v27
	v_add_f32_e32 v27, v31, v26
	s_delay_alu instid0(VALU_DEP_1) | instskip(NEXT) | instid1(VALU_DEP_1)
	v_mul_f32_e32 v28, v30, v27
	v_dual_sub_f32 v31, v31, v27 :: v_dual_mul_f32 v32, v29, v28
	s_delay_alu instid0(VALU_DEP_1) | instskip(NEXT) | instid1(VALU_DEP_2)
	v_add_f32_e32 v26, v26, v31
	v_fma_f32 v33, v28, v29, -v32
	s_delay_alu instid0(VALU_DEP_1) | instskip(NEXT) | instid1(VALU_DEP_1)
	v_fmac_f32_e32 v33, v28, v25
	v_add_f32_e32 v34, v32, v33
	s_delay_alu instid0(VALU_DEP_1) | instskip(SKIP_1) | instid1(VALU_DEP_2)
	v_sub_f32_e32 v35, v27, v34
	v_sub_f32_e32 v31, v34, v32
	;; [unrolled: 1-line block ×3, first 2 shown]
	s_delay_alu instid0(VALU_DEP_2) | instskip(NEXT) | instid1(VALU_DEP_2)
	v_sub_f32_e32 v31, v31, v33
	v_sub_f32_e32 v27, v27, v34
	s_delay_alu instid0(VALU_DEP_1) | instskip(NEXT) | instid1(VALU_DEP_1)
	v_add_f32_e32 v26, v26, v27
	v_dual_add_f32 v27, v30, v28 :: v_dual_add_f32 v26, v31, v26
	s_delay_alu instid0(VALU_DEP_1) | instskip(NEXT) | instid1(VALU_DEP_2)
	v_sub_f32_e32 v31, v27, v30
	v_add_f32_e32 v26, v35, v26
	s_delay_alu instid0(VALU_DEP_2) | instskip(NEXT) | instid1(VALU_DEP_2)
	v_sub_f32_e32 v28, v28, v31
	v_mul_f32_e32 v26, v30, v26
	s_delay_alu instid0(VALU_DEP_1) | instskip(NEXT) | instid1(VALU_DEP_1)
	v_add_f32_e32 v26, v28, v26
	v_add_f32_e32 v28, v27, v26
	s_delay_alu instid0(VALU_DEP_1) | instskip(SKIP_1) | instid1(VALU_DEP_1)
	v_ldexp_f32 v30, v28, -2
	v_sub_f32_e32 v27, v28, v27
	v_dual_sub_f32 v31, v29, v30 :: v_dual_sub_f32 v26, v26, v27
	s_delay_alu instid0(VALU_DEP_1) | instskip(NEXT) | instid1(VALU_DEP_2)
	v_sub_f32_e32 v28, v29, v31
	v_ldexp_f32 v26, v26, -2
	s_delay_alu instid0(VALU_DEP_2) | instskip(NEXT) | instid1(VALU_DEP_1)
	v_sub_f32_e32 v27, v28, v30
	v_add_f32_e32 v25, v25, v27
	s_delay_alu instid0(VALU_DEP_1) | instskip(NEXT) | instid1(VALU_DEP_1)
	v_dual_sub_f32 v25, v25, v26 :: v_dual_mul_f32 v26, v24, v24
	v_add_f32_e32 v25, v31, v25
	s_delay_alu instid0(VALU_DEP_2) | instskip(NEXT) | instid1(VALU_DEP_2)
	v_fmaak_f32 v27, s25, v26, 0xbf039337
	v_cndmask_b32_e32 v25, 0x7f800000, v25, vcc_lo
	s_delay_alu instid0(VALU_DEP_2) | instskip(NEXT) | instid1(VALU_DEP_2)
	v_fmaak_f32 v27, v26, v27, 0x3f93f425
	v_cndmask_b32_e64 v25, v25, |v13|, s6
	s_delay_alu instid0(VALU_DEP_2) | instskip(NEXT) | instid1(VALU_DEP_1)
	v_rcp_f32_e32 v27, v27
	v_bfi_b32 v13, 0x7fffffff, v25, v13
	v_fmaak_f32 v25, s24, v26, 0x3ec54587
	s_delay_alu instid0(VALU_DEP_2) | instskip(SKIP_4) | instid1(VALU_DEP_2)
	v_fma_f32 v28, v13, v13, 1.0
	s_waitcnt_depctr 0xfff
	v_mul_f32_e32 v25, v25, v27
	v_mul_f32_e32 v27, 0x4f800000, v28
	v_cmp_gt_f32_e32 vcc_lo, 0xf800000, v28
	v_dual_mul_f32 v25, v26, v25 :: v_dual_cndmask_b32 v26, v28, v27
	s_delay_alu instid0(VALU_DEP_1) | instskip(NEXT) | instid1(VALU_DEP_2)
	v_fma_f32 v27, v25, v24, v24
	v_sqrt_f32_e32 v28, v26
	s_delay_alu instid0(VALU_DEP_1) | instskip(SKIP_1) | instid1(VALU_DEP_1)
	v_rcp_f32_e32 v29, v27
	v_sub_f32_e32 v30, v27, v24
	v_fma_f32 v24, v25, v24, -v30
	s_waitcnt_depctr 0xfff
	v_add_nc_u32_e32 v31, -1, v28
	v_fma_f32 v25, v27, -v29, 1.0
	v_add_nc_u32_e32 v30, 1, v28
	s_delay_alu instid0(VALU_DEP_3) | instskip(NEXT) | instid1(VALU_DEP_3)
	v_fma_f32 v32, -v31, v28, v26
	v_fma_f32 v24, v24, -v29, v25
	s_delay_alu instid0(VALU_DEP_3) | instskip(NEXT) | instid1(VALU_DEP_3)
	v_fma_f32 v25, -v30, v28, v26
	v_cmp_ge_f32_e64 s6, 0, v32
	s_delay_alu instid0(VALU_DEP_3) | instskip(NEXT) | instid1(VALU_DEP_2)
	v_fma_f32 v24, v24, -v29, -v29
	v_cndmask_b32_e64 v28, v28, v31, s6
	s_delay_alu instid0(VALU_DEP_4) | instskip(NEXT) | instid1(VALU_DEP_1)
	v_cmp_lt_f32_e64 s6, 0, v25
	v_cndmask_b32_e64 v25, v28, v30, s6
	v_cmp_eq_u32_e64 s6, 0, v1
	s_delay_alu instid0(VALU_DEP_1) | instskip(NEXT) | instid1(VALU_DEP_3)
	v_cndmask_b32_e64 v1, v24, v27, s6
	v_mul_f32_e32 v24, 0x37800000, v25
	s_delay_alu instid0(VALU_DEP_2) | instskip(NEXT) | instid1(VALU_DEP_2)
	v_xor3_b32 v1, v23, v1, v14
	v_cndmask_b32_e32 v14, v25, v24, vcc_lo
	v_cmp_class_f32_e64 vcc_lo, v26, 0x260
	s_delay_alu instid0(VALU_DEP_3) | instskip(NEXT) | instid1(VALU_DEP_3)
	v_fma_f32 v23, v1, v1, 1.0
	v_cndmask_b32_e32 v14, v14, v26, vcc_lo
	s_delay_alu instid0(VALU_DEP_2) | instskip(NEXT) | instid1(VALU_DEP_2)
	v_mul_f32_e32 v24, v13, v23
	v_mul_f32_e32 v14, v14, v23
	s_delay_alu instid0(VALU_DEP_2) | instskip(NEXT) | instid1(VALU_DEP_2)
	v_fma_f32 v23, v13, v24, 1.0
	v_mul_f32_e32 v13, v13, v14
	s_delay_alu instid0(VALU_DEP_2) | instskip(NEXT) | instid1(VALU_DEP_2)
	v_div_scale_f32 v24, null, v23, v23, v1
	v_div_scale_f32 v14, null, v23, v23, v13
	v_div_scale_f32 v29, vcc_lo, v13, v23, v13
	s_delay_alu instid0(VALU_DEP_3) | instskip(NEXT) | instid1(VALU_DEP_2)
	v_rcp_f32_e32 v26, v24
	v_rcp_f32_e32 v25, v14
	s_waitcnt_depctr 0xfff
	v_fma_f32 v28, -v24, v26, 1.0
	v_fma_f32 v27, -v14, v25, 1.0
	s_delay_alu instid0(VALU_DEP_1) | instskip(SKIP_1) | instid1(VALU_DEP_2)
	v_dual_fmac_f32 v26, v28, v26 :: v_dual_fmac_f32 v25, v27, v25
	v_div_scale_f32 v27, s6, v1, v23, v1
	v_mul_f32_e32 v28, v29, v25
	s_delay_alu instid0(VALU_DEP_2) | instskip(NEXT) | instid1(VALU_DEP_2)
	v_mul_f32_e32 v30, v27, v26
	v_fma_f32 v31, -v14, v28, v29
	s_delay_alu instid0(VALU_DEP_2) | instskip(NEXT) | instid1(VALU_DEP_2)
	v_fma_f32 v32, -v24, v30, v27
	v_fmac_f32_e32 v28, v31, v25
	s_delay_alu instid0(VALU_DEP_2) | instskip(NEXT) | instid1(VALU_DEP_2)
	v_fmac_f32_e32 v30, v32, v26
	v_fma_f32 v14, -v14, v28, v29
	s_delay_alu instid0(VALU_DEP_2) | instskip(NEXT) | instid1(VALU_DEP_2)
	v_fma_f32 v24, -v24, v30, v27
	v_div_fmas_f32 v14, v14, v25, v28
	s_mov_b32 vcc_lo, s6
	s_delay_alu instid0(VALU_DEP_2) | instskip(NEXT) | instid1(VALU_DEP_2)
	v_div_fmas_f32 v24, v24, v26, v30
	v_div_fixup_f32 v13, v14, v23, v13
	s_delay_alu instid0(VALU_DEP_2)
	v_div_fixup_f32 v14, v24, v23, v1
                                        ; implicit-def: $vgpr23
.LBB163_134:                            ;   in Loop: Header=BB163_4 Depth=1
	s_and_not1_saveexec_b32 s31, s31
	s_cbranch_execz .LBB163_163
; %bb.135:                              ;   in Loop: Header=BB163_4 Depth=1
	v_lshrrev_b32_e32 v1, 23, v23
	s_delay_alu instid0(VALU_DEP_2) | instskip(SKIP_1) | instid1(VALU_DEP_3)
	v_cmp_ngt_f32_e64 s33, 0x48000000, |v14|
	v_and_or_b32 v25, v23, s23, 0x800000
                                        ; implicit-def: $vgpr26
                                        ; implicit-def: $vgpr24
	v_add_nc_u32_e32 v27, 0xffffff88, v1
	s_delay_alu instid0(VALU_DEP_3) | instskip(NEXT) | instid1(SALU_CYCLE_1)
	s_and_saveexec_b32 s6, s33
	s_xor_b32 s34, exec_lo, s6
	s_cbranch_execz .LBB163_148
; %bb.136:                              ;   in Loop: Header=BB163_4 Depth=1
	v_mad_u64_u32 v[28:29], null, 0xfe5163ab, v25, 0
	v_cmp_lt_u32_e32 vcc_lo, 63, v27
	v_cndmask_b32_e64 v24, 0, 0xffffffc0, vcc_lo
	s_delay_alu instid0(VALU_DEP_1) | instskip(NEXT) | instid1(VALU_DEP_1)
	v_dual_mov_b32 v1, v29 :: v_dual_add_nc_u32 v24, v24, v27
	v_mad_u64_u32 v[29:30], null, 0x3c439041, v25, v[1:2]
	s_delay_alu instid0(VALU_DEP_2) | instskip(NEXT) | instid1(VALU_DEP_2)
	v_cmp_lt_u32_e64 s6, 31, v24
	v_mov_b32_e32 v1, v30
	s_delay_alu instid0(VALU_DEP_2) | instskip(NEXT) | instid1(VALU_DEP_2)
	v_cndmask_b32_e64 v26, 0, 0xffffffe0, s6
	v_mad_u64_u32 v[30:31], null, 0xdb629599, v25, v[1:2]
	s_delay_alu instid0(VALU_DEP_2) | instskip(NEXT) | instid1(VALU_DEP_1)
	v_add_nc_u32_e32 v24, v26, v24
	v_cmp_lt_u32_e64 s7, 31, v24
	s_delay_alu instid0(VALU_DEP_3) | instskip(NEXT) | instid1(VALU_DEP_1)
	v_dual_mov_b32 v1, v31 :: v_dual_cndmask_b32 v28, v30, v28
	v_mad_u64_u32 v[31:32], null, 0xf534ddc0, v25, v[1:2]
	s_delay_alu instid0(VALU_DEP_1) | instskip(NEXT) | instid1(VALU_DEP_1)
	v_mov_b32_e32 v1, v32
	v_mad_u64_u32 v[32:33], null, 0xfc2757d1, v25, v[1:2]
	s_delay_alu instid0(VALU_DEP_1) | instskip(NEXT) | instid1(VALU_DEP_1)
	v_mov_b32_e32 v1, v33
	v_mad_u64_u32 v[33:34], null, 0x4e441529, v25, v[1:2]
	s_delay_alu instid0(VALU_DEP_1) | instskip(NEXT) | instid1(VALU_DEP_1)
	v_dual_mov_b32 v1, v34 :: v_dual_cndmask_b32 v26, v33, v31
	v_mad_u64_u32 v[34:35], null, 0xa2f9836e, v25, v[1:2]
	v_cndmask_b32_e64 v1, 0, 0xffffffe0, s7
	s_delay_alu instid0(VALU_DEP_1) | instskip(NEXT) | instid1(VALU_DEP_3)
	v_add_nc_u32_e32 v1, v1, v24
	v_dual_cndmask_b32 v34, v34, v32 :: v_dual_cndmask_b32 v33, v35, v33
	v_cndmask_b32_e32 v32, v32, v30, vcc_lo
	v_cndmask_b32_e32 v24, v31, v29, vcc_lo
	s_delay_alu instid0(VALU_DEP_4) | instskip(NEXT) | instid1(VALU_DEP_4)
	v_cmp_eq_u32_e64 s8, 0, v1
	v_cndmask_b32_e64 v29, v34, v26, s6
	v_cndmask_b32_e64 v31, v33, v34, s6
	;; [unrolled: 1-line block ×3, first 2 shown]
	v_sub_nc_u32_e32 v33, 32, v1
	v_cndmask_b32_e64 v32, v32, v24, s6
	v_cndmask_b32_e64 v24, v24, v28, s6
	;; [unrolled: 1-line block ×4, first 2 shown]
	s_delay_alu instid0(VALU_DEP_4) | instskip(NEXT) | instid1(VALU_DEP_4)
	v_cndmask_b32_e64 v26, v26, v32, s7
	v_cndmask_b32_e64 v24, v32, v24, s7
	s_delay_alu instid0(VALU_DEP_3) | instskip(NEXT) | instid1(VALU_DEP_3)
	v_alignbit_b32 v34, v31, v29, v33
	v_alignbit_b32 v35, v29, v26, v33
	s_delay_alu instid0(VALU_DEP_3) | instskip(NEXT) | instid1(VALU_DEP_3)
	v_alignbit_b32 v33, v26, v24, v33
	v_cndmask_b32_e64 v1, v34, v31, s8
	s_delay_alu instid0(VALU_DEP_3) | instskip(NEXT) | instid1(VALU_DEP_3)
	v_cndmask_b32_e64 v29, v35, v29, s8
	v_cndmask_b32_e64 v26, v33, v26, s8
	s_delay_alu instid0(VALU_DEP_3) | instskip(NEXT) | instid1(VALU_DEP_3)
	v_bfe_u32 v30, v1, 29, 1
	v_alignbit_b32 v28, v1, v29, 30
	s_delay_alu instid0(VALU_DEP_3) | instskip(SKIP_1) | instid1(VALU_DEP_4)
	v_alignbit_b32 v29, v29, v26, 30
	v_alignbit_b32 v24, v26, v24, 30
	v_sub_nc_u32_e32 v31, 0, v30
	s_delay_alu instid0(VALU_DEP_1) | instskip(SKIP_3) | instid1(VALU_DEP_4)
	v_xor_b32_e32 v32, v28, v31
	v_cmp_ne_u32_e32 vcc_lo, v28, v31
	v_xor_b32_e32 v26, v29, v31
	v_xor_b32_e32 v24, v24, v31
	v_clz_i32_u32_e32 v34, v32
	s_delay_alu instid0(VALU_DEP_1) | instskip(NEXT) | instid1(VALU_DEP_1)
	v_add_nc_u32_e32 v33, 1, v34
	v_cndmask_b32_e32 v28, 33, v33, vcc_lo
	s_delay_alu instid0(VALU_DEP_1) | instskip(NEXT) | instid1(VALU_DEP_1)
	v_sub_nc_u32_e32 v29, 32, v28
	v_alignbit_b32 v31, v32, v26, v29
	v_alignbit_b32 v24, v26, v24, v29
	v_lshrrev_b32_e32 v26, 29, v1
	v_lshrrev_b32_e32 v1, 30, v1
	s_delay_alu instid0(VALU_DEP_3) | instskip(NEXT) | instid1(VALU_DEP_3)
	v_alignbit_b32 v29, v31, v24, 9
	v_lshlrev_b32_e32 v26, 31, v26
	v_alignbit_b32 v31, v28, v31, 9
	s_delay_alu instid0(VALU_DEP_3) | instskip(NEXT) | instid1(VALU_DEP_2)
	v_clz_i32_u32_e32 v32, v29
	v_or_b32_e32 v31, v31, v26
	v_or_b32_e32 v26, 0x33800000, v26
	s_delay_alu instid0(VALU_DEP_3) | instskip(NEXT) | instid1(VALU_DEP_3)
	v_min_u32_e32 v32, 32, v32
	v_xor_b32_e32 v31, 1.0, v31
	s_delay_alu instid0(VALU_DEP_2) | instskip(SKIP_1) | instid1(VALU_DEP_3)
	v_sub_nc_u32_e32 v33, 31, v32
	v_add_lshl_u32 v28, v32, v28, 23
	v_mul_f32_e32 v32, 0x3fc90fda, v31
	s_delay_alu instid0(VALU_DEP_3) | instskip(NEXT) | instid1(VALU_DEP_3)
	v_alignbit_b32 v24, v29, v24, v33
	v_sub_nc_u32_e32 v26, v26, v28
	s_delay_alu instid0(VALU_DEP_3) | instskip(NEXT) | instid1(VALU_DEP_3)
	v_fma_f32 v28, 0x3fc90fda, v31, -v32
	v_lshrrev_b32_e32 v24, 9, v24
	s_delay_alu instid0(VALU_DEP_2) | instskip(NEXT) | instid1(VALU_DEP_2)
	v_fmac_f32_e32 v28, 0x33a22168, v31
	v_or_b32_e32 v24, v26, v24
	v_add_nc_u32_e32 v26, v30, v1
	s_delay_alu instid0(VALU_DEP_2) | instskip(NEXT) | instid1(VALU_DEP_1)
	v_fmac_f32_e32 v28, 0x3fc90fda, v24
	v_add_f32_e32 v24, v32, v28
	s_and_not1_saveexec_b32 s6, s34
	s_branch .LBB163_149
.LBB163_137:                            ;   in Loop: Header=BB163_4 Depth=1
	s_and_not1_saveexec_b32 s29, s29
	s_cbranch_execz .LBB163_167
.LBB163_138:                            ;   in Loop: Header=BB163_4 Depth=1
	s_delay_alu instid0(VALU_DEP_1) | instskip(SKIP_1) | instid1(VALU_DEP_1)
	v_and_b32_e32 v1, 0x7fffff, v13
	s_mov_b32 s6, exec_lo
	v_cmpx_ne_u32_e32 0, v1
	s_xor_b32 s6, exec_lo, s6
; %bb.139:                              ;   in Loop: Header=BB163_4 Depth=1
	v_mul_f32_e32 v1, v14, v13
	v_cmp_eq_f32_e32 vcc_lo, 0, v14
	s_delay_alu instid0(VALU_DEP_2)
	v_cndmask_b32_e32 v14, v1, v14, vcc_lo
; %bb.140:                              ;   in Loop: Header=BB163_4 Depth=1
	s_and_not1_saveexec_b32 s30, s6
	s_cbranch_execz .LBB163_156
; %bb.141:                              ;   in Loop: Header=BB163_4 Depth=1
	s_mov_b32 s31, exec_lo
	s_delay_alu instid0(VALU_DEP_1)
	v_cmpx_neq_f32_e64 0x7f800000, |v14|
	s_cbranch_execz .LBB163_155
; %bb.142:                              ;   in Loop: Header=BB163_4 Depth=1
	v_and_b32_e32 v23, 0x7fffffff, v14
	v_cmp_ngt_f32_e64 s33, 0x48000000, |v14|
                                        ; implicit-def: $vgpr25
                                        ; implicit-def: $vgpr24
	s_delay_alu instid0(VALU_DEP_2) | instskip(SKIP_1) | instid1(VALU_DEP_2)
	v_lshrrev_b32_e32 v1, 23, v23
	v_and_or_b32 v26, v23, s23, 0x800000
	v_add_nc_u32_e32 v27, 0xffffff88, v1
	s_delay_alu instid0(VALU_DEP_4) | instskip(NEXT) | instid1(SALU_CYCLE_1)
	s_and_saveexec_b32 s6, s33
	s_xor_b32 s34, exec_lo, s6
	s_cbranch_execz .LBB163_144
; %bb.143:                              ;   in Loop: Header=BB163_4 Depth=1
	v_mad_u64_u32 v[24:25], null, 0xfe5163ab, v26, 0
	v_cmp_lt_u32_e32 vcc_lo, 63, v27
	s_delay_alu instid0(VALU_DEP_2) | instskip(SKIP_1) | instid1(VALU_DEP_2)
	v_mov_b32_e32 v1, v25
	v_cndmask_b32_e64 v25, 0, 0xffffffc0, vcc_lo
	v_mad_u64_u32 v[28:29], null, 0x3c439041, v26, v[1:2]
	s_delay_alu instid0(VALU_DEP_2) | instskip(NEXT) | instid1(VALU_DEP_1)
	v_add_nc_u32_e32 v25, v25, v27
	v_cmp_lt_u32_e64 s6, 31, v25
	s_delay_alu instid0(VALU_DEP_3) | instskip(NEXT) | instid1(VALU_DEP_2)
	v_mov_b32_e32 v1, v29
	v_cndmask_b32_e64 v34, 0, 0xffffffe0, s6
	s_delay_alu instid0(VALU_DEP_2) | instskip(NEXT) | instid1(VALU_DEP_2)
	v_mad_u64_u32 v[29:30], null, 0xdb629599, v26, v[1:2]
	v_add_nc_u32_e32 v25, v34, v25
	s_delay_alu instid0(VALU_DEP_2) | instskip(NEXT) | instid1(VALU_DEP_2)
	v_dual_mov_b32 v1, v30 :: v_dual_cndmask_b32 v24, v29, v24
	v_cmp_lt_u32_e64 s7, 31, v25
	s_delay_alu instid0(VALU_DEP_2) | instskip(NEXT) | instid1(VALU_DEP_1)
	v_mad_u64_u32 v[30:31], null, 0xf534ddc0, v26, v[1:2]
	v_mov_b32_e32 v1, v31
	s_delay_alu instid0(VALU_DEP_1) | instskip(NEXT) | instid1(VALU_DEP_1)
	v_mad_u64_u32 v[31:32], null, 0xfc2757d1, v26, v[1:2]
	v_mov_b32_e32 v1, v32
	s_delay_alu instid0(VALU_DEP_1) | instskip(NEXT) | instid1(VALU_DEP_1)
	v_mad_u64_u32 v[32:33], null, 0x4e441529, v26, v[1:2]
	v_mov_b32_e32 v1, v33
	s_delay_alu instid0(VALU_DEP_2) | instskip(NEXT) | instid1(VALU_DEP_2)
	v_cndmask_b32_e32 v35, v32, v30, vcc_lo
	v_mad_u64_u32 v[33:34], null, 0xa2f9836e, v26, v[1:2]
	v_cndmask_b32_e64 v1, 0, 0xffffffe0, s7
	s_delay_alu instid0(VALU_DEP_1) | instskip(NEXT) | instid1(VALU_DEP_3)
	v_add_nc_u32_e32 v1, v1, v25
	v_dual_cndmask_b32 v33, v33, v31 :: v_dual_cndmask_b32 v32, v34, v32
	v_cndmask_b32_e32 v31, v31, v29, vcc_lo
	v_cndmask_b32_e32 v25, v30, v28, vcc_lo
	s_delay_alu instid0(VALU_DEP_4) | instskip(NEXT) | instid1(VALU_DEP_4)
	v_cmp_eq_u32_e64 s8, 0, v1
	v_cndmask_b32_e64 v28, v33, v35, s6
	v_cndmask_b32_e64 v30, v32, v33, s6
	;; [unrolled: 1-line block ×3, first 2 shown]
	v_sub_nc_u32_e32 v33, 32, v1
	v_cndmask_b32_e64 v31, v31, v25, s6
	v_cndmask_b32_e64 v24, v25, v24, s6
	;; [unrolled: 1-line block ×4, first 2 shown]
	s_delay_alu instid0(VALU_DEP_4) | instskip(NEXT) | instid1(VALU_DEP_4)
	v_cndmask_b32_e64 v32, v32, v31, s7
	v_cndmask_b32_e64 v24, v31, v24, s7
	s_delay_alu instid0(VALU_DEP_3) | instskip(NEXT) | instid1(VALU_DEP_3)
	v_alignbit_b32 v34, v30, v28, v33
	v_alignbit_b32 v35, v28, v32, v33
	s_delay_alu instid0(VALU_DEP_3) | instskip(NEXT) | instid1(VALU_DEP_3)
	v_alignbit_b32 v33, v32, v24, v33
	v_cndmask_b32_e64 v1, v34, v30, s8
	s_delay_alu instid0(VALU_DEP_3) | instskip(NEXT) | instid1(VALU_DEP_3)
	v_cndmask_b32_e64 v28, v35, v28, s8
	v_cndmask_b32_e64 v32, v33, v32, s8
	s_delay_alu instid0(VALU_DEP_3) | instskip(NEXT) | instid1(VALU_DEP_3)
	v_bfe_u32 v29, v1, 29, 1
	v_alignbit_b32 v25, v1, v28, 30
	s_delay_alu instid0(VALU_DEP_3) | instskip(SKIP_1) | instid1(VALU_DEP_4)
	v_alignbit_b32 v28, v28, v32, 30
	v_alignbit_b32 v24, v32, v24, 30
	v_sub_nc_u32_e32 v30, 0, v29
	s_delay_alu instid0(VALU_DEP_1) | instskip(SKIP_3) | instid1(VALU_DEP_4)
	v_xor_b32_e32 v31, v25, v30
	v_cmp_ne_u32_e32 vcc_lo, v25, v30
	v_xor_b32_e32 v28, v28, v30
	v_xor_b32_e32 v24, v24, v30
	v_clz_i32_u32_e32 v34, v31
	s_delay_alu instid0(VALU_DEP_1) | instskip(NEXT) | instid1(VALU_DEP_1)
	v_add_nc_u32_e32 v33, 1, v34
	v_cndmask_b32_e32 v25, 33, v33, vcc_lo
	s_delay_alu instid0(VALU_DEP_1) | instskip(NEXT) | instid1(VALU_DEP_1)
	v_sub_nc_u32_e32 v32, 32, v25
	v_alignbit_b32 v30, v31, v28, v32
	v_alignbit_b32 v24, v28, v24, v32
	v_lshrrev_b32_e32 v28, 29, v1
	v_lshrrev_b32_e32 v1, 30, v1
	s_delay_alu instid0(VALU_DEP_3) | instskip(NEXT) | instid1(VALU_DEP_3)
	v_alignbit_b32 v31, v30, v24, 9
	v_lshlrev_b32_e32 v28, 31, v28
	v_alignbit_b32 v30, v25, v30, 9
	s_delay_alu instid0(VALU_DEP_3) | instskip(NEXT) | instid1(VALU_DEP_2)
	v_clz_i32_u32_e32 v32, v31
	v_or_b32_e32 v30, v30, v28
	v_or_b32_e32 v28, 0x33800000, v28
	s_delay_alu instid0(VALU_DEP_3) | instskip(NEXT) | instid1(VALU_DEP_3)
	v_min_u32_e32 v32, 32, v32
	v_xor_b32_e32 v30, 1.0, v30
	s_delay_alu instid0(VALU_DEP_2) | instskip(SKIP_1) | instid1(VALU_DEP_3)
	v_sub_nc_u32_e32 v33, 31, v32
	v_add_lshl_u32 v25, v32, v25, 23
	v_mul_f32_e32 v32, 0x3fc90fda, v30
	s_delay_alu instid0(VALU_DEP_3) | instskip(NEXT) | instid1(VALU_DEP_3)
	v_alignbit_b32 v24, v31, v24, v33
	v_sub_nc_u32_e32 v25, v28, v25
	s_delay_alu instid0(VALU_DEP_3) | instskip(NEXT) | instid1(VALU_DEP_3)
	v_fma_f32 v28, 0x3fc90fda, v30, -v32
	v_lshrrev_b32_e32 v24, 9, v24
	s_delay_alu instid0(VALU_DEP_2) | instskip(NEXT) | instid1(VALU_DEP_2)
	v_fmac_f32_e32 v28, 0x33a22168, v30
	v_or_b32_e32 v24, v25, v24
	s_delay_alu instid0(VALU_DEP_1) | instskip(NEXT) | instid1(VALU_DEP_1)
	v_dual_fmac_f32 v28, 0x3fc90fda, v24 :: v_dual_add_nc_u32 v25, v29, v1
	v_add_f32_e32 v24, v32, v28
.LBB163_144:                            ;   in Loop: Header=BB163_4 Depth=1
	s_or_saveexec_b32 s6, s34
	v_mul_f32_e64 v1, 0x3f22f983, |v14|
	s_delay_alu instid0(VALU_DEP_1)
	v_rndne_f32_e32 v29, v1
	s_xor_b32 exec_lo, exec_lo, s6
; %bb.145:                              ;   in Loop: Header=BB163_4 Depth=1
	s_delay_alu instid0(VALU_DEP_1) | instskip(SKIP_1) | instid1(VALU_DEP_2)
	v_fma_f32 v24, 0xbfc90fda, v29, |v14|
	v_cvt_i32_f32_e32 v25, v29
	v_fmac_f32_e32 v24, 0xb3a22168, v29
	s_delay_alu instid0(VALU_DEP_1)
	v_fmac_f32_e32 v24, 0xa7c234c4, v29
; %bb.146:                              ;   in Loop: Header=BB163_4 Depth=1
	s_or_b32 exec_lo, exec_lo, s6
                                        ; implicit-def: $vgpr28
                                        ; implicit-def: $vgpr1
	s_and_saveexec_b32 s6, s33
	s_delay_alu instid0(SALU_CYCLE_1)
	s_xor_b32 s33, exec_lo, s6
	s_cbranch_execz .LBB163_152
; %bb.147:                              ;   in Loop: Header=BB163_4 Depth=1
	v_mad_u64_u32 v[28:29], null, 0xfe5163ab, v26, 0
	v_cmp_lt_u32_e32 vcc_lo, 63, v27
	v_cndmask_b32_e64 v34, 0, 0xffffffc0, vcc_lo
	s_delay_alu instid0(VALU_DEP_3) | instskip(NEXT) | instid1(VALU_DEP_2)
	v_mov_b32_e32 v1, v29
	v_add_nc_u32_e32 v27, v34, v27
	s_delay_alu instid0(VALU_DEP_2) | instskip(NEXT) | instid1(VALU_DEP_2)
	v_mad_u64_u32 v[29:30], null, 0x3c439041, v26, v[1:2]
	v_cmp_lt_u32_e64 s6, 31, v27
	s_delay_alu instid0(VALU_DEP_2) | instskip(NEXT) | instid1(VALU_DEP_2)
	v_mov_b32_e32 v1, v30
	v_cndmask_b32_e64 v35, 0, 0xffffffe0, s6
	s_delay_alu instid0(VALU_DEP_2) | instskip(NEXT) | instid1(VALU_DEP_2)
	v_mad_u64_u32 v[30:31], null, 0xdb629599, v26, v[1:2]
	v_add_nc_u32_e32 v27, v35, v27
	s_delay_alu instid0(VALU_DEP_1) | instskip(NEXT) | instid1(VALU_DEP_3)
	v_cmp_lt_u32_e64 s7, 31, v27
	v_dual_mov_b32 v1, v31 :: v_dual_cndmask_b32 v28, v30, v28
	s_delay_alu instid0(VALU_DEP_1) | instskip(NEXT) | instid1(VALU_DEP_1)
	v_mad_u64_u32 v[31:32], null, 0xf534ddc0, v26, v[1:2]
	v_mov_b32_e32 v1, v32
	s_delay_alu instid0(VALU_DEP_1) | instskip(NEXT) | instid1(VALU_DEP_1)
	v_mad_u64_u32 v[32:33], null, 0xfc2757d1, v26, v[1:2]
	v_mov_b32_e32 v1, v33
	;; [unrolled: 3-line block ×3, first 2 shown]
	s_delay_alu instid0(VALU_DEP_1) | instskip(SKIP_1) | instid1(VALU_DEP_4)
	v_mad_u64_u32 v[34:35], null, 0xa2f9836e, v26, v[1:2]
	v_cndmask_b32_e64 v1, 0, 0xffffffe0, s7
	v_cndmask_b32_e32 v26, v33, v31, vcc_lo
	s_delay_alu instid0(VALU_DEP_2) | instskip(NEXT) | instid1(VALU_DEP_4)
	v_dual_cndmask_b32 v34, v34, v32 :: v_dual_add_nc_u32 v1, v1, v27
	v_dual_cndmask_b32 v33, v35, v33 :: v_dual_cndmask_b32 v32, v32, v30
	v_cndmask_b32_e32 v27, v31, v29, vcc_lo
	s_delay_alu instid0(VALU_DEP_3) | instskip(NEXT) | instid1(VALU_DEP_4)
	v_cmp_eq_u32_e64 s8, 0, v1
	v_cndmask_b32_e64 v29, v34, v26, s6
	s_delay_alu instid0(VALU_DEP_4)
	v_cndmask_b32_e64 v31, v33, v34, s6
	v_cndmask_b32_e64 v26, v26, v32, s6
	v_sub_nc_u32_e32 v33, 32, v1
	v_cndmask_b32_e64 v32, v32, v27, s6
	v_cndmask_b32_e64 v27, v27, v28, s6
	;; [unrolled: 1-line block ×4, first 2 shown]
	s_delay_alu instid0(VALU_DEP_4) | instskip(NEXT) | instid1(VALU_DEP_4)
	v_cndmask_b32_e64 v26, v26, v32, s7
	v_cndmask_b32_e64 v27, v32, v27, s7
	s_delay_alu instid0(VALU_DEP_3) | instskip(NEXT) | instid1(VALU_DEP_3)
	v_alignbit_b32 v34, v31, v29, v33
	v_alignbit_b32 v35, v29, v26, v33
	s_delay_alu instid0(VALU_DEP_3) | instskip(NEXT) | instid1(VALU_DEP_3)
	v_alignbit_b32 v33, v26, v27, v33
	v_cndmask_b32_e64 v1, v34, v31, s8
	s_delay_alu instid0(VALU_DEP_3) | instskip(NEXT) | instid1(VALU_DEP_3)
	v_cndmask_b32_e64 v29, v35, v29, s8
	v_cndmask_b32_e64 v26, v33, v26, s8
	s_delay_alu instid0(VALU_DEP_3) | instskip(NEXT) | instid1(VALU_DEP_3)
	v_bfe_u32 v30, v1, 29, 1
	v_alignbit_b32 v28, v1, v29, 30
	s_delay_alu instid0(VALU_DEP_3) | instskip(SKIP_1) | instid1(VALU_DEP_4)
	v_alignbit_b32 v29, v29, v26, 30
	v_alignbit_b32 v26, v26, v27, 30
	v_sub_nc_u32_e32 v31, 0, v30
	s_delay_alu instid0(VALU_DEP_1) | instskip(SKIP_3) | instid1(VALU_DEP_4)
	v_xor_b32_e32 v32, v28, v31
	v_cmp_ne_u32_e32 vcc_lo, v28, v31
	v_xor_b32_e32 v27, v29, v31
	v_xor_b32_e32 v26, v26, v31
	v_clz_i32_u32_e32 v34, v32
	s_delay_alu instid0(VALU_DEP_1) | instskip(NEXT) | instid1(VALU_DEP_1)
	v_add_nc_u32_e32 v33, 1, v34
	v_cndmask_b32_e32 v28, 33, v33, vcc_lo
	s_delay_alu instid0(VALU_DEP_1) | instskip(NEXT) | instid1(VALU_DEP_1)
	v_sub_nc_u32_e32 v29, 32, v28
	v_alignbit_b32 v31, v32, v27, v29
	v_alignbit_b32 v26, v27, v26, v29
	v_lshrrev_b32_e32 v27, 29, v1
	s_delay_alu instid0(VALU_DEP_2) | instskip(NEXT) | instid1(VALU_DEP_2)
	v_alignbit_b32 v29, v31, v26, 9
	v_lshlrev_b32_e32 v27, 31, v27
	v_alignbit_b32 v31, v28, v31, 9
	s_delay_alu instid0(VALU_DEP_3) | instskip(NEXT) | instid1(VALU_DEP_2)
	v_clz_i32_u32_e32 v32, v29
	v_or_b32_e32 v31, v31, v27
	v_or_b32_e32 v27, 0x33800000, v27
	s_delay_alu instid0(VALU_DEP_3) | instskip(NEXT) | instid1(VALU_DEP_3)
	v_min_u32_e32 v32, 32, v32
	v_xor_b32_e32 v31, 1.0, v31
	s_delay_alu instid0(VALU_DEP_2) | instskip(SKIP_1) | instid1(VALU_DEP_3)
	v_sub_nc_u32_e32 v33, 31, v32
	v_add_lshl_u32 v28, v32, v28, 23
	v_mul_f32_e32 v32, 0x3fc90fda, v31
	s_delay_alu instid0(VALU_DEP_3) | instskip(NEXT) | instid1(VALU_DEP_3)
	v_alignbit_b32 v26, v29, v26, v33
	v_sub_nc_u32_e32 v27, v27, v28
	s_delay_alu instid0(VALU_DEP_3) | instskip(NEXT) | instid1(VALU_DEP_3)
	v_fma_f32 v28, 0x3fc90fda, v31, -v32
                                        ; implicit-def: $vgpr29
	v_lshrrev_b32_e32 v26, 9, v26
	s_delay_alu instid0(VALU_DEP_2) | instskip(NEXT) | instid1(VALU_DEP_2)
	v_fmac_f32_e32 v28, 0x33a22168, v31
	v_or_b32_e32 v26, v27, v26
	s_delay_alu instid0(VALU_DEP_1) | instskip(SKIP_1) | instid1(VALU_DEP_1)
	v_fmac_f32_e32 v28, 0x3fc90fda, v26
	v_lshrrev_b32_e32 v26, 30, v1
	v_dual_add_f32 v1, v32, v28 :: v_dual_add_nc_u32 v28, v30, v26
	s_and_not1_saveexec_b32 s6, s33
	s_cbranch_execnz .LBB163_153
	s_branch .LBB163_154
.LBB163_148:                            ;   in Loop: Header=BB163_4 Depth=1
	s_and_not1_saveexec_b32 s6, s34
.LBB163_149:                            ;   in Loop: Header=BB163_4 Depth=1
	v_mul_f32_e64 v1, 0x3f22f983, |v14|
	s_delay_alu instid0(VALU_DEP_1) | instskip(NEXT) | instid1(VALU_DEP_1)
	v_rndne_f32_e32 v1, v1
	v_fma_f32 v24, 0xbfc90fda, v1, |v14|
	v_cvt_i32_f32_e32 v26, v1
	s_delay_alu instid0(VALU_DEP_2) | instskip(NEXT) | instid1(VALU_DEP_1)
	v_fmac_f32_e32 v24, 0xb3a22168, v1
	v_fmac_f32_e32 v24, 0xa7c234c4, v1
; %bb.150:                              ;   in Loop: Header=BB163_4 Depth=1
	s_or_b32 exec_lo, exec_lo, s6
                                        ; implicit-def: $vgpr28
                                        ; implicit-def: $vgpr1
	s_and_saveexec_b32 s6, s33
	s_delay_alu instid0(SALU_CYCLE_1)
	s_xor_b32 s33, exec_lo, s6
	s_cbranch_execz .LBB163_160
; %bb.151:                              ;   in Loop: Header=BB163_4 Depth=1
	v_mad_u64_u32 v[28:29], null, 0xfe5163ab, v25, 0
	v_cmp_lt_u32_e32 vcc_lo, 63, v27
	v_cndmask_b32_e64 v34, 0, 0xffffffc0, vcc_lo
	s_delay_alu instid0(VALU_DEP_3) | instskip(NEXT) | instid1(VALU_DEP_2)
	v_mov_b32_e32 v1, v29
	v_add_nc_u32_e32 v27, v34, v27
	s_delay_alu instid0(VALU_DEP_2) | instskip(NEXT) | instid1(VALU_DEP_2)
	v_mad_u64_u32 v[29:30], null, 0x3c439041, v25, v[1:2]
	v_cmp_lt_u32_e64 s6, 31, v27
	s_delay_alu instid0(VALU_DEP_2) | instskip(NEXT) | instid1(VALU_DEP_2)
	v_mov_b32_e32 v1, v30
	v_cndmask_b32_e64 v35, 0, 0xffffffe0, s6
	s_delay_alu instid0(VALU_DEP_2) | instskip(NEXT) | instid1(VALU_DEP_2)
	v_mad_u64_u32 v[30:31], null, 0xdb629599, v25, v[1:2]
	v_add_nc_u32_e32 v27, v35, v27
	s_delay_alu instid0(VALU_DEP_1) | instskip(NEXT) | instid1(VALU_DEP_3)
	v_cmp_lt_u32_e64 s7, 31, v27
	v_dual_mov_b32 v1, v31 :: v_dual_cndmask_b32 v28, v30, v28
	s_delay_alu instid0(VALU_DEP_1) | instskip(NEXT) | instid1(VALU_DEP_1)
	v_mad_u64_u32 v[31:32], null, 0xf534ddc0, v25, v[1:2]
	v_mov_b32_e32 v1, v32
	s_delay_alu instid0(VALU_DEP_1) | instskip(NEXT) | instid1(VALU_DEP_1)
	v_mad_u64_u32 v[32:33], null, 0xfc2757d1, v25, v[1:2]
	v_mov_b32_e32 v1, v33
	;; [unrolled: 3-line block ×3, first 2 shown]
	s_delay_alu instid0(VALU_DEP_1) | instskip(SKIP_1) | instid1(VALU_DEP_4)
	v_mad_u64_u32 v[34:35], null, 0xa2f9836e, v25, v[1:2]
	v_cndmask_b32_e64 v1, 0, 0xffffffe0, s7
	v_cndmask_b32_e32 v25, v33, v31, vcc_lo
	s_delay_alu instid0(VALU_DEP_2) | instskip(NEXT) | instid1(VALU_DEP_4)
	v_dual_cndmask_b32 v34, v34, v32 :: v_dual_add_nc_u32 v1, v1, v27
	v_dual_cndmask_b32 v33, v35, v33 :: v_dual_cndmask_b32 v32, v32, v30
	v_cndmask_b32_e32 v27, v31, v29, vcc_lo
	s_delay_alu instid0(VALU_DEP_3) | instskip(NEXT) | instid1(VALU_DEP_4)
	v_cmp_eq_u32_e64 s8, 0, v1
	v_cndmask_b32_e64 v29, v34, v25, s6
	s_delay_alu instid0(VALU_DEP_4)
	v_cndmask_b32_e64 v31, v33, v34, s6
	v_cndmask_b32_e64 v25, v25, v32, s6
	v_sub_nc_u32_e32 v33, 32, v1
	v_cndmask_b32_e64 v32, v32, v27, s6
	v_cndmask_b32_e64 v27, v27, v28, s6
	;; [unrolled: 1-line block ×4, first 2 shown]
	s_delay_alu instid0(VALU_DEP_4) | instskip(NEXT) | instid1(VALU_DEP_4)
	v_cndmask_b32_e64 v25, v25, v32, s7
	v_cndmask_b32_e64 v27, v32, v27, s7
	s_delay_alu instid0(VALU_DEP_3) | instskip(NEXT) | instid1(VALU_DEP_3)
	v_alignbit_b32 v34, v31, v29, v33
	v_alignbit_b32 v35, v29, v25, v33
	s_delay_alu instid0(VALU_DEP_3) | instskip(NEXT) | instid1(VALU_DEP_3)
	v_alignbit_b32 v33, v25, v27, v33
	v_cndmask_b32_e64 v1, v34, v31, s8
	s_delay_alu instid0(VALU_DEP_3) | instskip(NEXT) | instid1(VALU_DEP_3)
	v_cndmask_b32_e64 v29, v35, v29, s8
	v_cndmask_b32_e64 v25, v33, v25, s8
	s_delay_alu instid0(VALU_DEP_3) | instskip(NEXT) | instid1(VALU_DEP_3)
	v_bfe_u32 v30, v1, 29, 1
	v_alignbit_b32 v28, v1, v29, 30
	s_delay_alu instid0(VALU_DEP_3) | instskip(SKIP_1) | instid1(VALU_DEP_4)
	v_alignbit_b32 v29, v29, v25, 30
	v_alignbit_b32 v25, v25, v27, 30
	v_sub_nc_u32_e32 v31, 0, v30
	s_delay_alu instid0(VALU_DEP_1) | instskip(SKIP_3) | instid1(VALU_DEP_4)
	v_xor_b32_e32 v32, v28, v31
	v_cmp_ne_u32_e32 vcc_lo, v28, v31
	v_xor_b32_e32 v27, v29, v31
	v_xor_b32_e32 v25, v25, v31
	v_clz_i32_u32_e32 v34, v32
	s_delay_alu instid0(VALU_DEP_1) | instskip(NEXT) | instid1(VALU_DEP_1)
	v_add_nc_u32_e32 v33, 1, v34
	v_cndmask_b32_e32 v28, 33, v33, vcc_lo
	s_delay_alu instid0(VALU_DEP_1) | instskip(NEXT) | instid1(VALU_DEP_1)
	v_sub_nc_u32_e32 v29, 32, v28
	v_alignbit_b32 v31, v32, v27, v29
	v_alignbit_b32 v25, v27, v25, v29
	v_lshrrev_b32_e32 v27, 29, v1
	s_delay_alu instid0(VALU_DEP_2) | instskip(NEXT) | instid1(VALU_DEP_2)
	v_alignbit_b32 v29, v31, v25, 9
	v_lshlrev_b32_e32 v27, 31, v27
	v_alignbit_b32 v31, v28, v31, 9
	s_delay_alu instid0(VALU_DEP_3) | instskip(NEXT) | instid1(VALU_DEP_2)
	v_clz_i32_u32_e32 v32, v29
	v_or_b32_e32 v31, v31, v27
	v_or_b32_e32 v27, 0x33800000, v27
	s_delay_alu instid0(VALU_DEP_3) | instskip(NEXT) | instid1(VALU_DEP_3)
	v_min_u32_e32 v32, 32, v32
	v_xor_b32_e32 v31, 1.0, v31
	s_delay_alu instid0(VALU_DEP_2) | instskip(SKIP_1) | instid1(VALU_DEP_3)
	v_sub_nc_u32_e32 v33, 31, v32
	v_add_lshl_u32 v28, v32, v28, 23
	v_mul_f32_e32 v32, 0x3fc90fda, v31
	s_delay_alu instid0(VALU_DEP_3) | instskip(NEXT) | instid1(VALU_DEP_3)
	v_alignbit_b32 v25, v29, v25, v33
	v_sub_nc_u32_e32 v27, v27, v28
	s_delay_alu instid0(VALU_DEP_3) | instskip(NEXT) | instid1(VALU_DEP_3)
	v_fma_f32 v28, 0x3fc90fda, v31, -v32
	v_lshrrev_b32_e32 v25, 9, v25
	s_delay_alu instid0(VALU_DEP_2) | instskip(NEXT) | instid1(VALU_DEP_2)
	v_fmac_f32_e32 v28, 0x33a22168, v31
	v_or_b32_e32 v25, v27, v25
	s_delay_alu instid0(VALU_DEP_1) | instskip(SKIP_1) | instid1(VALU_DEP_1)
	v_fmac_f32_e32 v28, 0x3fc90fda, v25
	v_lshrrev_b32_e32 v25, 30, v1
	v_dual_add_f32 v1, v32, v28 :: v_dual_add_nc_u32 v28, v30, v25
	s_and_not1_saveexec_b32 s6, s33
	s_cbranch_execnz .LBB163_161
	s_branch .LBB163_162
.LBB163_152:                            ;   in Loop: Header=BB163_4 Depth=1
	s_and_not1_saveexec_b32 s6, s33
.LBB163_153:                            ;   in Loop: Header=BB163_4 Depth=1
	v_fma_f32 v1, 0xbfc90fda, v29, |v14|
	v_cvt_i32_f32_e32 v28, v29
	s_delay_alu instid0(VALU_DEP_2) | instskip(NEXT) | instid1(VALU_DEP_1)
	v_fmac_f32_e32 v1, 0xb3a22168, v29
	v_fmac_f32_e32 v1, 0xa7c234c4, v29
.LBB163_154:                            ;   in Loop: Header=BB163_4 Depth=1
	s_or_b32 exec_lo, exec_lo, s6
	v_dual_mul_f32 v26, v24, v24 :: v_dual_and_b32 v27, 1, v25
	s_delay_alu instid0(VALU_DEP_2) | instskip(SKIP_1) | instid1(VALU_DEP_3)
	v_dual_mul_f32 v29, v1, v1 :: v_dual_and_b32 v32, 1, v28
	v_lshlrev_b32_e32 v28, 30, v28
	v_fmaak_f32 v30, s27, v26, 0x3c0881c4
	v_fmaak_f32 v31, s28, v26, 0xbab64f3b
	v_lshlrev_b32_e32 v25, 30, v25
	v_fmaak_f32 v33, s27, v29, 0x3c0881c4
	v_fmaak_f32 v34, s28, v29, 0xbab64f3b
	;; [unrolled: 1-line block ×4, first 2 shown]
	v_cmp_eq_u32_e32 vcc_lo, 0, v27
	v_fmaak_f32 v33, v29, v33, 0xbe2aaa9d
	v_fmaak_f32 v34, v29, v34, 0x3d2aabf7
	v_mul_f32_e32 v30, v26, v30
	v_fmaak_f32 v31, v26, v31, 0xbf000004
	v_and_b32_e32 v25, 0x80000000, v25
	s_delay_alu instid0(VALU_DEP_4) | instskip(NEXT) | instid1(VALU_DEP_4)
	v_fmaak_f32 v34, v29, v34, 0xbf000004
	v_fmac_f32_e32 v24, v24, v30
	s_delay_alu instid0(VALU_DEP_4) | instskip(SKIP_3) | instid1(VALU_DEP_3)
	v_fma_f32 v26, v26, v31, 1.0
	v_mul_f32_e32 v33, v29, v33
	v_xor_b32_e32 v23, v23, v25
	v_fma_f32 v25, v29, v34, 1.0
	v_dual_cndmask_b32 v24, v26, v24 :: v_dual_fmac_f32 v1, v1, v33
	v_and_b32_e32 v26, 0x80000000, v28
	v_cmp_eq_u32_e32 vcc_lo, 0, v32
	s_delay_alu instid0(VALU_DEP_3) | instskip(NEXT) | instid1(VALU_DEP_4)
	v_xor3_b32 v23, v23, v24, v14
	v_cndmask_b32_e64 v1, -v1, v25, vcc_lo
	v_cmp_class_f32_e64 vcc_lo, v14, 0x1f8
	s_delay_alu instid0(VALU_DEP_2) | instskip(NEXT) | instid1(VALU_DEP_1)
	v_xor_b32_e32 v1, v26, v1
	v_mul_f32_e32 v1, v23, v1
	s_delay_alu instid0(VALU_DEP_1)
	v_cndmask_b32_e32 v14, 0x7fc00000, v1, vcc_lo
.LBB163_155:                            ;   in Loop: Header=BB163_4 Depth=1
	s_or_b32 exec_lo, exec_lo, s31
	v_add_nc_u32_e32 v13, -2.0, v13
	s_delay_alu instid0(VALU_DEP_2)
	v_bfi_b32 v14, 0x7fffffff, 0, v14
.LBB163_156:                            ;   in Loop: Header=BB163_4 Depth=1
	s_or_b32 exec_lo, exec_lo, s30
	s_delay_alu instid0(SALU_CYCLE_1) | instskip(SKIP_1) | instid1(SALU_CYCLE_1)
	s_or_b32 exec_lo, exec_lo, s29
	s_and_saveexec_b32 s6, s2
	s_xor_b32 s2, exec_lo, s6
	s_cbranch_execnz .LBB163_168
.LBB163_157:                            ;   in Loop: Header=BB163_4 Depth=1
	s_or_b32 exec_lo, exec_lo, s2
	s_and_saveexec_b32 s2, s3
	s_cbranch_execz .LBB163_169
.LBB163_158:                            ;   in Loop: Header=BB163_4 Depth=1
	v_add_co_u32 v9, s3, s9, v19
	s_delay_alu instid0(VALU_DEP_1)
	v_add_co_ci_u32_e64 v10, null, s20, 0, s3
	global_store_b64 v[9:10], v[11:12], off
	s_or_b32 exec_lo, exec_lo, s2
	s_and_saveexec_b32 s2, s4
	s_cbranch_execnz .LBB163_170
.LBB163_159:                            ;   in Loop: Header=BB163_4 Depth=1
	s_or_b32 exec_lo, exec_lo, s2
	s_and_saveexec_b32 s2, s5
	s_cbranch_execz .LBB163_3
	s_branch .LBB163_171
.LBB163_160:                            ;   in Loop: Header=BB163_4 Depth=1
	s_and_not1_saveexec_b32 s6, s33
.LBB163_161:                            ;   in Loop: Header=BB163_4 Depth=1
	v_mul_f32_e64 v1, 0x3f22f983, |v14|
	s_delay_alu instid0(VALU_DEP_1) | instskip(NEXT) | instid1(VALU_DEP_1)
	v_rndne_f32_e32 v25, v1
	v_fma_f32 v1, 0xbfc90fda, v25, |v14|
	v_cvt_i32_f32_e32 v28, v25
	s_delay_alu instid0(VALU_DEP_2) | instskip(NEXT) | instid1(VALU_DEP_1)
	v_fmac_f32_e32 v1, 0xb3a22168, v25
	v_fmac_f32_e32 v1, 0xa7c234c4, v25
.LBB163_162:                            ;   in Loop: Header=BB163_4 Depth=1
	s_or_b32 exec_lo, exec_lo, s6
	v_mul_f32_e32 v25, v24, v24
	s_delay_alu instid0(VALU_DEP_2) | instskip(SKIP_2) | instid1(VALU_DEP_4)
	v_dual_mul_f32 v32, v1, v1 :: v_dual_and_b32 v27, 1, v26
	v_lshlrev_b32_e32 v26, 30, v26
	v_mul_f32_e64 v29, 0xbfb8aa3b, |v13|
	v_fmaak_f32 v30, s27, v25, 0x3c0881c4
	s_delay_alu instid0(VALU_DEP_4)
	v_cmp_eq_u32_e32 vcc_lo, 0, v27
	v_and_b32_e32 v27, 1, v28
	v_fmaak_f32 v35, s27, v32, 0x3c0881c4
	v_rndne_f32_e32 v33, v29
	v_fmaak_f32 v30, v25, v30, 0xbe2aaa9d
	v_fma_f32 v34, 0xbfb8aa3b, |v13|, -v29
	v_fmaak_f32 v36, s28, v32, 0xbab64f3b
	v_fmaak_f32 v35, v32, v35, 0xbe2aaa9d
	s_delay_alu instid0(VALU_DEP_4) | instskip(SKIP_3) | instid1(VALU_DEP_4)
	v_dual_fmaak_f32 v31, s28, v25, 0xbab64f3b :: v_dual_mul_f32 v30, v25, v30
	v_sub_f32_e32 v29, v29, v33
	v_fma_f32 v34, 0xb2a5705f, |v13|, v34
	v_and_b32_e32 v26, 0x80000000, v26
	v_dual_fmaak_f32 v31, v25, v31, 0x3d2aabf7 :: v_dual_fmac_f32 v24, v24, v30
	s_delay_alu instid0(VALU_DEP_3) | instskip(NEXT) | instid1(VALU_DEP_2)
	v_dual_fmaak_f32 v30, v32, v36, 0x3d2aabf7 :: v_dual_add_f32 v29, v29, v34
	v_dual_fmaak_f32 v31, v25, v31, 0xbf000004 :: v_dual_lshlrev_b32 v28, 30, v28
	s_delay_alu instid0(VALU_DEP_2) | instskip(NEXT) | instid1(VALU_DEP_1)
	v_exp_f32_e32 v29, v29
	v_fma_f32 v25, v25, v31, 1.0
	v_mul_f32_e32 v31, v32, v35
	v_xor_b32_e32 v23, v23, v26
	v_cvt_i32_f32_e32 v26, v33
	s_delay_alu instid0(VALU_DEP_4) | instskip(NEXT) | instid1(VALU_DEP_4)
	v_dual_cndmask_b32 v24, v25, v24 :: v_dual_fmaak_f32 v25, v32, v30, 0xbf000004
	v_fmac_f32_e32 v1, v1, v31
	v_cmp_eq_u32_e32 vcc_lo, 0, v27
	s_delay_alu instid0(VALU_DEP_3) | instskip(SKIP_3) | instid1(VALU_DEP_4)
	v_xor3_b32 v14, v23, v24, v14
	v_and_b32_e32 v24, 0x80000000, v28
	v_fma_f32 v25, v32, v25, 1.0
	v_ldexp_f32 v23, v29, v26
	v_mul_f32_e32 v14, 4.0, v14
	s_delay_alu instid0(VALU_DEP_3) | instskip(SKIP_1) | instid1(VALU_DEP_2)
	v_cndmask_b32_e64 v1, -v1, v25, vcc_lo
	v_cmp_nlt_f32_e64 vcc_lo, 0x42ce8ed0, |v13|
	v_xor_b32_e32 v1, v24, v1
	v_cndmask_b32_e32 v23, 0, v23, vcc_lo
	v_cmp_ngt_f32_e64 vcc_lo, 0xc2b17218, |v13|
	v_bfi_b32 v13, 0x7fffffff, 1.0, v13
	s_delay_alu instid0(VALU_DEP_4) | instskip(NEXT) | instid1(VALU_DEP_4)
	v_mul_f32_e32 v1, v14, v1
	v_cndmask_b32_e32 v23, 0x7f800000, v23, vcc_lo
	s_delay_alu instid0(VALU_DEP_1) | instskip(NEXT) | instid1(VALU_DEP_1)
	v_mul_f32_e32 v1, v23, v1
	v_mul_f32_e32 v14, v23, v1
.LBB163_163:                            ;   in Loop: Header=BB163_4 Depth=1
	s_or_b32 exec_lo, exec_lo, s31
.LBB163_164:                            ;   in Loop: Header=BB163_4 Depth=1
	s_and_not1_saveexec_b32 s6, s30
; %bb.165:                              ;   in Loop: Header=BB163_4 Depth=1
	s_delay_alu instid0(VALU_DEP_1) | instskip(NEXT) | instid1(VALU_DEP_1)
	v_sub_f32_e32 v14, v14, v14
	v_mov_b32_e32 v13, v14
; %bb.166:                              ;   in Loop: Header=BB163_4 Depth=1
	s_or_b32 exec_lo, exec_lo, s6
	s_and_not1_saveexec_b32 s29, s29
	s_cbranch_execnz .LBB163_138
.LBB163_167:                            ;   in Loop: Header=BB163_4 Depth=1
	s_or_b32 exec_lo, exec_lo, s29
	s_and_saveexec_b32 s6, s2
	s_delay_alu instid0(SALU_CYCLE_1)
	s_xor_b32 s2, exec_lo, s6
	s_cbranch_execz .LBB163_157
.LBB163_168:                            ;   in Loop: Header=BB163_4 Depth=1
	v_add_co_u32 v23, s6, s9, v3
	s_delay_alu instid0(VALU_DEP_1)
	v_add_co_ci_u32_e64 v24, null, s20, 0, s6
	global_store_b64 v[23:24], v[9:10], off
	s_or_b32 exec_lo, exec_lo, s2
	s_and_saveexec_b32 s2, s3
	s_cbranch_execnz .LBB163_158
.LBB163_169:                            ;   in Loop: Header=BB163_4 Depth=1
	s_or_b32 exec_lo, exec_lo, s2
	s_and_saveexec_b32 s2, s4
	s_cbranch_execz .LBB163_159
.LBB163_170:                            ;   in Loop: Header=BB163_4 Depth=1
	v_add_co_u32 v9, vcc_lo, s9, v20
	v_add_co_ci_u32_e32 v10, vcc_lo, s20, v18, vcc_lo
	global_store_b64 v[9:10], v[7:8], off offset:-4
	s_or_b32 exec_lo, exec_lo, s2
	s_and_saveexec_b32 s2, s5
	s_cbranch_execz .LBB163_3
.LBB163_171:                            ;   in Loop: Header=BB163_4 Depth=1
	v_add_co_u32 v7, vcc_lo, s9, v5
	v_add_co_ci_u32_e32 v8, vcc_lo, s20, v6, vcc_lo
	global_store_b64 v[7:8], v[13:14], off offset:-4
	s_branch .LBB163_3
.LBB163_172:
	s_cbranch_execz .LBB163_174
	s_branch .LBB163_329
.LBB163_173:
.LBB163_174:
	v_dual_mov_b32 v13, 0 :: v_dual_lshlrev_b32 v12, 2, v0
	s_mov_b32 s3, 0
	s_mov_b32 s2, exec_lo
	s_delay_alu instid0(VALU_DEP_1)
	v_cmpx_gt_i64_e64 s[10:11], v[12:13]
	s_cbranch_execz .LBB163_329
; %bb.175:
	s_load_b32 s0, s[0:1], 0xd3c
	s_mov_b32 s4, 0x7fffff
	s_mov_b32 s5, 0xbc8cedd3
	;; [unrolled: 1-line block ×4, first 2 shown]
	s_waitcnt lgkmcnt(0)
	s_and_b32 s0, s0, 0xffff
	s_delay_alu instid0(SALU_CYCLE_1) | instskip(SKIP_3) | instid1(VALU_DEP_2)
	v_add_lshl_u32 v12, v0, s0, 2
	v_lshlrev_b32_e32 v1, 5, v0
	s_lshl_b32 s6, s0, 2
	s_add_u32 s1, s12, s14
	v_dual_mov_b32 v17, v13 :: v_dual_mov_b32 v16, v12
	s_addc_u32 s2, s13, s15
	s_lshl_b32 s7, s0, 5
	v_add_co_u32 v14, s0, s1, v1
	s_delay_alu instid0(VALU_DEP_1)
	v_add_co_ci_u32_e64 v15, null, s2, 0, s0
	s_mov_b32 s12, 0xb94c1982
	s_mov_b32 s13, 0x37d75334
	s_branch .LBB163_180
.LBB163_176:                            ;   in Loop: Header=BB163_180 Depth=1
	s_or_b32 exec_lo, exec_lo, s0
	v_dual_mul_f32 v11, v1, v1 :: v_dual_and_b32 v18, 1, v10
	s_delay_alu instid0(VALU_DEP_1) | instskip(NEXT) | instid1(VALU_DEP_1)
	v_dual_mul_f32 v20, v12, v12 :: v_dual_fmaak_f32 v21, s12, v11, 0x3c0881c4
	v_dual_fmaak_f32 v24, s12, v20, 0x3c0881c4 :: v_dual_and_b32 v23, 1, v19
	v_dual_fmaak_f32 v25, s13, v20, 0xbab64f3b :: v_dual_lshlrev_b32 v10, 30, v10
	s_delay_alu instid0(VALU_DEP_3) | instskip(SKIP_1) | instid1(VALU_DEP_4)
	v_fmaak_f32 v21, v11, v21, 0xbe2aaa9d
	v_cmp_eq_u32_e32 vcc_lo, 0, v18
	v_fmaak_f32 v24, v20, v24, 0xbe2aaa9d
	v_fmaak_f32 v22, s13, v11, 0xbab64f3b
	;; [unrolled: 1-line block ×3, first 2 shown]
	v_mul_f32_e32 v21, v11, v21
	v_lshlrev_b32_e32 v19, 30, v19
	v_and_b32_e32 v10, 0x80000000, v10
	v_fmaak_f32 v22, v11, v22, 0x3d2aabf7
	v_fmaak_f32 v25, v20, v25, 0xbf000004
	v_fmac_f32_e32 v1, v1, v21
	s_delay_alu instid0(VALU_DEP_4) | instskip(NEXT) | instid1(VALU_DEP_4)
	v_xor_b32_e32 v0, v0, v10
	v_fmaak_f32 v22, v11, v22, 0xbf000004
	s_delay_alu instid0(VALU_DEP_4) | instskip(NEXT) | instid1(VALU_DEP_2)
	v_fma_f32 v10, v20, v25, 1.0
	v_fma_f32 v11, v11, v22, 1.0
	s_delay_alu instid0(VALU_DEP_1) | instskip(NEXT) | instid1(VALU_DEP_1)
	v_dual_mul_f32 v24, v20, v24 :: v_dual_cndmask_b32 v1, v11, v1
	v_dual_fmac_f32 v12, v12, v24 :: v_dual_and_b32 v11, 0x80000000, v19
	v_cmp_eq_u32_e32 vcc_lo, 0, v23
	s_delay_alu instid0(VALU_DEP_3) | instskip(NEXT) | instid1(VALU_DEP_3)
	v_xor3_b32 v0, v0, v1, v3
	v_cndmask_b32_e64 v10, -v12, v10, vcc_lo
	v_cmp_class_f32_e64 vcc_lo, v3, 0x1f8
	s_delay_alu instid0(VALU_DEP_2) | instskip(NEXT) | instid1(VALU_DEP_1)
	v_xor_b32_e32 v1, v11, v10
	v_mul_f32_e32 v0, v0, v1
	s_delay_alu instid0(VALU_DEP_1)
	v_cndmask_b32_e32 v3, 0x7fc00000, v0, vcc_lo
.LBB163_177:                            ;   in Loop: Header=BB163_180 Depth=1
	s_or_b32 exec_lo, exec_lo, s16
	v_add_nc_u32_e32 v2, -2.0, v2
	s_delay_alu instid0(VALU_DEP_2)
	v_bfi_b32 v11, 0x7fffffff, 0, v3
.LBB163_178:                            ;   in Loop: Header=BB163_180 Depth=1
	s_or_b32 exec_lo, exec_lo, s15
	s_delay_alu instid0(VALU_DEP_2)
	v_mov_b32_e32 v10, v2
.LBB163_179:                            ;   in Loop: Header=BB163_180 Depth=1
	s_or_b32 exec_lo, exec_lo, s14
	v_cmp_le_i64_e32 vcc_lo, s[10:11], v[16:17]
	v_cmp_lt_u64_e64 s0, 0xffff, v[16:17]
	s_clause 0x1
	global_store_b128 v[14:15], v[4:7], off
	global_store_b128 v[14:15], v[8:11], off offset:16
	s_or_b32 s0, vcc_lo, s0
	v_add_co_u32 v16, vcc_lo, v16, s6
	v_add_co_ci_u32_e32 v17, vcc_lo, 0, v17, vcc_lo
	v_add_co_u32 v14, vcc_lo, v14, s7
	v_add_co_ci_u32_e32 v15, vcc_lo, 0, v15, vcc_lo
	s_and_b32 s0, exec_lo, s0
	s_delay_alu instid0(SALU_CYCLE_1) | instskip(NEXT) | instid1(SALU_CYCLE_1)
	s_or_b32 s3, s0, s3
	s_and_not1_b32 exec_lo, exec_lo, s3
	s_cbranch_execz .LBB163_329
.LBB163_180:                            ; =>This Inner Loop Header: Depth=1
	s_clause 0x1
	global_load_b128 v[8:11], v[14:15], off
	global_load_b128 v[0:3], v[14:15], off offset:16
                                        ; implicit-def: $vgpr5
	s_mov_b32 s0, exec_lo
	s_waitcnt vmcnt(1)
	v_and_b32_e32 v4, 0x7fffffff, v8
	s_delay_alu instid0(VALU_DEP_1)
	v_cmpx_gt_u32_e32 0x7f800000, v4
	s_xor_b32 s14, exec_lo, s0
	s_cbranch_execz .LBB163_202
; %bb.181:                              ;   in Loop: Header=BB163_180 Depth=1
	v_cmp_class_f32_e64 s0, v9, 0x1f8
                                        ; implicit-def: $vgpr5
	s_delay_alu instid0(VALU_DEP_1) | instskip(NEXT) | instid1(SALU_CYCLE_1)
	s_and_saveexec_b32 s1, s0
	s_xor_b32 s15, exec_lo, s1
	s_cbranch_execz .LBB163_199
; %bb.182:                              ;   in Loop: Header=BB163_180 Depth=1
	v_and_b32_e32 v6, 0x7fffffff, v9
                                        ; implicit-def: $vgpr5
	s_mov_b32 s0, exec_lo
	v_cmpx_gt_u32_e32 0x41300000, v4
	s_xor_b32 s16, exec_lo, s0
	s_cbranch_execz .LBB163_188
; %bb.183:                              ;   in Loop: Header=BB163_180 Depth=1
                                        ; implicit-def: $vgpr4
                                        ; implicit-def: $vgpr5
	s_mov_b32 s1, exec_lo
	v_cmpx_ngt_f32_e64 0x48000000, |v9|
	s_xor_b32 s17, exec_lo, s1
	s_cbranch_execz .LBB163_185
; %bb.184:                              ;   in Loop: Header=BB163_180 Depth=1
	v_and_or_b32 v7, v6, s4, 0x800000
	s_delay_alu instid0(VALU_DEP_1) | instskip(NEXT) | instid1(VALU_DEP_1)
	v_mad_u64_u32 v[4:5], null, 0xfe5163ab, v7, 0
	v_mov_b32_e32 v12, v5
	v_lshrrev_b32_e32 v5, 23, v6
	s_delay_alu instid0(VALU_DEP_1) | instskip(NEXT) | instid1(VALU_DEP_3)
	v_add_nc_u32_e32 v5, 0xffffff88, v5
	v_mad_u64_u32 v[18:19], null, 0x3c439041, v7, v[12:13]
	s_delay_alu instid0(VALU_DEP_2) | instskip(SKIP_1) | instid1(VALU_DEP_1)
	v_cmp_lt_u32_e32 vcc_lo, 63, v5
	v_cndmask_b32_e64 v23, 0, 0xffffffc0, vcc_lo
	v_add_nc_u32_e32 v5, v23, v5
	s_delay_alu instid0(VALU_DEP_1) | instskip(NEXT) | instid1(VALU_DEP_1)
	v_cmp_lt_u32_e64 s0, 31, v5
	v_cndmask_b32_e64 v24, 0, 0xffffffe0, s0
	s_delay_alu instid0(VALU_DEP_1) | instskip(NEXT) | instid1(VALU_DEP_1)
	v_dual_mov_b32 v12, v19 :: v_dual_add_nc_u32 v5, v24, v5
	v_mad_u64_u32 v[19:20], null, 0xdb629599, v7, v[12:13]
	s_delay_alu instid0(VALU_DEP_2) | instskip(NEXT) | instid1(VALU_DEP_2)
	v_cmp_lt_u32_e64 s1, 31, v5
	v_mov_b32_e32 v12, v20
	s_delay_alu instid0(VALU_DEP_3) | instskip(NEXT) | instid1(VALU_DEP_2)
	v_cndmask_b32_e32 v4, v19, v4, vcc_lo
	v_mad_u64_u32 v[20:21], null, 0xf534ddc0, v7, v[12:13]
	s_delay_alu instid0(VALU_DEP_1) | instskip(NEXT) | instid1(VALU_DEP_1)
	v_mov_b32_e32 v12, v21
	v_mad_u64_u32 v[21:22], null, 0xfc2757d1, v7, v[12:13]
	s_delay_alu instid0(VALU_DEP_1) | instskip(NEXT) | instid1(VALU_DEP_1)
	v_mov_b32_e32 v12, v22
	;; [unrolled: 3-line block ×3, first 2 shown]
	v_mad_u64_u32 v[23:24], null, 0xa2f9836e, v7, v[12:13]
	v_cndmask_b32_e64 v7, 0, 0xffffffe0, s1
	s_delay_alu instid0(VALU_DEP_1) | instskip(SKIP_1) | instid1(VALU_DEP_4)
	v_dual_cndmask_b32 v12, v22, v20 :: v_dual_add_nc_u32 v5, v7, v5
	v_cndmask_b32_e32 v7, v20, v18, vcc_lo
	v_dual_cndmask_b32 v23, v23, v21 :: v_dual_cndmask_b32 v22, v24, v22
	v_cndmask_b32_e32 v21, v21, v19, vcc_lo
	s_delay_alu instid0(VALU_DEP_4) | instskip(NEXT) | instid1(VALU_DEP_4)
	v_cmp_eq_u32_e64 s2, 0, v5
	v_cndmask_b32_e64 v4, v7, v4, s0
	s_delay_alu instid0(VALU_DEP_4) | instskip(SKIP_4) | instid1(VALU_DEP_4)
	v_cndmask_b32_e64 v18, v23, v12, s0
	v_cndmask_b32_e64 v20, v22, v23, s0
	;; [unrolled: 1-line block ×3, first 2 shown]
	v_sub_nc_u32_e32 v22, 32, v5
	v_cndmask_b32_e64 v21, v21, v7, s0
	v_cndmask_b32_e64 v20, v20, v18, s1
	s_delay_alu instid0(VALU_DEP_4) | instskip(NEXT) | instid1(VALU_DEP_3)
	v_cndmask_b32_e64 v18, v18, v12, s1
	v_cndmask_b32_e64 v12, v12, v21, s1
	;; [unrolled: 1-line block ×3, first 2 shown]
	s_delay_alu instid0(VALU_DEP_3) | instskip(NEXT) | instid1(VALU_DEP_3)
	v_alignbit_b32 v23, v20, v18, v22
	v_alignbit_b32 v24, v18, v12, v22
	s_delay_alu instid0(VALU_DEP_3) | instskip(NEXT) | instid1(VALU_DEP_3)
	v_alignbit_b32 v22, v12, v4, v22
	v_cndmask_b32_e64 v5, v23, v20, s2
	s_delay_alu instid0(VALU_DEP_3) | instskip(NEXT) | instid1(VALU_DEP_3)
	v_cndmask_b32_e64 v18, v24, v18, s2
	v_cndmask_b32_e64 v12, v22, v12, s2
	s_delay_alu instid0(VALU_DEP_3) | instskip(NEXT) | instid1(VALU_DEP_3)
	v_bfe_u32 v19, v5, 29, 1
	v_alignbit_b32 v7, v5, v18, 30
	s_delay_alu instid0(VALU_DEP_3) | instskip(SKIP_1) | instid1(VALU_DEP_4)
	v_alignbit_b32 v18, v18, v12, 30
	v_alignbit_b32 v4, v12, v4, 30
	v_sub_nc_u32_e32 v20, 0, v19
	s_delay_alu instid0(VALU_DEP_1) | instskip(SKIP_3) | instid1(VALU_DEP_4)
	v_xor_b32_e32 v21, v7, v20
	v_cmp_ne_u32_e32 vcc_lo, v7, v20
	v_xor_b32_e32 v12, v18, v20
	v_xor_b32_e32 v4, v4, v20
	v_clz_i32_u32_e32 v23, v21
	s_delay_alu instid0(VALU_DEP_1) | instskip(NEXT) | instid1(VALU_DEP_1)
	v_add_nc_u32_e32 v22, 1, v23
	v_cndmask_b32_e32 v7, 33, v22, vcc_lo
	s_delay_alu instid0(VALU_DEP_1) | instskip(NEXT) | instid1(VALU_DEP_1)
	v_sub_nc_u32_e32 v18, 32, v7
	v_alignbit_b32 v20, v21, v12, v18
	v_alignbit_b32 v4, v12, v4, v18
	v_lshrrev_b32_e32 v12, 29, v5
	s_delay_alu instid0(VALU_DEP_2) | instskip(NEXT) | instid1(VALU_DEP_2)
	v_alignbit_b32 v18, v20, v4, 9
	v_lshlrev_b32_e32 v12, 31, v12
	v_alignbit_b32 v20, v7, v20, 9
	s_delay_alu instid0(VALU_DEP_3) | instskip(NEXT) | instid1(VALU_DEP_2)
	v_clz_i32_u32_e32 v21, v18
	v_or_b32_e32 v20, v20, v12
	v_or_b32_e32 v12, 0x33800000, v12
	s_delay_alu instid0(VALU_DEP_3) | instskip(NEXT) | instid1(VALU_DEP_3)
	v_min_u32_e32 v21, 32, v21
	v_xor_b32_e32 v20, 1.0, v20
	s_delay_alu instid0(VALU_DEP_2) | instskip(SKIP_1) | instid1(VALU_DEP_3)
	v_sub_nc_u32_e32 v22, 31, v21
	v_add_lshl_u32 v7, v21, v7, 23
	v_mul_f32_e32 v21, 0x3fc90fda, v20
	s_delay_alu instid0(VALU_DEP_3) | instskip(NEXT) | instid1(VALU_DEP_3)
	v_alignbit_b32 v4, v18, v4, v22
	v_sub_nc_u32_e32 v7, v12, v7
	s_delay_alu instid0(VALU_DEP_3) | instskip(NEXT) | instid1(VALU_DEP_3)
	v_fma_f32 v12, 0x3fc90fda, v20, -v21
	v_lshrrev_b32_e32 v4, 9, v4
	s_delay_alu instid0(VALU_DEP_2) | instskip(NEXT) | instid1(VALU_DEP_2)
	v_fmac_f32_e32 v12, 0x33a22168, v20
	v_or_b32_e32 v4, v7, v4
	s_delay_alu instid0(VALU_DEP_1) | instskip(SKIP_1) | instid1(VALU_DEP_2)
	v_fmac_f32_e32 v12, 0x3fc90fda, v4
	v_lshrrev_b32_e32 v4, 30, v5
	v_add_f32_e32 v5, v21, v12
	s_delay_alu instid0(VALU_DEP_2)
	v_add_nc_u32_e32 v4, v19, v4
.LBB163_185:                            ;   in Loop: Header=BB163_180 Depth=1
	s_and_not1_saveexec_b32 s0, s17
; %bb.186:                              ;   in Loop: Header=BB163_180 Depth=1
	v_mul_f32_e64 v4, 0x3f22f983, |v9|
	s_delay_alu instid0(VALU_DEP_1) | instskip(NEXT) | instid1(VALU_DEP_1)
	v_rndne_f32_e32 v4, v4
	v_fma_f32 v5, 0xbfc90fda, v4, |v9|
	s_delay_alu instid0(VALU_DEP_1) | instskip(NEXT) | instid1(VALU_DEP_1)
	v_fmac_f32_e32 v5, 0xb3a22168, v4
	v_fmac_f32_e32 v5, 0xa7c234c4, v4
	v_cvt_i32_f32_e32 v4, v4
; %bb.187:                              ;   in Loop: Header=BB163_180 Depth=1
	s_or_b32 exec_lo, exec_lo, s0
	v_add_f32_e64 v7, 0xbf317218, |v8|
	v_cmp_nlt_f32_e64 vcc_lo, 0x42b2d4fc, |v8|
	v_cmp_gt_f32_e64 s0, 0x39800000, |v8|
	v_and_b32_e32 v4, 1, v4
	s_delay_alu instid0(VALU_DEP_4) | instskip(NEXT) | instid1(VALU_DEP_1)
	v_sub_f32_e64 v12, v7, |v8|
	v_sub_f32_e32 v18, v12, v7
	v_add_f32_e32 v12, 0x3f317218, v12
	s_delay_alu instid0(VALU_DEP_2) | instskip(NEXT) | instid1(VALU_DEP_1)
	v_add_f32_e64 v18, |v8|, v18
	v_sub_f32_e32 v12, v18, v12
	s_delay_alu instid0(VALU_DEP_1) | instskip(NEXT) | instid1(VALU_DEP_1)
	v_add_f32_e32 v12, 0x3102e308, v12
	v_add_f32_e32 v18, v7, v12
	s_delay_alu instid0(VALU_DEP_1) | instskip(NEXT) | instid1(VALU_DEP_1)
	v_sub_f32_e32 v7, v7, v18
	v_add_f32_e32 v7, v12, v7
	v_mul_f32_e32 v19, 0x3fb8aa3b, v18
	s_delay_alu instid0(VALU_DEP_1) | instskip(NEXT) | instid1(VALU_DEP_1)
	v_rndne_f32_e32 v19, v19
	v_mul_f32_e32 v12, 0x35bfbc00, v19
	v_fmac_f32_e32 v18, 0xbf317200, v19
	s_delay_alu instid0(VALU_DEP_1) | instskip(NEXT) | instid1(VALU_DEP_1)
	v_add_f32_e32 v20, v7, v18
	v_sub_f32_e32 v21, v20, v12
	v_sub_f32_e32 v18, v18, v20
	s_delay_alu instid0(VALU_DEP_1) | instskip(NEXT) | instid1(VALU_DEP_1)
	v_dual_sub_f32 v20, v20, v21 :: v_dual_add_f32 v7, v7, v18
	v_sub_f32_e32 v12, v20, v12
	s_delay_alu instid0(VALU_DEP_1) | instskip(NEXT) | instid1(VALU_DEP_1)
	v_dual_add_f32 v7, v7, v12 :: v_dual_mul_f32 v12, 0x2ea39ef3, v19
	v_add_f32_e32 v18, v21, v7
	s_delay_alu instid0(VALU_DEP_1) | instskip(NEXT) | instid1(VALU_DEP_1)
	v_dual_sub_f32 v20, v18, v12 :: v_dual_sub_f32 v21, v21, v18
	v_dual_sub_f32 v18, v18, v20 :: v_dual_add_f32 v7, v7, v21
	s_delay_alu instid0(VALU_DEP_1) | instskip(NEXT) | instid1(VALU_DEP_1)
	v_sub_f32_e32 v12, v18, v12
	v_add_f32_e32 v7, v7, v12
	s_delay_alu instid0(VALU_DEP_1) | instskip(NEXT) | instid1(VALU_DEP_1)
	v_add_f32_e32 v12, v20, v7
	v_sub_f32_e32 v18, v20, v12
	s_delay_alu instid0(VALU_DEP_1) | instskip(SKIP_1) | instid1(VALU_DEP_2)
	v_dual_mul_f32 v20, v12, v12 :: v_dual_add_f32 v7, v7, v18
	v_fmaak_f32 v18, s9, v12, 0x3c091de6
	v_fma_f32 v21, v12, v12, -v20
	s_delay_alu instid0(VALU_DEP_3) | instskip(NEXT) | instid1(VALU_DEP_3)
	v_add_f32_e32 v22, v7, v7
	v_fmaak_f32 v18, v12, v18, 0x3d2aadcc
	s_delay_alu instid0(VALU_DEP_2) | instskip(NEXT) | instid1(VALU_DEP_2)
	v_fmac_f32_e32 v21, v12, v22
	v_fmaak_f32 v18, v12, v18, 0x3e2aaa47
	s_delay_alu instid0(VALU_DEP_2) | instskip(NEXT) | instid1(VALU_DEP_2)
	v_add_f32_e32 v22, v20, v21
	v_fmaak_f32 v18, v12, v18, 0x3efffffc
	s_delay_alu instid0(VALU_DEP_2) | instskip(NEXT) | instid1(VALU_DEP_1)
	v_sub_f32_e32 v20, v22, v20
	v_dual_mul_f32 v23, v18, v22 :: v_dual_sub_f32 v20, v21, v20
	s_delay_alu instid0(VALU_DEP_1) | instskip(NEXT) | instid1(VALU_DEP_1)
	v_fma_f32 v21, v22, v18, -v23
	v_fmac_f32_e32 v21, v20, v18
	s_delay_alu instid0(VALU_DEP_1) | instskip(NEXT) | instid1(VALU_DEP_1)
	v_add_f32_e32 v18, v23, v21
	v_add_f32_e32 v20, v12, v18
	v_sub_f32_e32 v22, v18, v23
	s_delay_alu instid0(VALU_DEP_1) | instskip(NEXT) | instid1(VALU_DEP_1)
	v_dual_sub_f32 v12, v20, v12 :: v_dual_sub_f32 v21, v21, v22
	v_dual_sub_f32 v12, v18, v12 :: v_dual_add_f32 v7, v7, v21
	s_delay_alu instid0(VALU_DEP_1) | instskip(NEXT) | instid1(VALU_DEP_1)
	v_add_f32_e32 v7, v7, v12
	v_add_f32_e32 v12, v20, v7
	s_delay_alu instid0(VALU_DEP_1) | instskip(NEXT) | instid1(VALU_DEP_1)
	v_add_f32_e32 v18, 1.0, v12
	v_dual_sub_f32 v20, v12, v20 :: v_dual_add_f32 v21, -1.0, v18
	s_delay_alu instid0(VALU_DEP_1) | instskip(NEXT) | instid1(VALU_DEP_1)
	v_dual_sub_f32 v7, v7, v20 :: v_dual_sub_f32 v12, v12, v21
	v_add_f32_e32 v7, v7, v12
	v_cvt_i32_f32_e32 v12, v19
	s_delay_alu instid0(VALU_DEP_2) | instskip(NEXT) | instid1(VALU_DEP_1)
	v_add_f32_e32 v19, v18, v7
	v_ldexp_f32 v20, v19, v12
	v_sub_f32_e32 v18, v19, v18
	s_delay_alu instid0(VALU_DEP_2) | instskip(NEXT) | instid1(VALU_DEP_1)
	v_rcp_f32_e32 v21, v20
	v_sub_f32_e32 v7, v7, v18
	s_delay_alu instid0(VALU_DEP_1) | instskip(SKIP_2) | instid1(VALU_DEP_1)
	v_ldexp_f32 v7, v7, v12
	s_waitcnt_depctr 0xfff
	v_mul_f32_e32 v18, v20, v21
	v_fma_f32 v12, v21, v20, -v18
	s_delay_alu instid0(VALU_DEP_1) | instskip(NEXT) | instid1(VALU_DEP_1)
	v_fmac_f32_e32 v12, v21, v7
	v_add_f32_e32 v19, v18, v12
	s_delay_alu instid0(VALU_DEP_1) | instskip(SKIP_1) | instid1(VALU_DEP_1)
	v_sub_f32_e32 v22, 1.0, v19
	v_sub_f32_e32 v18, v19, v18
	v_dual_sub_f32 v23, 1.0, v22 :: v_dual_sub_f32 v12, v18, v12
	s_delay_alu instid0(VALU_DEP_1) | instskip(NEXT) | instid1(VALU_DEP_1)
	v_sub_f32_e32 v18, v23, v19
	v_add_f32_e32 v12, v12, v18
	s_delay_alu instid0(VALU_DEP_1) | instskip(NEXT) | instid1(VALU_DEP_1)
	v_add_f32_e32 v18, v22, v12
	v_mul_f32_e32 v19, v21, v18
	s_delay_alu instid0(VALU_DEP_1) | instskip(NEXT) | instid1(VALU_DEP_1)
	v_dual_sub_f32 v22, v22, v18 :: v_dual_mul_f32 v23, v20, v19
	v_add_f32_e32 v12, v12, v22
	s_delay_alu instid0(VALU_DEP_2) | instskip(NEXT) | instid1(VALU_DEP_1)
	v_fma_f32 v24, v19, v20, -v23
	v_fmac_f32_e32 v24, v19, v7
	s_delay_alu instid0(VALU_DEP_1) | instskip(NEXT) | instid1(VALU_DEP_1)
	v_add_f32_e32 v25, v23, v24
	v_sub_f32_e32 v26, v18, v25
	v_sub_f32_e32 v22, v25, v23
	s_delay_alu instid0(VALU_DEP_2) | instskip(NEXT) | instid1(VALU_DEP_2)
	v_sub_f32_e32 v18, v18, v26
	v_sub_f32_e32 v22, v22, v24
	s_delay_alu instid0(VALU_DEP_2) | instskip(NEXT) | instid1(VALU_DEP_1)
	v_sub_f32_e32 v18, v18, v25
	v_add_f32_e32 v12, v12, v18
	v_add_f32_e32 v18, v21, v19
	s_delay_alu instid0(VALU_DEP_2) | instskip(NEXT) | instid1(VALU_DEP_2)
	v_add_f32_e32 v12, v22, v12
	v_sub_f32_e32 v22, v18, v21
	s_delay_alu instid0(VALU_DEP_1) | instskip(NEXT) | instid1(VALU_DEP_1)
	v_dual_add_f32 v12, v26, v12 :: v_dual_sub_f32 v19, v19, v22
	v_mul_f32_e32 v12, v21, v12
	s_delay_alu instid0(VALU_DEP_1) | instskip(NEXT) | instid1(VALU_DEP_1)
	v_add_f32_e32 v12, v19, v12
	v_add_f32_e32 v19, v18, v12
	s_delay_alu instid0(VALU_DEP_1) | instskip(SKIP_1) | instid1(VALU_DEP_2)
	v_ldexp_f32 v21, v19, -2
	v_sub_f32_e32 v18, v19, v18
	v_sub_f32_e32 v22, v20, v21
	s_delay_alu instid0(VALU_DEP_2) | instskip(NEXT) | instid1(VALU_DEP_2)
	v_sub_f32_e32 v12, v12, v18
	v_sub_f32_e32 v19, v20, v22
	s_delay_alu instid0(VALU_DEP_2) | instskip(NEXT) | instid1(VALU_DEP_2)
	v_ldexp_f32 v12, v12, -2
	v_sub_f32_e32 v18, v19, v21
	s_delay_alu instid0(VALU_DEP_1) | instskip(NEXT) | instid1(VALU_DEP_1)
	v_add_f32_e32 v7, v7, v18
	v_dual_sub_f32 v7, v7, v12 :: v_dual_mul_f32 v12, v5, v5
	s_delay_alu instid0(VALU_DEP_1) | instskip(SKIP_1) | instid1(VALU_DEP_2)
	v_dual_add_f32 v7, v22, v7 :: v_dual_fmaak_f32 v18, s8, v12, 0xbf039337
	v_fmaak_f32 v19, s5, v12, 0x3ec54587
	v_cndmask_b32_e32 v7, 0x7f800000, v7, vcc_lo
	s_delay_alu instid0(VALU_DEP_3) | instskip(NEXT) | instid1(VALU_DEP_2)
	v_fmaak_f32 v18, v12, v18, 0x3f93f425
	v_cndmask_b32_e64 v7, v7, |v8|, s0
	s_delay_alu instid0(VALU_DEP_2) | instskip(NEXT) | instid1(VALU_DEP_1)
	v_rcp_f32_e32 v18, v18
	v_bfi_b32 v7, 0x7fffffff, v7, v8
	s_delay_alu instid0(VALU_DEP_1) | instskip(SKIP_3) | instid1(VALU_DEP_2)
	v_fma_f32 v20, v7, v7, 1.0
	s_waitcnt_depctr 0xfff
	v_dual_mul_f32 v18, v19, v18 :: v_dual_mul_f32 v19, 0x4f800000, v20
	v_cmp_gt_f32_e32 vcc_lo, 0xf800000, v20
	v_mul_f32_e32 v12, v12, v18
	s_delay_alu instid0(VALU_DEP_3) | instskip(NEXT) | instid1(VALU_DEP_2)
	v_cndmask_b32_e32 v18, v20, v19, vcc_lo
	v_fma_f32 v19, v12, v5, v5
	s_delay_alu instid0(VALU_DEP_2) | instskip(NEXT) | instid1(VALU_DEP_1)
	v_sqrt_f32_e32 v20, v18
	v_rcp_f32_e32 v21, v19
	v_sub_f32_e32 v22, v19, v5
	s_delay_alu instid0(VALU_DEP_1) | instskip(SKIP_4) | instid1(VALU_DEP_3)
	v_fma_f32 v5, v12, v5, -v22
	s_waitcnt_depctr 0xfff
	v_add_nc_u32_e32 v23, -1, v20
	v_fma_f32 v12, v19, -v21, 1.0
	v_add_nc_u32_e32 v22, 1, v20
	v_fma_f32 v24, -v23, v20, v18
	s_delay_alu instid0(VALU_DEP_3) | instskip(NEXT) | instid1(VALU_DEP_3)
	v_fma_f32 v5, v5, -v21, v12
	v_fma_f32 v12, -v22, v20, v18
	s_delay_alu instid0(VALU_DEP_3) | instskip(NEXT) | instid1(VALU_DEP_3)
	v_cmp_ge_f32_e64 s0, 0, v24
	v_fma_f32 v5, v5, -v21, -v21
	s_delay_alu instid0(VALU_DEP_2) | instskip(NEXT) | instid1(VALU_DEP_4)
	v_cndmask_b32_e64 v20, v20, v23, s0
	v_cmp_lt_f32_e64 s0, 0, v12
	s_delay_alu instid0(VALU_DEP_1) | instskip(SKIP_1) | instid1(VALU_DEP_1)
	v_cndmask_b32_e64 v12, v20, v22, s0
	v_cmp_eq_u32_e64 s0, 0, v4
	v_cndmask_b32_e64 v4, v5, v19, s0
	s_delay_alu instid0(VALU_DEP_3) | instskip(NEXT) | instid1(VALU_DEP_2)
	v_mul_f32_e32 v5, 0x37800000, v12
	v_xor3_b32 v6, v6, v4, v9
	s_delay_alu instid0(VALU_DEP_2) | instskip(SKIP_1) | instid1(VALU_DEP_3)
	v_cndmask_b32_e32 v4, v12, v5, vcc_lo
	v_cmp_class_f32_e64 vcc_lo, v18, 0x260
	v_fma_f32 v5, v6, v6, 1.0
	s_delay_alu instid0(VALU_DEP_3) | instskip(NEXT) | instid1(VALU_DEP_2)
	v_cndmask_b32_e32 v4, v4, v18, vcc_lo
	v_mul_f32_e32 v12, v7, v5
	s_delay_alu instid0(VALU_DEP_2) | instskip(NEXT) | instid1(VALU_DEP_2)
	v_mul_f32_e32 v4, v4, v5
	v_fma_f32 v5, v7, v12, 1.0
	s_delay_alu instid0(VALU_DEP_2) | instskip(NEXT) | instid1(VALU_DEP_2)
	v_mul_f32_e32 v4, v7, v4
	v_div_scale_f32 v12, null, v5, v5, v6
	s_delay_alu instid0(VALU_DEP_2) | instskip(SKIP_1) | instid1(VALU_DEP_3)
	v_div_scale_f32 v7, null, v5, v5, v4
	v_div_scale_f32 v22, vcc_lo, v4, v5, v4
	v_rcp_f32_e32 v19, v12
	s_delay_alu instid0(VALU_DEP_2) | instskip(SKIP_3) | instid1(VALU_DEP_1)
	v_rcp_f32_e32 v18, v7
	s_waitcnt_depctr 0xfff
	v_fma_f32 v21, -v12, v19, 1.0
	v_fma_f32 v20, -v7, v18, 1.0
	v_dual_fmac_f32 v19, v21, v19 :: v_dual_fmac_f32 v18, v20, v18
	v_div_scale_f32 v20, s0, v6, v5, v6
	s_delay_alu instid0(VALU_DEP_2) | instskip(NEXT) | instid1(VALU_DEP_2)
	v_mul_f32_e32 v21, v22, v18
	v_mul_f32_e32 v23, v20, v19
	s_delay_alu instid0(VALU_DEP_2) | instskip(NEXT) | instid1(VALU_DEP_2)
	v_fma_f32 v24, -v7, v21, v22
	v_fma_f32 v25, -v12, v23, v20
	s_delay_alu instid0(VALU_DEP_2) | instskip(NEXT) | instid1(VALU_DEP_2)
	v_fmac_f32_e32 v21, v24, v18
	v_fmac_f32_e32 v23, v25, v19
	s_delay_alu instid0(VALU_DEP_2) | instskip(NEXT) | instid1(VALU_DEP_2)
	v_fma_f32 v7, -v7, v21, v22
	v_fma_f32 v12, -v12, v23, v20
	s_delay_alu instid0(VALU_DEP_2) | instskip(SKIP_1) | instid1(VALU_DEP_2)
	v_div_fmas_f32 v7, v7, v18, v21
	s_mov_b32 vcc_lo, s0
	v_div_fmas_f32 v12, v12, v19, v23
	s_delay_alu instid0(VALU_DEP_2) | instskip(NEXT) | instid1(VALU_DEP_2)
	v_div_fixup_f32 v4, v7, v5, v4
	v_div_fixup_f32 v5, v12, v5, v6
                                        ; implicit-def: $vgpr6
.LBB163_188:                            ;   in Loop: Header=BB163_180 Depth=1
	s_and_not1_saveexec_b32 s16, s16
	s_cbranch_execz .LBB163_191
; %bb.189:                              ;   in Loop: Header=BB163_180 Depth=1
	v_lshrrev_b32_e32 v4, 23, v6
	v_cmp_ngt_f32_e64 s17, 0x48000000, |v9|
	v_and_or_b32 v7, v6, s4, 0x800000
                                        ; implicit-def: $vgpr5
	s_delay_alu instid0(VALU_DEP_3) | instskip(NEXT) | instid1(VALU_DEP_3)
	v_add_nc_u32_e32 v18, 0xffffff88, v4
                                        ; implicit-def: $vgpr4
	s_and_saveexec_b32 s0, s17
	s_delay_alu instid0(SALU_CYCLE_1)
	s_xor_b32 s18, exec_lo, s0
	s_cbranch_execz .LBB163_192
; %bb.190:                              ;   in Loop: Header=BB163_180 Depth=1
	v_mad_u64_u32 v[4:5], null, 0xfe5163ab, v7, 0
	v_cmp_lt_u32_e32 vcc_lo, 63, v18
	s_delay_alu instid0(VALU_DEP_2) | instskip(SKIP_1) | instid1(VALU_DEP_2)
	v_mov_b32_e32 v12, v5
	v_cndmask_b32_e64 v5, 0, 0xffffffc0, vcc_lo
	v_mad_u64_u32 v[19:20], null, 0x3c439041, v7, v[12:13]
	s_delay_alu instid0(VALU_DEP_2) | instskip(NEXT) | instid1(VALU_DEP_1)
	v_add_nc_u32_e32 v5, v5, v18
	v_cmp_lt_u32_e64 s0, 31, v5
	s_delay_alu instid0(VALU_DEP_3) | instskip(NEXT) | instid1(VALU_DEP_2)
	v_mov_b32_e32 v12, v20
	v_cndmask_b32_e64 v25, 0, 0xffffffe0, s0
	s_delay_alu instid0(VALU_DEP_2) | instskip(NEXT) | instid1(VALU_DEP_2)
	v_mad_u64_u32 v[20:21], null, 0xdb629599, v7, v[12:13]
	v_add_nc_u32_e32 v5, v25, v5
	s_delay_alu instid0(VALU_DEP_2) | instskip(NEXT) | instid1(VALU_DEP_3)
	v_mov_b32_e32 v12, v21
	v_cndmask_b32_e32 v4, v20, v4, vcc_lo
	s_delay_alu instid0(VALU_DEP_3) | instskip(NEXT) | instid1(VALU_DEP_3)
	v_cmp_lt_u32_e64 s1, 31, v5
	v_mad_u64_u32 v[21:22], null, 0xf534ddc0, v7, v[12:13]
	s_delay_alu instid0(VALU_DEP_1) | instskip(NEXT) | instid1(VALU_DEP_1)
	v_mov_b32_e32 v12, v22
	v_mad_u64_u32 v[22:23], null, 0xfc2757d1, v7, v[12:13]
	s_delay_alu instid0(VALU_DEP_1) | instskip(NEXT) | instid1(VALU_DEP_1)
	v_mov_b32_e32 v12, v23
	v_mad_u64_u32 v[23:24], null, 0x4e441529, v7, v[12:13]
	s_delay_alu instid0(VALU_DEP_1) | instskip(NEXT) | instid1(VALU_DEP_2)
	v_mov_b32_e32 v12, v24
	v_cndmask_b32_e32 v26, v23, v21, vcc_lo
	s_delay_alu instid0(VALU_DEP_2) | instskip(SKIP_1) | instid1(VALU_DEP_1)
	v_mad_u64_u32 v[24:25], null, 0xa2f9836e, v7, v[12:13]
	v_cndmask_b32_e64 v12, 0, 0xffffffe0, s1
	v_add_nc_u32_e32 v5, v12, v5
	s_delay_alu instid0(VALU_DEP_3) | instskip(SKIP_2) | instid1(VALU_DEP_4)
	v_dual_cndmask_b32 v24, v24, v22 :: v_dual_cndmask_b32 v23, v25, v23
	v_cndmask_b32_e32 v22, v22, v20, vcc_lo
	v_cndmask_b32_e32 v12, v21, v19, vcc_lo
	v_cmp_eq_u32_e64 s2, 0, v5
	s_delay_alu instid0(VALU_DEP_4)
	v_cndmask_b32_e64 v19, v24, v26, s0
	v_cndmask_b32_e64 v21, v23, v24, s0
	;; [unrolled: 1-line block ×3, first 2 shown]
	v_sub_nc_u32_e32 v24, 32, v5
	v_cndmask_b32_e64 v22, v22, v12, s0
	v_cndmask_b32_e64 v4, v12, v4, s0
	;; [unrolled: 1-line block ×4, first 2 shown]
	s_delay_alu instid0(VALU_DEP_4) | instskip(NEXT) | instid1(VALU_DEP_4)
	v_cndmask_b32_e64 v23, v23, v22, s1
	v_cndmask_b32_e64 v4, v22, v4, s1
	s_delay_alu instid0(VALU_DEP_3) | instskip(NEXT) | instid1(VALU_DEP_3)
	v_alignbit_b32 v25, v21, v19, v24
	v_alignbit_b32 v26, v19, v23, v24
	s_delay_alu instid0(VALU_DEP_3) | instskip(NEXT) | instid1(VALU_DEP_3)
	v_alignbit_b32 v24, v23, v4, v24
	v_cndmask_b32_e64 v5, v25, v21, s2
	s_delay_alu instid0(VALU_DEP_3) | instskip(NEXT) | instid1(VALU_DEP_3)
	v_cndmask_b32_e64 v19, v26, v19, s2
	v_cndmask_b32_e64 v23, v24, v23, s2
	s_delay_alu instid0(VALU_DEP_3) | instskip(NEXT) | instid1(VALU_DEP_3)
	v_bfe_u32 v20, v5, 29, 1
	v_alignbit_b32 v12, v5, v19, 30
	s_delay_alu instid0(VALU_DEP_3) | instskip(SKIP_1) | instid1(VALU_DEP_4)
	v_alignbit_b32 v19, v19, v23, 30
	v_alignbit_b32 v4, v23, v4, 30
	v_sub_nc_u32_e32 v21, 0, v20
	s_delay_alu instid0(VALU_DEP_1) | instskip(SKIP_3) | instid1(VALU_DEP_4)
	v_xor_b32_e32 v22, v12, v21
	v_cmp_ne_u32_e32 vcc_lo, v12, v21
	v_xor_b32_e32 v19, v19, v21
	v_xor_b32_e32 v4, v4, v21
	v_clz_i32_u32_e32 v25, v22
	s_delay_alu instid0(VALU_DEP_1) | instskip(NEXT) | instid1(VALU_DEP_1)
	v_add_nc_u32_e32 v24, 1, v25
	v_cndmask_b32_e32 v12, 33, v24, vcc_lo
	s_delay_alu instid0(VALU_DEP_1) | instskip(NEXT) | instid1(VALU_DEP_1)
	v_sub_nc_u32_e32 v23, 32, v12
	v_alignbit_b32 v21, v22, v19, v23
	v_alignbit_b32 v4, v19, v4, v23
	v_lshrrev_b32_e32 v19, 29, v5
	v_lshrrev_b32_e32 v5, 30, v5
	s_delay_alu instid0(VALU_DEP_3) | instskip(NEXT) | instid1(VALU_DEP_3)
	v_alignbit_b32 v22, v21, v4, 9
	v_lshlrev_b32_e32 v19, 31, v19
	s_delay_alu instid0(VALU_DEP_3) | instskip(SKIP_1) | instid1(VALU_DEP_4)
	v_add_nc_u32_e32 v5, v20, v5
	v_alignbit_b32 v21, v12, v21, 9
	v_clz_i32_u32_e32 v23, v22
	s_delay_alu instid0(VALU_DEP_2) | instskip(SKIP_1) | instid1(VALU_DEP_3)
	v_or_b32_e32 v21, v21, v19
	v_or_b32_e32 v19, 0x33800000, v19
	v_min_u32_e32 v23, 32, v23
	s_delay_alu instid0(VALU_DEP_3) | instskip(NEXT) | instid1(VALU_DEP_2)
	v_xor_b32_e32 v21, 1.0, v21
	v_sub_nc_u32_e32 v24, 31, v23
	v_add_lshl_u32 v12, v23, v12, 23
	s_delay_alu instid0(VALU_DEP_3) | instskip(NEXT) | instid1(VALU_DEP_3)
	v_mul_f32_e32 v23, 0x3fc90fda, v21
	v_alignbit_b32 v4, v22, v4, v24
	s_delay_alu instid0(VALU_DEP_3) | instskip(NEXT) | instid1(VALU_DEP_3)
	v_sub_nc_u32_e32 v12, v19, v12
	v_fma_f32 v19, 0x3fc90fda, v21, -v23
	s_delay_alu instid0(VALU_DEP_3) | instskip(NEXT) | instid1(VALU_DEP_2)
	v_lshrrev_b32_e32 v4, 9, v4
	v_fmac_f32_e32 v19, 0x33a22168, v21
	s_delay_alu instid0(VALU_DEP_2) | instskip(NEXT) | instid1(VALU_DEP_1)
	v_or_b32_e32 v4, v12, v4
	v_fmac_f32_e32 v19, 0x3fc90fda, v4
	s_delay_alu instid0(VALU_DEP_1)
	v_add_f32_e32 v4, v23, v19
	s_and_not1_saveexec_b32 s0, s18
	s_branch .LBB163_193
.LBB163_191:                            ;   in Loop: Header=BB163_180 Depth=1
	s_or_b32 exec_lo, exec_lo, s16
	s_and_not1_saveexec_b32 s0, s15
	s_cbranch_execnz .LBB163_200
	s_branch .LBB163_201
.LBB163_192:                            ;   in Loop: Header=BB163_180 Depth=1
	s_and_not1_saveexec_b32 s0, s18
.LBB163_193:                            ;   in Loop: Header=BB163_180 Depth=1
	v_mul_f32_e64 v4, 0x3f22f983, |v9|
	s_delay_alu instid0(VALU_DEP_1) | instskip(NEXT) | instid1(VALU_DEP_1)
	v_rndne_f32_e32 v5, v4
	v_fma_f32 v4, 0xbfc90fda, v5, |v9|
	s_delay_alu instid0(VALU_DEP_1) | instskip(NEXT) | instid1(VALU_DEP_1)
	v_fmac_f32_e32 v4, 0xb3a22168, v5
	v_fmac_f32_e32 v4, 0xa7c234c4, v5
	v_cvt_i32_f32_e32 v5, v5
; %bb.194:                              ;   in Loop: Header=BB163_180 Depth=1
	s_or_b32 exec_lo, exec_lo, s0
                                        ; implicit-def: $vgpr19
                                        ; implicit-def: $vgpr12
	s_and_saveexec_b32 s0, s17
	s_delay_alu instid0(SALU_CYCLE_1)
	s_xor_b32 s17, exec_lo, s0
	s_cbranch_execz .LBB163_196
; %bb.195:                              ;   in Loop: Header=BB163_180 Depth=1
	v_mad_u64_u32 v[19:20], null, 0xfe5163ab, v7, 0
	v_cmp_lt_u32_e32 vcc_lo, 63, v18
	v_cndmask_b32_e64 v25, 0, 0xffffffc0, vcc_lo
	s_delay_alu instid0(VALU_DEP_3) | instskip(NEXT) | instid1(VALU_DEP_2)
	v_mov_b32_e32 v12, v20
	v_add_nc_u32_e32 v18, v25, v18
	s_delay_alu instid0(VALU_DEP_2) | instskip(NEXT) | instid1(VALU_DEP_2)
	v_mad_u64_u32 v[20:21], null, 0x3c439041, v7, v[12:13]
	v_cmp_lt_u32_e64 s0, 31, v18
	s_delay_alu instid0(VALU_DEP_2) | instskip(NEXT) | instid1(VALU_DEP_2)
	v_mov_b32_e32 v12, v21
	v_cndmask_b32_e64 v26, 0, 0xffffffe0, s0
	s_delay_alu instid0(VALU_DEP_2) | instskip(NEXT) | instid1(VALU_DEP_2)
	v_mad_u64_u32 v[21:22], null, 0xdb629599, v7, v[12:13]
	v_add_nc_u32_e32 v18, v26, v18
	s_delay_alu instid0(VALU_DEP_1) | instskip(NEXT) | instid1(VALU_DEP_3)
	v_cmp_lt_u32_e64 s1, 31, v18
	v_dual_mov_b32 v12, v22 :: v_dual_cndmask_b32 v19, v21, v19
	s_delay_alu instid0(VALU_DEP_1) | instskip(NEXT) | instid1(VALU_DEP_1)
	v_mad_u64_u32 v[22:23], null, 0xf534ddc0, v7, v[12:13]
	v_mov_b32_e32 v12, v23
	s_delay_alu instid0(VALU_DEP_1) | instskip(NEXT) | instid1(VALU_DEP_1)
	v_mad_u64_u32 v[23:24], null, 0xfc2757d1, v7, v[12:13]
	v_mov_b32_e32 v12, v24
	;; [unrolled: 3-line block ×3, first 2 shown]
	s_delay_alu instid0(VALU_DEP_1) | instskip(SKIP_1) | instid1(VALU_DEP_4)
	v_mad_u64_u32 v[25:26], null, 0xa2f9836e, v7, v[12:13]
	v_cndmask_b32_e64 v7, 0, 0xffffffe0, s1
	v_cndmask_b32_e32 v12, v24, v22, vcc_lo
	s_delay_alu instid0(VALU_DEP_2) | instskip(NEXT) | instid1(VALU_DEP_4)
	v_add_nc_u32_e32 v7, v7, v18
	v_dual_cndmask_b32 v25, v25, v23 :: v_dual_cndmask_b32 v24, v26, v24
	v_dual_cndmask_b32 v23, v23, v21 :: v_dual_cndmask_b32 v18, v22, v20
	s_delay_alu instid0(VALU_DEP_3) | instskip(NEXT) | instid1(VALU_DEP_3)
	v_cmp_eq_u32_e64 s2, 0, v7
	v_cndmask_b32_e64 v20, v25, v12, s0
	s_delay_alu instid0(VALU_DEP_4) | instskip(NEXT) | instid1(VALU_DEP_4)
	v_cndmask_b32_e64 v22, v24, v25, s0
	v_cndmask_b32_e64 v12, v12, v23, s0
	v_sub_nc_u32_e32 v24, 32, v7
	v_cndmask_b32_e64 v23, v23, v18, s0
	v_cndmask_b32_e64 v18, v18, v19, s0
	v_cndmask_b32_e64 v22, v22, v20, s1
	v_cndmask_b32_e64 v20, v20, v12, s1
	s_delay_alu instid0(VALU_DEP_4) | instskip(NEXT) | instid1(VALU_DEP_4)
	v_cndmask_b32_e64 v12, v12, v23, s1
	v_cndmask_b32_e64 v18, v23, v18, s1
	s_delay_alu instid0(VALU_DEP_3) | instskip(NEXT) | instid1(VALU_DEP_3)
	v_alignbit_b32 v25, v22, v20, v24
	v_alignbit_b32 v26, v20, v12, v24
	s_delay_alu instid0(VALU_DEP_3) | instskip(NEXT) | instid1(VALU_DEP_3)
	v_alignbit_b32 v24, v12, v18, v24
	v_cndmask_b32_e64 v7, v25, v22, s2
	s_delay_alu instid0(VALU_DEP_3) | instskip(NEXT) | instid1(VALU_DEP_3)
	v_cndmask_b32_e64 v20, v26, v20, s2
	v_cndmask_b32_e64 v12, v24, v12, s2
	s_delay_alu instid0(VALU_DEP_3) | instskip(NEXT) | instid1(VALU_DEP_3)
	v_bfe_u32 v21, v7, 29, 1
	v_alignbit_b32 v19, v7, v20, 30
	s_delay_alu instid0(VALU_DEP_3) | instskip(SKIP_1) | instid1(VALU_DEP_4)
	v_alignbit_b32 v20, v20, v12, 30
	v_alignbit_b32 v12, v12, v18, 30
	v_sub_nc_u32_e32 v22, 0, v21
	s_delay_alu instid0(VALU_DEP_1) | instskip(SKIP_3) | instid1(VALU_DEP_4)
	v_xor_b32_e32 v23, v19, v22
	v_cmp_ne_u32_e32 vcc_lo, v19, v22
	v_xor_b32_e32 v18, v20, v22
	v_xor_b32_e32 v12, v12, v22
	v_clz_i32_u32_e32 v25, v23
	s_delay_alu instid0(VALU_DEP_1) | instskip(NEXT) | instid1(VALU_DEP_1)
	v_add_nc_u32_e32 v24, 1, v25
	v_cndmask_b32_e32 v19, 33, v24, vcc_lo
	s_delay_alu instid0(VALU_DEP_1) | instskip(NEXT) | instid1(VALU_DEP_1)
	v_sub_nc_u32_e32 v20, 32, v19
	v_alignbit_b32 v22, v23, v18, v20
	v_alignbit_b32 v12, v18, v12, v20
	v_lshrrev_b32_e32 v18, 29, v7
	v_lshrrev_b32_e32 v7, 30, v7
	s_delay_alu instid0(VALU_DEP_3) | instskip(NEXT) | instid1(VALU_DEP_3)
	v_alignbit_b32 v20, v22, v12, 9
	v_lshlrev_b32_e32 v18, 31, v18
	v_alignbit_b32 v22, v19, v22, 9
	s_delay_alu instid0(VALU_DEP_3) | instskip(NEXT) | instid1(VALU_DEP_2)
	v_clz_i32_u32_e32 v23, v20
	v_or_b32_e32 v22, v22, v18
	v_or_b32_e32 v18, 0x33800000, v18
	s_delay_alu instid0(VALU_DEP_3) | instskip(NEXT) | instid1(VALU_DEP_3)
	v_min_u32_e32 v23, 32, v23
	v_xor_b32_e32 v22, 1.0, v22
	s_delay_alu instid0(VALU_DEP_2) | instskip(SKIP_1) | instid1(VALU_DEP_3)
	v_sub_nc_u32_e32 v24, 31, v23
	v_add_lshl_u32 v19, v23, v19, 23
	v_mul_f32_e32 v23, 0x3fc90fda, v22
	s_delay_alu instid0(VALU_DEP_3) | instskip(NEXT) | instid1(VALU_DEP_3)
	v_alignbit_b32 v12, v20, v12, v24
	v_sub_nc_u32_e32 v18, v18, v19
	s_delay_alu instid0(VALU_DEP_3) | instskip(NEXT) | instid1(VALU_DEP_3)
	v_fma_f32 v19, 0x3fc90fda, v22, -v23
	v_lshrrev_b32_e32 v12, 9, v12
	s_delay_alu instid0(VALU_DEP_2) | instskip(NEXT) | instid1(VALU_DEP_2)
	v_fmac_f32_e32 v19, 0x33a22168, v22
	v_or_b32_e32 v12, v18, v12
	s_delay_alu instid0(VALU_DEP_1) | instskip(NEXT) | instid1(VALU_DEP_1)
	v_fmac_f32_e32 v19, 0x3fc90fda, v12
	v_add_f32_e32 v12, v23, v19
	v_add_nc_u32_e32 v19, v21, v7
	s_and_not1_saveexec_b32 s0, s17
	s_cbranch_execnz .LBB163_197
	s_branch .LBB163_198
.LBB163_196:                            ;   in Loop: Header=BB163_180 Depth=1
	s_and_not1_saveexec_b32 s0, s17
.LBB163_197:                            ;   in Loop: Header=BB163_180 Depth=1
	v_mul_f32_e64 v7, 0x3f22f983, |v9|
	s_delay_alu instid0(VALU_DEP_1) | instskip(NEXT) | instid1(VALU_DEP_1)
	v_rndne_f32_e32 v7, v7
	v_fma_f32 v12, 0xbfc90fda, v7, |v9|
	v_cvt_i32_f32_e32 v19, v7
	s_delay_alu instid0(VALU_DEP_2) | instskip(NEXT) | instid1(VALU_DEP_1)
	v_fmac_f32_e32 v12, 0xb3a22168, v7
	v_fmac_f32_e32 v12, 0xa7c234c4, v7
.LBB163_198:                            ;   in Loop: Header=BB163_180 Depth=1
	s_or_b32 exec_lo, exec_lo, s0
	v_dual_mul_f32 v7, v4, v4 :: v_dual_and_b32 v18, 1, v5
	v_mul_f32_e64 v20, 0xbfb8aa3b, |v8|
	s_delay_alu instid0(VALU_DEP_2) | instskip(SKIP_1) | instid1(VALU_DEP_3)
	v_dual_fmaak_f32 v22, s13, v7, 0xbab64f3b :: v_dual_lshlrev_b32 v5, 30, v5
	v_mul_f32_e32 v23, v12, v12
	v_rndne_f32_e32 v24, v20
	v_fmaak_f32 v21, s12, v7, 0x3c0881c4
	v_fma_f32 v25, 0xbfb8aa3b, |v8|, -v20
	v_fmaak_f32 v22, v7, v22, 0x3d2aabf7
	s_delay_alu instid0(VALU_DEP_4) | instskip(NEXT) | instid1(VALU_DEP_4)
	v_dual_sub_f32 v20, v20, v24 :: v_dual_and_b32 v5, 0x80000000, v5
	v_fmaak_f32 v21, v7, v21, 0xbe2aaa9d
	s_delay_alu instid0(VALU_DEP_4)
	v_fma_f32 v25, 0xb2a5705f, |v8|, v25
	v_fmaak_f32 v26, s12, v23, 0x3c0881c4
	v_fmaak_f32 v22, v7, v22, 0xbf000004
	v_fmaak_f32 v27, s13, v23, 0xbab64f3b
	v_mul_f32_e32 v21, v7, v21
	v_add_f32_e32 v20, v20, v25
	v_cmp_eq_u32_e32 vcc_lo, 0, v18
	v_and_b32_e32 v18, 1, v19
	s_delay_alu instid0(VALU_DEP_4)
	v_dual_fmac_f32 v4, v4, v21 :: v_dual_lshlrev_b32 v19, 30, v19
	v_fmaak_f32 v21, v23, v27, 0x3d2aabf7
	v_fma_f32 v7, v7, v22, 1.0
	v_exp_f32_e32 v20, v20
	v_xor_b32_e32 v5, v6, v5
	v_cvt_i32_f32_e32 v6, v24
	s_delay_alu instid0(VALU_DEP_3) | instskip(SKIP_1) | instid1(VALU_DEP_2)
	v_cndmask_b32_e32 v4, v7, v4, vcc_lo
	v_cmp_eq_u32_e32 vcc_lo, 0, v18
	v_xor3_b32 v4, v5, v4, v9
	s_waitcnt_depctr 0xfff
	v_ldexp_f32 v5, v20, v6
	v_fmaak_f32 v26, v23, v26, 0xbe2aaa9d
	v_dual_fmaak_f32 v7, v23, v21, 0xbf000004 :: v_dual_mul_f32 v4, 4.0, v4
	s_delay_alu instid0(VALU_DEP_2) | instskip(NEXT) | instid1(VALU_DEP_2)
	v_mul_f32_e32 v22, v23, v26
	v_fma_f32 v7, v23, v7, 1.0
	s_delay_alu instid0(VALU_DEP_2) | instskip(NEXT) | instid1(VALU_DEP_1)
	v_fmac_f32_e32 v12, v12, v22
	v_cndmask_b32_e64 v6, -v12, v7, vcc_lo
	v_and_b32_e32 v7, 0x80000000, v19
	v_cmp_nlt_f32_e64 vcc_lo, 0x42ce8ed0, |v8|
	s_delay_alu instid0(VALU_DEP_2) | instskip(SKIP_2) | instid1(VALU_DEP_2)
	v_xor_b32_e32 v6, v7, v6
	v_cndmask_b32_e32 v5, 0, v5, vcc_lo
	v_cmp_ngt_f32_e64 vcc_lo, 0xc2b17218, |v8|
	v_dual_mul_f32 v4, v4, v6 :: v_dual_cndmask_b32 v5, 0x7f800000, v5
	s_delay_alu instid0(VALU_DEP_1) | instskip(SKIP_1) | instid1(VALU_DEP_2)
	v_mul_f32_e32 v6, v5, v4
	v_bfi_b32 v4, 0x7fffffff, 1.0, v8
	v_mul_f32_e32 v5, v5, v6
	s_or_b32 exec_lo, exec_lo, s16
.LBB163_199:                            ;   in Loop: Header=BB163_180 Depth=1
	s_and_not1_saveexec_b32 s0, s15
.LBB163_200:                            ;   in Loop: Header=BB163_180 Depth=1
	v_sub_f32_e32 v5, v9, v9
	s_delay_alu instid0(VALU_DEP_1)
	v_mov_b32_e32 v4, v5
.LBB163_201:                            ;   in Loop: Header=BB163_180 Depth=1
	s_or_b32 exec_lo, exec_lo, s0
.LBB163_202:                            ;   in Loop: Header=BB163_180 Depth=1
	s_and_not1_saveexec_b32 s14, s14
	s_cbranch_execz .LBB163_218
; %bb.203:                              ;   in Loop: Header=BB163_180 Depth=1
	v_and_b32_e32 v4, 0x7fffff, v8
	s_mov_b32 s0, exec_lo
                                        ; implicit-def: $vgpr5
	s_delay_alu instid0(VALU_DEP_1)
	v_cmpx_ne_u32_e32 0, v4
	s_xor_b32 s0, exec_lo, s0
; %bb.204:                              ;   in Loop: Header=BB163_180 Depth=1
	v_mul_f32_e32 v4, v8, v9
	v_cmp_eq_f32_e32 vcc_lo, 0, v9
	s_delay_alu instid0(VALU_DEP_2)
	v_cndmask_b32_e32 v5, v4, v9, vcc_lo
; %bb.205:                              ;   in Loop: Header=BB163_180 Depth=1
	s_and_not1_saveexec_b32 s15, s0
	s_cbranch_execz .LBB163_217
; %bb.206:                              ;   in Loop: Header=BB163_180 Depth=1
	s_mov_b32 s16, exec_lo
	v_cmpx_neq_f32_e64 0x7f800000, |v9|
	s_cbranch_execz .LBB163_216
; %bb.207:                              ;   in Loop: Header=BB163_180 Depth=1
	v_and_b32_e32 v4, 0x7fffffff, v9
	v_cmp_ngt_f32_e64 s17, 0x48000000, |v9|
                                        ; implicit-def: $vgpr6
	s_delay_alu instid0(VALU_DEP_2) | instskip(SKIP_1) | instid1(VALU_DEP_2)
	v_lshrrev_b32_e32 v5, 23, v4
	v_and_or_b32 v7, v4, s4, 0x800000
	v_add_nc_u32_e32 v18, 0xffffff88, v5
                                        ; implicit-def: $vgpr5
	s_delay_alu instid0(VALU_DEP_4) | instskip(NEXT) | instid1(SALU_CYCLE_1)
	s_and_saveexec_b32 s0, s17
	s_xor_b32 s18, exec_lo, s0
	s_cbranch_execz .LBB163_209
; %bb.208:                              ;   in Loop: Header=BB163_180 Depth=1
	v_mad_u64_u32 v[5:6], null, 0xfe5163ab, v7, 0
	v_cmp_lt_u32_e32 vcc_lo, 63, v18
	s_delay_alu instid0(VALU_DEP_2) | instskip(SKIP_1) | instid1(VALU_DEP_2)
	v_mov_b32_e32 v12, v6
	v_cndmask_b32_e64 v6, 0, 0xffffffc0, vcc_lo
	v_mad_u64_u32 v[19:20], null, 0x3c439041, v7, v[12:13]
	s_delay_alu instid0(VALU_DEP_2) | instskip(NEXT) | instid1(VALU_DEP_1)
	v_add_nc_u32_e32 v6, v6, v18
	v_cmp_lt_u32_e64 s0, 31, v6
	s_delay_alu instid0(VALU_DEP_3) | instskip(NEXT) | instid1(VALU_DEP_2)
	v_mov_b32_e32 v12, v20
	v_cndmask_b32_e64 v25, 0, 0xffffffe0, s0
	s_delay_alu instid0(VALU_DEP_2) | instskip(NEXT) | instid1(VALU_DEP_2)
	v_mad_u64_u32 v[20:21], null, 0xdb629599, v7, v[12:13]
	v_add_nc_u32_e32 v6, v25, v6
	s_delay_alu instid0(VALU_DEP_2) | instskip(NEXT) | instid1(VALU_DEP_2)
	v_dual_mov_b32 v12, v21 :: v_dual_cndmask_b32 v5, v20, v5
	v_cmp_lt_u32_e64 s1, 31, v6
	s_delay_alu instid0(VALU_DEP_2) | instskip(NEXT) | instid1(VALU_DEP_1)
	v_mad_u64_u32 v[21:22], null, 0xf534ddc0, v7, v[12:13]
	v_mov_b32_e32 v12, v22
	s_delay_alu instid0(VALU_DEP_1) | instskip(NEXT) | instid1(VALU_DEP_1)
	v_mad_u64_u32 v[22:23], null, 0xfc2757d1, v7, v[12:13]
	v_mov_b32_e32 v12, v23
	s_delay_alu instid0(VALU_DEP_1) | instskip(NEXT) | instid1(VALU_DEP_1)
	v_mad_u64_u32 v[23:24], null, 0x4e441529, v7, v[12:13]
	v_mov_b32_e32 v12, v24
	s_delay_alu instid0(VALU_DEP_2) | instskip(NEXT) | instid1(VALU_DEP_2)
	v_cndmask_b32_e32 v26, v23, v21, vcc_lo
	v_mad_u64_u32 v[24:25], null, 0xa2f9836e, v7, v[12:13]
	v_cndmask_b32_e64 v12, 0, 0xffffffe0, s1
	s_delay_alu instid0(VALU_DEP_1) | instskip(NEXT) | instid1(VALU_DEP_3)
	v_add_nc_u32_e32 v6, v12, v6
	v_dual_cndmask_b32 v24, v24, v22 :: v_dual_cndmask_b32 v23, v25, v23
	v_cndmask_b32_e32 v22, v22, v20, vcc_lo
	v_cndmask_b32_e32 v12, v21, v19, vcc_lo
	s_delay_alu instid0(VALU_DEP_4) | instskip(NEXT) | instid1(VALU_DEP_4)
	v_cmp_eq_u32_e64 s2, 0, v6
	v_cndmask_b32_e64 v19, v24, v26, s0
	v_cndmask_b32_e64 v21, v23, v24, s0
	;; [unrolled: 1-line block ×3, first 2 shown]
	v_sub_nc_u32_e32 v24, 32, v6
	v_cndmask_b32_e64 v22, v22, v12, s0
	v_cndmask_b32_e64 v5, v12, v5, s0
	v_cndmask_b32_e64 v21, v21, v19, s1
	v_cndmask_b32_e64 v19, v19, v23, s1
	s_delay_alu instid0(VALU_DEP_4) | instskip(NEXT) | instid1(VALU_DEP_4)
	v_cndmask_b32_e64 v23, v23, v22, s1
	v_cndmask_b32_e64 v5, v22, v5, s1
	s_delay_alu instid0(VALU_DEP_3) | instskip(NEXT) | instid1(VALU_DEP_3)
	v_alignbit_b32 v25, v21, v19, v24
	v_alignbit_b32 v26, v19, v23, v24
	s_delay_alu instid0(VALU_DEP_3) | instskip(NEXT) | instid1(VALU_DEP_3)
	v_alignbit_b32 v24, v23, v5, v24
	v_cndmask_b32_e64 v6, v25, v21, s2
	s_delay_alu instid0(VALU_DEP_3) | instskip(NEXT) | instid1(VALU_DEP_3)
	v_cndmask_b32_e64 v19, v26, v19, s2
	v_cndmask_b32_e64 v23, v24, v23, s2
	s_delay_alu instid0(VALU_DEP_3) | instskip(NEXT) | instid1(VALU_DEP_3)
	v_bfe_u32 v20, v6, 29, 1
	v_alignbit_b32 v12, v6, v19, 30
	s_delay_alu instid0(VALU_DEP_3) | instskip(SKIP_1) | instid1(VALU_DEP_4)
	v_alignbit_b32 v19, v19, v23, 30
	v_alignbit_b32 v5, v23, v5, 30
	v_sub_nc_u32_e32 v21, 0, v20
	s_delay_alu instid0(VALU_DEP_1) | instskip(SKIP_3) | instid1(VALU_DEP_4)
	v_xor_b32_e32 v22, v12, v21
	v_cmp_ne_u32_e32 vcc_lo, v12, v21
	v_xor_b32_e32 v19, v19, v21
	v_xor_b32_e32 v5, v5, v21
	v_clz_i32_u32_e32 v25, v22
	s_delay_alu instid0(VALU_DEP_1) | instskip(NEXT) | instid1(VALU_DEP_1)
	v_add_nc_u32_e32 v24, 1, v25
	v_cndmask_b32_e32 v12, 33, v24, vcc_lo
	s_delay_alu instid0(VALU_DEP_1) | instskip(NEXT) | instid1(VALU_DEP_1)
	v_sub_nc_u32_e32 v23, 32, v12
	v_alignbit_b32 v21, v22, v19, v23
	v_alignbit_b32 v5, v19, v5, v23
	v_lshrrev_b32_e32 v19, 29, v6
	v_lshrrev_b32_e32 v6, 30, v6
	s_delay_alu instid0(VALU_DEP_3) | instskip(NEXT) | instid1(VALU_DEP_3)
	v_alignbit_b32 v22, v21, v5, 9
	v_lshlrev_b32_e32 v19, 31, v19
	v_alignbit_b32 v21, v12, v21, 9
	s_delay_alu instid0(VALU_DEP_4) | instskip(NEXT) | instid1(VALU_DEP_4)
	v_add_nc_u32_e32 v6, v20, v6
	v_clz_i32_u32_e32 v23, v22
	s_delay_alu instid0(VALU_DEP_3) | instskip(SKIP_1) | instid1(VALU_DEP_3)
	v_or_b32_e32 v21, v21, v19
	v_or_b32_e32 v19, 0x33800000, v19
	v_min_u32_e32 v23, 32, v23
	s_delay_alu instid0(VALU_DEP_3) | instskip(NEXT) | instid1(VALU_DEP_2)
	v_xor_b32_e32 v21, 1.0, v21
	v_sub_nc_u32_e32 v24, 31, v23
	v_add_lshl_u32 v12, v23, v12, 23
	s_delay_alu instid0(VALU_DEP_3) | instskip(NEXT) | instid1(VALU_DEP_3)
	v_mul_f32_e32 v23, 0x3fc90fda, v21
	v_alignbit_b32 v5, v22, v5, v24
	s_delay_alu instid0(VALU_DEP_3) | instskip(NEXT) | instid1(VALU_DEP_3)
	v_sub_nc_u32_e32 v12, v19, v12
	v_fma_f32 v19, 0x3fc90fda, v21, -v23
	s_delay_alu instid0(VALU_DEP_3) | instskip(NEXT) | instid1(VALU_DEP_2)
	v_lshrrev_b32_e32 v5, 9, v5
	v_fmac_f32_e32 v19, 0x33a22168, v21
	s_delay_alu instid0(VALU_DEP_2) | instskip(NEXT) | instid1(VALU_DEP_1)
	v_or_b32_e32 v5, v12, v5
	v_fmac_f32_e32 v19, 0x3fc90fda, v5
	s_delay_alu instid0(VALU_DEP_1)
	v_add_f32_e32 v5, v23, v19
.LBB163_209:                            ;   in Loop: Header=BB163_180 Depth=1
	s_or_saveexec_b32 s0, s18
	v_mul_f32_e64 v12, 0x3f22f983, |v9|
	s_delay_alu instid0(VALU_DEP_1)
	v_rndne_f32_e32 v20, v12
	s_xor_b32 exec_lo, exec_lo, s0
; %bb.210:                              ;   in Loop: Header=BB163_180 Depth=1
	s_delay_alu instid0(VALU_DEP_1) | instskip(SKIP_1) | instid1(VALU_DEP_2)
	v_fma_f32 v5, 0xbfc90fda, v20, |v9|
	v_cvt_i32_f32_e32 v6, v20
	v_fmac_f32_e32 v5, 0xb3a22168, v20
	s_delay_alu instid0(VALU_DEP_1)
	v_fmac_f32_e32 v5, 0xa7c234c4, v20
; %bb.211:                              ;   in Loop: Header=BB163_180 Depth=1
	s_or_b32 exec_lo, exec_lo, s0
                                        ; implicit-def: $vgpr19
                                        ; implicit-def: $vgpr12
	s_and_saveexec_b32 s0, s17
	s_delay_alu instid0(SALU_CYCLE_1)
	s_xor_b32 s17, exec_lo, s0
	s_cbranch_execz .LBB163_213
; %bb.212:                              ;   in Loop: Header=BB163_180 Depth=1
	v_mad_u64_u32 v[19:20], null, 0xfe5163ab, v7, 0
	v_cmp_lt_u32_e32 vcc_lo, 63, v18
	v_cndmask_b32_e64 v25, 0, 0xffffffc0, vcc_lo
	s_delay_alu instid0(VALU_DEP_3) | instskip(NEXT) | instid1(VALU_DEP_2)
	v_mov_b32_e32 v12, v20
	v_add_nc_u32_e32 v18, v25, v18
	s_delay_alu instid0(VALU_DEP_2) | instskip(NEXT) | instid1(VALU_DEP_2)
	v_mad_u64_u32 v[20:21], null, 0x3c439041, v7, v[12:13]
	v_cmp_lt_u32_e64 s0, 31, v18
	s_delay_alu instid0(VALU_DEP_2) | instskip(NEXT) | instid1(VALU_DEP_2)
	v_mov_b32_e32 v12, v21
	v_cndmask_b32_e64 v26, 0, 0xffffffe0, s0
	s_delay_alu instid0(VALU_DEP_2) | instskip(NEXT) | instid1(VALU_DEP_2)
	v_mad_u64_u32 v[21:22], null, 0xdb629599, v7, v[12:13]
	v_add_nc_u32_e32 v18, v26, v18
	s_delay_alu instid0(VALU_DEP_1) | instskip(NEXT) | instid1(VALU_DEP_3)
	v_cmp_lt_u32_e64 s1, 31, v18
	v_dual_mov_b32 v12, v22 :: v_dual_cndmask_b32 v19, v21, v19
	s_delay_alu instid0(VALU_DEP_1) | instskip(NEXT) | instid1(VALU_DEP_1)
	v_mad_u64_u32 v[22:23], null, 0xf534ddc0, v7, v[12:13]
	v_mov_b32_e32 v12, v23
	s_delay_alu instid0(VALU_DEP_1) | instskip(NEXT) | instid1(VALU_DEP_1)
	v_mad_u64_u32 v[23:24], null, 0xfc2757d1, v7, v[12:13]
	v_mov_b32_e32 v12, v24
	;; [unrolled: 3-line block ×3, first 2 shown]
	s_delay_alu instid0(VALU_DEP_1) | instskip(SKIP_1) | instid1(VALU_DEP_4)
	v_mad_u64_u32 v[25:26], null, 0xa2f9836e, v7, v[12:13]
	v_cndmask_b32_e64 v7, 0, 0xffffffe0, s1
	v_cndmask_b32_e32 v12, v24, v22, vcc_lo
	s_delay_alu instid0(VALU_DEP_2) | instskip(NEXT) | instid1(VALU_DEP_4)
	v_add_nc_u32_e32 v7, v7, v18
	v_dual_cndmask_b32 v25, v25, v23 :: v_dual_cndmask_b32 v24, v26, v24
	v_dual_cndmask_b32 v23, v23, v21 :: v_dual_cndmask_b32 v18, v22, v20
	s_delay_alu instid0(VALU_DEP_3) | instskip(NEXT) | instid1(VALU_DEP_3)
	v_cmp_eq_u32_e64 s2, 0, v7
	v_cndmask_b32_e64 v20, v25, v12, s0
	s_delay_alu instid0(VALU_DEP_4) | instskip(NEXT) | instid1(VALU_DEP_4)
	v_cndmask_b32_e64 v22, v24, v25, s0
	v_cndmask_b32_e64 v12, v12, v23, s0
	v_sub_nc_u32_e32 v24, 32, v7
	v_cndmask_b32_e64 v23, v23, v18, s0
	v_cndmask_b32_e64 v18, v18, v19, s0
	;; [unrolled: 1-line block ×4, first 2 shown]
	s_delay_alu instid0(VALU_DEP_4) | instskip(NEXT) | instid1(VALU_DEP_4)
	v_cndmask_b32_e64 v12, v12, v23, s1
	v_cndmask_b32_e64 v18, v23, v18, s1
	s_delay_alu instid0(VALU_DEP_3) | instskip(NEXT) | instid1(VALU_DEP_3)
	v_alignbit_b32 v25, v22, v20, v24
	v_alignbit_b32 v26, v20, v12, v24
	s_delay_alu instid0(VALU_DEP_3) | instskip(NEXT) | instid1(VALU_DEP_3)
	v_alignbit_b32 v24, v12, v18, v24
	v_cndmask_b32_e64 v7, v25, v22, s2
	s_delay_alu instid0(VALU_DEP_3) | instskip(NEXT) | instid1(VALU_DEP_3)
	v_cndmask_b32_e64 v20, v26, v20, s2
	v_cndmask_b32_e64 v12, v24, v12, s2
	s_delay_alu instid0(VALU_DEP_3) | instskip(NEXT) | instid1(VALU_DEP_3)
	v_bfe_u32 v21, v7, 29, 1
	v_alignbit_b32 v19, v7, v20, 30
	s_delay_alu instid0(VALU_DEP_3) | instskip(SKIP_1) | instid1(VALU_DEP_4)
	v_alignbit_b32 v20, v20, v12, 30
	v_alignbit_b32 v12, v12, v18, 30
	v_sub_nc_u32_e32 v22, 0, v21
	s_delay_alu instid0(VALU_DEP_1) | instskip(SKIP_3) | instid1(VALU_DEP_4)
	v_xor_b32_e32 v23, v19, v22
	v_cmp_ne_u32_e32 vcc_lo, v19, v22
	v_xor_b32_e32 v18, v20, v22
	v_xor_b32_e32 v12, v12, v22
	v_clz_i32_u32_e32 v25, v23
	s_delay_alu instid0(VALU_DEP_1) | instskip(NEXT) | instid1(VALU_DEP_1)
	v_add_nc_u32_e32 v24, 1, v25
	v_cndmask_b32_e32 v19, 33, v24, vcc_lo
	s_delay_alu instid0(VALU_DEP_1) | instskip(NEXT) | instid1(VALU_DEP_1)
	v_sub_nc_u32_e32 v20, 32, v19
	v_alignbit_b32 v22, v23, v18, v20
	v_alignbit_b32 v12, v18, v12, v20
	v_lshrrev_b32_e32 v18, 29, v7
	v_lshrrev_b32_e32 v7, 30, v7
	s_delay_alu instid0(VALU_DEP_3) | instskip(NEXT) | instid1(VALU_DEP_3)
	v_alignbit_b32 v20, v22, v12, 9
	v_lshlrev_b32_e32 v18, 31, v18
	v_alignbit_b32 v22, v19, v22, 9
	s_delay_alu instid0(VALU_DEP_3) | instskip(NEXT) | instid1(VALU_DEP_2)
	v_clz_i32_u32_e32 v23, v20
	v_or_b32_e32 v22, v22, v18
	v_or_b32_e32 v18, 0x33800000, v18
	s_delay_alu instid0(VALU_DEP_3) | instskip(NEXT) | instid1(VALU_DEP_3)
	v_min_u32_e32 v23, 32, v23
	v_xor_b32_e32 v22, 1.0, v22
	s_delay_alu instid0(VALU_DEP_2) | instskip(SKIP_1) | instid1(VALU_DEP_3)
	v_sub_nc_u32_e32 v24, 31, v23
	v_add_lshl_u32 v19, v23, v19, 23
	v_mul_f32_e32 v23, 0x3fc90fda, v22
	s_delay_alu instid0(VALU_DEP_3) | instskip(NEXT) | instid1(VALU_DEP_3)
	v_alignbit_b32 v12, v20, v12, v24
	v_sub_nc_u32_e32 v18, v18, v19
	s_delay_alu instid0(VALU_DEP_3) | instskip(NEXT) | instid1(VALU_DEP_3)
	v_fma_f32 v19, 0x3fc90fda, v22, -v23
                                        ; implicit-def: $vgpr20
	v_lshrrev_b32_e32 v12, 9, v12
	s_delay_alu instid0(VALU_DEP_2) | instskip(NEXT) | instid1(VALU_DEP_2)
	v_fmac_f32_e32 v19, 0x33a22168, v22
	v_or_b32_e32 v12, v18, v12
	s_delay_alu instid0(VALU_DEP_1) | instskip(NEXT) | instid1(VALU_DEP_1)
	v_fmac_f32_e32 v19, 0x3fc90fda, v12
	v_add_f32_e32 v12, v23, v19
	v_add_nc_u32_e32 v19, v21, v7
	s_and_not1_saveexec_b32 s0, s17
	s_cbranch_execnz .LBB163_214
	s_branch .LBB163_215
.LBB163_213:                            ;   in Loop: Header=BB163_180 Depth=1
	s_and_not1_saveexec_b32 s0, s17
.LBB163_214:                            ;   in Loop: Header=BB163_180 Depth=1
	v_fma_f32 v12, 0xbfc90fda, v20, |v9|
	v_cvt_i32_f32_e32 v19, v20
	s_delay_alu instid0(VALU_DEP_2) | instskip(NEXT) | instid1(VALU_DEP_1)
	v_fmac_f32_e32 v12, 0xb3a22168, v20
	v_fmac_f32_e32 v12, 0xa7c234c4, v20
.LBB163_215:                            ;   in Loop: Header=BB163_180 Depth=1
	s_or_b32 exec_lo, exec_lo, s0
	v_dual_mul_f32 v7, v5, v5 :: v_dual_and_b32 v18, 1, v6
	s_delay_alu instid0(VALU_DEP_1) | instskip(NEXT) | instid1(VALU_DEP_1)
	v_dual_mul_f32 v20, v12, v12 :: v_dual_fmaak_f32 v21, s12, v7, 0x3c0881c4
	v_dual_fmaak_f32 v24, s12, v20, 0x3c0881c4 :: v_dual_and_b32 v23, 1, v19
	v_dual_fmaak_f32 v25, s13, v20, 0xbab64f3b :: v_dual_lshlrev_b32 v6, 30, v6
	s_delay_alu instid0(VALU_DEP_3) | instskip(SKIP_1) | instid1(VALU_DEP_4)
	v_fmaak_f32 v21, v7, v21, 0xbe2aaa9d
	v_cmp_eq_u32_e32 vcc_lo, 0, v18
	v_fmaak_f32 v24, v20, v24, 0xbe2aaa9d
	v_fmaak_f32 v22, s13, v7, 0xbab64f3b
	;; [unrolled: 1-line block ×3, first 2 shown]
	v_mul_f32_e32 v21, v7, v21
	v_lshlrev_b32_e32 v19, 30, v19
	v_and_b32_e32 v6, 0x80000000, v6
	v_fmaak_f32 v22, v7, v22, 0x3d2aabf7
	v_fmaak_f32 v25, v20, v25, 0xbf000004
	v_fmac_f32_e32 v5, v5, v21
	s_delay_alu instid0(VALU_DEP_4) | instskip(NEXT) | instid1(VALU_DEP_4)
	v_xor_b32_e32 v4, v4, v6
	v_fmaak_f32 v22, v7, v22, 0xbf000004
	s_delay_alu instid0(VALU_DEP_4) | instskip(NEXT) | instid1(VALU_DEP_2)
	v_fma_f32 v6, v20, v25, 1.0
	v_fma_f32 v7, v7, v22, 1.0
	s_delay_alu instid0(VALU_DEP_1) | instskip(NEXT) | instid1(VALU_DEP_1)
	v_dual_mul_f32 v24, v20, v24 :: v_dual_cndmask_b32 v5, v7, v5
	v_dual_fmac_f32 v12, v12, v24 :: v_dual_and_b32 v7, 0x80000000, v19
	v_cmp_eq_u32_e32 vcc_lo, 0, v23
	s_delay_alu instid0(VALU_DEP_3) | instskip(NEXT) | instid1(VALU_DEP_3)
	v_xor3_b32 v4, v4, v5, v9
	v_cndmask_b32_e64 v6, -v12, v6, vcc_lo
	v_cmp_class_f32_e64 vcc_lo, v9, 0x1f8
	s_delay_alu instid0(VALU_DEP_2) | instskip(NEXT) | instid1(VALU_DEP_1)
	v_xor_b32_e32 v5, v7, v6
	v_mul_f32_e32 v4, v4, v5
	s_delay_alu instid0(VALU_DEP_1)
	v_cndmask_b32_e32 v9, 0x7fc00000, v4, vcc_lo
.LBB163_216:                            ;   in Loop: Header=BB163_180 Depth=1
	s_or_b32 exec_lo, exec_lo, s16
	v_add_nc_u32_e32 v8, -2.0, v8
	s_delay_alu instid0(VALU_DEP_2)
	v_bfi_b32 v5, 0x7fffffff, 0, v9
.LBB163_217:                            ;   in Loop: Header=BB163_180 Depth=1
	s_or_b32 exec_lo, exec_lo, s15
	s_delay_alu instid0(VALU_DEP_2)
	v_mov_b32_e32 v4, v8
.LBB163_218:                            ;   in Loop: Header=BB163_180 Depth=1
	s_or_b32 exec_lo, exec_lo, s14
	v_and_b32_e32 v6, 0x7fffffff, v10
	s_mov_b32 s0, exec_lo
	s_delay_alu instid0(VALU_DEP_1)
	v_cmpx_gt_u32_e32 0x7f800000, v6
	s_xor_b32 s14, exec_lo, s0
	s_cbranch_execz .LBB163_240
; %bb.219:                              ;   in Loop: Header=BB163_180 Depth=1
	v_cmp_class_f32_e64 s0, v11, 0x1f8
	s_delay_alu instid0(VALU_DEP_1) | instskip(NEXT) | instid1(SALU_CYCLE_1)
	s_and_saveexec_b32 s1, s0
	s_xor_b32 s15, exec_lo, s1
	s_cbranch_execz .LBB163_237
; %bb.220:                              ;   in Loop: Header=BB163_180 Depth=1
	v_and_b32_e32 v8, 0x7fffffff, v11
	s_mov_b32 s0, exec_lo
	v_cmpx_gt_u32_e32 0x41300000, v6
	s_xor_b32 s16, exec_lo, s0
	s_cbranch_execz .LBB163_226
; %bb.221:                              ;   in Loop: Header=BB163_180 Depth=1
                                        ; implicit-def: $vgpr6
                                        ; implicit-def: $vgpr7
	s_mov_b32 s1, exec_lo
	v_cmpx_ngt_f32_e64 0x48000000, |v11|
	s_xor_b32 s17, exec_lo, s1
	s_cbranch_execz .LBB163_223
; %bb.222:                              ;   in Loop: Header=BB163_180 Depth=1
	v_and_or_b32 v9, v8, s4, 0x800000
	s_delay_alu instid0(VALU_DEP_1) | instskip(NEXT) | instid1(VALU_DEP_1)
	v_mad_u64_u32 v[6:7], null, 0xfe5163ab, v9, 0
	v_mov_b32_e32 v12, v7
	v_lshrrev_b32_e32 v7, 23, v8
	s_delay_alu instid0(VALU_DEP_1) | instskip(NEXT) | instid1(VALU_DEP_3)
	v_add_nc_u32_e32 v7, 0xffffff88, v7
	v_mad_u64_u32 v[18:19], null, 0x3c439041, v9, v[12:13]
	s_delay_alu instid0(VALU_DEP_2) | instskip(SKIP_1) | instid1(VALU_DEP_1)
	v_cmp_lt_u32_e32 vcc_lo, 63, v7
	v_cndmask_b32_e64 v23, 0, 0xffffffc0, vcc_lo
	v_add_nc_u32_e32 v7, v23, v7
	s_delay_alu instid0(VALU_DEP_1) | instskip(NEXT) | instid1(VALU_DEP_1)
	v_cmp_lt_u32_e64 s0, 31, v7
	v_cndmask_b32_e64 v24, 0, 0xffffffe0, s0
	s_delay_alu instid0(VALU_DEP_1) | instskip(NEXT) | instid1(VALU_DEP_1)
	v_dual_mov_b32 v12, v19 :: v_dual_add_nc_u32 v7, v24, v7
	v_mad_u64_u32 v[19:20], null, 0xdb629599, v9, v[12:13]
	s_delay_alu instid0(VALU_DEP_2) | instskip(NEXT) | instid1(VALU_DEP_2)
	v_cmp_lt_u32_e64 s1, 31, v7
	v_mov_b32_e32 v12, v20
	s_delay_alu instid0(VALU_DEP_3) | instskip(NEXT) | instid1(VALU_DEP_2)
	v_cndmask_b32_e32 v6, v19, v6, vcc_lo
	v_mad_u64_u32 v[20:21], null, 0xf534ddc0, v9, v[12:13]
	s_delay_alu instid0(VALU_DEP_1) | instskip(NEXT) | instid1(VALU_DEP_1)
	v_mov_b32_e32 v12, v21
	v_mad_u64_u32 v[21:22], null, 0xfc2757d1, v9, v[12:13]
	s_delay_alu instid0(VALU_DEP_1) | instskip(NEXT) | instid1(VALU_DEP_1)
	v_mov_b32_e32 v12, v22
	;; [unrolled: 3-line block ×3, first 2 shown]
	v_mad_u64_u32 v[23:24], null, 0xa2f9836e, v9, v[12:13]
	v_cndmask_b32_e64 v9, 0, 0xffffffe0, s1
	s_delay_alu instid0(VALU_DEP_1) | instskip(NEXT) | instid1(VALU_DEP_3)
	v_dual_cndmask_b32 v12, v22, v20 :: v_dual_add_nc_u32 v7, v9, v7
	v_dual_cndmask_b32 v23, v23, v21 :: v_dual_cndmask_b32 v22, v24, v22
	v_cndmask_b32_e32 v21, v21, v19, vcc_lo
	v_cndmask_b32_e32 v9, v20, v18, vcc_lo
	s_delay_alu instid0(VALU_DEP_4) | instskip(NEXT) | instid1(VALU_DEP_4)
	v_cmp_eq_u32_e64 s2, 0, v7
	v_cndmask_b32_e64 v18, v23, v12, s0
	v_cndmask_b32_e64 v20, v22, v23, s0
	;; [unrolled: 1-line block ×3, first 2 shown]
	v_sub_nc_u32_e32 v22, 32, v7
	v_cndmask_b32_e64 v21, v21, v9, s0
	v_cndmask_b32_e64 v6, v9, v6, s0
	;; [unrolled: 1-line block ×4, first 2 shown]
	s_delay_alu instid0(VALU_DEP_4) | instskip(NEXT) | instid1(VALU_DEP_4)
	v_cndmask_b32_e64 v12, v12, v21, s1
	v_cndmask_b32_e64 v6, v21, v6, s1
	s_delay_alu instid0(VALU_DEP_3) | instskip(NEXT) | instid1(VALU_DEP_3)
	v_alignbit_b32 v23, v20, v18, v22
	v_alignbit_b32 v24, v18, v12, v22
	s_delay_alu instid0(VALU_DEP_3) | instskip(NEXT) | instid1(VALU_DEP_3)
	v_alignbit_b32 v22, v12, v6, v22
	v_cndmask_b32_e64 v7, v23, v20, s2
	s_delay_alu instid0(VALU_DEP_3) | instskip(NEXT) | instid1(VALU_DEP_3)
	v_cndmask_b32_e64 v18, v24, v18, s2
	v_cndmask_b32_e64 v12, v22, v12, s2
	s_delay_alu instid0(VALU_DEP_3) | instskip(NEXT) | instid1(VALU_DEP_3)
	v_bfe_u32 v19, v7, 29, 1
	v_alignbit_b32 v9, v7, v18, 30
	s_delay_alu instid0(VALU_DEP_3) | instskip(SKIP_1) | instid1(VALU_DEP_4)
	v_alignbit_b32 v18, v18, v12, 30
	v_alignbit_b32 v6, v12, v6, 30
	v_sub_nc_u32_e32 v20, 0, v19
	s_delay_alu instid0(VALU_DEP_1) | instskip(SKIP_3) | instid1(VALU_DEP_4)
	v_xor_b32_e32 v21, v9, v20
	v_cmp_ne_u32_e32 vcc_lo, v9, v20
	v_xor_b32_e32 v12, v18, v20
	v_xor_b32_e32 v6, v6, v20
	v_clz_i32_u32_e32 v23, v21
	s_delay_alu instid0(VALU_DEP_1) | instskip(NEXT) | instid1(VALU_DEP_1)
	v_add_nc_u32_e32 v22, 1, v23
	v_cndmask_b32_e32 v9, 33, v22, vcc_lo
	s_delay_alu instid0(VALU_DEP_1) | instskip(NEXT) | instid1(VALU_DEP_1)
	v_sub_nc_u32_e32 v18, 32, v9
	v_alignbit_b32 v20, v21, v12, v18
	v_alignbit_b32 v6, v12, v6, v18
	v_lshrrev_b32_e32 v12, 29, v7
	s_delay_alu instid0(VALU_DEP_2) | instskip(NEXT) | instid1(VALU_DEP_2)
	v_alignbit_b32 v18, v20, v6, 9
	v_lshlrev_b32_e32 v12, 31, v12
	v_alignbit_b32 v20, v9, v20, 9
	s_delay_alu instid0(VALU_DEP_3) | instskip(NEXT) | instid1(VALU_DEP_2)
	v_clz_i32_u32_e32 v21, v18
	v_or_b32_e32 v20, v20, v12
	v_or_b32_e32 v12, 0x33800000, v12
	s_delay_alu instid0(VALU_DEP_3) | instskip(NEXT) | instid1(VALU_DEP_3)
	v_min_u32_e32 v21, 32, v21
	v_xor_b32_e32 v20, 1.0, v20
	s_delay_alu instid0(VALU_DEP_2) | instskip(SKIP_1) | instid1(VALU_DEP_3)
	v_sub_nc_u32_e32 v22, 31, v21
	v_add_lshl_u32 v9, v21, v9, 23
	v_mul_f32_e32 v21, 0x3fc90fda, v20
	s_delay_alu instid0(VALU_DEP_3) | instskip(NEXT) | instid1(VALU_DEP_3)
	v_alignbit_b32 v6, v18, v6, v22
	v_sub_nc_u32_e32 v9, v12, v9
	s_delay_alu instid0(VALU_DEP_3) | instskip(NEXT) | instid1(VALU_DEP_3)
	v_fma_f32 v12, 0x3fc90fda, v20, -v21
	v_lshrrev_b32_e32 v6, 9, v6
	s_delay_alu instid0(VALU_DEP_2) | instskip(NEXT) | instid1(VALU_DEP_2)
	v_fmac_f32_e32 v12, 0x33a22168, v20
	v_or_b32_e32 v6, v9, v6
	s_delay_alu instid0(VALU_DEP_1) | instskip(SKIP_1) | instid1(VALU_DEP_1)
	v_fmac_f32_e32 v12, 0x3fc90fda, v6
	v_lshrrev_b32_e32 v6, 30, v7
	v_dual_add_f32 v7, v21, v12 :: v_dual_add_nc_u32 v6, v19, v6
.LBB163_223:                            ;   in Loop: Header=BB163_180 Depth=1
	s_and_not1_saveexec_b32 s0, s17
; %bb.224:                              ;   in Loop: Header=BB163_180 Depth=1
	v_mul_f32_e64 v6, 0x3f22f983, |v11|
	s_delay_alu instid0(VALU_DEP_1) | instskip(NEXT) | instid1(VALU_DEP_1)
	v_rndne_f32_e32 v6, v6
	v_fma_f32 v7, 0xbfc90fda, v6, |v11|
	s_delay_alu instid0(VALU_DEP_1) | instskip(NEXT) | instid1(VALU_DEP_1)
	v_fmac_f32_e32 v7, 0xb3a22168, v6
	v_fmac_f32_e32 v7, 0xa7c234c4, v6
	v_cvt_i32_f32_e32 v6, v6
; %bb.225:                              ;   in Loop: Header=BB163_180 Depth=1
	s_or_b32 exec_lo, exec_lo, s0
	v_add_f32_e64 v9, 0xbf317218, |v10|
	v_cmp_nlt_f32_e64 vcc_lo, 0x42b2d4fc, |v10|
	v_cmp_gt_f32_e64 s0, 0x39800000, |v10|
	v_and_b32_e32 v6, 1, v6
	s_delay_alu instid0(VALU_DEP_4) | instskip(NEXT) | instid1(VALU_DEP_1)
	v_sub_f32_e64 v12, v9, |v10|
	v_sub_f32_e32 v18, v12, v9
	v_add_f32_e32 v12, 0x3f317218, v12
	s_delay_alu instid0(VALU_DEP_2) | instskip(NEXT) | instid1(VALU_DEP_1)
	v_add_f32_e64 v18, |v10|, v18
	v_sub_f32_e32 v12, v18, v12
	s_delay_alu instid0(VALU_DEP_1) | instskip(NEXT) | instid1(VALU_DEP_1)
	v_add_f32_e32 v12, 0x3102e308, v12
	v_add_f32_e32 v18, v9, v12
	s_delay_alu instid0(VALU_DEP_1) | instskip(NEXT) | instid1(VALU_DEP_1)
	v_sub_f32_e32 v9, v9, v18
	v_add_f32_e32 v9, v12, v9
	v_mul_f32_e32 v19, 0x3fb8aa3b, v18
	s_delay_alu instid0(VALU_DEP_1) | instskip(NEXT) | instid1(VALU_DEP_1)
	v_rndne_f32_e32 v19, v19
	v_mul_f32_e32 v12, 0x35bfbc00, v19
	v_fmac_f32_e32 v18, 0xbf317200, v19
	s_delay_alu instid0(VALU_DEP_1) | instskip(NEXT) | instid1(VALU_DEP_1)
	v_add_f32_e32 v20, v9, v18
	v_sub_f32_e32 v21, v20, v12
	v_sub_f32_e32 v18, v18, v20
	s_delay_alu instid0(VALU_DEP_1) | instskip(NEXT) | instid1(VALU_DEP_1)
	v_dual_sub_f32 v20, v20, v21 :: v_dual_add_f32 v9, v9, v18
	v_sub_f32_e32 v12, v20, v12
	s_delay_alu instid0(VALU_DEP_1) | instskip(NEXT) | instid1(VALU_DEP_1)
	v_dual_add_f32 v9, v9, v12 :: v_dual_mul_f32 v12, 0x2ea39ef3, v19
	v_add_f32_e32 v18, v21, v9
	s_delay_alu instid0(VALU_DEP_1) | instskip(NEXT) | instid1(VALU_DEP_1)
	v_dual_sub_f32 v20, v18, v12 :: v_dual_sub_f32 v21, v21, v18
	v_dual_sub_f32 v18, v18, v20 :: v_dual_add_f32 v9, v9, v21
	s_delay_alu instid0(VALU_DEP_1) | instskip(NEXT) | instid1(VALU_DEP_1)
	v_sub_f32_e32 v12, v18, v12
	v_add_f32_e32 v9, v9, v12
	s_delay_alu instid0(VALU_DEP_1) | instskip(NEXT) | instid1(VALU_DEP_1)
	v_add_f32_e32 v12, v20, v9
	v_sub_f32_e32 v18, v20, v12
	s_delay_alu instid0(VALU_DEP_1) | instskip(SKIP_1) | instid1(VALU_DEP_2)
	v_dual_mul_f32 v20, v12, v12 :: v_dual_add_f32 v9, v9, v18
	v_fmaak_f32 v18, s9, v12, 0x3c091de6
	v_fma_f32 v21, v12, v12, -v20
	s_delay_alu instid0(VALU_DEP_3) | instskip(NEXT) | instid1(VALU_DEP_3)
	v_add_f32_e32 v22, v9, v9
	v_fmaak_f32 v18, v12, v18, 0x3d2aadcc
	s_delay_alu instid0(VALU_DEP_2) | instskip(NEXT) | instid1(VALU_DEP_2)
	v_fmac_f32_e32 v21, v12, v22
	v_fmaak_f32 v18, v12, v18, 0x3e2aaa47
	s_delay_alu instid0(VALU_DEP_2) | instskip(NEXT) | instid1(VALU_DEP_2)
	v_add_f32_e32 v22, v20, v21
	v_fmaak_f32 v18, v12, v18, 0x3efffffc
	s_delay_alu instid0(VALU_DEP_2) | instskip(NEXT) | instid1(VALU_DEP_1)
	v_sub_f32_e32 v20, v22, v20
	v_dual_mul_f32 v23, v18, v22 :: v_dual_sub_f32 v20, v21, v20
	s_delay_alu instid0(VALU_DEP_1) | instskip(NEXT) | instid1(VALU_DEP_1)
	v_fma_f32 v21, v22, v18, -v23
	v_fmac_f32_e32 v21, v20, v18
	s_delay_alu instid0(VALU_DEP_1) | instskip(NEXT) | instid1(VALU_DEP_1)
	v_add_f32_e32 v18, v23, v21
	v_add_f32_e32 v20, v12, v18
	v_sub_f32_e32 v22, v18, v23
	s_delay_alu instid0(VALU_DEP_1) | instskip(NEXT) | instid1(VALU_DEP_1)
	v_dual_sub_f32 v12, v20, v12 :: v_dual_sub_f32 v21, v21, v22
	v_dual_sub_f32 v12, v18, v12 :: v_dual_add_f32 v9, v9, v21
	s_delay_alu instid0(VALU_DEP_1) | instskip(NEXT) | instid1(VALU_DEP_1)
	v_add_f32_e32 v9, v9, v12
	v_add_f32_e32 v12, v20, v9
	s_delay_alu instid0(VALU_DEP_1) | instskip(NEXT) | instid1(VALU_DEP_1)
	v_add_f32_e32 v18, 1.0, v12
	v_dual_sub_f32 v20, v12, v20 :: v_dual_add_f32 v21, -1.0, v18
	s_delay_alu instid0(VALU_DEP_1) | instskip(NEXT) | instid1(VALU_DEP_1)
	v_dual_sub_f32 v9, v9, v20 :: v_dual_sub_f32 v12, v12, v21
	v_add_f32_e32 v9, v9, v12
	v_cvt_i32_f32_e32 v12, v19
	s_delay_alu instid0(VALU_DEP_2) | instskip(NEXT) | instid1(VALU_DEP_1)
	v_add_f32_e32 v19, v18, v9
	v_ldexp_f32 v20, v19, v12
	v_sub_f32_e32 v18, v19, v18
	s_delay_alu instid0(VALU_DEP_2) | instskip(NEXT) | instid1(VALU_DEP_1)
	v_rcp_f32_e32 v21, v20
	v_sub_f32_e32 v9, v9, v18
	s_delay_alu instid0(VALU_DEP_1) | instskip(SKIP_2) | instid1(VALU_DEP_1)
	v_ldexp_f32 v9, v9, v12
	s_waitcnt_depctr 0xfff
	v_mul_f32_e32 v18, v20, v21
	v_fma_f32 v12, v21, v20, -v18
	s_delay_alu instid0(VALU_DEP_1) | instskip(NEXT) | instid1(VALU_DEP_1)
	v_fmac_f32_e32 v12, v21, v9
	v_add_f32_e32 v19, v18, v12
	s_delay_alu instid0(VALU_DEP_1) | instskip(SKIP_1) | instid1(VALU_DEP_1)
	v_sub_f32_e32 v22, 1.0, v19
	v_sub_f32_e32 v18, v19, v18
	v_dual_sub_f32 v23, 1.0, v22 :: v_dual_sub_f32 v12, v18, v12
	s_delay_alu instid0(VALU_DEP_1) | instskip(NEXT) | instid1(VALU_DEP_1)
	v_sub_f32_e32 v18, v23, v19
	v_add_f32_e32 v12, v12, v18
	s_delay_alu instid0(VALU_DEP_1) | instskip(NEXT) | instid1(VALU_DEP_1)
	v_add_f32_e32 v18, v22, v12
	v_mul_f32_e32 v19, v21, v18
	s_delay_alu instid0(VALU_DEP_1) | instskip(NEXT) | instid1(VALU_DEP_1)
	v_dual_sub_f32 v22, v22, v18 :: v_dual_mul_f32 v23, v20, v19
	v_add_f32_e32 v12, v12, v22
	s_delay_alu instid0(VALU_DEP_2) | instskip(NEXT) | instid1(VALU_DEP_1)
	v_fma_f32 v24, v19, v20, -v23
	v_fmac_f32_e32 v24, v19, v9
	s_delay_alu instid0(VALU_DEP_1) | instskip(NEXT) | instid1(VALU_DEP_1)
	v_add_f32_e32 v25, v23, v24
	v_sub_f32_e32 v26, v18, v25
	v_sub_f32_e32 v22, v25, v23
	s_delay_alu instid0(VALU_DEP_2) | instskip(NEXT) | instid1(VALU_DEP_2)
	v_sub_f32_e32 v18, v18, v26
	v_sub_f32_e32 v22, v22, v24
	s_delay_alu instid0(VALU_DEP_2) | instskip(NEXT) | instid1(VALU_DEP_1)
	v_sub_f32_e32 v18, v18, v25
	v_add_f32_e32 v12, v12, v18
	v_add_f32_e32 v18, v21, v19
	s_delay_alu instid0(VALU_DEP_2) | instskip(NEXT) | instid1(VALU_DEP_2)
	v_add_f32_e32 v12, v22, v12
	v_sub_f32_e32 v22, v18, v21
	s_delay_alu instid0(VALU_DEP_1) | instskip(NEXT) | instid1(VALU_DEP_1)
	v_dual_add_f32 v12, v26, v12 :: v_dual_sub_f32 v19, v19, v22
	v_mul_f32_e32 v12, v21, v12
	s_delay_alu instid0(VALU_DEP_1) | instskip(NEXT) | instid1(VALU_DEP_1)
	v_add_f32_e32 v12, v19, v12
	v_add_f32_e32 v19, v18, v12
	s_delay_alu instid0(VALU_DEP_1) | instskip(SKIP_1) | instid1(VALU_DEP_2)
	v_ldexp_f32 v21, v19, -2
	v_sub_f32_e32 v18, v19, v18
	v_sub_f32_e32 v22, v20, v21
	s_delay_alu instid0(VALU_DEP_2) | instskip(NEXT) | instid1(VALU_DEP_2)
	v_sub_f32_e32 v12, v12, v18
	v_sub_f32_e32 v19, v20, v22
	s_delay_alu instid0(VALU_DEP_2) | instskip(NEXT) | instid1(VALU_DEP_2)
	v_ldexp_f32 v12, v12, -2
	v_sub_f32_e32 v18, v19, v21
	s_delay_alu instid0(VALU_DEP_1) | instskip(NEXT) | instid1(VALU_DEP_1)
	v_add_f32_e32 v9, v9, v18
	v_dual_sub_f32 v9, v9, v12 :: v_dual_mul_f32 v12, v7, v7
	s_delay_alu instid0(VALU_DEP_1) | instskip(NEXT) | instid1(VALU_DEP_1)
	v_dual_add_f32 v9, v22, v9 :: v_dual_fmaak_f32 v18, s8, v12, 0xbf039337
	v_cndmask_b32_e32 v9, 0x7f800000, v9, vcc_lo
	s_delay_alu instid0(VALU_DEP_2) | instskip(NEXT) | instid1(VALU_DEP_2)
	v_fmaak_f32 v18, v12, v18, 0x3f93f425
	v_cndmask_b32_e64 v9, v9, |v10|, s0
	s_delay_alu instid0(VALU_DEP_2) | instskip(NEXT) | instid1(VALU_DEP_1)
	v_rcp_f32_e32 v18, v18
	v_bfi_b32 v9, 0x7fffffff, v9, v10
	v_fmaak_f32 v10, s5, v12, 0x3ec54587
	s_delay_alu instid0(VALU_DEP_2) | instskip(SKIP_4) | instid1(VALU_DEP_3)
	v_fma_f32 v19, v9, v9, 1.0
	s_waitcnt_depctr 0xfff
	v_mul_f32_e32 v10, v10, v18
	v_mul_f32_e32 v18, 0x4f800000, v19
	v_cmp_gt_f32_e32 vcc_lo, 0xf800000, v19
	v_mul_f32_e32 v10, v12, v10
	s_delay_alu instid0(VALU_DEP_3) | instskip(NEXT) | instid1(VALU_DEP_2)
	v_cndmask_b32_e32 v12, v19, v18, vcc_lo
	v_fma_f32 v18, v10, v7, v7
	s_delay_alu instid0(VALU_DEP_2) | instskip(NEXT) | instid1(VALU_DEP_1)
	v_sqrt_f32_e32 v19, v12
	v_rcp_f32_e32 v20, v18
	v_sub_f32_e32 v21, v18, v7
	s_delay_alu instid0(VALU_DEP_1) | instskip(SKIP_4) | instid1(VALU_DEP_3)
	v_fma_f32 v7, v10, v7, -v21
	s_waitcnt_depctr 0xfff
	v_add_nc_u32_e32 v22, -1, v19
	v_fma_f32 v10, v18, -v20, 1.0
	v_add_nc_u32_e32 v21, 1, v19
	v_fma_f32 v23, -v22, v19, v12
	s_delay_alu instid0(VALU_DEP_3) | instskip(NEXT) | instid1(VALU_DEP_3)
	v_fma_f32 v7, v7, -v20, v10
	v_fma_f32 v10, -v21, v19, v12
	s_delay_alu instid0(VALU_DEP_3) | instskip(NEXT) | instid1(VALU_DEP_3)
	v_cmp_ge_f32_e64 s0, 0, v23
	v_fma_f32 v7, v7, -v20, -v20
	s_delay_alu instid0(VALU_DEP_2) | instskip(NEXT) | instid1(VALU_DEP_4)
	v_cndmask_b32_e64 v19, v19, v22, s0
	v_cmp_lt_f32_e64 s0, 0, v10
	s_delay_alu instid0(VALU_DEP_1) | instskip(SKIP_1) | instid1(VALU_DEP_1)
	v_cndmask_b32_e64 v10, v19, v21, s0
	v_cmp_eq_u32_e64 s0, 0, v6
	v_cndmask_b32_e64 v6, v7, v18, s0
	s_delay_alu instid0(VALU_DEP_3) | instskip(NEXT) | instid1(VALU_DEP_2)
	v_mul_f32_e32 v7, 0x37800000, v10
	v_xor3_b32 v8, v8, v6, v11
	s_delay_alu instid0(VALU_DEP_2) | instskip(SKIP_1) | instid1(VALU_DEP_3)
	v_cndmask_b32_e32 v6, v10, v7, vcc_lo
	v_cmp_class_f32_e64 vcc_lo, v12, 0x260
	v_fma_f32 v7, v8, v8, 1.0
	s_delay_alu instid0(VALU_DEP_3) | instskip(NEXT) | instid1(VALU_DEP_2)
	v_cndmask_b32_e32 v6, v6, v12, vcc_lo
	v_mul_f32_e32 v10, v9, v7
	s_delay_alu instid0(VALU_DEP_2) | instskip(NEXT) | instid1(VALU_DEP_2)
	v_mul_f32_e32 v6, v6, v7
	v_fma_f32 v7, v9, v10, 1.0
	s_delay_alu instid0(VALU_DEP_2) | instskip(NEXT) | instid1(VALU_DEP_2)
	v_mul_f32_e32 v6, v9, v6
	v_div_scale_f32 v10, null, v7, v7, v8
	s_delay_alu instid0(VALU_DEP_2) | instskip(SKIP_1) | instid1(VALU_DEP_3)
	v_div_scale_f32 v9, null, v7, v7, v6
	v_div_scale_f32 v20, vcc_lo, v6, v7, v6
	v_rcp_f32_e32 v12, v10
	s_delay_alu instid0(VALU_DEP_2) | instskip(SKIP_3) | instid1(VALU_DEP_1)
	v_rcp_f32_e32 v11, v9
	s_waitcnt_depctr 0xfff
	v_fma_f32 v19, -v10, v12, 1.0
	v_fma_f32 v18, -v9, v11, 1.0
	v_dual_fmac_f32 v12, v19, v12 :: v_dual_fmac_f32 v11, v18, v11
	v_div_scale_f32 v18, s0, v8, v7, v8
	s_delay_alu instid0(VALU_DEP_2) | instskip(NEXT) | instid1(VALU_DEP_2)
	v_mul_f32_e32 v19, v20, v11
	v_mul_f32_e32 v21, v18, v12
	s_delay_alu instid0(VALU_DEP_2) | instskip(NEXT) | instid1(VALU_DEP_2)
	v_fma_f32 v22, -v9, v19, v20
	v_fma_f32 v23, -v10, v21, v18
	s_delay_alu instid0(VALU_DEP_2) | instskip(NEXT) | instid1(VALU_DEP_2)
	v_fmac_f32_e32 v19, v22, v11
	v_fmac_f32_e32 v21, v23, v12
	s_delay_alu instid0(VALU_DEP_2) | instskip(NEXT) | instid1(VALU_DEP_2)
	v_fma_f32 v9, -v9, v19, v20
	v_fma_f32 v10, -v10, v21, v18
	s_delay_alu instid0(VALU_DEP_2) | instskip(SKIP_1) | instid1(VALU_DEP_2)
	v_div_fmas_f32 v9, v9, v11, v19
	s_mov_b32 vcc_lo, s0
	v_div_fmas_f32 v10, v10, v12, v21
	s_delay_alu instid0(VALU_DEP_2) | instskip(NEXT) | instid1(VALU_DEP_2)
	v_div_fixup_f32 v6, v9, v7, v6
	v_div_fixup_f32 v7, v10, v7, v8
                                        ; implicit-def: $vgpr8_vgpr9_vgpr10_vgpr11
                                        ; implicit-def: $vgpr8
.LBB163_226:                            ;   in Loop: Header=BB163_180 Depth=1
	s_and_not1_saveexec_b32 s16, s16
	s_cbranch_execz .LBB163_236
; %bb.227:                              ;   in Loop: Header=BB163_180 Depth=1
	v_lshrrev_b32_e32 v6, 23, v8
	v_cmp_ngt_f32_e64 s17, 0x48000000, |v11|
	v_and_or_b32 v7, v8, s4, 0x800000
                                        ; implicit-def: $vgpr9
	s_delay_alu instid0(VALU_DEP_3) | instskip(NEXT) | instid1(VALU_DEP_3)
	v_add_nc_u32_e32 v18, 0xffffff88, v6
                                        ; implicit-def: $vgpr6
	s_and_saveexec_b32 s0, s17
	s_delay_alu instid0(SALU_CYCLE_1)
	s_xor_b32 s18, exec_lo, s0
	s_cbranch_execz .LBB163_229
; %bb.228:                              ;   in Loop: Header=BB163_180 Depth=1
	v_mad_u64_u32 v[19:20], null, 0xfe5163ab, v7, 0
	v_cmp_lt_u32_e32 vcc_lo, 63, v18
	v_cndmask_b32_e64 v6, 0, 0xffffffc0, vcc_lo
	s_delay_alu instid0(VALU_DEP_3) | instskip(NEXT) | instid1(VALU_DEP_2)
	v_mov_b32_e32 v12, v20
	v_add_nc_u32_e32 v6, v6, v18
	s_delay_alu instid0(VALU_DEP_2) | instskip(NEXT) | instid1(VALU_DEP_2)
	v_mad_u64_u32 v[20:21], null, 0x3c439041, v7, v[12:13]
	v_cmp_lt_u32_e64 s0, 31, v6
	s_delay_alu instid0(VALU_DEP_2) | instskip(NEXT) | instid1(VALU_DEP_2)
	v_mov_b32_e32 v12, v21
	v_cndmask_b32_e64 v9, 0, 0xffffffe0, s0
	s_delay_alu instid0(VALU_DEP_2) | instskip(NEXT) | instid1(VALU_DEP_2)
	v_mad_u64_u32 v[21:22], null, 0xdb629599, v7, v[12:13]
	v_add_nc_u32_e32 v6, v9, v6
	s_delay_alu instid0(VALU_DEP_1) | instskip(NEXT) | instid1(VALU_DEP_3)
	v_cmp_lt_u32_e64 s1, 31, v6
	v_dual_mov_b32 v12, v22 :: v_dual_cndmask_b32 v19, v21, v19
	s_delay_alu instid0(VALU_DEP_2) | instskip(NEXT) | instid1(VALU_DEP_2)
	v_cndmask_b32_e64 v9, 0, 0xffffffe0, s1
	v_mad_u64_u32 v[22:23], null, 0xf534ddc0, v7, v[12:13]
	s_delay_alu instid0(VALU_DEP_2) | instskip(NEXT) | instid1(VALU_DEP_2)
	v_add_nc_u32_e32 v6, v9, v6
	v_dual_mov_b32 v12, v23 :: v_dual_cndmask_b32 v9, v22, v20
	s_delay_alu instid0(VALU_DEP_2) | instskip(NEXT) | instid1(VALU_DEP_2)
	v_cmp_eq_u32_e64 s2, 0, v6
	v_mad_u64_u32 v[23:24], null, 0xfc2757d1, v7, v[12:13]
	s_delay_alu instid0(VALU_DEP_1) | instskip(NEXT) | instid1(VALU_DEP_1)
	v_mov_b32_e32 v12, v24
	v_mad_u64_u32 v[24:25], null, 0x4e441529, v7, v[12:13]
	s_delay_alu instid0(VALU_DEP_1) | instskip(NEXT) | instid1(VALU_DEP_1)
	v_mov_b32_e32 v12, v25
	v_mad_u64_u32 v[25:26], null, 0xa2f9836e, v7, v[12:13]
	s_delay_alu instid0(VALU_DEP_1) | instskip(NEXT) | instid1(VALU_DEP_2)
	v_dual_cndmask_b32 v12, v24, v22 :: v_dual_cndmask_b32 v25, v25, v23
	v_dual_cndmask_b32 v24, v26, v24 :: v_dual_cndmask_b32 v23, v23, v21
	s_delay_alu instid0(VALU_DEP_2) | instskip(NEXT) | instid1(VALU_DEP_2)
	v_cndmask_b32_e64 v20, v25, v12, s0
	v_cndmask_b32_e64 v22, v24, v25, s0
	s_delay_alu instid0(VALU_DEP_3)
	v_cndmask_b32_e64 v12, v12, v23, s0
	v_sub_nc_u32_e32 v24, 32, v6
	v_cndmask_b32_e64 v23, v23, v9, s0
	v_cndmask_b32_e64 v9, v9, v19, s0
	;; [unrolled: 1-line block ×4, first 2 shown]
	s_delay_alu instid0(VALU_DEP_4) | instskip(NEXT) | instid1(VALU_DEP_4)
	v_cndmask_b32_e64 v12, v12, v23, s1
	v_cndmask_b32_e64 v9, v23, v9, s1
	s_delay_alu instid0(VALU_DEP_3) | instskip(NEXT) | instid1(VALU_DEP_3)
	v_alignbit_b32 v25, v22, v20, v24
	v_alignbit_b32 v26, v20, v12, v24
	s_delay_alu instid0(VALU_DEP_3) | instskip(NEXT) | instid1(VALU_DEP_3)
	v_alignbit_b32 v24, v12, v9, v24
	v_cndmask_b32_e64 v6, v25, v22, s2
	s_delay_alu instid0(VALU_DEP_3) | instskip(NEXT) | instid1(VALU_DEP_3)
	v_cndmask_b32_e64 v20, v26, v20, s2
	v_cndmask_b32_e64 v12, v24, v12, s2
	s_delay_alu instid0(VALU_DEP_3) | instskip(NEXT) | instid1(VALU_DEP_3)
	v_bfe_u32 v21, v6, 29, 1
	v_alignbit_b32 v19, v6, v20, 30
	s_delay_alu instid0(VALU_DEP_3) | instskip(SKIP_1) | instid1(VALU_DEP_4)
	v_alignbit_b32 v20, v20, v12, 30
	v_alignbit_b32 v9, v12, v9, 30
	v_sub_nc_u32_e32 v22, 0, v21
	s_delay_alu instid0(VALU_DEP_1) | instskip(SKIP_3) | instid1(VALU_DEP_4)
	v_xor_b32_e32 v23, v19, v22
	v_cmp_ne_u32_e32 vcc_lo, v19, v22
	v_xor_b32_e32 v12, v20, v22
	v_xor_b32_e32 v9, v9, v22
	v_clz_i32_u32_e32 v25, v23
	s_delay_alu instid0(VALU_DEP_1) | instskip(NEXT) | instid1(VALU_DEP_1)
	v_add_nc_u32_e32 v24, 1, v25
	v_cndmask_b32_e32 v19, 33, v24, vcc_lo
	s_delay_alu instid0(VALU_DEP_1) | instskip(NEXT) | instid1(VALU_DEP_1)
	v_sub_nc_u32_e32 v20, 32, v19
	v_alignbit_b32 v22, v23, v12, v20
	v_alignbit_b32 v9, v12, v9, v20
	v_lshrrev_b32_e32 v12, 29, v6
	s_delay_alu instid0(VALU_DEP_2) | instskip(NEXT) | instid1(VALU_DEP_2)
	v_alignbit_b32 v20, v22, v9, 9
	v_lshlrev_b32_e32 v12, 31, v12
	v_alignbit_b32 v22, v19, v22, 9
	s_delay_alu instid0(VALU_DEP_3) | instskip(NEXT) | instid1(VALU_DEP_2)
	v_clz_i32_u32_e32 v23, v20
	v_or_b32_e32 v22, v22, v12
	v_or_b32_e32 v12, 0x33800000, v12
	s_delay_alu instid0(VALU_DEP_3) | instskip(NEXT) | instid1(VALU_DEP_3)
	v_min_u32_e32 v23, 32, v23
	v_xor_b32_e32 v22, 1.0, v22
	s_delay_alu instid0(VALU_DEP_2) | instskip(SKIP_1) | instid1(VALU_DEP_3)
	v_sub_nc_u32_e32 v24, 31, v23
	v_add_lshl_u32 v19, v23, v19, 23
	v_mul_f32_e32 v23, 0x3fc90fda, v22
	s_delay_alu instid0(VALU_DEP_3) | instskip(NEXT) | instid1(VALU_DEP_3)
	v_alignbit_b32 v9, v20, v9, v24
	v_sub_nc_u32_e32 v12, v12, v19
	s_delay_alu instid0(VALU_DEP_3) | instskip(NEXT) | instid1(VALU_DEP_3)
	v_fma_f32 v19, 0x3fc90fda, v22, -v23
	v_lshrrev_b32_e32 v9, 9, v9
	s_delay_alu instid0(VALU_DEP_2) | instskip(NEXT) | instid1(VALU_DEP_2)
	v_fmac_f32_e32 v19, 0x33a22168, v22
	v_or_b32_e32 v9, v12, v9
	s_delay_alu instid0(VALU_DEP_1) | instskip(SKIP_1) | instid1(VALU_DEP_1)
	v_fmac_f32_e32 v19, 0x3fc90fda, v9
	v_lshrrev_b32_e32 v9, 30, v6
	v_dual_add_f32 v6, v23, v19 :: v_dual_add_nc_u32 v9, v21, v9
	s_and_not1_saveexec_b32 s0, s18
	s_branch .LBB163_230
.LBB163_229:                            ;   in Loop: Header=BB163_180 Depth=1
	s_and_not1_saveexec_b32 s0, s18
.LBB163_230:                            ;   in Loop: Header=BB163_180 Depth=1
	v_mul_f32_e64 v6, 0x3f22f983, |v11|
	s_delay_alu instid0(VALU_DEP_1) | instskip(NEXT) | instid1(VALU_DEP_1)
	v_rndne_f32_e32 v9, v6
	v_fma_f32 v6, 0xbfc90fda, v9, |v11|
	s_delay_alu instid0(VALU_DEP_1) | instskip(NEXT) | instid1(VALU_DEP_1)
	v_fmac_f32_e32 v6, 0xb3a22168, v9
	v_fmac_f32_e32 v6, 0xa7c234c4, v9
	v_cvt_i32_f32_e32 v9, v9
; %bb.231:                              ;   in Loop: Header=BB163_180 Depth=1
	s_or_b32 exec_lo, exec_lo, s0
                                        ; implicit-def: $vgpr19
                                        ; implicit-def: $vgpr12
	s_and_saveexec_b32 s0, s17
	s_delay_alu instid0(SALU_CYCLE_1)
	s_xor_b32 s17, exec_lo, s0
	s_cbranch_execz .LBB163_233
; %bb.232:                              ;   in Loop: Header=BB163_180 Depth=1
	v_mad_u64_u32 v[19:20], null, 0xfe5163ab, v7, 0
	v_cmp_lt_u32_e32 vcc_lo, 63, v18
	v_cndmask_b32_e64 v25, 0, 0xffffffc0, vcc_lo
	s_delay_alu instid0(VALU_DEP_3) | instskip(NEXT) | instid1(VALU_DEP_2)
	v_mov_b32_e32 v12, v20
	v_add_nc_u32_e32 v18, v25, v18
	s_delay_alu instid0(VALU_DEP_2) | instskip(NEXT) | instid1(VALU_DEP_2)
	v_mad_u64_u32 v[20:21], null, 0x3c439041, v7, v[12:13]
	v_cmp_lt_u32_e64 s0, 31, v18
	s_delay_alu instid0(VALU_DEP_2) | instskip(NEXT) | instid1(VALU_DEP_2)
	v_mov_b32_e32 v12, v21
	v_cndmask_b32_e64 v26, 0, 0xffffffe0, s0
	s_delay_alu instid0(VALU_DEP_2) | instskip(NEXT) | instid1(VALU_DEP_2)
	v_mad_u64_u32 v[21:22], null, 0xdb629599, v7, v[12:13]
	v_add_nc_u32_e32 v18, v26, v18
	s_delay_alu instid0(VALU_DEP_1) | instskip(NEXT) | instid1(VALU_DEP_3)
	v_cmp_lt_u32_e64 s1, 31, v18
	v_dual_mov_b32 v12, v22 :: v_dual_cndmask_b32 v19, v21, v19
	s_delay_alu instid0(VALU_DEP_1) | instskip(NEXT) | instid1(VALU_DEP_1)
	v_mad_u64_u32 v[22:23], null, 0xf534ddc0, v7, v[12:13]
	v_mov_b32_e32 v12, v23
	s_delay_alu instid0(VALU_DEP_1) | instskip(NEXT) | instid1(VALU_DEP_1)
	v_mad_u64_u32 v[23:24], null, 0xfc2757d1, v7, v[12:13]
	v_mov_b32_e32 v12, v24
	;; [unrolled: 3-line block ×3, first 2 shown]
	s_delay_alu instid0(VALU_DEP_1) | instskip(SKIP_1) | instid1(VALU_DEP_4)
	v_mad_u64_u32 v[25:26], null, 0xa2f9836e, v7, v[12:13]
	v_cndmask_b32_e64 v7, 0, 0xffffffe0, s1
	v_cndmask_b32_e32 v12, v24, v22, vcc_lo
	s_delay_alu instid0(VALU_DEP_2) | instskip(NEXT) | instid1(VALU_DEP_4)
	v_add_nc_u32_e32 v7, v7, v18
	v_dual_cndmask_b32 v25, v25, v23 :: v_dual_cndmask_b32 v24, v26, v24
	v_dual_cndmask_b32 v23, v23, v21 :: v_dual_cndmask_b32 v18, v22, v20
	s_delay_alu instid0(VALU_DEP_3) | instskip(NEXT) | instid1(VALU_DEP_3)
	v_cmp_eq_u32_e64 s2, 0, v7
	v_cndmask_b32_e64 v20, v25, v12, s0
	s_delay_alu instid0(VALU_DEP_4) | instskip(NEXT) | instid1(VALU_DEP_4)
	v_cndmask_b32_e64 v22, v24, v25, s0
	v_cndmask_b32_e64 v12, v12, v23, s0
	v_sub_nc_u32_e32 v24, 32, v7
	v_cndmask_b32_e64 v23, v23, v18, s0
	v_cndmask_b32_e64 v18, v18, v19, s0
	;; [unrolled: 1-line block ×4, first 2 shown]
	s_delay_alu instid0(VALU_DEP_4) | instskip(NEXT) | instid1(VALU_DEP_4)
	v_cndmask_b32_e64 v12, v12, v23, s1
	v_cndmask_b32_e64 v18, v23, v18, s1
	s_delay_alu instid0(VALU_DEP_3) | instskip(NEXT) | instid1(VALU_DEP_3)
	v_alignbit_b32 v25, v22, v20, v24
	v_alignbit_b32 v26, v20, v12, v24
	s_delay_alu instid0(VALU_DEP_3) | instskip(NEXT) | instid1(VALU_DEP_3)
	v_alignbit_b32 v24, v12, v18, v24
	v_cndmask_b32_e64 v7, v25, v22, s2
	s_delay_alu instid0(VALU_DEP_3) | instskip(NEXT) | instid1(VALU_DEP_3)
	v_cndmask_b32_e64 v20, v26, v20, s2
	v_cndmask_b32_e64 v12, v24, v12, s2
	s_delay_alu instid0(VALU_DEP_3) | instskip(NEXT) | instid1(VALU_DEP_3)
	v_bfe_u32 v21, v7, 29, 1
	v_alignbit_b32 v19, v7, v20, 30
	s_delay_alu instid0(VALU_DEP_3) | instskip(SKIP_1) | instid1(VALU_DEP_4)
	v_alignbit_b32 v20, v20, v12, 30
	v_alignbit_b32 v12, v12, v18, 30
	v_sub_nc_u32_e32 v22, 0, v21
	s_delay_alu instid0(VALU_DEP_1) | instskip(SKIP_3) | instid1(VALU_DEP_4)
	v_xor_b32_e32 v23, v19, v22
	v_cmp_ne_u32_e32 vcc_lo, v19, v22
	v_xor_b32_e32 v18, v20, v22
	v_xor_b32_e32 v12, v12, v22
	v_clz_i32_u32_e32 v25, v23
	s_delay_alu instid0(VALU_DEP_1) | instskip(NEXT) | instid1(VALU_DEP_1)
	v_add_nc_u32_e32 v24, 1, v25
	v_cndmask_b32_e32 v19, 33, v24, vcc_lo
	s_delay_alu instid0(VALU_DEP_1) | instskip(NEXT) | instid1(VALU_DEP_1)
	v_sub_nc_u32_e32 v20, 32, v19
	v_alignbit_b32 v22, v23, v18, v20
	v_alignbit_b32 v12, v18, v12, v20
	v_lshrrev_b32_e32 v18, 29, v7
	v_lshrrev_b32_e32 v7, 30, v7
	s_delay_alu instid0(VALU_DEP_3) | instskip(NEXT) | instid1(VALU_DEP_3)
	v_alignbit_b32 v20, v22, v12, 9
	v_lshlrev_b32_e32 v18, 31, v18
	v_alignbit_b32 v22, v19, v22, 9
	s_delay_alu instid0(VALU_DEP_3) | instskip(NEXT) | instid1(VALU_DEP_2)
	v_clz_i32_u32_e32 v23, v20
	v_or_b32_e32 v22, v22, v18
	v_or_b32_e32 v18, 0x33800000, v18
	s_delay_alu instid0(VALU_DEP_3) | instskip(NEXT) | instid1(VALU_DEP_3)
	v_min_u32_e32 v23, 32, v23
	v_xor_b32_e32 v22, 1.0, v22
	s_delay_alu instid0(VALU_DEP_2) | instskip(SKIP_1) | instid1(VALU_DEP_3)
	v_sub_nc_u32_e32 v24, 31, v23
	v_add_lshl_u32 v19, v23, v19, 23
	v_mul_f32_e32 v23, 0x3fc90fda, v22
	s_delay_alu instid0(VALU_DEP_3) | instskip(NEXT) | instid1(VALU_DEP_3)
	v_alignbit_b32 v12, v20, v12, v24
	v_sub_nc_u32_e32 v18, v18, v19
	s_delay_alu instid0(VALU_DEP_3) | instskip(NEXT) | instid1(VALU_DEP_3)
	v_fma_f32 v19, 0x3fc90fda, v22, -v23
	v_lshrrev_b32_e32 v12, 9, v12
	s_delay_alu instid0(VALU_DEP_2) | instskip(NEXT) | instid1(VALU_DEP_2)
	v_fmac_f32_e32 v19, 0x33a22168, v22
	v_or_b32_e32 v12, v18, v12
	s_delay_alu instid0(VALU_DEP_1) | instskip(NEXT) | instid1(VALU_DEP_1)
	v_fmac_f32_e32 v19, 0x3fc90fda, v12
	v_add_f32_e32 v12, v23, v19
	v_add_nc_u32_e32 v19, v21, v7
	s_and_not1_saveexec_b32 s0, s17
	s_cbranch_execnz .LBB163_234
	s_branch .LBB163_235
.LBB163_233:                            ;   in Loop: Header=BB163_180 Depth=1
	s_and_not1_saveexec_b32 s0, s17
.LBB163_234:                            ;   in Loop: Header=BB163_180 Depth=1
	v_mul_f32_e64 v7, 0x3f22f983, |v11|
	s_delay_alu instid0(VALU_DEP_1) | instskip(NEXT) | instid1(VALU_DEP_1)
	v_rndne_f32_e32 v7, v7
	v_fma_f32 v12, 0xbfc90fda, v7, |v11|
	v_cvt_i32_f32_e32 v19, v7
	s_delay_alu instid0(VALU_DEP_2) | instskip(NEXT) | instid1(VALU_DEP_1)
	v_fmac_f32_e32 v12, 0xb3a22168, v7
	v_fmac_f32_e32 v12, 0xa7c234c4, v7
.LBB163_235:                            ;   in Loop: Header=BB163_180 Depth=1
	s_or_b32 exec_lo, exec_lo, s0
	v_dual_mul_f32 v7, v6, v6 :: v_dual_and_b32 v18, 1, v9
	v_mul_f32_e64 v20, 0xbfb8aa3b, |v10|
	s_delay_alu instid0(VALU_DEP_2) | instskip(SKIP_1) | instid1(VALU_DEP_3)
	v_dual_fmaak_f32 v22, s13, v7, 0xbab64f3b :: v_dual_lshlrev_b32 v9, 30, v9
	v_mul_f32_e32 v23, v12, v12
	v_rndne_f32_e32 v24, v20
	v_fmaak_f32 v21, s12, v7, 0x3c0881c4
	v_fma_f32 v25, 0xbfb8aa3b, |v10|, -v20
	v_fmaak_f32 v22, v7, v22, 0x3d2aabf7
	v_cmp_eq_u32_e32 vcc_lo, 0, v18
	s_delay_alu instid0(VALU_DEP_4)
	v_dual_sub_f32 v20, v20, v24 :: v_dual_fmaak_f32 v21, v7, v21, 0xbe2aaa9d
	v_fmaak_f32 v26, s12, v23, 0x3c0881c4
	v_fma_f32 v25, 0xb2a5705f, |v10|, v25
	v_fmaak_f32 v22, v7, v22, 0xbf000004
	v_fmaak_f32 v27, s13, v23, 0xbab64f3b
	v_mul_f32_e32 v21, v7, v21
	v_fmaak_f32 v26, v23, v26, 0xbe2aaa9d
	v_add_f32_e32 v20, v20, v25
	v_and_b32_e32 v9, 0x80000000, v9
	v_and_b32_e32 v18, 1, v19
	v_dual_fmac_f32 v6, v6, v21 :: v_dual_fmaak_f32 v21, v23, v27, 0x3d2aabf7
	v_lshlrev_b32_e32 v19, 30, v19
	v_fma_f32 v7, v7, v22, 1.0
	v_mul_f32_e32 v22, v23, v26
	v_xor_b32_e32 v8, v8, v9
	v_exp_f32_e32 v20, v20
	v_cvt_i32_f32_e32 v9, v24
	v_cndmask_b32_e32 v6, v7, v6, vcc_lo
	v_fmac_f32_e32 v12, v12, v22
	v_cmp_eq_u32_e32 vcc_lo, 0, v18
	s_delay_alu instid0(VALU_DEP_3) | instskip(SKIP_1) | instid1(TRANS32_DEP_1)
	v_xor3_b32 v6, v8, v6, v11
	v_fmaak_f32 v7, v23, v21, 0xbf000004
	v_ldexp_f32 v8, v20, v9
	s_delay_alu instid0(VALU_DEP_3) | instskip(NEXT) | instid1(VALU_DEP_3)
	v_dual_mul_f32 v6, 4.0, v6 :: v_dual_and_b32 v9, 0x80000000, v19
	v_fma_f32 v7, v23, v7, 1.0
	s_delay_alu instid0(VALU_DEP_1) | instskip(SKIP_1) | instid1(VALU_DEP_2)
	v_cndmask_b32_e64 v7, -v12, v7, vcc_lo
	v_cmp_nlt_f32_e64 vcc_lo, 0x42ce8ed0, |v10|
	v_xor_b32_e32 v7, v9, v7
	v_cndmask_b32_e32 v8, 0, v8, vcc_lo
	v_cmp_ngt_f32_e64 vcc_lo, 0xc2b17218, |v10|
	s_delay_alu instid0(VALU_DEP_3) | instskip(NEXT) | instid1(VALU_DEP_3)
	v_mul_f32_e32 v6, v6, v7
	v_cndmask_b32_e32 v8, 0x7f800000, v8, vcc_lo
	s_delay_alu instid0(VALU_DEP_1) | instskip(SKIP_1) | instid1(VALU_DEP_2)
	v_mul_f32_e32 v7, v8, v6
	v_bfi_b32 v6, 0x7fffffff, 1.0, v10
	v_mul_f32_e32 v7, v8, v7
.LBB163_236:                            ;   in Loop: Header=BB163_180 Depth=1
	s_or_b32 exec_lo, exec_lo, s16
                                        ; implicit-def: $vgpr8_vgpr9_vgpr10_vgpr11
.LBB163_237:                            ;   in Loop: Header=BB163_180 Depth=1
	s_and_not1_saveexec_b32 s0, s15
; %bb.238:                              ;   in Loop: Header=BB163_180 Depth=1
	v_sub_f32_e32 v7, v11, v11
	s_delay_alu instid0(VALU_DEP_1)
	v_mov_b32_e32 v6, v7
; %bb.239:                              ;   in Loop: Header=BB163_180 Depth=1
	s_or_b32 exec_lo, exec_lo, s0
                                        ; implicit-def: $vgpr10
.LBB163_240:                            ;   in Loop: Header=BB163_180 Depth=1
	s_and_not1_saveexec_b32 s14, s14
	s_cbranch_execz .LBB163_256
; %bb.241:                              ;   in Loop: Header=BB163_180 Depth=1
	v_and_b32_e32 v6, 0x7fffff, v10
	s_mov_b32 s0, exec_lo
	s_delay_alu instid0(VALU_DEP_1)
	v_cmpx_ne_u32_e32 0, v6
	s_xor_b32 s0, exec_lo, s0
; %bb.242:                              ;   in Loop: Header=BB163_180 Depth=1
	v_mul_f32_e32 v6, v10, v11
	v_cmp_eq_f32_e32 vcc_lo, 0, v11
	s_delay_alu instid0(VALU_DEP_2)
	v_cndmask_b32_e32 v7, v6, v11, vcc_lo
; %bb.243:                              ;   in Loop: Header=BB163_180 Depth=1
	s_and_not1_saveexec_b32 s15, s0
	s_cbranch_execz .LBB163_255
; %bb.244:                              ;   in Loop: Header=BB163_180 Depth=1
	s_mov_b32 s16, exec_lo
	v_cmpx_neq_f32_e64 0x7f800000, |v11|
	s_cbranch_execz .LBB163_254
; %bb.245:                              ;   in Loop: Header=BB163_180 Depth=1
	v_and_b32_e32 v6, 0x7fffffff, v11
	v_cmp_ngt_f32_e64 s17, 0x48000000, |v11|
                                        ; implicit-def: $vgpr8
	s_delay_alu instid0(VALU_DEP_2) | instskip(SKIP_1) | instid1(VALU_DEP_2)
	v_lshrrev_b32_e32 v7, 23, v6
	v_and_or_b32 v9, v6, s4, 0x800000
	v_add_nc_u32_e32 v18, 0xffffff88, v7
                                        ; implicit-def: $vgpr7
	s_delay_alu instid0(VALU_DEP_4) | instskip(NEXT) | instid1(SALU_CYCLE_1)
	s_and_saveexec_b32 s0, s17
	s_xor_b32 s18, exec_lo, s0
	s_cbranch_execz .LBB163_247
; %bb.246:                              ;   in Loop: Header=BB163_180 Depth=1
	v_mad_u64_u32 v[7:8], null, 0xfe5163ab, v9, 0
	v_cmp_lt_u32_e32 vcc_lo, 63, v18
	s_delay_alu instid0(VALU_DEP_2) | instskip(SKIP_1) | instid1(VALU_DEP_2)
	v_mov_b32_e32 v12, v8
	v_cndmask_b32_e64 v8, 0, 0xffffffc0, vcc_lo
	v_mad_u64_u32 v[19:20], null, 0x3c439041, v9, v[12:13]
	s_delay_alu instid0(VALU_DEP_2) | instskip(NEXT) | instid1(VALU_DEP_1)
	v_add_nc_u32_e32 v8, v8, v18
	v_cmp_lt_u32_e64 s0, 31, v8
	s_delay_alu instid0(VALU_DEP_3) | instskip(NEXT) | instid1(VALU_DEP_2)
	v_mov_b32_e32 v12, v20
	v_cndmask_b32_e64 v25, 0, 0xffffffe0, s0
	s_delay_alu instid0(VALU_DEP_2) | instskip(NEXT) | instid1(VALU_DEP_2)
	v_mad_u64_u32 v[20:21], null, 0xdb629599, v9, v[12:13]
	v_add_nc_u32_e32 v8, v25, v8
	s_delay_alu instid0(VALU_DEP_2) | instskip(NEXT) | instid1(VALU_DEP_2)
	v_dual_mov_b32 v12, v21 :: v_dual_cndmask_b32 v7, v20, v7
	v_cmp_lt_u32_e64 s1, 31, v8
	s_delay_alu instid0(VALU_DEP_2) | instskip(NEXT) | instid1(VALU_DEP_1)
	v_mad_u64_u32 v[21:22], null, 0xf534ddc0, v9, v[12:13]
	v_mov_b32_e32 v12, v22
	s_delay_alu instid0(VALU_DEP_1) | instskip(NEXT) | instid1(VALU_DEP_1)
	v_mad_u64_u32 v[22:23], null, 0xfc2757d1, v9, v[12:13]
	v_mov_b32_e32 v12, v23
	s_delay_alu instid0(VALU_DEP_1) | instskip(NEXT) | instid1(VALU_DEP_1)
	v_mad_u64_u32 v[23:24], null, 0x4e441529, v9, v[12:13]
	v_mov_b32_e32 v12, v24
	s_delay_alu instid0(VALU_DEP_2) | instskip(NEXT) | instid1(VALU_DEP_2)
	v_cndmask_b32_e32 v26, v23, v21, vcc_lo
	v_mad_u64_u32 v[24:25], null, 0xa2f9836e, v9, v[12:13]
	v_cndmask_b32_e64 v12, 0, 0xffffffe0, s1
	s_delay_alu instid0(VALU_DEP_1) | instskip(NEXT) | instid1(VALU_DEP_3)
	v_add_nc_u32_e32 v8, v12, v8
	v_dual_cndmask_b32 v24, v24, v22 :: v_dual_cndmask_b32 v23, v25, v23
	v_cndmask_b32_e32 v22, v22, v20, vcc_lo
	v_cndmask_b32_e32 v12, v21, v19, vcc_lo
	s_delay_alu instid0(VALU_DEP_4) | instskip(NEXT) | instid1(VALU_DEP_4)
	v_cmp_eq_u32_e64 s2, 0, v8
	v_cndmask_b32_e64 v19, v24, v26, s0
	v_cndmask_b32_e64 v21, v23, v24, s0
	;; [unrolled: 1-line block ×3, first 2 shown]
	v_sub_nc_u32_e32 v24, 32, v8
	v_cndmask_b32_e64 v22, v22, v12, s0
	v_cndmask_b32_e64 v7, v12, v7, s0
	;; [unrolled: 1-line block ×4, first 2 shown]
	s_delay_alu instid0(VALU_DEP_4) | instskip(NEXT) | instid1(VALU_DEP_4)
	v_cndmask_b32_e64 v23, v23, v22, s1
	v_cndmask_b32_e64 v7, v22, v7, s1
	s_delay_alu instid0(VALU_DEP_3) | instskip(NEXT) | instid1(VALU_DEP_3)
	v_alignbit_b32 v25, v21, v19, v24
	v_alignbit_b32 v26, v19, v23, v24
	s_delay_alu instid0(VALU_DEP_3) | instskip(NEXT) | instid1(VALU_DEP_3)
	v_alignbit_b32 v24, v23, v7, v24
	v_cndmask_b32_e64 v8, v25, v21, s2
	s_delay_alu instid0(VALU_DEP_3) | instskip(NEXT) | instid1(VALU_DEP_3)
	v_cndmask_b32_e64 v19, v26, v19, s2
	v_cndmask_b32_e64 v23, v24, v23, s2
	s_delay_alu instid0(VALU_DEP_3) | instskip(NEXT) | instid1(VALU_DEP_3)
	v_bfe_u32 v20, v8, 29, 1
	v_alignbit_b32 v12, v8, v19, 30
	s_delay_alu instid0(VALU_DEP_3) | instskip(SKIP_1) | instid1(VALU_DEP_4)
	v_alignbit_b32 v19, v19, v23, 30
	v_alignbit_b32 v7, v23, v7, 30
	v_sub_nc_u32_e32 v21, 0, v20
	s_delay_alu instid0(VALU_DEP_1) | instskip(SKIP_3) | instid1(VALU_DEP_4)
	v_xor_b32_e32 v22, v12, v21
	v_cmp_ne_u32_e32 vcc_lo, v12, v21
	v_xor_b32_e32 v19, v19, v21
	v_xor_b32_e32 v7, v7, v21
	v_clz_i32_u32_e32 v25, v22
	s_delay_alu instid0(VALU_DEP_1) | instskip(NEXT) | instid1(VALU_DEP_1)
	v_add_nc_u32_e32 v24, 1, v25
	v_cndmask_b32_e32 v12, 33, v24, vcc_lo
	s_delay_alu instid0(VALU_DEP_1) | instskip(NEXT) | instid1(VALU_DEP_1)
	v_sub_nc_u32_e32 v23, 32, v12
	v_alignbit_b32 v21, v22, v19, v23
	v_alignbit_b32 v7, v19, v7, v23
	v_lshrrev_b32_e32 v19, 29, v8
	v_lshrrev_b32_e32 v8, 30, v8
	s_delay_alu instid0(VALU_DEP_3) | instskip(NEXT) | instid1(VALU_DEP_3)
	v_alignbit_b32 v22, v21, v7, 9
	v_lshlrev_b32_e32 v19, 31, v19
	v_alignbit_b32 v21, v12, v21, 9
	s_delay_alu instid0(VALU_DEP_4) | instskip(NEXT) | instid1(VALU_DEP_4)
	v_add_nc_u32_e32 v8, v20, v8
	v_clz_i32_u32_e32 v23, v22
	s_delay_alu instid0(VALU_DEP_3) | instskip(SKIP_1) | instid1(VALU_DEP_3)
	v_or_b32_e32 v21, v21, v19
	v_or_b32_e32 v19, 0x33800000, v19
	v_min_u32_e32 v23, 32, v23
	s_delay_alu instid0(VALU_DEP_3) | instskip(NEXT) | instid1(VALU_DEP_2)
	v_xor_b32_e32 v21, 1.0, v21
	v_sub_nc_u32_e32 v24, 31, v23
	v_add_lshl_u32 v12, v23, v12, 23
	s_delay_alu instid0(VALU_DEP_3) | instskip(NEXT) | instid1(VALU_DEP_3)
	v_mul_f32_e32 v23, 0x3fc90fda, v21
	v_alignbit_b32 v7, v22, v7, v24
	s_delay_alu instid0(VALU_DEP_3) | instskip(NEXT) | instid1(VALU_DEP_3)
	v_sub_nc_u32_e32 v12, v19, v12
	v_fma_f32 v19, 0x3fc90fda, v21, -v23
	s_delay_alu instid0(VALU_DEP_3) | instskip(NEXT) | instid1(VALU_DEP_2)
	v_lshrrev_b32_e32 v7, 9, v7
	v_fmac_f32_e32 v19, 0x33a22168, v21
	s_delay_alu instid0(VALU_DEP_2) | instskip(NEXT) | instid1(VALU_DEP_1)
	v_or_b32_e32 v7, v12, v7
	v_fmac_f32_e32 v19, 0x3fc90fda, v7
	s_delay_alu instid0(VALU_DEP_1)
	v_add_f32_e32 v7, v23, v19
.LBB163_247:                            ;   in Loop: Header=BB163_180 Depth=1
	s_or_saveexec_b32 s0, s18
	v_mul_f32_e64 v12, 0x3f22f983, |v11|
	s_delay_alu instid0(VALU_DEP_1)
	v_rndne_f32_e32 v20, v12
	s_xor_b32 exec_lo, exec_lo, s0
; %bb.248:                              ;   in Loop: Header=BB163_180 Depth=1
	s_delay_alu instid0(VALU_DEP_1) | instskip(SKIP_1) | instid1(VALU_DEP_2)
	v_fma_f32 v7, 0xbfc90fda, v20, |v11|
	v_cvt_i32_f32_e32 v8, v20
	v_fmac_f32_e32 v7, 0xb3a22168, v20
	s_delay_alu instid0(VALU_DEP_1)
	v_fmac_f32_e32 v7, 0xa7c234c4, v20
; %bb.249:                              ;   in Loop: Header=BB163_180 Depth=1
	s_or_b32 exec_lo, exec_lo, s0
                                        ; implicit-def: $vgpr19
                                        ; implicit-def: $vgpr12
	s_and_saveexec_b32 s0, s17
	s_delay_alu instid0(SALU_CYCLE_1)
	s_xor_b32 s17, exec_lo, s0
	s_cbranch_execz .LBB163_251
; %bb.250:                              ;   in Loop: Header=BB163_180 Depth=1
	v_mad_u64_u32 v[19:20], null, 0xfe5163ab, v9, 0
	v_cmp_lt_u32_e32 vcc_lo, 63, v18
	v_cndmask_b32_e64 v25, 0, 0xffffffc0, vcc_lo
	s_delay_alu instid0(VALU_DEP_3) | instskip(NEXT) | instid1(VALU_DEP_2)
	v_mov_b32_e32 v12, v20
	v_add_nc_u32_e32 v18, v25, v18
	s_delay_alu instid0(VALU_DEP_2) | instskip(NEXT) | instid1(VALU_DEP_2)
	v_mad_u64_u32 v[20:21], null, 0x3c439041, v9, v[12:13]
	v_cmp_lt_u32_e64 s0, 31, v18
	s_delay_alu instid0(VALU_DEP_2) | instskip(NEXT) | instid1(VALU_DEP_2)
	v_mov_b32_e32 v12, v21
	v_cndmask_b32_e64 v26, 0, 0xffffffe0, s0
	s_delay_alu instid0(VALU_DEP_2) | instskip(NEXT) | instid1(VALU_DEP_2)
	v_mad_u64_u32 v[21:22], null, 0xdb629599, v9, v[12:13]
	v_add_nc_u32_e32 v18, v26, v18
	s_delay_alu instid0(VALU_DEP_1) | instskip(NEXT) | instid1(VALU_DEP_3)
	v_cmp_lt_u32_e64 s1, 31, v18
	v_dual_mov_b32 v12, v22 :: v_dual_cndmask_b32 v19, v21, v19
	s_delay_alu instid0(VALU_DEP_1) | instskip(NEXT) | instid1(VALU_DEP_1)
	v_mad_u64_u32 v[22:23], null, 0xf534ddc0, v9, v[12:13]
	v_mov_b32_e32 v12, v23
	s_delay_alu instid0(VALU_DEP_1) | instskip(NEXT) | instid1(VALU_DEP_1)
	v_mad_u64_u32 v[23:24], null, 0xfc2757d1, v9, v[12:13]
	v_mov_b32_e32 v12, v24
	;; [unrolled: 3-line block ×3, first 2 shown]
	s_delay_alu instid0(VALU_DEP_1) | instskip(SKIP_1) | instid1(VALU_DEP_4)
	v_mad_u64_u32 v[25:26], null, 0xa2f9836e, v9, v[12:13]
	v_cndmask_b32_e64 v9, 0, 0xffffffe0, s1
	v_cndmask_b32_e32 v12, v24, v22, vcc_lo
	s_delay_alu instid0(VALU_DEP_2) | instskip(NEXT) | instid1(VALU_DEP_4)
	v_add_nc_u32_e32 v9, v9, v18
	v_dual_cndmask_b32 v25, v25, v23 :: v_dual_cndmask_b32 v24, v26, v24
	v_dual_cndmask_b32 v23, v23, v21 :: v_dual_cndmask_b32 v18, v22, v20
	s_delay_alu instid0(VALU_DEP_3) | instskip(NEXT) | instid1(VALU_DEP_3)
	v_cmp_eq_u32_e64 s2, 0, v9
	v_cndmask_b32_e64 v20, v25, v12, s0
	s_delay_alu instid0(VALU_DEP_4) | instskip(NEXT) | instid1(VALU_DEP_4)
	v_cndmask_b32_e64 v22, v24, v25, s0
	v_cndmask_b32_e64 v12, v12, v23, s0
	v_sub_nc_u32_e32 v24, 32, v9
	v_cndmask_b32_e64 v23, v23, v18, s0
	v_cndmask_b32_e64 v18, v18, v19, s0
	;; [unrolled: 1-line block ×4, first 2 shown]
	s_delay_alu instid0(VALU_DEP_4) | instskip(NEXT) | instid1(VALU_DEP_4)
	v_cndmask_b32_e64 v12, v12, v23, s1
	v_cndmask_b32_e64 v18, v23, v18, s1
	s_delay_alu instid0(VALU_DEP_3) | instskip(NEXT) | instid1(VALU_DEP_3)
	v_alignbit_b32 v25, v22, v20, v24
	v_alignbit_b32 v26, v20, v12, v24
	s_delay_alu instid0(VALU_DEP_3) | instskip(NEXT) | instid1(VALU_DEP_3)
	v_alignbit_b32 v24, v12, v18, v24
	v_cndmask_b32_e64 v9, v25, v22, s2
	s_delay_alu instid0(VALU_DEP_3) | instskip(NEXT) | instid1(VALU_DEP_3)
	v_cndmask_b32_e64 v20, v26, v20, s2
	v_cndmask_b32_e64 v12, v24, v12, s2
	s_delay_alu instid0(VALU_DEP_3) | instskip(NEXT) | instid1(VALU_DEP_3)
	v_bfe_u32 v21, v9, 29, 1
	v_alignbit_b32 v19, v9, v20, 30
	s_delay_alu instid0(VALU_DEP_3) | instskip(SKIP_1) | instid1(VALU_DEP_4)
	v_alignbit_b32 v20, v20, v12, 30
	v_alignbit_b32 v12, v12, v18, 30
	v_sub_nc_u32_e32 v22, 0, v21
	s_delay_alu instid0(VALU_DEP_1) | instskip(SKIP_3) | instid1(VALU_DEP_4)
	v_xor_b32_e32 v23, v19, v22
	v_cmp_ne_u32_e32 vcc_lo, v19, v22
	v_xor_b32_e32 v18, v20, v22
	v_xor_b32_e32 v12, v12, v22
	v_clz_i32_u32_e32 v25, v23
	s_delay_alu instid0(VALU_DEP_1) | instskip(NEXT) | instid1(VALU_DEP_1)
	v_add_nc_u32_e32 v24, 1, v25
	v_cndmask_b32_e32 v19, 33, v24, vcc_lo
	s_delay_alu instid0(VALU_DEP_1) | instskip(NEXT) | instid1(VALU_DEP_1)
	v_sub_nc_u32_e32 v20, 32, v19
	v_alignbit_b32 v22, v23, v18, v20
	v_alignbit_b32 v12, v18, v12, v20
	v_lshrrev_b32_e32 v18, 29, v9
	v_lshrrev_b32_e32 v9, 30, v9
	s_delay_alu instid0(VALU_DEP_3) | instskip(NEXT) | instid1(VALU_DEP_3)
	v_alignbit_b32 v20, v22, v12, 9
	v_lshlrev_b32_e32 v18, 31, v18
	v_alignbit_b32 v22, v19, v22, 9
	s_delay_alu instid0(VALU_DEP_3) | instskip(NEXT) | instid1(VALU_DEP_2)
	v_clz_i32_u32_e32 v23, v20
	v_or_b32_e32 v22, v22, v18
	v_or_b32_e32 v18, 0x33800000, v18
	s_delay_alu instid0(VALU_DEP_3) | instskip(NEXT) | instid1(VALU_DEP_3)
	v_min_u32_e32 v23, 32, v23
	v_xor_b32_e32 v22, 1.0, v22
	s_delay_alu instid0(VALU_DEP_2) | instskip(SKIP_1) | instid1(VALU_DEP_3)
	v_sub_nc_u32_e32 v24, 31, v23
	v_add_lshl_u32 v19, v23, v19, 23
	v_mul_f32_e32 v23, 0x3fc90fda, v22
	s_delay_alu instid0(VALU_DEP_3) | instskip(NEXT) | instid1(VALU_DEP_3)
	v_alignbit_b32 v12, v20, v12, v24
	v_sub_nc_u32_e32 v18, v18, v19
	s_delay_alu instid0(VALU_DEP_3) | instskip(NEXT) | instid1(VALU_DEP_3)
	v_fma_f32 v19, 0x3fc90fda, v22, -v23
                                        ; implicit-def: $vgpr20
	v_lshrrev_b32_e32 v12, 9, v12
	s_delay_alu instid0(VALU_DEP_2) | instskip(NEXT) | instid1(VALU_DEP_2)
	v_fmac_f32_e32 v19, 0x33a22168, v22
	v_or_b32_e32 v12, v18, v12
	s_delay_alu instid0(VALU_DEP_1) | instskip(NEXT) | instid1(VALU_DEP_1)
	v_fmac_f32_e32 v19, 0x3fc90fda, v12
	v_dual_add_f32 v12, v23, v19 :: v_dual_add_nc_u32 v19, v21, v9
	s_and_not1_saveexec_b32 s0, s17
	s_cbranch_execnz .LBB163_252
	s_branch .LBB163_253
.LBB163_251:                            ;   in Loop: Header=BB163_180 Depth=1
	s_and_not1_saveexec_b32 s0, s17
.LBB163_252:                            ;   in Loop: Header=BB163_180 Depth=1
	v_fma_f32 v12, 0xbfc90fda, v20, |v11|
	v_cvt_i32_f32_e32 v19, v20
	s_delay_alu instid0(VALU_DEP_2) | instskip(NEXT) | instid1(VALU_DEP_1)
	v_fmac_f32_e32 v12, 0xb3a22168, v20
	v_fmac_f32_e32 v12, 0xa7c234c4, v20
.LBB163_253:                            ;   in Loop: Header=BB163_180 Depth=1
	s_or_b32 exec_lo, exec_lo, s0
	v_dual_mul_f32 v9, v7, v7 :: v_dual_and_b32 v18, 1, v8
	s_delay_alu instid0(VALU_DEP_2) | instskip(SKIP_1) | instid1(VALU_DEP_3)
	v_dual_mul_f32 v20, v12, v12 :: v_dual_and_b32 v23, 1, v19
	v_lshlrev_b32_e32 v19, 30, v19
	v_fmaak_f32 v21, s12, v9, 0x3c0881c4
	v_fmaak_f32 v22, s13, v9, 0xbab64f3b
	v_lshlrev_b32_e32 v8, 30, v8
	v_fmaak_f32 v24, s12, v20, 0x3c0881c4
	v_cmp_eq_u32_e32 vcc_lo, 0, v18
	v_fmaak_f32 v21, v9, v21, 0xbe2aaa9d
	v_fmaak_f32 v22, v9, v22, 0x3d2aabf7
	s_delay_alu instid0(VALU_DEP_2) | instskip(NEXT) | instid1(VALU_DEP_2)
	v_dual_fmaak_f32 v24, v20, v24, 0xbe2aaa9d :: v_dual_mul_f32 v21, v9, v21
	v_fmaak_f32 v22, v9, v22, 0xbf000004
	s_delay_alu instid0(VALU_DEP_2) | instskip(NEXT) | instid1(VALU_DEP_2)
	v_dual_fmac_f32 v7, v7, v21 :: v_dual_and_b32 v8, 0x80000000, v8
	v_fma_f32 v9, v9, v22, 1.0
	s_delay_alu instid0(VALU_DEP_4) | instskip(NEXT) | instid1(VALU_DEP_3)
	v_mul_f32_e32 v24, v20, v24
	v_xor_b32_e32 v6, v6, v8
	s_delay_alu instid0(VALU_DEP_2) | instskip(SKIP_2) | instid1(VALU_DEP_3)
	v_dual_cndmask_b32 v7, v9, v7 :: v_dual_fmac_f32 v12, v12, v24
	v_and_b32_e32 v9, 0x80000000, v19
	v_cmp_eq_u32_e32 vcc_lo, 0, v23
	v_xor3_b32 v6, v6, v7, v11
	v_fmaak_f32 v25, s13, v20, 0xbab64f3b
	s_delay_alu instid0(VALU_DEP_1) | instskip(NEXT) | instid1(VALU_DEP_1)
	v_fmaak_f32 v25, v20, v25, 0x3d2aabf7
	v_fmaak_f32 v25, v20, v25, 0xbf000004
	s_delay_alu instid0(VALU_DEP_1) | instskip(NEXT) | instid1(VALU_DEP_1)
	v_fma_f32 v8, v20, v25, 1.0
	v_cndmask_b32_e64 v8, -v12, v8, vcc_lo
	v_cmp_class_f32_e64 vcc_lo, v11, 0x1f8
	s_delay_alu instid0(VALU_DEP_2) | instskip(NEXT) | instid1(VALU_DEP_1)
	v_xor_b32_e32 v7, v9, v8
	v_mul_f32_e32 v6, v6, v7
	s_delay_alu instid0(VALU_DEP_1)
	v_cndmask_b32_e32 v11, 0x7fc00000, v6, vcc_lo
.LBB163_254:                            ;   in Loop: Header=BB163_180 Depth=1
	s_or_b32 exec_lo, exec_lo, s16
	v_add_nc_u32_e32 v10, -2.0, v10
	s_delay_alu instid0(VALU_DEP_2)
	v_bfi_b32 v7, 0x7fffffff, 0, v11
.LBB163_255:                            ;   in Loop: Header=BB163_180 Depth=1
	s_or_b32 exec_lo, exec_lo, s15
	s_delay_alu instid0(VALU_DEP_2)
	v_mov_b32_e32 v6, v10
.LBB163_256:                            ;   in Loop: Header=BB163_180 Depth=1
	s_or_b32 exec_lo, exec_lo, s14
	s_waitcnt vmcnt(0)
	v_and_b32_e32 v8, 0x7fffffff, v0
                                        ; implicit-def: $vgpr9
	s_mov_b32 s0, exec_lo
	s_delay_alu instid0(VALU_DEP_1)
	v_cmpx_gt_u32_e32 0x7f800000, v8
	s_xor_b32 s14, exec_lo, s0
	s_cbranch_execz .LBB163_278
; %bb.257:                              ;   in Loop: Header=BB163_180 Depth=1
	v_cmp_class_f32_e64 s0, v1, 0x1f8
                                        ; implicit-def: $vgpr9
	s_delay_alu instid0(VALU_DEP_1) | instskip(NEXT) | instid1(SALU_CYCLE_1)
	s_and_saveexec_b32 s1, s0
	s_xor_b32 s15, exec_lo, s1
	s_cbranch_execz .LBB163_275
; %bb.258:                              ;   in Loop: Header=BB163_180 Depth=1
	v_and_b32_e32 v10, 0x7fffffff, v1
                                        ; implicit-def: $vgpr9
	s_mov_b32 s0, exec_lo
	v_cmpx_gt_u32_e32 0x41300000, v8
	s_xor_b32 s16, exec_lo, s0
	s_cbranch_execz .LBB163_264
; %bb.259:                              ;   in Loop: Header=BB163_180 Depth=1
                                        ; implicit-def: $vgpr8
                                        ; implicit-def: $vgpr9
	s_mov_b32 s1, exec_lo
	v_cmpx_ngt_f32_e64 0x48000000, |v1|
	s_xor_b32 s17, exec_lo, s1
	s_cbranch_execz .LBB163_261
; %bb.260:                              ;   in Loop: Header=BB163_180 Depth=1
	v_and_or_b32 v11, v10, s4, 0x800000
	s_delay_alu instid0(VALU_DEP_1) | instskip(NEXT) | instid1(VALU_DEP_1)
	v_mad_u64_u32 v[8:9], null, 0xfe5163ab, v11, 0
	v_mov_b32_e32 v12, v9
	v_lshrrev_b32_e32 v9, 23, v10
	s_delay_alu instid0(VALU_DEP_1) | instskip(NEXT) | instid1(VALU_DEP_3)
	v_add_nc_u32_e32 v9, 0xffffff88, v9
	v_mad_u64_u32 v[18:19], null, 0x3c439041, v11, v[12:13]
	s_delay_alu instid0(VALU_DEP_2) | instskip(SKIP_1) | instid1(VALU_DEP_1)
	v_cmp_lt_u32_e32 vcc_lo, 63, v9
	v_cndmask_b32_e64 v23, 0, 0xffffffc0, vcc_lo
	v_add_nc_u32_e32 v9, v23, v9
	s_delay_alu instid0(VALU_DEP_1) | instskip(NEXT) | instid1(VALU_DEP_1)
	v_cmp_lt_u32_e64 s0, 31, v9
	v_cndmask_b32_e64 v24, 0, 0xffffffe0, s0
	s_delay_alu instid0(VALU_DEP_1) | instskip(NEXT) | instid1(VALU_DEP_1)
	v_dual_mov_b32 v12, v19 :: v_dual_add_nc_u32 v9, v24, v9
	v_mad_u64_u32 v[19:20], null, 0xdb629599, v11, v[12:13]
	s_delay_alu instid0(VALU_DEP_2) | instskip(NEXT) | instid1(VALU_DEP_2)
	v_cmp_lt_u32_e64 s1, 31, v9
	v_mov_b32_e32 v12, v20
	s_delay_alu instid0(VALU_DEP_3) | instskip(NEXT) | instid1(VALU_DEP_2)
	v_cndmask_b32_e32 v8, v19, v8, vcc_lo
	v_mad_u64_u32 v[20:21], null, 0xf534ddc0, v11, v[12:13]
	s_delay_alu instid0(VALU_DEP_1) | instskip(NEXT) | instid1(VALU_DEP_1)
	v_mov_b32_e32 v12, v21
	v_mad_u64_u32 v[21:22], null, 0xfc2757d1, v11, v[12:13]
	s_delay_alu instid0(VALU_DEP_1) | instskip(NEXT) | instid1(VALU_DEP_1)
	v_mov_b32_e32 v12, v22
	;; [unrolled: 3-line block ×3, first 2 shown]
	v_mad_u64_u32 v[23:24], null, 0xa2f9836e, v11, v[12:13]
	v_cndmask_b32_e64 v11, 0, 0xffffffe0, s1
	s_delay_alu instid0(VALU_DEP_1) | instskip(SKIP_1) | instid1(VALU_DEP_4)
	v_dual_cndmask_b32 v12, v22, v20 :: v_dual_add_nc_u32 v9, v11, v9
	v_cndmask_b32_e32 v11, v20, v18, vcc_lo
	v_dual_cndmask_b32 v23, v23, v21 :: v_dual_cndmask_b32 v22, v24, v22
	v_cndmask_b32_e32 v21, v21, v19, vcc_lo
	s_delay_alu instid0(VALU_DEP_4) | instskip(NEXT) | instid1(VALU_DEP_4)
	v_cmp_eq_u32_e64 s2, 0, v9
	v_cndmask_b32_e64 v8, v11, v8, s0
	s_delay_alu instid0(VALU_DEP_4) | instskip(SKIP_4) | instid1(VALU_DEP_4)
	v_cndmask_b32_e64 v18, v23, v12, s0
	v_cndmask_b32_e64 v20, v22, v23, s0
	;; [unrolled: 1-line block ×3, first 2 shown]
	v_sub_nc_u32_e32 v22, 32, v9
	v_cndmask_b32_e64 v21, v21, v11, s0
	v_cndmask_b32_e64 v20, v20, v18, s1
	s_delay_alu instid0(VALU_DEP_4) | instskip(NEXT) | instid1(VALU_DEP_3)
	v_cndmask_b32_e64 v18, v18, v12, s1
	v_cndmask_b32_e64 v12, v12, v21, s1
	;; [unrolled: 1-line block ×3, first 2 shown]
	s_delay_alu instid0(VALU_DEP_3) | instskip(NEXT) | instid1(VALU_DEP_3)
	v_alignbit_b32 v23, v20, v18, v22
	v_alignbit_b32 v24, v18, v12, v22
	s_delay_alu instid0(VALU_DEP_3) | instskip(NEXT) | instid1(VALU_DEP_3)
	v_alignbit_b32 v22, v12, v8, v22
	v_cndmask_b32_e64 v9, v23, v20, s2
	s_delay_alu instid0(VALU_DEP_3) | instskip(NEXT) | instid1(VALU_DEP_3)
	v_cndmask_b32_e64 v18, v24, v18, s2
	v_cndmask_b32_e64 v12, v22, v12, s2
	s_delay_alu instid0(VALU_DEP_3) | instskip(NEXT) | instid1(VALU_DEP_3)
	v_bfe_u32 v19, v9, 29, 1
	v_alignbit_b32 v11, v9, v18, 30
	s_delay_alu instid0(VALU_DEP_3) | instskip(SKIP_1) | instid1(VALU_DEP_4)
	v_alignbit_b32 v18, v18, v12, 30
	v_alignbit_b32 v8, v12, v8, 30
	v_sub_nc_u32_e32 v20, 0, v19
	s_delay_alu instid0(VALU_DEP_1) | instskip(SKIP_3) | instid1(VALU_DEP_4)
	v_xor_b32_e32 v21, v11, v20
	v_cmp_ne_u32_e32 vcc_lo, v11, v20
	v_xor_b32_e32 v12, v18, v20
	v_xor_b32_e32 v8, v8, v20
	v_clz_i32_u32_e32 v23, v21
	s_delay_alu instid0(VALU_DEP_1) | instskip(NEXT) | instid1(VALU_DEP_1)
	v_add_nc_u32_e32 v22, 1, v23
	v_cndmask_b32_e32 v11, 33, v22, vcc_lo
	s_delay_alu instid0(VALU_DEP_1) | instskip(NEXT) | instid1(VALU_DEP_1)
	v_sub_nc_u32_e32 v18, 32, v11
	v_alignbit_b32 v20, v21, v12, v18
	v_alignbit_b32 v8, v12, v8, v18
	v_lshrrev_b32_e32 v12, 29, v9
	s_delay_alu instid0(VALU_DEP_2) | instskip(NEXT) | instid1(VALU_DEP_2)
	v_alignbit_b32 v18, v20, v8, 9
	v_lshlrev_b32_e32 v12, 31, v12
	v_alignbit_b32 v20, v11, v20, 9
	s_delay_alu instid0(VALU_DEP_3) | instskip(NEXT) | instid1(VALU_DEP_2)
	v_clz_i32_u32_e32 v21, v18
	v_or_b32_e32 v20, v20, v12
	v_or_b32_e32 v12, 0x33800000, v12
	s_delay_alu instid0(VALU_DEP_3) | instskip(NEXT) | instid1(VALU_DEP_3)
	v_min_u32_e32 v21, 32, v21
	v_xor_b32_e32 v20, 1.0, v20
	s_delay_alu instid0(VALU_DEP_2) | instskip(SKIP_1) | instid1(VALU_DEP_3)
	v_sub_nc_u32_e32 v22, 31, v21
	v_add_lshl_u32 v11, v21, v11, 23
	v_mul_f32_e32 v21, 0x3fc90fda, v20
	s_delay_alu instid0(VALU_DEP_3) | instskip(NEXT) | instid1(VALU_DEP_3)
	v_alignbit_b32 v8, v18, v8, v22
	v_sub_nc_u32_e32 v11, v12, v11
	s_delay_alu instid0(VALU_DEP_3) | instskip(NEXT) | instid1(VALU_DEP_3)
	v_fma_f32 v12, 0x3fc90fda, v20, -v21
	v_lshrrev_b32_e32 v8, 9, v8
	s_delay_alu instid0(VALU_DEP_2) | instskip(NEXT) | instid1(VALU_DEP_2)
	v_fmac_f32_e32 v12, 0x33a22168, v20
	v_or_b32_e32 v8, v11, v8
	s_delay_alu instid0(VALU_DEP_1) | instskip(SKIP_1) | instid1(VALU_DEP_2)
	v_fmac_f32_e32 v12, 0x3fc90fda, v8
	v_lshrrev_b32_e32 v8, 30, v9
	v_add_f32_e32 v9, v21, v12
	s_delay_alu instid0(VALU_DEP_2)
	v_add_nc_u32_e32 v8, v19, v8
.LBB163_261:                            ;   in Loop: Header=BB163_180 Depth=1
	s_and_not1_saveexec_b32 s0, s17
; %bb.262:                              ;   in Loop: Header=BB163_180 Depth=1
	v_mul_f32_e64 v8, 0x3f22f983, |v1|
	s_delay_alu instid0(VALU_DEP_1) | instskip(NEXT) | instid1(VALU_DEP_1)
	v_rndne_f32_e32 v8, v8
	v_fma_f32 v9, 0xbfc90fda, v8, |v1|
	s_delay_alu instid0(VALU_DEP_1) | instskip(NEXT) | instid1(VALU_DEP_1)
	v_fmac_f32_e32 v9, 0xb3a22168, v8
	v_fmac_f32_e32 v9, 0xa7c234c4, v8
	v_cvt_i32_f32_e32 v8, v8
; %bb.263:                              ;   in Loop: Header=BB163_180 Depth=1
	s_or_b32 exec_lo, exec_lo, s0
	v_add_f32_e64 v11, 0xbf317218, |v0|
	v_cmp_nlt_f32_e64 vcc_lo, 0x42b2d4fc, |v0|
	v_cmp_gt_f32_e64 s0, 0x39800000, |v0|
	v_and_b32_e32 v8, 1, v8
	s_delay_alu instid0(VALU_DEP_4) | instskip(NEXT) | instid1(VALU_DEP_1)
	v_sub_f32_e64 v12, v11, |v0|
	v_sub_f32_e32 v18, v12, v11
	v_add_f32_e32 v12, 0x3f317218, v12
	s_delay_alu instid0(VALU_DEP_2) | instskip(NEXT) | instid1(VALU_DEP_1)
	v_add_f32_e64 v18, |v0|, v18
	v_sub_f32_e32 v12, v18, v12
	s_delay_alu instid0(VALU_DEP_1) | instskip(NEXT) | instid1(VALU_DEP_1)
	v_add_f32_e32 v12, 0x3102e308, v12
	v_add_f32_e32 v18, v11, v12
	s_delay_alu instid0(VALU_DEP_1) | instskip(NEXT) | instid1(VALU_DEP_1)
	v_sub_f32_e32 v11, v11, v18
	v_add_f32_e32 v11, v12, v11
	v_mul_f32_e32 v19, 0x3fb8aa3b, v18
	s_delay_alu instid0(VALU_DEP_1) | instskip(NEXT) | instid1(VALU_DEP_1)
	v_rndne_f32_e32 v19, v19
	v_mul_f32_e32 v12, 0x35bfbc00, v19
	v_fmac_f32_e32 v18, 0xbf317200, v19
	s_delay_alu instid0(VALU_DEP_1) | instskip(NEXT) | instid1(VALU_DEP_1)
	v_add_f32_e32 v20, v11, v18
	v_sub_f32_e32 v21, v20, v12
	v_sub_f32_e32 v18, v18, v20
	s_delay_alu instid0(VALU_DEP_1) | instskip(NEXT) | instid1(VALU_DEP_1)
	v_dual_sub_f32 v20, v20, v21 :: v_dual_add_f32 v11, v11, v18
	v_sub_f32_e32 v12, v20, v12
	s_delay_alu instid0(VALU_DEP_1) | instskip(NEXT) | instid1(VALU_DEP_1)
	v_dual_add_f32 v11, v11, v12 :: v_dual_mul_f32 v12, 0x2ea39ef3, v19
	v_add_f32_e32 v18, v21, v11
	s_delay_alu instid0(VALU_DEP_1) | instskip(NEXT) | instid1(VALU_DEP_1)
	v_dual_sub_f32 v20, v18, v12 :: v_dual_sub_f32 v21, v21, v18
	v_dual_sub_f32 v18, v18, v20 :: v_dual_add_f32 v11, v11, v21
	s_delay_alu instid0(VALU_DEP_1) | instskip(NEXT) | instid1(VALU_DEP_1)
	v_sub_f32_e32 v12, v18, v12
	v_add_f32_e32 v11, v11, v12
	s_delay_alu instid0(VALU_DEP_1) | instskip(NEXT) | instid1(VALU_DEP_1)
	v_add_f32_e32 v12, v20, v11
	v_sub_f32_e32 v18, v20, v12
	s_delay_alu instid0(VALU_DEP_1) | instskip(SKIP_1) | instid1(VALU_DEP_2)
	v_dual_mul_f32 v20, v12, v12 :: v_dual_add_f32 v11, v11, v18
	v_fmaak_f32 v18, s9, v12, 0x3c091de6
	v_fma_f32 v21, v12, v12, -v20
	s_delay_alu instid0(VALU_DEP_3) | instskip(NEXT) | instid1(VALU_DEP_3)
	v_add_f32_e32 v22, v11, v11
	v_fmaak_f32 v18, v12, v18, 0x3d2aadcc
	s_delay_alu instid0(VALU_DEP_2) | instskip(NEXT) | instid1(VALU_DEP_2)
	v_fmac_f32_e32 v21, v12, v22
	v_fmaak_f32 v18, v12, v18, 0x3e2aaa47
	s_delay_alu instid0(VALU_DEP_2) | instskip(NEXT) | instid1(VALU_DEP_2)
	v_add_f32_e32 v22, v20, v21
	v_fmaak_f32 v18, v12, v18, 0x3efffffc
	s_delay_alu instid0(VALU_DEP_2) | instskip(NEXT) | instid1(VALU_DEP_1)
	v_sub_f32_e32 v20, v22, v20
	v_dual_mul_f32 v23, v18, v22 :: v_dual_sub_f32 v20, v21, v20
	s_delay_alu instid0(VALU_DEP_1) | instskip(NEXT) | instid1(VALU_DEP_1)
	v_fma_f32 v21, v22, v18, -v23
	v_fmac_f32_e32 v21, v20, v18
	s_delay_alu instid0(VALU_DEP_1) | instskip(NEXT) | instid1(VALU_DEP_1)
	v_add_f32_e32 v18, v23, v21
	v_add_f32_e32 v20, v12, v18
	v_sub_f32_e32 v22, v18, v23
	s_delay_alu instid0(VALU_DEP_1) | instskip(NEXT) | instid1(VALU_DEP_1)
	v_dual_sub_f32 v12, v20, v12 :: v_dual_sub_f32 v21, v21, v22
	v_dual_sub_f32 v12, v18, v12 :: v_dual_add_f32 v11, v11, v21
	s_delay_alu instid0(VALU_DEP_1) | instskip(NEXT) | instid1(VALU_DEP_1)
	v_add_f32_e32 v11, v11, v12
	v_add_f32_e32 v12, v20, v11
	s_delay_alu instid0(VALU_DEP_1) | instskip(NEXT) | instid1(VALU_DEP_1)
	v_add_f32_e32 v18, 1.0, v12
	v_dual_sub_f32 v20, v12, v20 :: v_dual_add_f32 v21, -1.0, v18
	s_delay_alu instid0(VALU_DEP_1) | instskip(NEXT) | instid1(VALU_DEP_1)
	v_dual_sub_f32 v11, v11, v20 :: v_dual_sub_f32 v12, v12, v21
	v_add_f32_e32 v11, v11, v12
	v_cvt_i32_f32_e32 v12, v19
	s_delay_alu instid0(VALU_DEP_2) | instskip(NEXT) | instid1(VALU_DEP_1)
	v_add_f32_e32 v19, v18, v11
	v_ldexp_f32 v20, v19, v12
	v_sub_f32_e32 v18, v19, v18
	s_delay_alu instid0(VALU_DEP_2) | instskip(NEXT) | instid1(VALU_DEP_1)
	v_rcp_f32_e32 v21, v20
	v_sub_f32_e32 v11, v11, v18
	s_delay_alu instid0(VALU_DEP_1) | instskip(SKIP_2) | instid1(VALU_DEP_1)
	v_ldexp_f32 v11, v11, v12
	s_waitcnt_depctr 0xfff
	v_mul_f32_e32 v18, v20, v21
	v_fma_f32 v12, v21, v20, -v18
	s_delay_alu instid0(VALU_DEP_1) | instskip(NEXT) | instid1(VALU_DEP_1)
	v_fmac_f32_e32 v12, v21, v11
	v_add_f32_e32 v19, v18, v12
	s_delay_alu instid0(VALU_DEP_1) | instskip(SKIP_1) | instid1(VALU_DEP_1)
	v_sub_f32_e32 v22, 1.0, v19
	v_sub_f32_e32 v18, v19, v18
	v_dual_sub_f32 v23, 1.0, v22 :: v_dual_sub_f32 v12, v18, v12
	s_delay_alu instid0(VALU_DEP_1) | instskip(NEXT) | instid1(VALU_DEP_1)
	v_sub_f32_e32 v18, v23, v19
	v_add_f32_e32 v12, v12, v18
	s_delay_alu instid0(VALU_DEP_1) | instskip(NEXT) | instid1(VALU_DEP_1)
	v_add_f32_e32 v18, v22, v12
	v_mul_f32_e32 v19, v21, v18
	s_delay_alu instid0(VALU_DEP_1) | instskip(NEXT) | instid1(VALU_DEP_1)
	v_dual_sub_f32 v22, v22, v18 :: v_dual_mul_f32 v23, v20, v19
	v_add_f32_e32 v12, v12, v22
	s_delay_alu instid0(VALU_DEP_2) | instskip(NEXT) | instid1(VALU_DEP_1)
	v_fma_f32 v24, v19, v20, -v23
	v_fmac_f32_e32 v24, v19, v11
	s_delay_alu instid0(VALU_DEP_1) | instskip(NEXT) | instid1(VALU_DEP_1)
	v_add_f32_e32 v25, v23, v24
	v_sub_f32_e32 v26, v18, v25
	v_sub_f32_e32 v22, v25, v23
	s_delay_alu instid0(VALU_DEP_2) | instskip(NEXT) | instid1(VALU_DEP_2)
	v_sub_f32_e32 v18, v18, v26
	v_sub_f32_e32 v22, v22, v24
	s_delay_alu instid0(VALU_DEP_2) | instskip(NEXT) | instid1(VALU_DEP_1)
	v_sub_f32_e32 v18, v18, v25
	v_add_f32_e32 v12, v12, v18
	v_add_f32_e32 v18, v21, v19
	s_delay_alu instid0(VALU_DEP_2) | instskip(NEXT) | instid1(VALU_DEP_2)
	v_add_f32_e32 v12, v22, v12
	v_sub_f32_e32 v22, v18, v21
	s_delay_alu instid0(VALU_DEP_1) | instskip(NEXT) | instid1(VALU_DEP_1)
	v_dual_add_f32 v12, v26, v12 :: v_dual_sub_f32 v19, v19, v22
	v_mul_f32_e32 v12, v21, v12
	s_delay_alu instid0(VALU_DEP_1) | instskip(NEXT) | instid1(VALU_DEP_1)
	v_add_f32_e32 v12, v19, v12
	v_add_f32_e32 v19, v18, v12
	s_delay_alu instid0(VALU_DEP_1) | instskip(SKIP_1) | instid1(VALU_DEP_2)
	v_ldexp_f32 v21, v19, -2
	v_sub_f32_e32 v18, v19, v18
	v_sub_f32_e32 v22, v20, v21
	s_delay_alu instid0(VALU_DEP_2) | instskip(NEXT) | instid1(VALU_DEP_2)
	v_sub_f32_e32 v12, v12, v18
	v_sub_f32_e32 v19, v20, v22
	s_delay_alu instid0(VALU_DEP_2) | instskip(NEXT) | instid1(VALU_DEP_2)
	v_ldexp_f32 v12, v12, -2
	v_sub_f32_e32 v18, v19, v21
	s_delay_alu instid0(VALU_DEP_1) | instskip(NEXT) | instid1(VALU_DEP_1)
	v_add_f32_e32 v11, v11, v18
	v_dual_sub_f32 v11, v11, v12 :: v_dual_mul_f32 v12, v9, v9
	s_delay_alu instid0(VALU_DEP_1) | instskip(SKIP_1) | instid1(VALU_DEP_2)
	v_dual_add_f32 v11, v22, v11 :: v_dual_fmaak_f32 v18, s8, v12, 0xbf039337
	v_fmaak_f32 v19, s5, v12, 0x3ec54587
	v_cndmask_b32_e32 v11, 0x7f800000, v11, vcc_lo
	s_delay_alu instid0(VALU_DEP_3) | instskip(NEXT) | instid1(VALU_DEP_2)
	v_fmaak_f32 v18, v12, v18, 0x3f93f425
	v_cndmask_b32_e64 v11, v11, |v0|, s0
	s_delay_alu instid0(VALU_DEP_2) | instskip(NEXT) | instid1(VALU_DEP_1)
	v_rcp_f32_e32 v18, v18
	v_bfi_b32 v11, 0x7fffffff, v11, v0
	s_delay_alu instid0(VALU_DEP_1) | instskip(SKIP_3) | instid1(VALU_DEP_2)
	v_fma_f32 v20, v11, v11, 1.0
	s_waitcnt_depctr 0xfff
	v_dual_mul_f32 v18, v19, v18 :: v_dual_mul_f32 v19, 0x4f800000, v20
	v_cmp_gt_f32_e32 vcc_lo, 0xf800000, v20
	v_mul_f32_e32 v12, v12, v18
	s_delay_alu instid0(VALU_DEP_3) | instskip(NEXT) | instid1(VALU_DEP_2)
	v_cndmask_b32_e32 v18, v20, v19, vcc_lo
	v_fma_f32 v19, v12, v9, v9
	s_delay_alu instid0(VALU_DEP_2) | instskip(NEXT) | instid1(VALU_DEP_1)
	v_sqrt_f32_e32 v20, v18
	v_rcp_f32_e32 v21, v19
	v_sub_f32_e32 v22, v19, v9
	s_delay_alu instid0(VALU_DEP_1) | instskip(SKIP_4) | instid1(VALU_DEP_3)
	v_fma_f32 v9, v12, v9, -v22
	s_waitcnt_depctr 0xfff
	v_add_nc_u32_e32 v23, -1, v20
	v_fma_f32 v12, v19, -v21, 1.0
	v_add_nc_u32_e32 v22, 1, v20
	v_fma_f32 v24, -v23, v20, v18
	s_delay_alu instid0(VALU_DEP_3) | instskip(NEXT) | instid1(VALU_DEP_3)
	v_fma_f32 v9, v9, -v21, v12
	v_fma_f32 v12, -v22, v20, v18
	s_delay_alu instid0(VALU_DEP_3) | instskip(NEXT) | instid1(VALU_DEP_3)
	v_cmp_ge_f32_e64 s0, 0, v24
	v_fma_f32 v9, v9, -v21, -v21
	s_delay_alu instid0(VALU_DEP_2) | instskip(NEXT) | instid1(VALU_DEP_4)
	v_cndmask_b32_e64 v20, v20, v23, s0
	v_cmp_lt_f32_e64 s0, 0, v12
	s_delay_alu instid0(VALU_DEP_1) | instskip(SKIP_1) | instid1(VALU_DEP_1)
	v_cndmask_b32_e64 v12, v20, v22, s0
	v_cmp_eq_u32_e64 s0, 0, v8
	v_cndmask_b32_e64 v8, v9, v19, s0
	s_delay_alu instid0(VALU_DEP_3) | instskip(NEXT) | instid1(VALU_DEP_2)
	v_mul_f32_e32 v9, 0x37800000, v12
	v_xor3_b32 v10, v10, v8, v1
	s_delay_alu instid0(VALU_DEP_2) | instskip(SKIP_1) | instid1(VALU_DEP_3)
	v_cndmask_b32_e32 v8, v12, v9, vcc_lo
	v_cmp_class_f32_e64 vcc_lo, v18, 0x260
	v_fma_f32 v9, v10, v10, 1.0
	s_delay_alu instid0(VALU_DEP_3) | instskip(NEXT) | instid1(VALU_DEP_2)
	v_cndmask_b32_e32 v8, v8, v18, vcc_lo
	v_mul_f32_e32 v12, v11, v9
	s_delay_alu instid0(VALU_DEP_2) | instskip(NEXT) | instid1(VALU_DEP_2)
	v_mul_f32_e32 v8, v8, v9
	v_fma_f32 v9, v11, v12, 1.0
	s_delay_alu instid0(VALU_DEP_2) | instskip(NEXT) | instid1(VALU_DEP_2)
	v_mul_f32_e32 v8, v11, v8
	v_div_scale_f32 v12, null, v9, v9, v10
	s_delay_alu instid0(VALU_DEP_2) | instskip(SKIP_1) | instid1(VALU_DEP_3)
	v_div_scale_f32 v11, null, v9, v9, v8
	v_div_scale_f32 v22, vcc_lo, v8, v9, v8
	v_rcp_f32_e32 v19, v12
	s_delay_alu instid0(VALU_DEP_2) | instskip(SKIP_3) | instid1(VALU_DEP_1)
	v_rcp_f32_e32 v18, v11
	s_waitcnt_depctr 0xfff
	v_fma_f32 v21, -v12, v19, 1.0
	v_fma_f32 v20, -v11, v18, 1.0
	v_dual_fmac_f32 v19, v21, v19 :: v_dual_fmac_f32 v18, v20, v18
	v_div_scale_f32 v20, s0, v10, v9, v10
	s_delay_alu instid0(VALU_DEP_2) | instskip(NEXT) | instid1(VALU_DEP_2)
	v_mul_f32_e32 v21, v22, v18
	v_mul_f32_e32 v23, v20, v19
	s_delay_alu instid0(VALU_DEP_2) | instskip(NEXT) | instid1(VALU_DEP_2)
	v_fma_f32 v24, -v11, v21, v22
	v_fma_f32 v25, -v12, v23, v20
	s_delay_alu instid0(VALU_DEP_2) | instskip(NEXT) | instid1(VALU_DEP_2)
	v_fmac_f32_e32 v21, v24, v18
	v_fmac_f32_e32 v23, v25, v19
	s_delay_alu instid0(VALU_DEP_2) | instskip(NEXT) | instid1(VALU_DEP_2)
	v_fma_f32 v11, -v11, v21, v22
	v_fma_f32 v12, -v12, v23, v20
	s_delay_alu instid0(VALU_DEP_2) | instskip(SKIP_1) | instid1(VALU_DEP_2)
	v_div_fmas_f32 v11, v11, v18, v21
	s_mov_b32 vcc_lo, s0
	v_div_fmas_f32 v12, v12, v19, v23
	s_delay_alu instid0(VALU_DEP_2) | instskip(NEXT) | instid1(VALU_DEP_2)
	v_div_fixup_f32 v8, v11, v9, v8
	v_div_fixup_f32 v9, v12, v9, v10
                                        ; implicit-def: $vgpr10
.LBB163_264:                            ;   in Loop: Header=BB163_180 Depth=1
	s_and_not1_saveexec_b32 s16, s16
	s_cbranch_execz .LBB163_274
; %bb.265:                              ;   in Loop: Header=BB163_180 Depth=1
	v_lshrrev_b32_e32 v8, 23, v10
	v_cmp_ngt_f32_e64 s17, 0x48000000, |v1|
	v_and_or_b32 v9, v10, s4, 0x800000
                                        ; implicit-def: $vgpr11
	s_delay_alu instid0(VALU_DEP_3) | instskip(NEXT) | instid1(VALU_DEP_3)
	v_add_nc_u32_e32 v18, 0xffffff88, v8
                                        ; implicit-def: $vgpr8
	s_and_saveexec_b32 s0, s17
	s_delay_alu instid0(SALU_CYCLE_1)
	s_xor_b32 s18, exec_lo, s0
	s_cbranch_execz .LBB163_267
; %bb.266:                              ;   in Loop: Header=BB163_180 Depth=1
	v_mad_u64_u32 v[11:12], null, 0xfe5163ab, v9, 0
	v_cmp_lt_u32_e32 vcc_lo, 63, v18
	v_cndmask_b32_e64 v8, 0, 0xffffffc0, vcc_lo
	s_delay_alu instid0(VALU_DEP_3) | instskip(NEXT) | instid1(VALU_DEP_2)
	v_mad_u64_u32 v[19:20], null, 0x3c439041, v9, v[12:13]
	v_add_nc_u32_e32 v8, v8, v18
	s_delay_alu instid0(VALU_DEP_2) | instskip(NEXT) | instid1(VALU_DEP_2)
	v_mov_b32_e32 v12, v20
	v_cmp_lt_u32_e64 s0, 31, v8
	s_delay_alu instid0(VALU_DEP_2) | instskip(NEXT) | instid1(VALU_DEP_2)
	v_mad_u64_u32 v[20:21], null, 0xdb629599, v9, v[12:13]
	v_cndmask_b32_e64 v25, 0, 0xffffffe0, s0
	s_delay_alu instid0(VALU_DEP_1) | instskip(NEXT) | instid1(VALU_DEP_3)
	v_add_nc_u32_e32 v8, v25, v8
	v_dual_mov_b32 v12, v21 :: v_dual_cndmask_b32 v11, v20, v11
	s_delay_alu instid0(VALU_DEP_2) | instskip(NEXT) | instid1(VALU_DEP_2)
	v_cmp_lt_u32_e64 s1, 31, v8
	v_mad_u64_u32 v[21:22], null, 0xf534ddc0, v9, v[12:13]
	s_delay_alu instid0(VALU_DEP_1) | instskip(NEXT) | instid1(VALU_DEP_1)
	v_mov_b32_e32 v12, v22
	v_mad_u64_u32 v[22:23], null, 0xfc2757d1, v9, v[12:13]
	s_delay_alu instid0(VALU_DEP_1) | instskip(NEXT) | instid1(VALU_DEP_1)
	v_mov_b32_e32 v12, v23
	v_mad_u64_u32 v[23:24], null, 0x4e441529, v9, v[12:13]
	s_delay_alu instid0(VALU_DEP_1) | instskip(NEXT) | instid1(VALU_DEP_2)
	v_mov_b32_e32 v12, v24
	v_cndmask_b32_e32 v26, v23, v21, vcc_lo
	s_delay_alu instid0(VALU_DEP_2) | instskip(SKIP_1) | instid1(VALU_DEP_1)
	v_mad_u64_u32 v[24:25], null, 0xa2f9836e, v9, v[12:13]
	v_cndmask_b32_e64 v12, 0, 0xffffffe0, s1
	v_add_nc_u32_e32 v8, v12, v8
	s_delay_alu instid0(VALU_DEP_3) | instskip(SKIP_2) | instid1(VALU_DEP_4)
	v_dual_cndmask_b32 v24, v24, v22 :: v_dual_cndmask_b32 v23, v25, v23
	v_cndmask_b32_e32 v22, v22, v20, vcc_lo
	v_cndmask_b32_e32 v12, v21, v19, vcc_lo
	v_cmp_eq_u32_e64 s2, 0, v8
	s_delay_alu instid0(VALU_DEP_4)
	v_cndmask_b32_e64 v19, v24, v26, s0
	v_cndmask_b32_e64 v21, v23, v24, s0
	;; [unrolled: 1-line block ×3, first 2 shown]
	v_sub_nc_u32_e32 v24, 32, v8
	v_cndmask_b32_e64 v22, v22, v12, s0
	v_cndmask_b32_e64 v11, v12, v11, s0
	;; [unrolled: 1-line block ×4, first 2 shown]
	s_delay_alu instid0(VALU_DEP_4) | instskip(NEXT) | instid1(VALU_DEP_4)
	v_cndmask_b32_e64 v23, v23, v22, s1
	v_cndmask_b32_e64 v11, v22, v11, s1
	s_delay_alu instid0(VALU_DEP_3) | instskip(NEXT) | instid1(VALU_DEP_3)
	v_alignbit_b32 v25, v21, v19, v24
	v_alignbit_b32 v26, v19, v23, v24
	s_delay_alu instid0(VALU_DEP_3) | instskip(NEXT) | instid1(VALU_DEP_3)
	v_alignbit_b32 v24, v23, v11, v24
	v_cndmask_b32_e64 v8, v25, v21, s2
	s_delay_alu instid0(VALU_DEP_3) | instskip(NEXT) | instid1(VALU_DEP_3)
	v_cndmask_b32_e64 v19, v26, v19, s2
	v_cndmask_b32_e64 v23, v24, v23, s2
	s_delay_alu instid0(VALU_DEP_3) | instskip(NEXT) | instid1(VALU_DEP_3)
	v_bfe_u32 v20, v8, 29, 1
	v_alignbit_b32 v12, v8, v19, 30
	s_delay_alu instid0(VALU_DEP_3) | instskip(SKIP_1) | instid1(VALU_DEP_4)
	v_alignbit_b32 v19, v19, v23, 30
	v_alignbit_b32 v11, v23, v11, 30
	v_sub_nc_u32_e32 v21, 0, v20
	s_delay_alu instid0(VALU_DEP_1) | instskip(SKIP_3) | instid1(VALU_DEP_4)
	v_xor_b32_e32 v22, v12, v21
	v_cmp_ne_u32_e32 vcc_lo, v12, v21
	v_xor_b32_e32 v19, v19, v21
	v_xor_b32_e32 v11, v11, v21
	v_clz_i32_u32_e32 v25, v22
	s_delay_alu instid0(VALU_DEP_1) | instskip(NEXT) | instid1(VALU_DEP_1)
	v_add_nc_u32_e32 v24, 1, v25
	v_cndmask_b32_e32 v12, 33, v24, vcc_lo
	s_delay_alu instid0(VALU_DEP_1) | instskip(NEXT) | instid1(VALU_DEP_1)
	v_sub_nc_u32_e32 v23, 32, v12
	v_alignbit_b32 v21, v22, v19, v23
	v_alignbit_b32 v11, v19, v11, v23
	v_lshrrev_b32_e32 v19, 29, v8
	s_delay_alu instid0(VALU_DEP_2) | instskip(NEXT) | instid1(VALU_DEP_2)
	v_alignbit_b32 v22, v21, v11, 9
	v_lshlrev_b32_e32 v19, 31, v19
	v_alignbit_b32 v21, v12, v21, 9
	s_delay_alu instid0(VALU_DEP_3) | instskip(NEXT) | instid1(VALU_DEP_2)
	v_clz_i32_u32_e32 v23, v22
	v_or_b32_e32 v21, v21, v19
	v_or_b32_e32 v19, 0x33800000, v19
	s_delay_alu instid0(VALU_DEP_3) | instskip(NEXT) | instid1(VALU_DEP_3)
	v_min_u32_e32 v23, 32, v23
	v_xor_b32_e32 v21, 1.0, v21
	s_delay_alu instid0(VALU_DEP_2) | instskip(SKIP_1) | instid1(VALU_DEP_3)
	v_sub_nc_u32_e32 v24, 31, v23
	v_add_lshl_u32 v12, v23, v12, 23
	v_mul_f32_e32 v23, 0x3fc90fda, v21
	s_delay_alu instid0(VALU_DEP_3) | instskip(NEXT) | instid1(VALU_DEP_3)
	v_alignbit_b32 v11, v22, v11, v24
	v_sub_nc_u32_e32 v12, v19, v12
	s_delay_alu instid0(VALU_DEP_3) | instskip(NEXT) | instid1(VALU_DEP_3)
	v_fma_f32 v19, 0x3fc90fda, v21, -v23
	v_lshrrev_b32_e32 v11, 9, v11
	s_delay_alu instid0(VALU_DEP_2) | instskip(NEXT) | instid1(VALU_DEP_2)
	v_fmac_f32_e32 v19, 0x33a22168, v21
	v_or_b32_e32 v11, v12, v11
	s_delay_alu instid0(VALU_DEP_1) | instskip(SKIP_1) | instid1(VALU_DEP_2)
	v_fmac_f32_e32 v19, 0x3fc90fda, v11
	v_lshrrev_b32_e32 v11, 30, v8
	v_add_f32_e32 v8, v23, v19
	s_delay_alu instid0(VALU_DEP_2)
	v_add_nc_u32_e32 v11, v20, v11
	s_and_not1_saveexec_b32 s0, s18
	s_branch .LBB163_268
.LBB163_267:                            ;   in Loop: Header=BB163_180 Depth=1
	s_and_not1_saveexec_b32 s0, s18
.LBB163_268:                            ;   in Loop: Header=BB163_180 Depth=1
	v_mul_f32_e64 v8, 0x3f22f983, |v1|
	s_delay_alu instid0(VALU_DEP_1) | instskip(NEXT) | instid1(VALU_DEP_1)
	v_rndne_f32_e32 v11, v8
	v_fma_f32 v8, 0xbfc90fda, v11, |v1|
	s_delay_alu instid0(VALU_DEP_1) | instskip(NEXT) | instid1(VALU_DEP_1)
	v_fmac_f32_e32 v8, 0xb3a22168, v11
	v_fmac_f32_e32 v8, 0xa7c234c4, v11
	v_cvt_i32_f32_e32 v11, v11
; %bb.269:                              ;   in Loop: Header=BB163_180 Depth=1
	s_or_b32 exec_lo, exec_lo, s0
                                        ; implicit-def: $vgpr19
                                        ; implicit-def: $vgpr12
	s_and_saveexec_b32 s0, s17
	s_delay_alu instid0(SALU_CYCLE_1)
	s_xor_b32 s17, exec_lo, s0
	s_cbranch_execz .LBB163_271
; %bb.270:                              ;   in Loop: Header=BB163_180 Depth=1
	v_mad_u64_u32 v[19:20], null, 0xfe5163ab, v9, 0
	v_cmp_lt_u32_e32 vcc_lo, 63, v18
	v_cndmask_b32_e64 v25, 0, 0xffffffc0, vcc_lo
	s_delay_alu instid0(VALU_DEP_3) | instskip(NEXT) | instid1(VALU_DEP_2)
	v_mov_b32_e32 v12, v20
	v_add_nc_u32_e32 v18, v25, v18
	s_delay_alu instid0(VALU_DEP_2) | instskip(NEXT) | instid1(VALU_DEP_2)
	v_mad_u64_u32 v[20:21], null, 0x3c439041, v9, v[12:13]
	v_cmp_lt_u32_e64 s0, 31, v18
	s_delay_alu instid0(VALU_DEP_2) | instskip(NEXT) | instid1(VALU_DEP_2)
	v_mov_b32_e32 v12, v21
	v_cndmask_b32_e64 v26, 0, 0xffffffe0, s0
	s_delay_alu instid0(VALU_DEP_2) | instskip(NEXT) | instid1(VALU_DEP_2)
	v_mad_u64_u32 v[21:22], null, 0xdb629599, v9, v[12:13]
	v_add_nc_u32_e32 v18, v26, v18
	s_delay_alu instid0(VALU_DEP_1) | instskip(NEXT) | instid1(VALU_DEP_3)
	v_cmp_lt_u32_e64 s1, 31, v18
	v_dual_mov_b32 v12, v22 :: v_dual_cndmask_b32 v19, v21, v19
	s_delay_alu instid0(VALU_DEP_1) | instskip(NEXT) | instid1(VALU_DEP_1)
	v_mad_u64_u32 v[22:23], null, 0xf534ddc0, v9, v[12:13]
	v_mov_b32_e32 v12, v23
	s_delay_alu instid0(VALU_DEP_1) | instskip(NEXT) | instid1(VALU_DEP_1)
	v_mad_u64_u32 v[23:24], null, 0xfc2757d1, v9, v[12:13]
	v_mov_b32_e32 v12, v24
	s_delay_alu instid0(VALU_DEP_1) | instskip(NEXT) | instid1(VALU_DEP_1)
	v_mad_u64_u32 v[24:25], null, 0x4e441529, v9, v[12:13]
	v_mov_b32_e32 v12, v25
	s_delay_alu instid0(VALU_DEP_1) | instskip(SKIP_1) | instid1(VALU_DEP_4)
	v_mad_u64_u32 v[25:26], null, 0xa2f9836e, v9, v[12:13]
	v_cndmask_b32_e64 v9, 0, 0xffffffe0, s1
	v_cndmask_b32_e32 v12, v24, v22, vcc_lo
	s_delay_alu instid0(VALU_DEP_2) | instskip(NEXT) | instid1(VALU_DEP_4)
	v_add_nc_u32_e32 v9, v9, v18
	v_dual_cndmask_b32 v25, v25, v23 :: v_dual_cndmask_b32 v24, v26, v24
	v_dual_cndmask_b32 v23, v23, v21 :: v_dual_cndmask_b32 v18, v22, v20
	s_delay_alu instid0(VALU_DEP_3) | instskip(NEXT) | instid1(VALU_DEP_3)
	v_cmp_eq_u32_e64 s2, 0, v9
	v_cndmask_b32_e64 v20, v25, v12, s0
	s_delay_alu instid0(VALU_DEP_4) | instskip(NEXT) | instid1(VALU_DEP_4)
	v_cndmask_b32_e64 v22, v24, v25, s0
	v_cndmask_b32_e64 v12, v12, v23, s0
	v_sub_nc_u32_e32 v24, 32, v9
	v_cndmask_b32_e64 v23, v23, v18, s0
	v_cndmask_b32_e64 v18, v18, v19, s0
	;; [unrolled: 1-line block ×4, first 2 shown]
	s_delay_alu instid0(VALU_DEP_4) | instskip(NEXT) | instid1(VALU_DEP_4)
	v_cndmask_b32_e64 v12, v12, v23, s1
	v_cndmask_b32_e64 v18, v23, v18, s1
	s_delay_alu instid0(VALU_DEP_3) | instskip(NEXT) | instid1(VALU_DEP_3)
	v_alignbit_b32 v25, v22, v20, v24
	v_alignbit_b32 v26, v20, v12, v24
	s_delay_alu instid0(VALU_DEP_3) | instskip(NEXT) | instid1(VALU_DEP_3)
	v_alignbit_b32 v24, v12, v18, v24
	v_cndmask_b32_e64 v9, v25, v22, s2
	s_delay_alu instid0(VALU_DEP_3) | instskip(NEXT) | instid1(VALU_DEP_3)
	v_cndmask_b32_e64 v20, v26, v20, s2
	v_cndmask_b32_e64 v12, v24, v12, s2
	s_delay_alu instid0(VALU_DEP_3) | instskip(NEXT) | instid1(VALU_DEP_3)
	v_bfe_u32 v21, v9, 29, 1
	v_alignbit_b32 v19, v9, v20, 30
	s_delay_alu instid0(VALU_DEP_3) | instskip(SKIP_1) | instid1(VALU_DEP_4)
	v_alignbit_b32 v20, v20, v12, 30
	v_alignbit_b32 v12, v12, v18, 30
	v_sub_nc_u32_e32 v22, 0, v21
	s_delay_alu instid0(VALU_DEP_1) | instskip(SKIP_3) | instid1(VALU_DEP_4)
	v_xor_b32_e32 v23, v19, v22
	v_cmp_ne_u32_e32 vcc_lo, v19, v22
	v_xor_b32_e32 v18, v20, v22
	v_xor_b32_e32 v12, v12, v22
	v_clz_i32_u32_e32 v25, v23
	s_delay_alu instid0(VALU_DEP_1) | instskip(NEXT) | instid1(VALU_DEP_1)
	v_add_nc_u32_e32 v24, 1, v25
	v_cndmask_b32_e32 v19, 33, v24, vcc_lo
	s_delay_alu instid0(VALU_DEP_1) | instskip(NEXT) | instid1(VALU_DEP_1)
	v_sub_nc_u32_e32 v20, 32, v19
	v_alignbit_b32 v22, v23, v18, v20
	v_alignbit_b32 v12, v18, v12, v20
	v_lshrrev_b32_e32 v18, 29, v9
	v_lshrrev_b32_e32 v9, 30, v9
	s_delay_alu instid0(VALU_DEP_3) | instskip(NEXT) | instid1(VALU_DEP_3)
	v_alignbit_b32 v20, v22, v12, 9
	v_lshlrev_b32_e32 v18, 31, v18
	v_alignbit_b32 v22, v19, v22, 9
	s_delay_alu instid0(VALU_DEP_3) | instskip(NEXT) | instid1(VALU_DEP_2)
	v_clz_i32_u32_e32 v23, v20
	v_or_b32_e32 v22, v22, v18
	v_or_b32_e32 v18, 0x33800000, v18
	s_delay_alu instid0(VALU_DEP_3) | instskip(NEXT) | instid1(VALU_DEP_3)
	v_min_u32_e32 v23, 32, v23
	v_xor_b32_e32 v22, 1.0, v22
	s_delay_alu instid0(VALU_DEP_2) | instskip(SKIP_1) | instid1(VALU_DEP_3)
	v_sub_nc_u32_e32 v24, 31, v23
	v_add_lshl_u32 v19, v23, v19, 23
	v_mul_f32_e32 v23, 0x3fc90fda, v22
	s_delay_alu instid0(VALU_DEP_3) | instskip(NEXT) | instid1(VALU_DEP_3)
	v_alignbit_b32 v12, v20, v12, v24
	v_sub_nc_u32_e32 v18, v18, v19
	s_delay_alu instid0(VALU_DEP_3) | instskip(NEXT) | instid1(VALU_DEP_3)
	v_fma_f32 v19, 0x3fc90fda, v22, -v23
	v_lshrrev_b32_e32 v12, 9, v12
	s_delay_alu instid0(VALU_DEP_2) | instskip(NEXT) | instid1(VALU_DEP_2)
	v_fmac_f32_e32 v19, 0x33a22168, v22
	v_or_b32_e32 v12, v18, v12
	s_delay_alu instid0(VALU_DEP_1) | instskip(NEXT) | instid1(VALU_DEP_1)
	v_fmac_f32_e32 v19, 0x3fc90fda, v12
	v_dual_add_f32 v12, v23, v19 :: v_dual_add_nc_u32 v19, v21, v9
	s_and_not1_saveexec_b32 s0, s17
	s_cbranch_execnz .LBB163_272
	s_branch .LBB163_273
.LBB163_271:                            ;   in Loop: Header=BB163_180 Depth=1
	s_and_not1_saveexec_b32 s0, s17
.LBB163_272:                            ;   in Loop: Header=BB163_180 Depth=1
	v_mul_f32_e64 v9, 0x3f22f983, |v1|
	s_delay_alu instid0(VALU_DEP_1) | instskip(NEXT) | instid1(VALU_DEP_1)
	v_rndne_f32_e32 v9, v9
	v_fma_f32 v12, 0xbfc90fda, v9, |v1|
	v_cvt_i32_f32_e32 v19, v9
	s_delay_alu instid0(VALU_DEP_2) | instskip(NEXT) | instid1(VALU_DEP_1)
	v_fmac_f32_e32 v12, 0xb3a22168, v9
	v_fmac_f32_e32 v12, 0xa7c234c4, v9
.LBB163_273:                            ;   in Loop: Header=BB163_180 Depth=1
	s_or_b32 exec_lo, exec_lo, s0
	v_dual_mul_f32 v9, v8, v8 :: v_dual_and_b32 v18, 1, v11
	v_lshlrev_b32_e32 v11, 30, v11
	v_mul_f32_e64 v20, 0xbfb8aa3b, |v0|
	s_delay_alu instid0(VALU_DEP_3) | instskip(NEXT) | instid1(VALU_DEP_4)
	v_dual_fmaak_f32 v22, s13, v9, 0xbab64f3b :: v_dual_mul_f32 v23, v12, v12
	v_cmp_eq_u32_e32 vcc_lo, 0, v18
	s_delay_alu instid0(VALU_DEP_3) | instskip(SKIP_1) | instid1(VALU_DEP_4)
	v_rndne_f32_e32 v24, v20
	v_fma_f32 v25, 0xbfb8aa3b, |v0|, -v20
	v_fmaak_f32 v22, v9, v22, 0x3d2aabf7
	v_dual_fmaak_f32 v21, s12, v9, 0x3c0881c4 :: v_dual_fmaak_f32 v26, s12, v23, 0x3c0881c4
	v_and_b32_e32 v18, 1, v19
	s_delay_alu instid0(VALU_DEP_4) | instskip(NEXT) | instid1(VALU_DEP_3)
	v_fma_f32 v25, 0xb2a5705f, |v0|, v25
	v_dual_sub_f32 v20, v20, v24 :: v_dual_fmaak_f32 v21, v9, v21, 0xbe2aaa9d
	v_fmaak_f32 v27, s13, v23, 0xbab64f3b
	v_fmaak_f32 v26, v23, v26, 0xbe2aaa9d
	s_delay_alu instid0(VALU_DEP_3) | instskip(NEXT) | instid1(VALU_DEP_4)
	v_dual_add_f32 v20, v20, v25 :: v_dual_and_b32 v11, 0x80000000, v11
	v_mul_f32_e32 v21, v9, v21
	v_lshlrev_b32_e32 v19, 30, v19
	s_delay_alu instid0(VALU_DEP_3) | instskip(NEXT) | instid1(VALU_DEP_4)
	v_xor_b32_e32 v10, v10, v11
	v_exp_f32_e32 v20, v20
	s_delay_alu instid0(VALU_DEP_3) | instskip(SKIP_2) | instid1(VALU_DEP_2)
	v_dual_fmac_f32 v8, v8, v21 :: v_dual_fmaak_f32 v21, v23, v27, 0x3d2aabf7
	v_fmaak_f32 v22, v9, v22, 0xbf000004
	v_cvt_i32_f32_e32 v11, v24
	v_fma_f32 v9, v9, v22, 1.0
	v_mul_f32_e32 v22, v23, v26
	s_delay_alu instid0(VALU_DEP_2) | instskip(NEXT) | instid1(VALU_DEP_2)
	v_dual_cndmask_b32 v8, v9, v8 :: v_dual_fmaak_f32 v9, v23, v21, 0xbf000004
	v_fmac_f32_e32 v12, v12, v22
	v_cmp_eq_u32_e32 vcc_lo, 0, v18
	s_delay_alu instid0(VALU_DEP_3) | instskip(NEXT) | instid1(VALU_DEP_4)
	v_xor3_b32 v8, v10, v8, v1
	v_fma_f32 v9, v23, v9, 1.0
	v_ldexp_f32 v10, v20, v11
	v_and_b32_e32 v11, 0x80000000, v19
	s_delay_alu instid0(VALU_DEP_3) | instskip(SKIP_1) | instid1(VALU_DEP_2)
	v_cndmask_b32_e64 v9, -v12, v9, vcc_lo
	v_cmp_nlt_f32_e64 vcc_lo, 0x42ce8ed0, |v0|
	v_xor_b32_e32 v9, v11, v9
	v_cndmask_b32_e32 v10, 0, v10, vcc_lo
	v_cmp_ngt_f32_e64 vcc_lo, 0xc2b17218, |v0|
	s_delay_alu instid0(VALU_DEP_2) | instskip(SKIP_1) | instid1(VALU_DEP_1)
	v_cndmask_b32_e32 v10, 0x7f800000, v10, vcc_lo
	v_mul_f32_e32 v8, 4.0, v8
	v_mul_f32_e32 v8, v8, v9
	s_delay_alu instid0(VALU_DEP_1) | instskip(SKIP_1) | instid1(VALU_DEP_2)
	v_mul_f32_e32 v9, v10, v8
	v_bfi_b32 v8, 0x7fffffff, 1.0, v0
	v_mul_f32_e32 v9, v10, v9
.LBB163_274:                            ;   in Loop: Header=BB163_180 Depth=1
	s_or_b32 exec_lo, exec_lo, s16
.LBB163_275:                            ;   in Loop: Header=BB163_180 Depth=1
	s_and_not1_saveexec_b32 s0, s15
; %bb.276:                              ;   in Loop: Header=BB163_180 Depth=1
	v_sub_f32_e32 v9, v1, v1
	s_delay_alu instid0(VALU_DEP_1)
	v_mov_b32_e32 v8, v9
; %bb.277:                              ;   in Loop: Header=BB163_180 Depth=1
	s_or_b32 exec_lo, exec_lo, s0
.LBB163_278:                            ;   in Loop: Header=BB163_180 Depth=1
	s_and_not1_saveexec_b32 s14, s14
	s_cbranch_execz .LBB163_294
; %bb.279:                              ;   in Loop: Header=BB163_180 Depth=1
	v_and_b32_e32 v8, 0x7fffff, v0
	s_mov_b32 s0, exec_lo
                                        ; implicit-def: $vgpr9
	s_delay_alu instid0(VALU_DEP_1)
	v_cmpx_ne_u32_e32 0, v8
	s_xor_b32 s0, exec_lo, s0
; %bb.280:                              ;   in Loop: Header=BB163_180 Depth=1
	v_mul_f32_e32 v8, v0, v1
	v_cmp_eq_f32_e32 vcc_lo, 0, v1
	s_delay_alu instid0(VALU_DEP_2)
	v_cndmask_b32_e32 v9, v8, v1, vcc_lo
; %bb.281:                              ;   in Loop: Header=BB163_180 Depth=1
	s_and_not1_saveexec_b32 s15, s0
	s_cbranch_execz .LBB163_293
; %bb.282:                              ;   in Loop: Header=BB163_180 Depth=1
	s_mov_b32 s16, exec_lo
	v_cmpx_neq_f32_e64 0x7f800000, |v1|
	s_cbranch_execz .LBB163_292
; %bb.283:                              ;   in Loop: Header=BB163_180 Depth=1
	v_and_b32_e32 v8, 0x7fffffff, v1
	v_cmp_ngt_f32_e64 s17, 0x48000000, |v1|
                                        ; implicit-def: $vgpr10
	s_delay_alu instid0(VALU_DEP_2) | instskip(SKIP_1) | instid1(VALU_DEP_2)
	v_lshrrev_b32_e32 v9, 23, v8
	v_and_or_b32 v11, v8, s4, 0x800000
	v_add_nc_u32_e32 v18, 0xffffff88, v9
                                        ; implicit-def: $vgpr9
	s_delay_alu instid0(VALU_DEP_4) | instskip(NEXT) | instid1(SALU_CYCLE_1)
	s_and_saveexec_b32 s0, s17
	s_xor_b32 s18, exec_lo, s0
	s_cbranch_execz .LBB163_285
; %bb.284:                              ;   in Loop: Header=BB163_180 Depth=1
	v_mad_u64_u32 v[9:10], null, 0xfe5163ab, v11, 0
	v_cmp_lt_u32_e32 vcc_lo, 63, v18
	s_delay_alu instid0(VALU_DEP_2) | instskip(SKIP_1) | instid1(VALU_DEP_2)
	v_mov_b32_e32 v12, v10
	v_cndmask_b32_e64 v10, 0, 0xffffffc0, vcc_lo
	v_mad_u64_u32 v[19:20], null, 0x3c439041, v11, v[12:13]
	s_delay_alu instid0(VALU_DEP_2) | instskip(NEXT) | instid1(VALU_DEP_1)
	v_add_nc_u32_e32 v10, v10, v18
	v_cmp_lt_u32_e64 s0, 31, v10
	s_delay_alu instid0(VALU_DEP_3) | instskip(NEXT) | instid1(VALU_DEP_2)
	v_mov_b32_e32 v12, v20
	v_cndmask_b32_e64 v25, 0, 0xffffffe0, s0
	s_delay_alu instid0(VALU_DEP_2) | instskip(NEXT) | instid1(VALU_DEP_2)
	v_mad_u64_u32 v[20:21], null, 0xdb629599, v11, v[12:13]
	v_add_nc_u32_e32 v10, v25, v10
	s_delay_alu instid0(VALU_DEP_2) | instskip(NEXT) | instid1(VALU_DEP_2)
	v_dual_mov_b32 v12, v21 :: v_dual_cndmask_b32 v9, v20, v9
	v_cmp_lt_u32_e64 s1, 31, v10
	s_delay_alu instid0(VALU_DEP_2) | instskip(NEXT) | instid1(VALU_DEP_1)
	v_mad_u64_u32 v[21:22], null, 0xf534ddc0, v11, v[12:13]
	v_mov_b32_e32 v12, v22
	s_delay_alu instid0(VALU_DEP_1) | instskip(NEXT) | instid1(VALU_DEP_1)
	v_mad_u64_u32 v[22:23], null, 0xfc2757d1, v11, v[12:13]
	v_mov_b32_e32 v12, v23
	s_delay_alu instid0(VALU_DEP_1) | instskip(NEXT) | instid1(VALU_DEP_1)
	v_mad_u64_u32 v[23:24], null, 0x4e441529, v11, v[12:13]
	v_mov_b32_e32 v12, v24
	s_delay_alu instid0(VALU_DEP_2) | instskip(NEXT) | instid1(VALU_DEP_2)
	v_cndmask_b32_e32 v26, v23, v21, vcc_lo
	v_mad_u64_u32 v[24:25], null, 0xa2f9836e, v11, v[12:13]
	v_cndmask_b32_e64 v12, 0, 0xffffffe0, s1
	s_delay_alu instid0(VALU_DEP_1) | instskip(NEXT) | instid1(VALU_DEP_3)
	v_add_nc_u32_e32 v10, v12, v10
	v_dual_cndmask_b32 v24, v24, v22 :: v_dual_cndmask_b32 v23, v25, v23
	v_cndmask_b32_e32 v22, v22, v20, vcc_lo
	v_cndmask_b32_e32 v12, v21, v19, vcc_lo
	s_delay_alu instid0(VALU_DEP_4) | instskip(NEXT) | instid1(VALU_DEP_4)
	v_cmp_eq_u32_e64 s2, 0, v10
	v_cndmask_b32_e64 v19, v24, v26, s0
	v_cndmask_b32_e64 v21, v23, v24, s0
	v_cndmask_b32_e64 v23, v26, v22, s0
	v_sub_nc_u32_e32 v24, 32, v10
	v_cndmask_b32_e64 v22, v22, v12, s0
	v_cndmask_b32_e64 v9, v12, v9, s0
	;; [unrolled: 1-line block ×4, first 2 shown]
	s_delay_alu instid0(VALU_DEP_4) | instskip(NEXT) | instid1(VALU_DEP_4)
	v_cndmask_b32_e64 v23, v23, v22, s1
	v_cndmask_b32_e64 v9, v22, v9, s1
	s_delay_alu instid0(VALU_DEP_3) | instskip(NEXT) | instid1(VALU_DEP_3)
	v_alignbit_b32 v25, v21, v19, v24
	v_alignbit_b32 v26, v19, v23, v24
	s_delay_alu instid0(VALU_DEP_3) | instskip(NEXT) | instid1(VALU_DEP_3)
	v_alignbit_b32 v24, v23, v9, v24
	v_cndmask_b32_e64 v10, v25, v21, s2
	s_delay_alu instid0(VALU_DEP_3) | instskip(NEXT) | instid1(VALU_DEP_3)
	v_cndmask_b32_e64 v19, v26, v19, s2
	v_cndmask_b32_e64 v23, v24, v23, s2
	s_delay_alu instid0(VALU_DEP_3) | instskip(NEXT) | instid1(VALU_DEP_3)
	v_bfe_u32 v20, v10, 29, 1
	v_alignbit_b32 v12, v10, v19, 30
	s_delay_alu instid0(VALU_DEP_3) | instskip(SKIP_1) | instid1(VALU_DEP_4)
	v_alignbit_b32 v19, v19, v23, 30
	v_alignbit_b32 v9, v23, v9, 30
	v_sub_nc_u32_e32 v21, 0, v20
	s_delay_alu instid0(VALU_DEP_1) | instskip(SKIP_3) | instid1(VALU_DEP_4)
	v_xor_b32_e32 v22, v12, v21
	v_cmp_ne_u32_e32 vcc_lo, v12, v21
	v_xor_b32_e32 v19, v19, v21
	v_xor_b32_e32 v9, v9, v21
	v_clz_i32_u32_e32 v25, v22
	s_delay_alu instid0(VALU_DEP_1) | instskip(NEXT) | instid1(VALU_DEP_1)
	v_add_nc_u32_e32 v24, 1, v25
	v_cndmask_b32_e32 v12, 33, v24, vcc_lo
	s_delay_alu instid0(VALU_DEP_1) | instskip(NEXT) | instid1(VALU_DEP_1)
	v_sub_nc_u32_e32 v23, 32, v12
	v_alignbit_b32 v21, v22, v19, v23
	v_alignbit_b32 v9, v19, v9, v23
	v_lshrrev_b32_e32 v19, 29, v10
	v_lshrrev_b32_e32 v10, 30, v10
	s_delay_alu instid0(VALU_DEP_3) | instskip(NEXT) | instid1(VALU_DEP_3)
	v_alignbit_b32 v22, v21, v9, 9
	v_lshlrev_b32_e32 v19, 31, v19
	v_alignbit_b32 v21, v12, v21, 9
	s_delay_alu instid0(VALU_DEP_4) | instskip(NEXT) | instid1(VALU_DEP_4)
	v_add_nc_u32_e32 v10, v20, v10
	v_clz_i32_u32_e32 v23, v22
	s_delay_alu instid0(VALU_DEP_3) | instskip(SKIP_1) | instid1(VALU_DEP_3)
	v_or_b32_e32 v21, v21, v19
	v_or_b32_e32 v19, 0x33800000, v19
	v_min_u32_e32 v23, 32, v23
	s_delay_alu instid0(VALU_DEP_3) | instskip(NEXT) | instid1(VALU_DEP_2)
	v_xor_b32_e32 v21, 1.0, v21
	v_sub_nc_u32_e32 v24, 31, v23
	v_add_lshl_u32 v12, v23, v12, 23
	s_delay_alu instid0(VALU_DEP_3) | instskip(NEXT) | instid1(VALU_DEP_3)
	v_mul_f32_e32 v23, 0x3fc90fda, v21
	v_alignbit_b32 v9, v22, v9, v24
	s_delay_alu instid0(VALU_DEP_3) | instskip(NEXT) | instid1(VALU_DEP_3)
	v_sub_nc_u32_e32 v12, v19, v12
	v_fma_f32 v19, 0x3fc90fda, v21, -v23
	s_delay_alu instid0(VALU_DEP_3) | instskip(NEXT) | instid1(VALU_DEP_2)
	v_lshrrev_b32_e32 v9, 9, v9
	v_fmac_f32_e32 v19, 0x33a22168, v21
	s_delay_alu instid0(VALU_DEP_2) | instskip(NEXT) | instid1(VALU_DEP_1)
	v_or_b32_e32 v9, v12, v9
	v_fmac_f32_e32 v19, 0x3fc90fda, v9
	s_delay_alu instid0(VALU_DEP_1)
	v_add_f32_e32 v9, v23, v19
.LBB163_285:                            ;   in Loop: Header=BB163_180 Depth=1
	s_or_saveexec_b32 s0, s18
	v_mul_f32_e64 v12, 0x3f22f983, |v1|
	s_delay_alu instid0(VALU_DEP_1)
	v_rndne_f32_e32 v20, v12
	s_xor_b32 exec_lo, exec_lo, s0
; %bb.286:                              ;   in Loop: Header=BB163_180 Depth=1
	s_delay_alu instid0(VALU_DEP_1) | instskip(SKIP_1) | instid1(VALU_DEP_2)
	v_fma_f32 v9, 0xbfc90fda, v20, |v1|
	v_cvt_i32_f32_e32 v10, v20
	v_fmac_f32_e32 v9, 0xb3a22168, v20
	s_delay_alu instid0(VALU_DEP_1)
	v_fmac_f32_e32 v9, 0xa7c234c4, v20
; %bb.287:                              ;   in Loop: Header=BB163_180 Depth=1
	s_or_b32 exec_lo, exec_lo, s0
                                        ; implicit-def: $vgpr19
                                        ; implicit-def: $vgpr12
	s_and_saveexec_b32 s0, s17
	s_delay_alu instid0(SALU_CYCLE_1)
	s_xor_b32 s17, exec_lo, s0
	s_cbranch_execz .LBB163_289
; %bb.288:                              ;   in Loop: Header=BB163_180 Depth=1
	v_mad_u64_u32 v[19:20], null, 0xfe5163ab, v11, 0
	v_cmp_lt_u32_e32 vcc_lo, 63, v18
	v_cndmask_b32_e64 v25, 0, 0xffffffc0, vcc_lo
	s_delay_alu instid0(VALU_DEP_3) | instskip(NEXT) | instid1(VALU_DEP_2)
	v_mov_b32_e32 v12, v20
	v_add_nc_u32_e32 v18, v25, v18
	s_delay_alu instid0(VALU_DEP_2) | instskip(NEXT) | instid1(VALU_DEP_2)
	v_mad_u64_u32 v[20:21], null, 0x3c439041, v11, v[12:13]
	v_cmp_lt_u32_e64 s0, 31, v18
	s_delay_alu instid0(VALU_DEP_2) | instskip(NEXT) | instid1(VALU_DEP_2)
	v_mov_b32_e32 v12, v21
	v_cndmask_b32_e64 v26, 0, 0xffffffe0, s0
	s_delay_alu instid0(VALU_DEP_2) | instskip(NEXT) | instid1(VALU_DEP_2)
	v_mad_u64_u32 v[21:22], null, 0xdb629599, v11, v[12:13]
	v_add_nc_u32_e32 v18, v26, v18
	s_delay_alu instid0(VALU_DEP_1) | instskip(NEXT) | instid1(VALU_DEP_3)
	v_cmp_lt_u32_e64 s1, 31, v18
	v_dual_mov_b32 v12, v22 :: v_dual_cndmask_b32 v19, v21, v19
	s_delay_alu instid0(VALU_DEP_1) | instskip(NEXT) | instid1(VALU_DEP_1)
	v_mad_u64_u32 v[22:23], null, 0xf534ddc0, v11, v[12:13]
	v_mov_b32_e32 v12, v23
	s_delay_alu instid0(VALU_DEP_1) | instskip(NEXT) | instid1(VALU_DEP_1)
	v_mad_u64_u32 v[23:24], null, 0xfc2757d1, v11, v[12:13]
	v_mov_b32_e32 v12, v24
	s_delay_alu instid0(VALU_DEP_1) | instskip(NEXT) | instid1(VALU_DEP_1)
	v_mad_u64_u32 v[24:25], null, 0x4e441529, v11, v[12:13]
	v_mov_b32_e32 v12, v25
	s_delay_alu instid0(VALU_DEP_1) | instskip(SKIP_1) | instid1(VALU_DEP_4)
	v_mad_u64_u32 v[25:26], null, 0xa2f9836e, v11, v[12:13]
	v_cndmask_b32_e64 v11, 0, 0xffffffe0, s1
	v_cndmask_b32_e32 v12, v24, v22, vcc_lo
	s_delay_alu instid0(VALU_DEP_2) | instskip(NEXT) | instid1(VALU_DEP_4)
	v_add_nc_u32_e32 v11, v11, v18
	v_dual_cndmask_b32 v25, v25, v23 :: v_dual_cndmask_b32 v24, v26, v24
	v_dual_cndmask_b32 v23, v23, v21 :: v_dual_cndmask_b32 v18, v22, v20
	s_delay_alu instid0(VALU_DEP_3) | instskip(NEXT) | instid1(VALU_DEP_3)
	v_cmp_eq_u32_e64 s2, 0, v11
	v_cndmask_b32_e64 v20, v25, v12, s0
	s_delay_alu instid0(VALU_DEP_4) | instskip(NEXT) | instid1(VALU_DEP_4)
	v_cndmask_b32_e64 v22, v24, v25, s0
	v_cndmask_b32_e64 v12, v12, v23, s0
	v_sub_nc_u32_e32 v24, 32, v11
	v_cndmask_b32_e64 v23, v23, v18, s0
	v_cndmask_b32_e64 v18, v18, v19, s0
	;; [unrolled: 1-line block ×4, first 2 shown]
	s_delay_alu instid0(VALU_DEP_4) | instskip(NEXT) | instid1(VALU_DEP_4)
	v_cndmask_b32_e64 v12, v12, v23, s1
	v_cndmask_b32_e64 v18, v23, v18, s1
	s_delay_alu instid0(VALU_DEP_3) | instskip(NEXT) | instid1(VALU_DEP_3)
	v_alignbit_b32 v25, v22, v20, v24
	v_alignbit_b32 v26, v20, v12, v24
	s_delay_alu instid0(VALU_DEP_3) | instskip(NEXT) | instid1(VALU_DEP_3)
	v_alignbit_b32 v24, v12, v18, v24
	v_cndmask_b32_e64 v11, v25, v22, s2
	s_delay_alu instid0(VALU_DEP_3) | instskip(NEXT) | instid1(VALU_DEP_3)
	v_cndmask_b32_e64 v20, v26, v20, s2
	v_cndmask_b32_e64 v12, v24, v12, s2
	s_delay_alu instid0(VALU_DEP_3) | instskip(NEXT) | instid1(VALU_DEP_3)
	v_bfe_u32 v21, v11, 29, 1
	v_alignbit_b32 v19, v11, v20, 30
	s_delay_alu instid0(VALU_DEP_3) | instskip(SKIP_1) | instid1(VALU_DEP_4)
	v_alignbit_b32 v20, v20, v12, 30
	v_alignbit_b32 v12, v12, v18, 30
	v_sub_nc_u32_e32 v22, 0, v21
	s_delay_alu instid0(VALU_DEP_1) | instskip(SKIP_3) | instid1(VALU_DEP_4)
	v_xor_b32_e32 v23, v19, v22
	v_cmp_ne_u32_e32 vcc_lo, v19, v22
	v_xor_b32_e32 v18, v20, v22
	v_xor_b32_e32 v12, v12, v22
	v_clz_i32_u32_e32 v25, v23
	s_delay_alu instid0(VALU_DEP_1) | instskip(NEXT) | instid1(VALU_DEP_1)
	v_add_nc_u32_e32 v24, 1, v25
	v_cndmask_b32_e32 v19, 33, v24, vcc_lo
	s_delay_alu instid0(VALU_DEP_1) | instskip(NEXT) | instid1(VALU_DEP_1)
	v_sub_nc_u32_e32 v20, 32, v19
	v_alignbit_b32 v22, v23, v18, v20
	v_alignbit_b32 v12, v18, v12, v20
	v_lshrrev_b32_e32 v18, 29, v11
	v_lshrrev_b32_e32 v11, 30, v11
	s_delay_alu instid0(VALU_DEP_3) | instskip(NEXT) | instid1(VALU_DEP_3)
	v_alignbit_b32 v20, v22, v12, 9
	v_lshlrev_b32_e32 v18, 31, v18
	v_alignbit_b32 v22, v19, v22, 9
	s_delay_alu instid0(VALU_DEP_3) | instskip(NEXT) | instid1(VALU_DEP_2)
	v_clz_i32_u32_e32 v23, v20
	v_or_b32_e32 v22, v22, v18
	v_or_b32_e32 v18, 0x33800000, v18
	s_delay_alu instid0(VALU_DEP_3) | instskip(NEXT) | instid1(VALU_DEP_3)
	v_min_u32_e32 v23, 32, v23
	v_xor_b32_e32 v22, 1.0, v22
	s_delay_alu instid0(VALU_DEP_2) | instskip(SKIP_1) | instid1(VALU_DEP_3)
	v_sub_nc_u32_e32 v24, 31, v23
	v_add_lshl_u32 v19, v23, v19, 23
	v_mul_f32_e32 v23, 0x3fc90fda, v22
	s_delay_alu instid0(VALU_DEP_3) | instskip(NEXT) | instid1(VALU_DEP_3)
	v_alignbit_b32 v12, v20, v12, v24
	v_sub_nc_u32_e32 v18, v18, v19
	s_delay_alu instid0(VALU_DEP_3) | instskip(NEXT) | instid1(VALU_DEP_3)
	v_fma_f32 v19, 0x3fc90fda, v22, -v23
                                        ; implicit-def: $vgpr20
	v_lshrrev_b32_e32 v12, 9, v12
	s_delay_alu instid0(VALU_DEP_2) | instskip(NEXT) | instid1(VALU_DEP_2)
	v_fmac_f32_e32 v19, 0x33a22168, v22
	v_or_b32_e32 v12, v18, v12
	s_delay_alu instid0(VALU_DEP_1) | instskip(NEXT) | instid1(VALU_DEP_1)
	v_fmac_f32_e32 v19, 0x3fc90fda, v12
	v_add_f32_e32 v12, v23, v19
	v_add_nc_u32_e32 v19, v21, v11
	s_and_not1_saveexec_b32 s0, s17
	s_cbranch_execnz .LBB163_290
	s_branch .LBB163_291
.LBB163_289:                            ;   in Loop: Header=BB163_180 Depth=1
	s_and_not1_saveexec_b32 s0, s17
.LBB163_290:                            ;   in Loop: Header=BB163_180 Depth=1
	v_fma_f32 v12, 0xbfc90fda, v20, |v1|
	v_cvt_i32_f32_e32 v19, v20
	s_delay_alu instid0(VALU_DEP_2) | instskip(NEXT) | instid1(VALU_DEP_1)
	v_fmac_f32_e32 v12, 0xb3a22168, v20
	v_fmac_f32_e32 v12, 0xa7c234c4, v20
.LBB163_291:                            ;   in Loop: Header=BB163_180 Depth=1
	s_or_b32 exec_lo, exec_lo, s0
	v_dual_mul_f32 v11, v9, v9 :: v_dual_and_b32 v18, 1, v10
	s_delay_alu instid0(VALU_DEP_1) | instskip(NEXT) | instid1(VALU_DEP_1)
	v_dual_mul_f32 v20, v12, v12 :: v_dual_fmaak_f32 v21, s12, v11, 0x3c0881c4
	v_dual_fmaak_f32 v24, s12, v20, 0x3c0881c4 :: v_dual_and_b32 v23, 1, v19
	v_dual_fmaak_f32 v25, s13, v20, 0xbab64f3b :: v_dual_lshlrev_b32 v10, 30, v10
	s_delay_alu instid0(VALU_DEP_3) | instskip(SKIP_1) | instid1(VALU_DEP_4)
	v_fmaak_f32 v21, v11, v21, 0xbe2aaa9d
	v_cmp_eq_u32_e32 vcc_lo, 0, v18
	v_fmaak_f32 v24, v20, v24, 0xbe2aaa9d
	v_fmaak_f32 v22, s13, v11, 0xbab64f3b
	;; [unrolled: 1-line block ×3, first 2 shown]
	v_mul_f32_e32 v21, v11, v21
	v_lshlrev_b32_e32 v19, 30, v19
	v_and_b32_e32 v10, 0x80000000, v10
	v_fmaak_f32 v22, v11, v22, 0x3d2aabf7
	v_fmaak_f32 v25, v20, v25, 0xbf000004
	v_fmac_f32_e32 v9, v9, v21
	s_delay_alu instid0(VALU_DEP_4) | instskip(NEXT) | instid1(VALU_DEP_4)
	v_xor_b32_e32 v8, v8, v10
	v_fmaak_f32 v22, v11, v22, 0xbf000004
	s_delay_alu instid0(VALU_DEP_4) | instskip(NEXT) | instid1(VALU_DEP_2)
	v_fma_f32 v10, v20, v25, 1.0
	v_fma_f32 v11, v11, v22, 1.0
	s_delay_alu instid0(VALU_DEP_1) | instskip(NEXT) | instid1(VALU_DEP_1)
	v_dual_mul_f32 v24, v20, v24 :: v_dual_cndmask_b32 v9, v11, v9
	v_dual_fmac_f32 v12, v12, v24 :: v_dual_and_b32 v11, 0x80000000, v19
	v_cmp_eq_u32_e32 vcc_lo, 0, v23
	s_delay_alu instid0(VALU_DEP_3) | instskip(NEXT) | instid1(VALU_DEP_3)
	v_xor3_b32 v8, v8, v9, v1
	v_cndmask_b32_e64 v10, -v12, v10, vcc_lo
	v_cmp_class_f32_e64 vcc_lo, v1, 0x1f8
	s_delay_alu instid0(VALU_DEP_2) | instskip(NEXT) | instid1(VALU_DEP_1)
	v_xor_b32_e32 v9, v11, v10
	v_mul_f32_e32 v8, v8, v9
	s_delay_alu instid0(VALU_DEP_1)
	v_cndmask_b32_e32 v1, 0x7fc00000, v8, vcc_lo
.LBB163_292:                            ;   in Loop: Header=BB163_180 Depth=1
	s_or_b32 exec_lo, exec_lo, s16
	v_add_nc_u32_e32 v0, -2.0, v0
	s_delay_alu instid0(VALU_DEP_2)
	v_bfi_b32 v9, 0x7fffffff, 0, v1
.LBB163_293:                            ;   in Loop: Header=BB163_180 Depth=1
	s_or_b32 exec_lo, exec_lo, s15
	s_delay_alu instid0(VALU_DEP_2)
	v_mov_b32_e32 v8, v0
.LBB163_294:                            ;   in Loop: Header=BB163_180 Depth=1
	s_or_b32 exec_lo, exec_lo, s14
	v_and_b32_e32 v1, 0x7fffffff, v2
	s_mov_b32 s0, exec_lo
	s_delay_alu instid0(VALU_DEP_1)
	v_cmpx_gt_u32_e32 0x7f800000, v1
	s_xor_b32 s14, exec_lo, s0
	s_cbranch_execz .LBB163_316
; %bb.295:                              ;   in Loop: Header=BB163_180 Depth=1
	v_cmp_class_f32_e64 s0, v3, 0x1f8
	s_delay_alu instid0(VALU_DEP_1) | instskip(NEXT) | instid1(SALU_CYCLE_1)
	s_and_saveexec_b32 s1, s0
	s_xor_b32 s15, exec_lo, s1
	s_cbranch_execz .LBB163_313
; %bb.296:                              ;   in Loop: Header=BB163_180 Depth=1
	v_and_b32_e32 v0, 0x7fffffff, v3
	s_mov_b32 s0, exec_lo
	v_cmpx_gt_u32_e32 0x41300000, v1
	s_xor_b32 s16, exec_lo, s0
	s_cbranch_execz .LBB163_302
; %bb.297:                              ;   in Loop: Header=BB163_180 Depth=1
                                        ; implicit-def: $vgpr1
                                        ; implicit-def: $vgpr10
	s_mov_b32 s1, exec_lo
	v_cmpx_ngt_f32_e64 0x48000000, |v3|
	s_xor_b32 s17, exec_lo, s1
	s_cbranch_execz .LBB163_299
; %bb.298:                              ;   in Loop: Header=BB163_180 Depth=1
	v_and_or_b32 v1, v0, s4, 0x800000
	s_delay_alu instid0(VALU_DEP_1) | instskip(NEXT) | instid1(VALU_DEP_1)
	v_mad_u64_u32 v[10:11], null, 0xfe5163ab, v1, 0
	v_mov_b32_e32 v12, v11
	v_lshrrev_b32_e32 v11, 23, v0
	s_delay_alu instid0(VALU_DEP_1) | instskip(NEXT) | instid1(VALU_DEP_3)
	v_add_nc_u32_e32 v11, 0xffffff88, v11
	v_mad_u64_u32 v[18:19], null, 0x3c439041, v1, v[12:13]
	s_delay_alu instid0(VALU_DEP_2) | instskip(SKIP_1) | instid1(VALU_DEP_1)
	v_cmp_lt_u32_e32 vcc_lo, 63, v11
	v_cndmask_b32_e64 v23, 0, 0xffffffc0, vcc_lo
	v_add_nc_u32_e32 v11, v23, v11
	s_delay_alu instid0(VALU_DEP_1) | instskip(NEXT) | instid1(VALU_DEP_1)
	v_cmp_lt_u32_e64 s0, 31, v11
	v_cndmask_b32_e64 v24, 0, 0xffffffe0, s0
	s_delay_alu instid0(VALU_DEP_1) | instskip(NEXT) | instid1(VALU_DEP_1)
	v_dual_mov_b32 v12, v19 :: v_dual_add_nc_u32 v11, v24, v11
	v_mad_u64_u32 v[19:20], null, 0xdb629599, v1, v[12:13]
	s_delay_alu instid0(VALU_DEP_2) | instskip(NEXT) | instid1(VALU_DEP_2)
	v_cmp_lt_u32_e64 s1, 31, v11
	v_mov_b32_e32 v12, v20
	s_delay_alu instid0(VALU_DEP_3) | instskip(NEXT) | instid1(VALU_DEP_2)
	v_cndmask_b32_e32 v10, v19, v10, vcc_lo
	v_mad_u64_u32 v[20:21], null, 0xf534ddc0, v1, v[12:13]
	s_delay_alu instid0(VALU_DEP_1) | instskip(NEXT) | instid1(VALU_DEP_1)
	v_mov_b32_e32 v12, v21
	v_mad_u64_u32 v[21:22], null, 0xfc2757d1, v1, v[12:13]
	s_delay_alu instid0(VALU_DEP_1) | instskip(NEXT) | instid1(VALU_DEP_1)
	v_mov_b32_e32 v12, v22
	;; [unrolled: 3-line block ×3, first 2 shown]
	v_mad_u64_u32 v[23:24], null, 0xa2f9836e, v1, v[12:13]
	v_cndmask_b32_e64 v1, 0, 0xffffffe0, s1
	s_delay_alu instid0(VALU_DEP_1) | instskip(NEXT) | instid1(VALU_DEP_3)
	v_dual_cndmask_b32 v12, v22, v20 :: v_dual_add_nc_u32 v1, v1, v11
	v_dual_cndmask_b32 v23, v23, v21 :: v_dual_cndmask_b32 v22, v24, v22
	v_cndmask_b32_e32 v21, v21, v19, vcc_lo
	v_cndmask_b32_e32 v11, v20, v18, vcc_lo
	s_delay_alu instid0(VALU_DEP_4) | instskip(NEXT) | instid1(VALU_DEP_4)
	v_cmp_eq_u32_e64 s2, 0, v1
	v_cndmask_b32_e64 v18, v23, v12, s0
	v_cndmask_b32_e64 v20, v22, v23, s0
	v_cndmask_b32_e64 v12, v12, v21, s0
	v_sub_nc_u32_e32 v22, 32, v1
	v_cndmask_b32_e64 v21, v21, v11, s0
	v_cndmask_b32_e64 v10, v11, v10, s0
	;; [unrolled: 1-line block ×4, first 2 shown]
	s_delay_alu instid0(VALU_DEP_4) | instskip(NEXT) | instid1(VALU_DEP_4)
	v_cndmask_b32_e64 v12, v12, v21, s1
	v_cndmask_b32_e64 v10, v21, v10, s1
	s_delay_alu instid0(VALU_DEP_3) | instskip(NEXT) | instid1(VALU_DEP_3)
	v_alignbit_b32 v23, v20, v18, v22
	v_alignbit_b32 v24, v18, v12, v22
	s_delay_alu instid0(VALU_DEP_3) | instskip(NEXT) | instid1(VALU_DEP_3)
	v_alignbit_b32 v22, v12, v10, v22
	v_cndmask_b32_e64 v1, v23, v20, s2
	s_delay_alu instid0(VALU_DEP_3) | instskip(NEXT) | instid1(VALU_DEP_3)
	v_cndmask_b32_e64 v18, v24, v18, s2
	v_cndmask_b32_e64 v12, v22, v12, s2
	s_delay_alu instid0(VALU_DEP_3) | instskip(NEXT) | instid1(VALU_DEP_3)
	v_bfe_u32 v19, v1, 29, 1
	v_alignbit_b32 v11, v1, v18, 30
	s_delay_alu instid0(VALU_DEP_3) | instskip(SKIP_1) | instid1(VALU_DEP_4)
	v_alignbit_b32 v18, v18, v12, 30
	v_alignbit_b32 v10, v12, v10, 30
	v_sub_nc_u32_e32 v20, 0, v19
	s_delay_alu instid0(VALU_DEP_1) | instskip(SKIP_3) | instid1(VALU_DEP_4)
	v_xor_b32_e32 v21, v11, v20
	v_cmp_ne_u32_e32 vcc_lo, v11, v20
	v_xor_b32_e32 v12, v18, v20
	v_xor_b32_e32 v10, v10, v20
	v_clz_i32_u32_e32 v23, v21
	s_delay_alu instid0(VALU_DEP_1) | instskip(NEXT) | instid1(VALU_DEP_1)
	v_add_nc_u32_e32 v22, 1, v23
	v_cndmask_b32_e32 v11, 33, v22, vcc_lo
	s_delay_alu instid0(VALU_DEP_1) | instskip(NEXT) | instid1(VALU_DEP_1)
	v_sub_nc_u32_e32 v18, 32, v11
	v_alignbit_b32 v20, v21, v12, v18
	v_alignbit_b32 v10, v12, v10, v18
	v_lshrrev_b32_e32 v12, 29, v1
	v_lshrrev_b32_e32 v1, 30, v1
	s_delay_alu instid0(VALU_DEP_3) | instskip(NEXT) | instid1(VALU_DEP_3)
	v_alignbit_b32 v18, v20, v10, 9
	v_lshlrev_b32_e32 v12, 31, v12
	v_alignbit_b32 v20, v11, v20, 9
	s_delay_alu instid0(VALU_DEP_4) | instskip(NEXT) | instid1(VALU_DEP_4)
	v_add_nc_u32_e32 v1, v19, v1
	v_clz_i32_u32_e32 v21, v18
	s_delay_alu instid0(VALU_DEP_3) | instskip(SKIP_1) | instid1(VALU_DEP_3)
	v_or_b32_e32 v20, v20, v12
	v_or_b32_e32 v12, 0x33800000, v12
	v_min_u32_e32 v21, 32, v21
	s_delay_alu instid0(VALU_DEP_3) | instskip(NEXT) | instid1(VALU_DEP_2)
	v_xor_b32_e32 v20, 1.0, v20
	v_sub_nc_u32_e32 v22, 31, v21
	v_add_lshl_u32 v11, v21, v11, 23
	s_delay_alu instid0(VALU_DEP_3) | instskip(NEXT) | instid1(VALU_DEP_3)
	v_mul_f32_e32 v21, 0x3fc90fda, v20
	v_alignbit_b32 v10, v18, v10, v22
	s_delay_alu instid0(VALU_DEP_3) | instskip(NEXT) | instid1(VALU_DEP_3)
	v_sub_nc_u32_e32 v11, v12, v11
	v_fma_f32 v12, 0x3fc90fda, v20, -v21
	s_delay_alu instid0(VALU_DEP_3) | instskip(NEXT) | instid1(VALU_DEP_2)
	v_lshrrev_b32_e32 v10, 9, v10
	v_fmac_f32_e32 v12, 0x33a22168, v20
	s_delay_alu instid0(VALU_DEP_2) | instskip(NEXT) | instid1(VALU_DEP_1)
	v_or_b32_e32 v10, v11, v10
	v_fmac_f32_e32 v12, 0x3fc90fda, v10
	s_delay_alu instid0(VALU_DEP_1)
	v_add_f32_e32 v10, v21, v12
.LBB163_299:                            ;   in Loop: Header=BB163_180 Depth=1
	s_and_not1_saveexec_b32 s0, s17
; %bb.300:                              ;   in Loop: Header=BB163_180 Depth=1
	v_mul_f32_e64 v1, 0x3f22f983, |v3|
	s_delay_alu instid0(VALU_DEP_1) | instskip(NEXT) | instid1(VALU_DEP_1)
	v_rndne_f32_e32 v1, v1
	v_fma_f32 v10, 0xbfc90fda, v1, |v3|
	s_delay_alu instid0(VALU_DEP_1) | instskip(NEXT) | instid1(VALU_DEP_1)
	v_fmac_f32_e32 v10, 0xb3a22168, v1
	v_fmac_f32_e32 v10, 0xa7c234c4, v1
	v_cvt_i32_f32_e32 v1, v1
; %bb.301:                              ;   in Loop: Header=BB163_180 Depth=1
	s_or_b32 exec_lo, exec_lo, s0
	v_add_f32_e64 v11, 0xbf317218, |v2|
	v_cmp_nlt_f32_e64 vcc_lo, 0x42b2d4fc, |v2|
	v_cmp_gt_f32_e64 s0, 0x39800000, |v2|
	v_and_b32_e32 v1, 1, v1
	s_delay_alu instid0(VALU_DEP_4) | instskip(NEXT) | instid1(VALU_DEP_1)
	v_sub_f32_e64 v12, v11, |v2|
	v_sub_f32_e32 v18, v12, v11
	v_add_f32_e32 v12, 0x3f317218, v12
	s_delay_alu instid0(VALU_DEP_2) | instskip(NEXT) | instid1(VALU_DEP_1)
	v_add_f32_e64 v18, |v2|, v18
	v_sub_f32_e32 v12, v18, v12
	s_delay_alu instid0(VALU_DEP_1) | instskip(NEXT) | instid1(VALU_DEP_1)
	v_add_f32_e32 v12, 0x3102e308, v12
	v_add_f32_e32 v18, v11, v12
	s_delay_alu instid0(VALU_DEP_1) | instskip(NEXT) | instid1(VALU_DEP_1)
	v_sub_f32_e32 v11, v11, v18
	v_add_f32_e32 v11, v12, v11
	v_mul_f32_e32 v19, 0x3fb8aa3b, v18
	s_delay_alu instid0(VALU_DEP_1) | instskip(NEXT) | instid1(VALU_DEP_1)
	v_rndne_f32_e32 v19, v19
	v_mul_f32_e32 v12, 0x35bfbc00, v19
	v_fmac_f32_e32 v18, 0xbf317200, v19
	s_delay_alu instid0(VALU_DEP_1) | instskip(NEXT) | instid1(VALU_DEP_1)
	v_add_f32_e32 v20, v11, v18
	v_sub_f32_e32 v21, v20, v12
	v_sub_f32_e32 v18, v18, v20
	s_delay_alu instid0(VALU_DEP_1) | instskip(NEXT) | instid1(VALU_DEP_1)
	v_dual_sub_f32 v20, v20, v21 :: v_dual_add_f32 v11, v11, v18
	v_sub_f32_e32 v12, v20, v12
	s_delay_alu instid0(VALU_DEP_1) | instskip(NEXT) | instid1(VALU_DEP_1)
	v_dual_add_f32 v11, v11, v12 :: v_dual_mul_f32 v12, 0x2ea39ef3, v19
	v_add_f32_e32 v18, v21, v11
	s_delay_alu instid0(VALU_DEP_1) | instskip(NEXT) | instid1(VALU_DEP_1)
	v_dual_sub_f32 v20, v18, v12 :: v_dual_sub_f32 v21, v21, v18
	v_dual_sub_f32 v18, v18, v20 :: v_dual_add_f32 v11, v11, v21
	s_delay_alu instid0(VALU_DEP_1) | instskip(NEXT) | instid1(VALU_DEP_1)
	v_sub_f32_e32 v12, v18, v12
	v_add_f32_e32 v11, v11, v12
	s_delay_alu instid0(VALU_DEP_1) | instskip(NEXT) | instid1(VALU_DEP_1)
	v_add_f32_e32 v12, v20, v11
	v_sub_f32_e32 v18, v20, v12
	s_delay_alu instid0(VALU_DEP_1) | instskip(SKIP_1) | instid1(VALU_DEP_2)
	v_dual_mul_f32 v20, v12, v12 :: v_dual_add_f32 v11, v11, v18
	v_fmaak_f32 v18, s9, v12, 0x3c091de6
	v_fma_f32 v21, v12, v12, -v20
	s_delay_alu instid0(VALU_DEP_3) | instskip(NEXT) | instid1(VALU_DEP_3)
	v_add_f32_e32 v22, v11, v11
	v_fmaak_f32 v18, v12, v18, 0x3d2aadcc
	s_delay_alu instid0(VALU_DEP_2) | instskip(NEXT) | instid1(VALU_DEP_2)
	v_fmac_f32_e32 v21, v12, v22
	v_fmaak_f32 v18, v12, v18, 0x3e2aaa47
	s_delay_alu instid0(VALU_DEP_2) | instskip(NEXT) | instid1(VALU_DEP_2)
	v_add_f32_e32 v22, v20, v21
	v_fmaak_f32 v18, v12, v18, 0x3efffffc
	s_delay_alu instid0(VALU_DEP_2) | instskip(NEXT) | instid1(VALU_DEP_1)
	v_sub_f32_e32 v20, v22, v20
	v_dual_mul_f32 v23, v18, v22 :: v_dual_sub_f32 v20, v21, v20
	s_delay_alu instid0(VALU_DEP_1) | instskip(NEXT) | instid1(VALU_DEP_1)
	v_fma_f32 v21, v22, v18, -v23
	v_fmac_f32_e32 v21, v20, v18
	s_delay_alu instid0(VALU_DEP_1) | instskip(NEXT) | instid1(VALU_DEP_1)
	v_add_f32_e32 v18, v23, v21
	v_add_f32_e32 v20, v12, v18
	v_sub_f32_e32 v22, v18, v23
	s_delay_alu instid0(VALU_DEP_1) | instskip(NEXT) | instid1(VALU_DEP_1)
	v_dual_sub_f32 v12, v20, v12 :: v_dual_sub_f32 v21, v21, v22
	v_dual_sub_f32 v12, v18, v12 :: v_dual_add_f32 v11, v11, v21
	s_delay_alu instid0(VALU_DEP_1) | instskip(NEXT) | instid1(VALU_DEP_1)
	v_add_f32_e32 v11, v11, v12
	v_add_f32_e32 v12, v20, v11
	s_delay_alu instid0(VALU_DEP_1) | instskip(NEXT) | instid1(VALU_DEP_1)
	v_add_f32_e32 v18, 1.0, v12
	v_dual_sub_f32 v20, v12, v20 :: v_dual_add_f32 v21, -1.0, v18
	s_delay_alu instid0(VALU_DEP_1) | instskip(NEXT) | instid1(VALU_DEP_1)
	v_dual_sub_f32 v11, v11, v20 :: v_dual_sub_f32 v12, v12, v21
	v_add_f32_e32 v11, v11, v12
	v_cvt_i32_f32_e32 v12, v19
	s_delay_alu instid0(VALU_DEP_2) | instskip(NEXT) | instid1(VALU_DEP_1)
	v_add_f32_e32 v19, v18, v11
	v_ldexp_f32 v20, v19, v12
	v_sub_f32_e32 v18, v19, v18
	s_delay_alu instid0(VALU_DEP_2) | instskip(NEXT) | instid1(VALU_DEP_1)
	v_rcp_f32_e32 v21, v20
	v_sub_f32_e32 v11, v11, v18
	s_delay_alu instid0(VALU_DEP_1) | instskip(SKIP_2) | instid1(VALU_DEP_1)
	v_ldexp_f32 v11, v11, v12
	s_waitcnt_depctr 0xfff
	v_mul_f32_e32 v18, v20, v21
	v_fma_f32 v12, v21, v20, -v18
	s_delay_alu instid0(VALU_DEP_1) | instskip(NEXT) | instid1(VALU_DEP_1)
	v_fmac_f32_e32 v12, v21, v11
	v_add_f32_e32 v19, v18, v12
	s_delay_alu instid0(VALU_DEP_1) | instskip(SKIP_1) | instid1(VALU_DEP_1)
	v_sub_f32_e32 v22, 1.0, v19
	v_sub_f32_e32 v18, v19, v18
	v_dual_sub_f32 v23, 1.0, v22 :: v_dual_sub_f32 v12, v18, v12
	s_delay_alu instid0(VALU_DEP_1) | instskip(NEXT) | instid1(VALU_DEP_1)
	v_sub_f32_e32 v18, v23, v19
	v_add_f32_e32 v12, v12, v18
	s_delay_alu instid0(VALU_DEP_1) | instskip(NEXT) | instid1(VALU_DEP_1)
	v_add_f32_e32 v18, v22, v12
	v_mul_f32_e32 v19, v21, v18
	s_delay_alu instid0(VALU_DEP_1) | instskip(NEXT) | instid1(VALU_DEP_1)
	v_dual_sub_f32 v22, v22, v18 :: v_dual_mul_f32 v23, v20, v19
	v_add_f32_e32 v12, v12, v22
	s_delay_alu instid0(VALU_DEP_2) | instskip(NEXT) | instid1(VALU_DEP_1)
	v_fma_f32 v24, v19, v20, -v23
	v_fmac_f32_e32 v24, v19, v11
	s_delay_alu instid0(VALU_DEP_1) | instskip(NEXT) | instid1(VALU_DEP_1)
	v_add_f32_e32 v25, v23, v24
	v_sub_f32_e32 v26, v18, v25
	v_sub_f32_e32 v22, v25, v23
	s_delay_alu instid0(VALU_DEP_2) | instskip(NEXT) | instid1(VALU_DEP_2)
	v_sub_f32_e32 v18, v18, v26
	v_sub_f32_e32 v22, v22, v24
	s_delay_alu instid0(VALU_DEP_2) | instskip(NEXT) | instid1(VALU_DEP_1)
	v_sub_f32_e32 v18, v18, v25
	v_add_f32_e32 v12, v12, v18
	v_add_f32_e32 v18, v21, v19
	s_delay_alu instid0(VALU_DEP_2) | instskip(NEXT) | instid1(VALU_DEP_2)
	v_add_f32_e32 v12, v22, v12
	v_sub_f32_e32 v22, v18, v21
	s_delay_alu instid0(VALU_DEP_1) | instskip(NEXT) | instid1(VALU_DEP_1)
	v_dual_add_f32 v12, v26, v12 :: v_dual_sub_f32 v19, v19, v22
	v_mul_f32_e32 v12, v21, v12
	s_delay_alu instid0(VALU_DEP_1) | instskip(NEXT) | instid1(VALU_DEP_1)
	v_add_f32_e32 v12, v19, v12
	v_add_f32_e32 v19, v18, v12
	s_delay_alu instid0(VALU_DEP_1) | instskip(SKIP_1) | instid1(VALU_DEP_2)
	v_ldexp_f32 v21, v19, -2
	v_sub_f32_e32 v18, v19, v18
	v_sub_f32_e32 v22, v20, v21
	s_delay_alu instid0(VALU_DEP_2) | instskip(NEXT) | instid1(VALU_DEP_2)
	v_sub_f32_e32 v12, v12, v18
	v_sub_f32_e32 v19, v20, v22
	s_delay_alu instid0(VALU_DEP_2) | instskip(NEXT) | instid1(VALU_DEP_2)
	v_ldexp_f32 v12, v12, -2
	v_sub_f32_e32 v18, v19, v21
	s_delay_alu instid0(VALU_DEP_1) | instskip(NEXT) | instid1(VALU_DEP_1)
	v_add_f32_e32 v11, v11, v18
	v_dual_sub_f32 v11, v11, v12 :: v_dual_mul_f32 v12, v10, v10
	s_delay_alu instid0(VALU_DEP_1) | instskip(NEXT) | instid1(VALU_DEP_1)
	v_dual_add_f32 v11, v22, v11 :: v_dual_fmaak_f32 v18, s8, v12, 0xbf039337
	v_cndmask_b32_e32 v11, 0x7f800000, v11, vcc_lo
	s_delay_alu instid0(VALU_DEP_2) | instskip(NEXT) | instid1(VALU_DEP_2)
	v_fmaak_f32 v18, v12, v18, 0x3f93f425
	v_cndmask_b32_e64 v11, v11, |v2|, s0
	s_delay_alu instid0(VALU_DEP_2) | instskip(NEXT) | instid1(VALU_DEP_1)
	v_rcp_f32_e32 v18, v18
	v_bfi_b32 v2, 0x7fffffff, v11, v2
	v_fmaak_f32 v11, s5, v12, 0x3ec54587
	s_delay_alu instid0(VALU_DEP_2) | instskip(SKIP_3) | instid1(VALU_DEP_2)
	v_fma_f32 v19, v2, v2, 1.0
	s_waitcnt_depctr 0xfff
	v_dual_mul_f32 v11, v11, v18 :: v_dual_mul_f32 v18, 0x4f800000, v19
	v_cmp_gt_f32_e32 vcc_lo, 0xf800000, v19
	v_dual_mul_f32 v11, v12, v11 :: v_dual_cndmask_b32 v12, v19, v18
	s_delay_alu instid0(VALU_DEP_1) | instskip(NEXT) | instid1(VALU_DEP_2)
	v_fma_f32 v18, v11, v10, v10
	v_sqrt_f32_e32 v19, v12
	s_delay_alu instid0(VALU_DEP_1) | instskip(SKIP_1) | instid1(VALU_DEP_1)
	v_rcp_f32_e32 v20, v18
	v_sub_f32_e32 v21, v18, v10
	v_fma_f32 v10, v11, v10, -v21
	s_waitcnt_depctr 0xfff
	v_add_nc_u32_e32 v22, -1, v19
	v_fma_f32 v11, v18, -v20, 1.0
	v_add_nc_u32_e32 v21, 1, v19
	s_delay_alu instid0(VALU_DEP_3) | instskip(NEXT) | instid1(VALU_DEP_3)
	v_fma_f32 v23, -v22, v19, v12
	v_fma_f32 v10, v10, -v20, v11
	s_delay_alu instid0(VALU_DEP_3) | instskip(NEXT) | instid1(VALU_DEP_3)
	v_fma_f32 v11, -v21, v19, v12
	v_cmp_ge_f32_e64 s0, 0, v23
	s_delay_alu instid0(VALU_DEP_3) | instskip(NEXT) | instid1(VALU_DEP_2)
	v_fma_f32 v10, v10, -v20, -v20
	v_cndmask_b32_e64 v19, v19, v22, s0
	s_delay_alu instid0(VALU_DEP_4) | instskip(NEXT) | instid1(VALU_DEP_1)
	v_cmp_lt_f32_e64 s0, 0, v11
	v_cndmask_b32_e64 v11, v19, v21, s0
	v_cmp_eq_u32_e64 s0, 0, v1
	s_delay_alu instid0(VALU_DEP_1) | instskip(NEXT) | instid1(VALU_DEP_3)
	v_cndmask_b32_e64 v1, v10, v18, s0
	v_mul_f32_e32 v10, 0x37800000, v11
	s_delay_alu instid0(VALU_DEP_2) | instskip(NEXT) | instid1(VALU_DEP_2)
	v_xor3_b32 v0, v0, v1, v3
	v_cndmask_b32_e32 v1, v11, v10, vcc_lo
	v_cmp_class_f32_e64 vcc_lo, v12, 0x260
	s_delay_alu instid0(VALU_DEP_3) | instskip(NEXT) | instid1(VALU_DEP_1)
	v_fma_f32 v3, v0, v0, 1.0
	v_dual_cndmask_b32 v1, v1, v12 :: v_dual_mul_f32 v10, v2, v3
	s_delay_alu instid0(VALU_DEP_1) | instskip(NEXT) | instid1(VALU_DEP_2)
	v_mul_f32_e32 v1, v1, v3
	v_fma_f32 v3, v2, v10, 1.0
	s_delay_alu instid0(VALU_DEP_2) | instskip(NEXT) | instid1(VALU_DEP_2)
	v_mul_f32_e32 v1, v2, v1
	v_div_scale_f32 v10, null, v3, v3, v0
	s_delay_alu instid0(VALU_DEP_2) | instskip(SKIP_1) | instid1(VALU_DEP_3)
	v_div_scale_f32 v2, null, v3, v3, v1
	v_div_scale_f32 v20, vcc_lo, v1, v3, v1
	v_rcp_f32_e32 v12, v10
	s_delay_alu instid0(VALU_DEP_2) | instskip(SKIP_3) | instid1(VALU_DEP_1)
	v_rcp_f32_e32 v11, v2
	s_waitcnt_depctr 0xfff
	v_fma_f32 v19, -v10, v12, 1.0
	v_fma_f32 v18, -v2, v11, 1.0
	v_dual_fmac_f32 v12, v19, v12 :: v_dual_fmac_f32 v11, v18, v11
	v_div_scale_f32 v18, s0, v0, v3, v0
	s_delay_alu instid0(VALU_DEP_2) | instskip(NEXT) | instid1(VALU_DEP_2)
	v_mul_f32_e32 v19, v20, v11
	v_mul_f32_e32 v21, v18, v12
	s_delay_alu instid0(VALU_DEP_2) | instskip(NEXT) | instid1(VALU_DEP_2)
	v_fma_f32 v22, -v2, v19, v20
	v_fma_f32 v23, -v10, v21, v18
	s_delay_alu instid0(VALU_DEP_2) | instskip(NEXT) | instid1(VALU_DEP_2)
	v_fmac_f32_e32 v19, v22, v11
	v_fmac_f32_e32 v21, v23, v12
	s_delay_alu instid0(VALU_DEP_2) | instskip(NEXT) | instid1(VALU_DEP_2)
	v_fma_f32 v2, -v2, v19, v20
	v_fma_f32 v10, -v10, v21, v18
	s_delay_alu instid0(VALU_DEP_2) | instskip(SKIP_1) | instid1(VALU_DEP_2)
	v_div_fmas_f32 v2, v2, v11, v19
	s_mov_b32 vcc_lo, s0
	v_div_fmas_f32 v11, v10, v12, v21
	s_delay_alu instid0(VALU_DEP_2) | instskip(NEXT) | instid1(VALU_DEP_2)
	v_div_fixup_f32 v10, v2, v3, v1
	v_div_fixup_f32 v11, v11, v3, v0
                                        ; implicit-def: $vgpr0_vgpr1_vgpr2_vgpr3
                                        ; implicit-def: $vgpr0
.LBB163_302:                            ;   in Loop: Header=BB163_180 Depth=1
	s_and_not1_saveexec_b32 s16, s16
	s_cbranch_execz .LBB163_312
; %bb.303:                              ;   in Loop: Header=BB163_180 Depth=1
	v_lshrrev_b32_e32 v1, 23, v0
	v_cmp_ngt_f32_e64 s17, 0x48000000, |v3|
	v_and_or_b32 v10, v0, s4, 0x800000
                                        ; implicit-def: $vgpr11
	s_delay_alu instid0(VALU_DEP_3) | instskip(NEXT) | instid1(VALU_DEP_3)
	v_add_nc_u32_e32 v18, 0xffffff88, v1
                                        ; implicit-def: $vgpr1
	s_and_saveexec_b32 s0, s17
	s_delay_alu instid0(SALU_CYCLE_1)
	s_xor_b32 s18, exec_lo, s0
	s_cbranch_execz .LBB163_305
; %bb.304:                              ;   in Loop: Header=BB163_180 Depth=1
	v_mad_u64_u32 v[11:12], null, 0xfe5163ab, v10, 0
	v_cmp_lt_u32_e32 vcc_lo, 63, v18
	v_cndmask_b32_e64 v1, 0, 0xffffffc0, vcc_lo
	s_delay_alu instid0(VALU_DEP_3) | instskip(NEXT) | instid1(VALU_DEP_1)
	v_mad_u64_u32 v[19:20], null, 0x3c439041, v10, v[12:13]
	v_dual_mov_b32 v12, v20 :: v_dual_add_nc_u32 v1, v1, v18
	s_delay_alu instid0(VALU_DEP_1) | instskip(NEXT) | instid1(VALU_DEP_2)
	v_cmp_lt_u32_e64 s0, 31, v1
	v_mad_u64_u32 v[20:21], null, 0xdb629599, v10, v[12:13]
	s_delay_alu instid0(VALU_DEP_2) | instskip(NEXT) | instid1(VALU_DEP_1)
	v_cndmask_b32_e64 v25, 0, 0xffffffe0, s0
	v_add_nc_u32_e32 v1, v25, v1
	s_delay_alu instid0(VALU_DEP_3) | instskip(NEXT) | instid1(VALU_DEP_2)
	v_dual_mov_b32 v12, v21 :: v_dual_cndmask_b32 v11, v20, v11
	v_cmp_lt_u32_e64 s1, 31, v1
	s_delay_alu instid0(VALU_DEP_2) | instskip(NEXT) | instid1(VALU_DEP_1)
	v_mad_u64_u32 v[21:22], null, 0xf534ddc0, v10, v[12:13]
	v_mov_b32_e32 v12, v22
	s_delay_alu instid0(VALU_DEP_1) | instskip(NEXT) | instid1(VALU_DEP_1)
	v_mad_u64_u32 v[22:23], null, 0xfc2757d1, v10, v[12:13]
	v_mov_b32_e32 v12, v23
	s_delay_alu instid0(VALU_DEP_1) | instskip(NEXT) | instid1(VALU_DEP_1)
	v_mad_u64_u32 v[23:24], null, 0x4e441529, v10, v[12:13]
	v_mov_b32_e32 v12, v24
	s_delay_alu instid0(VALU_DEP_2) | instskip(NEXT) | instid1(VALU_DEP_2)
	v_cndmask_b32_e32 v26, v23, v21, vcc_lo
	v_mad_u64_u32 v[24:25], null, 0xa2f9836e, v10, v[12:13]
	v_cndmask_b32_e64 v12, 0, 0xffffffe0, s1
	s_delay_alu instid0(VALU_DEP_1) | instskip(NEXT) | instid1(VALU_DEP_3)
	v_add_nc_u32_e32 v1, v12, v1
	v_dual_cndmask_b32 v24, v24, v22 :: v_dual_cndmask_b32 v23, v25, v23
	v_cndmask_b32_e32 v22, v22, v20, vcc_lo
	v_cndmask_b32_e32 v12, v21, v19, vcc_lo
	s_delay_alu instid0(VALU_DEP_4) | instskip(NEXT) | instid1(VALU_DEP_4)
	v_cmp_eq_u32_e64 s2, 0, v1
	v_cndmask_b32_e64 v19, v24, v26, s0
	v_cndmask_b32_e64 v21, v23, v24, s0
	;; [unrolled: 1-line block ×3, first 2 shown]
	v_sub_nc_u32_e32 v24, 32, v1
	v_cndmask_b32_e64 v22, v22, v12, s0
	v_cndmask_b32_e64 v11, v12, v11, s0
	;; [unrolled: 1-line block ×4, first 2 shown]
	s_delay_alu instid0(VALU_DEP_4) | instskip(NEXT) | instid1(VALU_DEP_4)
	v_cndmask_b32_e64 v23, v23, v22, s1
	v_cndmask_b32_e64 v11, v22, v11, s1
	s_delay_alu instid0(VALU_DEP_3) | instskip(NEXT) | instid1(VALU_DEP_3)
	v_alignbit_b32 v25, v21, v19, v24
	v_alignbit_b32 v26, v19, v23, v24
	s_delay_alu instid0(VALU_DEP_3) | instskip(NEXT) | instid1(VALU_DEP_3)
	v_alignbit_b32 v24, v23, v11, v24
	v_cndmask_b32_e64 v1, v25, v21, s2
	s_delay_alu instid0(VALU_DEP_3) | instskip(NEXT) | instid1(VALU_DEP_3)
	v_cndmask_b32_e64 v19, v26, v19, s2
	v_cndmask_b32_e64 v23, v24, v23, s2
	s_delay_alu instid0(VALU_DEP_3) | instskip(NEXT) | instid1(VALU_DEP_3)
	v_bfe_u32 v20, v1, 29, 1
	v_alignbit_b32 v12, v1, v19, 30
	s_delay_alu instid0(VALU_DEP_3) | instskip(SKIP_1) | instid1(VALU_DEP_4)
	v_alignbit_b32 v19, v19, v23, 30
	v_alignbit_b32 v11, v23, v11, 30
	v_sub_nc_u32_e32 v21, 0, v20
	s_delay_alu instid0(VALU_DEP_1) | instskip(SKIP_3) | instid1(VALU_DEP_4)
	v_xor_b32_e32 v22, v12, v21
	v_cmp_ne_u32_e32 vcc_lo, v12, v21
	v_xor_b32_e32 v19, v19, v21
	v_xor_b32_e32 v11, v11, v21
	v_clz_i32_u32_e32 v25, v22
	s_delay_alu instid0(VALU_DEP_1) | instskip(NEXT) | instid1(VALU_DEP_1)
	v_add_nc_u32_e32 v24, 1, v25
	v_cndmask_b32_e32 v12, 33, v24, vcc_lo
	s_delay_alu instid0(VALU_DEP_1) | instskip(NEXT) | instid1(VALU_DEP_1)
	v_sub_nc_u32_e32 v23, 32, v12
	v_alignbit_b32 v21, v22, v19, v23
	v_alignbit_b32 v11, v19, v11, v23
	v_lshrrev_b32_e32 v19, 29, v1
	s_delay_alu instid0(VALU_DEP_2) | instskip(NEXT) | instid1(VALU_DEP_2)
	v_alignbit_b32 v22, v21, v11, 9
	v_lshlrev_b32_e32 v19, 31, v19
	v_alignbit_b32 v21, v12, v21, 9
	s_delay_alu instid0(VALU_DEP_3) | instskip(NEXT) | instid1(VALU_DEP_2)
	v_clz_i32_u32_e32 v23, v22
	v_or_b32_e32 v21, v21, v19
	v_or_b32_e32 v19, 0x33800000, v19
	s_delay_alu instid0(VALU_DEP_3) | instskip(NEXT) | instid1(VALU_DEP_3)
	v_min_u32_e32 v23, 32, v23
	v_xor_b32_e32 v21, 1.0, v21
	s_delay_alu instid0(VALU_DEP_2) | instskip(SKIP_1) | instid1(VALU_DEP_3)
	v_sub_nc_u32_e32 v24, 31, v23
	v_add_lshl_u32 v12, v23, v12, 23
	v_mul_f32_e32 v23, 0x3fc90fda, v21
	s_delay_alu instid0(VALU_DEP_3) | instskip(NEXT) | instid1(VALU_DEP_3)
	v_alignbit_b32 v11, v22, v11, v24
	v_sub_nc_u32_e32 v12, v19, v12
	s_delay_alu instid0(VALU_DEP_3) | instskip(NEXT) | instid1(VALU_DEP_3)
	v_fma_f32 v19, 0x3fc90fda, v21, -v23
	v_lshrrev_b32_e32 v11, 9, v11
	s_delay_alu instid0(VALU_DEP_2) | instskip(NEXT) | instid1(VALU_DEP_2)
	v_fmac_f32_e32 v19, 0x33a22168, v21
	v_or_b32_e32 v11, v12, v11
	s_delay_alu instid0(VALU_DEP_1) | instskip(SKIP_1) | instid1(VALU_DEP_2)
	v_fmac_f32_e32 v19, 0x3fc90fda, v11
	v_lshrrev_b32_e32 v11, 30, v1
	v_add_f32_e32 v1, v23, v19
	s_delay_alu instid0(VALU_DEP_2)
	v_add_nc_u32_e32 v11, v20, v11
	s_and_not1_saveexec_b32 s0, s18
	s_branch .LBB163_306
.LBB163_305:                            ;   in Loop: Header=BB163_180 Depth=1
	s_and_not1_saveexec_b32 s0, s18
.LBB163_306:                            ;   in Loop: Header=BB163_180 Depth=1
	v_mul_f32_e64 v1, 0x3f22f983, |v3|
	s_delay_alu instid0(VALU_DEP_1) | instskip(NEXT) | instid1(VALU_DEP_1)
	v_rndne_f32_e32 v11, v1
	v_fma_f32 v1, 0xbfc90fda, v11, |v3|
	s_delay_alu instid0(VALU_DEP_1) | instskip(NEXT) | instid1(VALU_DEP_1)
	v_fmac_f32_e32 v1, 0xb3a22168, v11
	v_fmac_f32_e32 v1, 0xa7c234c4, v11
	v_cvt_i32_f32_e32 v11, v11
; %bb.307:                              ;   in Loop: Header=BB163_180 Depth=1
	s_or_b32 exec_lo, exec_lo, s0
                                        ; implicit-def: $vgpr19
                                        ; implicit-def: $vgpr12
	s_and_saveexec_b32 s0, s17
	s_delay_alu instid0(SALU_CYCLE_1)
	s_xor_b32 s17, exec_lo, s0
	s_cbranch_execz .LBB163_309
; %bb.308:                              ;   in Loop: Header=BB163_180 Depth=1
	v_mad_u64_u32 v[19:20], null, 0xfe5163ab, v10, 0
	v_cmp_lt_u32_e32 vcc_lo, 63, v18
	v_cndmask_b32_e64 v25, 0, 0xffffffc0, vcc_lo
	s_delay_alu instid0(VALU_DEP_3) | instskip(NEXT) | instid1(VALU_DEP_2)
	v_mov_b32_e32 v12, v20
	v_add_nc_u32_e32 v18, v25, v18
	s_delay_alu instid0(VALU_DEP_2) | instskip(NEXT) | instid1(VALU_DEP_2)
	v_mad_u64_u32 v[20:21], null, 0x3c439041, v10, v[12:13]
	v_cmp_lt_u32_e64 s0, 31, v18
	s_delay_alu instid0(VALU_DEP_2) | instskip(NEXT) | instid1(VALU_DEP_2)
	v_mov_b32_e32 v12, v21
	v_cndmask_b32_e64 v26, 0, 0xffffffe0, s0
	s_delay_alu instid0(VALU_DEP_2) | instskip(NEXT) | instid1(VALU_DEP_2)
	v_mad_u64_u32 v[21:22], null, 0xdb629599, v10, v[12:13]
	v_add_nc_u32_e32 v18, v26, v18
	s_delay_alu instid0(VALU_DEP_1) | instskip(NEXT) | instid1(VALU_DEP_3)
	v_cmp_lt_u32_e64 s1, 31, v18
	v_dual_mov_b32 v12, v22 :: v_dual_cndmask_b32 v19, v21, v19
	s_delay_alu instid0(VALU_DEP_1) | instskip(NEXT) | instid1(VALU_DEP_1)
	v_mad_u64_u32 v[22:23], null, 0xf534ddc0, v10, v[12:13]
	v_mov_b32_e32 v12, v23
	s_delay_alu instid0(VALU_DEP_1) | instskip(NEXT) | instid1(VALU_DEP_1)
	v_mad_u64_u32 v[23:24], null, 0xfc2757d1, v10, v[12:13]
	v_mov_b32_e32 v12, v24
	;; [unrolled: 3-line block ×3, first 2 shown]
	s_delay_alu instid0(VALU_DEP_1) | instskip(SKIP_1) | instid1(VALU_DEP_4)
	v_mad_u64_u32 v[25:26], null, 0xa2f9836e, v10, v[12:13]
	v_cndmask_b32_e64 v10, 0, 0xffffffe0, s1
	v_cndmask_b32_e32 v12, v24, v22, vcc_lo
	s_delay_alu instid0(VALU_DEP_2) | instskip(NEXT) | instid1(VALU_DEP_4)
	v_dual_cndmask_b32 v25, v25, v23 :: v_dual_add_nc_u32 v10, v10, v18
	v_dual_cndmask_b32 v24, v26, v24 :: v_dual_cndmask_b32 v23, v23, v21
	v_cndmask_b32_e32 v18, v22, v20, vcc_lo
	s_delay_alu instid0(VALU_DEP_3) | instskip(NEXT) | instid1(VALU_DEP_4)
	v_cmp_eq_u32_e64 s2, 0, v10
	v_cndmask_b32_e64 v20, v25, v12, s0
	s_delay_alu instid0(VALU_DEP_4)
	v_cndmask_b32_e64 v22, v24, v25, s0
	v_cndmask_b32_e64 v12, v12, v23, s0
	v_sub_nc_u32_e32 v24, 32, v10
	v_cndmask_b32_e64 v23, v23, v18, s0
	v_cndmask_b32_e64 v18, v18, v19, s0
	;; [unrolled: 1-line block ×4, first 2 shown]
	s_delay_alu instid0(VALU_DEP_4) | instskip(NEXT) | instid1(VALU_DEP_4)
	v_cndmask_b32_e64 v12, v12, v23, s1
	v_cndmask_b32_e64 v18, v23, v18, s1
	s_delay_alu instid0(VALU_DEP_3) | instskip(NEXT) | instid1(VALU_DEP_3)
	v_alignbit_b32 v25, v22, v20, v24
	v_alignbit_b32 v26, v20, v12, v24
	s_delay_alu instid0(VALU_DEP_3) | instskip(NEXT) | instid1(VALU_DEP_3)
	v_alignbit_b32 v24, v12, v18, v24
	v_cndmask_b32_e64 v10, v25, v22, s2
	s_delay_alu instid0(VALU_DEP_3) | instskip(NEXT) | instid1(VALU_DEP_3)
	v_cndmask_b32_e64 v20, v26, v20, s2
	v_cndmask_b32_e64 v12, v24, v12, s2
	s_delay_alu instid0(VALU_DEP_3) | instskip(NEXT) | instid1(VALU_DEP_3)
	v_bfe_u32 v21, v10, 29, 1
	v_alignbit_b32 v19, v10, v20, 30
	s_delay_alu instid0(VALU_DEP_3) | instskip(SKIP_1) | instid1(VALU_DEP_4)
	v_alignbit_b32 v20, v20, v12, 30
	v_alignbit_b32 v12, v12, v18, 30
	v_sub_nc_u32_e32 v22, 0, v21
	s_delay_alu instid0(VALU_DEP_1) | instskip(SKIP_3) | instid1(VALU_DEP_4)
	v_xor_b32_e32 v23, v19, v22
	v_cmp_ne_u32_e32 vcc_lo, v19, v22
	v_xor_b32_e32 v18, v20, v22
	v_xor_b32_e32 v12, v12, v22
	v_clz_i32_u32_e32 v25, v23
	s_delay_alu instid0(VALU_DEP_1) | instskip(NEXT) | instid1(VALU_DEP_1)
	v_add_nc_u32_e32 v24, 1, v25
	v_cndmask_b32_e32 v19, 33, v24, vcc_lo
	s_delay_alu instid0(VALU_DEP_1) | instskip(NEXT) | instid1(VALU_DEP_1)
	v_sub_nc_u32_e32 v20, 32, v19
	v_alignbit_b32 v22, v23, v18, v20
	v_alignbit_b32 v12, v18, v12, v20
	v_lshrrev_b32_e32 v18, 29, v10
	v_lshrrev_b32_e32 v10, 30, v10
	s_delay_alu instid0(VALU_DEP_3) | instskip(NEXT) | instid1(VALU_DEP_3)
	v_alignbit_b32 v20, v22, v12, 9
	v_lshlrev_b32_e32 v18, 31, v18
	v_alignbit_b32 v22, v19, v22, 9
	s_delay_alu instid0(VALU_DEP_3) | instskip(NEXT) | instid1(VALU_DEP_2)
	v_clz_i32_u32_e32 v23, v20
	v_or_b32_e32 v22, v22, v18
	v_or_b32_e32 v18, 0x33800000, v18
	s_delay_alu instid0(VALU_DEP_3) | instskip(NEXT) | instid1(VALU_DEP_3)
	v_min_u32_e32 v23, 32, v23
	v_xor_b32_e32 v22, 1.0, v22
	s_delay_alu instid0(VALU_DEP_2) | instskip(SKIP_1) | instid1(VALU_DEP_3)
	v_sub_nc_u32_e32 v24, 31, v23
	v_add_lshl_u32 v19, v23, v19, 23
	v_mul_f32_e32 v23, 0x3fc90fda, v22
	s_delay_alu instid0(VALU_DEP_3) | instskip(NEXT) | instid1(VALU_DEP_3)
	v_alignbit_b32 v12, v20, v12, v24
	v_sub_nc_u32_e32 v18, v18, v19
	s_delay_alu instid0(VALU_DEP_3) | instskip(NEXT) | instid1(VALU_DEP_3)
	v_fma_f32 v19, 0x3fc90fda, v22, -v23
	v_lshrrev_b32_e32 v12, 9, v12
	s_delay_alu instid0(VALU_DEP_2) | instskip(NEXT) | instid1(VALU_DEP_2)
	v_fmac_f32_e32 v19, 0x33a22168, v22
	v_or_b32_e32 v12, v18, v12
	s_delay_alu instid0(VALU_DEP_1) | instskip(NEXT) | instid1(VALU_DEP_1)
	v_fmac_f32_e32 v19, 0x3fc90fda, v12
	v_dual_add_f32 v12, v23, v19 :: v_dual_add_nc_u32 v19, v21, v10
	s_and_not1_saveexec_b32 s0, s17
	s_cbranch_execnz .LBB163_310
	s_branch .LBB163_311
.LBB163_309:                            ;   in Loop: Header=BB163_180 Depth=1
	s_and_not1_saveexec_b32 s0, s17
.LBB163_310:                            ;   in Loop: Header=BB163_180 Depth=1
	v_mul_f32_e64 v10, 0x3f22f983, |v3|
	s_delay_alu instid0(VALU_DEP_1) | instskip(NEXT) | instid1(VALU_DEP_1)
	v_rndne_f32_e32 v10, v10
	v_fma_f32 v12, 0xbfc90fda, v10, |v3|
	v_cvt_i32_f32_e32 v19, v10
	s_delay_alu instid0(VALU_DEP_2) | instskip(NEXT) | instid1(VALU_DEP_1)
	v_fmac_f32_e32 v12, 0xb3a22168, v10
	v_fmac_f32_e32 v12, 0xa7c234c4, v10
.LBB163_311:                            ;   in Loop: Header=BB163_180 Depth=1
	s_or_b32 exec_lo, exec_lo, s0
	v_mul_f32_e32 v10, v1, v1
	v_and_b32_e32 v18, 1, v11
	v_mul_f32_e64 v20, 0xbfb8aa3b, |v2|
	v_lshlrev_b32_e32 v11, 30, v11
	v_mul_f32_e32 v23, v12, v12
	v_fmaak_f32 v21, s12, v10, 0x3c0881c4
	v_fmaak_f32 v22, s13, v10, 0xbab64f3b
	v_rndne_f32_e32 v24, v20
	v_fma_f32 v25, 0xbfb8aa3b, |v2|, -v20
	v_cmp_eq_u32_e32 vcc_lo, 0, v18
	v_dual_fmaak_f32 v21, v10, v21, 0xbe2aaa9d :: v_dual_and_b32 v18, 1, v19
	s_delay_alu instid0(VALU_DEP_4) | instskip(SKIP_2) | instid1(VALU_DEP_4)
	v_sub_f32_e32 v20, v20, v24
	v_fmaak_f32 v26, s12, v23, 0x3c0881c4
	v_fma_f32 v25, 0xb2a5705f, |v2|, v25
	v_mul_f32_e32 v21, v10, v21
	v_fmaak_f32 v22, v10, v22, 0x3d2aabf7
	v_fmaak_f32 v27, s13, v23, 0xbab64f3b
	s_delay_alu instid0(VALU_DEP_4) | instskip(NEXT) | instid1(VALU_DEP_3)
	v_dual_add_f32 v20, v20, v25 :: v_dual_lshlrev_b32 v19, 30, v19
	v_dual_fmac_f32 v1, v1, v21 :: v_dual_fmaak_f32 v22, v10, v22, 0xbf000004
	s_delay_alu instid0(VALU_DEP_2) | instskip(NEXT) | instid1(VALU_DEP_1)
	v_exp_f32_e32 v20, v20
	v_fma_f32 v10, v10, v22, 1.0
	s_delay_alu instid0(VALU_DEP_1) | instskip(NEXT) | instid1(VALU_DEP_1)
	v_dual_fmaak_f32 v26, v23, v26, 0xbe2aaa9d :: v_dual_cndmask_b32 v1, v10, v1
	v_dual_mul_f32 v22, v23, v26 :: v_dual_and_b32 v11, 0x80000000, v11
	v_fmaak_f32 v21, v23, v27, 0x3d2aabf7
	v_cmp_eq_u32_e32 vcc_lo, 0, v18
	s_delay_alu instid0(VALU_DEP_3) | instskip(NEXT) | instid1(VALU_DEP_4)
	v_xor_b32_e32 v0, v0, v11
	v_fmac_f32_e32 v12, v12, v22
	s_delay_alu instid0(VALU_DEP_4) | instskip(SKIP_1) | instid1(VALU_DEP_4)
	v_fmaak_f32 v10, v23, v21, 0xbf000004
	v_cvt_i32_f32_e32 v11, v24
	v_xor3_b32 v0, v0, v1, v3
	s_delay_alu instid0(VALU_DEP_3) | instskip(NEXT) | instid1(VALU_DEP_3)
	v_fma_f32 v10, v23, v10, 1.0
	v_ldexp_f32 v1, v20, v11
	s_delay_alu instid0(VALU_DEP_2) | instskip(SKIP_2) | instid1(VALU_DEP_2)
	v_cndmask_b32_e64 v3, -v12, v10, vcc_lo
	v_and_b32_e32 v10, 0x80000000, v19
	v_cmp_nlt_f32_e64 vcc_lo, 0x42ce8ed0, |v2|
	v_xor_b32_e32 v3, v10, v3
	v_cndmask_b32_e32 v1, 0, v1, vcc_lo
	v_cmp_ngt_f32_e64 vcc_lo, 0xc2b17218, |v2|
	v_mul_f32_e32 v0, 4.0, v0
	v_bfi_b32 v10, 0x7fffffff, 1.0, v2
	s_delay_alu instid0(VALU_DEP_2) | instskip(NEXT) | instid1(VALU_DEP_1)
	v_dual_cndmask_b32 v1, 0x7f800000, v1 :: v_dual_mul_f32 v0, v0, v3
	v_mul_f32_e32 v0, v1, v0
	s_delay_alu instid0(VALU_DEP_1)
	v_mul_f32_e32 v11, v1, v0
.LBB163_312:                            ;   in Loop: Header=BB163_180 Depth=1
	s_or_b32 exec_lo, exec_lo, s16
                                        ; implicit-def: $vgpr0_vgpr1_vgpr2_vgpr3
.LBB163_313:                            ;   in Loop: Header=BB163_180 Depth=1
	s_and_not1_saveexec_b32 s0, s15
; %bb.314:                              ;   in Loop: Header=BB163_180 Depth=1
	v_sub_f32_e32 v11, v3, v3
	s_delay_alu instid0(VALU_DEP_1)
	v_mov_b32_e32 v10, v11
; %bb.315:                              ;   in Loop: Header=BB163_180 Depth=1
	s_or_b32 exec_lo, exec_lo, s0
                                        ; implicit-def: $vgpr2
.LBB163_316:                            ;   in Loop: Header=BB163_180 Depth=1
	s_and_not1_saveexec_b32 s14, s14
	s_cbranch_execz .LBB163_179
; %bb.317:                              ;   in Loop: Header=BB163_180 Depth=1
	v_and_b32_e32 v0, 0x7fffff, v2
	s_mov_b32 s0, exec_lo
	s_delay_alu instid0(VALU_DEP_1)
	v_cmpx_ne_u32_e32 0, v0
	s_xor_b32 s0, exec_lo, s0
; %bb.318:                              ;   in Loop: Header=BB163_180 Depth=1
	v_mul_f32_e32 v0, v2, v3
	v_cmp_eq_f32_e32 vcc_lo, 0, v3
	s_delay_alu instid0(VALU_DEP_2)
	v_cndmask_b32_e32 v11, v0, v3, vcc_lo
; %bb.319:                              ;   in Loop: Header=BB163_180 Depth=1
	s_and_not1_saveexec_b32 s15, s0
	s_cbranch_execz .LBB163_178
; %bb.320:                              ;   in Loop: Header=BB163_180 Depth=1
	s_mov_b32 s16, exec_lo
	v_cmpx_neq_f32_e64 0x7f800000, |v3|
	s_cbranch_execz .LBB163_177
; %bb.321:                              ;   in Loop: Header=BB163_180 Depth=1
	v_and_b32_e32 v0, 0x7fffffff, v3
	v_cmp_ngt_f32_e64 s17, 0x48000000, |v3|
                                        ; implicit-def: $vgpr10
	s_delay_alu instid0(VALU_DEP_2) | instskip(SKIP_1) | instid1(VALU_DEP_2)
	v_lshrrev_b32_e32 v1, 23, v0
	v_and_or_b32 v11, v0, s4, 0x800000
	v_add_nc_u32_e32 v18, 0xffffff88, v1
                                        ; implicit-def: $vgpr1
	s_delay_alu instid0(VALU_DEP_4) | instskip(NEXT) | instid1(SALU_CYCLE_1)
	s_and_saveexec_b32 s0, s17
	s_xor_b32 s18, exec_lo, s0
	s_cbranch_execz .LBB163_323
; %bb.322:                              ;   in Loop: Header=BB163_180 Depth=1
	v_mad_u64_u32 v[19:20], null, 0xfe5163ab, v11, 0
	v_cmp_lt_u32_e32 vcc_lo, 63, v18
	v_cndmask_b32_e64 v1, 0, 0xffffffc0, vcc_lo
	s_delay_alu instid0(VALU_DEP_1) | instskip(NEXT) | instid1(VALU_DEP_1)
	v_dual_mov_b32 v12, v20 :: v_dual_add_nc_u32 v1, v1, v18
	v_mad_u64_u32 v[20:21], null, 0x3c439041, v11, v[12:13]
	s_delay_alu instid0(VALU_DEP_2) | instskip(NEXT) | instid1(VALU_DEP_1)
	v_cmp_lt_u32_e64 s0, 31, v1
	v_cndmask_b32_e64 v10, 0, 0xffffffe0, s0
	s_delay_alu instid0(VALU_DEP_1) | instskip(NEXT) | instid1(VALU_DEP_1)
	v_dual_mov_b32 v12, v21 :: v_dual_add_nc_u32 v1, v10, v1
	v_mad_u64_u32 v[21:22], null, 0xdb629599, v11, v[12:13]
	s_delay_alu instid0(VALU_DEP_2) | instskip(NEXT) | instid1(VALU_DEP_2)
	v_cmp_lt_u32_e64 s1, 31, v1
	v_mov_b32_e32 v12, v22
	s_delay_alu instid0(VALU_DEP_2) | instskip(NEXT) | instid1(VALU_DEP_4)
	v_cndmask_b32_e64 v10, 0, 0xffffffe0, s1
	v_cndmask_b32_e32 v19, v21, v19, vcc_lo
	s_delay_alu instid0(VALU_DEP_3) | instskip(NEXT) | instid1(VALU_DEP_3)
	v_mad_u64_u32 v[22:23], null, 0xf534ddc0, v11, v[12:13]
	v_add_nc_u32_e32 v1, v10, v1
	s_delay_alu instid0(VALU_DEP_1) | instskip(NEXT) | instid1(VALU_DEP_3)
	v_cmp_eq_u32_e64 s2, 0, v1
	v_mov_b32_e32 v12, v23
	s_delay_alu instid0(VALU_DEP_4) | instskip(NEXT) | instid1(VALU_DEP_2)
	v_cndmask_b32_e32 v10, v22, v20, vcc_lo
	v_mad_u64_u32 v[23:24], null, 0xfc2757d1, v11, v[12:13]
	s_delay_alu instid0(VALU_DEP_1) | instskip(NEXT) | instid1(VALU_DEP_1)
	v_mov_b32_e32 v12, v24
	v_mad_u64_u32 v[24:25], null, 0x4e441529, v11, v[12:13]
	s_delay_alu instid0(VALU_DEP_1) | instskip(NEXT) | instid1(VALU_DEP_1)
	v_mov_b32_e32 v12, v25
	v_mad_u64_u32 v[25:26], null, 0xa2f9836e, v11, v[12:13]
	s_delay_alu instid0(VALU_DEP_1) | instskip(NEXT) | instid1(VALU_DEP_2)
	v_dual_cndmask_b32 v12, v24, v22 :: v_dual_cndmask_b32 v25, v25, v23
	v_dual_cndmask_b32 v24, v26, v24 :: v_dual_cndmask_b32 v23, v23, v21
	s_delay_alu instid0(VALU_DEP_2) | instskip(NEXT) | instid1(VALU_DEP_2)
	v_cndmask_b32_e64 v20, v25, v12, s0
	v_cndmask_b32_e64 v22, v24, v25, s0
	s_delay_alu instid0(VALU_DEP_3)
	v_cndmask_b32_e64 v12, v12, v23, s0
	v_sub_nc_u32_e32 v24, 32, v1
	v_cndmask_b32_e64 v23, v23, v10, s0
	v_cndmask_b32_e64 v10, v10, v19, s0
	;; [unrolled: 1-line block ×4, first 2 shown]
	s_delay_alu instid0(VALU_DEP_4) | instskip(NEXT) | instid1(VALU_DEP_4)
	v_cndmask_b32_e64 v12, v12, v23, s1
	v_cndmask_b32_e64 v10, v23, v10, s1
	s_delay_alu instid0(VALU_DEP_3) | instskip(NEXT) | instid1(VALU_DEP_3)
	v_alignbit_b32 v25, v22, v20, v24
	v_alignbit_b32 v26, v20, v12, v24
	s_delay_alu instid0(VALU_DEP_3) | instskip(NEXT) | instid1(VALU_DEP_3)
	v_alignbit_b32 v24, v12, v10, v24
	v_cndmask_b32_e64 v1, v25, v22, s2
	s_delay_alu instid0(VALU_DEP_3) | instskip(NEXT) | instid1(VALU_DEP_3)
	v_cndmask_b32_e64 v20, v26, v20, s2
	v_cndmask_b32_e64 v12, v24, v12, s2
	s_delay_alu instid0(VALU_DEP_3) | instskip(NEXT) | instid1(VALU_DEP_3)
	v_bfe_u32 v21, v1, 29, 1
	v_alignbit_b32 v19, v1, v20, 30
	s_delay_alu instid0(VALU_DEP_3) | instskip(SKIP_1) | instid1(VALU_DEP_4)
	v_alignbit_b32 v20, v20, v12, 30
	v_alignbit_b32 v10, v12, v10, 30
	v_sub_nc_u32_e32 v22, 0, v21
	s_delay_alu instid0(VALU_DEP_1) | instskip(SKIP_3) | instid1(VALU_DEP_4)
	v_xor_b32_e32 v23, v19, v22
	v_cmp_ne_u32_e32 vcc_lo, v19, v22
	v_xor_b32_e32 v12, v20, v22
	v_xor_b32_e32 v10, v10, v22
	v_clz_i32_u32_e32 v25, v23
	s_delay_alu instid0(VALU_DEP_1) | instskip(NEXT) | instid1(VALU_DEP_1)
	v_add_nc_u32_e32 v24, 1, v25
	v_cndmask_b32_e32 v19, 33, v24, vcc_lo
	s_delay_alu instid0(VALU_DEP_1) | instskip(NEXT) | instid1(VALU_DEP_1)
	v_sub_nc_u32_e32 v20, 32, v19
	v_alignbit_b32 v22, v23, v12, v20
	v_alignbit_b32 v10, v12, v10, v20
	v_lshrrev_b32_e32 v12, 29, v1
	s_delay_alu instid0(VALU_DEP_2) | instskip(NEXT) | instid1(VALU_DEP_2)
	v_alignbit_b32 v20, v22, v10, 9
	v_lshlrev_b32_e32 v12, 31, v12
	v_alignbit_b32 v22, v19, v22, 9
	s_delay_alu instid0(VALU_DEP_3) | instskip(NEXT) | instid1(VALU_DEP_2)
	v_clz_i32_u32_e32 v23, v20
	v_or_b32_e32 v22, v22, v12
	v_or_b32_e32 v12, 0x33800000, v12
	s_delay_alu instid0(VALU_DEP_3) | instskip(NEXT) | instid1(VALU_DEP_3)
	v_min_u32_e32 v23, 32, v23
	v_xor_b32_e32 v22, 1.0, v22
	s_delay_alu instid0(VALU_DEP_2) | instskip(SKIP_1) | instid1(VALU_DEP_3)
	v_sub_nc_u32_e32 v24, 31, v23
	v_add_lshl_u32 v19, v23, v19, 23
	v_mul_f32_e32 v23, 0x3fc90fda, v22
	s_delay_alu instid0(VALU_DEP_3) | instskip(NEXT) | instid1(VALU_DEP_3)
	v_alignbit_b32 v10, v20, v10, v24
	v_sub_nc_u32_e32 v12, v12, v19
	s_delay_alu instid0(VALU_DEP_3) | instskip(NEXT) | instid1(VALU_DEP_3)
	v_fma_f32 v19, 0x3fc90fda, v22, -v23
	v_lshrrev_b32_e32 v10, 9, v10
	s_delay_alu instid0(VALU_DEP_2) | instskip(NEXT) | instid1(VALU_DEP_2)
	v_fmac_f32_e32 v19, 0x33a22168, v22
	v_or_b32_e32 v10, v12, v10
	s_delay_alu instid0(VALU_DEP_1) | instskip(SKIP_1) | instid1(VALU_DEP_1)
	v_fmac_f32_e32 v19, 0x3fc90fda, v10
	v_lshrrev_b32_e32 v10, 30, v1
	v_dual_add_f32 v1, v23, v19 :: v_dual_add_nc_u32 v10, v21, v10
.LBB163_323:                            ;   in Loop: Header=BB163_180 Depth=1
	s_or_saveexec_b32 s0, s18
	v_mul_f32_e64 v12, 0x3f22f983, |v3|
	s_delay_alu instid0(VALU_DEP_1)
	v_rndne_f32_e32 v20, v12
	s_xor_b32 exec_lo, exec_lo, s0
; %bb.324:                              ;   in Loop: Header=BB163_180 Depth=1
	s_delay_alu instid0(VALU_DEP_1) | instskip(SKIP_1) | instid1(VALU_DEP_2)
	v_fma_f32 v1, 0xbfc90fda, v20, |v3|
	v_cvt_i32_f32_e32 v10, v20
	v_fmac_f32_e32 v1, 0xb3a22168, v20
	s_delay_alu instid0(VALU_DEP_1)
	v_fmac_f32_e32 v1, 0xa7c234c4, v20
; %bb.325:                              ;   in Loop: Header=BB163_180 Depth=1
	s_or_b32 exec_lo, exec_lo, s0
                                        ; implicit-def: $vgpr19
                                        ; implicit-def: $vgpr12
	s_and_saveexec_b32 s0, s17
	s_delay_alu instid0(SALU_CYCLE_1)
	s_xor_b32 s17, exec_lo, s0
	s_cbranch_execz .LBB163_327
; %bb.326:                              ;   in Loop: Header=BB163_180 Depth=1
	v_mad_u64_u32 v[19:20], null, 0xfe5163ab, v11, 0
	v_cmp_lt_u32_e32 vcc_lo, 63, v18
	v_cndmask_b32_e64 v25, 0, 0xffffffc0, vcc_lo
	s_delay_alu instid0(VALU_DEP_3) | instskip(NEXT) | instid1(VALU_DEP_2)
	v_mov_b32_e32 v12, v20
	v_add_nc_u32_e32 v18, v25, v18
	s_delay_alu instid0(VALU_DEP_2) | instskip(NEXT) | instid1(VALU_DEP_2)
	v_mad_u64_u32 v[20:21], null, 0x3c439041, v11, v[12:13]
	v_cmp_lt_u32_e64 s0, 31, v18
	s_delay_alu instid0(VALU_DEP_2) | instskip(NEXT) | instid1(VALU_DEP_2)
	v_mov_b32_e32 v12, v21
	v_cndmask_b32_e64 v26, 0, 0xffffffe0, s0
	s_delay_alu instid0(VALU_DEP_2) | instskip(NEXT) | instid1(VALU_DEP_2)
	v_mad_u64_u32 v[21:22], null, 0xdb629599, v11, v[12:13]
	v_add_nc_u32_e32 v18, v26, v18
	s_delay_alu instid0(VALU_DEP_1) | instskip(NEXT) | instid1(VALU_DEP_3)
	v_cmp_lt_u32_e64 s1, 31, v18
	v_dual_mov_b32 v12, v22 :: v_dual_cndmask_b32 v19, v21, v19
	s_delay_alu instid0(VALU_DEP_1) | instskip(NEXT) | instid1(VALU_DEP_1)
	v_mad_u64_u32 v[22:23], null, 0xf534ddc0, v11, v[12:13]
	v_mov_b32_e32 v12, v23
	s_delay_alu instid0(VALU_DEP_1) | instskip(NEXT) | instid1(VALU_DEP_1)
	v_mad_u64_u32 v[23:24], null, 0xfc2757d1, v11, v[12:13]
	v_mov_b32_e32 v12, v24
	;; [unrolled: 3-line block ×3, first 2 shown]
	s_delay_alu instid0(VALU_DEP_1) | instskip(SKIP_1) | instid1(VALU_DEP_4)
	v_mad_u64_u32 v[25:26], null, 0xa2f9836e, v11, v[12:13]
	v_cndmask_b32_e64 v11, 0, 0xffffffe0, s1
	v_cndmask_b32_e32 v12, v24, v22, vcc_lo
	s_delay_alu instid0(VALU_DEP_2) | instskip(NEXT) | instid1(VALU_DEP_4)
	v_add_nc_u32_e32 v11, v11, v18
	v_dual_cndmask_b32 v25, v25, v23 :: v_dual_cndmask_b32 v24, v26, v24
	v_dual_cndmask_b32 v23, v23, v21 :: v_dual_cndmask_b32 v18, v22, v20
	s_delay_alu instid0(VALU_DEP_3) | instskip(NEXT) | instid1(VALU_DEP_3)
	v_cmp_eq_u32_e64 s2, 0, v11
	v_cndmask_b32_e64 v20, v25, v12, s0
	s_delay_alu instid0(VALU_DEP_4) | instskip(NEXT) | instid1(VALU_DEP_4)
	v_cndmask_b32_e64 v22, v24, v25, s0
	v_cndmask_b32_e64 v12, v12, v23, s0
	v_sub_nc_u32_e32 v24, 32, v11
	v_cndmask_b32_e64 v23, v23, v18, s0
	v_cndmask_b32_e64 v18, v18, v19, s0
	;; [unrolled: 1-line block ×4, first 2 shown]
	s_delay_alu instid0(VALU_DEP_4) | instskip(NEXT) | instid1(VALU_DEP_4)
	v_cndmask_b32_e64 v12, v12, v23, s1
	v_cndmask_b32_e64 v18, v23, v18, s1
	s_delay_alu instid0(VALU_DEP_3) | instskip(NEXT) | instid1(VALU_DEP_3)
	v_alignbit_b32 v25, v22, v20, v24
	v_alignbit_b32 v26, v20, v12, v24
	s_delay_alu instid0(VALU_DEP_3) | instskip(NEXT) | instid1(VALU_DEP_3)
	v_alignbit_b32 v24, v12, v18, v24
	v_cndmask_b32_e64 v11, v25, v22, s2
	s_delay_alu instid0(VALU_DEP_3) | instskip(NEXT) | instid1(VALU_DEP_3)
	v_cndmask_b32_e64 v20, v26, v20, s2
	v_cndmask_b32_e64 v12, v24, v12, s2
	s_delay_alu instid0(VALU_DEP_3) | instskip(NEXT) | instid1(VALU_DEP_3)
	v_bfe_u32 v21, v11, 29, 1
	v_alignbit_b32 v19, v11, v20, 30
	s_delay_alu instid0(VALU_DEP_3) | instskip(SKIP_1) | instid1(VALU_DEP_4)
	v_alignbit_b32 v20, v20, v12, 30
	v_alignbit_b32 v12, v12, v18, 30
	v_sub_nc_u32_e32 v22, 0, v21
	s_delay_alu instid0(VALU_DEP_1) | instskip(SKIP_3) | instid1(VALU_DEP_4)
	v_xor_b32_e32 v23, v19, v22
	v_cmp_ne_u32_e32 vcc_lo, v19, v22
	v_xor_b32_e32 v18, v20, v22
	v_xor_b32_e32 v12, v12, v22
	v_clz_i32_u32_e32 v25, v23
	s_delay_alu instid0(VALU_DEP_1) | instskip(NEXT) | instid1(VALU_DEP_1)
	v_add_nc_u32_e32 v24, 1, v25
	v_cndmask_b32_e32 v19, 33, v24, vcc_lo
	s_delay_alu instid0(VALU_DEP_1) | instskip(NEXT) | instid1(VALU_DEP_1)
	v_sub_nc_u32_e32 v20, 32, v19
	v_alignbit_b32 v22, v23, v18, v20
	v_alignbit_b32 v12, v18, v12, v20
	v_lshrrev_b32_e32 v18, 29, v11
	v_lshrrev_b32_e32 v11, 30, v11
	s_delay_alu instid0(VALU_DEP_3) | instskip(NEXT) | instid1(VALU_DEP_3)
	v_alignbit_b32 v20, v22, v12, 9
	v_lshlrev_b32_e32 v18, 31, v18
	v_alignbit_b32 v22, v19, v22, 9
	s_delay_alu instid0(VALU_DEP_3) | instskip(NEXT) | instid1(VALU_DEP_2)
	v_clz_i32_u32_e32 v23, v20
	v_or_b32_e32 v22, v22, v18
	v_or_b32_e32 v18, 0x33800000, v18
	s_delay_alu instid0(VALU_DEP_3) | instskip(NEXT) | instid1(VALU_DEP_3)
	v_min_u32_e32 v23, 32, v23
	v_xor_b32_e32 v22, 1.0, v22
	s_delay_alu instid0(VALU_DEP_2) | instskip(SKIP_1) | instid1(VALU_DEP_3)
	v_sub_nc_u32_e32 v24, 31, v23
	v_add_lshl_u32 v19, v23, v19, 23
	v_mul_f32_e32 v23, 0x3fc90fda, v22
	s_delay_alu instid0(VALU_DEP_3) | instskip(NEXT) | instid1(VALU_DEP_3)
	v_alignbit_b32 v12, v20, v12, v24
	v_sub_nc_u32_e32 v18, v18, v19
	s_delay_alu instid0(VALU_DEP_3) | instskip(NEXT) | instid1(VALU_DEP_3)
	v_fma_f32 v19, 0x3fc90fda, v22, -v23
                                        ; implicit-def: $vgpr20
	v_lshrrev_b32_e32 v12, 9, v12
	s_delay_alu instid0(VALU_DEP_2) | instskip(NEXT) | instid1(VALU_DEP_2)
	v_fmac_f32_e32 v19, 0x33a22168, v22
	v_or_b32_e32 v12, v18, v12
	s_delay_alu instid0(VALU_DEP_1) | instskip(NEXT) | instid1(VALU_DEP_1)
	v_fmac_f32_e32 v19, 0x3fc90fda, v12
	v_add_f32_e32 v12, v23, v19
	v_add_nc_u32_e32 v19, v21, v11
	s_and_not1_saveexec_b32 s0, s17
	s_cbranch_execz .LBB163_176
	s_branch .LBB163_328
.LBB163_327:                            ;   in Loop: Header=BB163_180 Depth=1
	s_and_not1_saveexec_b32 s0, s17
	s_cbranch_execz .LBB163_176
.LBB163_328:                            ;   in Loop: Header=BB163_180 Depth=1
	v_fma_f32 v12, 0xbfc90fda, v20, |v3|
	v_cvt_i32_f32_e32 v19, v20
	s_delay_alu instid0(VALU_DEP_2) | instskip(NEXT) | instid1(VALU_DEP_1)
	v_fmac_f32_e32 v12, 0xb3a22168, v20
	v_fmac_f32_e32 v12, 0xa7c234c4, v20
	s_branch .LBB163_176
.LBB163_329:
	s_nop 0
	s_sendmsg sendmsg(MSG_DEALLOC_VGPRS)
	s_endpgm
	.section	.rodata,"a",@progbits
	.p2align	6, 0x0
	.amdhsa_kernel _ZN2at6native12_GLOBAL__N_125multi_tensor_apply_kernelINS1_18TensorListMetadataILi1EEENS1_14UnaryOpFunctorIN3c107complexIfEELi1ELi1ELi0EEEJNS0_4TanhIS8_EEEEEvT_T0_DpT1_
		.amdhsa_group_segment_fixed_size 0
		.amdhsa_private_segment_fixed_size 0
		.amdhsa_kernarg_size 3632
		.amdhsa_user_sgpr_count 15
		.amdhsa_user_sgpr_dispatch_ptr 0
		.amdhsa_user_sgpr_queue_ptr 0
		.amdhsa_user_sgpr_kernarg_segment_ptr 1
		.amdhsa_user_sgpr_dispatch_id 0
		.amdhsa_user_sgpr_private_segment_size 0
		.amdhsa_wavefront_size32 1
		.amdhsa_uses_dynamic_stack 0
		.amdhsa_enable_private_segment 0
		.amdhsa_system_sgpr_workgroup_id_x 1
		.amdhsa_system_sgpr_workgroup_id_y 0
		.amdhsa_system_sgpr_workgroup_id_z 0
		.amdhsa_system_sgpr_workgroup_info 0
		.amdhsa_system_vgpr_workitem_id 0
		.amdhsa_next_free_vgpr 37
		.amdhsa_next_free_sgpr 35
		.amdhsa_reserve_vcc 1
		.amdhsa_float_round_mode_32 0
		.amdhsa_float_round_mode_16_64 0
		.amdhsa_float_denorm_mode_32 3
		.amdhsa_float_denorm_mode_16_64 3
		.amdhsa_dx10_clamp 1
		.amdhsa_ieee_mode 1
		.amdhsa_fp16_overflow 0
		.amdhsa_workgroup_processor_mode 1
		.amdhsa_memory_ordered 1
		.amdhsa_forward_progress 0
		.amdhsa_shared_vgpr_count 0
		.amdhsa_exception_fp_ieee_invalid_op 0
		.amdhsa_exception_fp_denorm_src 0
		.amdhsa_exception_fp_ieee_div_zero 0
		.amdhsa_exception_fp_ieee_overflow 0
		.amdhsa_exception_fp_ieee_underflow 0
		.amdhsa_exception_fp_ieee_inexact 0
		.amdhsa_exception_int_div_zero 0
	.end_amdhsa_kernel
	.section	.text._ZN2at6native12_GLOBAL__N_125multi_tensor_apply_kernelINS1_18TensorListMetadataILi1EEENS1_14UnaryOpFunctorIN3c107complexIfEELi1ELi1ELi0EEEJNS0_4TanhIS8_EEEEEvT_T0_DpT1_,"axG",@progbits,_ZN2at6native12_GLOBAL__N_125multi_tensor_apply_kernelINS1_18TensorListMetadataILi1EEENS1_14UnaryOpFunctorIN3c107complexIfEELi1ELi1ELi0EEEJNS0_4TanhIS8_EEEEEvT_T0_DpT1_,comdat
.Lfunc_end163:
	.size	_ZN2at6native12_GLOBAL__N_125multi_tensor_apply_kernelINS1_18TensorListMetadataILi1EEENS1_14UnaryOpFunctorIN3c107complexIfEELi1ELi1ELi0EEEJNS0_4TanhIS8_EEEEEvT_T0_DpT1_, .Lfunc_end163-_ZN2at6native12_GLOBAL__N_125multi_tensor_apply_kernelINS1_18TensorListMetadataILi1EEENS1_14UnaryOpFunctorIN3c107complexIfEELi1ELi1ELi0EEEJNS0_4TanhIS8_EEEEEvT_T0_DpT1_
                                        ; -- End function
	.section	.AMDGPU.csdata,"",@progbits
; Kernel info:
; codeLenInByte = 48816
; NumSgprs: 37
; NumVgprs: 37
; ScratchSize: 0
; MemoryBound: 1
; FloatMode: 240
; IeeeMode: 1
; LDSByteSize: 0 bytes/workgroup (compile time only)
; SGPRBlocks: 4
; VGPRBlocks: 4
; NumSGPRsForWavesPerEU: 37
; NumVGPRsForWavesPerEU: 37
; Occupancy: 16
; WaveLimiterHint : 0
; COMPUTE_PGM_RSRC2:SCRATCH_EN: 0
; COMPUTE_PGM_RSRC2:USER_SGPR: 15
; COMPUTE_PGM_RSRC2:TRAP_HANDLER: 0
; COMPUTE_PGM_RSRC2:TGID_X_EN: 1
; COMPUTE_PGM_RSRC2:TGID_Y_EN: 0
; COMPUTE_PGM_RSRC2:TGID_Z_EN: 0
; COMPUTE_PGM_RSRC2:TIDIG_COMP_CNT: 0
	.section	.text._ZN2at6native12_GLOBAL__N_125multi_tensor_apply_kernelINS1_18TensorListMetadataILi1EEENS1_14UnaryOpFunctorIN3c104HalfELi1ELi1ELi0EEEJNS0_4TanhIfEEEEEvT_T0_DpT1_,"axG",@progbits,_ZN2at6native12_GLOBAL__N_125multi_tensor_apply_kernelINS1_18TensorListMetadataILi1EEENS1_14UnaryOpFunctorIN3c104HalfELi1ELi1ELi0EEEJNS0_4TanhIfEEEEEvT_T0_DpT1_,comdat
	.globl	_ZN2at6native12_GLOBAL__N_125multi_tensor_apply_kernelINS1_18TensorListMetadataILi1EEENS1_14UnaryOpFunctorIN3c104HalfELi1ELi1ELi0EEEJNS0_4TanhIfEEEEEvT_T0_DpT1_ ; -- Begin function _ZN2at6native12_GLOBAL__N_125multi_tensor_apply_kernelINS1_18TensorListMetadataILi1EEENS1_14UnaryOpFunctorIN3c104HalfELi1ELi1ELi0EEEJNS0_4TanhIfEEEEEvT_T0_DpT1_
	.p2align	8
	.type	_ZN2at6native12_GLOBAL__N_125multi_tensor_apply_kernelINS1_18TensorListMetadataILi1EEENS1_14UnaryOpFunctorIN3c104HalfELi1ELi1ELi0EEEJNS0_4TanhIfEEEEEvT_T0_DpT1_,@function
_ZN2at6native12_GLOBAL__N_125multi_tensor_apply_kernelINS1_18TensorListMetadataILi1EEENS1_14UnaryOpFunctorIN3c104HalfELi1ELi1ELi0EEEJNS0_4TanhIfEEEEEvT_T0_DpT1_: ; @_ZN2at6native12_GLOBAL__N_125multi_tensor_apply_kernelINS1_18TensorListMetadataILi1EEENS1_14UnaryOpFunctorIN3c104HalfELi1ELi1ELi0EEEJNS0_4TanhIfEEEEEvT_T0_DpT1_
; %bb.0:
	v_mov_b32_e32 v1, s15
	s_add_u32 s2, s0, s15
	s_mul_hi_u32 s3, s15, 3
	s_mul_i32 s15, s15, 3
	s_addc_u32 s4, s1, 0
	global_load_u8 v1, v1, s[0:1] offset:1760
	s_add_u32 s2, s2, s15
	s_addc_u32 s3, s4, s3
	s_mov_b32 s13, 0
	s_load_b32 s2, s[2:3], 0x820
	s_waitcnt vmcnt(0)
	v_readfirstlane_b32 s5, v1
	s_delay_alu instid0(VALU_DEP_1)
	s_lshl_b32 s3, s5, 3
	s_clause 0x1
	s_load_b64 s[8:9], s[0:1], s3 offset:0x0
	s_load_b64 s[4:5], s[0:1], s3 offset:0x370
	s_waitcnt lgkmcnt(0)
	s_ashr_i32 s3, s2, 31
	s_delay_alu instid0(SALU_CYCLE_1)
	s_lshl_b64 s[10:11], s[2:3], 17
	s_lshl_b64 s[2:3], s[2:3], 16
	s_and_b32 s12, s8, 7
	s_sub_u32 s6, s4, s2
	s_subb_u32 s7, s5, s3
	s_and_b32 s2, s4, 3
	s_mov_b32 s3, s13
	s_delay_alu instid0(SALU_CYCLE_1) | instskip(NEXT) | instid1(SALU_CYCLE_1)
	s_or_b64 s[2:3], s[12:13], s[2:3]
	s_cmp_eq_u64 s[2:3], 0
	s_cbranch_scc1 .LBB164_37
; %bb.1:
	v_cmp_lt_i64_e64 s2, s[6:7], 1
	s_delay_alu instid0(VALU_DEP_1)
	s_and_b32 vcc_lo, exec_lo, s2
	s_cbranch_vccnz .LBB164_36
; %bb.2:
	s_load_b32 s2, s[0:1], 0xd3c
	v_cmp_gt_u64_e64 s3, 0x10000, s[6:7]
	v_lshlrev_b32_e32 v1, 1, v0
	s_mov_b32 s19, 0xbbbac73d
	s_waitcnt lgkmcnt(0)
	s_and_b32 s2, s2, 0xffff
	s_delay_alu instid0(VALU_DEP_2)
	s_and_b32 s3, s3, exec_lo
	v_add_co_u32 v5, s5, v0, s2
	s_cselect_b32 s13, s7, 0
	s_cselect_b32 s12, s6, 0x10000
	s_lshl_b32 s3, s2, 1
	s_lshl_b32 s16, s2, 2
	v_lshlrev_b32_e32 v3, 1, v5
	v_add_co_ci_u32_e64 v6, null, 0, 0, s5
	s_add_u32 s5, s8, s10
	v_add_co_u32 v9, s3, s3, v0
	s_mul_i32 s4, s2, 3
	s_addc_u32 s14, s9, s11
	v_add_co_ci_u32_e64 v10, null, 0, 0, s3
	v_add_co_u32 v1, s3, s5, v1
	v_add_co_u32 v7, s4, s4, v0
	v_add_co_ci_u32_e64 v2, null, s14, 0, s3
	v_add_co_u32 v3, s3, s5, v3
	v_add_co_ci_u32_e64 v8, null, 0, 0, s4
	v_add_co_ci_u32_e64 v4, null, s14, 0, s3
	s_lshl_b32 s17, s2, 3
	s_mul_i32 s18, s2, 6
	s_mov_b64 s[14:15], 0
	s_branch .LBB164_4
.LBB164_3:                              ;   in Loop: Header=BB164_4 Depth=1
	s_or_b32 exec_lo, exec_lo, s2
	s_add_u32 s14, s14, s16
	s_addc_u32 s15, s15, 0
	v_add_co_u32 v1, vcc_lo, v1, s17
	v_cmp_ge_i64_e64 s2, s[14:15], s[6:7]
	v_cmp_lt_u64_e64 s3, 0xffff, s[14:15]
	v_add_co_ci_u32_e32 v2, vcc_lo, 0, v2, vcc_lo
	v_add_co_u32 v3, vcc_lo, v3, s17
	v_add_co_ci_u32_e32 v4, vcc_lo, 0, v4, vcc_lo
	s_delay_alu instid0(VALU_DEP_4) | instskip(NEXT) | instid1(SALU_CYCLE_1)
	s_or_b32 s2, s2, s3
	s_and_b32 vcc_lo, exec_lo, s2
	s_cbranch_vccnz .LBB164_36
.LBB164_4:                              ; =>This Inner Loop Header: Depth=1
	v_add_co_u32 v11, s2, v0, s14
	s_delay_alu instid0(VALU_DEP_1) | instskip(NEXT) | instid1(VALU_DEP_1)
	v_add_co_ci_u32_e64 v12, null, 0, s15, s2
	v_cmp_gt_u64_e32 vcc_lo, s[12:13], v[11:12]
	v_mov_b32_e32 v11, 0
	s_and_saveexec_b32 s2, vcc_lo
	s_cbranch_execz .LBB164_6
; %bb.5:                                ;   in Loop: Header=BB164_4 Depth=1
	global_load_u16 v11, v[1:2], off
.LBB164_6:                              ;   in Loop: Header=BB164_4 Depth=1
	s_or_b32 exec_lo, exec_lo, s2
	v_add_co_u32 v12, s2, v5, s14
	s_delay_alu instid0(VALU_DEP_1) | instskip(SKIP_1) | instid1(VALU_DEP_2)
	v_add_co_ci_u32_e64 v13, s2, s15, v6, s2
	v_mov_b32_e32 v14, 0
	v_cmp_gt_u64_e64 s2, s[12:13], v[12:13]
	s_delay_alu instid0(VALU_DEP_1)
	s_and_saveexec_b32 s3, s2
	s_cbranch_execz .LBB164_8
; %bb.7:                                ;   in Loop: Header=BB164_4 Depth=1
	global_load_u16 v14, v[3:4], off
.LBB164_8:                              ;   in Loop: Header=BB164_4 Depth=1
	s_or_b32 exec_lo, exec_lo, s3
	v_add_co_u32 v12, s3, v9, s14
	s_delay_alu instid0(VALU_DEP_1) | instskip(SKIP_1) | instid1(VALU_DEP_2)
	v_add_co_ci_u32_e64 v13, s3, s15, v10, s3
	v_mov_b32_e32 v16, 0
	v_cmp_gt_u64_e64 s3, s[12:13], v[12:13]
	v_mov_b32_e32 v12, 0
	s_delay_alu instid0(VALU_DEP_2)
	s_and_saveexec_b32 s5, s3
	s_cbranch_execz .LBB164_10
; %bb.9:                                ;   in Loop: Header=BB164_4 Depth=1
	v_add_co_u32 v15, s4, v1, s16
	s_delay_alu instid0(VALU_DEP_1)
	v_add_co_ci_u32_e64 v16, s4, 0, v2, s4
	global_load_u16 v16, v[15:16], off
.LBB164_10:                             ;   in Loop: Header=BB164_4 Depth=1
	s_or_b32 exec_lo, exec_lo, s5
	v_add_co_u32 v17, s4, v7, s14
	s_delay_alu instid0(VALU_DEP_1) | instskip(NEXT) | instid1(VALU_DEP_1)
	v_add_co_ci_u32_e64 v18, s4, s15, v8, s4
	v_cmp_gt_u64_e64 s4, s[12:13], v[17:18]
	s_delay_alu instid0(VALU_DEP_1)
	s_and_saveexec_b32 s20, s4
	s_cbranch_execz .LBB164_12
; %bb.11:                               ;   in Loop: Header=BB164_4 Depth=1
	v_add_co_u32 v12, s5, v1, s18
	s_delay_alu instid0(VALU_DEP_1)
	v_add_co_ci_u32_e64 v13, s5, 0, v2, s5
	global_load_u16 v12, v[12:13], off
.LBB164_12:                             ;   in Loop: Header=BB164_4 Depth=1
	s_or_b32 exec_lo, exec_lo, s20
	s_waitcnt vmcnt(0)
	v_cvt_f32_f16_e32 v11, v11
	s_mov_b32 s20, exec_lo
                                        ; implicit-def: $vgpr13
	s_delay_alu instid0(VALU_DEP_1)
	v_cmpx_ngt_f32_e64 0x3f200000, |v11|
	s_xor_b32 s20, exec_lo, s20
	s_cbranch_execz .LBB164_14
; %bb.13:                               ;   in Loop: Header=BB164_4 Depth=1
	v_add_f32_e64 v13, |v11|, |v11|
	s_delay_alu instid0(VALU_DEP_1) | instskip(SKIP_1) | instid1(VALU_DEP_2)
	v_mul_f32_e32 v15, 0x3fb8aa3b, v13
	v_cmp_ngt_f32_e64 s5, 0xc2ce8ed0, v13
	v_rndne_f32_e32 v17, v15
	v_fma_f32 v18, 0x3fb8aa3b, v13, -v15
	s_delay_alu instid0(VALU_DEP_2) | instskip(NEXT) | instid1(VALU_DEP_2)
	v_sub_f32_e32 v15, v15, v17
	v_fmac_f32_e32 v18, 0x32a5705f, v13
	v_cvt_i32_f32_e32 v17, v17
	s_delay_alu instid0(VALU_DEP_2) | instskip(NEXT) | instid1(VALU_DEP_1)
	v_add_f32_e32 v15, v15, v18
	v_exp_f32_e32 v15, v15
	s_waitcnt_depctr 0xfff
	v_ldexp_f32 v15, v15, v17
	s_delay_alu instid0(VALU_DEP_1) | instskip(SKIP_1) | instid1(VALU_DEP_1)
	v_cndmask_b32_e64 v15, 0, v15, s5
	v_cmp_nlt_f32_e64 s5, 0x42b17218, v13
	v_cndmask_b32_e64 v13, 0x7f800000, v15, s5
	s_delay_alu instid0(VALU_DEP_1) | instskip(NEXT) | instid1(VALU_DEP_1)
	v_add_f32_e32 v13, 1.0, v13
	v_rcp_f32_e32 v13, v13
	s_waitcnt_depctr 0xfff
	v_fma_f32 v13, v13, -2.0, 1.0
.LBB164_14:                             ;   in Loop: Header=BB164_4 Depth=1
	s_and_not1_saveexec_b32 s5, s20
; %bb.15:                               ;   in Loop: Header=BB164_4 Depth=1
	v_mul_f32_e32 v13, v11, v11
	s_delay_alu instid0(VALU_DEP_1) | instskip(NEXT) | instid1(VALU_DEP_1)
	v_fmaak_f32 v15, s19, v13, 0x3ca908c9
	v_fmaak_f32 v15, v13, v15, 0xbd5c1c4e
	s_delay_alu instid0(VALU_DEP_1) | instskip(NEXT) | instid1(VALU_DEP_1)
	v_fmaak_f32 v15, v13, v15, 0x3e088382
	v_fmaak_f32 v15, v13, v15, 0xbeaaaa99
	s_delay_alu instid0(VALU_DEP_1) | instskip(NEXT) | instid1(VALU_DEP_1)
	v_mul_f32_e64 v15, |v11|, v15
	v_fma_f32 v13, v13, v15, |v11|
; %bb.16:                               ;   in Loop: Header=BB164_4 Depth=1
	s_or_b32 exec_lo, exec_lo, s5
	v_cvt_f32_f16_e32 v14, v14
	s_mov_b32 s20, exec_lo
                                        ; implicit-def: $vgpr15
	s_delay_alu instid0(VALU_DEP_1)
	v_cmpx_ngt_f32_e64 0x3f200000, |v14|
	s_xor_b32 s20, exec_lo, s20
	s_cbranch_execz .LBB164_18
; %bb.17:                               ;   in Loop: Header=BB164_4 Depth=1
	v_add_f32_e64 v15, |v14|, |v14|
	s_delay_alu instid0(VALU_DEP_1) | instskip(SKIP_1) | instid1(VALU_DEP_2)
	v_mul_f32_e32 v17, 0x3fb8aa3b, v15
	v_cmp_ngt_f32_e64 s5, 0xc2ce8ed0, v15
	v_rndne_f32_e32 v18, v17
	v_fma_f32 v19, 0x3fb8aa3b, v15, -v17
	s_delay_alu instid0(VALU_DEP_2) | instskip(NEXT) | instid1(VALU_DEP_2)
	v_sub_f32_e32 v17, v17, v18
	v_fmac_f32_e32 v19, 0x32a5705f, v15
	v_cvt_i32_f32_e32 v18, v18
	s_delay_alu instid0(VALU_DEP_2) | instskip(NEXT) | instid1(VALU_DEP_1)
	v_add_f32_e32 v17, v17, v19
	v_exp_f32_e32 v17, v17
	s_waitcnt_depctr 0xfff
	v_ldexp_f32 v17, v17, v18
	s_delay_alu instid0(VALU_DEP_1) | instskip(SKIP_1) | instid1(VALU_DEP_1)
	v_cndmask_b32_e64 v17, 0, v17, s5
	v_cmp_nlt_f32_e64 s5, 0x42b17218, v15
	v_cndmask_b32_e64 v15, 0x7f800000, v17, s5
	s_delay_alu instid0(VALU_DEP_1) | instskip(NEXT) | instid1(VALU_DEP_1)
	v_add_f32_e32 v15, 1.0, v15
	v_rcp_f32_e32 v15, v15
	s_waitcnt_depctr 0xfff
	v_fma_f32 v15, v15, -2.0, 1.0
.LBB164_18:                             ;   in Loop: Header=BB164_4 Depth=1
	s_and_not1_saveexec_b32 s5, s20
; %bb.19:                               ;   in Loop: Header=BB164_4 Depth=1
	v_mul_f32_e32 v15, v14, v14
	s_delay_alu instid0(VALU_DEP_1) | instskip(NEXT) | instid1(VALU_DEP_1)
	v_fmaak_f32 v17, s19, v15, 0x3ca908c9
	v_fmaak_f32 v17, v15, v17, 0xbd5c1c4e
	s_delay_alu instid0(VALU_DEP_1) | instskip(NEXT) | instid1(VALU_DEP_1)
	v_fmaak_f32 v17, v15, v17, 0x3e088382
	v_fmaak_f32 v17, v15, v17, 0xbeaaaa99
	s_delay_alu instid0(VALU_DEP_1) | instskip(NEXT) | instid1(VALU_DEP_1)
	v_mul_f32_e64 v17, |v14|, v17
	v_fma_f32 v15, v15, v17, |v14|
; %bb.20:                               ;   in Loop: Header=BB164_4 Depth=1
	s_or_b32 exec_lo, exec_lo, s5
	v_cvt_f32_f16_e32 v16, v16
	s_mov_b32 s20, exec_lo
                                        ; implicit-def: $vgpr17
	s_delay_alu instid0(VALU_DEP_1)
	v_cmpx_ngt_f32_e64 0x3f200000, |v16|
	s_xor_b32 s20, exec_lo, s20
	s_cbranch_execz .LBB164_22
; %bb.21:                               ;   in Loop: Header=BB164_4 Depth=1
	v_add_f32_e64 v17, |v16|, |v16|
	s_delay_alu instid0(VALU_DEP_1) | instskip(SKIP_1) | instid1(VALU_DEP_2)
	v_mul_f32_e32 v18, 0x3fb8aa3b, v17
	v_cmp_ngt_f32_e64 s5, 0xc2ce8ed0, v17
	v_rndne_f32_e32 v19, v18
	v_fma_f32 v20, 0x3fb8aa3b, v17, -v18
	s_delay_alu instid0(VALU_DEP_2) | instskip(NEXT) | instid1(VALU_DEP_2)
	v_sub_f32_e32 v18, v18, v19
	v_fmac_f32_e32 v20, 0x32a5705f, v17
	v_cvt_i32_f32_e32 v19, v19
	s_delay_alu instid0(VALU_DEP_2) | instskip(NEXT) | instid1(VALU_DEP_1)
	v_add_f32_e32 v18, v18, v20
	v_exp_f32_e32 v18, v18
	s_waitcnt_depctr 0xfff
	v_ldexp_f32 v18, v18, v19
	s_delay_alu instid0(VALU_DEP_1) | instskip(SKIP_1) | instid1(VALU_DEP_1)
	v_cndmask_b32_e64 v18, 0, v18, s5
	v_cmp_nlt_f32_e64 s5, 0x42b17218, v17
	v_cndmask_b32_e64 v17, 0x7f800000, v18, s5
	s_delay_alu instid0(VALU_DEP_1) | instskip(NEXT) | instid1(VALU_DEP_1)
	v_add_f32_e32 v17, 1.0, v17
	v_rcp_f32_e32 v17, v17
	s_waitcnt_depctr 0xfff
	v_fma_f32 v17, v17, -2.0, 1.0
.LBB164_22:                             ;   in Loop: Header=BB164_4 Depth=1
	s_and_not1_saveexec_b32 s5, s20
; %bb.23:                               ;   in Loop: Header=BB164_4 Depth=1
	v_mul_f32_e32 v17, v16, v16
	s_delay_alu instid0(VALU_DEP_1) | instskip(NEXT) | instid1(VALU_DEP_1)
	v_fmaak_f32 v18, s19, v17, 0x3ca908c9
	v_fmaak_f32 v18, v17, v18, 0xbd5c1c4e
	s_delay_alu instid0(VALU_DEP_1) | instskip(NEXT) | instid1(VALU_DEP_1)
	v_fmaak_f32 v18, v17, v18, 0x3e088382
	v_fmaak_f32 v18, v17, v18, 0xbeaaaa99
	s_delay_alu instid0(VALU_DEP_1) | instskip(NEXT) | instid1(VALU_DEP_1)
	v_mul_f32_e64 v18, |v16|, v18
	v_fma_f32 v17, v17, v18, |v16|
; %bb.24:                               ;   in Loop: Header=BB164_4 Depth=1
	s_or_b32 exec_lo, exec_lo, s5
	v_cvt_f32_f16_e32 v12, v12
	s_mov_b32 s20, exec_lo
                                        ; implicit-def: $vgpr18
	s_delay_alu instid0(VALU_DEP_1)
	v_cmpx_ngt_f32_e64 0x3f200000, |v12|
	s_xor_b32 s20, exec_lo, s20
	s_cbranch_execnz .LBB164_30
; %bb.25:                               ;   in Loop: Header=BB164_4 Depth=1
	s_and_not1_saveexec_b32 s5, s20
	s_cbranch_execnz .LBB164_31
.LBB164_26:                             ;   in Loop: Header=BB164_4 Depth=1
	s_or_b32 exec_lo, exec_lo, s5
	s_and_saveexec_b32 s5, vcc_lo
	s_delay_alu instid0(SALU_CYCLE_1)
	s_xor_b32 s5, exec_lo, s5
	s_cbranch_execnz .LBB164_32
.LBB164_27:                             ;   in Loop: Header=BB164_4 Depth=1
	s_or_b32 exec_lo, exec_lo, s5
	s_and_saveexec_b32 s5, s2
	s_cbranch_execnz .LBB164_33
.LBB164_28:                             ;   in Loop: Header=BB164_4 Depth=1
	s_or_b32 exec_lo, exec_lo, s5
	s_and_saveexec_b32 s2, s3
	s_cbranch_execnz .LBB164_34
.LBB164_29:                             ;   in Loop: Header=BB164_4 Depth=1
	s_or_b32 exec_lo, exec_lo, s2
	s_and_saveexec_b32 s2, s4
	s_cbranch_execz .LBB164_3
	s_branch .LBB164_35
.LBB164_30:                             ;   in Loop: Header=BB164_4 Depth=1
	v_add_f32_e64 v18, |v12|, |v12|
	s_delay_alu instid0(VALU_DEP_1) | instskip(SKIP_1) | instid1(VALU_DEP_2)
	v_mul_f32_e32 v19, 0x3fb8aa3b, v18
	v_cmp_ngt_f32_e64 s5, 0xc2ce8ed0, v18
	v_rndne_f32_e32 v20, v19
	v_fma_f32 v21, 0x3fb8aa3b, v18, -v19
	s_delay_alu instid0(VALU_DEP_2) | instskip(NEXT) | instid1(VALU_DEP_2)
	v_sub_f32_e32 v19, v19, v20
	v_fmac_f32_e32 v21, 0x32a5705f, v18
	v_cvt_i32_f32_e32 v20, v20
	s_delay_alu instid0(VALU_DEP_2) | instskip(NEXT) | instid1(VALU_DEP_1)
	v_add_f32_e32 v19, v19, v21
	v_exp_f32_e32 v19, v19
	s_waitcnt_depctr 0xfff
	v_ldexp_f32 v19, v19, v20
	s_delay_alu instid0(VALU_DEP_1) | instskip(SKIP_1) | instid1(VALU_DEP_1)
	v_cndmask_b32_e64 v19, 0, v19, s5
	v_cmp_nlt_f32_e64 s5, 0x42b17218, v18
	v_cndmask_b32_e64 v18, 0x7f800000, v19, s5
	s_delay_alu instid0(VALU_DEP_1) | instskip(NEXT) | instid1(VALU_DEP_1)
	v_add_f32_e32 v18, 1.0, v18
	v_rcp_f32_e32 v18, v18
	s_waitcnt_depctr 0xfff
	v_fma_f32 v18, v18, -2.0, 1.0
	s_and_not1_saveexec_b32 s5, s20
	s_cbranch_execz .LBB164_26
.LBB164_31:                             ;   in Loop: Header=BB164_4 Depth=1
	v_mul_f32_e32 v18, v12, v12
	s_delay_alu instid0(VALU_DEP_1) | instskip(NEXT) | instid1(VALU_DEP_1)
	v_fmaak_f32 v19, s19, v18, 0x3ca908c9
	v_fmaak_f32 v19, v18, v19, 0xbd5c1c4e
	s_delay_alu instid0(VALU_DEP_1) | instskip(NEXT) | instid1(VALU_DEP_1)
	v_fmaak_f32 v19, v18, v19, 0x3e088382
	v_fmaak_f32 v19, v18, v19, 0xbeaaaa99
	s_delay_alu instid0(VALU_DEP_1) | instskip(NEXT) | instid1(VALU_DEP_1)
	v_mul_f32_e64 v19, |v12|, v19
	v_fma_f32 v18, v18, v19, |v12|
	s_or_b32 exec_lo, exec_lo, s5
	s_and_saveexec_b32 s5, vcc_lo
	s_delay_alu instid0(SALU_CYCLE_1)
	s_xor_b32 s5, exec_lo, s5
	s_cbranch_execz .LBB164_27
.LBB164_32:                             ;   in Loop: Header=BB164_4 Depth=1
	v_cvt_f16_f32_e32 v13, v13
	v_lshrrev_b32_e32 v11, 16, v11
	s_delay_alu instid0(VALU_DEP_1)
	v_bfi_b32 v11, 0x7fff, v13, v11
	global_store_b16 v[1:2], v11, off
	s_or_b32 exec_lo, exec_lo, s5
	s_and_saveexec_b32 s5, s2
	s_cbranch_execz .LBB164_28
.LBB164_33:                             ;   in Loop: Header=BB164_4 Depth=1
	v_cvt_f16_f32_e32 v11, v15
	v_lshrrev_b32_e32 v13, 16, v14
	s_delay_alu instid0(VALU_DEP_1)
	v_bfi_b32 v11, 0x7fff, v11, v13
	global_store_b16 v[3:4], v11, off
	s_or_b32 exec_lo, exec_lo, s5
	s_and_saveexec_b32 s2, s3
	s_cbranch_execz .LBB164_29
.LBB164_34:                             ;   in Loop: Header=BB164_4 Depth=1
	v_cvt_f16_f32_e32 v11, v17
	v_lshrrev_b32_e32 v13, 16, v16
	s_delay_alu instid0(VALU_DEP_1)
	v_bfi_b32 v11, 0x7fff, v11, v13
	v_add_co_u32 v13, vcc_lo, v1, s16
	v_add_co_ci_u32_e32 v14, vcc_lo, 0, v2, vcc_lo
	global_store_b16 v[13:14], v11, off
	s_or_b32 exec_lo, exec_lo, s2
	s_and_saveexec_b32 s2, s4
	s_cbranch_execz .LBB164_3
.LBB164_35:                             ;   in Loop: Header=BB164_4 Depth=1
	v_cvt_f16_f32_e32 v11, v18
	v_lshrrev_b32_e32 v12, 16, v12
	s_delay_alu instid0(VALU_DEP_1)
	v_bfi_b32 v13, 0x7fff, v11, v12
	v_add_co_u32 v11, vcc_lo, v1, s18
	v_add_co_ci_u32_e32 v12, vcc_lo, 0, v2, vcc_lo
	global_store_b16 v[11:12], v13, off
	s_branch .LBB164_3
.LBB164_36:
	s_cbranch_execz .LBB164_38
	s_branch .LBB164_57
.LBB164_37:
.LBB164_38:
	v_dual_mov_b32 v2, 0 :: v_dual_lshlrev_b32 v1, 2, v0
	s_mov_b32 s2, 0
	s_mov_b32 s3, exec_lo
	s_delay_alu instid0(VALU_DEP_1)
	v_cmpx_gt_i64_e64 s[6:7], v[1:2]
	s_cbranch_execz .LBB164_57
; %bb.39:
	s_load_b32 s0, s[0:1], 0xd3c
	v_lshlrev_b32_e32 v1, 3, v0
	s_waitcnt lgkmcnt(0)
	s_and_b32 s0, s0, 0xffff
	s_delay_alu instid0(SALU_CYCLE_1) | instskip(SKIP_3) | instid1(VALU_DEP_1)
	s_lshl_b32 s1, s0, 2
	s_add_u32 s3, s8, s10
	s_addc_u32 s4, s9, s11
	v_add_co_u32 v3, s3, s3, v1
	v_add_co_ci_u32_e64 v4, null, s4, 0, s3
	v_add_lshl_u32 v1, v0, s0, 2
	s_delay_alu instid0(VALU_DEP_3) | instskip(NEXT) | instid1(VALU_DEP_3)
	v_add_co_u32 v3, vcc_lo, v3, 4
	v_add_co_ci_u32_e32 v4, vcc_lo, 0, v4, vcc_lo
	s_lshl_b32 s3, s0, 3
	s_mov_b32 s4, 0xbbbac73d
	s_branch .LBB164_41
.LBB164_40:                             ;   in Loop: Header=BB164_41 Depth=1
	s_or_b32 exec_lo, exec_lo, s0
	v_cvt_f16_f32_e32 v10, v10
	v_lshrrev_b32_e32 v9, 16, v9
	v_cvt_f16_f32_e32 v8, v8
	v_lshrrev_b32_e32 v5, 16, v5
	v_cvt_f16_f32_e32 v7, v7
	v_cvt_f16_f32_e32 v11, v11
	v_lshrrev_b32_e32 v6, 16, v6
	v_lshrrev_b32_e32 v0, 16, v0
	v_bfi_b32 v9, 0x7fff, v10, v9
	v_bfi_b32 v5, 0x7fff, v8, v5
	v_cmp_le_i64_e32 vcc_lo, s[6:7], v[1:2]
	v_bfi_b32 v6, 0x7fff, v11, v6
	v_bfi_b32 v0, 0x7fff, v7, v0
	v_cmp_lt_u64_e64 s0, 0xffff, v[1:2]
	s_delay_alu instid0(VALU_DEP_3) | instskip(NEXT) | instid1(VALU_DEP_3)
	v_pack_b32_f16 v6, v9, v6
	v_pack_b32_f16 v5, v0, v5
	s_delay_alu instid0(VALU_DEP_3)
	s_or_b32 s0, vcc_lo, s0
	v_add_co_u32 v1, vcc_lo, v1, s1
	v_add_co_ci_u32_e32 v2, vcc_lo, 0, v2, vcc_lo
	global_store_b64 v[3:4], v[5:6], off offset:-4
	v_add_co_u32 v3, vcc_lo, v3, s3
	v_add_co_ci_u32_e32 v4, vcc_lo, 0, v4, vcc_lo
	s_and_b32 s0, exec_lo, s0
	s_delay_alu instid0(SALU_CYCLE_1) | instskip(NEXT) | instid1(SALU_CYCLE_1)
	s_or_b32 s2, s0, s2
	s_and_not1_b32 exec_lo, exec_lo, s2
	s_cbranch_execz .LBB164_57
.LBB164_41:                             ; =>This Inner Loop Header: Depth=1
	global_load_b64 v[5:6], v[3:4], off offset:-4
                                        ; implicit-def: $vgpr7
	s_waitcnt vmcnt(0)
	v_cvt_f32_f16_e32 v0, v5
	s_delay_alu instid0(VALU_DEP_1) | instskip(NEXT) | instid1(VALU_DEP_1)
	v_cmp_ngt_f32_e64 s0, 0x3f200000, |v0|
	s_and_saveexec_b32 s5, s0
	s_delay_alu instid0(SALU_CYCLE_1)
	s_xor_b32 s0, exec_lo, s5
	s_cbranch_execz .LBB164_43
; %bb.42:                               ;   in Loop: Header=BB164_41 Depth=1
	v_add_f32_e64 v7, |v0|, |v0|
	s_delay_alu instid0(VALU_DEP_1) | instskip(SKIP_1) | instid1(VALU_DEP_2)
	v_mul_f32_e32 v8, 0x3fb8aa3b, v7
	v_cmp_ngt_f32_e32 vcc_lo, 0xc2ce8ed0, v7
	v_rndne_f32_e32 v9, v8
	v_fma_f32 v10, 0x3fb8aa3b, v7, -v8
	s_delay_alu instid0(VALU_DEP_2) | instskip(NEXT) | instid1(VALU_DEP_2)
	v_sub_f32_e32 v8, v8, v9
	v_fmac_f32_e32 v10, 0x32a5705f, v7
	v_cvt_i32_f32_e32 v9, v9
	s_delay_alu instid0(VALU_DEP_2) | instskip(NEXT) | instid1(VALU_DEP_1)
	v_add_f32_e32 v8, v8, v10
	v_exp_f32_e32 v8, v8
	s_waitcnt_depctr 0xfff
	v_ldexp_f32 v8, v8, v9
	s_delay_alu instid0(VALU_DEP_1) | instskip(SKIP_1) | instid1(VALU_DEP_2)
	v_cndmask_b32_e32 v8, 0, v8, vcc_lo
	v_cmp_nlt_f32_e32 vcc_lo, 0x42b17218, v7
	v_cndmask_b32_e32 v7, 0x7f800000, v8, vcc_lo
	s_delay_alu instid0(VALU_DEP_1) | instskip(NEXT) | instid1(VALU_DEP_1)
	v_add_f32_e32 v7, 1.0, v7
	v_rcp_f32_e32 v7, v7
	s_waitcnt_depctr 0xfff
	v_fma_f32 v7, v7, -2.0, 1.0
.LBB164_43:                             ;   in Loop: Header=BB164_41 Depth=1
	s_and_not1_saveexec_b32 s0, s0
; %bb.44:                               ;   in Loop: Header=BB164_41 Depth=1
	v_mul_f32_e32 v7, v0, v0
	s_delay_alu instid0(VALU_DEP_1) | instskip(NEXT) | instid1(VALU_DEP_1)
	v_fmaak_f32 v8, s4, v7, 0x3ca908c9
	v_fmaak_f32 v8, v7, v8, 0xbd5c1c4e
	s_delay_alu instid0(VALU_DEP_1) | instskip(NEXT) | instid1(VALU_DEP_1)
	v_fmaak_f32 v8, v7, v8, 0x3e088382
	v_fmaak_f32 v8, v7, v8, 0xbeaaaa99
	s_delay_alu instid0(VALU_DEP_1) | instskip(NEXT) | instid1(VALU_DEP_1)
	v_mul_f32_e64 v8, |v0|, v8
	v_fma_f32 v7, v7, v8, |v0|
; %bb.45:                               ;   in Loop: Header=BB164_41 Depth=1
	s_or_b32 exec_lo, exec_lo, s0
	v_lshrrev_b32_e32 v5, 16, v5
                                        ; implicit-def: $vgpr8
	s_delay_alu instid0(VALU_DEP_1) | instskip(NEXT) | instid1(VALU_DEP_1)
	v_cvt_f32_f16_e32 v5, v5
	v_cmp_ngt_f32_e64 s0, 0x3f200000, |v5|
	s_delay_alu instid0(VALU_DEP_1) | instskip(NEXT) | instid1(SALU_CYCLE_1)
	s_and_saveexec_b32 s5, s0
	s_xor_b32 s0, exec_lo, s5
	s_cbranch_execz .LBB164_47
; %bb.46:                               ;   in Loop: Header=BB164_41 Depth=1
	v_add_f32_e64 v8, |v5|, |v5|
	s_delay_alu instid0(VALU_DEP_1) | instskip(SKIP_1) | instid1(VALU_DEP_2)
	v_mul_f32_e32 v9, 0x3fb8aa3b, v8
	v_cmp_ngt_f32_e32 vcc_lo, 0xc2ce8ed0, v8
	v_rndne_f32_e32 v10, v9
	v_fma_f32 v11, 0x3fb8aa3b, v8, -v9
	s_delay_alu instid0(VALU_DEP_2) | instskip(NEXT) | instid1(VALU_DEP_2)
	v_sub_f32_e32 v9, v9, v10
	v_fmac_f32_e32 v11, 0x32a5705f, v8
	v_cvt_i32_f32_e32 v10, v10
	s_delay_alu instid0(VALU_DEP_2) | instskip(NEXT) | instid1(VALU_DEP_1)
	v_add_f32_e32 v9, v9, v11
	v_exp_f32_e32 v9, v9
	s_waitcnt_depctr 0xfff
	v_ldexp_f32 v9, v9, v10
	s_delay_alu instid0(VALU_DEP_1) | instskip(SKIP_1) | instid1(VALU_DEP_2)
	v_cndmask_b32_e32 v9, 0, v9, vcc_lo
	v_cmp_nlt_f32_e32 vcc_lo, 0x42b17218, v8
	v_cndmask_b32_e32 v8, 0x7f800000, v9, vcc_lo
	s_delay_alu instid0(VALU_DEP_1) | instskip(NEXT) | instid1(VALU_DEP_1)
	v_add_f32_e32 v8, 1.0, v8
	v_rcp_f32_e32 v8, v8
	s_waitcnt_depctr 0xfff
	v_fma_f32 v8, v8, -2.0, 1.0
.LBB164_47:                             ;   in Loop: Header=BB164_41 Depth=1
	s_and_not1_saveexec_b32 s0, s0
; %bb.48:                               ;   in Loop: Header=BB164_41 Depth=1
	v_mul_f32_e32 v8, v5, v5
	s_delay_alu instid0(VALU_DEP_1) | instskip(NEXT) | instid1(VALU_DEP_1)
	v_fmaak_f32 v9, s4, v8, 0x3ca908c9
	v_fmaak_f32 v9, v8, v9, 0xbd5c1c4e
	s_delay_alu instid0(VALU_DEP_1) | instskip(NEXT) | instid1(VALU_DEP_1)
	v_fmaak_f32 v9, v8, v9, 0x3e088382
	v_fmaak_f32 v9, v8, v9, 0xbeaaaa99
	s_delay_alu instid0(VALU_DEP_1) | instskip(NEXT) | instid1(VALU_DEP_1)
	v_mul_f32_e64 v9, |v5|, v9
	v_fma_f32 v8, v8, v9, |v5|
; %bb.49:                               ;   in Loop: Header=BB164_41 Depth=1
	s_or_b32 exec_lo, exec_lo, s0
	v_cvt_f32_f16_e32 v9, v6
                                        ; implicit-def: $vgpr10
	s_delay_alu instid0(VALU_DEP_1) | instskip(NEXT) | instid1(VALU_DEP_1)
	v_cmp_ngt_f32_e64 s0, 0x3f200000, |v9|
	s_and_saveexec_b32 s5, s0
	s_delay_alu instid0(SALU_CYCLE_1)
	s_xor_b32 s0, exec_lo, s5
	s_cbranch_execz .LBB164_51
; %bb.50:                               ;   in Loop: Header=BB164_41 Depth=1
	v_add_f32_e64 v10, |v9|, |v9|
	s_delay_alu instid0(VALU_DEP_1) | instskip(SKIP_1) | instid1(VALU_DEP_2)
	v_mul_f32_e32 v11, 0x3fb8aa3b, v10
	v_cmp_ngt_f32_e32 vcc_lo, 0xc2ce8ed0, v10
	v_rndne_f32_e32 v12, v11
	v_fma_f32 v13, 0x3fb8aa3b, v10, -v11
	s_delay_alu instid0(VALU_DEP_2) | instskip(NEXT) | instid1(VALU_DEP_2)
	v_sub_f32_e32 v11, v11, v12
	v_fmac_f32_e32 v13, 0x32a5705f, v10
	v_cvt_i32_f32_e32 v12, v12
	s_delay_alu instid0(VALU_DEP_2) | instskip(NEXT) | instid1(VALU_DEP_1)
	v_add_f32_e32 v11, v11, v13
	v_exp_f32_e32 v11, v11
	s_waitcnt_depctr 0xfff
	v_ldexp_f32 v11, v11, v12
	s_delay_alu instid0(VALU_DEP_1) | instskip(SKIP_1) | instid1(VALU_DEP_2)
	v_cndmask_b32_e32 v11, 0, v11, vcc_lo
	v_cmp_nlt_f32_e32 vcc_lo, 0x42b17218, v10
	v_cndmask_b32_e32 v10, 0x7f800000, v11, vcc_lo
	s_delay_alu instid0(VALU_DEP_1) | instskip(NEXT) | instid1(VALU_DEP_1)
	v_add_f32_e32 v10, 1.0, v10
	v_rcp_f32_e32 v10, v10
	s_waitcnt_depctr 0xfff
	v_fma_f32 v10, v10, -2.0, 1.0
.LBB164_51:                             ;   in Loop: Header=BB164_41 Depth=1
	s_and_not1_saveexec_b32 s0, s0
; %bb.52:                               ;   in Loop: Header=BB164_41 Depth=1
	v_mul_f32_e32 v10, v9, v9
	s_delay_alu instid0(VALU_DEP_1) | instskip(NEXT) | instid1(VALU_DEP_1)
	v_fmaak_f32 v11, s4, v10, 0x3ca908c9
	v_fmaak_f32 v11, v10, v11, 0xbd5c1c4e
	s_delay_alu instid0(VALU_DEP_1) | instskip(NEXT) | instid1(VALU_DEP_1)
	v_fmaak_f32 v11, v10, v11, 0x3e088382
	v_fmaak_f32 v11, v10, v11, 0xbeaaaa99
	s_delay_alu instid0(VALU_DEP_1) | instskip(NEXT) | instid1(VALU_DEP_1)
	v_mul_f32_e64 v11, |v9|, v11
	v_fma_f32 v10, v10, v11, |v9|
; %bb.53:                               ;   in Loop: Header=BB164_41 Depth=1
	s_or_b32 exec_lo, exec_lo, s0
	v_lshrrev_b32_e32 v6, 16, v6
                                        ; implicit-def: $vgpr11
	s_delay_alu instid0(VALU_DEP_1) | instskip(NEXT) | instid1(VALU_DEP_1)
	v_cvt_f32_f16_e32 v6, v6
	v_cmp_ngt_f32_e64 s0, 0x3f200000, |v6|
	s_delay_alu instid0(VALU_DEP_1) | instskip(NEXT) | instid1(SALU_CYCLE_1)
	s_and_saveexec_b32 s5, s0
	s_xor_b32 s0, exec_lo, s5
	s_cbranch_execz .LBB164_55
; %bb.54:                               ;   in Loop: Header=BB164_41 Depth=1
	v_add_f32_e64 v11, |v6|, |v6|
	s_delay_alu instid0(VALU_DEP_1) | instskip(SKIP_1) | instid1(VALU_DEP_2)
	v_mul_f32_e32 v12, 0x3fb8aa3b, v11
	v_cmp_ngt_f32_e32 vcc_lo, 0xc2ce8ed0, v11
	v_rndne_f32_e32 v13, v12
	v_fma_f32 v14, 0x3fb8aa3b, v11, -v12
	s_delay_alu instid0(VALU_DEP_2) | instskip(NEXT) | instid1(VALU_DEP_2)
	v_sub_f32_e32 v12, v12, v13
	v_fmac_f32_e32 v14, 0x32a5705f, v11
	v_cvt_i32_f32_e32 v13, v13
	s_delay_alu instid0(VALU_DEP_2) | instskip(NEXT) | instid1(VALU_DEP_1)
	v_add_f32_e32 v12, v12, v14
	v_exp_f32_e32 v12, v12
	s_waitcnt_depctr 0xfff
	v_ldexp_f32 v12, v12, v13
	s_delay_alu instid0(VALU_DEP_1) | instskip(SKIP_1) | instid1(VALU_DEP_2)
	v_cndmask_b32_e32 v12, 0, v12, vcc_lo
	v_cmp_nlt_f32_e32 vcc_lo, 0x42b17218, v11
	v_cndmask_b32_e32 v11, 0x7f800000, v12, vcc_lo
	s_delay_alu instid0(VALU_DEP_1) | instskip(NEXT) | instid1(VALU_DEP_1)
	v_add_f32_e32 v11, 1.0, v11
	v_rcp_f32_e32 v11, v11
	s_waitcnt_depctr 0xfff
	v_fma_f32 v11, v11, -2.0, 1.0
.LBB164_55:                             ;   in Loop: Header=BB164_41 Depth=1
	s_and_not1_saveexec_b32 s0, s0
	s_cbranch_execz .LBB164_40
; %bb.56:                               ;   in Loop: Header=BB164_41 Depth=1
	v_mul_f32_e32 v11, v6, v6
	s_delay_alu instid0(VALU_DEP_1) | instskip(NEXT) | instid1(VALU_DEP_1)
	v_fmaak_f32 v12, s4, v11, 0x3ca908c9
	v_fmaak_f32 v12, v11, v12, 0xbd5c1c4e
	s_delay_alu instid0(VALU_DEP_1) | instskip(NEXT) | instid1(VALU_DEP_1)
	v_fmaak_f32 v12, v11, v12, 0x3e088382
	v_fmaak_f32 v12, v11, v12, 0xbeaaaa99
	s_delay_alu instid0(VALU_DEP_1) | instskip(NEXT) | instid1(VALU_DEP_1)
	v_mul_f32_e64 v12, |v6|, v12
	v_fma_f32 v11, v11, v12, |v6|
	s_branch .LBB164_40
.LBB164_57:
	s_nop 0
	s_sendmsg sendmsg(MSG_DEALLOC_VGPRS)
	s_endpgm
	.section	.rodata,"a",@progbits
	.p2align	6, 0x0
	.amdhsa_kernel _ZN2at6native12_GLOBAL__N_125multi_tensor_apply_kernelINS1_18TensorListMetadataILi1EEENS1_14UnaryOpFunctorIN3c104HalfELi1ELi1ELi0EEEJNS0_4TanhIfEEEEEvT_T0_DpT1_
		.amdhsa_group_segment_fixed_size 0
		.amdhsa_private_segment_fixed_size 0
		.amdhsa_kernarg_size 3632
		.amdhsa_user_sgpr_count 15
		.amdhsa_user_sgpr_dispatch_ptr 0
		.amdhsa_user_sgpr_queue_ptr 0
		.amdhsa_user_sgpr_kernarg_segment_ptr 1
		.amdhsa_user_sgpr_dispatch_id 0
		.amdhsa_user_sgpr_private_segment_size 0
		.amdhsa_wavefront_size32 1
		.amdhsa_uses_dynamic_stack 0
		.amdhsa_enable_private_segment 0
		.amdhsa_system_sgpr_workgroup_id_x 1
		.amdhsa_system_sgpr_workgroup_id_y 0
		.amdhsa_system_sgpr_workgroup_id_z 0
		.amdhsa_system_sgpr_workgroup_info 0
		.amdhsa_system_vgpr_workitem_id 0
		.amdhsa_next_free_vgpr 22
		.amdhsa_next_free_sgpr 21
		.amdhsa_reserve_vcc 1
		.amdhsa_float_round_mode_32 0
		.amdhsa_float_round_mode_16_64 0
		.amdhsa_float_denorm_mode_32 3
		.amdhsa_float_denorm_mode_16_64 3
		.amdhsa_dx10_clamp 1
		.amdhsa_ieee_mode 1
		.amdhsa_fp16_overflow 0
		.amdhsa_workgroup_processor_mode 1
		.amdhsa_memory_ordered 1
		.amdhsa_forward_progress 0
		.amdhsa_shared_vgpr_count 0
		.amdhsa_exception_fp_ieee_invalid_op 0
		.amdhsa_exception_fp_denorm_src 0
		.amdhsa_exception_fp_ieee_div_zero 0
		.amdhsa_exception_fp_ieee_overflow 0
		.amdhsa_exception_fp_ieee_underflow 0
		.amdhsa_exception_fp_ieee_inexact 0
		.amdhsa_exception_int_div_zero 0
	.end_amdhsa_kernel
	.section	.text._ZN2at6native12_GLOBAL__N_125multi_tensor_apply_kernelINS1_18TensorListMetadataILi1EEENS1_14UnaryOpFunctorIN3c104HalfELi1ELi1ELi0EEEJNS0_4TanhIfEEEEEvT_T0_DpT1_,"axG",@progbits,_ZN2at6native12_GLOBAL__N_125multi_tensor_apply_kernelINS1_18TensorListMetadataILi1EEENS1_14UnaryOpFunctorIN3c104HalfELi1ELi1ELi0EEEJNS0_4TanhIfEEEEEvT_T0_DpT1_,comdat
.Lfunc_end164:
	.size	_ZN2at6native12_GLOBAL__N_125multi_tensor_apply_kernelINS1_18TensorListMetadataILi1EEENS1_14UnaryOpFunctorIN3c104HalfELi1ELi1ELi0EEEJNS0_4TanhIfEEEEEvT_T0_DpT1_, .Lfunc_end164-_ZN2at6native12_GLOBAL__N_125multi_tensor_apply_kernelINS1_18TensorListMetadataILi1EEENS1_14UnaryOpFunctorIN3c104HalfELi1ELi1ELi0EEEJNS0_4TanhIfEEEEEvT_T0_DpT1_
                                        ; -- End function
	.section	.AMDGPU.csdata,"",@progbits
; Kernel info:
; codeLenInByte = 3308
; NumSgprs: 23
; NumVgprs: 22
; ScratchSize: 0
; MemoryBound: 0
; FloatMode: 240
; IeeeMode: 1
; LDSByteSize: 0 bytes/workgroup (compile time only)
; SGPRBlocks: 2
; VGPRBlocks: 2
; NumSGPRsForWavesPerEU: 23
; NumVGPRsForWavesPerEU: 22
; Occupancy: 16
; WaveLimiterHint : 0
; COMPUTE_PGM_RSRC2:SCRATCH_EN: 0
; COMPUTE_PGM_RSRC2:USER_SGPR: 15
; COMPUTE_PGM_RSRC2:TRAP_HANDLER: 0
; COMPUTE_PGM_RSRC2:TGID_X_EN: 1
; COMPUTE_PGM_RSRC2:TGID_Y_EN: 0
; COMPUTE_PGM_RSRC2:TGID_Z_EN: 0
; COMPUTE_PGM_RSRC2:TIDIG_COMP_CNT: 0
	.section	.text._ZN2at6native12_GLOBAL__N_125multi_tensor_apply_kernelINS1_18TensorListMetadataILi1EEENS1_14UnaryOpFunctorIN3c108BFloat16ELi1ELi1ELi0EEEJNS0_4TanhIfEEEEEvT_T0_DpT1_,"axG",@progbits,_ZN2at6native12_GLOBAL__N_125multi_tensor_apply_kernelINS1_18TensorListMetadataILi1EEENS1_14UnaryOpFunctorIN3c108BFloat16ELi1ELi1ELi0EEEJNS0_4TanhIfEEEEEvT_T0_DpT1_,comdat
	.globl	_ZN2at6native12_GLOBAL__N_125multi_tensor_apply_kernelINS1_18TensorListMetadataILi1EEENS1_14UnaryOpFunctorIN3c108BFloat16ELi1ELi1ELi0EEEJNS0_4TanhIfEEEEEvT_T0_DpT1_ ; -- Begin function _ZN2at6native12_GLOBAL__N_125multi_tensor_apply_kernelINS1_18TensorListMetadataILi1EEENS1_14UnaryOpFunctorIN3c108BFloat16ELi1ELi1ELi0EEEJNS0_4TanhIfEEEEEvT_T0_DpT1_
	.p2align	8
	.type	_ZN2at6native12_GLOBAL__N_125multi_tensor_apply_kernelINS1_18TensorListMetadataILi1EEENS1_14UnaryOpFunctorIN3c108BFloat16ELi1ELi1ELi0EEEJNS0_4TanhIfEEEEEvT_T0_DpT1_,@function
_ZN2at6native12_GLOBAL__N_125multi_tensor_apply_kernelINS1_18TensorListMetadataILi1EEENS1_14UnaryOpFunctorIN3c108BFloat16ELi1ELi1ELi0EEEJNS0_4TanhIfEEEEEvT_T0_DpT1_: ; @_ZN2at6native12_GLOBAL__N_125multi_tensor_apply_kernelINS1_18TensorListMetadataILi1EEENS1_14UnaryOpFunctorIN3c108BFloat16ELi1ELi1ELi0EEEJNS0_4TanhIfEEEEEvT_T0_DpT1_
; %bb.0:
	v_mov_b32_e32 v1, s15
	s_add_u32 s2, s0, s15
	s_mul_hi_u32 s3, s15, 3
	s_mul_i32 s15, s15, 3
	s_addc_u32 s4, s1, 0
	global_load_u8 v1, v1, s[0:1] offset:1760
	s_add_u32 s2, s2, s15
	s_addc_u32 s3, s4, s3
	s_mov_b32 s13, 0
	s_load_b32 s2, s[2:3], 0x820
	s_waitcnt vmcnt(0)
	v_readfirstlane_b32 s5, v1
	s_delay_alu instid0(VALU_DEP_1)
	s_lshl_b32 s3, s5, 3
	s_clause 0x1
	s_load_b64 s[8:9], s[0:1], s3 offset:0x0
	s_load_b64 s[4:5], s[0:1], s3 offset:0x370
	s_waitcnt lgkmcnt(0)
	s_ashr_i32 s3, s2, 31
	s_delay_alu instid0(SALU_CYCLE_1)
	s_lshl_b64 s[10:11], s[2:3], 17
	s_lshl_b64 s[2:3], s[2:3], 16
	s_and_b32 s12, s8, 7
	s_sub_u32 s6, s4, s2
	s_subb_u32 s7, s5, s3
	s_and_b32 s2, s4, 3
	s_mov_b32 s3, s13
	s_delay_alu instid0(SALU_CYCLE_1) | instskip(NEXT) | instid1(SALU_CYCLE_1)
	s_or_b64 s[2:3], s[12:13], s[2:3]
	s_cmp_eq_u64 s[2:3], 0
	s_cbranch_scc1 .LBB165_37
; %bb.1:
	v_cmp_lt_i64_e64 s2, s[6:7], 1
	s_delay_alu instid0(VALU_DEP_1)
	s_and_b32 vcc_lo, exec_lo, s2
	s_cbranch_vccnz .LBB165_36
; %bb.2:
	s_load_b32 s2, s[0:1], 0xd3c
	v_cmp_gt_u64_e64 s3, 0x10000, s[6:7]
	v_lshlrev_b32_e32 v1, 1, v0
	s_mov_b32 s19, 0xbbbac73d
	s_waitcnt lgkmcnt(0)
	s_and_b32 s2, s2, 0xffff
	s_delay_alu instid0(VALU_DEP_2)
	s_and_b32 s3, s3, exec_lo
	v_add_co_u32 v5, s5, v0, s2
	s_cselect_b32 s13, s7, 0
	s_cselect_b32 s12, s6, 0x10000
	s_lshl_b32 s3, s2, 1
	s_lshl_b32 s16, s2, 2
	v_lshlrev_b32_e32 v3, 1, v5
	v_add_co_ci_u32_e64 v6, null, 0, 0, s5
	s_add_u32 s5, s8, s10
	v_add_co_u32 v9, s3, s3, v0
	s_mul_i32 s4, s2, 3
	s_addc_u32 s14, s9, s11
	v_add_co_ci_u32_e64 v10, null, 0, 0, s3
	v_add_co_u32 v1, s3, s5, v1
	v_add_co_u32 v7, s4, s4, v0
	v_add_co_ci_u32_e64 v2, null, s14, 0, s3
	v_add_co_u32 v3, s3, s5, v3
	v_add_co_ci_u32_e64 v8, null, 0, 0, s4
	v_add_co_ci_u32_e64 v4, null, s14, 0, s3
	s_lshl_b32 s17, s2, 3
	s_mul_i32 s18, s2, 6
	s_mov_b64 s[14:15], 0
	s_branch .LBB165_4
.LBB165_3:                              ;   in Loop: Header=BB165_4 Depth=1
	s_or_b32 exec_lo, exec_lo, s2
	s_add_u32 s14, s14, s16
	s_addc_u32 s15, s15, 0
	v_add_co_u32 v1, vcc_lo, v1, s17
	v_cmp_ge_i64_e64 s2, s[14:15], s[6:7]
	v_cmp_lt_u64_e64 s3, 0xffff, s[14:15]
	v_add_co_ci_u32_e32 v2, vcc_lo, 0, v2, vcc_lo
	v_add_co_u32 v3, vcc_lo, v3, s17
	v_add_co_ci_u32_e32 v4, vcc_lo, 0, v4, vcc_lo
	s_delay_alu instid0(VALU_DEP_4) | instskip(NEXT) | instid1(SALU_CYCLE_1)
	s_or_b32 s2, s2, s3
	s_and_b32 vcc_lo, exec_lo, s2
	s_cbranch_vccnz .LBB165_36
.LBB165_4:                              ; =>This Inner Loop Header: Depth=1
	v_add_co_u32 v11, s2, v0, s14
	s_delay_alu instid0(VALU_DEP_1) | instskip(NEXT) | instid1(VALU_DEP_1)
	v_add_co_ci_u32_e64 v12, null, 0, s15, s2
	v_cmp_gt_u64_e32 vcc_lo, s[12:13], v[11:12]
	v_mov_b32_e32 v11, 0
	s_and_saveexec_b32 s2, vcc_lo
	s_cbranch_execz .LBB165_6
; %bb.5:                                ;   in Loop: Header=BB165_4 Depth=1
	global_load_u16 v11, v[1:2], off
.LBB165_6:                              ;   in Loop: Header=BB165_4 Depth=1
	s_or_b32 exec_lo, exec_lo, s2
	v_add_co_u32 v12, s2, v5, s14
	s_delay_alu instid0(VALU_DEP_1) | instskip(SKIP_1) | instid1(VALU_DEP_2)
	v_add_co_ci_u32_e64 v13, s2, s15, v6, s2
	v_mov_b32_e32 v14, 0
	v_cmp_gt_u64_e64 s2, s[12:13], v[12:13]
	s_delay_alu instid0(VALU_DEP_1)
	s_and_saveexec_b32 s3, s2
	s_cbranch_execz .LBB165_8
; %bb.7:                                ;   in Loop: Header=BB165_4 Depth=1
	global_load_u16 v14, v[3:4], off
.LBB165_8:                              ;   in Loop: Header=BB165_4 Depth=1
	s_or_b32 exec_lo, exec_lo, s3
	v_add_co_u32 v12, s3, v9, s14
	s_delay_alu instid0(VALU_DEP_1) | instskip(SKIP_1) | instid1(VALU_DEP_2)
	v_add_co_ci_u32_e64 v13, s3, s15, v10, s3
	v_mov_b32_e32 v16, 0
	v_cmp_gt_u64_e64 s3, s[12:13], v[12:13]
	v_mov_b32_e32 v12, 0
	s_delay_alu instid0(VALU_DEP_2)
	s_and_saveexec_b32 s5, s3
	s_cbranch_execz .LBB165_10
; %bb.9:                                ;   in Loop: Header=BB165_4 Depth=1
	v_add_co_u32 v15, s4, v1, s16
	s_delay_alu instid0(VALU_DEP_1)
	v_add_co_ci_u32_e64 v16, s4, 0, v2, s4
	global_load_u16 v16, v[15:16], off
.LBB165_10:                             ;   in Loop: Header=BB165_4 Depth=1
	s_or_b32 exec_lo, exec_lo, s5
	v_add_co_u32 v17, s4, v7, s14
	s_delay_alu instid0(VALU_DEP_1) | instskip(NEXT) | instid1(VALU_DEP_1)
	v_add_co_ci_u32_e64 v18, s4, s15, v8, s4
	v_cmp_gt_u64_e64 s4, s[12:13], v[17:18]
	s_delay_alu instid0(VALU_DEP_1)
	s_and_saveexec_b32 s20, s4
	s_cbranch_execz .LBB165_12
; %bb.11:                               ;   in Loop: Header=BB165_4 Depth=1
	v_add_co_u32 v12, s5, v1, s18
	s_delay_alu instid0(VALU_DEP_1)
	v_add_co_ci_u32_e64 v13, s5, 0, v2, s5
	global_load_u16 v12, v[12:13], off
.LBB165_12:                             ;   in Loop: Header=BB165_4 Depth=1
	s_or_b32 exec_lo, exec_lo, s20
	s_waitcnt vmcnt(0)
	v_lshlrev_b32_e32 v11, 16, v11
	s_mov_b32 s20, exec_lo
                                        ; implicit-def: $vgpr13
	s_delay_alu instid0(VALU_DEP_1)
	v_cmpx_ngt_f32_e64 0x3f200000, |v11|
	s_xor_b32 s20, exec_lo, s20
	s_cbranch_execz .LBB165_14
; %bb.13:                               ;   in Loop: Header=BB165_4 Depth=1
	v_add_f32_e64 v13, |v11|, |v11|
	s_delay_alu instid0(VALU_DEP_1) | instskip(SKIP_1) | instid1(VALU_DEP_2)
	v_mul_f32_e32 v15, 0x3fb8aa3b, v13
	v_cmp_ngt_f32_e64 s5, 0xc2ce8ed0, v13
	v_rndne_f32_e32 v17, v15
	v_fma_f32 v18, 0x3fb8aa3b, v13, -v15
	s_delay_alu instid0(VALU_DEP_2) | instskip(NEXT) | instid1(VALU_DEP_2)
	v_sub_f32_e32 v15, v15, v17
	v_fmac_f32_e32 v18, 0x32a5705f, v13
	v_cvt_i32_f32_e32 v17, v17
	s_delay_alu instid0(VALU_DEP_2) | instskip(NEXT) | instid1(VALU_DEP_1)
	v_add_f32_e32 v15, v15, v18
	v_exp_f32_e32 v15, v15
	s_waitcnt_depctr 0xfff
	v_ldexp_f32 v15, v15, v17
	s_delay_alu instid0(VALU_DEP_1) | instskip(SKIP_1) | instid1(VALU_DEP_1)
	v_cndmask_b32_e64 v15, 0, v15, s5
	v_cmp_nlt_f32_e64 s5, 0x42b17218, v13
	v_cndmask_b32_e64 v13, 0x7f800000, v15, s5
	s_delay_alu instid0(VALU_DEP_1) | instskip(NEXT) | instid1(VALU_DEP_1)
	v_add_f32_e32 v13, 1.0, v13
	v_rcp_f32_e32 v13, v13
	s_waitcnt_depctr 0xfff
	v_fma_f32 v13, v13, -2.0, 1.0
.LBB165_14:                             ;   in Loop: Header=BB165_4 Depth=1
	s_and_not1_saveexec_b32 s5, s20
; %bb.15:                               ;   in Loop: Header=BB165_4 Depth=1
	v_mul_f32_e32 v13, v11, v11
	s_delay_alu instid0(VALU_DEP_1) | instskip(NEXT) | instid1(VALU_DEP_1)
	v_fmaak_f32 v15, s19, v13, 0x3ca908c9
	v_fmaak_f32 v15, v13, v15, 0xbd5c1c4e
	s_delay_alu instid0(VALU_DEP_1) | instskip(NEXT) | instid1(VALU_DEP_1)
	v_fmaak_f32 v15, v13, v15, 0x3e088382
	v_fmaak_f32 v15, v13, v15, 0xbeaaaa99
	s_delay_alu instid0(VALU_DEP_1) | instskip(NEXT) | instid1(VALU_DEP_1)
	v_mul_f32_e64 v15, |v11|, v15
	v_fma_f32 v13, v13, v15, |v11|
; %bb.16:                               ;   in Loop: Header=BB165_4 Depth=1
	s_or_b32 exec_lo, exec_lo, s5
	v_lshlrev_b32_e32 v14, 16, v14
	s_mov_b32 s20, exec_lo
                                        ; implicit-def: $vgpr15
	s_delay_alu instid0(VALU_DEP_1)
	v_cmpx_ngt_f32_e64 0x3f200000, |v14|
	s_xor_b32 s20, exec_lo, s20
	s_cbranch_execz .LBB165_18
; %bb.17:                               ;   in Loop: Header=BB165_4 Depth=1
	v_add_f32_e64 v15, |v14|, |v14|
	s_delay_alu instid0(VALU_DEP_1) | instskip(SKIP_1) | instid1(VALU_DEP_2)
	v_mul_f32_e32 v17, 0x3fb8aa3b, v15
	v_cmp_ngt_f32_e64 s5, 0xc2ce8ed0, v15
	v_rndne_f32_e32 v18, v17
	v_fma_f32 v19, 0x3fb8aa3b, v15, -v17
	s_delay_alu instid0(VALU_DEP_2) | instskip(NEXT) | instid1(VALU_DEP_2)
	v_sub_f32_e32 v17, v17, v18
	v_fmac_f32_e32 v19, 0x32a5705f, v15
	v_cvt_i32_f32_e32 v18, v18
	s_delay_alu instid0(VALU_DEP_2) | instskip(NEXT) | instid1(VALU_DEP_1)
	v_add_f32_e32 v17, v17, v19
	v_exp_f32_e32 v17, v17
	s_waitcnt_depctr 0xfff
	v_ldexp_f32 v17, v17, v18
	s_delay_alu instid0(VALU_DEP_1) | instskip(SKIP_1) | instid1(VALU_DEP_1)
	v_cndmask_b32_e64 v17, 0, v17, s5
	v_cmp_nlt_f32_e64 s5, 0x42b17218, v15
	v_cndmask_b32_e64 v15, 0x7f800000, v17, s5
	s_delay_alu instid0(VALU_DEP_1) | instskip(NEXT) | instid1(VALU_DEP_1)
	v_add_f32_e32 v15, 1.0, v15
	v_rcp_f32_e32 v15, v15
	s_waitcnt_depctr 0xfff
	v_fma_f32 v15, v15, -2.0, 1.0
.LBB165_18:                             ;   in Loop: Header=BB165_4 Depth=1
	s_and_not1_saveexec_b32 s5, s20
; %bb.19:                               ;   in Loop: Header=BB165_4 Depth=1
	v_mul_f32_e32 v15, v14, v14
	s_delay_alu instid0(VALU_DEP_1) | instskip(NEXT) | instid1(VALU_DEP_1)
	v_fmaak_f32 v17, s19, v15, 0x3ca908c9
	v_fmaak_f32 v17, v15, v17, 0xbd5c1c4e
	s_delay_alu instid0(VALU_DEP_1) | instskip(NEXT) | instid1(VALU_DEP_1)
	v_fmaak_f32 v17, v15, v17, 0x3e088382
	v_fmaak_f32 v17, v15, v17, 0xbeaaaa99
	s_delay_alu instid0(VALU_DEP_1) | instskip(NEXT) | instid1(VALU_DEP_1)
	v_mul_f32_e64 v17, |v14|, v17
	v_fma_f32 v15, v15, v17, |v14|
; %bb.20:                               ;   in Loop: Header=BB165_4 Depth=1
	s_or_b32 exec_lo, exec_lo, s5
	v_lshlrev_b32_e32 v16, 16, v16
	s_mov_b32 s20, exec_lo
                                        ; implicit-def: $vgpr17
	s_delay_alu instid0(VALU_DEP_1)
	v_cmpx_ngt_f32_e64 0x3f200000, |v16|
	s_xor_b32 s20, exec_lo, s20
	s_cbranch_execz .LBB165_22
; %bb.21:                               ;   in Loop: Header=BB165_4 Depth=1
	v_add_f32_e64 v17, |v16|, |v16|
	s_delay_alu instid0(VALU_DEP_1) | instskip(SKIP_1) | instid1(VALU_DEP_2)
	v_mul_f32_e32 v18, 0x3fb8aa3b, v17
	v_cmp_ngt_f32_e64 s5, 0xc2ce8ed0, v17
	v_rndne_f32_e32 v19, v18
	v_fma_f32 v20, 0x3fb8aa3b, v17, -v18
	s_delay_alu instid0(VALU_DEP_2) | instskip(NEXT) | instid1(VALU_DEP_2)
	v_sub_f32_e32 v18, v18, v19
	v_fmac_f32_e32 v20, 0x32a5705f, v17
	v_cvt_i32_f32_e32 v19, v19
	s_delay_alu instid0(VALU_DEP_2) | instskip(NEXT) | instid1(VALU_DEP_1)
	v_add_f32_e32 v18, v18, v20
	v_exp_f32_e32 v18, v18
	s_waitcnt_depctr 0xfff
	v_ldexp_f32 v18, v18, v19
	s_delay_alu instid0(VALU_DEP_1) | instskip(SKIP_1) | instid1(VALU_DEP_1)
	v_cndmask_b32_e64 v18, 0, v18, s5
	v_cmp_nlt_f32_e64 s5, 0x42b17218, v17
	v_cndmask_b32_e64 v17, 0x7f800000, v18, s5
	s_delay_alu instid0(VALU_DEP_1) | instskip(NEXT) | instid1(VALU_DEP_1)
	v_add_f32_e32 v17, 1.0, v17
	v_rcp_f32_e32 v17, v17
	s_waitcnt_depctr 0xfff
	v_fma_f32 v17, v17, -2.0, 1.0
.LBB165_22:                             ;   in Loop: Header=BB165_4 Depth=1
	s_and_not1_saveexec_b32 s5, s20
; %bb.23:                               ;   in Loop: Header=BB165_4 Depth=1
	v_mul_f32_e32 v17, v16, v16
	s_delay_alu instid0(VALU_DEP_1) | instskip(NEXT) | instid1(VALU_DEP_1)
	v_fmaak_f32 v18, s19, v17, 0x3ca908c9
	v_fmaak_f32 v18, v17, v18, 0xbd5c1c4e
	s_delay_alu instid0(VALU_DEP_1) | instskip(NEXT) | instid1(VALU_DEP_1)
	v_fmaak_f32 v18, v17, v18, 0x3e088382
	v_fmaak_f32 v18, v17, v18, 0xbeaaaa99
	s_delay_alu instid0(VALU_DEP_1) | instskip(NEXT) | instid1(VALU_DEP_1)
	v_mul_f32_e64 v18, |v16|, v18
	v_fma_f32 v17, v17, v18, |v16|
; %bb.24:                               ;   in Loop: Header=BB165_4 Depth=1
	s_or_b32 exec_lo, exec_lo, s5
	v_lshlrev_b32_e32 v12, 16, v12
	s_mov_b32 s20, exec_lo
                                        ; implicit-def: $vgpr18
	s_delay_alu instid0(VALU_DEP_1)
	v_cmpx_ngt_f32_e64 0x3f200000, |v12|
	s_xor_b32 s20, exec_lo, s20
	s_cbranch_execnz .LBB165_30
; %bb.25:                               ;   in Loop: Header=BB165_4 Depth=1
	s_and_not1_saveexec_b32 s5, s20
	s_cbranch_execnz .LBB165_31
.LBB165_26:                             ;   in Loop: Header=BB165_4 Depth=1
	s_or_b32 exec_lo, exec_lo, s5
	s_and_saveexec_b32 s5, vcc_lo
	s_delay_alu instid0(SALU_CYCLE_1)
	s_xor_b32 s5, exec_lo, s5
	s_cbranch_execnz .LBB165_32
.LBB165_27:                             ;   in Loop: Header=BB165_4 Depth=1
	s_or_b32 exec_lo, exec_lo, s5
	s_and_saveexec_b32 s5, s2
	s_cbranch_execnz .LBB165_33
.LBB165_28:                             ;   in Loop: Header=BB165_4 Depth=1
	s_or_b32 exec_lo, exec_lo, s5
	s_and_saveexec_b32 s2, s3
	s_cbranch_execnz .LBB165_34
.LBB165_29:                             ;   in Loop: Header=BB165_4 Depth=1
	s_or_b32 exec_lo, exec_lo, s2
	s_and_saveexec_b32 s2, s4
	s_cbranch_execz .LBB165_3
	s_branch .LBB165_35
.LBB165_30:                             ;   in Loop: Header=BB165_4 Depth=1
	v_add_f32_e64 v18, |v12|, |v12|
	s_delay_alu instid0(VALU_DEP_1) | instskip(SKIP_1) | instid1(VALU_DEP_2)
	v_mul_f32_e32 v19, 0x3fb8aa3b, v18
	v_cmp_ngt_f32_e64 s5, 0xc2ce8ed0, v18
	v_rndne_f32_e32 v20, v19
	v_fma_f32 v21, 0x3fb8aa3b, v18, -v19
	s_delay_alu instid0(VALU_DEP_2) | instskip(NEXT) | instid1(VALU_DEP_2)
	v_sub_f32_e32 v19, v19, v20
	v_fmac_f32_e32 v21, 0x32a5705f, v18
	v_cvt_i32_f32_e32 v20, v20
	s_delay_alu instid0(VALU_DEP_2) | instskip(NEXT) | instid1(VALU_DEP_1)
	v_add_f32_e32 v19, v19, v21
	v_exp_f32_e32 v19, v19
	s_waitcnt_depctr 0xfff
	v_ldexp_f32 v19, v19, v20
	s_delay_alu instid0(VALU_DEP_1) | instskip(SKIP_1) | instid1(VALU_DEP_1)
	v_cndmask_b32_e64 v19, 0, v19, s5
	v_cmp_nlt_f32_e64 s5, 0x42b17218, v18
	v_cndmask_b32_e64 v18, 0x7f800000, v19, s5
	s_delay_alu instid0(VALU_DEP_1) | instskip(NEXT) | instid1(VALU_DEP_1)
	v_add_f32_e32 v18, 1.0, v18
	v_rcp_f32_e32 v18, v18
	s_waitcnt_depctr 0xfff
	v_fma_f32 v18, v18, -2.0, 1.0
	s_and_not1_saveexec_b32 s5, s20
	s_cbranch_execz .LBB165_26
.LBB165_31:                             ;   in Loop: Header=BB165_4 Depth=1
	v_mul_f32_e32 v18, v12, v12
	s_delay_alu instid0(VALU_DEP_1) | instskip(NEXT) | instid1(VALU_DEP_1)
	v_fmaak_f32 v19, s19, v18, 0x3ca908c9
	v_fmaak_f32 v19, v18, v19, 0xbd5c1c4e
	s_delay_alu instid0(VALU_DEP_1) | instskip(NEXT) | instid1(VALU_DEP_1)
	v_fmaak_f32 v19, v18, v19, 0x3e088382
	v_fmaak_f32 v19, v18, v19, 0xbeaaaa99
	s_delay_alu instid0(VALU_DEP_1) | instskip(NEXT) | instid1(VALU_DEP_1)
	v_mul_f32_e64 v19, |v12|, v19
	v_fma_f32 v18, v18, v19, |v12|
	s_or_b32 exec_lo, exec_lo, s5
	s_and_saveexec_b32 s5, vcc_lo
	s_delay_alu instid0(SALU_CYCLE_1)
	s_xor_b32 s5, exec_lo, s5
	s_cbranch_execz .LBB165_27
.LBB165_32:                             ;   in Loop: Header=BB165_4 Depth=1
	v_bfi_b32 v11, 0x7fffffff, v13, v11
	s_delay_alu instid0(VALU_DEP_1) | instskip(SKIP_1) | instid1(VALU_DEP_2)
	v_bfe_u32 v13, v11, 16, 1
	v_cmp_o_f32_e32 vcc_lo, v11, v11
	v_add3_u32 v13, v11, v13, 0x7fff
	s_delay_alu instid0(VALU_DEP_1) | instskip(NEXT) | instid1(VALU_DEP_1)
	v_lshrrev_b32_e32 v13, 16, v13
	v_cndmask_b32_e32 v11, 0x7fc0, v13, vcc_lo
	global_store_b16 v[1:2], v11, off
	s_or_b32 exec_lo, exec_lo, s5
	s_and_saveexec_b32 s5, s2
	s_cbranch_execz .LBB165_28
.LBB165_33:                             ;   in Loop: Header=BB165_4 Depth=1
	v_bfi_b32 v11, 0x7fffffff, v15, v14
	s_delay_alu instid0(VALU_DEP_1) | instskip(SKIP_1) | instid1(VALU_DEP_2)
	v_bfe_u32 v13, v11, 16, 1
	v_cmp_o_f32_e32 vcc_lo, v11, v11
	v_add3_u32 v13, v11, v13, 0x7fff
	s_delay_alu instid0(VALU_DEP_1) | instskip(NEXT) | instid1(VALU_DEP_1)
	v_lshrrev_b32_e32 v13, 16, v13
	v_cndmask_b32_e32 v11, 0x7fc0, v13, vcc_lo
	global_store_b16 v[3:4], v11, off
	s_or_b32 exec_lo, exec_lo, s5
	s_and_saveexec_b32 s2, s3
	s_cbranch_execz .LBB165_29
.LBB165_34:                             ;   in Loop: Header=BB165_4 Depth=1
	v_bfi_b32 v11, 0x7fffffff, v17, v16
	s_delay_alu instid0(VALU_DEP_1) | instskip(SKIP_1) | instid1(VALU_DEP_2)
	v_bfe_u32 v13, v11, 16, 1
	v_cmp_o_f32_e32 vcc_lo, v11, v11
	v_add3_u32 v13, v11, v13, 0x7fff
	s_delay_alu instid0(VALU_DEP_1) | instskip(NEXT) | instid1(VALU_DEP_1)
	v_lshrrev_b32_e32 v13, 16, v13
	v_cndmask_b32_e32 v11, 0x7fc0, v13, vcc_lo
	v_add_co_u32 v13, vcc_lo, v1, s16
	v_add_co_ci_u32_e32 v14, vcc_lo, 0, v2, vcc_lo
	global_store_b16 v[13:14], v11, off
	s_or_b32 exec_lo, exec_lo, s2
	s_and_saveexec_b32 s2, s4
	s_cbranch_execz .LBB165_3
.LBB165_35:                             ;   in Loop: Header=BB165_4 Depth=1
	v_bfi_b32 v11, 0x7fffffff, v18, v12
	s_delay_alu instid0(VALU_DEP_1) | instskip(SKIP_1) | instid1(VALU_DEP_2)
	v_bfe_u32 v12, v11, 16, 1
	v_cmp_o_f32_e32 vcc_lo, v11, v11
	v_add3_u32 v12, v11, v12, 0x7fff
	s_delay_alu instid0(VALU_DEP_1) | instskip(NEXT) | instid1(VALU_DEP_1)
	v_lshrrev_b32_e32 v12, 16, v12
	v_cndmask_b32_e32 v13, 0x7fc0, v12, vcc_lo
	v_add_co_u32 v11, vcc_lo, v1, s18
	v_add_co_ci_u32_e32 v12, vcc_lo, 0, v2, vcc_lo
	global_store_b16 v[11:12], v13, off
	s_branch .LBB165_3
.LBB165_36:
	s_cbranch_execz .LBB165_38
	s_branch .LBB165_57
.LBB165_37:
.LBB165_38:
	v_dual_mov_b32 v2, 0 :: v_dual_lshlrev_b32 v1, 2, v0
	s_mov_b32 s2, 0
	s_mov_b32 s3, exec_lo
	s_delay_alu instid0(VALU_DEP_1)
	v_cmpx_gt_i64_e64 s[6:7], v[1:2]
	s_cbranch_execz .LBB165_57
; %bb.39:
	s_load_b32 s0, s[0:1], 0xd3c
	v_lshlrev_b32_e32 v1, 3, v0
	s_mov_b32 s4, 0xbbbac73d
	s_waitcnt lgkmcnt(0)
	s_and_b32 s0, s0, 0xffff
	s_add_u32 s1, s8, s10
	s_addc_u32 s3, s9, s11
	v_add_co_u32 v3, s1, s1, v1
	s_delay_alu instid0(VALU_DEP_1)
	v_add_co_ci_u32_e64 v4, null, s3, 0, s1
	v_add_lshl_u32 v1, v0, s0, 2
	s_lshl_b32 s1, s0, 3
	s_lshl_b32 s3, s0, 2
	s_branch .LBB165_41
.LBB165_40:                             ;   in Loop: Header=BB165_41 Depth=1
	s_or_b32 exec_lo, exec_lo, s0
	v_bfi_b32 v8, 0x7fffffff, v9, v8
	v_bfi_b32 v0, 0x7fffffff, v7, v0
	;; [unrolled: 1-line block ×3, first 2 shown]
	s_waitcnt_depctr 0xfff
	v_bfi_b32 v6, 0x7fffffff, v11, v6
	v_cmp_lt_u64_e64 s0, 0xffff, v[1:2]
	v_bfe_u32 v7, v8, 16, 1
	v_bfe_u32 v10, v0, 16, 1
	v_cmp_o_f32_e32 vcc_lo, v8, v8
	v_bfe_u32 v11, v6, 16, 1
	v_bfe_u32 v9, v5, 16, 1
	v_add3_u32 v7, v8, v7, 0x7fff
	v_add3_u32 v10, v0, v10, 0x7fff
	s_delay_alu instid0(VALU_DEP_4) | instskip(NEXT) | instid1(VALU_DEP_4)
	v_add3_u32 v11, v6, v11, 0x7fff
	v_add3_u32 v9, v5, v9, 0x7fff
	s_delay_alu instid0(VALU_DEP_4) | instskip(NEXT) | instid1(VALU_DEP_4)
	v_and_b32_e32 v7, 0xffff0000, v7
	v_lshrrev_b32_e32 v10, 16, v10
	s_delay_alu instid0(VALU_DEP_4) | instskip(NEXT) | instid1(VALU_DEP_4)
	v_and_b32_e32 v11, 0xffff0000, v11
	v_lshrrev_b32_e32 v9, 16, v9
	s_delay_alu instid0(VALU_DEP_4) | instskip(SKIP_3) | instid1(VALU_DEP_2)
	v_cndmask_b32_e32 v7, 0x7fc00000, v7, vcc_lo
	v_cmp_o_f32_e32 vcc_lo, v0, v0
	v_cndmask_b32_e32 v0, 0x7fc0, v10, vcc_lo
	v_cmp_o_f32_e32 vcc_lo, v6, v6
	v_or_b32_e32 v0, v7, v0
	v_cndmask_b32_e32 v6, 0x7fc00000, v11, vcc_lo
	v_cmp_o_f32_e32 vcc_lo, v5, v5
	v_cndmask_b32_e32 v5, 0x7fc0, v9, vcc_lo
	v_cmp_le_i64_e32 vcc_lo, s[6:7], v[1:2]
	s_delay_alu instid0(VALU_DEP_2) | instskip(SKIP_2) | instid1(SALU_CYCLE_1)
	v_or3_b32 v6, 0, v5, v6
	v_or3_b32 v5, v0, 0, 0
	s_or_b32 s0, vcc_lo, s0
	s_and_b32 s0, exec_lo, s0
	global_store_b64 v[3:4], v[5:6], off
	v_add_co_u32 v3, vcc_lo, v3, s1
	v_add_co_ci_u32_e32 v4, vcc_lo, 0, v4, vcc_lo
	v_add_co_u32 v1, vcc_lo, v1, s3
	v_add_co_ci_u32_e32 v2, vcc_lo, 0, v2, vcc_lo
	s_or_b32 s2, s0, s2
	s_delay_alu instid0(SALU_CYCLE_1)
	s_and_not1_b32 exec_lo, exec_lo, s2
	s_cbranch_execz .LBB165_57
.LBB165_41:                             ; =>This Inner Loop Header: Depth=1
	global_load_b64 v[5:6], v[3:4], off
                                        ; implicit-def: $vgpr7
	s_waitcnt vmcnt(0)
	v_lshlrev_b32_e32 v0, 16, v5
	s_delay_alu instid0(VALU_DEP_1) | instskip(NEXT) | instid1(VALU_DEP_1)
	v_cmp_ngt_f32_e64 s0, 0x3f200000, |v0|
	s_and_saveexec_b32 s5, s0
	s_delay_alu instid0(SALU_CYCLE_1)
	s_xor_b32 s0, exec_lo, s5
	s_cbranch_execz .LBB165_43
; %bb.42:                               ;   in Loop: Header=BB165_41 Depth=1
	v_add_f32_e64 v7, |v0|, |v0|
	s_delay_alu instid0(VALU_DEP_1) | instskip(SKIP_1) | instid1(VALU_DEP_2)
	v_mul_f32_e32 v8, 0x3fb8aa3b, v7
	v_cmp_ngt_f32_e32 vcc_lo, 0xc2ce8ed0, v7
	v_rndne_f32_e32 v9, v8
	v_fma_f32 v10, 0x3fb8aa3b, v7, -v8
	s_delay_alu instid0(VALU_DEP_2) | instskip(NEXT) | instid1(VALU_DEP_2)
	v_sub_f32_e32 v8, v8, v9
	v_fmac_f32_e32 v10, 0x32a5705f, v7
	v_cvt_i32_f32_e32 v9, v9
	s_delay_alu instid0(VALU_DEP_2) | instskip(NEXT) | instid1(VALU_DEP_1)
	v_add_f32_e32 v8, v8, v10
	v_exp_f32_e32 v8, v8
	s_waitcnt_depctr 0xfff
	v_ldexp_f32 v8, v8, v9
	s_delay_alu instid0(VALU_DEP_1) | instskip(SKIP_1) | instid1(VALU_DEP_2)
	v_cndmask_b32_e32 v8, 0, v8, vcc_lo
	v_cmp_nlt_f32_e32 vcc_lo, 0x42b17218, v7
	v_cndmask_b32_e32 v7, 0x7f800000, v8, vcc_lo
	s_delay_alu instid0(VALU_DEP_1) | instskip(NEXT) | instid1(VALU_DEP_1)
	v_add_f32_e32 v7, 1.0, v7
	v_rcp_f32_e32 v7, v7
	s_waitcnt_depctr 0xfff
	v_fma_f32 v7, v7, -2.0, 1.0
.LBB165_43:                             ;   in Loop: Header=BB165_41 Depth=1
	s_and_not1_saveexec_b32 s0, s0
; %bb.44:                               ;   in Loop: Header=BB165_41 Depth=1
	v_mul_f32_e32 v7, v0, v0
	s_delay_alu instid0(VALU_DEP_1) | instskip(NEXT) | instid1(VALU_DEP_1)
	v_fmaak_f32 v8, s4, v7, 0x3ca908c9
	v_fmaak_f32 v8, v7, v8, 0xbd5c1c4e
	s_delay_alu instid0(VALU_DEP_1) | instskip(NEXT) | instid1(VALU_DEP_1)
	v_fmaak_f32 v8, v7, v8, 0x3e088382
	v_fmaak_f32 v8, v7, v8, 0xbeaaaa99
	s_delay_alu instid0(VALU_DEP_1) | instskip(NEXT) | instid1(VALU_DEP_1)
	v_mul_f32_e64 v8, |v0|, v8
	v_fma_f32 v7, v7, v8, |v0|
; %bb.45:                               ;   in Loop: Header=BB165_41 Depth=1
	s_or_b32 exec_lo, exec_lo, s0
	v_and_b32_e32 v8, 0xffff0000, v5
                                        ; implicit-def: $vgpr9
	s_delay_alu instid0(VALU_DEP_1) | instskip(NEXT) | instid1(VALU_DEP_1)
	v_cmp_ngt_f32_e64 s0, 0x3f200000, |v8|
	s_and_saveexec_b32 s5, s0
	s_delay_alu instid0(SALU_CYCLE_1)
	s_xor_b32 s0, exec_lo, s5
	s_cbranch_execz .LBB165_47
; %bb.46:                               ;   in Loop: Header=BB165_41 Depth=1
	v_add_f32_e64 v9, |v8|, |v8|
	s_delay_alu instid0(VALU_DEP_1) | instskip(SKIP_1) | instid1(VALU_DEP_2)
	v_mul_f32_e32 v10, 0x3fb8aa3b, v9
	v_cmp_ngt_f32_e32 vcc_lo, 0xc2ce8ed0, v9
	v_rndne_f32_e32 v11, v10
	v_fma_f32 v12, 0x3fb8aa3b, v9, -v10
	s_delay_alu instid0(VALU_DEP_2) | instskip(NEXT) | instid1(VALU_DEP_2)
	v_sub_f32_e32 v10, v10, v11
	v_fmac_f32_e32 v12, 0x32a5705f, v9
	v_cvt_i32_f32_e32 v11, v11
	s_delay_alu instid0(VALU_DEP_2) | instskip(NEXT) | instid1(VALU_DEP_1)
	v_add_f32_e32 v10, v10, v12
	v_exp_f32_e32 v10, v10
	s_waitcnt_depctr 0xfff
	v_ldexp_f32 v10, v10, v11
	s_delay_alu instid0(VALU_DEP_1) | instskip(SKIP_1) | instid1(VALU_DEP_2)
	v_cndmask_b32_e32 v10, 0, v10, vcc_lo
	v_cmp_nlt_f32_e32 vcc_lo, 0x42b17218, v9
	v_cndmask_b32_e32 v9, 0x7f800000, v10, vcc_lo
	s_delay_alu instid0(VALU_DEP_1) | instskip(NEXT) | instid1(VALU_DEP_1)
	v_add_f32_e32 v9, 1.0, v9
	v_rcp_f32_e32 v9, v9
	s_waitcnt_depctr 0xfff
	v_fma_f32 v9, v9, -2.0, 1.0
.LBB165_47:                             ;   in Loop: Header=BB165_41 Depth=1
	s_and_not1_saveexec_b32 s0, s0
; %bb.48:                               ;   in Loop: Header=BB165_41 Depth=1
	v_mul_f32_e32 v9, v8, v8
	s_delay_alu instid0(VALU_DEP_1) | instskip(NEXT) | instid1(VALU_DEP_1)
	v_fmaak_f32 v10, s4, v9, 0x3ca908c9
	v_fmaak_f32 v10, v9, v10, 0xbd5c1c4e
	s_delay_alu instid0(VALU_DEP_1) | instskip(NEXT) | instid1(VALU_DEP_1)
	v_fmaak_f32 v10, v9, v10, 0x3e088382
	v_fmaak_f32 v10, v9, v10, 0xbeaaaa99
	s_delay_alu instid0(VALU_DEP_1) | instskip(NEXT) | instid1(VALU_DEP_1)
	v_mul_f32_e64 v10, |v8|, v10
	v_fma_f32 v9, v9, v10, |v8|
; %bb.49:                               ;   in Loop: Header=BB165_41 Depth=1
	s_or_b32 exec_lo, exec_lo, s0
	v_alignbit_b32 v5, v6, v5, 16
                                        ; implicit-def: $vgpr10
	s_delay_alu instid0(VALU_DEP_1) | instskip(NEXT) | instid1(VALU_DEP_1)
	v_and_b32_e32 v5, 0xffff0000, v5
	v_cmp_ngt_f32_e64 s0, 0x3f200000, |v5|
	s_delay_alu instid0(VALU_DEP_1) | instskip(NEXT) | instid1(SALU_CYCLE_1)
	s_and_saveexec_b32 s5, s0
	s_xor_b32 s0, exec_lo, s5
	s_cbranch_execz .LBB165_51
; %bb.50:                               ;   in Loop: Header=BB165_41 Depth=1
	v_add_f32_e64 v10, |v5|, |v5|
	s_delay_alu instid0(VALU_DEP_1) | instskip(SKIP_1) | instid1(VALU_DEP_2)
	v_mul_f32_e32 v11, 0x3fb8aa3b, v10
	v_cmp_ngt_f32_e32 vcc_lo, 0xc2ce8ed0, v10
	v_rndne_f32_e32 v12, v11
	v_fma_f32 v13, 0x3fb8aa3b, v10, -v11
	s_delay_alu instid0(VALU_DEP_2) | instskip(NEXT) | instid1(VALU_DEP_2)
	v_sub_f32_e32 v11, v11, v12
	v_fmac_f32_e32 v13, 0x32a5705f, v10
	v_cvt_i32_f32_e32 v12, v12
	s_delay_alu instid0(VALU_DEP_2) | instskip(NEXT) | instid1(VALU_DEP_1)
	v_add_f32_e32 v11, v11, v13
	v_exp_f32_e32 v11, v11
	s_waitcnt_depctr 0xfff
	v_ldexp_f32 v11, v11, v12
	s_delay_alu instid0(VALU_DEP_1) | instskip(SKIP_1) | instid1(VALU_DEP_2)
	v_cndmask_b32_e32 v11, 0, v11, vcc_lo
	v_cmp_nlt_f32_e32 vcc_lo, 0x42b17218, v10
	v_cndmask_b32_e32 v10, 0x7f800000, v11, vcc_lo
	s_delay_alu instid0(VALU_DEP_1) | instskip(NEXT) | instid1(VALU_DEP_1)
	v_add_f32_e32 v10, 1.0, v10
	v_rcp_f32_e32 v10, v10
	s_waitcnt_depctr 0xfff
	v_fma_f32 v10, v10, -2.0, 1.0
.LBB165_51:                             ;   in Loop: Header=BB165_41 Depth=1
	s_and_not1_saveexec_b32 s0, s0
; %bb.52:                               ;   in Loop: Header=BB165_41 Depth=1
	v_mul_f32_e32 v10, v5, v5
	s_delay_alu instid0(VALU_DEP_1) | instskip(NEXT) | instid1(VALU_DEP_1)
	v_fmaak_f32 v11, s4, v10, 0x3ca908c9
	v_fmaak_f32 v11, v10, v11, 0xbd5c1c4e
	s_delay_alu instid0(VALU_DEP_1) | instskip(NEXT) | instid1(VALU_DEP_1)
	v_fmaak_f32 v11, v10, v11, 0x3e088382
	v_fmaak_f32 v11, v10, v11, 0xbeaaaa99
	s_delay_alu instid0(VALU_DEP_1) | instskip(NEXT) | instid1(VALU_DEP_1)
	v_mul_f32_e64 v11, |v5|, v11
	v_fma_f32 v10, v10, v11, |v5|
; %bb.53:                               ;   in Loop: Header=BB165_41 Depth=1
	s_or_b32 exec_lo, exec_lo, s0
	v_and_b32_e32 v6, 0xffff0000, v6
                                        ; implicit-def: $vgpr11
	s_delay_alu instid0(VALU_DEP_1) | instskip(NEXT) | instid1(VALU_DEP_1)
	v_cmp_ngt_f32_e64 s0, 0x3f200000, |v6|
	s_and_saveexec_b32 s5, s0
	s_delay_alu instid0(SALU_CYCLE_1)
	s_xor_b32 s0, exec_lo, s5
	s_cbranch_execz .LBB165_55
; %bb.54:                               ;   in Loop: Header=BB165_41 Depth=1
	v_add_f32_e64 v11, |v6|, |v6|
	s_delay_alu instid0(VALU_DEP_1) | instskip(SKIP_1) | instid1(VALU_DEP_2)
	v_mul_f32_e32 v12, 0x3fb8aa3b, v11
	v_cmp_ngt_f32_e32 vcc_lo, 0xc2ce8ed0, v11
	v_rndne_f32_e32 v13, v12
	v_fma_f32 v14, 0x3fb8aa3b, v11, -v12
	s_delay_alu instid0(VALU_DEP_2) | instskip(NEXT) | instid1(VALU_DEP_2)
	v_sub_f32_e32 v12, v12, v13
	v_fmac_f32_e32 v14, 0x32a5705f, v11
	v_cvt_i32_f32_e32 v13, v13
	s_delay_alu instid0(VALU_DEP_2) | instskip(NEXT) | instid1(VALU_DEP_1)
	v_add_f32_e32 v12, v12, v14
	v_exp_f32_e32 v12, v12
	s_waitcnt_depctr 0xfff
	v_ldexp_f32 v12, v12, v13
	s_delay_alu instid0(VALU_DEP_1) | instskip(SKIP_1) | instid1(VALU_DEP_2)
	v_cndmask_b32_e32 v12, 0, v12, vcc_lo
	v_cmp_nlt_f32_e32 vcc_lo, 0x42b17218, v11
	v_cndmask_b32_e32 v11, 0x7f800000, v12, vcc_lo
	s_delay_alu instid0(VALU_DEP_1) | instskip(NEXT) | instid1(VALU_DEP_1)
	v_add_f32_e32 v11, 1.0, v11
	v_rcp_f32_e32 v11, v11
	s_waitcnt_depctr 0xfff
	v_fma_f32 v11, v11, -2.0, 1.0
.LBB165_55:                             ;   in Loop: Header=BB165_41 Depth=1
	s_and_not1_saveexec_b32 s0, s0
	s_cbranch_execz .LBB165_40
; %bb.56:                               ;   in Loop: Header=BB165_41 Depth=1
	v_mul_f32_e32 v11, v6, v6
	s_delay_alu instid0(VALU_DEP_1) | instskip(NEXT) | instid1(VALU_DEP_1)
	v_fmaak_f32 v12, s4, v11, 0x3ca908c9
	v_fmaak_f32 v12, v11, v12, 0xbd5c1c4e
	s_delay_alu instid0(VALU_DEP_1) | instskip(NEXT) | instid1(VALU_DEP_1)
	v_fmaak_f32 v12, v11, v12, 0x3e088382
	v_fmaak_f32 v12, v11, v12, 0xbeaaaa99
	s_delay_alu instid0(VALU_DEP_1) | instskip(NEXT) | instid1(VALU_DEP_1)
	v_mul_f32_e64 v12, |v6|, v12
	v_fma_f32 v11, v11, v12, |v6|
	s_branch .LBB165_40
.LBB165_57:
	s_nop 0
	s_sendmsg sendmsg(MSG_DEALLOC_VGPRS)
	s_endpgm
	.section	.rodata,"a",@progbits
	.p2align	6, 0x0
	.amdhsa_kernel _ZN2at6native12_GLOBAL__N_125multi_tensor_apply_kernelINS1_18TensorListMetadataILi1EEENS1_14UnaryOpFunctorIN3c108BFloat16ELi1ELi1ELi0EEEJNS0_4TanhIfEEEEEvT_T0_DpT1_
		.amdhsa_group_segment_fixed_size 0
		.amdhsa_private_segment_fixed_size 0
		.amdhsa_kernarg_size 3632
		.amdhsa_user_sgpr_count 15
		.amdhsa_user_sgpr_dispatch_ptr 0
		.amdhsa_user_sgpr_queue_ptr 0
		.amdhsa_user_sgpr_kernarg_segment_ptr 1
		.amdhsa_user_sgpr_dispatch_id 0
		.amdhsa_user_sgpr_private_segment_size 0
		.amdhsa_wavefront_size32 1
		.amdhsa_uses_dynamic_stack 0
		.amdhsa_enable_private_segment 0
		.amdhsa_system_sgpr_workgroup_id_x 1
		.amdhsa_system_sgpr_workgroup_id_y 0
		.amdhsa_system_sgpr_workgroup_id_z 0
		.amdhsa_system_sgpr_workgroup_info 0
		.amdhsa_system_vgpr_workitem_id 0
		.amdhsa_next_free_vgpr 22
		.amdhsa_next_free_sgpr 21
		.amdhsa_reserve_vcc 1
		.amdhsa_float_round_mode_32 0
		.amdhsa_float_round_mode_16_64 0
		.amdhsa_float_denorm_mode_32 3
		.amdhsa_float_denorm_mode_16_64 3
		.amdhsa_dx10_clamp 1
		.amdhsa_ieee_mode 1
		.amdhsa_fp16_overflow 0
		.amdhsa_workgroup_processor_mode 1
		.amdhsa_memory_ordered 1
		.amdhsa_forward_progress 0
		.amdhsa_shared_vgpr_count 0
		.amdhsa_exception_fp_ieee_invalid_op 0
		.amdhsa_exception_fp_denorm_src 0
		.amdhsa_exception_fp_ieee_div_zero 0
		.amdhsa_exception_fp_ieee_overflow 0
		.amdhsa_exception_fp_ieee_underflow 0
		.amdhsa_exception_fp_ieee_inexact 0
		.amdhsa_exception_int_div_zero 0
	.end_amdhsa_kernel
	.section	.text._ZN2at6native12_GLOBAL__N_125multi_tensor_apply_kernelINS1_18TensorListMetadataILi1EEENS1_14UnaryOpFunctorIN3c108BFloat16ELi1ELi1ELi0EEEJNS0_4TanhIfEEEEEvT_T0_DpT1_,"axG",@progbits,_ZN2at6native12_GLOBAL__N_125multi_tensor_apply_kernelINS1_18TensorListMetadataILi1EEENS1_14UnaryOpFunctorIN3c108BFloat16ELi1ELi1ELi0EEEJNS0_4TanhIfEEEEEvT_T0_DpT1_,comdat
.Lfunc_end165:
	.size	_ZN2at6native12_GLOBAL__N_125multi_tensor_apply_kernelINS1_18TensorListMetadataILi1EEENS1_14UnaryOpFunctorIN3c108BFloat16ELi1ELi1ELi0EEEJNS0_4TanhIfEEEEEvT_T0_DpT1_, .Lfunc_end165-_ZN2at6native12_GLOBAL__N_125multi_tensor_apply_kernelINS1_18TensorListMetadataILi1EEENS1_14UnaryOpFunctorIN3c108BFloat16ELi1ELi1ELi0EEEJNS0_4TanhIfEEEEEvT_T0_DpT1_
                                        ; -- End function
	.section	.AMDGPU.csdata,"",@progbits
; Kernel info:
; codeLenInByte = 3572
; NumSgprs: 23
; NumVgprs: 22
; ScratchSize: 0
; MemoryBound: 0
; FloatMode: 240
; IeeeMode: 1
; LDSByteSize: 0 bytes/workgroup (compile time only)
; SGPRBlocks: 2
; VGPRBlocks: 2
; NumSGPRsForWavesPerEU: 23
; NumVGPRsForWavesPerEU: 22
; Occupancy: 16
; WaveLimiterHint : 0
; COMPUTE_PGM_RSRC2:SCRATCH_EN: 0
; COMPUTE_PGM_RSRC2:USER_SGPR: 15
; COMPUTE_PGM_RSRC2:TRAP_HANDLER: 0
; COMPUTE_PGM_RSRC2:TGID_X_EN: 1
; COMPUTE_PGM_RSRC2:TGID_Y_EN: 0
; COMPUTE_PGM_RSRC2:TGID_Z_EN: 0
; COMPUTE_PGM_RSRC2:TIDIG_COMP_CNT: 0
	.section	.text._ZN2at6native12_GLOBAL__N_125multi_tensor_apply_kernelINS1_18TensorListMetadataILi2EEENS1_14UnaryOpFunctorIdLi2ELi1ELi1EEEJNS0_3LogIdEEEEEvT_T0_DpT1_,"axG",@progbits,_ZN2at6native12_GLOBAL__N_125multi_tensor_apply_kernelINS1_18TensorListMetadataILi2EEENS1_14UnaryOpFunctorIdLi2ELi1ELi1EEEJNS0_3LogIdEEEEEvT_T0_DpT1_,comdat
	.globl	_ZN2at6native12_GLOBAL__N_125multi_tensor_apply_kernelINS1_18TensorListMetadataILi2EEENS1_14UnaryOpFunctorIdLi2ELi1ELi1EEEJNS0_3LogIdEEEEEvT_T0_DpT1_ ; -- Begin function _ZN2at6native12_GLOBAL__N_125multi_tensor_apply_kernelINS1_18TensorListMetadataILi2EEENS1_14UnaryOpFunctorIdLi2ELi1ELi1EEEJNS0_3LogIdEEEEEvT_T0_DpT1_
	.p2align	8
	.type	_ZN2at6native12_GLOBAL__N_125multi_tensor_apply_kernelINS1_18TensorListMetadataILi2EEENS1_14UnaryOpFunctorIdLi2ELi1ELi1EEEJNS0_3LogIdEEEEEvT_T0_DpT1_,@function
_ZN2at6native12_GLOBAL__N_125multi_tensor_apply_kernelINS1_18TensorListMetadataILi2EEENS1_14UnaryOpFunctorIdLi2ELi1ELi1EEEJNS0_3LogIdEEEEEvT_T0_DpT1_: ; @_ZN2at6native12_GLOBAL__N_125multi_tensor_apply_kernelINS1_18TensorListMetadataILi2EEENS1_14UnaryOpFunctorIdLi2ELi1ELi1EEEJNS0_3LogIdEEEEEvT_T0_DpT1_
; %bb.0:
	v_mov_b32_e32 v1, s15
	s_add_u32 s2, s0, s15
	s_mul_hi_u32 s3, s15, 3
	s_mul_i32 s15, s15, 3
	s_addc_u32 s4, s1, 0
	global_load_u8 v1, v1, s[0:1] offset:1536
	s_add_u32 s2, s2, s15
	s_addc_u32 s3, s4, s3
	s_mov_b32 s7, 0
	s_load_b32 s2, s[2:3], 0x740
	s_mov_b32 s11, s7
	s_mov_b32 s17, s7
	s_waitcnt vmcnt(0)
	v_readfirstlane_b32 s5, v1
	s_delay_alu instid0(VALU_DEP_1)
	s_lshl_b32 s3, s5, 3
	s_clause 0x2
	s_load_b64 s[14:15], s[0:1], s3 offset:0x0
	s_load_b64 s[12:13], s[0:1], s3 offset:0x200
	;; [unrolled: 1-line block ×3, first 2 shown]
	s_waitcnt lgkmcnt(0)
	s_ashr_i32 s3, s2, 31
	s_delay_alu instid0(SALU_CYCLE_1) | instskip(NEXT) | instid1(SALU_CYCLE_1)
	s_lshl_b64 s[8:9], s[2:3], 19
	s_add_u32 s33, s14, s8
	s_addc_u32 s38, s15, s9
	s_and_b32 s6, s33, 31
	s_add_u32 s39, s12, s8
	s_addc_u32 s40, s13, s9
	s_and_b32 s10, s4, 3
	s_and_b32 s16, s39, 31
	s_or_b64 s[6:7], s[6:7], s[10:11]
	s_lshl_b64 s[2:3], s[2:3], 16
	s_or_b64 s[6:7], s[16:17], s[6:7]
	s_sub_u32 s10, s4, s2
	s_subb_u32 s11, s5, s3
	s_cmp_eq_u64 s[6:7], 0
	s_mov_b32 s2, -1
	s_cbranch_scc0 .LBB166_5
; %bb.1:
	v_mov_b32_e32 v9, 0
	v_lshlrev_b32_e32 v1, 2, v0
	s_mov_b32 s41, exec_lo
	s_delay_alu instid0(VALU_DEP_2) | instskip(NEXT) | instid1(VALU_DEP_1)
	v_mov_b32_e32 v2, v9
	v_cmpx_gt_i64_e64 s[10:11], v[1:2]
	s_cbranch_execz .LBB166_4
; %bb.2:
	s_load_b32 s2, s[0:1], 0xc5c
	v_dual_mov_b32 v12, v9 :: v_dual_lshlrev_b32 v13, 5, v0
	s_mov_b32 s34, 0x55555555
	s_mov_b32 s35, 0x3fe55555
	s_mov_b32 s16, 0x6b47b09a
	s_mov_b32 s18, 0xbf559e2b
	s_mov_b32 s20, 0xd7f4df2e
	s_mov_b32 s22, 0x16291751
	s_mov_b32 s24, 0x9b27acf1
	s_mov_b32 s26, 0x998ef7b6
	s_mov_b32 s28, 0xfefa39ef
	s_mov_b32 s30, 0x3b39803f
	s_mov_b32 s42, 0
	s_mov_b32 s17, 0x3fc38538
	s_mov_b32 s19, 0x3fc3ab76
	s_mov_b32 s21, 0x3fc7474d
	s_mov_b32 s23, 0x3fcc71c0
	s_mov_b32 s25, 0x3fd24924
	s_mov_b32 s27, 0x3fd99999
	s_waitcnt lgkmcnt(0)
	s_and_b32 s2, s2, 0xffff
	s_mov_b32 s29, 0x3fe62e42
	v_add_lshl_u32 v11, v0, s2, 2
	s_lshl_b32 s43, s2, 2
	s_lshl_b32 s44, s2, 5
	s_mov_b32 s31, 0x3c7abc9e
	s_mov_b32 s36, 0x55555780
	;; [unrolled: 1-line block ×3, first 2 shown]
.LBB166_3:                              ; =>This Inner Loop Header: Depth=1
	v_add_co_u32 v1, s2, s33, v13
	s_delay_alu instid0(VALU_DEP_1)
	v_add_co_ci_u32_e64 v2, null, s38, 0, s2
	v_cmp_lt_u64_e64 s6, 0xffff, v[11:12]
	s_clause 0x1
	global_load_b128 v[5:8], v[1:2], off
	global_load_b128 v[1:4], v[1:2], off offset:16
	s_waitcnt vmcnt(1)
	v_frexp_mant_f64_e32 v[14:15], v[5:6]
	v_frexp_mant_f64_e32 v[16:17], v[7:8]
	s_waitcnt vmcnt(0)
	v_frexp_mant_f64_e32 v[18:19], v[1:2]
	v_frexp_mant_f64_e32 v[20:21], v[3:4]
	v_cmp_class_f64_e64 s5, v[3:4], 0x204
	v_cmp_gt_f64_e32 vcc_lo, s[34:35], v[14:15]
	v_cmp_gt_f64_e64 s3, s[34:35], v[16:17]
	v_cmp_gt_f64_e64 s2, s[34:35], v[18:19]
	;; [unrolled: 1-line block ×3, first 2 shown]
	v_cndmask_b32_e64 v10, 0x3ff00000, 2.0, vcc_lo
	s_delay_alu instid0(VALU_DEP_1) | instskip(SKIP_1) | instid1(VALU_DEP_1)
	v_mul_f64 v[14:15], v[14:15], v[9:10]
	v_cndmask_b32_e64 v10, 0x3ff00000, 2.0, s3
	v_mul_f64 v[16:17], v[16:17], v[9:10]
	v_cndmask_b32_e64 v10, 0x3ff00000, 2.0, s2
	s_delay_alu instid0(VALU_DEP_1) | instskip(SKIP_1) | instid1(VALU_DEP_1)
	v_mul_f64 v[18:19], v[18:19], v[9:10]
	v_cndmask_b32_e64 v10, 0x3ff00000, 2.0, s4
	v_mul_f64 v[20:21], v[20:21], v[9:10]
	v_frexp_exp_i32_f64_e32 v10, v[5:6]
	v_add_f64 v[22:23], v[14:15], 1.0
	v_add_f64 v[46:47], v[14:15], -1.0
	v_add_f64 v[24:25], v[16:17], 1.0
	v_add_f64 v[48:49], v[16:17], -1.0
	;; [unrolled: 2-line block ×4, first 2 shown]
	v_subrev_co_ci_u32_e32 v10, vcc_lo, 0, v10, vcc_lo
	v_rcp_f64_e32 v[30:31], v[22:23]
	v_add_f64 v[54:55], v[22:23], -1.0
	v_rcp_f64_e32 v[32:33], v[24:25]
	v_add_f64 v[56:57], v[24:25], -1.0
	;; [unrolled: 2-line block ×4, first 2 shown]
	s_delay_alu instid0(VALU_DEP_4) | instskip(SKIP_2) | instid1(TRANS32_DEP_3)
	v_add_f64 v[14:15], v[14:15], -v[54:55]
	v_fma_f64 v[38:39], -v[22:23], v[30:31], 1.0
	v_add_f64 v[16:17], v[16:17], -v[56:57]
	v_fma_f64 v[40:41], -v[24:25], v[32:33], 1.0
	v_add_f64 v[18:19], v[18:19], -v[58:59]
	s_delay_alu instid0(TRANS32_DEP_2) | instskip(SKIP_1) | instid1(TRANS32_DEP_1)
	v_fma_f64 v[42:43], -v[26:27], v[34:35], 1.0
	v_add_f64 v[20:21], v[20:21], -v[60:61]
	v_fma_f64 v[44:45], -v[28:29], v[36:37], 1.0
	v_fma_f64 v[30:31], v[38:39], v[30:31], v[30:31]
	v_fma_f64 v[32:33], v[40:41], v[32:33], v[32:33]
	;; [unrolled: 1-line block ×3, first 2 shown]
	s_delay_alu instid0(VALU_DEP_4) | instskip(NEXT) | instid1(VALU_DEP_4)
	v_fma_f64 v[36:37], v[44:45], v[36:37], v[36:37]
	v_fma_f64 v[38:39], -v[22:23], v[30:31], 1.0
	s_delay_alu instid0(VALU_DEP_4) | instskip(NEXT) | instid1(VALU_DEP_4)
	v_fma_f64 v[40:41], -v[24:25], v[32:33], 1.0
	v_fma_f64 v[42:43], -v[26:27], v[34:35], 1.0
	s_delay_alu instid0(VALU_DEP_4) | instskip(NEXT) | instid1(VALU_DEP_4)
	v_fma_f64 v[44:45], -v[28:29], v[36:37], 1.0
	v_fma_f64 v[30:31], v[38:39], v[30:31], v[30:31]
	s_delay_alu instid0(VALU_DEP_4) | instskip(NEXT) | instid1(VALU_DEP_4)
	v_fma_f64 v[32:33], v[40:41], v[32:33], v[32:33]
	v_fma_f64 v[34:35], v[42:43], v[34:35], v[34:35]
	s_delay_alu instid0(VALU_DEP_4) | instskip(NEXT) | instid1(VALU_DEP_4)
	v_fma_f64 v[36:37], v[44:45], v[36:37], v[36:37]
	v_mul_f64 v[38:39], v[46:47], v[30:31]
	s_delay_alu instid0(VALU_DEP_4) | instskip(NEXT) | instid1(VALU_DEP_4)
	v_mul_f64 v[40:41], v[48:49], v[32:33]
	v_mul_f64 v[42:43], v[50:51], v[34:35]
	s_delay_alu instid0(VALU_DEP_4) | instskip(NEXT) | instid1(VALU_DEP_4)
	v_mul_f64 v[44:45], v[52:53], v[36:37]
	;; [unrolled: 3-line block ×4, first 2 shown]
	v_fma_f64 v[22:23], v[38:39], v[22:23], -v[62:63]
	s_delay_alu instid0(VALU_DEP_4) | instskip(NEXT) | instid1(VALU_DEP_4)
	v_fma_f64 v[24:25], v[40:41], v[24:25], -v[64:65]
	v_fma_f64 v[26:27], v[42:43], v[26:27], -v[66:67]
	s_delay_alu instid0(VALU_DEP_4) | instskip(NEXT) | instid1(VALU_DEP_4)
	v_fma_f64 v[28:29], v[44:45], v[28:29], -v[68:69]
	v_fma_f64 v[14:15], v[38:39], v[14:15], v[22:23]
	s_delay_alu instid0(VALU_DEP_4) | instskip(NEXT) | instid1(VALU_DEP_4)
	v_fma_f64 v[16:17], v[40:41], v[16:17], v[24:25]
	v_fma_f64 v[18:19], v[42:43], v[18:19], v[26:27]
	s_delay_alu instid0(VALU_DEP_4) | instskip(NEXT) | instid1(VALU_DEP_4)
	v_fma_f64 v[20:21], v[44:45], v[20:21], v[28:29]
	v_add_f64 v[22:23], v[62:63], v[14:15]
	s_delay_alu instid0(VALU_DEP_4) | instskip(NEXT) | instid1(VALU_DEP_4)
	v_add_f64 v[24:25], v[64:65], v[16:17]
	v_add_f64 v[26:27], v[66:67], v[18:19]
	s_delay_alu instid0(VALU_DEP_4) | instskip(NEXT) | instid1(VALU_DEP_4)
	v_add_f64 v[28:29], v[68:69], v[20:21]
	v_add_f64 v[54:55], v[46:47], -v[22:23]
	v_add_f64 v[62:63], v[22:23], -v[62:63]
	;; [unrolled: 1-line block ×10, first 2 shown]
	v_frexp_exp_i32_f64_e32 v62, v[7:8]
	v_frexp_exp_i32_f64_e32 v63, v[1:2]
	v_add_f64 v[48:49], v[48:49], -v[56:57]
	v_add_f64 v[16:17], v[64:65], -v[16:17]
	v_frexp_exp_i32_f64_e32 v64, v[3:4]
	v_add_f64 v[50:51], v[50:51], -v[58:59]
	v_add_f64 v[18:19], v[66:67], -v[18:19]
	v_add_f64 v[52:53], v[52:53], -v[60:61]
	v_add_f64 v[20:21], v[68:69], -v[20:21]
	v_add_f64 v[22:23], v[46:47], -v[22:23]
	v_add_f64 v[24:25], v[48:49], -v[24:25]
	v_add_f64 v[26:27], v[50:51], -v[26:27]
	v_add_f64 v[28:29], v[52:53], -v[28:29]
	s_delay_alu instid0(VALU_DEP_4) | instskip(NEXT) | instid1(VALU_DEP_4)
	v_add_f64 v[14:15], v[14:15], v[22:23]
	v_add_f64 v[16:17], v[16:17], v[24:25]
	s_delay_alu instid0(VALU_DEP_4) | instskip(NEXT) | instid1(VALU_DEP_4)
	v_add_f64 v[18:19], v[18:19], v[26:27]
	v_add_f64 v[20:21], v[20:21], v[28:29]
	;; [unrolled: 3-line block ×4, first 2 shown]
	s_delay_alu instid0(VALU_DEP_4) | instskip(NEXT) | instid1(VALU_DEP_4)
	v_mul_f64 v[14:15], v[30:31], v[14:15]
	v_mul_f64 v[16:17], v[32:33], v[16:17]
	s_delay_alu instid0(VALU_DEP_4) | instskip(NEXT) | instid1(VALU_DEP_4)
	v_mul_f64 v[18:19], v[34:35], v[18:19]
	v_mul_f64 v[20:21], v[36:37], v[20:21]
	s_delay_alu instid0(VALU_DEP_4) | instskip(NEXT) | instid1(VALU_DEP_4)
	v_add_f64 v[22:23], v[38:39], v[14:15]
	v_add_f64 v[24:25], v[40:41], v[16:17]
	s_delay_alu instid0(VALU_DEP_4) | instskip(NEXT) | instid1(VALU_DEP_4)
	v_add_f64 v[26:27], v[42:43], v[18:19]
	v_add_f64 v[28:29], v[44:45], v[20:21]
	s_delay_alu instid0(VALU_DEP_4) | instskip(NEXT) | instid1(VALU_DEP_4)
	v_mul_f64 v[30:31], v[22:23], v[22:23]
	v_mul_f64 v[32:33], v[24:25], v[24:25]
	s_delay_alu instid0(VALU_DEP_4) | instskip(NEXT) | instid1(VALU_DEP_4)
	v_mul_f64 v[34:35], v[26:27], v[26:27]
	v_mul_f64 v[36:37], v[28:29], v[28:29]
	s_delay_alu instid0(VALU_DEP_4)
	v_fma_f64 v[46:47], v[30:31], s[18:19], s[16:17]
	v_mul_f64 v[54:55], v[22:23], v[30:31]
	v_fma_f64 v[48:49], v[32:33], s[18:19], s[16:17]
	v_mul_f64 v[56:57], v[24:25], v[32:33]
	;; [unrolled: 2-line block ×4, first 2 shown]
	v_fma_f64 v[46:47], v[30:31], v[46:47], s[20:21]
	v_fma_f64 v[48:49], v[32:33], v[48:49], s[20:21]
	;; [unrolled: 1-line block ×4, first 2 shown]
	s_delay_alu instid0(VALU_DEP_4) | instskip(NEXT) | instid1(VALU_DEP_4)
	v_fma_f64 v[46:47], v[30:31], v[46:47], s[22:23]
	v_fma_f64 v[48:49], v[32:33], v[48:49], s[22:23]
	s_delay_alu instid0(VALU_DEP_4) | instskip(NEXT) | instid1(VALU_DEP_4)
	v_fma_f64 v[50:51], v[34:35], v[50:51], s[22:23]
	v_fma_f64 v[52:53], v[36:37], v[52:53], s[22:23]
	;; [unrolled: 3-line block ×6, first 2 shown]
	s_delay_alu instid0(VALU_DEP_4)
	v_fma_f64 v[30:31], v[30:31], v[46:47], s[36:37]
	v_ldexp_f64 v[46:47], v[22:23], 1
	v_add_f64 v[22:23], v[22:23], -v[38:39]
	v_fma_f64 v[32:33], v[32:33], v[48:49], s[36:37]
	v_ldexp_f64 v[48:49], v[24:25], 1
	v_add_f64 v[24:25], v[24:25], -v[40:41]
	;; [unrolled: 3-line block ×4, first 2 shown]
	v_mul_f64 v[30:31], v[54:55], v[30:31]
	v_cvt_f64_i32_e32 v[54:55], v10
	v_add_f64 v[14:15], v[14:15], -v[22:23]
	v_mul_f64 v[32:33], v[56:57], v[32:33]
	v_subrev_co_ci_u32_e64 v56, vcc_lo, 0, v62, s3
	v_add_f64 v[16:17], v[16:17], -v[24:25]
	v_cmp_class_f64_e64 s3, v[7:8], 0x204
	v_mul_f64 v[34:35], v[58:59], v[34:35]
	v_subrev_co_ci_u32_e64 v58, vcc_lo, 0, v63, s2
	v_cvt_f64_i32_e32 v[56:57], v56
	v_add_f64 v[18:19], v[18:19], -v[26:27]
	v_cmp_class_f64_e64 s2, v[5:6], 0x204
	v_mul_f64 v[36:37], v[60:61], v[36:37]
	v_subrev_co_ci_u32_e64 v60, vcc_lo, 0, v64, s4
	v_cvt_f64_i32_e32 v[58:59], v58
	v_add_f64 v[20:21], v[20:21], -v[28:29]
	v_cmp_le_i64_e32 vcc_lo, s[10:11], v[11:12]
	s_delay_alu instid0(VALU_DEP_4)
	v_cvt_f64_i32_e32 v[60:61], v60
	v_cmp_class_f64_e64 s4, v[1:2], 0x204
	s_or_b32 s6, vcc_lo, s6
	v_cmp_nge_f64_e32 vcc_lo, 0, v[5:6]
	s_add_u32 s33, s33, s44
	s_addc_u32 s38, s38, 0
	v_add_f64 v[38:39], v[46:47], v[30:31]
	v_mul_f64 v[62:63], v[54:55], s[28:29]
	v_ldexp_f64 v[14:15], v[14:15], 1
	v_add_f64 v[40:41], v[48:49], v[32:33]
	v_ldexp_f64 v[16:17], v[16:17], 1
	v_add_f64 v[42:43], v[50:51], v[34:35]
	v_mul_f64 v[64:65], v[56:57], s[28:29]
	v_ldexp_f64 v[18:19], v[18:19], 1
	v_add_f64 v[44:45], v[52:53], v[36:37]
	v_mul_f64 v[66:67], v[58:59], s[28:29]
	v_ldexp_f64 v[20:21], v[20:21], 1
	v_mul_f64 v[68:69], v[60:61], s[28:29]
	v_add_f64 v[22:23], v[38:39], -v[46:47]
	v_fma_f64 v[46:47], v[54:55], s[28:29], -v[62:63]
	v_add_f64 v[24:25], v[40:41], -v[48:49]
	v_add_f64 v[26:27], v[42:43], -v[50:51]
	v_fma_f64 v[48:49], v[56:57], s[28:29], -v[64:65]
	v_add_f64 v[28:29], v[44:45], -v[52:53]
	v_fma_f64 v[50:51], v[58:59], s[28:29], -v[66:67]
	v_fma_f64 v[52:53], v[60:61], s[28:29], -v[68:69]
	v_add_f64 v[22:23], v[30:31], -v[22:23]
	v_fma_f64 v[30:31], v[54:55], s[30:31], v[46:47]
	v_add_f64 v[24:25], v[32:33], -v[24:25]
	v_add_f64 v[26:27], v[34:35], -v[26:27]
	v_fma_f64 v[32:33], v[56:57], s[30:31], v[48:49]
	v_add_f64 v[28:29], v[36:37], -v[28:29]
	v_fma_f64 v[34:35], v[58:59], s[30:31], v[50:51]
	v_fma_f64 v[36:37], v[60:61], s[30:31], v[52:53]
	v_add_f64 v[14:15], v[14:15], v[22:23]
	v_add_f64 v[22:23], v[62:63], v[30:31]
	;; [unrolled: 1-line block ×9, first 2 shown]
	v_add_f64 v[62:63], v[22:23], -v[62:63]
	v_add_f64 v[48:49], v[40:41], v[16:17]
	v_add_f64 v[50:51], v[42:43], v[18:19]
	v_add_f64 v[64:65], v[24:25], -v[64:65]
	v_add_f64 v[52:53], v[44:45], v[20:21]
	v_add_f64 v[66:67], v[26:27], -v[66:67]
	v_add_f64 v[68:69], v[28:29], -v[68:69]
	v_add_f64 v[54:55], v[22:23], v[46:47]
	v_add_f64 v[38:39], v[46:47], -v[38:39]
	;; [unrolled: 3-line block ×3, first 2 shown]
	v_add_f64 v[58:59], v[26:27], v[50:51]
	v_add_f64 v[42:43], v[50:51], -v[42:43]
	v_add_f64 v[32:33], v[32:33], -v[64:65]
	v_add_f64 v[60:61], v[28:29], v[52:53]
	v_add_f64 v[44:45], v[52:53], -v[44:45]
	v_add_f64 v[34:35], v[34:35], -v[66:67]
	;; [unrolled: 1-line block ×13, first 2 shown]
	v_add_f64 v[46:47], v[30:31], v[14:15]
	v_add_f64 v[80:81], v[56:57], -v[72:73]
	v_add_f64 v[40:41], v[48:49], -v[72:73]
	v_add_f64 v[48:49], v[32:33], v[16:17]
	v_add_f64 v[82:83], v[58:59], -v[74:75]
	v_add_f64 v[42:43], v[50:51], -v[74:75]
	;; [unrolled: 3-line block ×4, first 2 shown]
	v_add_f64 v[26:27], v[26:27], -v[82:83]
	v_add_f64 v[28:29], v[28:29], -v[84:85]
	s_delay_alu instid0(VALU_DEP_4)
	v_add_f64 v[22:23], v[38:39], v[22:23]
	v_add_f64 v[38:39], v[46:47], -v[30:31]
	v_add_f64 v[24:25], v[40:41], v[24:25]
	v_add_f64 v[40:41], v[48:49], -v[32:33]
	;; [unrolled: 2-line block ×5, first 2 shown]
	v_add_f64 v[14:15], v[14:15], -v[38:39]
	v_add_f64 v[24:25], v[48:49], v[24:25]
	v_add_f64 v[48:49], v[48:49], -v[40:41]
	v_add_f64 v[16:17], v[16:17], -v[40:41]
	v_add_f64 v[26:27], v[50:51], v[26:27]
	v_add_f64 v[50:51], v[50:51], -v[42:43]
	;; [unrolled: 3-line block ×4, first 2 shown]
	v_add_f64 v[64:65], v[56:57], v[24:25]
	v_add_f64 v[32:33], v[32:33], -v[48:49]
	v_add_f64 v[66:67], v[58:59], v[26:27]
	v_add_f64 v[34:35], v[34:35], -v[50:51]
	;; [unrolled: 2-line block ×3, first 2 shown]
	v_add_f64 v[38:39], v[62:63], -v[54:55]
	v_add_f64 v[14:15], v[14:15], v[30:31]
	v_add_f64 v[40:41], v[64:65], -v[56:57]
	v_add_f64 v[16:17], v[16:17], v[32:33]
	;; [unrolled: 2-line block ×4, first 2 shown]
	v_add_f64 v[22:23], v[22:23], -v[38:39]
	v_add_f64 v[24:25], v[24:25], -v[40:41]
	;; [unrolled: 1-line block ×4, first 2 shown]
	s_delay_alu instid0(VALU_DEP_4) | instskip(SKIP_1) | instid1(VALU_DEP_1)
	v_add_f64 v[14:15], v[14:15], v[22:23]
	v_add_co_u32 v22, s7, s39, v13
	v_add_co_ci_u32_e64 v23, null, s40, 0, s7
	v_add_co_u32 v11, s7, v11, s43
	v_add_f64 v[16:17], v[16:17], v[24:25]
	s_add_u32 s39, s39, s44
	v_add_co_ci_u32_e64 v12, s7, 0, v12, s7
	s_addc_u32 s40, s40, 0
	v_add_f64 v[18:19], v[18:19], v[26:27]
	v_add_f64 v[20:21], v[20:21], v[28:29]
	;; [unrolled: 1-line block ×4, first 2 shown]
	s_delay_alu instid0(VALU_DEP_4) | instskip(NEXT) | instid1(VALU_DEP_4)
	v_add_f64 v[18:19], v[66:67], v[18:19]
	v_add_f64 v[20:21], v[68:69], v[20:21]
	s_delay_alu instid0(VALU_DEP_4) | instskip(SKIP_2) | instid1(VALU_DEP_1)
	v_cndmask_b32_e64 v10, v14, v5, s2
	v_cndmask_b32_e64 v14, v15, v6, s2
	v_cmp_ngt_f64_e64 s2, 0, v[5:6]
	v_cndmask_b32_e64 v15, 0x7ff80000, v14, s2
	s_delay_alu instid0(VALU_DEP_4)
	v_cndmask_b32_e32 v14, 0, v10, vcc_lo
	v_cndmask_b32_e64 v10, v16, v7, s3
	v_cndmask_b32_e64 v16, v17, v8, s3
	v_cmp_ngt_f64_e32 vcc_lo, 0, v[7:8]
	v_cmp_nge_f64_e64 s2, 0, v[7:8]
	v_cmp_neq_f64_e64 s3, 0, v[5:6]
	v_cndmask_b32_e64 v6, v18, v1, s4
	v_cndmask_b32_e32 v5, 0x7ff80000, v16, vcc_lo
	s_delay_alu instid0(VALU_DEP_4) | instskip(NEXT) | instid1(VALU_DEP_4)
	v_cndmask_b32_e64 v16, 0, v10, s2
	v_cndmask_b32_e64 v15, 0xfff00000, v15, s3
	v_cmp_ngt_f64_e32 vcc_lo, 0, v[1:2]
	v_cmp_nge_f64_e64 s2, 0, v[1:2]
	v_cmp_neq_f64_e64 s3, 0, v[7:8]
	v_cndmask_b32_e64 v10, v19, v2, s4
	v_cndmask_b32_e64 v7, v20, v3, s5
	;; [unrolled: 1-line block ×3, first 2 shown]
	s_delay_alu instid0(VALU_DEP_3)
	v_cndmask_b32_e32 v10, 0x7ff80000, v10, vcc_lo
	v_cmp_nge_f64_e32 vcc_lo, 0, v[3:4]
	v_cndmask_b32_e64 v17, 0xfff00000, v5, s3
	v_cndmask_b32_e64 v5, 0, v6, s2
	v_cmp_ngt_f64_e64 s2, 0, v[3:4]
	v_cndmask_b32_e32 v7, 0, v7, vcc_lo
	v_cmp_neq_f64_e32 vcc_lo, 0, v[3:4]
	s_delay_alu instid0(VALU_DEP_3) | instskip(SKIP_1) | instid1(VALU_DEP_2)
	v_cndmask_b32_e64 v8, 0x7ff80000, v8, s2
	v_cmp_neq_f64_e64 s2, 0, v[1:2]
	v_cndmask_b32_e32 v8, 0xfff00000, v8, vcc_lo
	s_delay_alu instid0(VALU_DEP_2)
	v_cndmask_b32_e64 v6, 0xfff00000, v10, s2
	s_and_b32 s2, exec_lo, s6
	s_clause 0x1
	global_store_b128 v[22:23], v[14:17], off
	global_store_b128 v[22:23], v[5:8], off offset:16
	s_or_b32 s42, s2, s42
	s_delay_alu instid0(SALU_CYCLE_1)
	s_and_not1_b32 exec_lo, exec_lo, s42
	s_cbranch_execnz .LBB166_3
.LBB166_4:
	s_or_b32 exec_lo, exec_lo, s41
	s_mov_b32 s2, 0
.LBB166_5:
	s_delay_alu instid0(SALU_CYCLE_1)
	s_and_not1_b32 vcc_lo, exec_lo, s2
	s_cbranch_vccnz .LBB166_25
; %bb.6:
	v_cmp_lt_i64_e64 s2, s[10:11], 1
	s_delay_alu instid0(VALU_DEP_1)
	s_and_b32 vcc_lo, exec_lo, s2
	s_cbranch_vccnz .LBB166_25
; %bb.7:
	s_load_b32 s0, s[0:1], 0xc5c
	v_dual_mov_b32 v1, 0 :: v_dual_lshlrev_b32 v2, 3, v0
	v_cmp_gt_u64_e64 s1, 0x10000, s[10:11]
	s_mov_b32 s6, 0x55555555
	s_mov_b32 s16, 0x3b39803f
	;; [unrolled: 1-line block ×3, first 2 shown]
	v_add_co_u32 v11, s2, s14, v2
	s_delay_alu instid0(VALU_DEP_1) | instskip(SKIP_1) | instid1(VALU_DEP_1)
	v_add_co_ci_u32_e64 v12, null, s15, 0, s2
	v_add_co_u32 v13, s2, s12, v2
	v_add_co_ci_u32_e64 v14, null, s13, 0, s2
	s_mov_b32 s20, 0xbf559e2b
	s_mov_b32 s22, 0xd7f4df2e
	;; [unrolled: 1-line block ×5, first 2 shown]
	s_waitcnt lgkmcnt(0)
	s_and_b32 s0, s0, 0xffff
	s_and_b32 s1, s1, exec_lo
	s_mul_i32 s2, s0, 3
	s_cselect_b32 s5, s11, 0
	v_add_co_u32 v19, s2, s2, v0
	s_delay_alu instid0(VALU_DEP_1)
	v_add_co_ci_u32_e64 v20, null, 0, 0, s2
	v_add_co_u32 v23, s2, v0, s0
	v_mov_b32_e32 v3, v1
	s_cselect_b32 s4, s10, 0x10000
	s_lshl_b32 s3, s0, 4
	s_lshl_b32 s1, s0, 1
	v_add_co_ci_u32_e64 v26, null, 0, 0, s2
	v_mad_u64_u32 v[4:5], null, s0, 24, v[2:3]
	v_add_co_u32 v2, s3, s3, v2
	s_delay_alu instid0(VALU_DEP_1) | instskip(SKIP_1) | instid1(VALU_DEP_4)
	v_add_co_ci_u32_e64 v3, null, 0, 0, s3
	v_add_co_u32 v27, s1, s1, v0
	v_add_co_u32 v15, vcc_lo, s14, v4
	v_add_co_ci_u32_e32 v16, vcc_lo, s15, v5, vcc_lo
	v_add_co_u32 v17, vcc_lo, s12, v4
	v_add_co_ci_u32_e32 v18, vcc_lo, s13, v5, vcc_lo
	;; [unrolled: 2-line block ×3, first 2 shown]
	v_add_co_u32 v24, vcc_lo, s12, v2
	v_lshlrev_b32_e32 v2, 3, v23
	v_add_co_ci_u32_e64 v28, null, 0, 0, s1
	v_add_co_ci_u32_e32 v25, vcc_lo, s13, v3, vcc_lo
	s_delay_alu instid0(VALU_DEP_3) | instskip(NEXT) | instid1(VALU_DEP_1)
	v_add_co_u32 v29, s1, s14, v2
	v_add_co_ci_u32_e64 v30, null, s15, 0, s1
	v_add_co_u32 v31, s1, s12, v2
	s_delay_alu instid0(VALU_DEP_1)
	v_add_co_ci_u32_e64 v32, null, s13, 0, s1
	s_mov_b32 s14, 0xfefa39ef
	s_lshl_b32 s33, s0, 2
	s_mov_b32 s7, 0x3fe55555
	s_mov_b32 s15, 0x3fe62e42
	;; [unrolled: 1-line block ×9, first 2 shown]
	s_lshl_b32 s34, s0, 5
	s_mov_b64 s[12:13], 0
	s_mov_b32 s30, 0x55555780
	s_branch .LBB166_9
.LBB166_8:                              ;   in Loop: Header=BB166_9 Depth=1
	s_or_b32 exec_lo, exec_lo, s0
	v_add_co_u32 v11, vcc_lo, v11, s34
	v_add_co_ci_u32_e32 v12, vcc_lo, 0, v12, vcc_lo
	v_add_co_u32 v13, vcc_lo, v13, s34
	v_add_co_ci_u32_e32 v14, vcc_lo, 0, v14, vcc_lo
	;; [unrolled: 2-line block ×5, first 2 shown]
	s_add_u32 s12, s12, s33
	v_add_co_u32 v24, vcc_lo, v24, s34
	s_addc_u32 s13, s13, 0
	v_add_co_ci_u32_e32 v25, vcc_lo, 0, v25, vcc_lo
	v_cmp_ge_i64_e64 s0, s[12:13], s[10:11]
	v_cmp_lt_u64_e64 s1, 0xffff, s[12:13]
	v_add_co_u32 v29, vcc_lo, v29, s34
	v_add_co_ci_u32_e32 v30, vcc_lo, 0, v30, vcc_lo
	v_add_co_u32 v31, vcc_lo, v31, s34
	v_add_co_ci_u32_e32 v32, vcc_lo, 0, v32, vcc_lo
	s_or_b32 s0, s0, s1
	s_delay_alu instid0(SALU_CYCLE_1)
	s_and_b32 vcc_lo, exec_lo, s0
	s_cbranch_vccnz .LBB166_25
.LBB166_9:                              ; =>This Inner Loop Header: Depth=1
	v_add_co_u32 v2, s0, v0, s12
	s_waitcnt vmcnt(0)
	v_add_co_ci_u32_e64 v3, null, 0, s13, s0
	v_mov_b32_e32 v7, 0
	v_mov_b32_e32 v8, 0
	s_delay_alu instid0(VALU_DEP_3) | instskip(NEXT) | instid1(VALU_DEP_2)
	v_cmp_gt_u64_e64 s2, s[4:5], v[2:3]
	v_dual_mov_b32 v10, v8 :: v_dual_mov_b32 v9, v7
	s_delay_alu instid0(VALU_DEP_2)
	s_and_saveexec_b32 s0, s2
	s_cbranch_execz .LBB166_11
; %bb.10:                               ;   in Loop: Header=BB166_9 Depth=1
	v_add_co_u32 v2, vcc_lo, v11, s8
	v_add_co_ci_u32_e32 v3, vcc_lo, s9, v12, vcc_lo
	global_load_b64 v[9:10], v[2:3], off
.LBB166_11:                             ;   in Loop: Header=BB166_9 Depth=1
	s_or_b32 exec_lo, exec_lo, s0
	v_add_co_u32 v2, vcc_lo, v23, s12
	v_add_co_ci_u32_e32 v3, vcc_lo, s13, v26, vcc_lo
	s_delay_alu instid0(VALU_DEP_1) | instskip(NEXT) | instid1(VALU_DEP_1)
	v_cmp_gt_u64_e64 s1, s[4:5], v[2:3]
	s_and_saveexec_b32 s0, s1
	s_cbranch_execz .LBB166_13
; %bb.12:                               ;   in Loop: Header=BB166_9 Depth=1
	v_add_co_u32 v2, vcc_lo, v29, s8
	v_add_co_ci_u32_e32 v3, vcc_lo, s9, v30, vcc_lo
	global_load_b64 v[7:8], v[2:3], off
.LBB166_13:                             ;   in Loop: Header=BB166_9 Depth=1
	s_or_b32 exec_lo, exec_lo, s0
	v_add_co_u32 v5, vcc_lo, v27, s12
	v_add_co_ci_u32_e32 v6, vcc_lo, s13, v28, vcc_lo
	v_mov_b32_e32 v3, 0
	v_mov_b32_e32 v4, 0
	s_delay_alu instid0(VALU_DEP_3) | instskip(NEXT) | instid1(VALU_DEP_2)
	v_cmp_gt_u64_e64 s0, s[4:5], v[5:6]
	v_dual_mov_b32 v6, v4 :: v_dual_mov_b32 v5, v3
	s_delay_alu instid0(VALU_DEP_2)
	s_and_saveexec_b32 s3, s0
	s_cbranch_execz .LBB166_15
; %bb.14:                               ;   in Loop: Header=BB166_9 Depth=1
	v_add_co_u32 v5, vcc_lo, v21, s8
	v_add_co_ci_u32_e32 v6, vcc_lo, s9, v22, vcc_lo
	global_load_b64 v[5:6], v[5:6], off
.LBB166_15:                             ;   in Loop: Header=BB166_9 Depth=1
	s_or_b32 exec_lo, exec_lo, s3
	v_add_co_u32 v33, vcc_lo, v19, s12
	v_add_co_ci_u32_e32 v34, vcc_lo, s13, v20, vcc_lo
	s_delay_alu instid0(VALU_DEP_1)
	v_cmp_gt_u64_e32 vcc_lo, s[4:5], v[33:34]
	s_and_saveexec_b32 s31, vcc_lo
	s_cbranch_execnz .LBB166_20
; %bb.16:                               ;   in Loop: Header=BB166_9 Depth=1
	s_or_b32 exec_lo, exec_lo, s31
	s_and_saveexec_b32 s35, s2
	s_cbranch_execnz .LBB166_21
.LBB166_17:                             ;   in Loop: Header=BB166_9 Depth=1
	s_or_b32 exec_lo, exec_lo, s35
	s_and_saveexec_b32 s2, s1
	s_cbranch_execnz .LBB166_22
.LBB166_18:                             ;   in Loop: Header=BB166_9 Depth=1
	s_or_b32 exec_lo, exec_lo, s2
	s_and_saveexec_b32 s1, s0
	s_cbranch_execnz .LBB166_23
.LBB166_19:                             ;   in Loop: Header=BB166_9 Depth=1
	s_or_b32 exec_lo, exec_lo, s1
	s_and_saveexec_b32 s0, vcc_lo
	s_cbranch_execz .LBB166_8
	s_branch .LBB166_24
.LBB166_20:                             ;   in Loop: Header=BB166_9 Depth=1
	v_add_co_u32 v2, s3, v15, s8
	s_delay_alu instid0(VALU_DEP_1)
	v_add_co_ci_u32_e64 v3, s3, s9, v16, s3
	global_load_b64 v[3:4], v[2:3], off
	s_or_b32 exec_lo, exec_lo, s31
	s_and_saveexec_b32 s35, s2
	s_cbranch_execz .LBB166_17
.LBB166_21:                             ;   in Loop: Header=BB166_9 Depth=1
	s_waitcnt vmcnt(0)
	v_frexp_mant_f64_e32 v[33:34], v[9:10]
	v_frexp_exp_i32_f64_e32 v2, v[9:10]
	s_mov_b32 s31, s7
	s_delay_alu instid0(VALU_DEP_2) | instskip(NEXT) | instid1(VALU_DEP_1)
	v_cmp_gt_f64_e64 s2, s[6:7], v[33:34]
	v_subrev_co_ci_u32_e64 v47, s3, 0, v2, s2
	v_cndmask_b32_e64 v2, 0x3ff00000, 2.0, s2
	v_cmp_class_f64_e64 s2, v[9:10], 0x204
	s_delay_alu instid0(VALU_DEP_2) | instskip(NEXT) | instid1(VALU_DEP_1)
	v_mul_f64 v[33:34], v[33:34], v[1:2]
	v_add_f64 v[35:36], v[33:34], 1.0
	v_add_f64 v[41:42], v[33:34], -1.0
	s_delay_alu instid0(VALU_DEP_2) | instskip(SKIP_1) | instid1(VALU_DEP_1)
	v_rcp_f64_e32 v[37:38], v[35:36]
	v_add_f64 v[43:44], v[35:36], -1.0
	v_add_f64 v[33:34], v[33:34], -v[43:44]
	s_waitcnt_depctr 0xfff
	v_fma_f64 v[39:40], -v[35:36], v[37:38], 1.0
	s_delay_alu instid0(VALU_DEP_1) | instskip(NEXT) | instid1(VALU_DEP_1)
	v_fma_f64 v[37:38], v[39:40], v[37:38], v[37:38]
	v_fma_f64 v[39:40], -v[35:36], v[37:38], 1.0
	s_delay_alu instid0(VALU_DEP_1) | instskip(NEXT) | instid1(VALU_DEP_1)
	v_fma_f64 v[37:38], v[39:40], v[37:38], v[37:38]
	v_mul_f64 v[39:40], v[41:42], v[37:38]
	s_delay_alu instid0(VALU_DEP_1) | instskip(NEXT) | instid1(VALU_DEP_1)
	v_mul_f64 v[45:46], v[35:36], v[39:40]
	v_fma_f64 v[35:36], v[39:40], v[35:36], -v[45:46]
	s_delay_alu instid0(VALU_DEP_1) | instskip(NEXT) | instid1(VALU_DEP_1)
	v_fma_f64 v[33:34], v[39:40], v[33:34], v[35:36]
	v_add_f64 v[35:36], v[45:46], v[33:34]
	s_delay_alu instid0(VALU_DEP_1) | instskip(SKIP_1) | instid1(VALU_DEP_2)
	v_add_f64 v[43:44], v[41:42], -v[35:36]
	v_add_f64 v[45:46], v[35:36], -v[45:46]
	;; [unrolled: 1-line block ×3, first 2 shown]
	s_delay_alu instid0(VALU_DEP_2) | instskip(NEXT) | instid1(VALU_DEP_2)
	v_add_f64 v[33:34], v[45:46], -v[33:34]
	v_add_f64 v[35:36], v[41:42], -v[35:36]
	s_delay_alu instid0(VALU_DEP_1) | instskip(NEXT) | instid1(VALU_DEP_1)
	v_add_f64 v[33:34], v[33:34], v[35:36]
	v_add_f64 v[33:34], v[43:44], v[33:34]
	s_delay_alu instid0(VALU_DEP_1) | instskip(NEXT) | instid1(VALU_DEP_1)
	v_mul_f64 v[33:34], v[37:38], v[33:34]
	v_add_f64 v[35:36], v[39:40], v[33:34]
	s_delay_alu instid0(VALU_DEP_1) | instskip(NEXT) | instid1(VALU_DEP_1)
	v_mul_f64 v[37:38], v[35:36], v[35:36]
	v_fma_f64 v[41:42], v[37:38], s[20:21], s[18:19]
	v_mul_f64 v[43:44], v[35:36], v[37:38]
	s_delay_alu instid0(VALU_DEP_2) | instskip(NEXT) | instid1(VALU_DEP_1)
	v_fma_f64 v[41:42], v[37:38], v[41:42], s[22:23]
	v_fma_f64 v[41:42], v[37:38], v[41:42], s[24:25]
	s_delay_alu instid0(VALU_DEP_1) | instskip(NEXT) | instid1(VALU_DEP_1)
	v_fma_f64 v[41:42], v[37:38], v[41:42], s[26:27]
	v_fma_f64 v[41:42], v[37:38], v[41:42], s[28:29]
	s_delay_alu instid0(VALU_DEP_1) | instskip(SKIP_2) | instid1(VALU_DEP_3)
	v_fma_f64 v[37:38], v[37:38], v[41:42], s[30:31]
	v_ldexp_f64 v[41:42], v[35:36], 1
	v_add_f64 v[35:36], v[35:36], -v[39:40]
	v_mul_f64 v[37:38], v[43:44], v[37:38]
	v_cvt_f64_i32_e32 v[43:44], v47
	s_delay_alu instid0(VALU_DEP_3) | instskip(NEXT) | instid1(VALU_DEP_3)
	v_add_f64 v[33:34], v[33:34], -v[35:36]
	v_add_f64 v[39:40], v[41:42], v[37:38]
	s_delay_alu instid0(VALU_DEP_3) | instskip(NEXT) | instid1(VALU_DEP_3)
	v_mul_f64 v[45:46], v[43:44], s[14:15]
	v_ldexp_f64 v[33:34], v[33:34], 1
	s_delay_alu instid0(VALU_DEP_3) | instskip(NEXT) | instid1(VALU_DEP_3)
	v_add_f64 v[35:36], v[39:40], -v[41:42]
	v_fma_f64 v[41:42], v[43:44], s[14:15], -v[45:46]
	s_delay_alu instid0(VALU_DEP_2) | instskip(NEXT) | instid1(VALU_DEP_2)
	v_add_f64 v[35:36], v[37:38], -v[35:36]
	v_fma_f64 v[37:38], v[43:44], s[16:17], v[41:42]
	s_delay_alu instid0(VALU_DEP_2) | instskip(NEXT) | instid1(VALU_DEP_2)
	v_add_f64 v[33:34], v[33:34], v[35:36]
	v_add_f64 v[35:36], v[45:46], v[37:38]
	s_delay_alu instid0(VALU_DEP_2) | instskip(NEXT) | instid1(VALU_DEP_2)
	v_add_f64 v[41:42], v[39:40], v[33:34]
	v_add_f64 v[45:46], v[35:36], -v[45:46]
	s_delay_alu instid0(VALU_DEP_2) | instskip(SKIP_1) | instid1(VALU_DEP_3)
	v_add_f64 v[43:44], v[35:36], v[41:42]
	v_add_f64 v[39:40], v[41:42], -v[39:40]
	v_add_f64 v[37:38], v[37:38], -v[45:46]
	s_delay_alu instid0(VALU_DEP_3) | instskip(NEXT) | instid1(VALU_DEP_3)
	v_add_f64 v[47:48], v[43:44], -v[35:36]
	v_add_f64 v[33:34], v[33:34], -v[39:40]
	s_delay_alu instid0(VALU_DEP_2) | instskip(SKIP_1) | instid1(VALU_DEP_3)
	v_add_f64 v[49:50], v[43:44], -v[47:48]
	v_add_f64 v[39:40], v[41:42], -v[47:48]
	v_add_f64 v[41:42], v[37:38], v[33:34]
	s_delay_alu instid0(VALU_DEP_3) | instskip(NEXT) | instid1(VALU_DEP_1)
	v_add_f64 v[35:36], v[35:36], -v[49:50]
	v_add_f64 v[35:36], v[39:40], v[35:36]
	s_delay_alu instid0(VALU_DEP_3) | instskip(NEXT) | instid1(VALU_DEP_2)
	v_add_f64 v[39:40], v[41:42], -v[37:38]
	v_add_f64 v[35:36], v[41:42], v[35:36]
	s_delay_alu instid0(VALU_DEP_2) | instskip(SKIP_1) | instid1(VALU_DEP_3)
	v_add_f64 v[41:42], v[41:42], -v[39:40]
	v_add_f64 v[33:34], v[33:34], -v[39:40]
	v_add_f64 v[45:46], v[43:44], v[35:36]
	s_delay_alu instid0(VALU_DEP_3) | instskip(NEXT) | instid1(VALU_DEP_2)
	v_add_f64 v[37:38], v[37:38], -v[41:42]
	v_add_f64 v[39:40], v[45:46], -v[43:44]
	s_delay_alu instid0(VALU_DEP_2) | instskip(NEXT) | instid1(VALU_DEP_2)
	v_add_f64 v[33:34], v[33:34], v[37:38]
	v_add_f64 v[35:36], v[35:36], -v[39:40]
	s_delay_alu instid0(VALU_DEP_1) | instskip(NEXT) | instid1(VALU_DEP_1)
	v_add_f64 v[33:34], v[33:34], v[35:36]
	v_add_f64 v[33:34], v[45:46], v[33:34]
	s_delay_alu instid0(VALU_DEP_1) | instskip(NEXT) | instid1(VALU_DEP_2)
	v_cndmask_b32_e64 v2, v33, v9, s2
	v_cndmask_b32_e64 v33, v34, v10, s2
	v_cmp_ngt_f64_e64 s2, 0, v[9:10]
	s_delay_alu instid0(VALU_DEP_1) | instskip(SKIP_1) | instid1(VALU_DEP_1)
	v_cndmask_b32_e64 v34, 0x7ff80000, v33, s2
	v_cmp_nge_f64_e64 s2, 0, v[9:10]
	v_cndmask_b32_e64 v33, 0, v2, s2
	v_cmp_neq_f64_e64 s2, 0, v[9:10]
	s_delay_alu instid0(VALU_DEP_1) | instskip(SKIP_1) | instid1(VALU_DEP_1)
	v_cndmask_b32_e64 v34, 0xfff00000, v34, s2
	v_add_co_u32 v9, s2, v13, s8
	v_add_co_ci_u32_e64 v10, s2, s9, v14, s2
	global_store_b64 v[9:10], v[33:34], off
	s_or_b32 exec_lo, exec_lo, s35
	s_and_saveexec_b32 s2, s1
	s_cbranch_execz .LBB166_18
.LBB166_22:                             ;   in Loop: Header=BB166_9 Depth=1
	s_waitcnt vmcnt(0)
	v_frexp_mant_f64_e32 v[9:10], v[7:8]
	s_mov_b32 s31, s7
	s_delay_alu instid0(VALU_DEP_1) | instskip(NEXT) | instid1(VALU_DEP_1)
	v_cmp_gt_f64_e64 s1, s[6:7], v[9:10]
	v_cndmask_b32_e64 v2, 0x3ff00000, 2.0, s1
	s_delay_alu instid0(VALU_DEP_1) | instskip(SKIP_1) | instid1(VALU_DEP_2)
	v_mul_f64 v[9:10], v[9:10], v[1:2]
	v_frexp_exp_i32_f64_e32 v2, v[7:8]
	v_add_f64 v[33:34], v[9:10], 1.0
	v_add_f64 v[39:40], v[9:10], -1.0
	s_delay_alu instid0(VALU_DEP_3) | instskip(SKIP_1) | instid1(VALU_DEP_4)
	v_subrev_co_ci_u32_e64 v2, s1, 0, v2, s1
	v_cmp_class_f64_e64 s1, v[7:8], 0x204
	v_rcp_f64_e32 v[35:36], v[33:34]
	v_add_f64 v[41:42], v[33:34], -1.0
	s_delay_alu instid0(VALU_DEP_1) | instskip(SKIP_2) | instid1(VALU_DEP_1)
	v_add_f64 v[9:10], v[9:10], -v[41:42]
	s_waitcnt_depctr 0xfff
	v_fma_f64 v[37:38], -v[33:34], v[35:36], 1.0
	v_fma_f64 v[35:36], v[37:38], v[35:36], v[35:36]
	s_delay_alu instid0(VALU_DEP_1) | instskip(NEXT) | instid1(VALU_DEP_1)
	v_fma_f64 v[37:38], -v[33:34], v[35:36], 1.0
	v_fma_f64 v[35:36], v[37:38], v[35:36], v[35:36]
	s_delay_alu instid0(VALU_DEP_1) | instskip(NEXT) | instid1(VALU_DEP_1)
	v_mul_f64 v[37:38], v[39:40], v[35:36]
	v_mul_f64 v[43:44], v[33:34], v[37:38]
	s_delay_alu instid0(VALU_DEP_1) | instskip(NEXT) | instid1(VALU_DEP_1)
	v_fma_f64 v[33:34], v[37:38], v[33:34], -v[43:44]
	v_fma_f64 v[9:10], v[37:38], v[9:10], v[33:34]
	s_delay_alu instid0(VALU_DEP_1) | instskip(NEXT) | instid1(VALU_DEP_1)
	v_add_f64 v[33:34], v[43:44], v[9:10]
	v_add_f64 v[41:42], v[39:40], -v[33:34]
	v_add_f64 v[43:44], v[33:34], -v[43:44]
	s_delay_alu instid0(VALU_DEP_2) | instskip(NEXT) | instid1(VALU_DEP_2)
	v_add_f64 v[39:40], v[39:40], -v[41:42]
	v_add_f64 v[9:10], v[43:44], -v[9:10]
	s_delay_alu instid0(VALU_DEP_2) | instskip(NEXT) | instid1(VALU_DEP_1)
	v_add_f64 v[33:34], v[39:40], -v[33:34]
	v_add_f64 v[9:10], v[9:10], v[33:34]
	s_delay_alu instid0(VALU_DEP_1) | instskip(NEXT) | instid1(VALU_DEP_1)
	v_add_f64 v[9:10], v[41:42], v[9:10]
	v_mul_f64 v[9:10], v[35:36], v[9:10]
	s_delay_alu instid0(VALU_DEP_1) | instskip(NEXT) | instid1(VALU_DEP_1)
	v_add_f64 v[33:34], v[37:38], v[9:10]
	v_mul_f64 v[35:36], v[33:34], v[33:34]
	s_delay_alu instid0(VALU_DEP_1) | instskip(SKIP_1) | instid1(VALU_DEP_2)
	v_fma_f64 v[39:40], v[35:36], s[20:21], s[18:19]
	v_mul_f64 v[41:42], v[33:34], v[35:36]
	v_fma_f64 v[39:40], v[35:36], v[39:40], s[22:23]
	s_delay_alu instid0(VALU_DEP_1) | instskip(NEXT) | instid1(VALU_DEP_1)
	v_fma_f64 v[39:40], v[35:36], v[39:40], s[24:25]
	v_fma_f64 v[39:40], v[35:36], v[39:40], s[26:27]
	s_delay_alu instid0(VALU_DEP_1) | instskip(NEXT) | instid1(VALU_DEP_1)
	v_fma_f64 v[39:40], v[35:36], v[39:40], s[28:29]
	v_fma_f64 v[35:36], v[35:36], v[39:40], s[30:31]
	v_ldexp_f64 v[39:40], v[33:34], 1
	v_add_f64 v[33:34], v[33:34], -v[37:38]
	s_delay_alu instid0(VALU_DEP_3) | instskip(SKIP_1) | instid1(VALU_DEP_3)
	v_mul_f64 v[35:36], v[41:42], v[35:36]
	v_cvt_f64_i32_e32 v[41:42], v2
	v_add_f64 v[9:10], v[9:10], -v[33:34]
	s_delay_alu instid0(VALU_DEP_3) | instskip(NEXT) | instid1(VALU_DEP_3)
	v_add_f64 v[37:38], v[39:40], v[35:36]
	v_mul_f64 v[43:44], v[41:42], s[14:15]
	s_delay_alu instid0(VALU_DEP_3) | instskip(NEXT) | instid1(VALU_DEP_3)
	v_ldexp_f64 v[9:10], v[9:10], 1
	v_add_f64 v[33:34], v[37:38], -v[39:40]
	s_delay_alu instid0(VALU_DEP_3) | instskip(NEXT) | instid1(VALU_DEP_2)
	v_fma_f64 v[39:40], v[41:42], s[14:15], -v[43:44]
	v_add_f64 v[33:34], v[35:36], -v[33:34]
	s_delay_alu instid0(VALU_DEP_2) | instskip(NEXT) | instid1(VALU_DEP_2)
	v_fma_f64 v[35:36], v[41:42], s[16:17], v[39:40]
	v_add_f64 v[9:10], v[9:10], v[33:34]
	s_delay_alu instid0(VALU_DEP_2) | instskip(NEXT) | instid1(VALU_DEP_2)
	v_add_f64 v[33:34], v[43:44], v[35:36]
	v_add_f64 v[39:40], v[37:38], v[9:10]
	s_delay_alu instid0(VALU_DEP_2) | instskip(NEXT) | instid1(VALU_DEP_2)
	v_add_f64 v[43:44], v[33:34], -v[43:44]
	v_add_f64 v[41:42], v[33:34], v[39:40]
	v_add_f64 v[37:38], v[39:40], -v[37:38]
	s_delay_alu instid0(VALU_DEP_3) | instskip(NEXT) | instid1(VALU_DEP_3)
	v_add_f64 v[35:36], v[35:36], -v[43:44]
	v_add_f64 v[45:46], v[41:42], -v[33:34]
	s_delay_alu instid0(VALU_DEP_3) | instskip(NEXT) | instid1(VALU_DEP_2)
	v_add_f64 v[9:10], v[9:10], -v[37:38]
	v_add_f64 v[47:48], v[41:42], -v[45:46]
	;; [unrolled: 1-line block ×3, first 2 shown]
	s_delay_alu instid0(VALU_DEP_3) | instskip(NEXT) | instid1(VALU_DEP_3)
	v_add_f64 v[39:40], v[35:36], v[9:10]
	v_add_f64 v[33:34], v[33:34], -v[47:48]
	s_delay_alu instid0(VALU_DEP_1) | instskip(NEXT) | instid1(VALU_DEP_3)
	v_add_f64 v[33:34], v[37:38], v[33:34]
	v_add_f64 v[37:38], v[39:40], -v[35:36]
	s_delay_alu instid0(VALU_DEP_2) | instskip(NEXT) | instid1(VALU_DEP_2)
	v_add_f64 v[33:34], v[39:40], v[33:34]
	v_add_f64 v[39:40], v[39:40], -v[37:38]
	v_add_f64 v[9:10], v[9:10], -v[37:38]
	s_delay_alu instid0(VALU_DEP_3) | instskip(NEXT) | instid1(VALU_DEP_3)
	v_add_f64 v[43:44], v[41:42], v[33:34]
	v_add_f64 v[35:36], v[35:36], -v[39:40]
	s_delay_alu instid0(VALU_DEP_2) | instskip(NEXT) | instid1(VALU_DEP_2)
	v_add_f64 v[37:38], v[43:44], -v[41:42]
	v_add_f64 v[9:10], v[9:10], v[35:36]
	s_delay_alu instid0(VALU_DEP_2) | instskip(NEXT) | instid1(VALU_DEP_1)
	v_add_f64 v[33:34], v[33:34], -v[37:38]
	v_add_f64 v[9:10], v[9:10], v[33:34]
	s_delay_alu instid0(VALU_DEP_1) | instskip(NEXT) | instid1(VALU_DEP_1)
	v_add_f64 v[9:10], v[43:44], v[9:10]
	v_cndmask_b32_e64 v2, v9, v7, s1
	s_delay_alu instid0(VALU_DEP_2) | instskip(SKIP_1) | instid1(VALU_DEP_1)
	v_cndmask_b32_e64 v9, v10, v8, s1
	v_cmp_ngt_f64_e64 s1, 0, v[7:8]
	v_cndmask_b32_e64 v10, 0x7ff80000, v9, s1
	v_cmp_nge_f64_e64 s1, 0, v[7:8]
	s_delay_alu instid0(VALU_DEP_1) | instskip(SKIP_1) | instid1(VALU_DEP_1)
	v_cndmask_b32_e64 v9, 0, v2, s1
	v_cmp_neq_f64_e64 s1, 0, v[7:8]
	v_cndmask_b32_e64 v10, 0xfff00000, v10, s1
	v_add_co_u32 v7, s1, v31, s8
	s_delay_alu instid0(VALU_DEP_1)
	v_add_co_ci_u32_e64 v8, s1, s9, v32, s1
	global_store_b64 v[7:8], v[9:10], off
	s_or_b32 exec_lo, exec_lo, s2
	s_and_saveexec_b32 s1, s0
	s_cbranch_execz .LBB166_19
.LBB166_23:                             ;   in Loop: Header=BB166_9 Depth=1
	s_waitcnt vmcnt(0)
	v_frexp_mant_f64_e32 v[7:8], v[5:6]
	s_mov_b32 s31, s7
	s_delay_alu instid0(VALU_DEP_1) | instskip(NEXT) | instid1(VALU_DEP_1)
	v_cmp_gt_f64_e64 s0, s[6:7], v[7:8]
	v_cndmask_b32_e64 v2, 0x3ff00000, 2.0, s0
	s_delay_alu instid0(VALU_DEP_1) | instskip(SKIP_1) | instid1(VALU_DEP_2)
	v_mul_f64 v[7:8], v[7:8], v[1:2]
	v_frexp_exp_i32_f64_e32 v2, v[5:6]
	v_add_f64 v[9:10], v[7:8], 1.0
	v_add_f64 v[37:38], v[7:8], -1.0
	s_delay_alu instid0(VALU_DEP_3) | instskip(SKIP_1) | instid1(VALU_DEP_4)
	v_subrev_co_ci_u32_e64 v2, s0, 0, v2, s0
	v_cmp_class_f64_e64 s0, v[5:6], 0x204
	v_rcp_f64_e32 v[33:34], v[9:10]
	v_add_f64 v[39:40], v[9:10], -1.0
	s_delay_alu instid0(VALU_DEP_1) | instskip(SKIP_2) | instid1(VALU_DEP_1)
	v_add_f64 v[7:8], v[7:8], -v[39:40]
	s_waitcnt_depctr 0xfff
	v_fma_f64 v[35:36], -v[9:10], v[33:34], 1.0
	v_fma_f64 v[33:34], v[35:36], v[33:34], v[33:34]
	s_delay_alu instid0(VALU_DEP_1) | instskip(NEXT) | instid1(VALU_DEP_1)
	v_fma_f64 v[35:36], -v[9:10], v[33:34], 1.0
	v_fma_f64 v[33:34], v[35:36], v[33:34], v[33:34]
	s_delay_alu instid0(VALU_DEP_1) | instskip(NEXT) | instid1(VALU_DEP_1)
	v_mul_f64 v[35:36], v[37:38], v[33:34]
	v_mul_f64 v[41:42], v[9:10], v[35:36]
	s_delay_alu instid0(VALU_DEP_1) | instskip(NEXT) | instid1(VALU_DEP_1)
	v_fma_f64 v[9:10], v[35:36], v[9:10], -v[41:42]
	v_fma_f64 v[7:8], v[35:36], v[7:8], v[9:10]
	s_delay_alu instid0(VALU_DEP_1) | instskip(NEXT) | instid1(VALU_DEP_1)
	v_add_f64 v[9:10], v[41:42], v[7:8]
	v_add_f64 v[39:40], v[37:38], -v[9:10]
	v_add_f64 v[41:42], v[9:10], -v[41:42]
	s_delay_alu instid0(VALU_DEP_2) | instskip(NEXT) | instid1(VALU_DEP_2)
	v_add_f64 v[37:38], v[37:38], -v[39:40]
	v_add_f64 v[7:8], v[41:42], -v[7:8]
	s_delay_alu instid0(VALU_DEP_2) | instskip(NEXT) | instid1(VALU_DEP_1)
	v_add_f64 v[9:10], v[37:38], -v[9:10]
	v_add_f64 v[7:8], v[7:8], v[9:10]
	s_delay_alu instid0(VALU_DEP_1) | instskip(NEXT) | instid1(VALU_DEP_1)
	v_add_f64 v[7:8], v[39:40], v[7:8]
	v_mul_f64 v[7:8], v[33:34], v[7:8]
	s_delay_alu instid0(VALU_DEP_1) | instskip(NEXT) | instid1(VALU_DEP_1)
	v_add_f64 v[9:10], v[35:36], v[7:8]
	v_mul_f64 v[33:34], v[9:10], v[9:10]
	s_delay_alu instid0(VALU_DEP_1) | instskip(SKIP_1) | instid1(VALU_DEP_2)
	v_fma_f64 v[37:38], v[33:34], s[20:21], s[18:19]
	v_mul_f64 v[39:40], v[9:10], v[33:34]
	v_fma_f64 v[37:38], v[33:34], v[37:38], s[22:23]
	s_delay_alu instid0(VALU_DEP_1) | instskip(NEXT) | instid1(VALU_DEP_1)
	v_fma_f64 v[37:38], v[33:34], v[37:38], s[24:25]
	v_fma_f64 v[37:38], v[33:34], v[37:38], s[26:27]
	s_delay_alu instid0(VALU_DEP_1) | instskip(NEXT) | instid1(VALU_DEP_1)
	v_fma_f64 v[37:38], v[33:34], v[37:38], s[28:29]
	v_fma_f64 v[33:34], v[33:34], v[37:38], s[30:31]
	v_ldexp_f64 v[37:38], v[9:10], 1
	v_add_f64 v[9:10], v[9:10], -v[35:36]
	s_delay_alu instid0(VALU_DEP_3) | instskip(SKIP_1) | instid1(VALU_DEP_3)
	v_mul_f64 v[33:34], v[39:40], v[33:34]
	v_cvt_f64_i32_e32 v[39:40], v2
	v_add_f64 v[7:8], v[7:8], -v[9:10]
	s_delay_alu instid0(VALU_DEP_3) | instskip(NEXT) | instid1(VALU_DEP_3)
	v_add_f64 v[35:36], v[37:38], v[33:34]
	v_mul_f64 v[41:42], v[39:40], s[14:15]
	s_delay_alu instid0(VALU_DEP_3) | instskip(NEXT) | instid1(VALU_DEP_3)
	v_ldexp_f64 v[7:8], v[7:8], 1
	v_add_f64 v[9:10], v[35:36], -v[37:38]
	s_delay_alu instid0(VALU_DEP_3) | instskip(NEXT) | instid1(VALU_DEP_2)
	v_fma_f64 v[37:38], v[39:40], s[14:15], -v[41:42]
	v_add_f64 v[9:10], v[33:34], -v[9:10]
	s_delay_alu instid0(VALU_DEP_2) | instskip(NEXT) | instid1(VALU_DEP_2)
	v_fma_f64 v[33:34], v[39:40], s[16:17], v[37:38]
	v_add_f64 v[7:8], v[7:8], v[9:10]
	s_delay_alu instid0(VALU_DEP_2) | instskip(NEXT) | instid1(VALU_DEP_2)
	v_add_f64 v[9:10], v[41:42], v[33:34]
	v_add_f64 v[37:38], v[35:36], v[7:8]
	s_delay_alu instid0(VALU_DEP_2) | instskip(NEXT) | instid1(VALU_DEP_2)
	v_add_f64 v[41:42], v[9:10], -v[41:42]
	v_add_f64 v[39:40], v[9:10], v[37:38]
	v_add_f64 v[35:36], v[37:38], -v[35:36]
	s_delay_alu instid0(VALU_DEP_3) | instskip(NEXT) | instid1(VALU_DEP_3)
	v_add_f64 v[33:34], v[33:34], -v[41:42]
	v_add_f64 v[43:44], v[39:40], -v[9:10]
	s_delay_alu instid0(VALU_DEP_3) | instskip(NEXT) | instid1(VALU_DEP_2)
	v_add_f64 v[7:8], v[7:8], -v[35:36]
	v_add_f64 v[45:46], v[39:40], -v[43:44]
	;; [unrolled: 1-line block ×3, first 2 shown]
	s_delay_alu instid0(VALU_DEP_3) | instskip(NEXT) | instid1(VALU_DEP_3)
	v_add_f64 v[37:38], v[33:34], v[7:8]
	v_add_f64 v[9:10], v[9:10], -v[45:46]
	s_delay_alu instid0(VALU_DEP_1) | instskip(NEXT) | instid1(VALU_DEP_3)
	v_add_f64 v[9:10], v[35:36], v[9:10]
	v_add_f64 v[35:36], v[37:38], -v[33:34]
	s_delay_alu instid0(VALU_DEP_2) | instskip(NEXT) | instid1(VALU_DEP_2)
	v_add_f64 v[9:10], v[37:38], v[9:10]
	v_add_f64 v[37:38], v[37:38], -v[35:36]
	v_add_f64 v[7:8], v[7:8], -v[35:36]
	s_delay_alu instid0(VALU_DEP_3) | instskip(NEXT) | instid1(VALU_DEP_3)
	v_add_f64 v[41:42], v[39:40], v[9:10]
	v_add_f64 v[33:34], v[33:34], -v[37:38]
	s_delay_alu instid0(VALU_DEP_2) | instskip(NEXT) | instid1(VALU_DEP_2)
	v_add_f64 v[35:36], v[41:42], -v[39:40]
	v_add_f64 v[7:8], v[7:8], v[33:34]
	s_delay_alu instid0(VALU_DEP_2) | instskip(NEXT) | instid1(VALU_DEP_1)
	v_add_f64 v[9:10], v[9:10], -v[35:36]
	v_add_f64 v[7:8], v[7:8], v[9:10]
	s_delay_alu instid0(VALU_DEP_1) | instskip(NEXT) | instid1(VALU_DEP_1)
	v_add_f64 v[7:8], v[41:42], v[7:8]
	v_cndmask_b32_e64 v2, v7, v5, s0
	s_delay_alu instid0(VALU_DEP_2) | instskip(SKIP_1) | instid1(VALU_DEP_1)
	v_cndmask_b32_e64 v7, v8, v6, s0
	v_cmp_ngt_f64_e64 s0, 0, v[5:6]
	v_cndmask_b32_e64 v8, 0x7ff80000, v7, s0
	v_cmp_nge_f64_e64 s0, 0, v[5:6]
	s_delay_alu instid0(VALU_DEP_1) | instskip(SKIP_1) | instid1(VALU_DEP_1)
	v_cndmask_b32_e64 v7, 0, v2, s0
	v_cmp_neq_f64_e64 s0, 0, v[5:6]
	v_cndmask_b32_e64 v8, 0xfff00000, v8, s0
	v_add_co_u32 v5, s0, v24, s8
	s_delay_alu instid0(VALU_DEP_1)
	v_add_co_ci_u32_e64 v6, s0, s9, v25, s0
	global_store_b64 v[5:6], v[7:8], off
	s_or_b32 exec_lo, exec_lo, s1
	s_and_saveexec_b32 s0, vcc_lo
	s_cbranch_execz .LBB166_8
.LBB166_24:                             ;   in Loop: Header=BB166_9 Depth=1
	s_waitcnt vmcnt(0)
	v_frexp_mant_f64_e32 v[5:6], v[3:4]
	s_mov_b32 s31, s7
	s_delay_alu instid0(VALU_DEP_1) | instskip(SKIP_1) | instid1(VALU_DEP_1)
	v_cmp_gt_f64_e32 vcc_lo, s[6:7], v[5:6]
	v_cndmask_b32_e64 v2, 0x3ff00000, 2.0, vcc_lo
	v_mul_f64 v[5:6], v[5:6], v[1:2]
	v_frexp_exp_i32_f64_e32 v2, v[3:4]
	s_delay_alu instid0(VALU_DEP_2) | instskip(SKIP_1) | instid1(VALU_DEP_3)
	v_add_f64 v[7:8], v[5:6], 1.0
	v_add_f64 v[35:36], v[5:6], -1.0
	v_subrev_co_ci_u32_e32 v2, vcc_lo, 0, v2, vcc_lo
	v_cmp_class_f64_e64 vcc_lo, v[3:4], 0x204
	s_delay_alu instid0(VALU_DEP_4) | instskip(SKIP_1) | instid1(VALU_DEP_1)
	v_rcp_f64_e32 v[9:10], v[7:8]
	v_add_f64 v[37:38], v[7:8], -1.0
	v_add_f64 v[5:6], v[5:6], -v[37:38]
	s_waitcnt_depctr 0xfff
	v_fma_f64 v[33:34], -v[7:8], v[9:10], 1.0
	s_delay_alu instid0(VALU_DEP_1) | instskip(NEXT) | instid1(VALU_DEP_1)
	v_fma_f64 v[9:10], v[33:34], v[9:10], v[9:10]
	v_fma_f64 v[33:34], -v[7:8], v[9:10], 1.0
	s_delay_alu instid0(VALU_DEP_1) | instskip(NEXT) | instid1(VALU_DEP_1)
	v_fma_f64 v[9:10], v[33:34], v[9:10], v[9:10]
	v_mul_f64 v[33:34], v[35:36], v[9:10]
	s_delay_alu instid0(VALU_DEP_1) | instskip(NEXT) | instid1(VALU_DEP_1)
	v_mul_f64 v[39:40], v[7:8], v[33:34]
	v_fma_f64 v[7:8], v[33:34], v[7:8], -v[39:40]
	s_delay_alu instid0(VALU_DEP_1) | instskip(NEXT) | instid1(VALU_DEP_1)
	v_fma_f64 v[5:6], v[33:34], v[5:6], v[7:8]
	v_add_f64 v[7:8], v[39:40], v[5:6]
	s_delay_alu instid0(VALU_DEP_1) | instskip(SKIP_1) | instid1(VALU_DEP_2)
	v_add_f64 v[37:38], v[35:36], -v[7:8]
	v_add_f64 v[39:40], v[7:8], -v[39:40]
	;; [unrolled: 1-line block ×3, first 2 shown]
	s_delay_alu instid0(VALU_DEP_2) | instskip(NEXT) | instid1(VALU_DEP_2)
	v_add_f64 v[5:6], v[39:40], -v[5:6]
	v_add_f64 v[7:8], v[35:36], -v[7:8]
	s_delay_alu instid0(VALU_DEP_1) | instskip(NEXT) | instid1(VALU_DEP_1)
	v_add_f64 v[5:6], v[5:6], v[7:8]
	v_add_f64 v[5:6], v[37:38], v[5:6]
	s_delay_alu instid0(VALU_DEP_1) | instskip(NEXT) | instid1(VALU_DEP_1)
	v_mul_f64 v[5:6], v[9:10], v[5:6]
	v_add_f64 v[7:8], v[33:34], v[5:6]
	s_delay_alu instid0(VALU_DEP_1) | instskip(NEXT) | instid1(VALU_DEP_1)
	v_mul_f64 v[9:10], v[7:8], v[7:8]
	v_fma_f64 v[35:36], v[9:10], s[20:21], s[18:19]
	v_mul_f64 v[37:38], v[7:8], v[9:10]
	s_delay_alu instid0(VALU_DEP_2) | instskip(NEXT) | instid1(VALU_DEP_1)
	v_fma_f64 v[35:36], v[9:10], v[35:36], s[22:23]
	v_fma_f64 v[35:36], v[9:10], v[35:36], s[24:25]
	s_delay_alu instid0(VALU_DEP_1) | instskip(NEXT) | instid1(VALU_DEP_1)
	v_fma_f64 v[35:36], v[9:10], v[35:36], s[26:27]
	v_fma_f64 v[35:36], v[9:10], v[35:36], s[28:29]
	s_delay_alu instid0(VALU_DEP_1) | instskip(SKIP_2) | instid1(VALU_DEP_3)
	v_fma_f64 v[9:10], v[9:10], v[35:36], s[30:31]
	v_ldexp_f64 v[35:36], v[7:8], 1
	v_add_f64 v[7:8], v[7:8], -v[33:34]
	v_mul_f64 v[9:10], v[37:38], v[9:10]
	v_cvt_f64_i32_e32 v[37:38], v2
	s_delay_alu instid0(VALU_DEP_3) | instskip(NEXT) | instid1(VALU_DEP_3)
	v_add_f64 v[5:6], v[5:6], -v[7:8]
	v_add_f64 v[33:34], v[35:36], v[9:10]
	s_delay_alu instid0(VALU_DEP_3) | instskip(NEXT) | instid1(VALU_DEP_3)
	v_mul_f64 v[39:40], v[37:38], s[14:15]
	v_ldexp_f64 v[5:6], v[5:6], 1
	s_delay_alu instid0(VALU_DEP_3) | instskip(NEXT) | instid1(VALU_DEP_3)
	v_add_f64 v[7:8], v[33:34], -v[35:36]
	v_fma_f64 v[35:36], v[37:38], s[14:15], -v[39:40]
	s_delay_alu instid0(VALU_DEP_2) | instskip(NEXT) | instid1(VALU_DEP_2)
	v_add_f64 v[7:8], v[9:10], -v[7:8]
	v_fma_f64 v[9:10], v[37:38], s[16:17], v[35:36]
	s_delay_alu instid0(VALU_DEP_2) | instskip(NEXT) | instid1(VALU_DEP_2)
	v_add_f64 v[5:6], v[5:6], v[7:8]
	v_add_f64 v[7:8], v[39:40], v[9:10]
	s_delay_alu instid0(VALU_DEP_2) | instskip(NEXT) | instid1(VALU_DEP_2)
	v_add_f64 v[35:36], v[33:34], v[5:6]
	v_add_f64 v[39:40], v[7:8], -v[39:40]
	s_delay_alu instid0(VALU_DEP_2) | instskip(SKIP_1) | instid1(VALU_DEP_3)
	v_add_f64 v[37:38], v[7:8], v[35:36]
	v_add_f64 v[33:34], v[35:36], -v[33:34]
	v_add_f64 v[9:10], v[9:10], -v[39:40]
	s_delay_alu instid0(VALU_DEP_3) | instskip(NEXT) | instid1(VALU_DEP_3)
	v_add_f64 v[41:42], v[37:38], -v[7:8]
	v_add_f64 v[5:6], v[5:6], -v[33:34]
	s_delay_alu instid0(VALU_DEP_2) | instskip(SKIP_1) | instid1(VALU_DEP_3)
	v_add_f64 v[43:44], v[37:38], -v[41:42]
	v_add_f64 v[33:34], v[35:36], -v[41:42]
	v_add_f64 v[35:36], v[9:10], v[5:6]
	s_delay_alu instid0(VALU_DEP_3) | instskip(NEXT) | instid1(VALU_DEP_1)
	v_add_f64 v[7:8], v[7:8], -v[43:44]
	v_add_f64 v[7:8], v[33:34], v[7:8]
	s_delay_alu instid0(VALU_DEP_3) | instskip(NEXT) | instid1(VALU_DEP_2)
	v_add_f64 v[33:34], v[35:36], -v[9:10]
	v_add_f64 v[7:8], v[35:36], v[7:8]
	s_delay_alu instid0(VALU_DEP_2) | instskip(SKIP_1) | instid1(VALU_DEP_3)
	v_add_f64 v[35:36], v[35:36], -v[33:34]
	v_add_f64 v[5:6], v[5:6], -v[33:34]
	v_add_f64 v[39:40], v[37:38], v[7:8]
	s_delay_alu instid0(VALU_DEP_3) | instskip(NEXT) | instid1(VALU_DEP_2)
	v_add_f64 v[9:10], v[9:10], -v[35:36]
	v_add_f64 v[33:34], v[39:40], -v[37:38]
	s_delay_alu instid0(VALU_DEP_2) | instskip(NEXT) | instid1(VALU_DEP_2)
	v_add_f64 v[5:6], v[5:6], v[9:10]
	v_add_f64 v[7:8], v[7:8], -v[33:34]
	s_delay_alu instid0(VALU_DEP_1) | instskip(NEXT) | instid1(VALU_DEP_1)
	v_add_f64 v[5:6], v[5:6], v[7:8]
	v_add_f64 v[5:6], v[39:40], v[5:6]
	s_delay_alu instid0(VALU_DEP_1) | instskip(SKIP_1) | instid1(VALU_DEP_2)
	v_dual_cndmask_b32 v2, v5, v3 :: v_dual_cndmask_b32 v5, v6, v4
	v_cmp_ngt_f64_e32 vcc_lo, 0, v[3:4]
	v_cndmask_b32_e32 v5, 0x7ff80000, v5, vcc_lo
	v_cmp_nge_f64_e32 vcc_lo, 0, v[3:4]
	s_delay_alu instid0(VALU_DEP_4) | instskip(SKIP_1) | instid1(VALU_DEP_4)
	v_cndmask_b32_e32 v2, 0, v2, vcc_lo
	v_cmp_neq_f64_e32 vcc_lo, 0, v[3:4]
	v_cndmask_b32_e32 v3, 0xfff00000, v5, vcc_lo
	v_add_co_u32 v4, vcc_lo, v17, s8
	v_add_co_ci_u32_e32 v5, vcc_lo, s9, v18, vcc_lo
	global_store_b64 v[4:5], v[2:3], off
	s_branch .LBB166_8
.LBB166_25:
	s_nop 0
	s_sendmsg sendmsg(MSG_DEALLOC_VGPRS)
	s_endpgm
	.section	.rodata,"a",@progbits
	.p2align	6, 0x0
	.amdhsa_kernel _ZN2at6native12_GLOBAL__N_125multi_tensor_apply_kernelINS1_18TensorListMetadataILi2EEENS1_14UnaryOpFunctorIdLi2ELi1ELi1EEEJNS0_3LogIdEEEEEvT_T0_DpT1_
		.amdhsa_group_segment_fixed_size 0
		.amdhsa_private_segment_fixed_size 0
		.amdhsa_kernarg_size 3408
		.amdhsa_user_sgpr_count 15
		.amdhsa_user_sgpr_dispatch_ptr 0
		.amdhsa_user_sgpr_queue_ptr 0
		.amdhsa_user_sgpr_kernarg_segment_ptr 1
		.amdhsa_user_sgpr_dispatch_id 0
		.amdhsa_user_sgpr_private_segment_size 0
		.amdhsa_wavefront_size32 1
		.amdhsa_uses_dynamic_stack 0
		.amdhsa_enable_private_segment 0
		.amdhsa_system_sgpr_workgroup_id_x 1
		.amdhsa_system_sgpr_workgroup_id_y 0
		.amdhsa_system_sgpr_workgroup_id_z 0
		.amdhsa_system_sgpr_workgroup_info 0
		.amdhsa_system_vgpr_workitem_id 0
		.amdhsa_next_free_vgpr 86
		.amdhsa_next_free_sgpr 45
		.amdhsa_reserve_vcc 1
		.amdhsa_float_round_mode_32 0
		.amdhsa_float_round_mode_16_64 0
		.amdhsa_float_denorm_mode_32 3
		.amdhsa_float_denorm_mode_16_64 3
		.amdhsa_dx10_clamp 1
		.amdhsa_ieee_mode 1
		.amdhsa_fp16_overflow 0
		.amdhsa_workgroup_processor_mode 1
		.amdhsa_memory_ordered 1
		.amdhsa_forward_progress 0
		.amdhsa_shared_vgpr_count 0
		.amdhsa_exception_fp_ieee_invalid_op 0
		.amdhsa_exception_fp_denorm_src 0
		.amdhsa_exception_fp_ieee_div_zero 0
		.amdhsa_exception_fp_ieee_overflow 0
		.amdhsa_exception_fp_ieee_underflow 0
		.amdhsa_exception_fp_ieee_inexact 0
		.amdhsa_exception_int_div_zero 0
	.end_amdhsa_kernel
	.section	.text._ZN2at6native12_GLOBAL__N_125multi_tensor_apply_kernelINS1_18TensorListMetadataILi2EEENS1_14UnaryOpFunctorIdLi2ELi1ELi1EEEJNS0_3LogIdEEEEEvT_T0_DpT1_,"axG",@progbits,_ZN2at6native12_GLOBAL__N_125multi_tensor_apply_kernelINS1_18TensorListMetadataILi2EEENS1_14UnaryOpFunctorIdLi2ELi1ELi1EEEJNS0_3LogIdEEEEEvT_T0_DpT1_,comdat
.Lfunc_end166:
	.size	_ZN2at6native12_GLOBAL__N_125multi_tensor_apply_kernelINS1_18TensorListMetadataILi2EEENS1_14UnaryOpFunctorIdLi2ELi1ELi1EEEJNS0_3LogIdEEEEEvT_T0_DpT1_, .Lfunc_end166-_ZN2at6native12_GLOBAL__N_125multi_tensor_apply_kernelINS1_18TensorListMetadataILi2EEENS1_14UnaryOpFunctorIdLi2ELi1ELi1EEEJNS0_3LogIdEEEEEvT_T0_DpT1_
                                        ; -- End function
	.section	.AMDGPU.csdata,"",@progbits
; Kernel info:
; codeLenInByte = 7672
; NumSgprs: 47
; NumVgprs: 86
; ScratchSize: 0
; MemoryBound: 0
; FloatMode: 240
; IeeeMode: 1
; LDSByteSize: 0 bytes/workgroup (compile time only)
; SGPRBlocks: 5
; VGPRBlocks: 10
; NumSGPRsForWavesPerEU: 47
; NumVGPRsForWavesPerEU: 86
; Occupancy: 16
; WaveLimiterHint : 0
; COMPUTE_PGM_RSRC2:SCRATCH_EN: 0
; COMPUTE_PGM_RSRC2:USER_SGPR: 15
; COMPUTE_PGM_RSRC2:TRAP_HANDLER: 0
; COMPUTE_PGM_RSRC2:TGID_X_EN: 1
; COMPUTE_PGM_RSRC2:TGID_Y_EN: 0
; COMPUTE_PGM_RSRC2:TGID_Z_EN: 0
; COMPUTE_PGM_RSRC2:TIDIG_COMP_CNT: 0
	.section	.text._ZN2at6native12_GLOBAL__N_125multi_tensor_apply_kernelINS1_18TensorListMetadataILi2EEENS1_14UnaryOpFunctorIfLi2ELi1ELi1EEEJNS0_3LogIfEEEEEvT_T0_DpT1_,"axG",@progbits,_ZN2at6native12_GLOBAL__N_125multi_tensor_apply_kernelINS1_18TensorListMetadataILi2EEENS1_14UnaryOpFunctorIfLi2ELi1ELi1EEEJNS0_3LogIfEEEEEvT_T0_DpT1_,comdat
	.globl	_ZN2at6native12_GLOBAL__N_125multi_tensor_apply_kernelINS1_18TensorListMetadataILi2EEENS1_14UnaryOpFunctorIfLi2ELi1ELi1EEEJNS0_3LogIfEEEEEvT_T0_DpT1_ ; -- Begin function _ZN2at6native12_GLOBAL__N_125multi_tensor_apply_kernelINS1_18TensorListMetadataILi2EEENS1_14UnaryOpFunctorIfLi2ELi1ELi1EEEJNS0_3LogIfEEEEEvT_T0_DpT1_
	.p2align	8
	.type	_ZN2at6native12_GLOBAL__N_125multi_tensor_apply_kernelINS1_18TensorListMetadataILi2EEENS1_14UnaryOpFunctorIfLi2ELi1ELi1EEEJNS0_3LogIfEEEEEvT_T0_DpT1_,@function
_ZN2at6native12_GLOBAL__N_125multi_tensor_apply_kernelINS1_18TensorListMetadataILi2EEENS1_14UnaryOpFunctorIfLi2ELi1ELi1EEEJNS0_3LogIfEEEEEvT_T0_DpT1_: ; @_ZN2at6native12_GLOBAL__N_125multi_tensor_apply_kernelINS1_18TensorListMetadataILi2EEENS1_14UnaryOpFunctorIfLi2ELi1ELi1EEEJNS0_3LogIfEEEEEvT_T0_DpT1_
; %bb.0:
	v_mov_b32_e32 v1, s15
	s_add_u32 s2, s0, s15
	s_mul_hi_u32 s3, s15, 3
	s_mul_i32 s15, s15, 3
	s_addc_u32 s4, s1, 0
	global_load_u8 v1, v1, s[0:1] offset:1536
	s_add_u32 s2, s2, s15
	s_addc_u32 s3, s4, s3
	s_mov_b32 s19, 0
	s_load_b32 s2, s[2:3], 0x740
	s_mov_b32 s21, s19
	s_mov_b32 s23, s19
	s_waitcnt vmcnt(0)
	v_readfirstlane_b32 s5, v1
	s_delay_alu instid0(VALU_DEP_1)
	s_lshl_b32 s3, s5, 3
	s_clause 0x2
	s_load_b64 s[10:11], s[0:1], s3 offset:0x0
	s_load_b64 s[12:13], s[0:1], s3 offset:0x200
	;; [unrolled: 1-line block ×3, first 2 shown]
	s_waitcnt lgkmcnt(0)
	s_ashr_i32 s3, s2, 31
	s_delay_alu instid0(SALU_CYCLE_1) | instskip(NEXT) | instid1(SALU_CYCLE_1)
	s_lshl_b64 s[6:7], s[2:3], 18
	s_add_u32 s5, s10, s6
	s_addc_u32 s14, s11, s7
	s_and_b32 s18, s5, 15
	s_add_u32 s15, s12, s6
	s_addc_u32 s16, s13, s7
	s_and_b32 s20, s8, 3
	s_and_b32 s22, s15, 15
	s_or_b64 s[18:19], s[18:19], s[20:21]
	s_lshl_b64 s[2:3], s[2:3], 16
	s_or_b64 s[18:19], s[22:23], s[18:19]
	s_sub_u32 s8, s8, s2
	s_subb_u32 s9, s9, s3
	s_cmp_eq_u64 s[18:19], 0
	s_mov_b32 s2, -1
	s_cbranch_scc0 .LBB167_5
; %bb.1:
	v_dual_mov_b32 v2, 0 :: v_dual_lshlrev_b32 v1, 2, v0
	s_mov_b32 s17, exec_lo
	s_delay_alu instid0(VALU_DEP_1)
	v_cmpx_gt_i64_e64 s[8:9], v[1:2]
	s_cbranch_execz .LBB167_4
; %bb.2:
	s_load_b32 s2, s[0:1], 0xc5c
	v_lshlrev_b32_e32 v3, 4, v0
	s_mov_b32 s18, 0
	s_waitcnt lgkmcnt(0)
	s_and_b32 s2, s2, 0xffff
	s_delay_alu instid0(SALU_CYCLE_1)
	v_add_lshl_u32 v1, v0, s2, 2
	s_lshl_b32 s19, s2, 2
	s_lshl_b32 s20, s2, 4
.LBB167_3:                              ; =>This Inner Loop Header: Depth=1
	v_add_co_u32 v4, s2, s5, v3
	s_delay_alu instid0(VALU_DEP_1)
	v_add_co_ci_u32_e64 v5, null, s14, 0, s2
	v_cmp_le_i64_e32 vcc_lo, s[8:9], v[1:2]
	v_cmp_lt_u64_e64 s2, 0xffff, v[1:2]
	v_add_co_u32 v8, s3, s15, v3
	global_load_b128 v[4:7], v[4:5], off
	v_add_co_ci_u32_e64 v9, null, s16, 0, s3
	v_add_co_u32 v1, s3, v1, s19
	s_delay_alu instid0(VALU_DEP_1)
	v_add_co_ci_u32_e64 v2, s3, 0, v2, s3
	s_or_b32 s21, vcc_lo, s2
	s_add_u32 s5, s5, s20
	s_addc_u32 s14, s14, 0
	s_add_u32 s15, s15, s20
	s_addc_u32 s16, s16, 0
	s_waitcnt vmcnt(0)
	v_cmp_gt_f32_e32 vcc_lo, 0x800000, v4
	v_cmp_gt_f32_e64 s2, 0x800000, v5
	v_cmp_gt_f32_e64 s3, 0x800000, v6
	;; [unrolled: 1-line block ×3, first 2 shown]
	v_cndmask_b32_e64 v10, 1.0, 0x4f800000, vcc_lo
	s_delay_alu instid0(VALU_DEP_4) | instskip(NEXT) | instid1(VALU_DEP_4)
	v_cndmask_b32_e64 v11, 1.0, 0x4f800000, s2
	v_cndmask_b32_e64 v12, 1.0, 0x4f800000, s3
	s_delay_alu instid0(VALU_DEP_4) | instskip(NEXT) | instid1(VALU_DEP_3)
	v_cndmask_b32_e64 v13, 1.0, 0x4f800000, s4
	v_dual_mul_f32 v4, v4, v10 :: v_dual_mul_f32 v5, v5, v11
	s_delay_alu instid0(VALU_DEP_2) | instskip(SKIP_1) | instid1(VALU_DEP_3)
	v_dual_mul_f32 v6, v6, v12 :: v_dual_mul_f32 v7, v7, v13
	v_cndmask_b32_e64 v10, 0, 0x41b17218, vcc_lo
	v_log_f32_e32 v4, v4
	s_delay_alu instid0(VALU_DEP_3) | instskip(NEXT) | instid1(VALU_DEP_2)
	v_log_f32_e32 v5, v5
	v_log_f32_e32 v6, v6
	;; [unrolled: 1-line block ×3, first 2 shown]
	v_cndmask_b32_e64 v11, 0, 0x41b17218, s2
	v_cndmask_b32_e64 v12, 0, 0x41b17218, s3
	;; [unrolled: 1-line block ×3, first 2 shown]
	s_delay_alu instid0(TRANS32_DEP_3)
	v_dual_mul_f32 v14, 0x3f317217, v4 :: v_dual_mul_f32 v15, 0x3f317217, v5
	s_waitcnt_depctr 0xfff
	v_dual_mul_f32 v16, 0x3f317217, v6 :: v_dual_mul_f32 v17, 0x3f317217, v7
	v_cmp_gt_f32_e64 vcc_lo, 0x7f800000, |v5|
	v_fma_f32 v18, 0x3f317217, v4, -v14
	v_fma_f32 v19, 0x3f317217, v5, -v15
	s_delay_alu instid0(VALU_DEP_4) | instskip(SKIP_2) | instid1(VALU_DEP_4)
	v_fma_f32 v20, 0x3f317217, v6, -v16
	v_fma_f32 v21, 0x3f317217, v7, -v17
	v_cmp_gt_f32_e64 s2, 0x7f800000, |v6|
	v_dual_fmac_f32 v18, 0x3377d1cf, v4 :: v_dual_fmac_f32 v19, 0x3377d1cf, v5
	s_delay_alu instid0(VALU_DEP_3) | instskip(SKIP_1) | instid1(VALU_DEP_3)
	v_dual_fmac_f32 v20, 0x3377d1cf, v6 :: v_dual_fmac_f32 v21, 0x3377d1cf, v7
	v_cmp_gt_f32_e64 s3, 0x7f800000, |v7|
	v_dual_add_f32 v14, v14, v18 :: v_dual_add_f32 v15, v15, v19
	s_delay_alu instid0(VALU_DEP_3) | instskip(SKIP_1) | instid1(VALU_DEP_2)
	v_dual_add_f32 v16, v16, v20 :: v_dual_add_f32 v17, v17, v21
	v_cmp_gt_f32_e64 s4, 0x7f800000, |v4|
	v_cndmask_b32_e64 v6, v6, v16, s2
	s_delay_alu instid0(VALU_DEP_3) | instskip(NEXT) | instid1(VALU_DEP_3)
	v_cndmask_b32_e64 v7, v7, v17, s3
	v_cndmask_b32_e64 v4, v4, v14, s4
	v_cndmask_b32_e32 v5, v5, v15, vcc_lo
	s_and_b32 s2, exec_lo, s21
	s_delay_alu instid0(VALU_DEP_3) | instskip(NEXT) | instid1(VALU_DEP_2)
	v_dual_sub_f32 v6, v6, v12 :: v_dual_sub_f32 v7, v7, v13
	v_dual_sub_f32 v4, v4, v10 :: v_dual_sub_f32 v5, v5, v11
	s_or_b32 s18, s2, s18
	global_store_b128 v[8:9], v[4:7], off
	s_and_not1_b32 exec_lo, exec_lo, s18
	s_cbranch_execnz .LBB167_3
.LBB167_4:
	s_or_b32 exec_lo, exec_lo, s17
	s_mov_b32 s2, 0
.LBB167_5:
	s_delay_alu instid0(SALU_CYCLE_1)
	s_and_not1_b32 vcc_lo, exec_lo, s2
	s_cbranch_vccnz .LBB167_25
; %bb.6:
	v_cmp_lt_i64_e64 s2, s[8:9], 1
	s_delay_alu instid0(VALU_DEP_1)
	s_and_b32 vcc_lo, exec_lo, s2
	s_cbranch_vccnz .LBB167_25
; %bb.7:
	s_load_b32 s0, s[0:1], 0xc5c
	v_dual_mov_b32 v10, 0 :: v_dual_lshlrev_b32 v9, 2, v0
	v_cmp_gt_u64_e64 s1, 0x10000, s[8:9]
	s_delay_alu instid0(VALU_DEP_2) | instskip(NEXT) | instid1(VALU_DEP_1)
	v_add_co_u32 v1, s2, s10, v9
	v_add_co_ci_u32_e64 v2, null, s11, 0, s2
	v_add_co_u32 v3, s2, s12, v9
	s_delay_alu instid0(VALU_DEP_1)
	v_add_co_ci_u32_e64 v4, null, s13, 0, s2
	s_waitcnt lgkmcnt(0)
	s_and_b32 s0, s0, 0xffff
	s_and_b32 s1, s1, exec_lo
	v_mad_u64_u32 v[7:8], null, s0, 12, v[9:10]
	s_cselect_b32 s5, s9, 0
	s_cselect_b32 s4, s8, 0x10000
	s_mul_i32 s2, s0, 3
	s_lshl_b32 s3, s0, 3
	s_lshl_b32 s1, s0, 1
	v_add_co_u32 v14, s3, s3, v9
	v_add_co_u32 v9, s2, s2, v0
	s_delay_alu instid0(VALU_DEP_1) | instskip(SKIP_3) | instid1(VALU_DEP_3)
	v_add_co_ci_u32_e64 v10, null, 0, 0, s2
	v_add_co_u32 v13, s2, v0, s0
	v_add_co_u32 v5, vcc_lo, s10, v7
	v_add_co_ci_u32_e32 v6, vcc_lo, s11, v8, vcc_lo
	v_lshlrev_b32_e32 v21, 2, v13
	v_add_co_u32 v7, vcc_lo, s12, v7
	v_add_co_ci_u32_e64 v15, null, 0, 0, s3
	v_add_co_ci_u32_e32 v8, vcc_lo, s13, v8, vcc_lo
	v_add_co_u32 v17, s1, s1, v0
	v_add_co_u32 v11, vcc_lo, s10, v14
	v_add_co_ci_u32_e64 v18, null, 0, 0, s1
	v_add_co_u32 v19, s1, s10, v21
	v_add_co_ci_u32_e32 v12, vcc_lo, s11, v15, vcc_lo
	v_add_co_u32 v14, vcc_lo, s12, v14
	v_add_co_ci_u32_e64 v20, null, s11, 0, s1
	v_add_co_u32 v21, s1, s12, v21
	v_add_co_ci_u32_e32 v15, vcc_lo, s13, v15, vcc_lo
	v_add_co_ci_u32_e64 v16, null, 0, 0, s2
	v_add_co_ci_u32_e64 v22, null, s13, 0, s1
	s_lshl_b32 s12, s0, 2
	s_lshl_b32 s13, s0, 4
	s_mov_b64 s[10:11], 0
	s_branch .LBB167_9
.LBB167_8:                              ;   in Loop: Header=BB167_9 Depth=1
	s_or_b32 exec_lo, exec_lo, s0
	v_add_co_u32 v1, vcc_lo, v1, s13
	v_add_co_ci_u32_e32 v2, vcc_lo, 0, v2, vcc_lo
	v_add_co_u32 v3, vcc_lo, v3, s13
	v_add_co_ci_u32_e32 v4, vcc_lo, 0, v4, vcc_lo
	;; [unrolled: 2-line block ×5, first 2 shown]
	s_add_u32 s10, s10, s12
	v_add_co_u32 v14, vcc_lo, v14, s13
	s_addc_u32 s11, s11, 0
	v_add_co_ci_u32_e32 v15, vcc_lo, 0, v15, vcc_lo
	v_cmp_ge_i64_e64 s0, s[10:11], s[8:9]
	v_cmp_lt_u64_e64 s1, 0xffff, s[10:11]
	v_add_co_u32 v19, vcc_lo, v19, s13
	v_add_co_ci_u32_e32 v20, vcc_lo, 0, v20, vcc_lo
	v_add_co_u32 v21, vcc_lo, v21, s13
	v_add_co_ci_u32_e32 v22, vcc_lo, 0, v22, vcc_lo
	s_or_b32 s0, s0, s1
	s_delay_alu instid0(SALU_CYCLE_1)
	s_and_b32 vcc_lo, exec_lo, s0
	s_cbranch_vccnz .LBB167_25
.LBB167_9:                              ; =>This Inner Loop Header: Depth=1
	s_waitcnt vmcnt(0)
	v_add_co_u32 v23, s0, v0, s10
	s_delay_alu instid0(VALU_DEP_1) | instskip(SKIP_1) | instid1(VALU_DEP_2)
	v_add_co_ci_u32_e64 v24, null, 0, s11, s0
	v_mov_b32_e32 v26, 0
	v_cmp_gt_u64_e64 s2, s[4:5], v[23:24]
	s_delay_alu instid0(VALU_DEP_1)
	s_and_saveexec_b32 s0, s2
	s_cbranch_execz .LBB167_11
; %bb.10:                               ;   in Loop: Header=BB167_9 Depth=1
	v_add_co_u32 v23, vcc_lo, v1, s6
	v_add_co_ci_u32_e32 v24, vcc_lo, s7, v2, vcc_lo
	global_load_b32 v26, v[23:24], off
.LBB167_11:                             ;   in Loop: Header=BB167_9 Depth=1
	s_or_b32 exec_lo, exec_lo, s0
	v_add_co_u32 v23, vcc_lo, v13, s10
	v_add_co_ci_u32_e32 v24, vcc_lo, s11, v16, vcc_lo
	v_mov_b32_e32 v25, 0
	s_delay_alu instid0(VALU_DEP_2) | instskip(NEXT) | instid1(VALU_DEP_1)
	v_cmp_gt_u64_e64 s1, s[4:5], v[23:24]
	s_and_saveexec_b32 s0, s1
	s_cbranch_execz .LBB167_13
; %bb.12:                               ;   in Loop: Header=BB167_9 Depth=1
	v_add_co_u32 v23, vcc_lo, v19, s6
	v_add_co_ci_u32_e32 v24, vcc_lo, s7, v20, vcc_lo
	global_load_b32 v25, v[23:24], off
.LBB167_13:                             ;   in Loop: Header=BB167_9 Depth=1
	s_or_b32 exec_lo, exec_lo, s0
	v_add_co_u32 v23, vcc_lo, v17, s10
	v_add_co_ci_u32_e32 v24, vcc_lo, s11, v18, vcc_lo
	s_delay_alu instid0(VALU_DEP_1) | instskip(SKIP_1) | instid1(VALU_DEP_2)
	v_cmp_gt_u64_e64 s0, s[4:5], v[23:24]
	v_dual_mov_b32 v23, 0 :: v_dual_mov_b32 v24, 0
	s_and_saveexec_b32 s3, s0
	s_cbranch_execz .LBB167_15
; %bb.14:                               ;   in Loop: Header=BB167_9 Depth=1
	v_add_co_u32 v27, vcc_lo, v11, s6
	v_add_co_ci_u32_e32 v28, vcc_lo, s7, v12, vcc_lo
	global_load_b32 v24, v[27:28], off
.LBB167_15:                             ;   in Loop: Header=BB167_9 Depth=1
	s_or_b32 exec_lo, exec_lo, s3
	v_add_co_u32 v27, vcc_lo, v9, s10
	v_add_co_ci_u32_e32 v28, vcc_lo, s11, v10, vcc_lo
	s_delay_alu instid0(VALU_DEP_1)
	v_cmp_gt_u64_e32 vcc_lo, s[4:5], v[27:28]
	s_and_saveexec_b32 s14, vcc_lo
	s_cbranch_execnz .LBB167_20
; %bb.16:                               ;   in Loop: Header=BB167_9 Depth=1
	s_or_b32 exec_lo, exec_lo, s14
	s_and_saveexec_b32 s14, s2
	s_cbranch_execnz .LBB167_21
.LBB167_17:                             ;   in Loop: Header=BB167_9 Depth=1
	s_or_b32 exec_lo, exec_lo, s14
	s_and_saveexec_b32 s2, s1
	s_cbranch_execnz .LBB167_22
.LBB167_18:                             ;   in Loop: Header=BB167_9 Depth=1
	s_or_b32 exec_lo, exec_lo, s2
	s_and_saveexec_b32 s1, s0
	s_cbranch_execnz .LBB167_23
.LBB167_19:                             ;   in Loop: Header=BB167_9 Depth=1
	s_or_b32 exec_lo, exec_lo, s1
	s_and_saveexec_b32 s0, vcc_lo
	s_cbranch_execz .LBB167_8
	s_branch .LBB167_24
.LBB167_20:                             ;   in Loop: Header=BB167_9 Depth=1
	v_add_co_u32 v27, s3, v5, s6
	s_delay_alu instid0(VALU_DEP_1)
	v_add_co_ci_u32_e64 v28, s3, s7, v6, s3
	global_load_b32 v23, v[27:28], off
	s_or_b32 exec_lo, exec_lo, s14
	s_and_saveexec_b32 s14, s2
	s_cbranch_execz .LBB167_17
.LBB167_21:                             ;   in Loop: Header=BB167_9 Depth=1
	s_waitcnt vmcnt(0)
	v_cmp_gt_f32_e64 s2, 0x800000, v26
	s_delay_alu instid0(VALU_DEP_1) | instskip(SKIP_1) | instid1(VALU_DEP_2)
	v_cndmask_b32_e64 v27, 1.0, 0x4f800000, s2
	v_cndmask_b32_e64 v29, 0, 0x41b17218, s2
	v_mul_f32_e32 v26, v26, v27
	s_delay_alu instid0(VALU_DEP_1) | instskip(SKIP_3) | instid1(VALU_DEP_2)
	v_log_f32_e32 v26, v26
	s_waitcnt_depctr 0xfff
	v_mul_f32_e32 v27, 0x3f317217, v26
	v_cmp_gt_f32_e64 s3, 0x7f800000, |v26|
	v_fma_f32 v28, 0x3f317217, v26, -v27
	s_delay_alu instid0(VALU_DEP_1) | instskip(NEXT) | instid1(VALU_DEP_1)
	v_fmac_f32_e32 v28, 0x3377d1cf, v26
	v_add_f32_e32 v27, v27, v28
	s_delay_alu instid0(VALU_DEP_1) | instskip(SKIP_1) | instid1(VALU_DEP_1)
	v_cndmask_b32_e64 v28, v26, v27, s3
	v_add_co_u32 v26, s2, v3, s6
	v_add_co_ci_u32_e64 v27, s2, s7, v4, s2
	s_delay_alu instid0(VALU_DEP_3)
	v_sub_f32_e32 v28, v28, v29
	global_store_b32 v[26:27], v28, off
	s_or_b32 exec_lo, exec_lo, s14
	s_and_saveexec_b32 s2, s1
	s_cbranch_execz .LBB167_18
.LBB167_22:                             ;   in Loop: Header=BB167_9 Depth=1
	s_waitcnt vmcnt(0)
	v_cmp_gt_f32_e64 s1, 0x800000, v25
	s_delay_alu instid0(VALU_DEP_1) | instskip(NEXT) | instid1(VALU_DEP_1)
	v_cndmask_b32_e64 v26, 1.0, 0x4f800000, s1
	v_mul_f32_e32 v25, v25, v26
	s_delay_alu instid0(VALU_DEP_1) | instskip(SKIP_2) | instid1(VALU_DEP_1)
	v_log_f32_e32 v25, v25
	s_waitcnt_depctr 0xfff
	v_mul_f32_e32 v26, 0x3f317217, v25
	v_fma_f32 v27, 0x3f317217, v25, -v26
	s_delay_alu instid0(VALU_DEP_1) | instskip(NEXT) | instid1(VALU_DEP_1)
	v_fmac_f32_e32 v27, 0x3377d1cf, v25
	v_add_f32_e32 v26, v26, v27
	v_cndmask_b32_e64 v27, 0, 0x41b17218, s1
	v_cmp_gt_f32_e64 s1, 0x7f800000, |v25|
	s_delay_alu instid0(VALU_DEP_1) | instskip(NEXT) | instid1(VALU_DEP_1)
	v_cndmask_b32_e64 v25, v25, v26, s1
	v_sub_f32_e32 v27, v25, v27
	v_add_co_u32 v25, s1, v21, s6
	s_delay_alu instid0(VALU_DEP_1)
	v_add_co_ci_u32_e64 v26, s1, s7, v22, s1
	global_store_b32 v[25:26], v27, off
	s_or_b32 exec_lo, exec_lo, s2
	s_and_saveexec_b32 s1, s0
	s_cbranch_execz .LBB167_19
.LBB167_23:                             ;   in Loop: Header=BB167_9 Depth=1
	s_waitcnt vmcnt(0)
	v_cmp_gt_f32_e64 s0, 0x800000, v24
	s_delay_alu instid0(VALU_DEP_1) | instskip(NEXT) | instid1(VALU_DEP_1)
	v_cndmask_b32_e64 v25, 1.0, 0x4f800000, s0
	v_mul_f32_e32 v24, v24, v25
	s_delay_alu instid0(VALU_DEP_1) | instskip(SKIP_2) | instid1(VALU_DEP_1)
	v_log_f32_e32 v24, v24
	s_waitcnt_depctr 0xfff
	v_mul_f32_e32 v25, 0x3f317217, v24
	v_fma_f32 v26, 0x3f317217, v24, -v25
	s_delay_alu instid0(VALU_DEP_1) | instskip(NEXT) | instid1(VALU_DEP_1)
	v_fmac_f32_e32 v26, 0x3377d1cf, v24
	v_add_f32_e32 v25, v25, v26
	v_cndmask_b32_e64 v26, 0, 0x41b17218, s0
	v_cmp_gt_f32_e64 s0, 0x7f800000, |v24|
	s_delay_alu instid0(VALU_DEP_1) | instskip(NEXT) | instid1(VALU_DEP_1)
	v_cndmask_b32_e64 v24, v24, v25, s0
	v_sub_f32_e32 v26, v24, v26
	v_add_co_u32 v24, s0, v14, s6
	s_delay_alu instid0(VALU_DEP_1)
	v_add_co_ci_u32_e64 v25, s0, s7, v15, s0
	global_store_b32 v[24:25], v26, off
	s_or_b32 exec_lo, exec_lo, s1
	s_and_saveexec_b32 s0, vcc_lo
	s_cbranch_execz .LBB167_8
.LBB167_24:                             ;   in Loop: Header=BB167_9 Depth=1
	s_waitcnt vmcnt(0)
	v_cmp_gt_f32_e32 vcc_lo, 0x800000, v23
	v_cndmask_b32_e64 v24, 1.0, 0x4f800000, vcc_lo
	s_delay_alu instid0(VALU_DEP_1) | instskip(NEXT) | instid1(VALU_DEP_1)
	v_mul_f32_e32 v23, v23, v24
	v_log_f32_e32 v23, v23
	s_waitcnt_depctr 0xfff
	v_mul_f32_e32 v24, 0x3f317217, v23
	s_delay_alu instid0(VALU_DEP_1) | instskip(NEXT) | instid1(VALU_DEP_1)
	v_fma_f32 v25, 0x3f317217, v23, -v24
	v_fmac_f32_e32 v25, 0x3377d1cf, v23
	s_delay_alu instid0(VALU_DEP_1) | instskip(SKIP_2) | instid1(VALU_DEP_3)
	v_add_f32_e32 v24, v24, v25
	v_cndmask_b32_e64 v25, 0, 0x41b17218, vcc_lo
	v_cmp_gt_f32_e64 vcc_lo, 0x7f800000, |v23|
	v_cndmask_b32_e32 v23, v23, v24, vcc_lo
	s_delay_alu instid0(VALU_DEP_1)
	v_sub_f32_e32 v25, v23, v25
	v_add_co_u32 v23, vcc_lo, v7, s6
	v_add_co_ci_u32_e32 v24, vcc_lo, s7, v8, vcc_lo
	global_store_b32 v[23:24], v25, off
	s_branch .LBB167_8
.LBB167_25:
	s_nop 0
	s_sendmsg sendmsg(MSG_DEALLOC_VGPRS)
	s_endpgm
	.section	.rodata,"a",@progbits
	.p2align	6, 0x0
	.amdhsa_kernel _ZN2at6native12_GLOBAL__N_125multi_tensor_apply_kernelINS1_18TensorListMetadataILi2EEENS1_14UnaryOpFunctorIfLi2ELi1ELi1EEEJNS0_3LogIfEEEEEvT_T0_DpT1_
		.amdhsa_group_segment_fixed_size 0
		.amdhsa_private_segment_fixed_size 0
		.amdhsa_kernarg_size 3408
		.amdhsa_user_sgpr_count 15
		.amdhsa_user_sgpr_dispatch_ptr 0
		.amdhsa_user_sgpr_queue_ptr 0
		.amdhsa_user_sgpr_kernarg_segment_ptr 1
		.amdhsa_user_sgpr_dispatch_id 0
		.amdhsa_user_sgpr_private_segment_size 0
		.amdhsa_wavefront_size32 1
		.amdhsa_uses_dynamic_stack 0
		.amdhsa_enable_private_segment 0
		.amdhsa_system_sgpr_workgroup_id_x 1
		.amdhsa_system_sgpr_workgroup_id_y 0
		.amdhsa_system_sgpr_workgroup_id_z 0
		.amdhsa_system_sgpr_workgroup_info 0
		.amdhsa_system_vgpr_workitem_id 0
		.amdhsa_next_free_vgpr 30
		.amdhsa_next_free_sgpr 24
		.amdhsa_reserve_vcc 1
		.amdhsa_float_round_mode_32 0
		.amdhsa_float_round_mode_16_64 0
		.amdhsa_float_denorm_mode_32 3
		.amdhsa_float_denorm_mode_16_64 3
		.amdhsa_dx10_clamp 1
		.amdhsa_ieee_mode 1
		.amdhsa_fp16_overflow 0
		.amdhsa_workgroup_processor_mode 1
		.amdhsa_memory_ordered 1
		.amdhsa_forward_progress 0
		.amdhsa_shared_vgpr_count 0
		.amdhsa_exception_fp_ieee_invalid_op 0
		.amdhsa_exception_fp_denorm_src 0
		.amdhsa_exception_fp_ieee_div_zero 0
		.amdhsa_exception_fp_ieee_overflow 0
		.amdhsa_exception_fp_ieee_underflow 0
		.amdhsa_exception_fp_ieee_inexact 0
		.amdhsa_exception_int_div_zero 0
	.end_amdhsa_kernel
	.section	.text._ZN2at6native12_GLOBAL__N_125multi_tensor_apply_kernelINS1_18TensorListMetadataILi2EEENS1_14UnaryOpFunctorIfLi2ELi1ELi1EEEJNS0_3LogIfEEEEEvT_T0_DpT1_,"axG",@progbits,_ZN2at6native12_GLOBAL__N_125multi_tensor_apply_kernelINS1_18TensorListMetadataILi2EEENS1_14UnaryOpFunctorIfLi2ELi1ELi1EEEJNS0_3LogIfEEEEEvT_T0_DpT1_,comdat
.Lfunc_end167:
	.size	_ZN2at6native12_GLOBAL__N_125multi_tensor_apply_kernelINS1_18TensorListMetadataILi2EEENS1_14UnaryOpFunctorIfLi2ELi1ELi1EEEJNS0_3LogIfEEEEEvT_T0_DpT1_, .Lfunc_end167-_ZN2at6native12_GLOBAL__N_125multi_tensor_apply_kernelINS1_18TensorListMetadataILi2EEENS1_14UnaryOpFunctorIfLi2ELi1ELi1EEEJNS0_3LogIfEEEEEvT_T0_DpT1_
                                        ; -- End function
	.section	.AMDGPU.csdata,"",@progbits
; Kernel info:
; codeLenInByte = 2228
; NumSgprs: 26
; NumVgprs: 30
; ScratchSize: 0
; MemoryBound: 0
; FloatMode: 240
; IeeeMode: 1
; LDSByteSize: 0 bytes/workgroup (compile time only)
; SGPRBlocks: 3
; VGPRBlocks: 3
; NumSGPRsForWavesPerEU: 26
; NumVGPRsForWavesPerEU: 30
; Occupancy: 16
; WaveLimiterHint : 0
; COMPUTE_PGM_RSRC2:SCRATCH_EN: 0
; COMPUTE_PGM_RSRC2:USER_SGPR: 15
; COMPUTE_PGM_RSRC2:TRAP_HANDLER: 0
; COMPUTE_PGM_RSRC2:TGID_X_EN: 1
; COMPUTE_PGM_RSRC2:TGID_Y_EN: 0
; COMPUTE_PGM_RSRC2:TGID_Z_EN: 0
; COMPUTE_PGM_RSRC2:TIDIG_COMP_CNT: 0
	.section	.text._ZN2at6native12_GLOBAL__N_125multi_tensor_apply_kernelINS1_18TensorListMetadataILi2EEENS1_14UnaryOpFunctorIN3c107complexIdEELi2ELi1ELi1EEEJNS0_3LogIS8_EEEEEvT_T0_DpT1_,"axG",@progbits,_ZN2at6native12_GLOBAL__N_125multi_tensor_apply_kernelINS1_18TensorListMetadataILi2EEENS1_14UnaryOpFunctorIN3c107complexIdEELi2ELi1ELi1EEEJNS0_3LogIS8_EEEEEvT_T0_DpT1_,comdat
	.globl	_ZN2at6native12_GLOBAL__N_125multi_tensor_apply_kernelINS1_18TensorListMetadataILi2EEENS1_14UnaryOpFunctorIN3c107complexIdEELi2ELi1ELi1EEEJNS0_3LogIS8_EEEEEvT_T0_DpT1_ ; -- Begin function _ZN2at6native12_GLOBAL__N_125multi_tensor_apply_kernelINS1_18TensorListMetadataILi2EEENS1_14UnaryOpFunctorIN3c107complexIdEELi2ELi1ELi1EEEJNS0_3LogIS8_EEEEEvT_T0_DpT1_
	.p2align	8
	.type	_ZN2at6native12_GLOBAL__N_125multi_tensor_apply_kernelINS1_18TensorListMetadataILi2EEENS1_14UnaryOpFunctorIN3c107complexIdEELi2ELi1ELi1EEEJNS0_3LogIS8_EEEEEvT_T0_DpT1_,@function
_ZN2at6native12_GLOBAL__N_125multi_tensor_apply_kernelINS1_18TensorListMetadataILi2EEENS1_14UnaryOpFunctorIN3c107complexIdEELi2ELi1ELi1EEEJNS0_3LogIS8_EEEEEvT_T0_DpT1_: ; @_ZN2at6native12_GLOBAL__N_125multi_tensor_apply_kernelINS1_18TensorListMetadataILi2EEENS1_14UnaryOpFunctorIN3c107complexIdEELi2ELi1ELi1EEEJNS0_3LogIS8_EEEEEvT_T0_DpT1_
; %bb.0:
	v_mov_b32_e32 v1, s15
	s_add_u32 s2, s0, s15
	s_mul_hi_u32 s3, s15, 3
	s_mul_i32 s15, s15, 3
	s_addc_u32 s4, s1, 0
	global_load_u8 v1, v1, s[0:1] offset:1536
	s_add_u32 s2, s2, s15
	s_addc_u32 s3, s4, s3
	s_mov_b32 s11, 0
	s_load_b32 s2, s[2:3], 0x740
	s_mov_b32 s15, s11
	s_waitcnt vmcnt(0)
	v_readfirstlane_b32 s5, v1
	s_delay_alu instid0(VALU_DEP_1)
	s_lshl_b32 s3, s5, 3
	s_clause 0x2
	s_load_b64 s[4:5], s[0:1], s3 offset:0x0
	s_load_b64 s[6:7], s[0:1], s3 offset:0x200
	;; [unrolled: 1-line block ×3, first 2 shown]
	s_waitcnt lgkmcnt(0)
	s_ashr_i32 s3, s2, 31
	s_delay_alu instid0(SALU_CYCLE_1) | instskip(NEXT) | instid1(SALU_CYCLE_1)
	s_lshl_b64 s[12:13], s[2:3], 20
	s_add_u32 s33, s4, s12
	s_addc_u32 s98, s5, s13
	s_add_u32 s99, s6, s12
	s_addc_u32 s100, s7, s13
	s_and_b32 s14, s33, 63
	s_and_b32 s4, s8, 3
	s_mov_b32 s5, s11
	s_and_b32 s10, s99, 63
	s_or_b64 s[4:5], s[14:15], s[4:5]
	s_lshl_b64 s[2:3], s[2:3], 16
	s_or_b64 s[4:5], s[10:11], s[4:5]
	s_sub_u32 s16, s8, s2
	s_subb_u32 s17, s9, s3
	s_cmp_eq_u64 s[4:5], 0
	s_mov_b32 s2, -1
	s_cbranch_scc0 .LBB168_141
; %bb.1:
	v_mov_b32_e32 v33, 0
	v_lshlrev_b32_e32 v1, 2, v0
	s_mov_b32 s92, exec_lo
	s_delay_alu instid0(VALU_DEP_2) | instskip(NEXT) | instid1(VALU_DEP_1)
	v_mov_b32_e32 v2, v33
	v_cmpx_gt_i64_e64 s[16:17], v[1:2]
	s_cbranch_execz .LBB168_140
; %bb.2:
	s_load_b32 s2, s[0:1], 0xc5c
	v_dual_mov_b32 v1, v33 :: v_dual_mov_b32 v56, 0x4002d97c
	v_mov_b32_e32 v55, 0x7f3321d2
	s_mov_b32 s14, 0x85ebc8a0
	s_mov_b32 s18, 0x4ad4b81f
	s_delay_alu instid0(VALU_DEP_2)
	v_dual_mov_b32 v36, v1 :: v_dual_mov_b32 v35, v0
	s_mov_b32 s20, 0xc57e649a
	s_mov_b32 s22, 0x55555555
	;; [unrolled: 1-line block ×43, first 2 shown]
	s_waitcnt lgkmcnt(0)
	s_and_b32 s93, s2, 0xffff
	s_mov_b32 s37, 0x3fd99999
	s_mov_b32 s39, 0x3fe62e42
	;; [unrolled: 1-line block ×30, first 2 shown]
	s_branch .LBB168_5
.LBB168_3:                              ;   in Loop: Header=BB168_5 Depth=1
	s_or_b32 exec_lo, exec_lo, s3
	s_delay_alu instid0(VALU_DEP_1) | instskip(SKIP_2) | instid1(VALU_DEP_2)
	v_frexp_mant_f64_e32 v[1:2], v[5:6]
	s_mov_b32 s91, s23
	v_frexp_exp_i32_f64_e32 v3, v[5:6]
	v_cmp_gt_f64_e32 vcc_lo, s[22:23], v[1:2]
	v_cndmask_b32_e64 v34, 0x3ff00000, 2.0, vcc_lo
	s_delay_alu instid0(VALU_DEP_3) | instskip(SKIP_1) | instid1(VALU_DEP_3)
	v_subrev_co_ci_u32_e32 v3, vcc_lo, 0, v3, vcc_lo
	v_cmp_class_f64_e64 vcc_lo, v[5:6], 0x204
	v_mul_f64 v[1:2], v[1:2], v[33:34]
	s_delay_alu instid0(VALU_DEP_1) | instskip(SKIP_1) | instid1(VALU_DEP_2)
	v_add_f64 v[9:10], v[1:2], 1.0
	v_add_f64 v[31:32], v[1:2], -1.0
	v_rcp_f64_e32 v[13:14], v[9:10]
	v_add_f64 v[39:40], v[9:10], -1.0
	s_delay_alu instid0(VALU_DEP_1) | instskip(SKIP_2) | instid1(VALU_DEP_1)
	v_add_f64 v[1:2], v[1:2], -v[39:40]
	s_waitcnt_depctr 0xfff
	v_fma_f64 v[29:30], -v[9:10], v[13:14], 1.0
	v_fma_f64 v[13:14], v[29:30], v[13:14], v[13:14]
	s_delay_alu instid0(VALU_DEP_1) | instskip(NEXT) | instid1(VALU_DEP_1)
	v_fma_f64 v[29:30], -v[9:10], v[13:14], 1.0
	v_fma_f64 v[13:14], v[29:30], v[13:14], v[13:14]
	s_delay_alu instid0(VALU_DEP_1) | instskip(NEXT) | instid1(VALU_DEP_1)
	v_mul_f64 v[29:30], v[31:32], v[13:14]
	v_mul_f64 v[41:42], v[9:10], v[29:30]
	s_delay_alu instid0(VALU_DEP_1) | instskip(NEXT) | instid1(VALU_DEP_1)
	v_fma_f64 v[9:10], v[29:30], v[9:10], -v[41:42]
	v_fma_f64 v[1:2], v[29:30], v[1:2], v[9:10]
	s_delay_alu instid0(VALU_DEP_1) | instskip(NEXT) | instid1(VALU_DEP_1)
	v_add_f64 v[9:10], v[41:42], v[1:2]
	v_add_f64 v[39:40], v[31:32], -v[9:10]
	v_add_f64 v[41:42], v[9:10], -v[41:42]
	s_delay_alu instid0(VALU_DEP_2) | instskip(NEXT) | instid1(VALU_DEP_2)
	v_add_f64 v[31:32], v[31:32], -v[39:40]
	v_add_f64 v[1:2], v[41:42], -v[1:2]
	s_delay_alu instid0(VALU_DEP_2) | instskip(NEXT) | instid1(VALU_DEP_1)
	v_add_f64 v[9:10], v[31:32], -v[9:10]
	v_add_f64 v[1:2], v[1:2], v[9:10]
	s_delay_alu instid0(VALU_DEP_1) | instskip(NEXT) | instid1(VALU_DEP_1)
	v_add_f64 v[1:2], v[39:40], v[1:2]
	v_mul_f64 v[1:2], v[13:14], v[1:2]
	s_delay_alu instid0(VALU_DEP_1) | instskip(NEXT) | instid1(VALU_DEP_1)
	v_add_f64 v[9:10], v[29:30], v[1:2]
	v_mul_f64 v[13:14], v[9:10], v[9:10]
	s_delay_alu instid0(VALU_DEP_1) | instskip(SKIP_1) | instid1(VALU_DEP_2)
	v_fma_f64 v[31:32], v[13:14], s[26:27], s[24:25]
	v_mul_f64 v[39:40], v[9:10], v[13:14]
	v_fma_f64 v[31:32], v[13:14], v[31:32], s[28:29]
	s_delay_alu instid0(VALU_DEP_1) | instskip(NEXT) | instid1(VALU_DEP_1)
	v_fma_f64 v[31:32], v[13:14], v[31:32], s[30:31]
	v_fma_f64 v[31:32], v[13:14], v[31:32], s[34:35]
	s_delay_alu instid0(VALU_DEP_1) | instskip(NEXT) | instid1(VALU_DEP_1)
	v_fma_f64 v[31:32], v[13:14], v[31:32], s[36:37]
	v_fma_f64 v[13:14], v[13:14], v[31:32], s[90:91]
	v_ldexp_f64 v[31:32], v[9:10], 1
	v_add_f64 v[9:10], v[9:10], -v[29:30]
	s_delay_alu instid0(VALU_DEP_3) | instskip(SKIP_1) | instid1(VALU_DEP_3)
	v_mul_f64 v[13:14], v[39:40], v[13:14]
	v_cvt_f64_i32_e32 v[39:40], v3
	v_add_f64 v[1:2], v[1:2], -v[9:10]
	s_delay_alu instid0(VALU_DEP_3) | instskip(NEXT) | instid1(VALU_DEP_3)
	v_add_f64 v[29:30], v[31:32], v[13:14]
	v_mul_f64 v[41:42], v[39:40], s[38:39]
	s_delay_alu instid0(VALU_DEP_3) | instskip(NEXT) | instid1(VALU_DEP_3)
	v_ldexp_f64 v[1:2], v[1:2], 1
	v_add_f64 v[9:10], v[29:30], -v[31:32]
	s_delay_alu instid0(VALU_DEP_3) | instskip(NEXT) | instid1(VALU_DEP_2)
	v_fma_f64 v[31:32], v[39:40], s[38:39], -v[41:42]
	v_add_f64 v[9:10], v[13:14], -v[9:10]
	s_delay_alu instid0(VALU_DEP_2) | instskip(NEXT) | instid1(VALU_DEP_2)
	v_fma_f64 v[13:14], v[39:40], s[40:41], v[31:32]
	v_add_f64 v[1:2], v[1:2], v[9:10]
	s_delay_alu instid0(VALU_DEP_2) | instskip(NEXT) | instid1(VALU_DEP_2)
	v_add_f64 v[9:10], v[41:42], v[13:14]
	v_add_f64 v[31:32], v[29:30], v[1:2]
	s_delay_alu instid0(VALU_DEP_2) | instskip(NEXT) | instid1(VALU_DEP_2)
	v_add_f64 v[41:42], v[9:10], -v[41:42]
	v_add_f64 v[39:40], v[9:10], v[31:32]
	v_add_f64 v[29:30], v[31:32], -v[29:30]
	s_delay_alu instid0(VALU_DEP_3) | instskip(NEXT) | instid1(VALU_DEP_3)
	v_add_f64 v[13:14], v[13:14], -v[41:42]
	v_add_f64 v[43:44], v[39:40], -v[9:10]
	s_delay_alu instid0(VALU_DEP_3) | instskip(NEXT) | instid1(VALU_DEP_2)
	v_add_f64 v[1:2], v[1:2], -v[29:30]
	v_add_f64 v[45:46], v[39:40], -v[43:44]
	;; [unrolled: 1-line block ×3, first 2 shown]
	s_delay_alu instid0(VALU_DEP_3) | instskip(NEXT) | instid1(VALU_DEP_3)
	v_add_f64 v[31:32], v[13:14], v[1:2]
	v_add_f64 v[9:10], v[9:10], -v[45:46]
	s_delay_alu instid0(VALU_DEP_1) | instskip(NEXT) | instid1(VALU_DEP_3)
	v_add_f64 v[9:10], v[29:30], v[9:10]
	v_add_f64 v[29:30], v[31:32], -v[13:14]
	s_delay_alu instid0(VALU_DEP_2) | instskip(NEXT) | instid1(VALU_DEP_2)
	v_add_f64 v[9:10], v[31:32], v[9:10]
	v_add_f64 v[31:32], v[31:32], -v[29:30]
	v_add_f64 v[1:2], v[1:2], -v[29:30]
	s_delay_alu instid0(VALU_DEP_3) | instskip(NEXT) | instid1(VALU_DEP_3)
	v_add_f64 v[41:42], v[39:40], v[9:10]
	v_add_f64 v[13:14], v[13:14], -v[31:32]
	v_mov_b32_e32 v31, 0
	v_mov_b32_e32 v32, 0x7ff80000
	s_delay_alu instid0(VALU_DEP_4) | instskip(NEXT) | instid1(VALU_DEP_4)
	v_add_f64 v[29:30], v[41:42], -v[39:40]
	v_add_f64 v[1:2], v[1:2], v[13:14]
	s_delay_alu instid0(VALU_DEP_2) | instskip(NEXT) | instid1(VALU_DEP_1)
	v_add_f64 v[9:10], v[9:10], -v[29:30]
	v_add_f64 v[1:2], v[1:2], v[9:10]
	s_delay_alu instid0(VALU_DEP_1) | instskip(NEXT) | instid1(VALU_DEP_1)
	v_add_f64 v[1:2], v[41:42], v[1:2]
	v_dual_cndmask_b32 v1, v1, v5 :: v_dual_cndmask_b32 v2, v2, v6
	v_cmp_ngt_f64_e32 vcc_lo, 0, v[5:6]
	s_delay_alu instid0(VALU_DEP_2) | instskip(SKIP_1) | instid1(VALU_DEP_4)
	v_cndmask_b32_e32 v2, 0x7ff80000, v2, vcc_lo
	v_cmp_nge_f64_e32 vcc_lo, 0, v[5:6]
	v_cndmask_b32_e32 v29, 0, v1, vcc_lo
	v_cmp_neq_f64_e32 vcc_lo, 0, v[5:6]
	s_delay_alu instid0(VALU_DEP_4)
	v_cndmask_b32_e32 v30, 0xfff00000, v2, vcc_lo
.LBB168_4:                              ;   in Loop: Header=BB168_5 Depth=1
	s_or_b32 exec_lo, exec_lo, s2
	v_add_co_u32 v35, vcc_lo, v35, s93
	v_add_co_ci_u32_e32 v36, vcc_lo, 0, v36, vcc_lo
	v_bfi_b32 v28, 0x7fffffff, v28, v16
	v_bfi_b32 v20, 0x7fffffff, v20, v12
	;; [unrolled: 1-line block ×3, first 2 shown]
	s_delay_alu instid0(VALU_DEP_4) | instskip(SKIP_1) | instid1(VALU_DEP_2)
	v_lshlrev_b64 v[1:2], 2, v[35:36]
	v_bfi_b32 v32, 0x7fffffff, v32, v4
	v_cmp_le_i64_e32 vcc_lo, s[16:17], v[1:2]
	v_cmp_lt_u64_e64 s2, 0xffff, v[1:2]
	v_add_co_u32 v1, s3, s99, v37
	s_delay_alu instid0(VALU_DEP_1)
	v_add_co_ci_u32_e64 v2, s3, s100, v38, s3
	s_clause 0x1
	global_store_b128 v[1:2], v[17:20], off
	global_store_b128 v[1:2], v[21:24], off offset:16
	s_or_b32 s2, vcc_lo, s2
	s_clause 0x1
	global_store_b128 v[1:2], v[25:28], off offset:32
	global_store_b128 v[1:2], v[29:32], off offset:48
	s_and_b32 s2, exec_lo, s2
	s_delay_alu instid0(SALU_CYCLE_1) | instskip(NEXT) | instid1(SALU_CYCLE_1)
	s_or_b32 s94, s2, s94
	s_and_not1_b32 exec_lo, exec_lo, s94
	s_cbranch_execz .LBB168_140
.LBB168_5:                              ; =>This Loop Header: Depth=1
                                        ;     Child Loop BB168_16 Depth 2
                                        ;     Child Loop BB168_50 Depth 2
	;; [unrolled: 1-line block ×4, first 2 shown]
	v_lshlrev_b64 v[37:38], 6, v[35:36]
                                        ; implicit-def: $vgpr17_vgpr18
	s_mov_b32 s2, exec_lo
	s_delay_alu instid0(VALU_DEP_1) | instskip(NEXT) | instid1(VALU_DEP_2)
	v_add_co_u32 v13, vcc_lo, s33, v37
	v_add_co_ci_u32_e32 v14, vcc_lo, s98, v38, vcc_lo
	s_clause 0x3
	global_load_b128 v[9:12], v[13:14], off
	global_load_b128 v[5:8], v[13:14], off offset:16
	global_load_b128 v[1:4], v[13:14], off offset:48
	;; [unrolled: 1-line block ×3, first 2 shown]
	s_waitcnt vmcnt(3)
	v_cmpx_o_f64_e32 v[9:10], v[11:12]
	s_xor_b32 s95, exec_lo, s2
	s_cbranch_execz .LBB168_33
; %bb.6:                                ;   in Loop: Header=BB168_5 Depth=1
	v_cmp_lt_f64_e64 s2, |v[9:10]|, |v[11:12]|
	v_and_b32_e32 v19, 0x7fffffff, v10
	v_dual_mov_b32 v23, v11 :: v_dual_and_b32 v20, 0x7fffffff, v12
                                        ; implicit-def: $vgpr17_vgpr18
	s_mov_b32 s3, exec_lo
	s_delay_alu instid0(VALU_DEP_1) | instskip(NEXT) | instid1(VALU_DEP_2)
	v_cndmask_b32_e64 v22, v20, v19, s2
	v_cndmask_b32_e64 v21, v23, v9, s2
	s_delay_alu instid0(VALU_DEP_1)
	v_cmpx_nlt_f64_e32 s[14:15], v[21:22]
	s_xor_b32 s96, exec_lo, s3
	s_cbranch_execz .LBB168_30
; %bb.7:                                ;   in Loop: Header=BB168_5 Depth=1
	v_cndmask_b32_e64 v24, v19, v20, s2
	v_cndmask_b32_e64 v23, v9, v23, s2
                                        ; implicit-def: $vgpr17_vgpr18
	s_mov_b32 s3, exec_lo
	s_delay_alu instid0(VALU_DEP_1)
	v_cmpx_neq_f64_e32 1.0, v[23:24]
	s_xor_b32 s97, exec_lo, s3
	s_cbranch_execz .LBB168_23
; %bb.8:                                ;   in Loop: Header=BB168_5 Depth=1
	v_max_f64 v[17:18], v[21:22], v[21:22]
	v_max_f64 v[19:20], v[23:24], v[23:24]
	s_delay_alu instid0(VALU_DEP_1) | instskip(SKIP_1) | instid1(VALU_DEP_2)
	v_min_f64 v[25:26], v[19:20], v[17:18]
	v_max_f64 v[17:18], v[19:20], v[17:18]
	v_cmp_ngt_f64_e32 vcc_lo, s[18:19], v[25:26]
	s_delay_alu instid0(VALU_DEP_2) | instskip(NEXT) | instid1(VALU_DEP_1)
	v_cmp_nlt_f64_e64 s3, s[20:21], v[17:18]
                                        ; implicit-def: $vgpr17_vgpr18
	s_and_b32 s3, s3, vcc_lo
	s_delay_alu instid0(SALU_CYCLE_1) | instskip(NEXT) | instid1(SALU_CYCLE_1)
	s_and_saveexec_b32 s4, s3
	s_xor_b32 s101, exec_lo, s4
	s_cbranch_execz .LBB168_20
; %bb.9:                                ;   in Loop: Header=BB168_5 Depth=1
                                        ; implicit-def: $vgpr17_vgpr18
	s_mov_b32 s3, exec_lo
	v_cmpx_le_f64_e32 1.0, v[23:24]
	s_xor_b32 s4, exec_lo, s3
	s_cbranch_execz .LBB168_11
; %bb.10:                               ;   in Loop: Header=BB168_5 Depth=1
	v_add_f64 v[17:18], v[23:24], -1.0
	v_add_f64 v[19:20], v[23:24], 1.0
	s_mov_b32 s91, s23
	s_mov_b32 s12, s82
	v_cmp_gt_i32_e64 s3, 0, v10
	v_cmp_class_f64_e64 s6, v[9:10], 0x204
	v_cmp_class_f64_e64 s5, v[11:12], 0x204
	s_delay_alu instid0(VALU_DEP_4) | instskip(NEXT) | instid1(VALU_DEP_1)
	v_mul_f64 v[17:18], v[17:18], v[19:20]
	v_fma_f64 v[18:19], v[21:22], v[21:22], v[17:18]
	s_delay_alu instid0(VALU_DEP_1) | instskip(NEXT) | instid1(VALU_DEP_1)
	v_add_f64 v[20:21], v[18:19], 1.0
	v_frexp_mant_f64_e32 v[22:23], v[20:21]
	v_frexp_exp_i32_f64_e32 v17, v[20:21]
	v_add_f64 v[24:25], v[20:21], -1.0
	s_delay_alu instid0(VALU_DEP_3) | instskip(NEXT) | instid1(VALU_DEP_2)
	v_cmp_gt_f64_e32 vcc_lo, s[22:23], v[22:23]
	v_add_f64 v[22:23], v[24:25], -v[20:21]
	v_add_f64 v[24:25], v[18:19], -v[24:25]
	v_subrev_co_ci_u32_e32 v17, vcc_lo, 0, v17, vcc_lo
	s_delay_alu instid0(VALU_DEP_3) | instskip(NEXT) | instid1(VALU_DEP_2)
	v_add_f64 v[22:23], v[22:23], 1.0
	v_sub_nc_u32_e32 v28, 0, v17
	s_delay_alu instid0(VALU_DEP_1) | instskip(NEXT) | instid1(VALU_DEP_3)
	v_ldexp_f64 v[20:21], v[20:21], v28
	v_add_f64 v[22:23], v[24:25], v[22:23]
	s_delay_alu instid0(VALU_DEP_2) | instskip(SKIP_1) | instid1(VALU_DEP_3)
	v_add_f64 v[26:27], v[20:21], 1.0
	v_add_f64 v[39:40], v[20:21], -1.0
	v_ldexp_f64 v[22:23], v[22:23], v28
	s_delay_alu instid0(VALU_DEP_3) | instskip(NEXT) | instid1(VALU_DEP_3)
	v_add_f64 v[24:25], v[26:27], -1.0
	v_add_f64 v[41:42], v[39:40], 1.0
	s_delay_alu instid0(VALU_DEP_2) | instskip(NEXT) | instid1(VALU_DEP_2)
	v_add_f64 v[24:25], v[20:21], -v[24:25]
	v_add_f64 v[20:21], v[20:21], -v[41:42]
	s_delay_alu instid0(VALU_DEP_2) | instskip(NEXT) | instid1(VALU_DEP_2)
	v_add_f64 v[24:25], v[22:23], v[24:25]
	v_add_f64 v[20:21], v[22:23], v[20:21]
	s_delay_alu instid0(VALU_DEP_2) | instskip(NEXT) | instid1(VALU_DEP_2)
	v_add_f64 v[28:29], v[26:27], v[24:25]
	v_add_f64 v[41:42], v[39:40], v[20:21]
	s_delay_alu instid0(VALU_DEP_2) | instskip(SKIP_1) | instid1(VALU_DEP_2)
	v_rcp_f64_e32 v[30:31], v[28:29]
	v_add_f64 v[26:27], v[28:29], -v[26:27]
	v_add_f64 v[39:40], v[41:42], -v[39:40]
	s_delay_alu instid0(VALU_DEP_2) | instskip(SKIP_3) | instid1(VALU_DEP_2)
	v_add_f64 v[24:25], v[24:25], -v[26:27]
	s_waitcnt_depctr 0xfff
	v_fma_f64 v[43:44], -v[28:29], v[30:31], 1.0
	v_add_f64 v[20:21], v[20:21], -v[39:40]
	v_fma_f64 v[30:31], v[43:44], v[30:31], v[30:31]
	s_delay_alu instid0(VALU_DEP_1) | instskip(NEXT) | instid1(VALU_DEP_1)
	v_fma_f64 v[22:23], -v[28:29], v[30:31], 1.0
	v_fma_f64 v[22:23], v[22:23], v[30:31], v[30:31]
	s_delay_alu instid0(VALU_DEP_1) | instskip(NEXT) | instid1(VALU_DEP_1)
	v_mul_f64 v[30:31], v[41:42], v[22:23]
	v_mul_f64 v[43:44], v[28:29], v[30:31]
	s_delay_alu instid0(VALU_DEP_1) | instskip(NEXT) | instid1(VALU_DEP_1)
	v_fma_f64 v[26:27], v[30:31], v[28:29], -v[43:44]
	v_fma_f64 v[26:27], v[30:31], v[24:25], v[26:27]
	s_delay_alu instid0(VALU_DEP_1) | instskip(NEXT) | instid1(VALU_DEP_1)
	v_add_f64 v[45:46], v[43:44], v[26:27]
	v_add_f64 v[47:48], v[41:42], -v[45:46]
	v_add_f64 v[39:40], v[45:46], -v[43:44]
	v_max_f64 v[43:44], |v[11:12]|, |v[11:12]|
	s_delay_alu instid0(VALU_DEP_3) | instskip(NEXT) | instid1(VALU_DEP_3)
	v_add_f64 v[41:42], v[41:42], -v[47:48]
	v_add_f64 v[26:27], v[39:40], -v[26:27]
	s_delay_alu instid0(VALU_DEP_2) | instskip(SKIP_2) | instid1(VALU_DEP_1)
	v_add_f64 v[41:42], v[41:42], -v[45:46]
	v_max_f64 v[45:46], |v[9:10]|, |v[9:10]|
	v_cndmask_b32_e64 v9, 0x3fe921fb, v56, s3
	v_bfi_b32 v9, 0x7fffffff, v9, v12
	s_delay_alu instid0(VALU_DEP_4) | instskip(NEXT) | instid1(VALU_DEP_4)
	v_add_f64 v[20:21], v[20:21], v[41:42]
	v_max_f64 v[49:50], v[45:46], v[43:44]
	v_min_f64 v[43:44], v[45:46], v[43:44]
	s_delay_alu instid0(VALU_DEP_3) | instskip(NEXT) | instid1(VALU_DEP_1)
	v_add_f64 v[20:21], v[26:27], v[20:21]
	v_add_f64 v[26:27], v[47:48], v[20:21]
	s_delay_alu instid0(VALU_DEP_1) | instskip(SKIP_1) | instid1(VALU_DEP_2)
	v_mul_f64 v[39:40], v[22:23], v[26:27]
	v_add_f64 v[47:48], v[47:48], -v[26:27]
	v_mul_f64 v[41:42], v[28:29], v[39:40]
	s_delay_alu instid0(VALU_DEP_2) | instskip(NEXT) | instid1(VALU_DEP_2)
	v_add_f64 v[20:21], v[20:21], v[47:48]
	v_fma_f64 v[28:29], v[39:40], v[28:29], -v[41:42]
	s_delay_alu instid0(VALU_DEP_1) | instskip(SKIP_1) | instid1(VALU_DEP_2)
	v_fma_f64 v[24:25], v[39:40], v[24:25], v[28:29]
	v_div_scale_f64 v[28:29], null, v[49:50], v[49:50], v[43:44]
	v_add_f64 v[45:46], v[41:42], v[24:25]
	s_delay_alu instid0(VALU_DEP_2) | instskip(NEXT) | instid1(VALU_DEP_1)
	v_rcp_f64_e32 v[51:52], v[28:29]
	v_add_f64 v[53:54], v[26:27], -v[45:46]
	v_add_f64 v[41:42], v[45:46], -v[41:42]
	s_waitcnt_depctr 0xfff
	v_fma_f64 v[57:58], -v[28:29], v[51:52], 1.0
	v_add_f64 v[26:27], v[26:27], -v[53:54]
	v_add_f64 v[24:25], v[41:42], -v[24:25]
	s_delay_alu instid0(VALU_DEP_3) | instskip(NEXT) | instid1(VALU_DEP_3)
	v_fma_f64 v[51:52], v[51:52], v[57:58], v[51:52]
	v_add_f64 v[26:27], v[26:27], -v[45:46]
	s_delay_alu instid0(VALU_DEP_2) | instskip(NEXT) | instid1(VALU_DEP_2)
	v_fma_f64 v[45:46], -v[28:29], v[51:52], 1.0
	v_add_f64 v[20:21], v[20:21], v[26:27]
	v_div_scale_f64 v[26:27], vcc_lo, v[43:44], v[49:50], v[43:44]
	s_delay_alu instid0(VALU_DEP_3) | instskip(SKIP_1) | instid1(VALU_DEP_4)
	v_fma_f64 v[41:42], v[51:52], v[45:46], v[51:52]
	v_add_f64 v[45:46], v[30:31], v[39:40]
	v_add_f64 v[20:21], v[24:25], v[20:21]
	s_delay_alu instid0(VALU_DEP_3) | instskip(NEXT) | instid1(VALU_DEP_3)
	v_mul_f64 v[24:25], v[26:27], v[41:42]
	v_add_f64 v[30:31], v[45:46], -v[30:31]
	s_delay_alu instid0(VALU_DEP_3) | instskip(NEXT) | instid1(VALU_DEP_3)
	v_add_f64 v[20:21], v[53:54], v[20:21]
	v_fma_f64 v[26:27], -v[28:29], v[24:25], v[26:27]
	s_delay_alu instid0(VALU_DEP_3) | instskip(NEXT) | instid1(VALU_DEP_3)
	v_add_f64 v[28:29], v[39:40], -v[30:31]
	v_mul_f64 v[20:21], v[22:23], v[20:21]
	s_delay_alu instid0(VALU_DEP_3) | instskip(SKIP_1) | instid1(VALU_DEP_3)
	v_div_fmas_f64 v[22:23], v[26:27], v[41:42], v[24:25]
	v_cmp_eq_f64_e32 vcc_lo, 0x7ff00000, v[18:19]
	v_add_f64 v[20:21], v[28:29], v[20:21]
	s_delay_alu instid0(VALU_DEP_3) | instskip(NEXT) | instid1(VALU_DEP_2)
	v_div_fixup_f64 v[22:23], v[22:23], v[49:50], v[43:44]
	v_add_f64 v[24:25], v[45:46], v[20:21]
	s_delay_alu instid0(VALU_DEP_2) | instskip(NEXT) | instid1(VALU_DEP_2)
	v_mul_f64 v[26:27], v[22:23], v[22:23]
	v_mul_f64 v[28:29], v[24:25], v[24:25]
	s_delay_alu instid0(VALU_DEP_2) | instskip(NEXT) | instid1(VALU_DEP_2)
	v_fma_f64 v[30:31], v[26:27], s[44:45], s[42:43]
	v_fma_f64 v[39:40], v[28:29], s[26:27], s[24:25]
	v_mul_f64 v[41:42], v[24:25], v[28:29]
	s_delay_alu instid0(VALU_DEP_3) | instskip(NEXT) | instid1(VALU_DEP_3)
	v_fma_f64 v[30:31], v[26:27], v[30:31], s[46:47]
	v_fma_f64 v[39:40], v[28:29], v[39:40], s[28:29]
	s_delay_alu instid0(VALU_DEP_2) | instskip(NEXT) | instid1(VALU_DEP_2)
	v_fma_f64 v[30:31], v[26:27], v[30:31], s[48:49]
	v_fma_f64 v[39:40], v[28:29], v[39:40], s[30:31]
	s_delay_alu instid0(VALU_DEP_2) | instskip(NEXT) | instid1(VALU_DEP_2)
	;; [unrolled: 3-line block ×4, first 2 shown]
	v_fma_f64 v[30:31], v[26:27], v[30:31], s[54:55]
	v_fma_f64 v[28:29], v[28:29], v[39:40], s[90:91]
	v_ldexp_f64 v[39:40], v[24:25], 1
	v_add_f64 v[24:25], v[24:25], -v[45:46]
	s_delay_alu instid0(VALU_DEP_4) | instskip(NEXT) | instid1(VALU_DEP_4)
	v_fma_f64 v[30:31], v[26:27], v[30:31], s[56:57]
	v_mul_f64 v[28:29], v[41:42], v[28:29]
	v_cvt_f64_i32_e32 v[41:42], v17
	s_delay_alu instid0(VALU_DEP_4) | instskip(NEXT) | instid1(VALU_DEP_4)
	v_add_f64 v[20:21], v[20:21], -v[24:25]
	v_fma_f64 v[30:31], v[26:27], v[30:31], s[58:59]
	v_ashrrev_i32_e32 v17, 31, v10
	s_delay_alu instid0(VALU_DEP_1) | instskip(SKIP_4) | instid1(VALU_DEP_4)
	v_and_b32_e32 v10, 0x400921fb, v17
	v_add_f64 v[43:44], v[39:40], v[28:29]
	v_mul_f64 v[45:46], v[41:42], s[38:39]
	v_ldexp_f64 v[20:21], v[20:21], 1
	v_fma_f64 v[30:31], v[26:27], v[30:31], s[60:61]
	v_add_f64 v[24:25], v[43:44], -v[39:40]
	s_delay_alu instid0(VALU_DEP_4) | instskip(NEXT) | instid1(VALU_DEP_3)
	v_fma_f64 v[39:40], v[41:42], s[38:39], -v[45:46]
	v_fma_f64 v[30:31], v[26:27], v[30:31], s[62:63]
	s_delay_alu instid0(VALU_DEP_3) | instskip(NEXT) | instid1(VALU_DEP_2)
	v_add_f64 v[24:25], v[28:29], -v[24:25]
	v_fma_f64 v[28:29], v[26:27], v[30:31], s[64:65]
	s_delay_alu instid0(VALU_DEP_4) | instskip(NEXT) | instid1(VALU_DEP_3)
	v_fma_f64 v[30:31], v[41:42], s[40:41], v[39:40]
	v_add_f64 v[20:21], v[20:21], v[24:25]
	s_delay_alu instid0(VALU_DEP_3) | instskip(NEXT) | instid1(VALU_DEP_3)
	v_fma_f64 v[24:25], v[26:27], v[28:29], s[66:67]
	v_add_f64 v[28:29], v[45:46], v[30:31]
	s_delay_alu instid0(VALU_DEP_3) | instskip(NEXT) | instid1(VALU_DEP_3)
	v_add_f64 v[39:40], v[43:44], v[20:21]
	v_fma_f64 v[24:25], v[26:27], v[24:25], s[68:69]
	s_delay_alu instid0(VALU_DEP_3) | instskip(NEXT) | instid1(VALU_DEP_3)
	v_add_f64 v[45:46], v[28:29], -v[45:46]
	v_add_f64 v[41:42], v[28:29], v[39:40]
	v_add_f64 v[43:44], v[39:40], -v[43:44]
	s_delay_alu instid0(VALU_DEP_4) | instskip(NEXT) | instid1(VALU_DEP_4)
	v_fma_f64 v[24:25], v[26:27], v[24:25], s[70:71]
	v_add_f64 v[30:31], v[30:31], -v[45:46]
	s_delay_alu instid0(VALU_DEP_4) | instskip(NEXT) | instid1(VALU_DEP_4)
	v_add_f64 v[47:48], v[41:42], -v[28:29]
	v_add_f64 v[20:21], v[20:21], -v[43:44]
	s_delay_alu instid0(VALU_DEP_4) | instskip(NEXT) | instid1(VALU_DEP_3)
	v_fma_f64 v[24:25], v[26:27], v[24:25], s[72:73]
	v_add_f64 v[49:50], v[41:42], -v[47:48]
	v_add_f64 v[39:40], v[39:40], -v[47:48]
	s_delay_alu instid0(VALU_DEP_4) | instskip(NEXT) | instid1(VALU_DEP_4)
	v_add_f64 v[43:44], v[30:31], v[20:21]
	v_fma_f64 v[24:25], v[26:27], v[24:25], s[74:75]
	s_delay_alu instid0(VALU_DEP_4) | instskip(NEXT) | instid1(VALU_DEP_2)
	v_add_f64 v[28:29], v[28:29], -v[49:50]
	v_fma_f64 v[24:25], v[26:27], v[24:25], s[76:77]
	s_delay_alu instid0(VALU_DEP_2) | instskip(SKIP_1) | instid1(VALU_DEP_3)
	v_add_f64 v[28:29], v[39:40], v[28:29]
	v_add_f64 v[39:40], v[43:44], -v[30:31]
	v_fma_f64 v[24:25], v[26:27], v[24:25], s[78:79]
	s_delay_alu instid0(VALU_DEP_3) | instskip(NEXT) | instid1(VALU_DEP_3)
	v_add_f64 v[28:29], v[43:44], v[28:29]
	v_add_f64 v[43:44], v[43:44], -v[39:40]
	v_add_f64 v[20:21], v[20:21], -v[39:40]
	s_delay_alu instid0(VALU_DEP_4) | instskip(NEXT) | instid1(VALU_DEP_4)
	v_fma_f64 v[24:25], v[26:27], v[24:25], s[80:81]
	v_add_f64 v[45:46], v[41:42], v[28:29]
	s_delay_alu instid0(VALU_DEP_2) | instskip(SKIP_1) | instid1(VALU_DEP_3)
	v_mul_f64 v[24:25], v[26:27], v[24:25]
	v_add_f64 v[26:27], v[30:31], -v[43:44]
	v_add_f64 v[30:31], v[45:46], -v[41:42]
	s_delay_alu instid0(VALU_DEP_3) | instskip(NEXT) | instid1(VALU_DEP_3)
	v_fma_f64 v[22:23], v[22:23], v[24:25], v[22:23]
	v_add_f64 v[20:21], v[20:21], v[26:27]
	s_delay_alu instid0(VALU_DEP_3) | instskip(NEXT) | instid1(VALU_DEP_3)
	v_add_f64 v[24:25], v[28:29], -v[30:31]
	v_add_f64 v[26:27], -v[22:23], s[82:83]
	s_delay_alu instid0(VALU_DEP_2) | instskip(NEXT) | instid1(VALU_DEP_2)
	v_add_f64 v[20:21], v[20:21], v[24:25]
	v_cndmask_b32_e64 v23, v23, v27, s2
	s_delay_alu instid0(VALU_DEP_3) | instskip(SKIP_1) | instid1(VALU_DEP_2)
	v_cndmask_b32_e64 v22, v22, v26, s2
	v_cndmask_b32_e64 v26, 0x54442d18, v55, s3
	v_add_f64 v[24:25], -v[22:23], s[12:13]
	v_add_f64 v[20:21], v[45:46], v[20:21]
	v_and_b32_e32 v27, 0x54442d18, v17
	s_delay_alu instid0(VALU_DEP_3) | instskip(NEXT) | instid1(VALU_DEP_4)
	v_cndmask_b32_e64 v24, v22, v24, s3
	v_cndmask_b32_e64 v17, v23, v25, s3
	v_cmp_nge_f64_e64 s3, -1.0, v[18:19]
	v_dual_cndmask_b32 v20, v20, v18 :: v_dual_cndmask_b32 v21, v21, v19
	v_cmp_eq_f64_e32 vcc_lo, 0, v[11:12]
	s_delay_alu instid0(VALU_DEP_2) | instskip(SKIP_2) | instid1(VALU_DEP_3)
	v_mul_f64 v[21:22], v[20:21], 0.5
	v_dual_cndmask_b32 v23, v24, v27 :: v_dual_cndmask_b32 v10, v17, v10
	v_cmp_ngt_f64_e32 vcc_lo, -1.0, v[18:19]
	v_cndmask_b32_e64 v17, 0, v21, s3
	v_cmp_neq_f64_e64 s3, -1.0, v[18:19]
	v_cndmask_b32_e32 v22, 0x7ff80000, v22, vcc_lo
	s_and_b32 vcc_lo, s6, s5
	v_dual_cndmask_b32 v20, v10, v9 :: v_dual_cndmask_b32 v19, v23, v26
	s_delay_alu instid0(VALU_DEP_2)
	v_cndmask_b32_e64 v18, 0xfff00000, v22, s3
                                        ; implicit-def: $vgpr21_vgpr22
                                        ; implicit-def: $vgpr23_vgpr24
.LBB168_11:                             ;   in Loop: Header=BB168_5 Depth=1
	s_and_not1_saveexec_b32 s102, s4
	s_cbranch_execz .LBB168_19
; %bb.12:                               ;   in Loop: Header=BB168_5 Depth=1
	v_mul_f64 v[17:18], v[21:22], v[21:22]
	s_mov_b32 s3, exec_lo
	s_delay_alu instid0(VALU_DEP_1) | instskip(NEXT) | instid1(VALU_DEP_1)
	v_fma_f64 v[19:20], v[23:24], v[23:24], v[17:18]
                                        ; implicit-def: $vgpr17_vgpr18
	v_cmpx_ge_f64_e32 s[84:85], v[19:20]
	s_xor_b32 s5, exec_lo, s3
	s_cbranch_execz .LBB168_14
; %bb.13:                               ;   in Loop: Header=BB168_5 Depth=1
	v_frexp_mant_f64_e32 v[17:18], v[19:20]
	v_max_f64 v[29:30], |v[9:10]|, |v[9:10]|
	s_mov_b32 s91, s23
	s_mov_b32 s12, s82
	v_cmp_class_f64_e64 s6, v[11:12], 0x204
	v_cmp_class_f64_e64 s7, v[9:10], 0x204
	v_cmp_neq_f64_e64 s4, 0, v[19:20]
	v_cmp_gt_f64_e64 s3, s[22:23], v[17:18]
	s_delay_alu instid0(VALU_DEP_1) | instskip(NEXT) | instid1(VALU_DEP_1)
	v_cndmask_b32_e64 v34, 0x3ff00000, 2.0, s3
	v_mul_f64 v[17:18], v[17:18], v[33:34]
	v_frexp_exp_i32_f64_e32 v34, v[19:20]
	s_delay_alu instid0(VALU_DEP_2) | instskip(SKIP_1) | instid1(VALU_DEP_2)
	v_add_f64 v[21:22], v[17:18], 1.0
	v_add_f64 v[27:28], v[17:18], -1.0
	v_rcp_f64_e32 v[23:24], v[21:22]
	s_waitcnt_depctr 0xfff
	v_fma_f64 v[25:26], -v[21:22], v[23:24], 1.0
	s_delay_alu instid0(VALU_DEP_1) | instskip(NEXT) | instid1(VALU_DEP_1)
	v_fma_f64 v[23:24], v[25:26], v[23:24], v[23:24]
	v_fma_f64 v[25:26], -v[21:22], v[23:24], 1.0
	s_delay_alu instid0(VALU_DEP_1) | instskip(SKIP_1) | instid1(VALU_DEP_2)
	v_fma_f64 v[23:24], v[25:26], v[23:24], v[23:24]
	v_max_f64 v[25:26], |v[11:12]|, |v[11:12]|
	v_mul_f64 v[31:32], v[27:28], v[23:24]
	s_delay_alu instid0(VALU_DEP_2) | instskip(SKIP_2) | instid1(VALU_DEP_4)
	v_max_f64 v[39:40], v[29:30], v[25:26]
	v_min_f64 v[25:26], v[29:30], v[25:26]
	v_add_f64 v[29:30], v[21:22], -1.0
	v_mul_f64 v[41:42], v[21:22], v[31:32]
	s_delay_alu instid0(VALU_DEP_3) | instskip(NEXT) | instid1(VALU_DEP_3)
	v_div_scale_f64 v[43:44], null, v[39:40], v[39:40], v[25:26]
	v_add_f64 v[17:18], v[17:18], -v[29:30]
	v_div_scale_f64 v[49:50], vcc_lo, v[25:26], v[39:40], v[25:26]
	s_delay_alu instid0(VALU_DEP_4) | instskip(NEXT) | instid1(VALU_DEP_4)
	v_fma_f64 v[21:22], v[31:32], v[21:22], -v[41:42]
	v_rcp_f64_e32 v[29:30], v[43:44]
	s_delay_alu instid0(VALU_DEP_1) | instskip(SKIP_3) | instid1(VALU_DEP_2)
	v_fma_f64 v[17:18], v[31:32], v[17:18], v[21:22]
	s_waitcnt_depctr 0xfff
	v_fma_f64 v[21:22], -v[43:44], v[29:30], 1.0
	v_add_f64 v[45:46], v[41:42], v[17:18]
	v_fma_f64 v[21:22], v[29:30], v[21:22], v[29:30]
	s_delay_alu instid0(VALU_DEP_2) | instskip(SKIP_1) | instid1(VALU_DEP_3)
	v_add_f64 v[29:30], v[27:28], -v[45:46]
	v_add_f64 v[41:42], v[45:46], -v[41:42]
	v_fma_f64 v[47:48], -v[43:44], v[21:22], 1.0
	s_delay_alu instid0(VALU_DEP_3) | instskip(NEXT) | instid1(VALU_DEP_3)
	v_add_f64 v[27:28], v[27:28], -v[29:30]
	v_add_f64 v[17:18], v[41:42], -v[17:18]
	s_delay_alu instid0(VALU_DEP_3) | instskip(NEXT) | instid1(VALU_DEP_3)
	v_fma_f64 v[21:22], v[21:22], v[47:48], v[21:22]
	v_add_f64 v[27:28], v[27:28], -v[45:46]
	s_delay_alu instid0(VALU_DEP_2) | instskip(NEXT) | instid1(VALU_DEP_2)
	v_mul_f64 v[41:42], v[49:50], v[21:22]
	v_add_f64 v[17:18], v[17:18], v[27:28]
	s_delay_alu instid0(VALU_DEP_2) | instskip(NEXT) | instid1(VALU_DEP_2)
	v_fma_f64 v[27:28], -v[43:44], v[41:42], v[49:50]
	v_add_f64 v[17:18], v[29:30], v[17:18]
	s_delay_alu instid0(VALU_DEP_2)
	v_div_fmas_f64 v[21:22], v[27:28], v[21:22], v[41:42]
	v_subrev_co_ci_u32_e64 v34, vcc_lo, 0, v34, s3
	v_cmp_eq_f64_e64 s3, 0, v[11:12]
	v_cmp_gt_i32_e32 vcc_lo, 0, v10
	v_mul_f64 v[17:18], v[23:24], v[17:18]
	v_div_fixup_f64 v[21:22], v[21:22], v[39:40], v[25:26]
	s_delay_alu instid0(VALU_DEP_2) | instskip(NEXT) | instid1(VALU_DEP_2)
	v_add_f64 v[23:24], v[31:32], v[17:18]
	v_mul_f64 v[25:26], v[21:22], v[21:22]
	s_delay_alu instid0(VALU_DEP_2) | instskip(NEXT) | instid1(VALU_DEP_2)
	v_mul_f64 v[27:28], v[23:24], v[23:24]
	v_fma_f64 v[29:30], v[25:26], s[44:45], s[42:43]
	s_delay_alu instid0(VALU_DEP_2) | instskip(SKIP_1) | instid1(VALU_DEP_3)
	v_fma_f64 v[39:40], v[27:28], s[26:27], s[24:25]
	v_mul_f64 v[41:42], v[23:24], v[27:28]
	v_fma_f64 v[29:30], v[25:26], v[29:30], s[46:47]
	s_delay_alu instid0(VALU_DEP_3) | instskip(NEXT) | instid1(VALU_DEP_2)
	v_fma_f64 v[39:40], v[27:28], v[39:40], s[28:29]
	v_fma_f64 v[29:30], v[25:26], v[29:30], s[48:49]
	s_delay_alu instid0(VALU_DEP_2) | instskip(NEXT) | instid1(VALU_DEP_2)
	v_fma_f64 v[39:40], v[27:28], v[39:40], s[30:31]
	v_fma_f64 v[29:30], v[25:26], v[29:30], s[50:51]
	s_delay_alu instid0(VALU_DEP_2) | instskip(NEXT) | instid1(VALU_DEP_2)
	;; [unrolled: 3-line block ×3, first 2 shown]
	v_fma_f64 v[39:40], v[27:28], v[39:40], s[36:37]
	v_fma_f64 v[29:30], v[25:26], v[29:30], s[54:55]
	s_delay_alu instid0(VALU_DEP_2) | instskip(SKIP_2) | instid1(VALU_DEP_4)
	v_fma_f64 v[27:28], v[27:28], v[39:40], s[90:91]
	v_ldexp_f64 v[39:40], v[23:24], 1
	v_add_f64 v[23:24], v[23:24], -v[31:32]
	v_fma_f64 v[29:30], v[25:26], v[29:30], s[56:57]
	s_delay_alu instid0(VALU_DEP_4) | instskip(SKIP_1) | instid1(VALU_DEP_4)
	v_mul_f64 v[27:28], v[41:42], v[27:28]
	v_cvt_f64_i32_e32 v[41:42], v34
	v_add_f64 v[17:18], v[17:18], -v[23:24]
	s_delay_alu instid0(VALU_DEP_4) | instskip(NEXT) | instid1(VALU_DEP_4)
	v_fma_f64 v[29:30], v[25:26], v[29:30], s[58:59]
	v_add_f64 v[31:32], v[39:40], v[27:28]
	s_delay_alu instid0(VALU_DEP_4) | instskip(NEXT) | instid1(VALU_DEP_4)
	v_mul_f64 v[43:44], v[41:42], s[38:39]
	v_ldexp_f64 v[17:18], v[17:18], 1
	s_delay_alu instid0(VALU_DEP_4) | instskip(NEXT) | instid1(VALU_DEP_4)
	v_fma_f64 v[29:30], v[25:26], v[29:30], s[60:61]
	v_add_f64 v[23:24], v[31:32], -v[39:40]
	s_delay_alu instid0(VALU_DEP_4) | instskip(NEXT) | instid1(VALU_DEP_3)
	v_fma_f64 v[39:40], v[41:42], s[38:39], -v[43:44]
	v_fma_f64 v[29:30], v[25:26], v[29:30], s[62:63]
	s_delay_alu instid0(VALU_DEP_3) | instskip(NEXT) | instid1(VALU_DEP_2)
	v_add_f64 v[23:24], v[27:28], -v[23:24]
	v_fma_f64 v[27:28], v[25:26], v[29:30], s[64:65]
	s_delay_alu instid0(VALU_DEP_4) | instskip(NEXT) | instid1(VALU_DEP_3)
	v_fma_f64 v[29:30], v[41:42], s[40:41], v[39:40]
	v_add_f64 v[17:18], v[17:18], v[23:24]
	s_delay_alu instid0(VALU_DEP_3) | instskip(NEXT) | instid1(VALU_DEP_3)
	v_fma_f64 v[23:24], v[25:26], v[27:28], s[66:67]
	v_add_f64 v[27:28], v[43:44], v[29:30]
	s_delay_alu instid0(VALU_DEP_3) | instskip(NEXT) | instid1(VALU_DEP_3)
	v_add_f64 v[39:40], v[31:32], v[17:18]
	v_fma_f64 v[23:24], v[25:26], v[23:24], s[68:69]
	s_delay_alu instid0(VALU_DEP_3) | instskip(NEXT) | instid1(VALU_DEP_3)
	v_add_f64 v[43:44], v[27:28], -v[43:44]
	v_add_f64 v[41:42], v[27:28], v[39:40]
	v_add_f64 v[31:32], v[39:40], -v[31:32]
	s_delay_alu instid0(VALU_DEP_4) | instskip(NEXT) | instid1(VALU_DEP_4)
	v_fma_f64 v[23:24], v[25:26], v[23:24], s[70:71]
	v_add_f64 v[29:30], v[29:30], -v[43:44]
	s_delay_alu instid0(VALU_DEP_4) | instskip(NEXT) | instid1(VALU_DEP_4)
	v_add_f64 v[45:46], v[41:42], -v[27:28]
	v_add_f64 v[17:18], v[17:18], -v[31:32]
	s_delay_alu instid0(VALU_DEP_4) | instskip(NEXT) | instid1(VALU_DEP_3)
	v_fma_f64 v[23:24], v[25:26], v[23:24], s[72:73]
	v_add_f64 v[47:48], v[41:42], -v[45:46]
	v_add_f64 v[31:32], v[39:40], -v[45:46]
	s_delay_alu instid0(VALU_DEP_4) | instskip(NEXT) | instid1(VALU_DEP_4)
	v_add_f64 v[39:40], v[29:30], v[17:18]
	v_fma_f64 v[23:24], v[25:26], v[23:24], s[74:75]
	s_delay_alu instid0(VALU_DEP_4) | instskip(NEXT) | instid1(VALU_DEP_2)
	v_add_f64 v[27:28], v[27:28], -v[47:48]
	v_fma_f64 v[23:24], v[25:26], v[23:24], s[76:77]
	s_delay_alu instid0(VALU_DEP_2) | instskip(SKIP_1) | instid1(VALU_DEP_3)
	v_add_f64 v[27:28], v[31:32], v[27:28]
	v_add_f64 v[31:32], v[39:40], -v[29:30]
	v_fma_f64 v[23:24], v[25:26], v[23:24], s[78:79]
	s_delay_alu instid0(VALU_DEP_3) | instskip(NEXT) | instid1(VALU_DEP_3)
	v_add_f64 v[27:28], v[39:40], v[27:28]
	v_add_f64 v[39:40], v[39:40], -v[31:32]
	v_add_f64 v[17:18], v[17:18], -v[31:32]
	s_delay_alu instid0(VALU_DEP_4) | instskip(NEXT) | instid1(VALU_DEP_4)
	v_fma_f64 v[23:24], v[25:26], v[23:24], s[80:81]
	v_add_f64 v[43:44], v[41:42], v[27:28]
	s_delay_alu instid0(VALU_DEP_2) | instskip(SKIP_1) | instid1(VALU_DEP_3)
	v_mul_f64 v[23:24], v[25:26], v[23:24]
	v_add_f64 v[25:26], v[29:30], -v[39:40]
	v_add_f64 v[29:30], v[43:44], -v[41:42]
	s_delay_alu instid0(VALU_DEP_3) | instskip(NEXT) | instid1(VALU_DEP_3)
	v_fma_f64 v[21:22], v[21:22], v[23:24], v[21:22]
	v_add_f64 v[17:18], v[17:18], v[25:26]
	s_delay_alu instid0(VALU_DEP_3) | instskip(NEXT) | instid1(VALU_DEP_3)
	v_add_f64 v[23:24], v[27:28], -v[29:30]
	v_add_f64 v[25:26], -v[21:22], s[82:83]
	s_delay_alu instid0(VALU_DEP_2) | instskip(NEXT) | instid1(VALU_DEP_2)
	v_add_f64 v[17:18], v[17:18], v[23:24]
	v_cndmask_b32_e64 v22, v22, v26, s2
	s_delay_alu instid0(VALU_DEP_3) | instskip(SKIP_2) | instid1(VALU_DEP_3)
	v_cndmask_b32_e64 v21, v21, v25, s2
	v_ashrrev_i32_e32 v25, 31, v10
	v_cndmask_b32_e32 v26, 0x54442d18, v55, vcc_lo
	v_add_f64 v[23:24], -v[21:22], s[12:13]
	s_delay_alu instid0(VALU_DEP_3) | instskip(SKIP_1) | instid1(VALU_DEP_3)
	v_and_b32_e32 v27, 0x54442d18, v25
	v_add_f64 v[17:18], v[43:44], v[17:18]
	v_cndmask_b32_e32 v21, v21, v23, vcc_lo
	s_delay_alu instid0(VALU_DEP_4) | instskip(NEXT) | instid1(VALU_DEP_3)
	v_cndmask_b32_e32 v19, v22, v24, vcc_lo
                                        ; implicit-def: $vgpr23_vgpr24
	v_mul_f64 v[9:10], v[17:18], 0.5
	v_and_b32_e32 v18, 0x400921fb, v25
	v_cndmask_b32_e32 v17, 0x3fe921fb, v56, vcc_lo
	v_cndmask_b32_e64 v21, v21, v27, s3
	s_and_b32 vcc_lo, s7, s6
	s_delay_alu instid0(VALU_DEP_3) | instskip(NEXT) | instid1(VALU_DEP_3)
	v_cndmask_b32_e64 v18, v19, v18, s3
	v_bfi_b32 v17, 0x7fffffff, v17, v12
	s_delay_alu instid0(VALU_DEP_3) | instskip(NEXT) | instid1(VALU_DEP_2)
	v_cndmask_b32_e32 v19, v21, v26, vcc_lo
                                        ; implicit-def: $vgpr21_vgpr22
	v_cndmask_b32_e32 v20, v18, v17, vcc_lo
	v_cndmask_b32_e64 v18, 0xfff00000, v10, s4
	v_cndmask_b32_e64 v17, 0, v9, s4
.LBB168_14:                             ;   in Loop: Header=BB168_5 Depth=1
	s_and_not1_saveexec_b32 s103, s5
	s_cbranch_execz .LBB168_18
; %bb.15:                               ;   in Loop: Header=BB168_5 Depth=1
	v_dual_mov_b32 v19, v33 :: v_dual_and_b32 v34, 0x7ffffff8, v24
	v_dual_mov_b32 v25, v33 :: v_dual_and_b32 v20, 0x7ffffff8, v22
	s_mov_b32 s91, 0
	s_delay_alu instid0(VALU_DEP_2) | instskip(SKIP_1) | instid1(VALU_DEP_3)
	v_add_f64 v[17:18], v[23:24], -v[33:34]
	v_mov_b32_e32 v27, v33
	v_add_f64 v[21:22], v[21:22], -v[19:20]
	v_add_f64 v[29:30], v[33:34], v[33:34]
	v_add_f64 v[43:44], v[19:20], v[19:20]
	v_mul_f64 v[23:24], v[19:20], v[19:20]
	v_and_b32_e32 v26, -8, v18
	v_and_b32_e32 v28, -8, v22
	s_delay_alu instid0(VALU_DEP_2) | instskip(SKIP_1) | instid1(VALU_DEP_3)
	v_add_f64 v[45:46], v[17:18], -v[25:26]
	v_add_f64 v[49:50], v[25:26], v[25:26]
	v_add_f64 v[47:48], v[21:22], -v[27:28]
	v_add_f64 v[51:52], v[27:28], v[27:28]
	v_mul_f64 v[17:18], v[33:34], v[33:34]
	v_mul_f64 v[41:42], v[29:30], v[25:26]
	;; [unrolled: 1-line block ×11, first 2 shown]
.LBB168_16:                             ;   Parent Loop BB168_5 Depth=1
                                        ; =>  This Inner Loop Header: Depth=2
	v_cmp_nlt_f64_e32 vcc_lo, v[17:18], v[23:24]
	v_dual_cndmask_b32 v48, v18, v24 :: v_dual_cndmask_b32 v47, v17, v23
	v_dual_cndmask_b32 v18, v24, v18 :: v_dual_cndmask_b32 v17, v23, v17
	s_delay_alu instid0(VALU_DEP_2) | instskip(NEXT) | instid1(VALU_DEP_1)
	v_cmp_nlt_f64_e64 s3, v[47:48], v[41:42]
	v_cndmask_b32_e64 v50, v48, v42, s3
	v_cndmask_b32_e64 v49, v47, v41, s3
	;; [unrolled: 1-line block ×4, first 2 shown]
	s_and_b32 s3, vcc_lo, s3
	s_delay_alu instid0(VALU_DEP_3) | instskip(NEXT) | instid1(VALU_DEP_1)
	v_cmp_nlt_f64_e64 s4, v[49:50], v[21:22]
	v_cndmask_b32_e64 v52, v50, v22, s4
	v_cndmask_b32_e64 v51, v49, v21, s4
	;; [unrolled: 1-line block ×4, first 2 shown]
	s_delay_alu instid0(VALU_DEP_3) | instskip(NEXT) | instid1(VALU_DEP_1)
	v_cmp_nlt_f64_e64 s5, v[51:52], v[39:40]
	v_cndmask_b32_e64 v54, v52, v40, s5
	v_cndmask_b32_e64 v53, v51, v39, s5
	v_cndmask_b32_e64 v22, v40, v52, s5
	v_cndmask_b32_e64 v21, v39, v51, s5
	s_and_b32 s4, s4, s5
	s_delay_alu instid0(VALU_DEP_3) | instskip(NEXT) | instid1(VALU_DEP_1)
	v_cmp_nlt_f64_e64 s6, v[53:54], v[19:20]
	v_cndmask_b32_e64 v58, v54, v20, s6
	v_cndmask_b32_e64 v57, v53, v19, s6
	;; [unrolled: 1-line block ×4, first 2 shown]
	s_delay_alu instid0(VALU_DEP_3) | instskip(NEXT) | instid1(VALU_DEP_1)
	v_cmp_nlt_f64_e64 s7, v[57:58], v[31:32]
	v_cndmask_b32_e64 v60, v58, v32, s7
	v_cndmask_b32_e64 v59, v57, v31, s7
	s_and_b32 s5, s6, s7
	v_cndmask_b32_e64 v20, v32, v58, s7
	v_cndmask_b32_e64 v19, v31, v57, s7
	s_delay_alu instid0(VALU_DEP_3) | instskip(NEXT) | instid1(VALU_DEP_1)
	v_cmp_nlt_f64_e64 s8, v[59:60], v[29:30]
	v_cndmask_b32_e64 v62, v60, v30, s8
	v_cndmask_b32_e64 v61, v59, v29, s8
	s_and_b32 s5, s5, s8
	v_cndmask_b32_e64 v32, v30, v60, s8
	v_cndmask_b32_e64 v31, v29, v59, s8
	;; [unrolled: 7-line block ×5, first 2 shown]
	s_delay_alu instid0(VALU_DEP_3) | instskip(NEXT) | instid1(VALU_DEP_1)
	v_cmp_nlt_f64_e64 s12, v[67:68], v[45:46]
	v_cndmask_b32_e64 v48, v68, v46, s12
	v_cndmask_b32_e64 v47, v67, v45, s12
	s_and_b32 s5, s5, s12
	v_cndmask_b32_e64 v44, v46, v68, s12
	s_and_b32 s4, s5, s4
	;; [unrolled: 2-line block ×3, first 2 shown]
	v_dual_mov_b32 v45, v47 :: v_dual_mov_b32 v46, v48
	s_and_b32 s3, exec_lo, s3
	s_delay_alu instid0(SALU_CYCLE_1) | instskip(NEXT) | instid1(SALU_CYCLE_1)
	s_or_b32 s91, s3, s91
	s_and_not1_b32 exec_lo, exec_lo, s91
	s_cbranch_execnz .LBB168_16
; %bb.17:                               ;   in Loop: Header=BB168_5 Depth=1
	s_or_b32 exec_lo, exec_lo, s91
	v_add_f64 v[17:18], v[17:18], -1.0
	s_mov_b32 s91, s23
	s_mov_b32 s12, s82
	v_cmp_gt_i32_e64 s3, 0, v10
	v_cmp_class_f64_e64 s5, v[9:10], 0x204
	v_cmp_class_f64_e64 s4, v[11:12], 0x204
	s_delay_alu instid0(VALU_DEP_4) | instskip(NEXT) | instid1(VALU_DEP_1)
	v_add_f64 v[17:18], v[17:18], v[23:24]
	v_add_f64 v[17:18], v[17:18], v[41:42]
	s_delay_alu instid0(VALU_DEP_1) | instskip(NEXT) | instid1(VALU_DEP_1)
	v_add_f64 v[17:18], v[17:18], v[21:22]
	v_add_f64 v[17:18], v[17:18], v[39:40]
	s_delay_alu instid0(VALU_DEP_1) | instskip(NEXT) | instid1(VALU_DEP_1)
	;; [unrolled: 3-line block ×5, first 2 shown]
	v_add_f64 v[18:19], v[47:48], v[17:18]
	v_add_f64 v[20:21], v[18:19], 1.0
	s_delay_alu instid0(VALU_DEP_1) | instskip(SKIP_2) | instid1(VALU_DEP_3)
	v_frexp_mant_f64_e32 v[22:23], v[20:21]
	v_frexp_exp_i32_f64_e32 v17, v[20:21]
	v_add_f64 v[24:25], v[20:21], -1.0
	v_cmp_gt_f64_e32 vcc_lo, s[22:23], v[22:23]
	s_delay_alu instid0(VALU_DEP_2) | instskip(SKIP_2) | instid1(VALU_DEP_3)
	v_add_f64 v[22:23], v[24:25], -v[20:21]
	v_add_f64 v[24:25], v[18:19], -v[24:25]
	v_subrev_co_ci_u32_e32 v17, vcc_lo, 0, v17, vcc_lo
	v_add_f64 v[22:23], v[22:23], 1.0
	s_delay_alu instid0(VALU_DEP_2) | instskip(NEXT) | instid1(VALU_DEP_1)
	v_sub_nc_u32_e32 v28, 0, v17
	v_ldexp_f64 v[20:21], v[20:21], v28
	s_delay_alu instid0(VALU_DEP_3) | instskip(NEXT) | instid1(VALU_DEP_2)
	v_add_f64 v[22:23], v[24:25], v[22:23]
	v_add_f64 v[26:27], v[20:21], 1.0
	v_add_f64 v[39:40], v[20:21], -1.0
	s_delay_alu instid0(VALU_DEP_3) | instskip(NEXT) | instid1(VALU_DEP_3)
	v_ldexp_f64 v[22:23], v[22:23], v28
	v_add_f64 v[24:25], v[26:27], -1.0
	s_delay_alu instid0(VALU_DEP_3) | instskip(NEXT) | instid1(VALU_DEP_2)
	v_add_f64 v[41:42], v[39:40], 1.0
	v_add_f64 v[24:25], v[20:21], -v[24:25]
	s_delay_alu instid0(VALU_DEP_2) | instskip(NEXT) | instid1(VALU_DEP_2)
	v_add_f64 v[20:21], v[20:21], -v[41:42]
	v_add_f64 v[24:25], v[22:23], v[24:25]
	s_delay_alu instid0(VALU_DEP_2) | instskip(NEXT) | instid1(VALU_DEP_2)
	v_add_f64 v[20:21], v[22:23], v[20:21]
	v_add_f64 v[28:29], v[26:27], v[24:25]
	s_delay_alu instid0(VALU_DEP_2) | instskip(NEXT) | instid1(VALU_DEP_2)
	v_add_f64 v[41:42], v[39:40], v[20:21]
	v_rcp_f64_e32 v[30:31], v[28:29]
	v_add_f64 v[26:27], v[28:29], -v[26:27]
	s_delay_alu instid0(VALU_DEP_2) | instskip(NEXT) | instid1(VALU_DEP_2)
	v_add_f64 v[39:40], v[41:42], -v[39:40]
	v_add_f64 v[24:25], v[24:25], -v[26:27]
	s_waitcnt_depctr 0xfff
	v_fma_f64 v[43:44], -v[28:29], v[30:31], 1.0
	v_add_f64 v[20:21], v[20:21], -v[39:40]
	s_delay_alu instid0(VALU_DEP_2) | instskip(NEXT) | instid1(VALU_DEP_1)
	v_fma_f64 v[30:31], v[43:44], v[30:31], v[30:31]
	v_fma_f64 v[22:23], -v[28:29], v[30:31], 1.0
	s_delay_alu instid0(VALU_DEP_1) | instskip(NEXT) | instid1(VALU_DEP_1)
	v_fma_f64 v[22:23], v[22:23], v[30:31], v[30:31]
	v_mul_f64 v[30:31], v[41:42], v[22:23]
	s_delay_alu instid0(VALU_DEP_1) | instskip(NEXT) | instid1(VALU_DEP_1)
	v_mul_f64 v[43:44], v[28:29], v[30:31]
	v_fma_f64 v[26:27], v[30:31], v[28:29], -v[43:44]
	s_delay_alu instid0(VALU_DEP_1) | instskip(NEXT) | instid1(VALU_DEP_1)
	v_fma_f64 v[26:27], v[30:31], v[24:25], v[26:27]
	v_add_f64 v[45:46], v[43:44], v[26:27]
	s_delay_alu instid0(VALU_DEP_1) | instskip(SKIP_2) | instid1(VALU_DEP_3)
	v_add_f64 v[47:48], v[41:42], -v[45:46]
	v_add_f64 v[39:40], v[45:46], -v[43:44]
	v_max_f64 v[43:44], |v[11:12]|, |v[11:12]|
	v_add_f64 v[41:42], v[41:42], -v[47:48]
	s_delay_alu instid0(VALU_DEP_3) | instskip(NEXT) | instid1(VALU_DEP_2)
	v_add_f64 v[26:27], v[39:40], -v[26:27]
	v_add_f64 v[41:42], v[41:42], -v[45:46]
	v_max_f64 v[45:46], |v[9:10]|, |v[9:10]|
	v_cndmask_b32_e64 v9, 0x3fe921fb, v56, s3
	s_delay_alu instid0(VALU_DEP_1) | instskip(NEXT) | instid1(VALU_DEP_4)
	v_bfi_b32 v9, 0x7fffffff, v9, v12
	v_add_f64 v[20:21], v[20:21], v[41:42]
	s_delay_alu instid0(VALU_DEP_4) | instskip(SKIP_1) | instid1(VALU_DEP_3)
	v_max_f64 v[49:50], v[45:46], v[43:44]
	v_min_f64 v[43:44], v[45:46], v[43:44]
	v_add_f64 v[20:21], v[26:27], v[20:21]
	s_delay_alu instid0(VALU_DEP_1) | instskip(NEXT) | instid1(VALU_DEP_1)
	v_add_f64 v[26:27], v[47:48], v[20:21]
	v_mul_f64 v[39:40], v[22:23], v[26:27]
	v_add_f64 v[47:48], v[47:48], -v[26:27]
	s_delay_alu instid0(VALU_DEP_2) | instskip(NEXT) | instid1(VALU_DEP_2)
	v_mul_f64 v[41:42], v[28:29], v[39:40]
	v_add_f64 v[20:21], v[20:21], v[47:48]
	s_delay_alu instid0(VALU_DEP_2) | instskip(NEXT) | instid1(VALU_DEP_1)
	v_fma_f64 v[28:29], v[39:40], v[28:29], -v[41:42]
	v_fma_f64 v[24:25], v[39:40], v[24:25], v[28:29]
	v_div_scale_f64 v[28:29], null, v[49:50], v[49:50], v[43:44]
	s_delay_alu instid0(VALU_DEP_2) | instskip(NEXT) | instid1(VALU_DEP_2)
	v_add_f64 v[45:46], v[41:42], v[24:25]
	v_rcp_f64_e32 v[51:52], v[28:29]
	s_delay_alu instid0(VALU_DEP_1)
	v_add_f64 v[53:54], v[26:27], -v[45:46]
	v_add_f64 v[41:42], v[45:46], -v[41:42]
	s_waitcnt_depctr 0xfff
	v_fma_f64 v[57:58], -v[28:29], v[51:52], 1.0
	v_add_f64 v[26:27], v[26:27], -v[53:54]
	v_add_f64 v[24:25], v[41:42], -v[24:25]
	s_delay_alu instid0(VALU_DEP_3) | instskip(NEXT) | instid1(VALU_DEP_3)
	v_fma_f64 v[51:52], v[51:52], v[57:58], v[51:52]
	v_add_f64 v[26:27], v[26:27], -v[45:46]
	s_delay_alu instid0(VALU_DEP_2) | instskip(NEXT) | instid1(VALU_DEP_2)
	v_fma_f64 v[45:46], -v[28:29], v[51:52], 1.0
	v_add_f64 v[20:21], v[20:21], v[26:27]
	v_div_scale_f64 v[26:27], vcc_lo, v[43:44], v[49:50], v[43:44]
	s_delay_alu instid0(VALU_DEP_3) | instskip(SKIP_1) | instid1(VALU_DEP_4)
	v_fma_f64 v[41:42], v[51:52], v[45:46], v[51:52]
	v_add_f64 v[45:46], v[30:31], v[39:40]
	v_add_f64 v[20:21], v[24:25], v[20:21]
	s_delay_alu instid0(VALU_DEP_3) | instskip(NEXT) | instid1(VALU_DEP_3)
	v_mul_f64 v[24:25], v[26:27], v[41:42]
	v_add_f64 v[30:31], v[45:46], -v[30:31]
	s_delay_alu instid0(VALU_DEP_3) | instskip(NEXT) | instid1(VALU_DEP_3)
	v_add_f64 v[20:21], v[53:54], v[20:21]
	v_fma_f64 v[26:27], -v[28:29], v[24:25], v[26:27]
	s_delay_alu instid0(VALU_DEP_3) | instskip(NEXT) | instid1(VALU_DEP_3)
	v_add_f64 v[28:29], v[39:40], -v[30:31]
	v_mul_f64 v[20:21], v[22:23], v[20:21]
	s_delay_alu instid0(VALU_DEP_3) | instskip(SKIP_1) | instid1(VALU_DEP_3)
	v_div_fmas_f64 v[22:23], v[26:27], v[41:42], v[24:25]
	v_cmp_eq_f64_e32 vcc_lo, 0x7ff00000, v[18:19]
	v_add_f64 v[20:21], v[28:29], v[20:21]
	s_delay_alu instid0(VALU_DEP_3) | instskip(NEXT) | instid1(VALU_DEP_2)
	v_div_fixup_f64 v[22:23], v[22:23], v[49:50], v[43:44]
	v_add_f64 v[24:25], v[45:46], v[20:21]
	s_delay_alu instid0(VALU_DEP_2) | instskip(NEXT) | instid1(VALU_DEP_2)
	v_mul_f64 v[26:27], v[22:23], v[22:23]
	v_mul_f64 v[28:29], v[24:25], v[24:25]
	s_delay_alu instid0(VALU_DEP_2) | instskip(NEXT) | instid1(VALU_DEP_2)
	v_fma_f64 v[30:31], v[26:27], s[44:45], s[42:43]
	v_fma_f64 v[39:40], v[28:29], s[26:27], s[24:25]
	v_mul_f64 v[41:42], v[24:25], v[28:29]
	s_delay_alu instid0(VALU_DEP_3) | instskip(NEXT) | instid1(VALU_DEP_3)
	v_fma_f64 v[30:31], v[26:27], v[30:31], s[46:47]
	v_fma_f64 v[39:40], v[28:29], v[39:40], s[28:29]
	s_delay_alu instid0(VALU_DEP_2) | instskip(NEXT) | instid1(VALU_DEP_2)
	v_fma_f64 v[30:31], v[26:27], v[30:31], s[48:49]
	v_fma_f64 v[39:40], v[28:29], v[39:40], s[30:31]
	s_delay_alu instid0(VALU_DEP_2) | instskip(NEXT) | instid1(VALU_DEP_2)
	;; [unrolled: 3-line block ×4, first 2 shown]
	v_fma_f64 v[30:31], v[26:27], v[30:31], s[54:55]
	v_fma_f64 v[28:29], v[28:29], v[39:40], s[90:91]
	v_ldexp_f64 v[39:40], v[24:25], 1
	v_add_f64 v[24:25], v[24:25], -v[45:46]
	s_delay_alu instid0(VALU_DEP_4) | instskip(NEXT) | instid1(VALU_DEP_4)
	v_fma_f64 v[30:31], v[26:27], v[30:31], s[56:57]
	v_mul_f64 v[28:29], v[41:42], v[28:29]
	v_cvt_f64_i32_e32 v[41:42], v17
	s_delay_alu instid0(VALU_DEP_4) | instskip(NEXT) | instid1(VALU_DEP_4)
	v_add_f64 v[20:21], v[20:21], -v[24:25]
	v_fma_f64 v[30:31], v[26:27], v[30:31], s[58:59]
	v_ashrrev_i32_e32 v17, 31, v10
	s_delay_alu instid0(VALU_DEP_1) | instskip(SKIP_4) | instid1(VALU_DEP_4)
	v_and_b32_e32 v10, 0x400921fb, v17
	v_add_f64 v[43:44], v[39:40], v[28:29]
	v_mul_f64 v[45:46], v[41:42], s[38:39]
	v_ldexp_f64 v[20:21], v[20:21], 1
	v_fma_f64 v[30:31], v[26:27], v[30:31], s[60:61]
	v_add_f64 v[24:25], v[43:44], -v[39:40]
	s_delay_alu instid0(VALU_DEP_4) | instskip(NEXT) | instid1(VALU_DEP_3)
	v_fma_f64 v[39:40], v[41:42], s[38:39], -v[45:46]
	v_fma_f64 v[30:31], v[26:27], v[30:31], s[62:63]
	s_delay_alu instid0(VALU_DEP_3) | instskip(NEXT) | instid1(VALU_DEP_2)
	v_add_f64 v[24:25], v[28:29], -v[24:25]
	v_fma_f64 v[28:29], v[26:27], v[30:31], s[64:65]
	s_delay_alu instid0(VALU_DEP_4) | instskip(NEXT) | instid1(VALU_DEP_3)
	v_fma_f64 v[30:31], v[41:42], s[40:41], v[39:40]
	v_add_f64 v[20:21], v[20:21], v[24:25]
	s_delay_alu instid0(VALU_DEP_3) | instskip(NEXT) | instid1(VALU_DEP_3)
	v_fma_f64 v[24:25], v[26:27], v[28:29], s[66:67]
	v_add_f64 v[28:29], v[45:46], v[30:31]
	s_delay_alu instid0(VALU_DEP_3) | instskip(NEXT) | instid1(VALU_DEP_3)
	v_add_f64 v[39:40], v[43:44], v[20:21]
	v_fma_f64 v[24:25], v[26:27], v[24:25], s[68:69]
	s_delay_alu instid0(VALU_DEP_3) | instskip(NEXT) | instid1(VALU_DEP_3)
	v_add_f64 v[45:46], v[28:29], -v[45:46]
	v_add_f64 v[41:42], v[28:29], v[39:40]
	v_add_f64 v[43:44], v[39:40], -v[43:44]
	s_delay_alu instid0(VALU_DEP_4) | instskip(NEXT) | instid1(VALU_DEP_4)
	v_fma_f64 v[24:25], v[26:27], v[24:25], s[70:71]
	v_add_f64 v[30:31], v[30:31], -v[45:46]
	s_delay_alu instid0(VALU_DEP_4) | instskip(NEXT) | instid1(VALU_DEP_4)
	v_add_f64 v[47:48], v[41:42], -v[28:29]
	v_add_f64 v[20:21], v[20:21], -v[43:44]
	s_delay_alu instid0(VALU_DEP_4) | instskip(NEXT) | instid1(VALU_DEP_3)
	v_fma_f64 v[24:25], v[26:27], v[24:25], s[72:73]
	v_add_f64 v[49:50], v[41:42], -v[47:48]
	v_add_f64 v[39:40], v[39:40], -v[47:48]
	s_delay_alu instid0(VALU_DEP_4) | instskip(NEXT) | instid1(VALU_DEP_4)
	v_add_f64 v[43:44], v[30:31], v[20:21]
	v_fma_f64 v[24:25], v[26:27], v[24:25], s[74:75]
	s_delay_alu instid0(VALU_DEP_4) | instskip(NEXT) | instid1(VALU_DEP_2)
	v_add_f64 v[28:29], v[28:29], -v[49:50]
	v_fma_f64 v[24:25], v[26:27], v[24:25], s[76:77]
	s_delay_alu instid0(VALU_DEP_2) | instskip(SKIP_1) | instid1(VALU_DEP_3)
	v_add_f64 v[28:29], v[39:40], v[28:29]
	v_add_f64 v[39:40], v[43:44], -v[30:31]
	v_fma_f64 v[24:25], v[26:27], v[24:25], s[78:79]
	s_delay_alu instid0(VALU_DEP_3) | instskip(NEXT) | instid1(VALU_DEP_3)
	v_add_f64 v[28:29], v[43:44], v[28:29]
	v_add_f64 v[43:44], v[43:44], -v[39:40]
	v_add_f64 v[20:21], v[20:21], -v[39:40]
	s_delay_alu instid0(VALU_DEP_4) | instskip(NEXT) | instid1(VALU_DEP_4)
	v_fma_f64 v[24:25], v[26:27], v[24:25], s[80:81]
	v_add_f64 v[45:46], v[41:42], v[28:29]
	s_delay_alu instid0(VALU_DEP_2) | instskip(SKIP_1) | instid1(VALU_DEP_3)
	v_mul_f64 v[24:25], v[26:27], v[24:25]
	v_add_f64 v[26:27], v[30:31], -v[43:44]
	v_add_f64 v[30:31], v[45:46], -v[41:42]
	s_delay_alu instid0(VALU_DEP_3) | instskip(NEXT) | instid1(VALU_DEP_3)
	v_fma_f64 v[22:23], v[22:23], v[24:25], v[22:23]
	v_add_f64 v[20:21], v[20:21], v[26:27]
	s_delay_alu instid0(VALU_DEP_3) | instskip(NEXT) | instid1(VALU_DEP_3)
	v_add_f64 v[24:25], v[28:29], -v[30:31]
	v_add_f64 v[26:27], -v[22:23], s[82:83]
	s_delay_alu instid0(VALU_DEP_2) | instskip(NEXT) | instid1(VALU_DEP_2)
	v_add_f64 v[20:21], v[20:21], v[24:25]
	v_cndmask_b32_e64 v23, v23, v27, s2
	s_delay_alu instid0(VALU_DEP_3) | instskip(SKIP_1) | instid1(VALU_DEP_2)
	v_cndmask_b32_e64 v22, v22, v26, s2
	v_cndmask_b32_e64 v26, 0x54442d18, v55, s3
	v_add_f64 v[24:25], -v[22:23], s[12:13]
	v_add_f64 v[20:21], v[45:46], v[20:21]
	v_and_b32_e32 v27, 0x54442d18, v17
	s_delay_alu instid0(VALU_DEP_3) | instskip(NEXT) | instid1(VALU_DEP_4)
	v_cndmask_b32_e64 v24, v22, v24, s3
	v_cndmask_b32_e64 v17, v23, v25, s3
	v_cmp_nge_f64_e64 s3, -1.0, v[18:19]
	v_dual_cndmask_b32 v20, v20, v18 :: v_dual_cndmask_b32 v21, v21, v19
	v_cmp_eq_f64_e32 vcc_lo, 0, v[11:12]
	s_delay_alu instid0(VALU_DEP_2) | instskip(SKIP_2) | instid1(VALU_DEP_3)
	v_mul_f64 v[21:22], v[20:21], 0.5
	v_dual_cndmask_b32 v23, v24, v27 :: v_dual_cndmask_b32 v10, v17, v10
	v_cmp_ngt_f64_e32 vcc_lo, -1.0, v[18:19]
	v_cndmask_b32_e64 v17, 0, v21, s3
	v_cmp_neq_f64_e64 s3, -1.0, v[18:19]
	v_cndmask_b32_e32 v22, 0x7ff80000, v22, vcc_lo
	s_and_b32 vcc_lo, s5, s4
	v_dual_cndmask_b32 v20, v10, v9 :: v_dual_cndmask_b32 v19, v23, v26
	s_delay_alu instid0(VALU_DEP_2)
	v_cndmask_b32_e64 v18, 0xfff00000, v22, s3
.LBB168_18:                             ;   in Loop: Header=BB168_5 Depth=1
	s_or_b32 exec_lo, exec_lo, s103
.LBB168_19:                             ;   in Loop: Header=BB168_5 Depth=1
	s_delay_alu instid0(SALU_CYCLE_1)
	s_or_b32 exec_lo, exec_lo, s102
.LBB168_20:                             ;   in Loop: Header=BB168_5 Depth=1
	s_and_not1_saveexec_b32 s5, s101
	s_cbranch_execz .LBB168_22
; %bb.21:                               ;   in Loop: Header=BB168_5 Depth=1
	v_max_f64 v[17:18], |v[11:12]|, |v[11:12]|
	v_max_f64 v[19:20], |v[9:10]|, |v[9:10]|
	v_cmp_class_f64_e64 s6, v[9:10], 0x204
	v_cmp_class_f64_e64 s7, v[11:12], 0x204
	s_mov_b32 s91, s23
	s_mov_b32 s12, s82
	v_cmp_eq_f64_e64 s4, 0, v[11:12]
	s_delay_alu instid0(VALU_DEP_4) | instskip(SKIP_1) | instid1(VALU_DEP_4)
	v_max_f64 v[21:22], v[19:20], v[17:18]
	v_min_f64 v[17:18], v[19:20], v[17:18]
	s_or_b32 s8, s6, s7
	s_delay_alu instid0(VALU_DEP_2) | instskip(NEXT) | instid1(VALU_DEP_1)
	v_frexp_exp_i32_f64_e32 v31, v[21:22]
	v_sub_nc_u32_e32 v25, 0, v31
	s_delay_alu instid0(VALU_DEP_1) | instskip(SKIP_1) | instid1(VALU_DEP_2)
	v_ldexp_f64 v[23:24], |v[11:12]|, v25
	v_ldexp_f64 v[25:26], |v[9:10]|, v25
	v_mul_f64 v[23:24], v[23:24], v[23:24]
	s_delay_alu instid0(VALU_DEP_1) | instskip(NEXT) | instid1(VALU_DEP_1)
	v_fma_f64 v[23:24], v[25:26], v[25:26], v[23:24]
	v_rsq_f64_e32 v[25:26], v[23:24]
	v_cmp_eq_f64_e32 vcc_lo, 0, v[23:24]
	s_waitcnt_depctr 0xfff
	v_mul_f64 v[27:28], v[23:24], v[25:26]
	v_mul_f64 v[25:26], v[25:26], 0.5
	s_delay_alu instid0(VALU_DEP_1) | instskip(NEXT) | instid1(VALU_DEP_1)
	v_fma_f64 v[29:30], -v[25:26], v[27:28], 0.5
	v_fma_f64 v[27:28], v[27:28], v[29:30], v[27:28]
	v_fma_f64 v[25:26], v[25:26], v[29:30], v[25:26]
	s_delay_alu instid0(VALU_DEP_2) | instskip(NEXT) | instid1(VALU_DEP_1)
	v_fma_f64 v[29:30], -v[27:28], v[27:28], v[23:24]
	v_fma_f64 v[25:26], v[29:30], v[25:26], v[27:28]
	s_delay_alu instid0(VALU_DEP_1) | instskip(SKIP_1) | instid1(VALU_DEP_2)
	v_dual_cndmask_b32 v24, v26, v24 :: v_dual_cndmask_b32 v23, v25, v23
	v_div_scale_f64 v[51:52], vcc_lo, v[17:18], v[21:22], v[17:18]
	v_ldexp_f64 v[23:24], v[23:24], v31
	s_delay_alu instid0(VALU_DEP_1) | instskip(NEXT) | instid1(VALU_DEP_2)
	v_cndmask_b32_e64 v26, v24, 0x7ff00000, s8
	v_cndmask_b32_e64 v25, v23, 0, s8
	s_delay_alu instid0(VALU_DEP_1) | instskip(SKIP_1) | instid1(VALU_DEP_2)
	v_frexp_mant_f64_e32 v[27:28], v[25:26]
	v_frexp_exp_i32_f64_e32 v9, v[25:26]
	v_cmp_gt_f64_e64 s3, s[22:23], v[27:28]
	s_delay_alu instid0(VALU_DEP_1) | instskip(NEXT) | instid1(VALU_DEP_1)
	v_cndmask_b32_e64 v34, 0x3ff00000, 2.0, s3
	v_mul_f64 v[27:28], v[27:28], v[33:34]
	s_delay_alu instid0(VALU_DEP_1) | instskip(SKIP_1) | instid1(VALU_DEP_2)
	v_add_f64 v[29:30], v[27:28], 1.0
	v_add_f64 v[41:42], v[27:28], -1.0
	v_rcp_f64_e32 v[31:32], v[29:30]
	v_add_f64 v[43:44], v[29:30], -1.0
	s_delay_alu instid0(VALU_DEP_1) | instskip(SKIP_2) | instid1(VALU_DEP_1)
	v_add_f64 v[27:28], v[27:28], -v[43:44]
	s_waitcnt_depctr 0xfff
	v_fma_f64 v[39:40], -v[29:30], v[31:32], 1.0
	v_fma_f64 v[31:32], v[39:40], v[31:32], v[31:32]
	s_delay_alu instid0(VALU_DEP_1) | instskip(NEXT) | instid1(VALU_DEP_1)
	v_fma_f64 v[39:40], -v[29:30], v[31:32], 1.0
	v_fma_f64 v[31:32], v[39:40], v[31:32], v[31:32]
	v_div_scale_f64 v[39:40], null, v[21:22], v[21:22], v[17:18]
	s_delay_alu instid0(VALU_DEP_2) | instskip(NEXT) | instid1(VALU_DEP_2)
	v_mul_f64 v[19:20], v[41:42], v[31:32]
	v_rcp_f64_e32 v[47:48], v[39:40]
	s_delay_alu instid0(VALU_DEP_1) | instskip(SKIP_3) | instid1(VALU_DEP_1)
	v_mul_f64 v[45:46], v[29:30], v[19:20]
	s_waitcnt_depctr 0xfff
	v_fma_f64 v[43:44], -v[39:40], v[47:48], 1.0
	v_fma_f64 v[29:30], v[19:20], v[29:30], -v[45:46]
	v_fma_f64 v[27:28], v[19:20], v[27:28], v[29:30]
	s_delay_alu instid0(VALU_DEP_3) | instskip(NEXT) | instid1(VALU_DEP_2)
	v_fma_f64 v[29:30], v[47:48], v[43:44], v[47:48]
	v_add_f64 v[43:44], v[45:46], v[27:28]
	s_delay_alu instid0(VALU_DEP_2) | instskip(NEXT) | instid1(VALU_DEP_2)
	v_fma_f64 v[47:48], -v[39:40], v[29:30], 1.0
	v_add_f64 v[49:50], v[41:42], -v[43:44]
	s_delay_alu instid0(VALU_DEP_2) | instskip(SKIP_1) | instid1(VALU_DEP_3)
	v_fma_f64 v[29:30], v[29:30], v[47:48], v[29:30]
	v_add_f64 v[45:46], v[43:44], -v[45:46]
	v_add_f64 v[41:42], v[41:42], -v[49:50]
	s_delay_alu instid0(VALU_DEP_3) | instskip(NEXT) | instid1(VALU_DEP_3)
	v_mul_f64 v[47:48], v[51:52], v[29:30]
	v_add_f64 v[27:28], v[45:46], -v[27:28]
	s_delay_alu instid0(VALU_DEP_3) | instskip(NEXT) | instid1(VALU_DEP_3)
	v_add_f64 v[41:42], v[41:42], -v[43:44]
	v_fma_f64 v[39:40], -v[39:40], v[47:48], v[51:52]
	s_delay_alu instid0(VALU_DEP_2) | instskip(NEXT) | instid1(VALU_DEP_2)
	v_add_f64 v[27:28], v[27:28], v[41:42]
	v_div_fmas_f64 v[29:30], v[39:40], v[29:30], v[47:48]
	v_subrev_co_ci_u32_e64 v9, vcc_lo, 0, v9, s3
	v_cmp_class_f64_e64 s3, v[23:24], 0x204
	v_cmp_gt_i32_e32 vcc_lo, 0, v10
	v_add_f64 v[27:28], v[49:50], v[27:28]
	v_div_fixup_f64 v[17:18], v[29:30], v[21:22], v[17:18]
	s_delay_alu instid0(VALU_DEP_2) | instskip(NEXT) | instid1(VALU_DEP_2)
	v_mul_f64 v[21:22], v[31:32], v[27:28]
	v_mul_f64 v[27:28], v[17:18], v[17:18]
	s_delay_alu instid0(VALU_DEP_2) | instskip(NEXT) | instid1(VALU_DEP_2)
	v_add_f64 v[29:30], v[19:20], v[21:22]
	v_fma_f64 v[31:32], v[27:28], s[44:45], s[42:43]
	s_delay_alu instid0(VALU_DEP_2) | instskip(NEXT) | instid1(VALU_DEP_2)
	v_mul_f64 v[39:40], v[29:30], v[29:30]
	v_fma_f64 v[31:32], v[27:28], v[31:32], s[46:47]
	v_add_f64 v[19:20], v[29:30], -v[19:20]
	s_delay_alu instid0(VALU_DEP_3) | instskip(NEXT) | instid1(VALU_DEP_3)
	v_fma_f64 v[41:42], v[39:40], s[26:27], s[24:25]
	v_fma_f64 v[31:32], v[27:28], v[31:32], s[48:49]
	v_mul_f64 v[43:44], v[29:30], v[39:40]
	s_delay_alu instid0(VALU_DEP_4) | instskip(NEXT) | instid1(VALU_DEP_4)
	v_add_f64 v[19:20], v[21:22], -v[19:20]
	v_fma_f64 v[41:42], v[39:40], v[41:42], s[28:29]
	s_delay_alu instid0(VALU_DEP_4) | instskip(NEXT) | instid1(VALU_DEP_3)
	v_fma_f64 v[31:32], v[27:28], v[31:32], s[50:51]
	v_ldexp_f64 v[19:20], v[19:20], 1
	s_delay_alu instid0(VALU_DEP_3) | instskip(NEXT) | instid1(VALU_DEP_3)
	v_fma_f64 v[41:42], v[39:40], v[41:42], s[30:31]
	v_fma_f64 v[31:32], v[27:28], v[31:32], s[52:53]
	s_delay_alu instid0(VALU_DEP_2) | instskip(NEXT) | instid1(VALU_DEP_2)
	v_fma_f64 v[41:42], v[39:40], v[41:42], s[34:35]
	v_fma_f64 v[31:32], v[27:28], v[31:32], s[54:55]
	s_delay_alu instid0(VALU_DEP_2) | instskip(NEXT) | instid1(VALU_DEP_2)
	;; [unrolled: 3-line block ×3, first 2 shown]
	v_fma_f64 v[39:40], v[39:40], v[41:42], s[90:91]
	v_fma_f64 v[31:32], v[27:28], v[31:32], s[58:59]
	v_ldexp_f64 v[41:42], v[29:30], 1
	s_delay_alu instid0(VALU_DEP_3) | instskip(NEXT) | instid1(VALU_DEP_3)
	v_mul_f64 v[39:40], v[43:44], v[39:40]
	v_fma_f64 v[31:32], v[27:28], v[31:32], s[60:61]
	v_cvt_f64_i32_e32 v[43:44], v9
	v_ashrrev_i32_e32 v9, 31, v10
	v_cndmask_b32_e32 v10, 0x54442d18, v55, vcc_lo
	v_add_f64 v[29:30], v[41:42], v[39:40]
	v_fma_f64 v[31:32], v[27:28], v[31:32], s[62:63]
	v_mul_f64 v[45:46], v[43:44], s[38:39]
	s_delay_alu instid0(VALU_DEP_3) | instskip(NEXT) | instid1(VALU_DEP_3)
	v_add_f64 v[21:22], v[29:30], -v[41:42]
	v_fma_f64 v[31:32], v[27:28], v[31:32], s[64:65]
	s_delay_alu instid0(VALU_DEP_3) | instskip(NEXT) | instid1(VALU_DEP_3)
	v_fma_f64 v[41:42], v[43:44], s[38:39], -v[45:46]
	v_add_f64 v[21:22], v[39:40], -v[21:22]
	s_delay_alu instid0(VALU_DEP_3) | instskip(NEXT) | instid1(VALU_DEP_3)
	v_fma_f64 v[31:32], v[27:28], v[31:32], s[66:67]
	v_fma_f64 v[39:40], v[43:44], s[40:41], v[41:42]
	s_delay_alu instid0(VALU_DEP_3) | instskip(NEXT) | instid1(VALU_DEP_3)
	v_add_f64 v[19:20], v[19:20], v[21:22]
	v_fma_f64 v[21:22], v[27:28], v[31:32], s[68:69]
	s_delay_alu instid0(VALU_DEP_3) | instskip(NEXT) | instid1(VALU_DEP_3)
	v_add_f64 v[31:32], v[45:46], v[39:40]
	v_add_f64 v[41:42], v[29:30], v[19:20]
	s_delay_alu instid0(VALU_DEP_3) | instskip(NEXT) | instid1(VALU_DEP_3)
	v_fma_f64 v[21:22], v[27:28], v[21:22], s[70:71]
	v_add_f64 v[45:46], v[31:32], -v[45:46]
	s_delay_alu instid0(VALU_DEP_3) | instskip(NEXT) | instid1(VALU_DEP_3)
	v_add_f64 v[43:44], v[31:32], v[41:42]
	v_fma_f64 v[21:22], v[27:28], v[21:22], s[72:73]
	v_add_f64 v[29:30], v[41:42], -v[29:30]
	s_delay_alu instid0(VALU_DEP_4) | instskip(NEXT) | instid1(VALU_DEP_4)
	v_add_f64 v[39:40], v[39:40], -v[45:46]
	v_add_f64 v[47:48], v[43:44], -v[31:32]
	s_delay_alu instid0(VALU_DEP_4) | instskip(NEXT) | instid1(VALU_DEP_4)
	v_fma_f64 v[21:22], v[27:28], v[21:22], s[74:75]
	v_add_f64 v[19:20], v[19:20], -v[29:30]
	s_delay_alu instid0(VALU_DEP_3) | instskip(NEXT) | instid1(VALU_DEP_3)
	v_add_f64 v[49:50], v[43:44], -v[47:48]
	v_fma_f64 v[21:22], v[27:28], v[21:22], s[76:77]
	v_add_f64 v[29:30], v[41:42], -v[47:48]
	s_delay_alu instid0(VALU_DEP_4) | instskip(NEXT) | instid1(VALU_DEP_4)
	v_add_f64 v[41:42], v[39:40], v[19:20]
	v_add_f64 v[31:32], v[31:32], -v[49:50]
	s_delay_alu instid0(VALU_DEP_4) | instskip(NEXT) | instid1(VALU_DEP_2)
	v_fma_f64 v[21:22], v[27:28], v[21:22], s[78:79]
	v_add_f64 v[29:30], v[29:30], v[31:32]
	s_delay_alu instid0(VALU_DEP_2) | instskip(SKIP_1) | instid1(VALU_DEP_3)
	v_fma_f64 v[21:22], v[27:28], v[21:22], s[80:81]
	v_add_f64 v[31:32], v[41:42], -v[39:40]
	v_add_f64 v[29:30], v[41:42], v[29:30]
	s_delay_alu instid0(VALU_DEP_3) | instskip(NEXT) | instid1(VALU_DEP_3)
	v_mul_f64 v[21:22], v[27:28], v[21:22]
	v_add_f64 v[27:28], v[41:42], -v[31:32]
	v_add_f64 v[19:20], v[19:20], -v[31:32]
	s_delay_alu instid0(VALU_DEP_4) | instskip(NEXT) | instid1(VALU_DEP_4)
	v_add_f64 v[41:42], v[43:44], v[29:30]
	v_fma_f64 v[17:18], v[17:18], v[21:22], v[17:18]
	s_delay_alu instid0(VALU_DEP_4) | instskip(NEXT) | instid1(VALU_DEP_3)
	v_add_f64 v[21:22], v[39:40], -v[27:28]
	v_add_f64 v[27:28], v[41:42], -v[43:44]
	s_delay_alu instid0(VALU_DEP_3) | instskip(NEXT) | instid1(VALU_DEP_3)
	v_add_f64 v[31:32], -v[17:18], s[82:83]
	v_add_f64 v[19:20], v[19:20], v[21:22]
	s_delay_alu instid0(VALU_DEP_3) | instskip(SKIP_1) | instid1(VALU_DEP_4)
	v_add_f64 v[21:22], v[29:30], -v[27:28]
	v_and_b32_e32 v27, 0x54442d18, v9
	v_cndmask_b32_e64 v18, v18, v32, s2
	v_cndmask_b32_e64 v17, v17, v31, s2
	v_and_b32_e32 v9, 0x400921fb, v9
	v_add_f64 v[19:20], v[19:20], v[21:22]
	s_delay_alu instid0(VALU_DEP_3) | instskip(NEXT) | instid1(VALU_DEP_2)
	v_add_f64 v[21:22], -v[17:18], s[12:13]
	v_add_f64 v[19:20], v[41:42], v[19:20]
	s_delay_alu instid0(VALU_DEP_2) | instskip(SKIP_2) | instid1(VALU_DEP_3)
	v_dual_cndmask_b32 v17, v17, v21 :: v_dual_cndmask_b32 v18, v18, v22
	v_cndmask_b32_e32 v21, 0x3fe921fb, v56, vcc_lo
	v_cmp_ngt_f64_e32 vcc_lo, 0, v[25:26]
	v_cndmask_b32_e64 v22, v17, v27, s4
	s_delay_alu instid0(VALU_DEP_4) | instskip(NEXT) | instid1(VALU_DEP_4)
	v_cndmask_b32_e64 v9, v18, v9, s4
	v_bfi_b32 v21, 0x7fffffff, v21, v12
	v_cndmask_b32_e64 v20, v20, v24, s3
	v_cndmask_b32_e64 v19, v19, v23, s3
	v_cmp_nge_f64_e64 s3, 0, v[25:26]
	s_delay_alu instid0(VALU_DEP_3) | instskip(NEXT) | instid1(VALU_DEP_3)
	v_cndmask_b32_e64 v20, v20, 0x7ff00000, s8
	v_cndmask_b32_e64 v17, v19, 0, s8
	s_delay_alu instid0(VALU_DEP_2) | instskip(SKIP_2) | instid1(VALU_DEP_3)
	v_cndmask_b32_e32 v18, 0x7ff80000, v20, vcc_lo
	s_and_b32 vcc_lo, s6, s7
	v_dual_cndmask_b32 v20, v9, v21 :: v_dual_cndmask_b32 v19, v22, v10
	v_cndmask_b32_e64 v17, 0, v17, s3
	v_cmp_neq_f64_e64 s3, 0, v[25:26]
	s_delay_alu instid0(VALU_DEP_1)
	v_cndmask_b32_e64 v18, 0xfff00000, v18, s3
.LBB168_22:                             ;   in Loop: Header=BB168_5 Depth=1
	s_or_b32 exec_lo, exec_lo, s5
                                        ; implicit-def: $vgpr21_vgpr22
.LBB168_23:                             ;   in Loop: Header=BB168_5 Depth=1
	s_and_not1_saveexec_b32 s5, s97
	s_cbranch_execz .LBB168_29
; %bb.24:                               ;   in Loop: Header=BB168_5 Depth=1
                                        ; implicit-def: $vgpr17_vgpr18
	s_mov_b32 s3, exec_lo
	v_cmpx_ngt_f64_e32 s[86:87], v[21:22]
	s_xor_b32 s6, exec_lo, s3
	s_cbranch_execz .LBB168_26
; %bb.25:                               ;   in Loop: Header=BB168_5 Depth=1
	v_mul_f64 v[17:18], v[21:22], v[21:22]
	s_mov_b32 s91, s23
	s_mov_b32 s12, s82
	v_cmp_eq_f64_e64 s4, 0, v[11:12]
	v_cmp_class_f64_e64 s7, v[11:12], 0x204
	v_cmp_class_f64_e64 s8, v[9:10], 0x204
	v_cmp_gt_i32_e64 s3, 0, v10
	v_add_f64 v[19:20], v[17:18], 1.0
	s_delay_alu instid0(VALU_DEP_1) | instskip(SKIP_2) | instid1(VALU_DEP_3)
	v_frexp_mant_f64_e32 v[21:22], v[19:20]
	v_frexp_exp_i32_f64_e32 v25, v[19:20]
	v_add_f64 v[23:24], v[19:20], -1.0
	v_cmp_gt_f64_e32 vcc_lo, s[22:23], v[21:22]
	s_delay_alu instid0(VALU_DEP_2) | instskip(SKIP_2) | instid1(VALU_DEP_3)
	v_add_f64 v[21:22], v[23:24], -v[19:20]
	v_add_f64 v[23:24], v[17:18], -v[23:24]
	v_subrev_co_ci_u32_e32 v34, vcc_lo, 0, v25, vcc_lo
	v_add_f64 v[21:22], v[21:22], 1.0
	s_delay_alu instid0(VALU_DEP_2) | instskip(NEXT) | instid1(VALU_DEP_1)
	v_sub_nc_u32_e32 v27, 0, v34
	v_ldexp_f64 v[19:20], v[19:20], v27
	s_delay_alu instid0(VALU_DEP_3) | instskip(NEXT) | instid1(VALU_DEP_2)
	v_add_f64 v[21:22], v[23:24], v[21:22]
	v_add_f64 v[25:26], v[19:20], 1.0
	v_add_f64 v[31:32], v[19:20], -1.0
	s_delay_alu instid0(VALU_DEP_3) | instskip(NEXT) | instid1(VALU_DEP_3)
	v_ldexp_f64 v[21:22], v[21:22], v27
	v_add_f64 v[23:24], v[25:26], -1.0
	s_delay_alu instid0(VALU_DEP_3) | instskip(NEXT) | instid1(VALU_DEP_2)
	v_add_f64 v[39:40], v[31:32], 1.0
	v_add_f64 v[23:24], v[19:20], -v[23:24]
	s_delay_alu instid0(VALU_DEP_2) | instskip(NEXT) | instid1(VALU_DEP_2)
	v_add_f64 v[19:20], v[19:20], -v[39:40]
	v_add_f64 v[23:24], v[21:22], v[23:24]
	s_delay_alu instid0(VALU_DEP_2) | instskip(NEXT) | instid1(VALU_DEP_2)
	v_add_f64 v[19:20], v[21:22], v[19:20]
	v_add_f64 v[27:28], v[25:26], v[23:24]
	s_delay_alu instid0(VALU_DEP_2) | instskip(NEXT) | instid1(VALU_DEP_2)
	v_add_f64 v[39:40], v[31:32], v[19:20]
	v_rcp_f64_e32 v[29:30], v[27:28]
	v_add_f64 v[25:26], v[25:26], -v[27:28]
	s_delay_alu instid0(VALU_DEP_2) | instskip(NEXT) | instid1(VALU_DEP_2)
	v_add_f64 v[31:32], v[31:32], -v[39:40]
	v_add_f64 v[23:24], v[23:24], v[25:26]
	s_waitcnt_depctr 0xfff
	v_fma_f64 v[41:42], -v[27:28], v[29:30], 1.0
	v_add_f64 v[19:20], v[19:20], v[31:32]
	s_delay_alu instid0(VALU_DEP_2) | instskip(NEXT) | instid1(VALU_DEP_1)
	v_fma_f64 v[29:30], v[41:42], v[29:30], v[29:30]
	v_fma_f64 v[21:22], -v[27:28], v[29:30], 1.0
	s_delay_alu instid0(VALU_DEP_1) | instskip(NEXT) | instid1(VALU_DEP_1)
	v_fma_f64 v[21:22], v[21:22], v[29:30], v[29:30]
	v_mul_f64 v[29:30], v[39:40], v[21:22]
	s_delay_alu instid0(VALU_DEP_1) | instskip(NEXT) | instid1(VALU_DEP_1)
	v_mul_f64 v[41:42], v[27:28], v[29:30]
	v_fma_f64 v[25:26], v[29:30], v[27:28], -v[41:42]
	s_delay_alu instid0(VALU_DEP_1) | instskip(NEXT) | instid1(VALU_DEP_1)
	v_fma_f64 v[25:26], v[29:30], v[23:24], v[25:26]
	v_add_f64 v[43:44], v[41:42], v[25:26]
	s_delay_alu instid0(VALU_DEP_1) | instskip(SKIP_2) | instid1(VALU_DEP_3)
	v_add_f64 v[45:46], v[39:40], -v[43:44]
	v_add_f64 v[31:32], v[43:44], -v[41:42]
	v_max_f64 v[41:42], |v[11:12]|, |v[11:12]|
	v_add_f64 v[39:40], v[39:40], -v[45:46]
	s_delay_alu instid0(VALU_DEP_3) | instskip(NEXT) | instid1(VALU_DEP_2)
	v_add_f64 v[25:26], v[31:32], -v[25:26]
	v_add_f64 v[39:40], v[39:40], -v[43:44]
	v_max_f64 v[43:44], |v[9:10]|, |v[9:10]|
	s_delay_alu instid0(VALU_DEP_2) | instskip(NEXT) | instid1(VALU_DEP_2)
	v_add_f64 v[19:20], v[19:20], v[39:40]
	v_max_f64 v[47:48], v[43:44], v[41:42]
	v_min_f64 v[41:42], v[43:44], v[41:42]
	s_delay_alu instid0(VALU_DEP_3) | instskip(NEXT) | instid1(VALU_DEP_1)
	v_add_f64 v[19:20], v[25:26], v[19:20]
	v_add_f64 v[25:26], v[45:46], v[19:20]
	s_delay_alu instid0(VALU_DEP_1) | instskip(SKIP_1) | instid1(VALU_DEP_2)
	v_mul_f64 v[31:32], v[21:22], v[25:26]
	v_add_f64 v[45:46], v[45:46], -v[25:26]
	v_mul_f64 v[39:40], v[27:28], v[31:32]
	s_delay_alu instid0(VALU_DEP_2) | instskip(NEXT) | instid1(VALU_DEP_2)
	v_add_f64 v[19:20], v[19:20], v[45:46]
	v_fma_f64 v[27:28], v[31:32], v[27:28], -v[39:40]
	s_delay_alu instid0(VALU_DEP_1) | instskip(SKIP_1) | instid1(VALU_DEP_2)
	v_fma_f64 v[23:24], v[31:32], v[23:24], v[27:28]
	v_div_scale_f64 v[27:28], null, v[47:48], v[47:48], v[41:42]
	v_add_f64 v[43:44], v[39:40], v[23:24]
	s_delay_alu instid0(VALU_DEP_2) | instskip(NEXT) | instid1(VALU_DEP_1)
	v_rcp_f64_e32 v[49:50], v[27:28]
	v_add_f64 v[51:52], v[25:26], -v[43:44]
	v_add_f64 v[39:40], v[43:44], -v[39:40]
	s_waitcnt_depctr 0xfff
	v_fma_f64 v[53:54], -v[27:28], v[49:50], 1.0
	v_add_f64 v[25:26], v[25:26], -v[51:52]
	v_add_f64 v[23:24], v[39:40], -v[23:24]
	s_delay_alu instid0(VALU_DEP_3) | instskip(NEXT) | instid1(VALU_DEP_3)
	v_fma_f64 v[49:50], v[49:50], v[53:54], v[49:50]
	v_add_f64 v[25:26], v[25:26], -v[43:44]
	s_delay_alu instid0(VALU_DEP_2) | instskip(NEXT) | instid1(VALU_DEP_2)
	v_fma_f64 v[43:44], -v[27:28], v[49:50], 1.0
	v_add_f64 v[19:20], v[19:20], v[25:26]
	v_div_scale_f64 v[25:26], vcc_lo, v[41:42], v[47:48], v[41:42]
	s_delay_alu instid0(VALU_DEP_3) | instskip(SKIP_1) | instid1(VALU_DEP_4)
	v_fma_f64 v[39:40], v[49:50], v[43:44], v[49:50]
	v_add_f64 v[43:44], v[29:30], v[31:32]
	v_add_f64 v[19:20], v[23:24], v[19:20]
	s_delay_alu instid0(VALU_DEP_3) | instskip(NEXT) | instid1(VALU_DEP_3)
	v_mul_f64 v[23:24], v[25:26], v[39:40]
	v_add_f64 v[29:30], v[43:44], -v[29:30]
	s_delay_alu instid0(VALU_DEP_3) | instskip(NEXT) | instid1(VALU_DEP_3)
	v_add_f64 v[19:20], v[51:52], v[19:20]
	v_fma_f64 v[25:26], -v[27:28], v[23:24], v[25:26]
	s_delay_alu instid0(VALU_DEP_3) | instskip(NEXT) | instid1(VALU_DEP_3)
	v_add_f64 v[27:28], v[31:32], -v[29:30]
	v_mul_f64 v[19:20], v[21:22], v[19:20]
	s_delay_alu instid0(VALU_DEP_3) | instskip(SKIP_1) | instid1(VALU_DEP_3)
	v_div_fmas_f64 v[21:22], v[25:26], v[39:40], v[23:24]
	v_cmp_eq_f64_e32 vcc_lo, 0x7ff00000, v[17:18]
	v_add_f64 v[19:20], v[27:28], v[19:20]
	s_delay_alu instid0(VALU_DEP_3) | instskip(NEXT) | instid1(VALU_DEP_2)
	v_div_fixup_f64 v[21:22], v[21:22], v[47:48], v[41:42]
	v_add_f64 v[23:24], v[43:44], v[19:20]
	s_delay_alu instid0(VALU_DEP_2) | instskip(NEXT) | instid1(VALU_DEP_2)
	v_mul_f64 v[25:26], v[21:22], v[21:22]
	v_mul_f64 v[27:28], v[23:24], v[23:24]
	s_delay_alu instid0(VALU_DEP_2) | instskip(NEXT) | instid1(VALU_DEP_2)
	v_fma_f64 v[29:30], v[25:26], s[44:45], s[42:43]
	v_fma_f64 v[31:32], v[27:28], s[26:27], s[24:25]
	v_mul_f64 v[39:40], v[23:24], v[27:28]
	s_delay_alu instid0(VALU_DEP_3) | instskip(NEXT) | instid1(VALU_DEP_3)
	v_fma_f64 v[29:30], v[25:26], v[29:30], s[46:47]
	v_fma_f64 v[31:32], v[27:28], v[31:32], s[28:29]
	s_delay_alu instid0(VALU_DEP_2) | instskip(NEXT) | instid1(VALU_DEP_2)
	v_fma_f64 v[29:30], v[25:26], v[29:30], s[48:49]
	v_fma_f64 v[31:32], v[27:28], v[31:32], s[30:31]
	s_delay_alu instid0(VALU_DEP_2) | instskip(NEXT) | instid1(VALU_DEP_2)
	;; [unrolled: 3-line block ×4, first 2 shown]
	v_fma_f64 v[29:30], v[25:26], v[29:30], s[54:55]
	v_fma_f64 v[27:28], v[27:28], v[31:32], s[90:91]
	v_ldexp_f64 v[31:32], v[23:24], 1
	v_add_f64 v[23:24], v[23:24], -v[43:44]
	s_delay_alu instid0(VALU_DEP_4) | instskip(NEXT) | instid1(VALU_DEP_4)
	v_fma_f64 v[29:30], v[25:26], v[29:30], s[56:57]
	v_mul_f64 v[27:28], v[39:40], v[27:28]
	v_cvt_f64_i32_e32 v[39:40], v34
	s_delay_alu instid0(VALU_DEP_4) | instskip(NEXT) | instid1(VALU_DEP_4)
	v_add_f64 v[19:20], v[19:20], -v[23:24]
	v_fma_f64 v[29:30], v[25:26], v[29:30], s[58:59]
	s_delay_alu instid0(VALU_DEP_4) | instskip(NEXT) | instid1(VALU_DEP_4)
	v_add_f64 v[41:42], v[31:32], v[27:28]
	v_mul_f64 v[43:44], v[39:40], s[38:39]
	s_delay_alu instid0(VALU_DEP_4) | instskip(NEXT) | instid1(VALU_DEP_4)
	v_ldexp_f64 v[19:20], v[19:20], 1
	v_fma_f64 v[29:30], v[25:26], v[29:30], s[60:61]
	s_delay_alu instid0(VALU_DEP_4) | instskip(NEXT) | instid1(VALU_DEP_4)
	v_add_f64 v[23:24], v[41:42], -v[31:32]
	v_fma_f64 v[31:32], v[39:40], s[38:39], -v[43:44]
	s_delay_alu instid0(VALU_DEP_3) | instskip(NEXT) | instid1(VALU_DEP_3)
	v_fma_f64 v[29:30], v[25:26], v[29:30], s[62:63]
	v_add_f64 v[23:24], v[27:28], -v[23:24]
	s_delay_alu instid0(VALU_DEP_2) | instskip(NEXT) | instid1(VALU_DEP_4)
	v_fma_f64 v[27:28], v[25:26], v[29:30], s[64:65]
	v_fma_f64 v[29:30], v[39:40], s[40:41], v[31:32]
	s_delay_alu instid0(VALU_DEP_3) | instskip(NEXT) | instid1(VALU_DEP_3)
	v_add_f64 v[19:20], v[19:20], v[23:24]
	v_fma_f64 v[23:24], v[25:26], v[27:28], s[66:67]
	s_delay_alu instid0(VALU_DEP_3) | instskip(NEXT) | instid1(VALU_DEP_3)
	v_add_f64 v[27:28], v[43:44], v[29:30]
	v_add_f64 v[31:32], v[41:42], v[19:20]
	s_delay_alu instid0(VALU_DEP_3) | instskip(NEXT) | instid1(VALU_DEP_3)
	v_fma_f64 v[23:24], v[25:26], v[23:24], s[68:69]
	v_add_f64 v[43:44], v[27:28], -v[43:44]
	s_delay_alu instid0(VALU_DEP_3) | instskip(SKIP_1) | instid1(VALU_DEP_4)
	v_add_f64 v[39:40], v[27:28], v[31:32]
	v_add_f64 v[41:42], v[31:32], -v[41:42]
	v_fma_f64 v[23:24], v[25:26], v[23:24], s[70:71]
	s_delay_alu instid0(VALU_DEP_4) | instskip(NEXT) | instid1(VALU_DEP_4)
	v_add_f64 v[29:30], v[29:30], -v[43:44]
	v_add_f64 v[45:46], v[39:40], -v[27:28]
	s_delay_alu instid0(VALU_DEP_4) | instskip(NEXT) | instid1(VALU_DEP_4)
	v_add_f64 v[19:20], v[19:20], -v[41:42]
	v_fma_f64 v[23:24], v[25:26], v[23:24], s[72:73]
	s_delay_alu instid0(VALU_DEP_3) | instskip(SKIP_1) | instid1(VALU_DEP_4)
	v_add_f64 v[47:48], v[39:40], -v[45:46]
	v_add_f64 v[31:32], v[31:32], -v[45:46]
	v_add_f64 v[41:42], v[29:30], v[19:20]
	s_delay_alu instid0(VALU_DEP_4) | instskip(NEXT) | instid1(VALU_DEP_4)
	v_fma_f64 v[23:24], v[25:26], v[23:24], s[74:75]
	v_add_f64 v[27:28], v[27:28], -v[47:48]
	s_delay_alu instid0(VALU_DEP_2) | instskip(NEXT) | instid1(VALU_DEP_2)
	v_fma_f64 v[23:24], v[25:26], v[23:24], s[76:77]
	v_add_f64 v[27:28], v[31:32], v[27:28]
	v_add_f64 v[31:32], v[41:42], -v[29:30]
	s_delay_alu instid0(VALU_DEP_3) | instskip(NEXT) | instid1(VALU_DEP_3)
	v_fma_f64 v[23:24], v[25:26], v[23:24], s[78:79]
	v_add_f64 v[27:28], v[41:42], v[27:28]
	s_delay_alu instid0(VALU_DEP_3) | instskip(SKIP_1) | instid1(VALU_DEP_4)
	v_add_f64 v[41:42], v[41:42], -v[31:32]
	v_add_f64 v[19:20], v[19:20], -v[31:32]
	v_fma_f64 v[23:24], v[25:26], v[23:24], s[80:81]
	s_delay_alu instid0(VALU_DEP_4) | instskip(NEXT) | instid1(VALU_DEP_2)
	v_add_f64 v[43:44], v[39:40], v[27:28]
	v_mul_f64 v[23:24], v[25:26], v[23:24]
	v_add_f64 v[25:26], v[29:30], -v[41:42]
	s_delay_alu instid0(VALU_DEP_3) | instskip(NEXT) | instid1(VALU_DEP_3)
	v_add_f64 v[29:30], v[43:44], -v[39:40]
	v_fma_f64 v[21:22], v[21:22], v[23:24], v[21:22]
	s_delay_alu instid0(VALU_DEP_3) | instskip(NEXT) | instid1(VALU_DEP_3)
	v_add_f64 v[19:20], v[19:20], v[25:26]
	v_add_f64 v[23:24], v[27:28], -v[29:30]
	s_delay_alu instid0(VALU_DEP_3) | instskip(NEXT) | instid1(VALU_DEP_2)
	v_add_f64 v[25:26], -v[21:22], s[82:83]
	v_add_f64 v[19:20], v[19:20], v[23:24]
	s_delay_alu instid0(VALU_DEP_2) | instskip(NEXT) | instid1(VALU_DEP_3)
	v_cndmask_b32_e64 v22, v22, v26, s2
	v_cndmask_b32_e64 v21, v21, v25, s2
	v_ashrrev_i32_e32 v25, 31, v10
	v_cndmask_b32_e64 v26, 0x54442d18, v55, s3
	s_delay_alu instid0(VALU_DEP_3) | instskip(SKIP_1) | instid1(VALU_DEP_4)
	v_add_f64 v[23:24], -v[21:22], s[12:13]
	v_add_f64 v[19:20], v[43:44], v[19:20]
	v_and_b32_e32 v27, 0x54442d18, v25
	s_delay_alu instid0(VALU_DEP_3) | instskip(NEXT) | instid1(VALU_DEP_3)
	v_cndmask_b32_e64 v21, v21, v23, s3
	v_dual_cndmask_b32 v10, v20, v18 :: v_dual_cndmask_b32 v9, v19, v17
	v_cndmask_b32_e64 v19, v22, v24, s3
	s_delay_alu instid0(VALU_DEP_3) | instskip(SKIP_1) | instid1(VALU_DEP_3)
	v_cndmask_b32_e64 v21, v21, v27, s4
	s_and_b32 vcc_lo, s8, s7
	v_mul_f64 v[17:18], v[9:10], 0.5
	v_cndmask_b32_e64 v9, 0x3fe921fb, v56, s3
	v_and_b32_e32 v10, 0x400921fb, v25
	s_delay_alu instid0(VALU_DEP_2) | instskip(NEXT) | instid1(VALU_DEP_2)
	v_bfi_b32 v9, 0x7fffffff, v9, v12
	v_cndmask_b32_e64 v10, v19, v10, s4
	v_cndmask_b32_e32 v19, v21, v26, vcc_lo
                                        ; implicit-def: $vgpr21_vgpr22
	s_delay_alu instid0(VALU_DEP_2)
	v_cndmask_b32_e32 v20, v10, v9, vcc_lo
.LBB168_26:                             ;   in Loop: Header=BB168_5 Depth=1
	s_and_not1_saveexec_b32 s4, s6
	s_cbranch_execz .LBB168_28
; %bb.27:                               ;   in Loop: Header=BB168_5 Depth=1
	v_max_f64 v[17:18], |v[11:12]|, |v[11:12]|
	v_max_f64 v[19:20], |v[9:10]|, |v[9:10]|
	s_mov_b32 s12, s82
	v_cmp_eq_f64_e64 s3, 0, v[11:12]
	v_cmp_class_f64_e64 s6, v[11:12], 0x204
	v_cmp_class_f64_e64 s7, v[9:10], 0x204
	s_delay_alu instid0(VALU_DEP_4) | instskip(SKIP_1) | instid1(VALU_DEP_1)
	v_max_f64 v[23:24], v[19:20], v[17:18]
	v_min_f64 v[17:18], v[19:20], v[17:18]
	v_div_scale_f64 v[19:20], null, v[23:24], v[23:24], v[17:18]
	v_div_scale_f64 v[29:30], vcc_lo, v[17:18], v[23:24], v[17:18]
	s_delay_alu instid0(VALU_DEP_2) | instskip(SKIP_2) | instid1(VALU_DEP_1)
	v_rcp_f64_e32 v[25:26], v[19:20]
	s_waitcnt_depctr 0xfff
	v_fma_f64 v[27:28], -v[19:20], v[25:26], 1.0
	v_fma_f64 v[25:26], v[25:26], v[27:28], v[25:26]
	s_delay_alu instid0(VALU_DEP_1) | instskip(NEXT) | instid1(VALU_DEP_1)
	v_fma_f64 v[27:28], -v[19:20], v[25:26], 1.0
	v_fma_f64 v[25:26], v[25:26], v[27:28], v[25:26]
	s_delay_alu instid0(VALU_DEP_1) | instskip(NEXT) | instid1(VALU_DEP_1)
	v_mul_f64 v[27:28], v[29:30], v[25:26]
	v_fma_f64 v[19:20], -v[19:20], v[27:28], v[29:30]
	s_delay_alu instid0(VALU_DEP_1) | instskip(SKIP_2) | instid1(VALU_DEP_2)
	v_div_fmas_f64 v[19:20], v[19:20], v[25:26], v[27:28]
	v_ashrrev_i32_e32 v25, 31, v10
	v_cmp_gt_i32_e32 vcc_lo, 0, v10
	v_dual_cndmask_b32 v26, 0x54442d18, v55 :: v_dual_and_b32 v27, 0x54442d18, v25
	v_cndmask_b32_e32 v9, 0x3fe921fb, v56, vcc_lo
	v_and_b32_e32 v10, 0x400921fb, v25
	s_delay_alu instid0(VALU_DEP_2) | instskip(SKIP_1) | instid1(VALU_DEP_1)
	v_bfi_b32 v9, 0x7fffffff, v9, v12
	v_div_fixup_f64 v[17:18], v[19:20], v[23:24], v[17:18]
	v_mul_f64 v[19:20], v[17:18], v[17:18]
	s_delay_alu instid0(VALU_DEP_1) | instskip(NEXT) | instid1(VALU_DEP_1)
	v_fma_f64 v[23:24], v[19:20], s[44:45], s[42:43]
	v_fma_f64 v[23:24], v[19:20], v[23:24], s[46:47]
	s_delay_alu instid0(VALU_DEP_1) | instskip(NEXT) | instid1(VALU_DEP_1)
	v_fma_f64 v[23:24], v[19:20], v[23:24], s[48:49]
	v_fma_f64 v[23:24], v[19:20], v[23:24], s[50:51]
	;; [unrolled: 3-line block ×9, first 2 shown]
	s_delay_alu instid0(VALU_DEP_1) | instskip(NEXT) | instid1(VALU_DEP_1)
	v_fma_f64 v[23:24], v[19:20], v[23:24], s[80:81]
	v_mul_f64 v[19:20], v[19:20], v[23:24]
	s_delay_alu instid0(VALU_DEP_1) | instskip(NEXT) | instid1(VALU_DEP_1)
	v_fma_f64 v[17:18], v[17:18], v[19:20], v[17:18]
	v_add_f64 v[19:20], -v[17:18], s[82:83]
	s_delay_alu instid0(VALU_DEP_1) | instskip(NEXT) | instid1(VALU_DEP_2)
	v_cndmask_b32_e64 v20, v18, v20, s2
	v_cndmask_b32_e64 v19, v17, v19, s2
	v_mul_f64 v[17:18], v[21:22], 0.5
	s_delay_alu instid0(VALU_DEP_2) | instskip(NEXT) | instid1(VALU_DEP_2)
	v_add_f64 v[23:24], -v[19:20], s[12:13]
	v_mul_f64 v[17:18], v[21:22], v[17:18]
	s_delay_alu instid0(VALU_DEP_2) | instskip(NEXT) | instid1(VALU_DEP_1)
	v_cndmask_b32_e32 v19, v19, v23, vcc_lo
	v_cndmask_b32_e64 v19, v19, v27, s3
	s_delay_alu instid0(VALU_DEP_4) | instskip(SKIP_1) | instid1(VALU_DEP_2)
	v_cndmask_b32_e32 v20, v20, v24, vcc_lo
	s_and_b32 vcc_lo, s7, s6
	v_cndmask_b32_e32 v19, v19, v26, vcc_lo
	s_delay_alu instid0(VALU_DEP_2) | instskip(NEXT) | instid1(VALU_DEP_1)
	v_cndmask_b32_e64 v10, v20, v10, s3
	v_cndmask_b32_e32 v20, v10, v9, vcc_lo
.LBB168_28:                             ;   in Loop: Header=BB168_5 Depth=1
	s_or_b32 exec_lo, exec_lo, s4
.LBB168_29:                             ;   in Loop: Header=BB168_5 Depth=1
	s_delay_alu instid0(SALU_CYCLE_1)
	s_or_b32 exec_lo, exec_lo, s5
.LBB168_30:                             ;   in Loop: Header=BB168_5 Depth=1
	s_and_not1_saveexec_b32 s5, s96
	s_cbranch_execz .LBB168_32
; %bb.31:                               ;   in Loop: Header=BB168_5 Depth=1
	v_div_scale_f64 v[17:18], null, s[88:89], s[88:89], v[9:10]
	v_div_scale_f64 v[19:20], null, s[88:89], s[88:89], v[11:12]
	v_div_scale_f64 v[29:30], vcc_lo, v[9:10], s[88:89], v[9:10]
	v_max_f64 v[41:42], |v[9:10]|, |v[9:10]|
	s_mov_b32 s91, s23
	s_mov_b32 s12, s82
	s_delay_alu instid0(VALU_DEP_4) | instskip(NEXT) | instid1(VALU_DEP_3)
	v_rcp_f64_e32 v[21:22], v[17:18]
	v_rcp_f64_e32 v[23:24], v[19:20]
	s_waitcnt_depctr 0xfff
	v_fma_f64 v[25:26], -v[17:18], v[21:22], 1.0
	v_fma_f64 v[27:28], -v[19:20], v[23:24], 1.0
	s_delay_alu instid0(VALU_DEP_2) | instskip(NEXT) | instid1(VALU_DEP_2)
	v_fma_f64 v[21:22], v[21:22], v[25:26], v[21:22]
	v_fma_f64 v[23:24], v[23:24], v[27:28], v[23:24]
	s_delay_alu instid0(VALU_DEP_2) | instskip(NEXT) | instid1(VALU_DEP_2)
	v_fma_f64 v[25:26], -v[17:18], v[21:22], 1.0
	v_fma_f64 v[27:28], -v[19:20], v[23:24], 1.0
	s_delay_alu instid0(VALU_DEP_2) | instskip(SKIP_1) | instid1(VALU_DEP_3)
	v_fma_f64 v[21:22], v[21:22], v[25:26], v[21:22]
	v_div_scale_f64 v[25:26], s3, v[11:12], s[88:89], v[11:12]
	v_fma_f64 v[23:24], v[23:24], v[27:28], v[23:24]
	s_delay_alu instid0(VALU_DEP_3) | instskip(NEXT) | instid1(VALU_DEP_2)
	v_mul_f64 v[27:28], v[29:30], v[21:22]
	v_mul_f64 v[31:32], v[25:26], v[23:24]
	s_delay_alu instid0(VALU_DEP_2) | instskip(NEXT) | instid1(VALU_DEP_2)
	v_fma_f64 v[17:18], -v[17:18], v[27:28], v[29:30]
	v_fma_f64 v[19:20], -v[19:20], v[31:32], v[25:26]
	s_delay_alu instid0(VALU_DEP_2) | instskip(SKIP_1) | instid1(VALU_DEP_2)
	v_div_fmas_f64 v[17:18], v[17:18], v[21:22], v[27:28]
	s_mov_b32 vcc_lo, s3
	v_div_fmas_f64 v[19:20], v[19:20], v[23:24], v[31:32]
	s_delay_alu instid0(VALU_DEP_2) | instskip(NEXT) | instid1(VALU_DEP_2)
	v_div_fixup_f64 v[17:18], v[17:18], s[88:89], v[9:10]
	v_div_fixup_f64 v[19:20], v[19:20], s[88:89], v[11:12]
	s_delay_alu instid0(VALU_DEP_2) | instskip(NEXT) | instid1(VALU_DEP_2)
	v_cmp_class_f64_e64 s4, v[17:18], 0x204
	v_max_f64 v[21:22], |v[17:18]|, |v[19:20]|
	v_cmp_o_f64_e64 s3, v[17:18], v[19:20]
	v_cmp_class_f64_e64 s6, v[19:20], 0x204
	s_delay_alu instid0(VALU_DEP_3) | instskip(NEXT) | instid1(VALU_DEP_2)
	v_frexp_exp_i32_f64_e32 v29, v[21:22]
	s_or_b32 s6, s4, s6
	s_delay_alu instid0(VALU_DEP_1) | instskip(NEXT) | instid1(VALU_DEP_1)
	v_sub_nc_u32_e32 v23, 0, v29
	v_ldexp_f64 v[21:22], |v[19:20]|, v23
	v_ldexp_f64 v[23:24], |v[17:18]|, v23
	s_delay_alu instid0(VALU_DEP_2) | instskip(NEXT) | instid1(VALU_DEP_1)
	v_mul_f64 v[21:22], v[21:22], v[21:22]
	v_fma_f64 v[21:22], v[23:24], v[23:24], v[21:22]
	s_delay_alu instid0(VALU_DEP_1) | instskip(SKIP_4) | instid1(VALU_DEP_1)
	v_rsq_f64_e32 v[23:24], v[21:22]
	v_cmp_eq_f64_e32 vcc_lo, 0, v[21:22]
	s_waitcnt_depctr 0xfff
	v_mul_f64 v[25:26], v[21:22], v[23:24]
	v_mul_f64 v[23:24], v[23:24], 0.5
	v_fma_f64 v[27:28], -v[23:24], v[25:26], 0.5
	s_delay_alu instid0(VALU_DEP_1) | instskip(SKIP_1) | instid1(VALU_DEP_2)
	v_fma_f64 v[25:26], v[25:26], v[27:28], v[25:26]
	v_fma_f64 v[23:24], v[23:24], v[27:28], v[23:24]
	v_fma_f64 v[27:28], -v[25:26], v[25:26], v[21:22]
	s_delay_alu instid0(VALU_DEP_1) | instskip(NEXT) | instid1(VALU_DEP_1)
	v_fma_f64 v[23:24], v[27:28], v[23:24], v[25:26]
	v_dual_cndmask_b32 v22, v24, v22 :: v_dual_cndmask_b32 v21, v23, v21
	s_delay_alu instid0(VALU_DEP_1) | instskip(NEXT) | instid1(VALU_DEP_1)
	v_ldexp_f64 v[21:22], v[21:22], v29
	v_cndmask_b32_e64 v17, 0, v21, s3
	s_delay_alu instid0(VALU_DEP_2) | instskip(SKIP_1) | instid1(VALU_DEP_3)
	v_cndmask_b32_e64 v53, 0x7ff80000, v22, s3
	v_and_b32_e32 v22, 0x7fffffff, v22
	v_cndmask_b32_e64 v18, v17, 0, s6
	s_delay_alu instid0(VALU_DEP_3) | instskip(NEXT) | instid1(VALU_DEP_1)
	v_cndmask_b32_e64 v19, v53, 0x7ff00000, s6
	v_frexp_mant_f64_e32 v[23:24], v[18:19]
	v_frexp_exp_i32_f64_e32 v20, v[18:19]
	s_delay_alu instid0(VALU_DEP_2) | instskip(NEXT) | instid1(VALU_DEP_1)
	v_cmp_gt_f64_e64 s4, s[22:23], v[23:24]
	v_cndmask_b32_e64 v34, 0x3ff00000, 2.0, s4
	s_delay_alu instid0(VALU_DEP_1) | instskip(NEXT) | instid1(VALU_DEP_1)
	v_mul_f64 v[23:24], v[23:24], v[33:34]
	v_add_f64 v[25:26], v[23:24], 1.0
	v_add_f64 v[31:32], v[23:24], -1.0
	s_delay_alu instid0(VALU_DEP_2) | instskip(SKIP_1) | instid1(VALU_DEP_1)
	v_rcp_f64_e32 v[27:28], v[25:26]
	v_add_f64 v[43:44], v[25:26], -1.0
	v_add_f64 v[23:24], v[23:24], -v[43:44]
	s_waitcnt_depctr 0xfff
	v_fma_f64 v[29:30], -v[25:26], v[27:28], 1.0
	s_delay_alu instid0(VALU_DEP_1) | instskip(NEXT) | instid1(VALU_DEP_1)
	v_fma_f64 v[27:28], v[29:30], v[27:28], v[27:28]
	v_fma_f64 v[29:30], -v[25:26], v[27:28], 1.0
	s_delay_alu instid0(VALU_DEP_1) | instskip(SKIP_1) | instid1(VALU_DEP_2)
	v_fma_f64 v[27:28], v[29:30], v[27:28], v[27:28]
	v_max_f64 v[29:30], |v[11:12]|, |v[11:12]|
	v_mul_f64 v[39:40], v[31:32], v[27:28]
	s_delay_alu instid0(VALU_DEP_2) | instskip(SKIP_1) | instid1(VALU_DEP_3)
	v_max_f64 v[47:48], v[41:42], v[29:30]
	v_min_f64 v[29:30], v[41:42], v[29:30]
	v_mul_f64 v[45:46], v[25:26], v[39:40]
	s_delay_alu instid0(VALU_DEP_2) | instskip(NEXT) | instid1(VALU_DEP_2)
	v_div_scale_f64 v[41:42], null, v[47:48], v[47:48], v[29:30]
	v_fma_f64 v[25:26], v[39:40], v[25:26], -v[45:46]
	s_delay_alu instid0(VALU_DEP_1) | instskip(NEXT) | instid1(VALU_DEP_3)
	v_fma_f64 v[23:24], v[39:40], v[23:24], v[25:26]
	v_rcp_f64_e32 v[25:26], v[41:42]
	s_delay_alu instid0(VALU_DEP_1) | instskip(SKIP_4) | instid1(VALU_DEP_3)
	v_add_f64 v[43:44], v[45:46], v[23:24]
	s_waitcnt_depctr 0xfff
	v_fma_f64 v[49:50], -v[41:42], v[25:26], 1.0
	v_add_f64 v[51:52], v[31:32], -v[43:44]
	v_add_f64 v[45:46], v[43:44], -v[45:46]
	v_fma_f64 v[25:26], v[25:26], v[49:50], v[25:26]
	s_delay_alu instid0(VALU_DEP_3) | instskip(NEXT) | instid1(VALU_DEP_3)
	v_add_f64 v[31:32], v[31:32], -v[51:52]
	v_add_f64 v[23:24], v[45:46], -v[23:24]
	s_delay_alu instid0(VALU_DEP_3) | instskip(NEXT) | instid1(VALU_DEP_3)
	v_fma_f64 v[49:50], -v[41:42], v[25:26], 1.0
	v_add_f64 v[31:32], v[31:32], -v[43:44]
	v_div_scale_f64 v[43:44], vcc_lo, v[29:30], v[47:48], v[29:30]
	s_delay_alu instid0(VALU_DEP_3) | instskip(NEXT) | instid1(VALU_DEP_3)
	v_fma_f64 v[25:26], v[25:26], v[49:50], v[25:26]
	v_add_f64 v[23:24], v[23:24], v[31:32]
	s_delay_alu instid0(VALU_DEP_2) | instskip(NEXT) | instid1(VALU_DEP_2)
	v_mul_f64 v[31:32], v[43:44], v[25:26]
	v_add_f64 v[23:24], v[51:52], v[23:24]
	s_delay_alu instid0(VALU_DEP_2) | instskip(NEXT) | instid1(VALU_DEP_2)
	v_fma_f64 v[41:42], -v[41:42], v[31:32], v[43:44]
	v_mul_f64 v[23:24], v[27:28], v[23:24]
	s_delay_alu instid0(VALU_DEP_2)
	v_div_fmas_f64 v[25:26], v[41:42], v[25:26], v[31:32]
	v_subrev_co_ci_u32_e64 v20, vcc_lo, 0, v20, s4
	v_cmp_eq_f64_e32 vcc_lo, 0x7ff00000, v[21:22]
	v_cmp_class_f64_e64 s4, v[9:10], 0x204
	v_add_f64 v[27:28], v[39:40], v[23:24]
	v_div_fixup_f64 v[25:26], v[25:26], v[47:48], v[29:30]
	s_and_b32 vcc_lo, s3, vcc_lo
	v_cmp_class_f64_e64 s3, v[11:12], 0x204
	s_delay_alu instid0(VALU_DEP_3) | instskip(NEXT) | instid1(VALU_DEP_3)
	v_mul_f64 v[29:30], v[27:28], v[27:28]
	v_mul_f64 v[31:32], v[25:26], v[25:26]
	s_delay_alu instid0(VALU_DEP_2) | instskip(SKIP_1) | instid1(VALU_DEP_3)
	v_fma_f64 v[41:42], v[29:30], s[26:27], s[24:25]
	v_mul_f64 v[45:46], v[27:28], v[29:30]
	v_fma_f64 v[43:44], v[31:32], s[44:45], s[42:43]
	s_delay_alu instid0(VALU_DEP_3) | instskip(NEXT) | instid1(VALU_DEP_2)
	v_fma_f64 v[41:42], v[29:30], v[41:42], s[28:29]
	v_fma_f64 v[43:44], v[31:32], v[43:44], s[46:47]
	s_delay_alu instid0(VALU_DEP_2) | instskip(NEXT) | instid1(VALU_DEP_2)
	v_fma_f64 v[41:42], v[29:30], v[41:42], s[30:31]
	v_fma_f64 v[43:44], v[31:32], v[43:44], s[48:49]
	s_delay_alu instid0(VALU_DEP_2) | instskip(NEXT) | instid1(VALU_DEP_2)
	;; [unrolled: 3-line block ×4, first 2 shown]
	v_fma_f64 v[29:30], v[29:30], v[41:42], s[90:91]
	v_fma_f64 v[41:42], v[31:32], v[43:44], s[54:55]
	v_ldexp_f64 v[43:44], v[27:28], 1
	v_add_f64 v[27:28], v[27:28], -v[39:40]
	s_delay_alu instid0(VALU_DEP_4) | instskip(SKIP_2) | instid1(VALU_DEP_4)
	v_mul_f64 v[29:30], v[45:46], v[29:30]
	v_cvt_f64_i32_e32 v[45:46], v20
	v_fma_f64 v[41:42], v[31:32], v[41:42], s[56:57]
	v_add_f64 v[23:24], v[23:24], -v[27:28]
	s_delay_alu instid0(VALU_DEP_4) | instskip(NEXT) | instid1(VALU_DEP_4)
	v_add_f64 v[39:40], v[43:44], v[29:30]
	v_mul_f64 v[47:48], v[45:46], s[38:39]
	s_delay_alu instid0(VALU_DEP_4) | instskip(NEXT) | instid1(VALU_DEP_4)
	v_fma_f64 v[41:42], v[31:32], v[41:42], s[58:59]
	v_ldexp_f64 v[23:24], v[23:24], 1
	s_delay_alu instid0(VALU_DEP_4) | instskip(NEXT) | instid1(VALU_DEP_4)
	v_add_f64 v[27:28], v[39:40], -v[43:44]
	v_fma_f64 v[43:44], v[45:46], s[38:39], -v[47:48]
	s_delay_alu instid0(VALU_DEP_4) | instskip(NEXT) | instid1(VALU_DEP_3)
	v_fma_f64 v[41:42], v[31:32], v[41:42], s[60:61]
	v_add_f64 v[27:28], v[29:30], -v[27:28]
	s_delay_alu instid0(VALU_DEP_2) | instskip(NEXT) | instid1(VALU_DEP_4)
	v_fma_f64 v[29:30], v[31:32], v[41:42], s[62:63]
	v_fma_f64 v[41:42], v[45:46], s[40:41], v[43:44]
	s_delay_alu instid0(VALU_DEP_3) | instskip(NEXT) | instid1(VALU_DEP_3)
	v_add_f64 v[23:24], v[23:24], v[27:28]
	v_fma_f64 v[27:28], v[31:32], v[29:30], s[64:65]
	s_delay_alu instid0(VALU_DEP_3) | instskip(NEXT) | instid1(VALU_DEP_3)
	v_add_f64 v[29:30], v[47:48], v[41:42]
	v_add_f64 v[43:44], v[39:40], v[23:24]
	s_delay_alu instid0(VALU_DEP_3) | instskip(NEXT) | instid1(VALU_DEP_3)
	v_fma_f64 v[27:28], v[31:32], v[27:28], s[66:67]
	v_add_f64 v[47:48], v[29:30], -v[47:48]
	s_delay_alu instid0(VALU_DEP_3) | instskip(SKIP_1) | instid1(VALU_DEP_4)
	v_add_f64 v[45:46], v[29:30], v[43:44]
	v_add_f64 v[39:40], v[43:44], -v[39:40]
	v_fma_f64 v[27:28], v[31:32], v[27:28], s[68:69]
	s_delay_alu instid0(VALU_DEP_4) | instskip(NEXT) | instid1(VALU_DEP_4)
	v_add_f64 v[41:42], v[41:42], -v[47:48]
	v_add_f64 v[49:50], v[45:46], -v[29:30]
	s_delay_alu instid0(VALU_DEP_4) | instskip(NEXT) | instid1(VALU_DEP_4)
	v_add_f64 v[23:24], v[23:24], -v[39:40]
	v_fma_f64 v[27:28], v[31:32], v[27:28], s[70:71]
	s_delay_alu instid0(VALU_DEP_3) | instskip(SKIP_1) | instid1(VALU_DEP_4)
	v_add_f64 v[51:52], v[45:46], -v[49:50]
	v_add_f64 v[39:40], v[43:44], -v[49:50]
	v_add_f64 v[43:44], v[41:42], v[23:24]
	s_delay_alu instid0(VALU_DEP_4) | instskip(NEXT) | instid1(VALU_DEP_4)
	v_fma_f64 v[27:28], v[31:32], v[27:28], s[72:73]
	v_add_f64 v[29:30], v[29:30], -v[51:52]
	s_delay_alu instid0(VALU_DEP_2) | instskip(NEXT) | instid1(VALU_DEP_2)
	v_fma_f64 v[27:28], v[31:32], v[27:28], s[74:75]
	v_add_f64 v[29:30], v[39:40], v[29:30]
	v_add_f64 v[39:40], v[43:44], -v[41:42]
	s_delay_alu instid0(VALU_DEP_3) | instskip(NEXT) | instid1(VALU_DEP_3)
	v_fma_f64 v[27:28], v[31:32], v[27:28], s[76:77]
	v_add_f64 v[29:30], v[43:44], v[29:30]
	s_delay_alu instid0(VALU_DEP_3) | instskip(SKIP_1) | instid1(VALU_DEP_4)
	v_add_f64 v[43:44], v[43:44], -v[39:40]
	v_add_f64 v[23:24], v[23:24], -v[39:40]
	v_fma_f64 v[27:28], v[31:32], v[27:28], s[78:79]
	s_delay_alu instid0(VALU_DEP_4) | instskip(NEXT) | instid1(VALU_DEP_4)
	v_add_f64 v[47:48], v[45:46], v[29:30]
	v_add_f64 v[39:40], v[41:42], -v[43:44]
	s_delay_alu instid0(VALU_DEP_3) | instskip(NEXT) | instid1(VALU_DEP_3)
	v_fma_f64 v[27:28], v[31:32], v[27:28], s[80:81]
	v_add_f64 v[41:42], v[47:48], -v[45:46]
	s_delay_alu instid0(VALU_DEP_3) | instskip(NEXT) | instid1(VALU_DEP_3)
	v_add_f64 v[23:24], v[23:24], v[39:40]
	v_mul_f64 v[27:28], v[31:32], v[27:28]
	s_delay_alu instid0(VALU_DEP_3) | instskip(NEXT) | instid1(VALU_DEP_2)
	v_add_f64 v[29:30], v[29:30], -v[41:42]
	v_fma_f64 v[25:26], v[25:26], v[27:28], v[25:26]
	s_delay_alu instid0(VALU_DEP_2) | instskip(NEXT) | instid1(VALU_DEP_2)
	v_add_f64 v[23:24], v[23:24], v[29:30]
	v_add_f64 v[27:28], -v[25:26], s[82:83]
	s_delay_alu instid0(VALU_DEP_2) | instskip(NEXT) | instid1(VALU_DEP_2)
	v_add_f64 v[20:21], v[47:48], v[23:24]
	v_cndmask_b32_e64 v23, v26, v28, s2
	s_delay_alu instid0(VALU_DEP_3) | instskip(SKIP_2) | instid1(VALU_DEP_3)
	v_cndmask_b32_e64 v22, v25, v27, s2
	v_ashrrev_i32_e32 v26, 31, v10
	v_cmp_eq_f64_e64 s2, 0, v[11:12]
	v_add_f64 v[24:25], -v[22:23], s[12:13]
	v_cndmask_b32_e32 v21, v21, v53, vcc_lo
	s_delay_alu instid0(VALU_DEP_4) | instskip(SKIP_1) | instid1(VALU_DEP_2)
	v_dual_cndmask_b32 v20, v20, v17 :: v_dual_and_b32 v17, 0x54442d18, v26
	v_cmp_gt_i32_e32 vcc_lo, 0, v10
	v_add_f64 v[20:21], v[20:21], 1.0
	v_cndmask_b32_e32 v27, 0x54442d18, v55, vcc_lo
	v_dual_cndmask_b32 v22, v22, v24 :: v_dual_cndmask_b32 v23, v23, v25
	v_cndmask_b32_e32 v9, 0x3fe921fb, v56, vcc_lo
	v_cmp_ngt_f64_e32 vcc_lo, 0, v[18:19]
	s_delay_alu instid0(VALU_DEP_3) | instskip(NEXT) | instid1(VALU_DEP_3)
	v_cndmask_b32_e64 v22, v22, v17, s2
	v_bfi_b32 v9, 0x7fffffff, v9, v12
	v_cndmask_b32_e64 v21, v21, 0x7ff00000, s6
	v_cndmask_b32_e64 v17, v20, 0, s6
	s_delay_alu instid0(VALU_DEP_2) | instskip(SKIP_2) | instid1(VALU_DEP_1)
	v_cndmask_b32_e32 v21, 0x7ff80000, v21, vcc_lo
	s_and_b32 vcc_lo, s4, s3
	v_and_b32_e32 v10, 0x400921fb, v26
	v_cndmask_b32_e64 v10, v23, v10, s2
	v_cmp_nge_f64_e64 s2, 0, v[18:19]
	s_delay_alu instid0(VALU_DEP_2) | instskip(NEXT) | instid1(VALU_DEP_2)
	v_cndmask_b32_e32 v20, v10, v9, vcc_lo
	v_cndmask_b32_e64 v17, 0, v17, s2
	v_cmp_neq_f64_e64 s2, 0, v[18:19]
	v_cndmask_b32_e32 v19, v22, v27, vcc_lo
	s_delay_alu instid0(VALU_DEP_2)
	v_cndmask_b32_e64 v18, 0xfff00000, v21, s2
.LBB168_32:                             ;   in Loop: Header=BB168_5 Depth=1
	s_or_b32 exec_lo, exec_lo, s5
.LBB168_33:                             ;   in Loop: Header=BB168_5 Depth=1
	s_and_not1_saveexec_b32 s2, s95
	s_cbranch_execz .LBB168_39
; %bb.34:                               ;   in Loop: Header=BB168_5 Depth=1
	v_cmp_ngt_f64_e64 s3, 0x20000000, |v[9:10]|
	v_cmp_ngt_f64_e64 s4, 0x20000000, |v[11:12]|
                                        ; implicit-def: $vgpr21_vgpr22
	s_delay_alu instid0(VALU_DEP_1) | instskip(NEXT) | instid1(SALU_CYCLE_1)
	s_or_b32 s3, s3, s4
	s_and_saveexec_b32 s4, s3
	s_delay_alu instid0(SALU_CYCLE_1)
	s_xor_b32 s3, exec_lo, s4
; %bb.35:                               ;   in Loop: Header=BB168_5 Depth=1
	v_mul_f64 v[17:18], v[11:12], v[11:12]
	s_delay_alu instid0(VALU_DEP_1)
	v_fma_f64 v[21:22], v[9:10], v[9:10], v[17:18]
; %bb.36:                               ;   in Loop: Header=BB168_5 Depth=1
	s_and_not1_saveexec_b32 s3, s3
; %bb.37:                               ;   in Loop: Header=BB168_5 Depth=1
	v_mul_f64 v[17:18], v[11:12], 4.0
	v_mul_f64 v[9:10], v[9:10], 4.0
	s_delay_alu instid0(VALU_DEP_2) | instskip(NEXT) | instid1(VALU_DEP_1)
	v_mul_f64 v[17:18], v[17:18], v[17:18]
	v_fma_f64 v[9:10], v[9:10], v[9:10], v[17:18]
	s_delay_alu instid0(VALU_DEP_1)
	v_ldexp_f64 v[21:22], v[9:10], -4
; %bb.38:                               ;   in Loop: Header=BB168_5 Depth=1
	s_or_b32 exec_lo, exec_lo, s3
	s_delay_alu instid0(VALU_DEP_1) | instskip(SKIP_2) | instid1(VALU_DEP_2)
	v_frexp_mant_f64_e32 v[9:10], v[21:22]
	s_mov_b32 s91, s23
	v_frexp_exp_i32_f64_e32 v11, v[21:22]
	v_cmp_gt_f64_e32 vcc_lo, s[22:23], v[9:10]
	v_cndmask_b32_e64 v34, 0x3ff00000, 2.0, vcc_lo
	s_delay_alu instid0(VALU_DEP_3) | instskip(SKIP_1) | instid1(VALU_DEP_3)
	v_subrev_co_ci_u32_e32 v11, vcc_lo, 0, v11, vcc_lo
	v_cmp_class_f64_e64 vcc_lo, v[21:22], 0x204
	v_mul_f64 v[9:10], v[9:10], v[33:34]
	s_delay_alu instid0(VALU_DEP_1) | instskip(SKIP_1) | instid1(VALU_DEP_2)
	v_add_f64 v[17:18], v[9:10], 1.0
	v_add_f64 v[25:26], v[9:10], -1.0
	v_rcp_f64_e32 v[19:20], v[17:18]
	v_add_f64 v[27:28], v[17:18], -1.0
	s_delay_alu instid0(VALU_DEP_1) | instskip(SKIP_2) | instid1(VALU_DEP_1)
	v_add_f64 v[9:10], v[9:10], -v[27:28]
	s_waitcnt_depctr 0xfff
	v_fma_f64 v[23:24], -v[17:18], v[19:20], 1.0
	v_fma_f64 v[19:20], v[23:24], v[19:20], v[19:20]
	s_delay_alu instid0(VALU_DEP_1) | instskip(NEXT) | instid1(VALU_DEP_1)
	v_fma_f64 v[23:24], -v[17:18], v[19:20], 1.0
	v_fma_f64 v[19:20], v[23:24], v[19:20], v[19:20]
	s_delay_alu instid0(VALU_DEP_1) | instskip(NEXT) | instid1(VALU_DEP_1)
	v_mul_f64 v[23:24], v[25:26], v[19:20]
	v_mul_f64 v[29:30], v[17:18], v[23:24]
	s_delay_alu instid0(VALU_DEP_1) | instskip(NEXT) | instid1(VALU_DEP_1)
	v_fma_f64 v[17:18], v[23:24], v[17:18], -v[29:30]
	v_fma_f64 v[9:10], v[23:24], v[9:10], v[17:18]
	s_delay_alu instid0(VALU_DEP_1) | instskip(NEXT) | instid1(VALU_DEP_1)
	v_add_f64 v[17:18], v[29:30], v[9:10]
	v_add_f64 v[27:28], v[25:26], -v[17:18]
	v_add_f64 v[29:30], v[17:18], -v[29:30]
	s_delay_alu instid0(VALU_DEP_2) | instskip(NEXT) | instid1(VALU_DEP_2)
	v_add_f64 v[25:26], v[25:26], -v[27:28]
	v_add_f64 v[9:10], v[29:30], -v[9:10]
	s_delay_alu instid0(VALU_DEP_2) | instskip(NEXT) | instid1(VALU_DEP_1)
	v_add_f64 v[17:18], v[25:26], -v[17:18]
	v_add_f64 v[9:10], v[9:10], v[17:18]
	s_delay_alu instid0(VALU_DEP_1) | instskip(NEXT) | instid1(VALU_DEP_1)
	v_add_f64 v[9:10], v[27:28], v[9:10]
	v_mul_f64 v[9:10], v[19:20], v[9:10]
	s_delay_alu instid0(VALU_DEP_1) | instskip(NEXT) | instid1(VALU_DEP_1)
	v_add_f64 v[17:18], v[23:24], v[9:10]
	v_mul_f64 v[19:20], v[17:18], v[17:18]
	s_delay_alu instid0(VALU_DEP_1) | instskip(SKIP_1) | instid1(VALU_DEP_2)
	v_fma_f64 v[25:26], v[19:20], s[26:27], s[24:25]
	v_mul_f64 v[27:28], v[17:18], v[19:20]
	v_fma_f64 v[25:26], v[19:20], v[25:26], s[28:29]
	s_delay_alu instid0(VALU_DEP_1) | instskip(NEXT) | instid1(VALU_DEP_1)
	v_fma_f64 v[25:26], v[19:20], v[25:26], s[30:31]
	v_fma_f64 v[25:26], v[19:20], v[25:26], s[34:35]
	s_delay_alu instid0(VALU_DEP_1) | instskip(NEXT) | instid1(VALU_DEP_1)
	v_fma_f64 v[25:26], v[19:20], v[25:26], s[36:37]
	v_fma_f64 v[19:20], v[19:20], v[25:26], s[90:91]
	v_ldexp_f64 v[25:26], v[17:18], 1
	v_add_f64 v[17:18], v[17:18], -v[23:24]
	s_delay_alu instid0(VALU_DEP_3) | instskip(SKIP_1) | instid1(VALU_DEP_3)
	v_mul_f64 v[19:20], v[27:28], v[19:20]
	v_cvt_f64_i32_e32 v[27:28], v11
	v_add_f64 v[9:10], v[9:10], -v[17:18]
	s_delay_alu instid0(VALU_DEP_3) | instskip(NEXT) | instid1(VALU_DEP_3)
	v_add_f64 v[23:24], v[25:26], v[19:20]
	v_mul_f64 v[29:30], v[27:28], s[38:39]
	s_delay_alu instid0(VALU_DEP_3) | instskip(NEXT) | instid1(VALU_DEP_3)
	v_ldexp_f64 v[9:10], v[9:10], 1
	v_add_f64 v[17:18], v[23:24], -v[25:26]
	s_delay_alu instid0(VALU_DEP_3) | instskip(NEXT) | instid1(VALU_DEP_2)
	v_fma_f64 v[25:26], v[27:28], s[38:39], -v[29:30]
	v_add_f64 v[17:18], v[19:20], -v[17:18]
	s_delay_alu instid0(VALU_DEP_2) | instskip(NEXT) | instid1(VALU_DEP_2)
	v_fma_f64 v[19:20], v[27:28], s[40:41], v[25:26]
	v_add_f64 v[9:10], v[9:10], v[17:18]
	s_delay_alu instid0(VALU_DEP_2) | instskip(NEXT) | instid1(VALU_DEP_2)
	v_add_f64 v[17:18], v[29:30], v[19:20]
	v_add_f64 v[25:26], v[23:24], v[9:10]
	s_delay_alu instid0(VALU_DEP_2) | instskip(NEXT) | instid1(VALU_DEP_2)
	v_add_f64 v[29:30], v[17:18], -v[29:30]
	v_add_f64 v[27:28], v[17:18], v[25:26]
	v_add_f64 v[23:24], v[25:26], -v[23:24]
	s_delay_alu instid0(VALU_DEP_3) | instskip(NEXT) | instid1(VALU_DEP_3)
	v_add_f64 v[19:20], v[19:20], -v[29:30]
	v_add_f64 v[31:32], v[27:28], -v[17:18]
	s_delay_alu instid0(VALU_DEP_3) | instskip(NEXT) | instid1(VALU_DEP_2)
	v_add_f64 v[9:10], v[9:10], -v[23:24]
	v_add_f64 v[39:40], v[27:28], -v[31:32]
	;; [unrolled: 1-line block ×3, first 2 shown]
	s_delay_alu instid0(VALU_DEP_3) | instskip(NEXT) | instid1(VALU_DEP_3)
	v_add_f64 v[25:26], v[19:20], v[9:10]
	v_add_f64 v[17:18], v[17:18], -v[39:40]
	s_delay_alu instid0(VALU_DEP_1) | instskip(NEXT) | instid1(VALU_DEP_3)
	v_add_f64 v[17:18], v[23:24], v[17:18]
	v_add_f64 v[23:24], v[25:26], -v[19:20]
	s_delay_alu instid0(VALU_DEP_2) | instskip(NEXT) | instid1(VALU_DEP_2)
	v_add_f64 v[17:18], v[25:26], v[17:18]
	v_add_f64 v[25:26], v[25:26], -v[23:24]
	v_add_f64 v[9:10], v[9:10], -v[23:24]
	s_delay_alu instid0(VALU_DEP_3) | instskip(NEXT) | instid1(VALU_DEP_3)
	v_add_f64 v[29:30], v[27:28], v[17:18]
	v_add_f64 v[19:20], v[19:20], -v[25:26]
	s_delay_alu instid0(VALU_DEP_2) | instskip(NEXT) | instid1(VALU_DEP_2)
	v_add_f64 v[23:24], v[29:30], -v[27:28]
	v_add_f64 v[9:10], v[9:10], v[19:20]
	v_mov_b32_e32 v19, 0
	v_mov_b32_e32 v20, 0x7ff80000
	s_delay_alu instid0(VALU_DEP_4) | instskip(NEXT) | instid1(VALU_DEP_1)
	v_add_f64 v[17:18], v[17:18], -v[23:24]
	v_add_f64 v[9:10], v[9:10], v[17:18]
	s_delay_alu instid0(VALU_DEP_1) | instskip(NEXT) | instid1(VALU_DEP_1)
	v_add_f64 v[9:10], v[29:30], v[9:10]
	v_dual_cndmask_b32 v9, v9, v21 :: v_dual_cndmask_b32 v10, v10, v22
	v_cmp_ngt_f64_e32 vcc_lo, 0, v[21:22]
	s_delay_alu instid0(VALU_DEP_2) | instskip(SKIP_1) | instid1(VALU_DEP_4)
	v_cndmask_b32_e32 v10, 0x7ff80000, v10, vcc_lo
	v_cmp_nge_f64_e32 vcc_lo, 0, v[21:22]
	v_cndmask_b32_e32 v17, 0, v9, vcc_lo
	v_cmp_neq_f64_e32 vcc_lo, 0, v[21:22]
	s_delay_alu instid0(VALU_DEP_4)
	v_cndmask_b32_e32 v18, 0xfff00000, v10, vcc_lo
.LBB168_39:                             ;   in Loop: Header=BB168_5 Depth=1
	s_or_b32 exec_lo, exec_lo, s2
                                        ; implicit-def: $vgpr21_vgpr22
	s_delay_alu instid0(SALU_CYCLE_1)
	s_mov_b32 s2, exec_lo
	s_waitcnt vmcnt(2)
	v_cmpx_o_f64_e32 v[5:6], v[7:8]
	s_xor_b32 s95, exec_lo, s2
	s_cbranch_execz .LBB168_67
; %bb.40:                               ;   in Loop: Header=BB168_5 Depth=1
	v_cmp_lt_f64_e64 s2, |v[5:6]|, |v[7:8]|
	v_and_b32_e32 v9, 0x7fffffff, v6
	v_dual_mov_b32 v11, v7 :: v_dual_and_b32 v10, 0x7fffffff, v8
                                        ; implicit-def: $vgpr21_vgpr22
	s_mov_b32 s3, exec_lo
	s_delay_alu instid0(VALU_DEP_1) | instskip(NEXT) | instid1(VALU_DEP_2)
	v_cndmask_b32_e64 v26, v10, v9, s2
	v_cndmask_b32_e64 v25, v11, v5, s2
	s_delay_alu instid0(VALU_DEP_1)
	v_cmpx_nlt_f64_e32 s[14:15], v[25:26]
	s_xor_b32 s96, exec_lo, s3
	s_cbranch_execz .LBB168_64
; %bb.41:                               ;   in Loop: Header=BB168_5 Depth=1
	v_cndmask_b32_e64 v28, v9, v10, s2
	v_cndmask_b32_e64 v27, v5, v11, s2
                                        ; implicit-def: $vgpr21_vgpr22
	s_mov_b32 s3, exec_lo
	s_delay_alu instid0(VALU_DEP_1)
	v_cmpx_neq_f64_e32 1.0, v[27:28]
	s_xor_b32 s97, exec_lo, s3
	s_cbranch_execz .LBB168_57
; %bb.42:                               ;   in Loop: Header=BB168_5 Depth=1
	v_max_f64 v[9:10], v[25:26], v[25:26]
	v_max_f64 v[21:22], v[27:28], v[27:28]
	s_delay_alu instid0(VALU_DEP_1) | instskip(SKIP_1) | instid1(VALU_DEP_2)
	v_min_f64 v[23:24], v[21:22], v[9:10]
	v_max_f64 v[9:10], v[21:22], v[9:10]
                                        ; implicit-def: $vgpr21_vgpr22
	v_cmp_ngt_f64_e32 vcc_lo, s[18:19], v[23:24]
	s_delay_alu instid0(VALU_DEP_2) | instskip(NEXT) | instid1(VALU_DEP_1)
	v_cmp_nlt_f64_e64 s3, s[20:21], v[9:10]
	s_and_b32 s3, s3, vcc_lo
	s_delay_alu instid0(SALU_CYCLE_1) | instskip(NEXT) | instid1(SALU_CYCLE_1)
	s_and_saveexec_b32 s4, s3
	s_xor_b32 s101, exec_lo, s4
	s_cbranch_execz .LBB168_54
; %bb.43:                               ;   in Loop: Header=BB168_5 Depth=1
                                        ; implicit-def: $vgpr21_vgpr22
	s_mov_b32 s3, exec_lo
	v_cmpx_le_f64_e32 1.0, v[27:28]
	s_xor_b32 s4, exec_lo, s3
	s_cbranch_execz .LBB168_45
; %bb.44:                               ;   in Loop: Header=BB168_5 Depth=1
	v_add_f64 v[9:10], v[27:28], -1.0
	v_add_f64 v[21:22], v[27:28], 1.0
	s_mov_b32 s91, s23
	s_mov_b32 s12, s82
	v_cmp_gt_i32_e64 s3, 0, v6
	v_cmp_class_f64_e64 s6, v[5:6], 0x204
	v_cmp_class_f64_e64 s5, v[7:8], 0x204
	s_delay_alu instid0(VALU_DEP_4) | instskip(NEXT) | instid1(VALU_DEP_1)
	v_mul_f64 v[9:10], v[9:10], v[21:22]
	v_fma_f64 v[9:10], v[25:26], v[25:26], v[9:10]
	s_delay_alu instid0(VALU_DEP_1) | instskip(NEXT) | instid1(VALU_DEP_1)
	v_add_f64 v[21:22], v[9:10], 1.0
	v_frexp_mant_f64_e32 v[23:24], v[21:22]
	v_frexp_exp_i32_f64_e32 v11, v[21:22]
	v_add_f64 v[25:26], v[21:22], -1.0
	s_delay_alu instid0(VALU_DEP_3) | instskip(NEXT) | instid1(VALU_DEP_2)
	v_cmp_gt_f64_e32 vcc_lo, s[22:23], v[23:24]
	v_add_f64 v[23:24], v[25:26], -v[21:22]
	v_add_f64 v[25:26], v[9:10], -v[25:26]
	v_subrev_co_ci_u32_e32 v11, vcc_lo, 0, v11, vcc_lo
	s_delay_alu instid0(VALU_DEP_3) | instskip(NEXT) | instid1(VALU_DEP_2)
	v_add_f64 v[23:24], v[23:24], 1.0
	v_sub_nc_u32_e32 v29, 0, v11
	s_delay_alu instid0(VALU_DEP_1) | instskip(NEXT) | instid1(VALU_DEP_3)
	v_ldexp_f64 v[21:22], v[21:22], v29
	v_add_f64 v[23:24], v[25:26], v[23:24]
	s_delay_alu instid0(VALU_DEP_2) | instskip(SKIP_1) | instid1(VALU_DEP_3)
	v_add_f64 v[27:28], v[21:22], 1.0
	v_add_f64 v[39:40], v[21:22], -1.0
	v_ldexp_f64 v[23:24], v[23:24], v29
	s_delay_alu instid0(VALU_DEP_3) | instskip(NEXT) | instid1(VALU_DEP_3)
	v_add_f64 v[25:26], v[27:28], -1.0
	v_add_f64 v[41:42], v[39:40], 1.0
	s_delay_alu instid0(VALU_DEP_2) | instskip(NEXT) | instid1(VALU_DEP_2)
	v_add_f64 v[25:26], v[21:22], -v[25:26]
	v_add_f64 v[21:22], v[21:22], -v[41:42]
	s_delay_alu instid0(VALU_DEP_2) | instskip(NEXT) | instid1(VALU_DEP_2)
	v_add_f64 v[25:26], v[23:24], v[25:26]
	v_add_f64 v[21:22], v[23:24], v[21:22]
	s_delay_alu instid0(VALU_DEP_2) | instskip(NEXT) | instid1(VALU_DEP_2)
	v_add_f64 v[29:30], v[27:28], v[25:26]
	v_add_f64 v[41:42], v[39:40], v[21:22]
	s_delay_alu instid0(VALU_DEP_2) | instskip(SKIP_1) | instid1(VALU_DEP_2)
	v_rcp_f64_e32 v[31:32], v[29:30]
	v_add_f64 v[27:28], v[29:30], -v[27:28]
	v_add_f64 v[39:40], v[41:42], -v[39:40]
	s_delay_alu instid0(VALU_DEP_2) | instskip(SKIP_3) | instid1(VALU_DEP_2)
	v_add_f64 v[25:26], v[25:26], -v[27:28]
	s_waitcnt_depctr 0xfff
	v_fma_f64 v[43:44], -v[29:30], v[31:32], 1.0
	v_add_f64 v[21:22], v[21:22], -v[39:40]
	v_fma_f64 v[31:32], v[43:44], v[31:32], v[31:32]
	s_delay_alu instid0(VALU_DEP_1) | instskip(NEXT) | instid1(VALU_DEP_1)
	v_fma_f64 v[23:24], -v[29:30], v[31:32], 1.0
	v_fma_f64 v[23:24], v[23:24], v[31:32], v[31:32]
	s_delay_alu instid0(VALU_DEP_1) | instskip(NEXT) | instid1(VALU_DEP_1)
	v_mul_f64 v[31:32], v[41:42], v[23:24]
	v_mul_f64 v[43:44], v[29:30], v[31:32]
	s_delay_alu instid0(VALU_DEP_1) | instskip(NEXT) | instid1(VALU_DEP_1)
	v_fma_f64 v[27:28], v[31:32], v[29:30], -v[43:44]
	v_fma_f64 v[27:28], v[31:32], v[25:26], v[27:28]
	s_delay_alu instid0(VALU_DEP_1) | instskip(NEXT) | instid1(VALU_DEP_1)
	v_add_f64 v[45:46], v[43:44], v[27:28]
	v_add_f64 v[47:48], v[41:42], -v[45:46]
	v_add_f64 v[39:40], v[45:46], -v[43:44]
	v_max_f64 v[43:44], |v[7:8]|, |v[7:8]|
	s_delay_alu instid0(VALU_DEP_3) | instskip(NEXT) | instid1(VALU_DEP_3)
	v_add_f64 v[41:42], v[41:42], -v[47:48]
	v_add_f64 v[27:28], v[39:40], -v[27:28]
	s_delay_alu instid0(VALU_DEP_2) | instskip(SKIP_2) | instid1(VALU_DEP_1)
	v_add_f64 v[41:42], v[41:42], -v[45:46]
	v_max_f64 v[45:46], |v[5:6]|, |v[5:6]|
	v_cndmask_b32_e64 v5, 0x3fe921fb, v56, s3
	v_bfi_b32 v5, 0x7fffffff, v5, v8
	s_delay_alu instid0(VALU_DEP_4) | instskip(NEXT) | instid1(VALU_DEP_4)
	v_add_f64 v[21:22], v[21:22], v[41:42]
	v_max_f64 v[49:50], v[45:46], v[43:44]
	v_min_f64 v[43:44], v[45:46], v[43:44]
	s_delay_alu instid0(VALU_DEP_3) | instskip(NEXT) | instid1(VALU_DEP_1)
	v_add_f64 v[21:22], v[27:28], v[21:22]
	v_add_f64 v[27:28], v[47:48], v[21:22]
	s_delay_alu instid0(VALU_DEP_1) | instskip(SKIP_1) | instid1(VALU_DEP_2)
	v_mul_f64 v[39:40], v[23:24], v[27:28]
	v_add_f64 v[47:48], v[47:48], -v[27:28]
	v_mul_f64 v[41:42], v[29:30], v[39:40]
	s_delay_alu instid0(VALU_DEP_2) | instskip(NEXT) | instid1(VALU_DEP_2)
	v_add_f64 v[21:22], v[21:22], v[47:48]
	v_fma_f64 v[29:30], v[39:40], v[29:30], -v[41:42]
	s_delay_alu instid0(VALU_DEP_1) | instskip(SKIP_1) | instid1(VALU_DEP_2)
	v_fma_f64 v[25:26], v[39:40], v[25:26], v[29:30]
	v_div_scale_f64 v[29:30], null, v[49:50], v[49:50], v[43:44]
	v_add_f64 v[45:46], v[41:42], v[25:26]
	s_delay_alu instid0(VALU_DEP_2) | instskip(NEXT) | instid1(VALU_DEP_1)
	v_rcp_f64_e32 v[51:52], v[29:30]
	v_add_f64 v[53:54], v[27:28], -v[45:46]
	v_add_f64 v[41:42], v[45:46], -v[41:42]
	s_waitcnt_depctr 0xfff
	v_fma_f64 v[57:58], -v[29:30], v[51:52], 1.0
	v_add_f64 v[27:28], v[27:28], -v[53:54]
	v_add_f64 v[25:26], v[41:42], -v[25:26]
	s_delay_alu instid0(VALU_DEP_3) | instskip(NEXT) | instid1(VALU_DEP_3)
	v_fma_f64 v[51:52], v[51:52], v[57:58], v[51:52]
	v_add_f64 v[27:28], v[27:28], -v[45:46]
	s_delay_alu instid0(VALU_DEP_2) | instskip(NEXT) | instid1(VALU_DEP_2)
	v_fma_f64 v[45:46], -v[29:30], v[51:52], 1.0
	v_add_f64 v[21:22], v[21:22], v[27:28]
	v_div_scale_f64 v[27:28], vcc_lo, v[43:44], v[49:50], v[43:44]
	s_delay_alu instid0(VALU_DEP_3) | instskip(SKIP_1) | instid1(VALU_DEP_4)
	v_fma_f64 v[41:42], v[51:52], v[45:46], v[51:52]
	v_add_f64 v[45:46], v[31:32], v[39:40]
	v_add_f64 v[21:22], v[25:26], v[21:22]
	s_delay_alu instid0(VALU_DEP_3) | instskip(NEXT) | instid1(VALU_DEP_3)
	v_mul_f64 v[25:26], v[27:28], v[41:42]
	v_add_f64 v[31:32], v[45:46], -v[31:32]
	s_delay_alu instid0(VALU_DEP_3) | instskip(NEXT) | instid1(VALU_DEP_3)
	v_add_f64 v[21:22], v[53:54], v[21:22]
	v_fma_f64 v[27:28], -v[29:30], v[25:26], v[27:28]
	s_delay_alu instid0(VALU_DEP_3) | instskip(NEXT) | instid1(VALU_DEP_3)
	v_add_f64 v[29:30], v[39:40], -v[31:32]
	v_mul_f64 v[21:22], v[23:24], v[21:22]
	s_delay_alu instid0(VALU_DEP_3) | instskip(SKIP_1) | instid1(VALU_DEP_3)
	v_div_fmas_f64 v[23:24], v[27:28], v[41:42], v[25:26]
	v_cmp_eq_f64_e32 vcc_lo, 0x7ff00000, v[9:10]
	v_add_f64 v[21:22], v[29:30], v[21:22]
	s_delay_alu instid0(VALU_DEP_3) | instskip(NEXT) | instid1(VALU_DEP_2)
	v_div_fixup_f64 v[23:24], v[23:24], v[49:50], v[43:44]
	v_add_f64 v[25:26], v[45:46], v[21:22]
	s_delay_alu instid0(VALU_DEP_2) | instskip(NEXT) | instid1(VALU_DEP_2)
	v_mul_f64 v[27:28], v[23:24], v[23:24]
	v_mul_f64 v[29:30], v[25:26], v[25:26]
	s_delay_alu instid0(VALU_DEP_2) | instskip(NEXT) | instid1(VALU_DEP_2)
	v_fma_f64 v[31:32], v[27:28], s[44:45], s[42:43]
	v_fma_f64 v[39:40], v[29:30], s[26:27], s[24:25]
	v_mul_f64 v[41:42], v[25:26], v[29:30]
	s_delay_alu instid0(VALU_DEP_3) | instskip(NEXT) | instid1(VALU_DEP_3)
	v_fma_f64 v[31:32], v[27:28], v[31:32], s[46:47]
	v_fma_f64 v[39:40], v[29:30], v[39:40], s[28:29]
	s_delay_alu instid0(VALU_DEP_2) | instskip(NEXT) | instid1(VALU_DEP_2)
	v_fma_f64 v[31:32], v[27:28], v[31:32], s[48:49]
	v_fma_f64 v[39:40], v[29:30], v[39:40], s[30:31]
	s_delay_alu instid0(VALU_DEP_2) | instskip(NEXT) | instid1(VALU_DEP_2)
	;; [unrolled: 3-line block ×4, first 2 shown]
	v_fma_f64 v[31:32], v[27:28], v[31:32], s[54:55]
	v_fma_f64 v[29:30], v[29:30], v[39:40], s[90:91]
	v_ldexp_f64 v[39:40], v[25:26], 1
	v_add_f64 v[25:26], v[25:26], -v[45:46]
	s_delay_alu instid0(VALU_DEP_4) | instskip(NEXT) | instid1(VALU_DEP_4)
	v_fma_f64 v[31:32], v[27:28], v[31:32], s[56:57]
	v_mul_f64 v[29:30], v[41:42], v[29:30]
	v_cvt_f64_i32_e32 v[41:42], v11
	s_delay_alu instid0(VALU_DEP_4) | instskip(NEXT) | instid1(VALU_DEP_4)
	v_add_f64 v[21:22], v[21:22], -v[25:26]
	v_fma_f64 v[31:32], v[27:28], v[31:32], s[58:59]
	v_ashrrev_i32_e32 v11, 31, v6
	s_delay_alu instid0(VALU_DEP_1) | instskip(SKIP_4) | instid1(VALU_DEP_4)
	v_and_b32_e32 v6, 0x400921fb, v11
	v_add_f64 v[43:44], v[39:40], v[29:30]
	v_mul_f64 v[45:46], v[41:42], s[38:39]
	v_ldexp_f64 v[21:22], v[21:22], 1
	v_fma_f64 v[31:32], v[27:28], v[31:32], s[60:61]
	v_add_f64 v[25:26], v[43:44], -v[39:40]
	s_delay_alu instid0(VALU_DEP_4) | instskip(NEXT) | instid1(VALU_DEP_3)
	v_fma_f64 v[39:40], v[41:42], s[38:39], -v[45:46]
	v_fma_f64 v[31:32], v[27:28], v[31:32], s[62:63]
	s_delay_alu instid0(VALU_DEP_3) | instskip(NEXT) | instid1(VALU_DEP_2)
	v_add_f64 v[25:26], v[29:30], -v[25:26]
	v_fma_f64 v[29:30], v[27:28], v[31:32], s[64:65]
	s_delay_alu instid0(VALU_DEP_4) | instskip(NEXT) | instid1(VALU_DEP_3)
	v_fma_f64 v[31:32], v[41:42], s[40:41], v[39:40]
	v_add_f64 v[21:22], v[21:22], v[25:26]
	s_delay_alu instid0(VALU_DEP_3) | instskip(NEXT) | instid1(VALU_DEP_3)
	v_fma_f64 v[25:26], v[27:28], v[29:30], s[66:67]
	v_add_f64 v[29:30], v[45:46], v[31:32]
	s_delay_alu instid0(VALU_DEP_3) | instskip(NEXT) | instid1(VALU_DEP_3)
	v_add_f64 v[39:40], v[43:44], v[21:22]
	v_fma_f64 v[25:26], v[27:28], v[25:26], s[68:69]
	s_delay_alu instid0(VALU_DEP_3) | instskip(NEXT) | instid1(VALU_DEP_3)
	v_add_f64 v[45:46], v[29:30], -v[45:46]
	v_add_f64 v[41:42], v[29:30], v[39:40]
	v_add_f64 v[43:44], v[39:40], -v[43:44]
	s_delay_alu instid0(VALU_DEP_4) | instskip(NEXT) | instid1(VALU_DEP_4)
	v_fma_f64 v[25:26], v[27:28], v[25:26], s[70:71]
	v_add_f64 v[31:32], v[31:32], -v[45:46]
	s_delay_alu instid0(VALU_DEP_4) | instskip(NEXT) | instid1(VALU_DEP_4)
	v_add_f64 v[47:48], v[41:42], -v[29:30]
	v_add_f64 v[21:22], v[21:22], -v[43:44]
	s_delay_alu instid0(VALU_DEP_4) | instskip(NEXT) | instid1(VALU_DEP_3)
	v_fma_f64 v[25:26], v[27:28], v[25:26], s[72:73]
	v_add_f64 v[49:50], v[41:42], -v[47:48]
	v_add_f64 v[39:40], v[39:40], -v[47:48]
	s_delay_alu instid0(VALU_DEP_4) | instskip(NEXT) | instid1(VALU_DEP_4)
	v_add_f64 v[43:44], v[31:32], v[21:22]
	v_fma_f64 v[25:26], v[27:28], v[25:26], s[74:75]
	s_delay_alu instid0(VALU_DEP_4) | instskip(NEXT) | instid1(VALU_DEP_2)
	v_add_f64 v[29:30], v[29:30], -v[49:50]
	v_fma_f64 v[25:26], v[27:28], v[25:26], s[76:77]
	s_delay_alu instid0(VALU_DEP_2) | instskip(SKIP_1) | instid1(VALU_DEP_3)
	v_add_f64 v[29:30], v[39:40], v[29:30]
	v_add_f64 v[39:40], v[43:44], -v[31:32]
	v_fma_f64 v[25:26], v[27:28], v[25:26], s[78:79]
	s_delay_alu instid0(VALU_DEP_3) | instskip(NEXT) | instid1(VALU_DEP_3)
	v_add_f64 v[29:30], v[43:44], v[29:30]
	v_add_f64 v[43:44], v[43:44], -v[39:40]
	v_add_f64 v[21:22], v[21:22], -v[39:40]
	s_delay_alu instid0(VALU_DEP_4) | instskip(NEXT) | instid1(VALU_DEP_4)
	v_fma_f64 v[25:26], v[27:28], v[25:26], s[80:81]
	v_add_f64 v[45:46], v[41:42], v[29:30]
	s_delay_alu instid0(VALU_DEP_2) | instskip(SKIP_1) | instid1(VALU_DEP_3)
	v_mul_f64 v[25:26], v[27:28], v[25:26]
	v_add_f64 v[27:28], v[31:32], -v[43:44]
	v_add_f64 v[31:32], v[45:46], -v[41:42]
	s_delay_alu instid0(VALU_DEP_3) | instskip(NEXT) | instid1(VALU_DEP_3)
	v_fma_f64 v[23:24], v[23:24], v[25:26], v[23:24]
	v_add_f64 v[21:22], v[21:22], v[27:28]
	s_delay_alu instid0(VALU_DEP_3) | instskip(NEXT) | instid1(VALU_DEP_3)
	v_add_f64 v[25:26], v[29:30], -v[31:32]
	v_add_f64 v[27:28], -v[23:24], s[82:83]
	s_delay_alu instid0(VALU_DEP_2) | instskip(NEXT) | instid1(VALU_DEP_2)
	v_add_f64 v[21:22], v[21:22], v[25:26]
	v_cndmask_b32_e64 v24, v24, v28, s2
	s_delay_alu instid0(VALU_DEP_3) | instskip(SKIP_1) | instid1(VALU_DEP_2)
	v_cndmask_b32_e64 v23, v23, v27, s2
	v_cndmask_b32_e64 v27, 0x54442d18, v55, s3
	v_add_f64 v[25:26], -v[23:24], s[12:13]
	v_add_f64 v[21:22], v[45:46], v[21:22]
	v_and_b32_e32 v28, 0x54442d18, v11
	s_delay_alu instid0(VALU_DEP_3) | instskip(NEXT) | instid1(VALU_DEP_4)
	v_cndmask_b32_e64 v23, v23, v25, s3
	v_cndmask_b32_e64 v11, v24, v26, s3
	v_cmp_nge_f64_e64 s3, -1.0, v[9:10]
                                        ; implicit-def: $vgpr25_vgpr26
	v_dual_cndmask_b32 v21, v21, v9 :: v_dual_cndmask_b32 v22, v22, v10
	v_cmp_eq_f64_e32 vcc_lo, 0, v[7:8]
	v_cndmask_b32_e32 v23, v23, v28, vcc_lo
	s_delay_alu instid0(VALU_DEP_3) | instskip(SKIP_2) | instid1(VALU_DEP_3)
	v_mul_f64 v[21:22], v[21:22], 0.5
	v_cndmask_b32_e32 v6, v11, v6, vcc_lo
	v_cmp_ngt_f64_e32 vcc_lo, -1.0, v[9:10]
	v_cndmask_b32_e64 v21, 0, v21, s3
	v_cmp_neq_f64_e64 s3, -1.0, v[9:10]
	v_cndmask_b32_e32 v11, 0x7ff80000, v22, vcc_lo
	s_and_b32 vcc_lo, s6, s5
	v_dual_cndmask_b32 v24, v6, v5 :: v_dual_cndmask_b32 v23, v23, v27
                                        ; implicit-def: $vgpr27_vgpr28
	s_delay_alu instid0(VALU_DEP_2)
	v_cndmask_b32_e64 v22, 0xfff00000, v11, s3
.LBB168_45:                             ;   in Loop: Header=BB168_5 Depth=1
	s_and_not1_saveexec_b32 s102, s4
	s_cbranch_execz .LBB168_53
; %bb.46:                               ;   in Loop: Header=BB168_5 Depth=1
	v_mul_f64 v[9:10], v[25:26], v[25:26]
                                        ; implicit-def: $vgpr21_vgpr22
	s_mov_b32 s3, exec_lo
	s_delay_alu instid0(VALU_DEP_1) | instskip(NEXT) | instid1(VALU_DEP_1)
	v_fma_f64 v[9:10], v[27:28], v[27:28], v[9:10]
	v_cmpx_ge_f64_e32 s[84:85], v[9:10]
	s_xor_b32 s5, exec_lo, s3
	s_cbranch_execz .LBB168_48
; %bb.47:                               ;   in Loop: Header=BB168_5 Depth=1
	v_frexp_mant_f64_e32 v[21:22], v[9:10]
	v_max_f64 v[31:32], |v[5:6]|, |v[5:6]|
	s_mov_b32 s91, s23
	v_frexp_exp_i32_f64_e32 v11, v[9:10]
	s_mov_b32 s12, s82
	v_cmp_class_f64_e64 s6, v[7:8], 0x204
	v_cmp_class_f64_e64 s7, v[5:6], 0x204
	v_cmp_neq_f64_e64 s4, 0, v[9:10]
	v_cmp_gt_f64_e64 s3, s[22:23], v[21:22]
	s_delay_alu instid0(VALU_DEP_1) | instskip(NEXT) | instid1(VALU_DEP_1)
	v_cndmask_b32_e64 v34, 0x3ff00000, 2.0, s3
	v_mul_f64 v[21:22], v[21:22], v[33:34]
	s_delay_alu instid0(VALU_DEP_1) | instskip(SKIP_1) | instid1(VALU_DEP_2)
	v_add_f64 v[23:24], v[21:22], 1.0
	v_add_f64 v[29:30], v[21:22], -1.0
	v_rcp_f64_e32 v[25:26], v[23:24]
	s_waitcnt_depctr 0xfff
	v_fma_f64 v[27:28], -v[23:24], v[25:26], 1.0
	s_delay_alu instid0(VALU_DEP_1) | instskip(NEXT) | instid1(VALU_DEP_1)
	v_fma_f64 v[25:26], v[27:28], v[25:26], v[25:26]
	v_fma_f64 v[27:28], -v[23:24], v[25:26], 1.0
	s_delay_alu instid0(VALU_DEP_1) | instskip(SKIP_1) | instid1(VALU_DEP_2)
	v_fma_f64 v[25:26], v[27:28], v[25:26], v[25:26]
	v_max_f64 v[27:28], |v[7:8]|, |v[7:8]|
	v_mul_f64 v[39:40], v[29:30], v[25:26]
	s_delay_alu instid0(VALU_DEP_2) | instskip(SKIP_2) | instid1(VALU_DEP_4)
	v_max_f64 v[41:42], v[31:32], v[27:28]
	v_min_f64 v[27:28], v[31:32], v[27:28]
	v_add_f64 v[31:32], v[23:24], -1.0
	v_mul_f64 v[43:44], v[23:24], v[39:40]
	s_delay_alu instid0(VALU_DEP_3) | instskip(NEXT) | instid1(VALU_DEP_3)
	v_div_scale_f64 v[45:46], null, v[41:42], v[41:42], v[27:28]
	v_add_f64 v[21:22], v[21:22], -v[31:32]
	v_div_scale_f64 v[51:52], vcc_lo, v[27:28], v[41:42], v[27:28]
	s_delay_alu instid0(VALU_DEP_4) | instskip(NEXT) | instid1(VALU_DEP_4)
	v_fma_f64 v[23:24], v[39:40], v[23:24], -v[43:44]
	v_rcp_f64_e32 v[31:32], v[45:46]
	s_delay_alu instid0(VALU_DEP_1) | instskip(SKIP_3) | instid1(VALU_DEP_2)
	v_fma_f64 v[21:22], v[39:40], v[21:22], v[23:24]
	s_waitcnt_depctr 0xfff
	v_fma_f64 v[23:24], -v[45:46], v[31:32], 1.0
	v_add_f64 v[47:48], v[43:44], v[21:22]
	v_fma_f64 v[23:24], v[31:32], v[23:24], v[31:32]
	s_delay_alu instid0(VALU_DEP_2) | instskip(SKIP_1) | instid1(VALU_DEP_3)
	v_add_f64 v[31:32], v[29:30], -v[47:48]
	v_add_f64 v[43:44], v[47:48], -v[43:44]
	v_fma_f64 v[49:50], -v[45:46], v[23:24], 1.0
	s_delay_alu instid0(VALU_DEP_3) | instskip(NEXT) | instid1(VALU_DEP_3)
	v_add_f64 v[29:30], v[29:30], -v[31:32]
	v_add_f64 v[21:22], v[43:44], -v[21:22]
	s_delay_alu instid0(VALU_DEP_3) | instskip(NEXT) | instid1(VALU_DEP_3)
	v_fma_f64 v[23:24], v[23:24], v[49:50], v[23:24]
	v_add_f64 v[29:30], v[29:30], -v[47:48]
	s_delay_alu instid0(VALU_DEP_2) | instskip(NEXT) | instid1(VALU_DEP_2)
	v_mul_f64 v[43:44], v[51:52], v[23:24]
	v_add_f64 v[21:22], v[21:22], v[29:30]
	s_delay_alu instid0(VALU_DEP_2) | instskip(NEXT) | instid1(VALU_DEP_2)
	v_fma_f64 v[29:30], -v[45:46], v[43:44], v[51:52]
	v_add_f64 v[21:22], v[31:32], v[21:22]
	s_delay_alu instid0(VALU_DEP_2) | instskip(SKIP_4) | instid1(VALU_DEP_1)
	v_div_fmas_f64 v[23:24], v[29:30], v[23:24], v[43:44]
	v_subrev_co_ci_u32_e64 v11, vcc_lo, 0, v11, s3
	v_cmp_eq_f64_e64 s3, 0, v[7:8]
	v_cmp_gt_i32_e32 vcc_lo, 0, v6
	v_cndmask_b32_e32 v9, 0x3fe921fb, v56, vcc_lo
	v_bfi_b32 v9, 0x7fffffff, v9, v8
	v_mul_f64 v[21:22], v[25:26], v[21:22]
	v_div_fixup_f64 v[23:24], v[23:24], v[41:42], v[27:28]
	s_delay_alu instid0(VALU_DEP_2) | instskip(NEXT) | instid1(VALU_DEP_2)
	v_add_f64 v[25:26], v[39:40], v[21:22]
	v_mul_f64 v[27:28], v[23:24], v[23:24]
	s_delay_alu instid0(VALU_DEP_2) | instskip(NEXT) | instid1(VALU_DEP_2)
	v_mul_f64 v[29:30], v[25:26], v[25:26]
	v_fma_f64 v[31:32], v[27:28], s[44:45], s[42:43]
	s_delay_alu instid0(VALU_DEP_2) | instskip(SKIP_1) | instid1(VALU_DEP_3)
	v_fma_f64 v[41:42], v[29:30], s[26:27], s[24:25]
	v_mul_f64 v[43:44], v[25:26], v[29:30]
	v_fma_f64 v[31:32], v[27:28], v[31:32], s[46:47]
	s_delay_alu instid0(VALU_DEP_3) | instskip(NEXT) | instid1(VALU_DEP_2)
	v_fma_f64 v[41:42], v[29:30], v[41:42], s[28:29]
	v_fma_f64 v[31:32], v[27:28], v[31:32], s[48:49]
	s_delay_alu instid0(VALU_DEP_2) | instskip(NEXT) | instid1(VALU_DEP_2)
	v_fma_f64 v[41:42], v[29:30], v[41:42], s[30:31]
	v_fma_f64 v[31:32], v[27:28], v[31:32], s[50:51]
	s_delay_alu instid0(VALU_DEP_2) | instskip(NEXT) | instid1(VALU_DEP_2)
	;; [unrolled: 3-line block ×3, first 2 shown]
	v_fma_f64 v[41:42], v[29:30], v[41:42], s[36:37]
	v_fma_f64 v[31:32], v[27:28], v[31:32], s[54:55]
	s_delay_alu instid0(VALU_DEP_2) | instskip(SKIP_2) | instid1(VALU_DEP_4)
	v_fma_f64 v[29:30], v[29:30], v[41:42], s[90:91]
	v_ldexp_f64 v[41:42], v[25:26], 1
	v_add_f64 v[25:26], v[25:26], -v[39:40]
	v_fma_f64 v[31:32], v[27:28], v[31:32], s[56:57]
	s_delay_alu instid0(VALU_DEP_4) | instskip(SKIP_1) | instid1(VALU_DEP_4)
	v_mul_f64 v[29:30], v[43:44], v[29:30]
	v_cvt_f64_i32_e32 v[43:44], v11
	v_add_f64 v[21:22], v[21:22], -v[25:26]
	v_ashrrev_i32_e32 v11, 31, v6
	v_fma_f64 v[31:32], v[27:28], v[31:32], s[58:59]
	v_add_f64 v[39:40], v[41:42], v[29:30]
	v_mul_f64 v[45:46], v[43:44], s[38:39]
	v_ldexp_f64 v[21:22], v[21:22], 1
	s_delay_alu instid0(VALU_DEP_4) | instskip(NEXT) | instid1(VALU_DEP_4)
	v_fma_f64 v[31:32], v[27:28], v[31:32], s[60:61]
	v_add_f64 v[25:26], v[39:40], -v[41:42]
	s_delay_alu instid0(VALU_DEP_4) | instskip(NEXT) | instid1(VALU_DEP_3)
	v_fma_f64 v[41:42], v[43:44], s[38:39], -v[45:46]
	v_fma_f64 v[31:32], v[27:28], v[31:32], s[62:63]
	s_delay_alu instid0(VALU_DEP_3) | instskip(NEXT) | instid1(VALU_DEP_2)
	v_add_f64 v[25:26], v[29:30], -v[25:26]
	v_fma_f64 v[29:30], v[27:28], v[31:32], s[64:65]
	s_delay_alu instid0(VALU_DEP_4) | instskip(NEXT) | instid1(VALU_DEP_3)
	v_fma_f64 v[31:32], v[43:44], s[40:41], v[41:42]
	v_add_f64 v[21:22], v[21:22], v[25:26]
	s_delay_alu instid0(VALU_DEP_3) | instskip(NEXT) | instid1(VALU_DEP_3)
	v_fma_f64 v[25:26], v[27:28], v[29:30], s[66:67]
	v_add_f64 v[29:30], v[45:46], v[31:32]
	s_delay_alu instid0(VALU_DEP_3) | instskip(NEXT) | instid1(VALU_DEP_3)
	v_add_f64 v[41:42], v[39:40], v[21:22]
	v_fma_f64 v[25:26], v[27:28], v[25:26], s[68:69]
	s_delay_alu instid0(VALU_DEP_3) | instskip(NEXT) | instid1(VALU_DEP_3)
	v_add_f64 v[45:46], v[29:30], -v[45:46]
	v_add_f64 v[43:44], v[29:30], v[41:42]
	v_add_f64 v[39:40], v[41:42], -v[39:40]
	s_delay_alu instid0(VALU_DEP_4) | instskip(NEXT) | instid1(VALU_DEP_4)
	v_fma_f64 v[25:26], v[27:28], v[25:26], s[70:71]
	v_add_f64 v[31:32], v[31:32], -v[45:46]
	s_delay_alu instid0(VALU_DEP_4) | instskip(NEXT) | instid1(VALU_DEP_4)
	v_add_f64 v[47:48], v[43:44], -v[29:30]
	v_add_f64 v[21:22], v[21:22], -v[39:40]
	s_delay_alu instid0(VALU_DEP_4) | instskip(NEXT) | instid1(VALU_DEP_3)
	v_fma_f64 v[25:26], v[27:28], v[25:26], s[72:73]
	v_add_f64 v[49:50], v[43:44], -v[47:48]
	v_add_f64 v[39:40], v[41:42], -v[47:48]
	s_delay_alu instid0(VALU_DEP_4) | instskip(NEXT) | instid1(VALU_DEP_4)
	v_add_f64 v[41:42], v[31:32], v[21:22]
	v_fma_f64 v[25:26], v[27:28], v[25:26], s[74:75]
	s_delay_alu instid0(VALU_DEP_4) | instskip(NEXT) | instid1(VALU_DEP_2)
	v_add_f64 v[29:30], v[29:30], -v[49:50]
	v_fma_f64 v[25:26], v[27:28], v[25:26], s[76:77]
	s_delay_alu instid0(VALU_DEP_2) | instskip(SKIP_1) | instid1(VALU_DEP_3)
	v_add_f64 v[29:30], v[39:40], v[29:30]
	v_add_f64 v[39:40], v[41:42], -v[31:32]
	v_fma_f64 v[25:26], v[27:28], v[25:26], s[78:79]
	s_delay_alu instid0(VALU_DEP_3) | instskip(NEXT) | instid1(VALU_DEP_3)
	v_add_f64 v[29:30], v[41:42], v[29:30]
	v_add_f64 v[41:42], v[41:42], -v[39:40]
	v_add_f64 v[21:22], v[21:22], -v[39:40]
	s_delay_alu instid0(VALU_DEP_4) | instskip(NEXT) | instid1(VALU_DEP_4)
	v_fma_f64 v[25:26], v[27:28], v[25:26], s[80:81]
	v_add_f64 v[45:46], v[43:44], v[29:30]
	s_delay_alu instid0(VALU_DEP_2) | instskip(SKIP_1) | instid1(VALU_DEP_3)
	v_mul_f64 v[25:26], v[27:28], v[25:26]
	v_add_f64 v[27:28], v[31:32], -v[41:42]
	v_add_f64 v[31:32], v[45:46], -v[43:44]
	s_delay_alu instid0(VALU_DEP_3) | instskip(NEXT) | instid1(VALU_DEP_3)
	v_fma_f64 v[23:24], v[23:24], v[25:26], v[23:24]
	v_add_f64 v[21:22], v[21:22], v[27:28]
	s_delay_alu instid0(VALU_DEP_3) | instskip(NEXT) | instid1(VALU_DEP_3)
	v_add_f64 v[25:26], v[29:30], -v[31:32]
	v_add_f64 v[27:28], -v[23:24], s[82:83]
	s_delay_alu instid0(VALU_DEP_2) | instskip(NEXT) | instid1(VALU_DEP_2)
	v_add_f64 v[21:22], v[21:22], v[25:26]
	v_cndmask_b32_e64 v24, v24, v28, s2
	s_delay_alu instid0(VALU_DEP_3) | instskip(SKIP_1) | instid1(VALU_DEP_2)
	v_cndmask_b32_e64 v23, v23, v27, s2
	v_cndmask_b32_e32 v27, 0x54442d18, v55, vcc_lo
	v_add_f64 v[25:26], -v[23:24], s[12:13]
	v_and_b32_e32 v28, 0x54442d18, v11
	v_and_b32_e32 v10, 0x400921fb, v11
	v_add_f64 v[21:22], v[45:46], v[21:22]
	s_delay_alu instid0(VALU_DEP_4) | instskip(SKIP_2) | instid1(VALU_DEP_2)
	v_cndmask_b32_e32 v11, v24, v26, vcc_lo
	v_cndmask_b32_e32 v23, v23, v25, vcc_lo
	s_and_b32 vcc_lo, s7, s6
                                        ; implicit-def: $vgpr25_vgpr26
	v_cndmask_b32_e64 v10, v11, v10, s3
	s_delay_alu instid0(VALU_DEP_2) | instskip(NEXT) | instid1(VALU_DEP_1)
	v_cndmask_b32_e64 v23, v23, v28, s3
	v_dual_cndmask_b32 v24, v10, v9 :: v_dual_cndmask_b32 v23, v23, v27
                                        ; implicit-def: $vgpr27_vgpr28
	v_mul_f64 v[5:6], v[21:22], 0.5
	s_delay_alu instid0(VALU_DEP_1) | instskip(NEXT) | instid1(VALU_DEP_2)
	v_cndmask_b32_e64 v22, 0xfff00000, v6, s4
	v_cndmask_b32_e64 v21, 0, v5, s4
.LBB168_48:                             ;   in Loop: Header=BB168_5 Depth=1
	s_and_not1_saveexec_b32 s103, s5
	s_cbranch_execz .LBB168_52
; %bb.49:                               ;   in Loop: Header=BB168_5 Depth=1
	v_dual_mov_b32 v21, v33 :: v_dual_and_b32 v34, 0x7ffffff8, v28
	v_and_b32_e32 v22, 0x7ffffff8, v26
	s_mov_b32 s91, 0
	s_delay_alu instid0(VALU_DEP_2) | instskip(SKIP_1) | instid1(VALU_DEP_3)
	v_add_f64 v[9:10], v[27:28], -v[33:34]
	v_mov_b32_e32 v27, v33
	v_add_f64 v[23:24], v[25:26], -v[21:22]
	v_mov_b32_e32 v29, v33
	v_add_f64 v[31:32], v[33:34], v[33:34]
	v_add_f64 v[45:46], v[21:22], v[21:22]
	v_mul_f64 v[25:26], v[21:22], v[21:22]
	v_and_b32_e32 v28, -8, v10
	v_and_b32_e32 v30, -8, v24
	s_delay_alu instid0(VALU_DEP_2) | instskip(SKIP_1) | instid1(VALU_DEP_3)
	v_add_f64 v[47:48], v[9:10], -v[27:28]
	v_add_f64 v[51:52], v[27:28], v[27:28]
	v_add_f64 v[49:50], v[23:24], -v[29:30]
	v_add_f64 v[53:54], v[29:30], v[29:30]
	v_mul_f64 v[9:10], v[33:34], v[33:34]
	v_mul_f64 v[43:44], v[31:32], v[27:28]
	;; [unrolled: 1-line block ×11, first 2 shown]
.LBB168_50:                             ;   Parent Loop BB168_5 Depth=1
                                        ; =>  This Inner Loop Header: Depth=2
	v_cmp_nlt_f64_e32 vcc_lo, v[9:10], v[25:26]
	v_dual_cndmask_b32 v50, v10, v26 :: v_dual_cndmask_b32 v49, v9, v25
	v_dual_cndmask_b32 v10, v26, v10 :: v_dual_cndmask_b32 v9, v25, v9
	s_delay_alu instid0(VALU_DEP_2) | instskip(NEXT) | instid1(VALU_DEP_1)
	v_cmp_nlt_f64_e64 s3, v[49:50], v[43:44]
	v_cndmask_b32_e64 v52, v50, v44, s3
	v_cndmask_b32_e64 v51, v49, v43, s3
	v_cndmask_b32_e64 v26, v44, v50, s3
	v_cndmask_b32_e64 v25, v43, v49, s3
	s_and_b32 s3, vcc_lo, s3
	s_delay_alu instid0(VALU_DEP_3) | instskip(NEXT) | instid1(VALU_DEP_1)
	v_cmp_nlt_f64_e64 s4, v[51:52], v[23:24]
	v_cndmask_b32_e64 v54, v52, v24, s4
	v_cndmask_b32_e64 v53, v51, v23, s4
	;; [unrolled: 1-line block ×4, first 2 shown]
	s_delay_alu instid0(VALU_DEP_3) | instskip(NEXT) | instid1(VALU_DEP_1)
	v_cmp_nlt_f64_e64 s5, v[53:54], v[41:42]
	v_cndmask_b32_e64 v58, v54, v42, s5
	v_cndmask_b32_e64 v57, v53, v41, s5
	;; [unrolled: 1-line block ×4, first 2 shown]
	s_and_b32 s4, s4, s5
	s_delay_alu instid0(VALU_DEP_3) | instskip(NEXT) | instid1(VALU_DEP_1)
	v_cmp_nlt_f64_e64 s6, v[57:58], v[21:22]
	v_cndmask_b32_e64 v60, v58, v22, s6
	v_cndmask_b32_e64 v59, v57, v21, s6
	;; [unrolled: 1-line block ×4, first 2 shown]
	s_delay_alu instid0(VALU_DEP_3) | instskip(NEXT) | instid1(VALU_DEP_1)
	v_cmp_nlt_f64_e64 s7, v[59:60], v[39:40]
	v_cndmask_b32_e64 v62, v60, v40, s7
	v_cndmask_b32_e64 v61, v59, v39, s7
	s_and_b32 s5, s6, s7
	v_cndmask_b32_e64 v22, v40, v60, s7
	v_cndmask_b32_e64 v21, v39, v59, s7
	s_delay_alu instid0(VALU_DEP_3) | instskip(NEXT) | instid1(VALU_DEP_1)
	v_cmp_nlt_f64_e64 s8, v[61:62], v[31:32]
	v_cndmask_b32_e64 v64, v62, v32, s8
	v_cndmask_b32_e64 v63, v61, v31, s8
	s_and_b32 s5, s5, s8
	v_cndmask_b32_e64 v40, v32, v62, s8
	v_cndmask_b32_e64 v39, v31, v61, s8
	;; [unrolled: 7-line block ×5, first 2 shown]
	s_delay_alu instid0(VALU_DEP_3) | instskip(NEXT) | instid1(VALU_DEP_1)
	v_cmp_nlt_f64_e64 s12, v[69:70], v[47:48]
	v_cndmask_b32_e64 v50, v70, v48, s12
	v_cndmask_b32_e64 v49, v69, v47, s12
	s_and_b32 s5, s5, s12
	v_cndmask_b32_e64 v46, v48, v70, s12
	s_and_b32 s4, s5, s4
	;; [unrolled: 2-line block ×3, first 2 shown]
	v_dual_mov_b32 v47, v49 :: v_dual_mov_b32 v48, v50
	s_and_b32 s3, exec_lo, s3
	s_delay_alu instid0(SALU_CYCLE_1) | instskip(NEXT) | instid1(SALU_CYCLE_1)
	s_or_b32 s91, s3, s91
	s_and_not1_b32 exec_lo, exec_lo, s91
	s_cbranch_execnz .LBB168_50
; %bb.51:                               ;   in Loop: Header=BB168_5 Depth=1
	s_or_b32 exec_lo, exec_lo, s91
	v_add_f64 v[9:10], v[9:10], -1.0
	s_mov_b32 s91, s23
	s_mov_b32 s12, s82
	v_cmp_gt_i32_e64 s3, 0, v6
	v_cmp_class_f64_e64 s5, v[5:6], 0x204
	v_cmp_class_f64_e64 s4, v[7:8], 0x204
	s_delay_alu instid0(VALU_DEP_4) | instskip(NEXT) | instid1(VALU_DEP_1)
	v_add_f64 v[9:10], v[9:10], v[25:26]
	v_add_f64 v[9:10], v[9:10], v[43:44]
	s_delay_alu instid0(VALU_DEP_1) | instskip(NEXT) | instid1(VALU_DEP_1)
	v_add_f64 v[9:10], v[9:10], v[23:24]
	v_add_f64 v[9:10], v[9:10], v[41:42]
	s_delay_alu instid0(VALU_DEP_1) | instskip(NEXT) | instid1(VALU_DEP_1)
	;; [unrolled: 3-line block ×5, first 2 shown]
	v_add_f64 v[9:10], v[49:50], v[9:10]
	v_add_f64 v[21:22], v[9:10], 1.0
	s_delay_alu instid0(VALU_DEP_1) | instskip(SKIP_2) | instid1(VALU_DEP_3)
	v_frexp_mant_f64_e32 v[23:24], v[21:22]
	v_frexp_exp_i32_f64_e32 v11, v[21:22]
	v_add_f64 v[25:26], v[21:22], -1.0
	v_cmp_gt_f64_e32 vcc_lo, s[22:23], v[23:24]
	s_delay_alu instid0(VALU_DEP_2) | instskip(SKIP_2) | instid1(VALU_DEP_3)
	v_add_f64 v[23:24], v[25:26], -v[21:22]
	v_add_f64 v[25:26], v[9:10], -v[25:26]
	v_subrev_co_ci_u32_e32 v11, vcc_lo, 0, v11, vcc_lo
	v_add_f64 v[23:24], v[23:24], 1.0
	s_delay_alu instid0(VALU_DEP_2) | instskip(NEXT) | instid1(VALU_DEP_1)
	v_sub_nc_u32_e32 v29, 0, v11
	v_ldexp_f64 v[21:22], v[21:22], v29
	s_delay_alu instid0(VALU_DEP_3) | instskip(NEXT) | instid1(VALU_DEP_2)
	v_add_f64 v[23:24], v[25:26], v[23:24]
	v_add_f64 v[27:28], v[21:22], 1.0
	v_add_f64 v[39:40], v[21:22], -1.0
	s_delay_alu instid0(VALU_DEP_3) | instskip(NEXT) | instid1(VALU_DEP_3)
	v_ldexp_f64 v[23:24], v[23:24], v29
	v_add_f64 v[25:26], v[27:28], -1.0
	s_delay_alu instid0(VALU_DEP_3) | instskip(NEXT) | instid1(VALU_DEP_2)
	v_add_f64 v[41:42], v[39:40], 1.0
	v_add_f64 v[25:26], v[21:22], -v[25:26]
	s_delay_alu instid0(VALU_DEP_2) | instskip(NEXT) | instid1(VALU_DEP_2)
	v_add_f64 v[21:22], v[21:22], -v[41:42]
	v_add_f64 v[25:26], v[23:24], v[25:26]
	s_delay_alu instid0(VALU_DEP_2) | instskip(NEXT) | instid1(VALU_DEP_2)
	v_add_f64 v[21:22], v[23:24], v[21:22]
	v_add_f64 v[29:30], v[27:28], v[25:26]
	s_delay_alu instid0(VALU_DEP_2) | instskip(NEXT) | instid1(VALU_DEP_2)
	v_add_f64 v[41:42], v[39:40], v[21:22]
	v_rcp_f64_e32 v[31:32], v[29:30]
	v_add_f64 v[27:28], v[29:30], -v[27:28]
	s_delay_alu instid0(VALU_DEP_2) | instskip(NEXT) | instid1(VALU_DEP_2)
	v_add_f64 v[39:40], v[41:42], -v[39:40]
	v_add_f64 v[25:26], v[25:26], -v[27:28]
	s_waitcnt_depctr 0xfff
	v_fma_f64 v[43:44], -v[29:30], v[31:32], 1.0
	v_add_f64 v[21:22], v[21:22], -v[39:40]
	s_delay_alu instid0(VALU_DEP_2) | instskip(NEXT) | instid1(VALU_DEP_1)
	v_fma_f64 v[31:32], v[43:44], v[31:32], v[31:32]
	v_fma_f64 v[23:24], -v[29:30], v[31:32], 1.0
	s_delay_alu instid0(VALU_DEP_1) | instskip(NEXT) | instid1(VALU_DEP_1)
	v_fma_f64 v[23:24], v[23:24], v[31:32], v[31:32]
	v_mul_f64 v[31:32], v[41:42], v[23:24]
	s_delay_alu instid0(VALU_DEP_1) | instskip(NEXT) | instid1(VALU_DEP_1)
	v_mul_f64 v[43:44], v[29:30], v[31:32]
	v_fma_f64 v[27:28], v[31:32], v[29:30], -v[43:44]
	s_delay_alu instid0(VALU_DEP_1) | instskip(NEXT) | instid1(VALU_DEP_1)
	v_fma_f64 v[27:28], v[31:32], v[25:26], v[27:28]
	v_add_f64 v[45:46], v[43:44], v[27:28]
	s_delay_alu instid0(VALU_DEP_1) | instskip(SKIP_2) | instid1(VALU_DEP_3)
	v_add_f64 v[47:48], v[41:42], -v[45:46]
	v_add_f64 v[39:40], v[45:46], -v[43:44]
	v_max_f64 v[43:44], |v[7:8]|, |v[7:8]|
	v_add_f64 v[41:42], v[41:42], -v[47:48]
	s_delay_alu instid0(VALU_DEP_3) | instskip(NEXT) | instid1(VALU_DEP_2)
	v_add_f64 v[27:28], v[39:40], -v[27:28]
	v_add_f64 v[41:42], v[41:42], -v[45:46]
	v_max_f64 v[45:46], |v[5:6]|, |v[5:6]|
	v_cndmask_b32_e64 v5, 0x3fe921fb, v56, s3
	s_delay_alu instid0(VALU_DEP_1) | instskip(NEXT) | instid1(VALU_DEP_4)
	v_bfi_b32 v5, 0x7fffffff, v5, v8
	v_add_f64 v[21:22], v[21:22], v[41:42]
	s_delay_alu instid0(VALU_DEP_4) | instskip(SKIP_1) | instid1(VALU_DEP_3)
	v_max_f64 v[49:50], v[45:46], v[43:44]
	v_min_f64 v[43:44], v[45:46], v[43:44]
	v_add_f64 v[21:22], v[27:28], v[21:22]
	s_delay_alu instid0(VALU_DEP_1) | instskip(NEXT) | instid1(VALU_DEP_1)
	v_add_f64 v[27:28], v[47:48], v[21:22]
	v_mul_f64 v[39:40], v[23:24], v[27:28]
	v_add_f64 v[47:48], v[47:48], -v[27:28]
	s_delay_alu instid0(VALU_DEP_2) | instskip(NEXT) | instid1(VALU_DEP_2)
	v_mul_f64 v[41:42], v[29:30], v[39:40]
	v_add_f64 v[21:22], v[21:22], v[47:48]
	s_delay_alu instid0(VALU_DEP_2) | instskip(NEXT) | instid1(VALU_DEP_1)
	v_fma_f64 v[29:30], v[39:40], v[29:30], -v[41:42]
	v_fma_f64 v[25:26], v[39:40], v[25:26], v[29:30]
	v_div_scale_f64 v[29:30], null, v[49:50], v[49:50], v[43:44]
	s_delay_alu instid0(VALU_DEP_2) | instskip(NEXT) | instid1(VALU_DEP_2)
	v_add_f64 v[45:46], v[41:42], v[25:26]
	v_rcp_f64_e32 v[51:52], v[29:30]
	s_delay_alu instid0(VALU_DEP_1)
	v_add_f64 v[53:54], v[27:28], -v[45:46]
	v_add_f64 v[41:42], v[45:46], -v[41:42]
	s_waitcnt_depctr 0xfff
	v_fma_f64 v[57:58], -v[29:30], v[51:52], 1.0
	v_add_f64 v[27:28], v[27:28], -v[53:54]
	v_add_f64 v[25:26], v[41:42], -v[25:26]
	s_delay_alu instid0(VALU_DEP_3) | instskip(NEXT) | instid1(VALU_DEP_3)
	v_fma_f64 v[51:52], v[51:52], v[57:58], v[51:52]
	v_add_f64 v[27:28], v[27:28], -v[45:46]
	s_delay_alu instid0(VALU_DEP_2) | instskip(NEXT) | instid1(VALU_DEP_2)
	v_fma_f64 v[45:46], -v[29:30], v[51:52], 1.0
	v_add_f64 v[21:22], v[21:22], v[27:28]
	v_div_scale_f64 v[27:28], vcc_lo, v[43:44], v[49:50], v[43:44]
	s_delay_alu instid0(VALU_DEP_3) | instskip(SKIP_1) | instid1(VALU_DEP_4)
	v_fma_f64 v[41:42], v[51:52], v[45:46], v[51:52]
	v_add_f64 v[45:46], v[31:32], v[39:40]
	v_add_f64 v[21:22], v[25:26], v[21:22]
	s_delay_alu instid0(VALU_DEP_3) | instskip(NEXT) | instid1(VALU_DEP_3)
	v_mul_f64 v[25:26], v[27:28], v[41:42]
	v_add_f64 v[31:32], v[45:46], -v[31:32]
	s_delay_alu instid0(VALU_DEP_3) | instskip(NEXT) | instid1(VALU_DEP_3)
	v_add_f64 v[21:22], v[53:54], v[21:22]
	v_fma_f64 v[27:28], -v[29:30], v[25:26], v[27:28]
	s_delay_alu instid0(VALU_DEP_3) | instskip(NEXT) | instid1(VALU_DEP_3)
	v_add_f64 v[29:30], v[39:40], -v[31:32]
	v_mul_f64 v[21:22], v[23:24], v[21:22]
	s_delay_alu instid0(VALU_DEP_3) | instskip(SKIP_1) | instid1(VALU_DEP_3)
	v_div_fmas_f64 v[23:24], v[27:28], v[41:42], v[25:26]
	v_cmp_eq_f64_e32 vcc_lo, 0x7ff00000, v[9:10]
	v_add_f64 v[21:22], v[29:30], v[21:22]
	s_delay_alu instid0(VALU_DEP_3) | instskip(NEXT) | instid1(VALU_DEP_2)
	v_div_fixup_f64 v[23:24], v[23:24], v[49:50], v[43:44]
	v_add_f64 v[25:26], v[45:46], v[21:22]
	s_delay_alu instid0(VALU_DEP_2) | instskip(NEXT) | instid1(VALU_DEP_2)
	v_mul_f64 v[27:28], v[23:24], v[23:24]
	v_mul_f64 v[29:30], v[25:26], v[25:26]
	s_delay_alu instid0(VALU_DEP_2) | instskip(NEXT) | instid1(VALU_DEP_2)
	v_fma_f64 v[31:32], v[27:28], s[44:45], s[42:43]
	v_fma_f64 v[39:40], v[29:30], s[26:27], s[24:25]
	v_mul_f64 v[41:42], v[25:26], v[29:30]
	s_delay_alu instid0(VALU_DEP_3) | instskip(NEXT) | instid1(VALU_DEP_3)
	v_fma_f64 v[31:32], v[27:28], v[31:32], s[46:47]
	v_fma_f64 v[39:40], v[29:30], v[39:40], s[28:29]
	s_delay_alu instid0(VALU_DEP_2) | instskip(NEXT) | instid1(VALU_DEP_2)
	v_fma_f64 v[31:32], v[27:28], v[31:32], s[48:49]
	v_fma_f64 v[39:40], v[29:30], v[39:40], s[30:31]
	s_delay_alu instid0(VALU_DEP_2) | instskip(NEXT) | instid1(VALU_DEP_2)
	;; [unrolled: 3-line block ×4, first 2 shown]
	v_fma_f64 v[31:32], v[27:28], v[31:32], s[54:55]
	v_fma_f64 v[29:30], v[29:30], v[39:40], s[90:91]
	v_ldexp_f64 v[39:40], v[25:26], 1
	v_add_f64 v[25:26], v[25:26], -v[45:46]
	s_delay_alu instid0(VALU_DEP_4) | instskip(NEXT) | instid1(VALU_DEP_4)
	v_fma_f64 v[31:32], v[27:28], v[31:32], s[56:57]
	v_mul_f64 v[29:30], v[41:42], v[29:30]
	v_cvt_f64_i32_e32 v[41:42], v11
	s_delay_alu instid0(VALU_DEP_4) | instskip(NEXT) | instid1(VALU_DEP_4)
	v_add_f64 v[21:22], v[21:22], -v[25:26]
	v_fma_f64 v[31:32], v[27:28], v[31:32], s[58:59]
	v_ashrrev_i32_e32 v11, 31, v6
	s_delay_alu instid0(VALU_DEP_1) | instskip(SKIP_4) | instid1(VALU_DEP_4)
	v_and_b32_e32 v6, 0x400921fb, v11
	v_add_f64 v[43:44], v[39:40], v[29:30]
	v_mul_f64 v[45:46], v[41:42], s[38:39]
	v_ldexp_f64 v[21:22], v[21:22], 1
	v_fma_f64 v[31:32], v[27:28], v[31:32], s[60:61]
	v_add_f64 v[25:26], v[43:44], -v[39:40]
	s_delay_alu instid0(VALU_DEP_4) | instskip(NEXT) | instid1(VALU_DEP_3)
	v_fma_f64 v[39:40], v[41:42], s[38:39], -v[45:46]
	v_fma_f64 v[31:32], v[27:28], v[31:32], s[62:63]
	s_delay_alu instid0(VALU_DEP_3) | instskip(NEXT) | instid1(VALU_DEP_2)
	v_add_f64 v[25:26], v[29:30], -v[25:26]
	v_fma_f64 v[29:30], v[27:28], v[31:32], s[64:65]
	s_delay_alu instid0(VALU_DEP_4) | instskip(NEXT) | instid1(VALU_DEP_3)
	v_fma_f64 v[31:32], v[41:42], s[40:41], v[39:40]
	v_add_f64 v[21:22], v[21:22], v[25:26]
	s_delay_alu instid0(VALU_DEP_3) | instskip(NEXT) | instid1(VALU_DEP_3)
	v_fma_f64 v[25:26], v[27:28], v[29:30], s[66:67]
	v_add_f64 v[29:30], v[45:46], v[31:32]
	s_delay_alu instid0(VALU_DEP_3) | instskip(NEXT) | instid1(VALU_DEP_3)
	v_add_f64 v[39:40], v[43:44], v[21:22]
	v_fma_f64 v[25:26], v[27:28], v[25:26], s[68:69]
	s_delay_alu instid0(VALU_DEP_3) | instskip(NEXT) | instid1(VALU_DEP_3)
	v_add_f64 v[45:46], v[29:30], -v[45:46]
	v_add_f64 v[41:42], v[29:30], v[39:40]
	v_add_f64 v[43:44], v[39:40], -v[43:44]
	s_delay_alu instid0(VALU_DEP_4) | instskip(NEXT) | instid1(VALU_DEP_4)
	v_fma_f64 v[25:26], v[27:28], v[25:26], s[70:71]
	v_add_f64 v[31:32], v[31:32], -v[45:46]
	s_delay_alu instid0(VALU_DEP_4) | instskip(NEXT) | instid1(VALU_DEP_4)
	v_add_f64 v[47:48], v[41:42], -v[29:30]
	v_add_f64 v[21:22], v[21:22], -v[43:44]
	s_delay_alu instid0(VALU_DEP_4) | instskip(NEXT) | instid1(VALU_DEP_3)
	v_fma_f64 v[25:26], v[27:28], v[25:26], s[72:73]
	v_add_f64 v[49:50], v[41:42], -v[47:48]
	v_add_f64 v[39:40], v[39:40], -v[47:48]
	s_delay_alu instid0(VALU_DEP_4) | instskip(NEXT) | instid1(VALU_DEP_4)
	v_add_f64 v[43:44], v[31:32], v[21:22]
	v_fma_f64 v[25:26], v[27:28], v[25:26], s[74:75]
	s_delay_alu instid0(VALU_DEP_4) | instskip(NEXT) | instid1(VALU_DEP_2)
	v_add_f64 v[29:30], v[29:30], -v[49:50]
	v_fma_f64 v[25:26], v[27:28], v[25:26], s[76:77]
	s_delay_alu instid0(VALU_DEP_2) | instskip(SKIP_1) | instid1(VALU_DEP_3)
	v_add_f64 v[29:30], v[39:40], v[29:30]
	v_add_f64 v[39:40], v[43:44], -v[31:32]
	v_fma_f64 v[25:26], v[27:28], v[25:26], s[78:79]
	s_delay_alu instid0(VALU_DEP_3) | instskip(NEXT) | instid1(VALU_DEP_3)
	v_add_f64 v[29:30], v[43:44], v[29:30]
	v_add_f64 v[43:44], v[43:44], -v[39:40]
	v_add_f64 v[21:22], v[21:22], -v[39:40]
	s_delay_alu instid0(VALU_DEP_4) | instskip(NEXT) | instid1(VALU_DEP_4)
	v_fma_f64 v[25:26], v[27:28], v[25:26], s[80:81]
	v_add_f64 v[45:46], v[41:42], v[29:30]
	s_delay_alu instid0(VALU_DEP_2) | instskip(SKIP_1) | instid1(VALU_DEP_3)
	v_mul_f64 v[25:26], v[27:28], v[25:26]
	v_add_f64 v[27:28], v[31:32], -v[43:44]
	v_add_f64 v[31:32], v[45:46], -v[41:42]
	s_delay_alu instid0(VALU_DEP_3) | instskip(NEXT) | instid1(VALU_DEP_3)
	v_fma_f64 v[23:24], v[23:24], v[25:26], v[23:24]
	v_add_f64 v[21:22], v[21:22], v[27:28]
	s_delay_alu instid0(VALU_DEP_3) | instskip(NEXT) | instid1(VALU_DEP_3)
	v_add_f64 v[25:26], v[29:30], -v[31:32]
	v_add_f64 v[27:28], -v[23:24], s[82:83]
	s_delay_alu instid0(VALU_DEP_2) | instskip(NEXT) | instid1(VALU_DEP_2)
	v_add_f64 v[21:22], v[21:22], v[25:26]
	v_cndmask_b32_e64 v24, v24, v28, s2
	s_delay_alu instid0(VALU_DEP_3) | instskip(SKIP_1) | instid1(VALU_DEP_2)
	v_cndmask_b32_e64 v23, v23, v27, s2
	v_cndmask_b32_e64 v27, 0x54442d18, v55, s3
	v_add_f64 v[25:26], -v[23:24], s[12:13]
	v_add_f64 v[21:22], v[45:46], v[21:22]
	v_and_b32_e32 v28, 0x54442d18, v11
	s_delay_alu instid0(VALU_DEP_3) | instskip(NEXT) | instid1(VALU_DEP_4)
	v_cndmask_b32_e64 v23, v23, v25, s3
	v_cndmask_b32_e64 v11, v24, v26, s3
	v_cmp_nge_f64_e64 s3, -1.0, v[9:10]
	v_dual_cndmask_b32 v21, v21, v9 :: v_dual_cndmask_b32 v22, v22, v10
	v_cmp_eq_f64_e32 vcc_lo, 0, v[7:8]
	v_cndmask_b32_e32 v23, v23, v28, vcc_lo
	s_delay_alu instid0(VALU_DEP_3) | instskip(SKIP_2) | instid1(VALU_DEP_3)
	v_mul_f64 v[21:22], v[21:22], 0.5
	v_cndmask_b32_e32 v6, v11, v6, vcc_lo
	v_cmp_ngt_f64_e32 vcc_lo, -1.0, v[9:10]
	v_cndmask_b32_e64 v21, 0, v21, s3
	v_cmp_neq_f64_e64 s3, -1.0, v[9:10]
	v_cndmask_b32_e32 v11, 0x7ff80000, v22, vcc_lo
	s_and_b32 vcc_lo, s5, s4
	v_dual_cndmask_b32 v24, v6, v5 :: v_dual_cndmask_b32 v23, v23, v27
	s_delay_alu instid0(VALU_DEP_2)
	v_cndmask_b32_e64 v22, 0xfff00000, v11, s3
.LBB168_52:                             ;   in Loop: Header=BB168_5 Depth=1
	s_or_b32 exec_lo, exec_lo, s103
.LBB168_53:                             ;   in Loop: Header=BB168_5 Depth=1
	s_delay_alu instid0(SALU_CYCLE_1)
	s_or_b32 exec_lo, exec_lo, s102
.LBB168_54:                             ;   in Loop: Header=BB168_5 Depth=1
	s_and_not1_saveexec_b32 s5, s101
	s_cbranch_execz .LBB168_56
; %bb.55:                               ;   in Loop: Header=BB168_5 Depth=1
	v_max_f64 v[9:10], |v[7:8]|, |v[7:8]|
	v_max_f64 v[21:22], |v[5:6]|, |v[5:6]|
	v_cmp_class_f64_e64 s6, v[5:6], 0x204
	v_cmp_class_f64_e64 s7, v[7:8], 0x204
	s_mov_b32 s91, s23
	s_mov_b32 s12, s82
	v_cmp_eq_f64_e64 s4, 0, v[7:8]
	s_delay_alu instid0(VALU_DEP_4) | instskip(SKIP_1) | instid1(VALU_DEP_4)
	v_max_f64 v[23:24], v[21:22], v[9:10]
	v_min_f64 v[9:10], v[21:22], v[9:10]
	s_or_b32 s8, s6, s7
	s_delay_alu instid0(VALU_DEP_2) | instskip(NEXT) | instid1(VALU_DEP_1)
	v_frexp_exp_i32_f64_e32 v11, v[23:24]
	v_sub_nc_u32_e32 v27, 0, v11
	s_delay_alu instid0(VALU_DEP_1) | instskip(SKIP_1) | instid1(VALU_DEP_2)
	v_ldexp_f64 v[25:26], |v[7:8]|, v27
	v_ldexp_f64 v[27:28], |v[5:6]|, v27
	v_mul_f64 v[25:26], v[25:26], v[25:26]
	s_delay_alu instid0(VALU_DEP_1) | instskip(NEXT) | instid1(VALU_DEP_1)
	v_fma_f64 v[25:26], v[27:28], v[27:28], v[25:26]
	v_rsq_f64_e32 v[27:28], v[25:26]
	v_cmp_eq_f64_e32 vcc_lo, 0, v[25:26]
	s_waitcnt_depctr 0xfff
	v_mul_f64 v[29:30], v[25:26], v[27:28]
	v_mul_f64 v[27:28], v[27:28], 0.5
	s_delay_alu instid0(VALU_DEP_1) | instskip(NEXT) | instid1(VALU_DEP_1)
	v_fma_f64 v[31:32], -v[27:28], v[29:30], 0.5
	v_fma_f64 v[29:30], v[29:30], v[31:32], v[29:30]
	v_fma_f64 v[27:28], v[27:28], v[31:32], v[27:28]
	s_delay_alu instid0(VALU_DEP_2) | instskip(NEXT) | instid1(VALU_DEP_1)
	v_fma_f64 v[31:32], -v[29:30], v[29:30], v[25:26]
	v_fma_f64 v[27:28], v[31:32], v[27:28], v[29:30]
	s_delay_alu instid0(VALU_DEP_1) | instskip(SKIP_1) | instid1(VALU_DEP_2)
	v_dual_cndmask_b32 v26, v28, v26 :: v_dual_cndmask_b32 v25, v27, v25
	v_div_scale_f64 v[53:54], vcc_lo, v[9:10], v[23:24], v[9:10]
	v_ldexp_f64 v[25:26], v[25:26], v11
	s_delay_alu instid0(VALU_DEP_1) | instskip(NEXT) | instid1(VALU_DEP_2)
	v_cndmask_b32_e64 v28, v26, 0x7ff00000, s8
	v_cndmask_b32_e64 v27, v25, 0, s8
	s_delay_alu instid0(VALU_DEP_1) | instskip(SKIP_1) | instid1(VALU_DEP_2)
	v_frexp_mant_f64_e32 v[29:30], v[27:28]
	v_frexp_exp_i32_f64_e32 v5, v[27:28]
	v_cmp_gt_f64_e64 s3, s[22:23], v[29:30]
	s_delay_alu instid0(VALU_DEP_1) | instskip(NEXT) | instid1(VALU_DEP_1)
	v_cndmask_b32_e64 v34, 0x3ff00000, 2.0, s3
	v_mul_f64 v[29:30], v[29:30], v[33:34]
	s_delay_alu instid0(VALU_DEP_1) | instskip(SKIP_1) | instid1(VALU_DEP_2)
	v_add_f64 v[31:32], v[29:30], 1.0
	v_add_f64 v[43:44], v[29:30], -1.0
	v_rcp_f64_e32 v[39:40], v[31:32]
	v_add_f64 v[45:46], v[31:32], -1.0
	s_delay_alu instid0(VALU_DEP_1) | instskip(SKIP_2) | instid1(VALU_DEP_1)
	v_add_f64 v[29:30], v[29:30], -v[45:46]
	s_waitcnt_depctr 0xfff
	v_fma_f64 v[41:42], -v[31:32], v[39:40], 1.0
	v_fma_f64 v[39:40], v[41:42], v[39:40], v[39:40]
	s_delay_alu instid0(VALU_DEP_1) | instskip(NEXT) | instid1(VALU_DEP_1)
	v_fma_f64 v[41:42], -v[31:32], v[39:40], 1.0
	v_fma_f64 v[39:40], v[41:42], v[39:40], v[39:40]
	v_div_scale_f64 v[41:42], null, v[23:24], v[23:24], v[9:10]
	s_delay_alu instid0(VALU_DEP_2) | instskip(NEXT) | instid1(VALU_DEP_2)
	v_mul_f64 v[21:22], v[43:44], v[39:40]
	v_rcp_f64_e32 v[49:50], v[41:42]
	s_delay_alu instid0(VALU_DEP_1) | instskip(SKIP_3) | instid1(VALU_DEP_1)
	v_mul_f64 v[47:48], v[31:32], v[21:22]
	s_waitcnt_depctr 0xfff
	v_fma_f64 v[45:46], -v[41:42], v[49:50], 1.0
	v_fma_f64 v[31:32], v[21:22], v[31:32], -v[47:48]
	v_fma_f64 v[29:30], v[21:22], v[29:30], v[31:32]
	s_delay_alu instid0(VALU_DEP_3) | instskip(NEXT) | instid1(VALU_DEP_2)
	v_fma_f64 v[31:32], v[49:50], v[45:46], v[49:50]
	v_add_f64 v[45:46], v[47:48], v[29:30]
	s_delay_alu instid0(VALU_DEP_2) | instskip(NEXT) | instid1(VALU_DEP_2)
	v_fma_f64 v[49:50], -v[41:42], v[31:32], 1.0
	v_add_f64 v[51:52], v[43:44], -v[45:46]
	s_delay_alu instid0(VALU_DEP_2) | instskip(SKIP_1) | instid1(VALU_DEP_3)
	v_fma_f64 v[31:32], v[31:32], v[49:50], v[31:32]
	v_add_f64 v[47:48], v[45:46], -v[47:48]
	v_add_f64 v[43:44], v[43:44], -v[51:52]
	s_delay_alu instid0(VALU_DEP_3) | instskip(NEXT) | instid1(VALU_DEP_3)
	v_mul_f64 v[49:50], v[53:54], v[31:32]
	v_add_f64 v[29:30], v[47:48], -v[29:30]
	s_delay_alu instid0(VALU_DEP_3) | instskip(NEXT) | instid1(VALU_DEP_3)
	v_add_f64 v[43:44], v[43:44], -v[45:46]
	v_fma_f64 v[41:42], -v[41:42], v[49:50], v[53:54]
	s_delay_alu instid0(VALU_DEP_2) | instskip(NEXT) | instid1(VALU_DEP_2)
	v_add_f64 v[29:30], v[29:30], v[43:44]
	v_div_fmas_f64 v[31:32], v[41:42], v[31:32], v[49:50]
	v_subrev_co_ci_u32_e64 v5, vcc_lo, 0, v5, s3
	v_cmp_class_f64_e64 s3, v[25:26], 0x204
	v_cmp_gt_i32_e32 vcc_lo, 0, v6
	v_add_f64 v[29:30], v[51:52], v[29:30]
	v_div_fixup_f64 v[9:10], v[31:32], v[23:24], v[9:10]
	s_delay_alu instid0(VALU_DEP_2) | instskip(NEXT) | instid1(VALU_DEP_2)
	v_mul_f64 v[23:24], v[39:40], v[29:30]
	v_mul_f64 v[29:30], v[9:10], v[9:10]
	s_delay_alu instid0(VALU_DEP_2) | instskip(NEXT) | instid1(VALU_DEP_2)
	v_add_f64 v[31:32], v[21:22], v[23:24]
	v_fma_f64 v[39:40], v[29:30], s[44:45], s[42:43]
	s_delay_alu instid0(VALU_DEP_2) | instskip(NEXT) | instid1(VALU_DEP_2)
	v_mul_f64 v[41:42], v[31:32], v[31:32]
	v_fma_f64 v[39:40], v[29:30], v[39:40], s[46:47]
	v_add_f64 v[21:22], v[31:32], -v[21:22]
	s_delay_alu instid0(VALU_DEP_3) | instskip(NEXT) | instid1(VALU_DEP_3)
	v_fma_f64 v[43:44], v[41:42], s[26:27], s[24:25]
	v_fma_f64 v[39:40], v[29:30], v[39:40], s[48:49]
	v_mul_f64 v[45:46], v[31:32], v[41:42]
	s_delay_alu instid0(VALU_DEP_4) | instskip(NEXT) | instid1(VALU_DEP_4)
	v_add_f64 v[21:22], v[23:24], -v[21:22]
	v_fma_f64 v[43:44], v[41:42], v[43:44], s[28:29]
	s_delay_alu instid0(VALU_DEP_4) | instskip(NEXT) | instid1(VALU_DEP_3)
	v_fma_f64 v[39:40], v[29:30], v[39:40], s[50:51]
	v_ldexp_f64 v[21:22], v[21:22], 1
	s_delay_alu instid0(VALU_DEP_3) | instskip(NEXT) | instid1(VALU_DEP_3)
	v_fma_f64 v[43:44], v[41:42], v[43:44], s[30:31]
	v_fma_f64 v[39:40], v[29:30], v[39:40], s[52:53]
	s_delay_alu instid0(VALU_DEP_2) | instskip(NEXT) | instid1(VALU_DEP_2)
	v_fma_f64 v[43:44], v[41:42], v[43:44], s[34:35]
	v_fma_f64 v[39:40], v[29:30], v[39:40], s[54:55]
	s_delay_alu instid0(VALU_DEP_2) | instskip(NEXT) | instid1(VALU_DEP_2)
	;; [unrolled: 3-line block ×3, first 2 shown]
	v_fma_f64 v[41:42], v[41:42], v[43:44], s[90:91]
	v_fma_f64 v[39:40], v[29:30], v[39:40], s[58:59]
	v_ldexp_f64 v[43:44], v[31:32], 1
	s_delay_alu instid0(VALU_DEP_3) | instskip(NEXT) | instid1(VALU_DEP_3)
	v_mul_f64 v[41:42], v[45:46], v[41:42]
	v_fma_f64 v[39:40], v[29:30], v[39:40], s[60:61]
	v_cvt_f64_i32_e32 v[45:46], v5
	v_ashrrev_i32_e32 v5, 31, v6
	s_delay_alu instid0(VALU_DEP_1) | instskip(SKIP_4) | instid1(VALU_DEP_3)
	v_dual_cndmask_b32 v6, 0x54442d18, v55 :: v_dual_and_b32 v11, 0x54442d18, v5
	v_and_b32_e32 v5, 0x400921fb, v5
	v_add_f64 v[31:32], v[43:44], v[41:42]
	v_fma_f64 v[39:40], v[29:30], v[39:40], s[62:63]
	v_mul_f64 v[47:48], v[45:46], s[38:39]
	v_add_f64 v[23:24], v[31:32], -v[43:44]
	s_delay_alu instid0(VALU_DEP_3) | instskip(NEXT) | instid1(VALU_DEP_3)
	v_fma_f64 v[39:40], v[29:30], v[39:40], s[64:65]
	v_fma_f64 v[43:44], v[45:46], s[38:39], -v[47:48]
	s_delay_alu instid0(VALU_DEP_3) | instskip(NEXT) | instid1(VALU_DEP_3)
	v_add_f64 v[23:24], v[41:42], -v[23:24]
	v_fma_f64 v[39:40], v[29:30], v[39:40], s[66:67]
	s_delay_alu instid0(VALU_DEP_3) | instskip(NEXT) | instid1(VALU_DEP_3)
	v_fma_f64 v[41:42], v[45:46], s[40:41], v[43:44]
	v_add_f64 v[21:22], v[21:22], v[23:24]
	s_delay_alu instid0(VALU_DEP_3) | instskip(NEXT) | instid1(VALU_DEP_3)
	v_fma_f64 v[23:24], v[29:30], v[39:40], s[68:69]
	v_add_f64 v[39:40], v[47:48], v[41:42]
	s_delay_alu instid0(VALU_DEP_3) | instskip(NEXT) | instid1(VALU_DEP_3)
	v_add_f64 v[43:44], v[31:32], v[21:22]
	v_fma_f64 v[23:24], v[29:30], v[23:24], s[70:71]
	s_delay_alu instid0(VALU_DEP_3) | instskip(NEXT) | instid1(VALU_DEP_3)
	v_add_f64 v[47:48], v[39:40], -v[47:48]
	v_add_f64 v[45:46], v[39:40], v[43:44]
	s_delay_alu instid0(VALU_DEP_3) | instskip(SKIP_1) | instid1(VALU_DEP_4)
	v_fma_f64 v[23:24], v[29:30], v[23:24], s[72:73]
	v_add_f64 v[31:32], v[43:44], -v[31:32]
	v_add_f64 v[41:42], v[41:42], -v[47:48]
	s_delay_alu instid0(VALU_DEP_4) | instskip(NEXT) | instid1(VALU_DEP_4)
	v_add_f64 v[49:50], v[45:46], -v[39:40]
	v_fma_f64 v[23:24], v[29:30], v[23:24], s[74:75]
	s_delay_alu instid0(VALU_DEP_4) | instskip(NEXT) | instid1(VALU_DEP_3)
	v_add_f64 v[21:22], v[21:22], -v[31:32]
	v_add_f64 v[51:52], v[45:46], -v[49:50]
	s_delay_alu instid0(VALU_DEP_3) | instskip(SKIP_1) | instid1(VALU_DEP_4)
	v_fma_f64 v[23:24], v[29:30], v[23:24], s[76:77]
	v_add_f64 v[31:32], v[43:44], -v[49:50]
	v_add_f64 v[43:44], v[41:42], v[21:22]
	s_delay_alu instid0(VALU_DEP_4) | instskip(NEXT) | instid1(VALU_DEP_4)
	v_add_f64 v[39:40], v[39:40], -v[51:52]
	v_fma_f64 v[23:24], v[29:30], v[23:24], s[78:79]
	s_delay_alu instid0(VALU_DEP_2) | instskip(NEXT) | instid1(VALU_DEP_2)
	v_add_f64 v[31:32], v[31:32], v[39:40]
	v_fma_f64 v[23:24], v[29:30], v[23:24], s[80:81]
	v_add_f64 v[39:40], v[43:44], -v[41:42]
	s_delay_alu instid0(VALU_DEP_3) | instskip(NEXT) | instid1(VALU_DEP_3)
	v_add_f64 v[31:32], v[43:44], v[31:32]
	v_mul_f64 v[23:24], v[29:30], v[23:24]
	s_delay_alu instid0(VALU_DEP_3) | instskip(SKIP_1) | instid1(VALU_DEP_4)
	v_add_f64 v[29:30], v[43:44], -v[39:40]
	v_add_f64 v[21:22], v[21:22], -v[39:40]
	v_add_f64 v[43:44], v[45:46], v[31:32]
	s_delay_alu instid0(VALU_DEP_4) | instskip(NEXT) | instid1(VALU_DEP_4)
	v_fma_f64 v[9:10], v[9:10], v[23:24], v[9:10]
	v_add_f64 v[23:24], v[41:42], -v[29:30]
	s_delay_alu instid0(VALU_DEP_3) | instskip(NEXT) | instid1(VALU_DEP_3)
	v_add_f64 v[29:30], v[43:44], -v[45:46]
	v_add_f64 v[39:40], -v[9:10], s[82:83]
	s_delay_alu instid0(VALU_DEP_3) | instskip(NEXT) | instid1(VALU_DEP_3)
	v_add_f64 v[21:22], v[21:22], v[23:24]
	v_add_f64 v[23:24], v[31:32], -v[29:30]
	s_delay_alu instid0(VALU_DEP_3) | instskip(NEXT) | instid1(VALU_DEP_4)
	v_cndmask_b32_e64 v10, v10, v40, s2
	v_cndmask_b32_e64 v9, v9, v39, s2
	s_delay_alu instid0(VALU_DEP_3) | instskip(NEXT) | instid1(VALU_DEP_2)
	v_add_f64 v[21:22], v[21:22], v[23:24]
	v_add_f64 v[23:24], -v[9:10], s[12:13]
	s_delay_alu instid0(VALU_DEP_2) | instskip(NEXT) | instid1(VALU_DEP_2)
	v_add_f64 v[21:22], v[43:44], v[21:22]
	v_dual_cndmask_b32 v9, v9, v23 :: v_dual_cndmask_b32 v10, v10, v24
	v_cndmask_b32_e32 v23, 0x3fe921fb, v56, vcc_lo
	v_cmp_ngt_f64_e32 vcc_lo, 0, v[27:28]
	s_delay_alu instid0(VALU_DEP_3) | instskip(NEXT) | instid1(VALU_DEP_4)
	v_cndmask_b32_e64 v9, v9, v11, s4
	v_cndmask_b32_e64 v5, v10, v5, s4
	s_delay_alu instid0(VALU_DEP_4) | instskip(SKIP_3) | instid1(VALU_DEP_3)
	v_bfi_b32 v23, 0x7fffffff, v23, v8
	v_cndmask_b32_e64 v22, v22, v26, s3
	v_cndmask_b32_e64 v21, v21, v25, s3
	v_cmp_nge_f64_e64 s3, 0, v[27:28]
	v_cndmask_b32_e64 v22, v22, 0x7ff00000, s8
	s_delay_alu instid0(VALU_DEP_3) | instskip(NEXT) | instid1(VALU_DEP_2)
	v_cndmask_b32_e64 v10, v21, 0, s8
	v_cndmask_b32_e32 v11, 0x7ff80000, v22, vcc_lo
	s_and_b32 vcc_lo, s6, s7
	v_cndmask_b32_e32 v24, v5, v23, vcc_lo
	v_cndmask_b32_e32 v23, v9, v6, vcc_lo
	v_cndmask_b32_e64 v21, 0, v10, s3
	v_cmp_neq_f64_e64 s3, 0, v[27:28]
	s_delay_alu instid0(VALU_DEP_1)
	v_cndmask_b32_e64 v22, 0xfff00000, v11, s3
.LBB168_56:                             ;   in Loop: Header=BB168_5 Depth=1
	s_or_b32 exec_lo, exec_lo, s5
                                        ; implicit-def: $vgpr25_vgpr26
.LBB168_57:                             ;   in Loop: Header=BB168_5 Depth=1
	s_and_not1_saveexec_b32 s5, s97
	s_cbranch_execz .LBB168_63
; %bb.58:                               ;   in Loop: Header=BB168_5 Depth=1
                                        ; implicit-def: $vgpr21_vgpr22
	s_mov_b32 s3, exec_lo
	v_cmpx_ngt_f64_e32 s[86:87], v[25:26]
	s_xor_b32 s6, exec_lo, s3
	s_cbranch_execz .LBB168_60
; %bb.59:                               ;   in Loop: Header=BB168_5 Depth=1
	v_mul_f64 v[9:10], v[25:26], v[25:26]
	s_mov_b32 s91, s23
	s_mov_b32 s12, s82
	v_cmp_eq_f64_e64 s4, 0, v[7:8]
	v_cmp_class_f64_e64 s7, v[7:8], 0x204
	v_cmp_class_f64_e64 s8, v[5:6], 0x204
	v_cmp_gt_i32_e64 s3, 0, v6
	v_add_f64 v[21:22], v[9:10], 1.0
	s_delay_alu instid0(VALU_DEP_1) | instskip(SKIP_2) | instid1(VALU_DEP_3)
	v_frexp_mant_f64_e32 v[23:24], v[21:22]
	v_frexp_exp_i32_f64_e32 v11, v[21:22]
	v_add_f64 v[25:26], v[21:22], -1.0
	v_cmp_gt_f64_e32 vcc_lo, s[22:23], v[23:24]
	s_delay_alu instid0(VALU_DEP_2) | instskip(SKIP_2) | instid1(VALU_DEP_3)
	v_add_f64 v[23:24], v[25:26], -v[21:22]
	v_add_f64 v[25:26], v[9:10], -v[25:26]
	v_subrev_co_ci_u32_e32 v11, vcc_lo, 0, v11, vcc_lo
	v_add_f64 v[23:24], v[23:24], 1.0
	s_delay_alu instid0(VALU_DEP_2) | instskip(NEXT) | instid1(VALU_DEP_1)
	v_sub_nc_u32_e32 v29, 0, v11
	v_ldexp_f64 v[21:22], v[21:22], v29
	s_delay_alu instid0(VALU_DEP_3) | instskip(NEXT) | instid1(VALU_DEP_2)
	v_add_f64 v[23:24], v[25:26], v[23:24]
	v_add_f64 v[27:28], v[21:22], 1.0
	v_add_f64 v[39:40], v[21:22], -1.0
	s_delay_alu instid0(VALU_DEP_3) | instskip(NEXT) | instid1(VALU_DEP_3)
	v_ldexp_f64 v[23:24], v[23:24], v29
	v_add_f64 v[25:26], v[27:28], -1.0
	s_delay_alu instid0(VALU_DEP_3) | instskip(NEXT) | instid1(VALU_DEP_2)
	v_add_f64 v[41:42], v[39:40], 1.0
	v_add_f64 v[25:26], v[21:22], -v[25:26]
	s_delay_alu instid0(VALU_DEP_2) | instskip(NEXT) | instid1(VALU_DEP_2)
	v_add_f64 v[21:22], v[21:22], -v[41:42]
	v_add_f64 v[25:26], v[23:24], v[25:26]
	s_delay_alu instid0(VALU_DEP_2) | instskip(NEXT) | instid1(VALU_DEP_2)
	v_add_f64 v[21:22], v[23:24], v[21:22]
	v_add_f64 v[29:30], v[27:28], v[25:26]
	s_delay_alu instid0(VALU_DEP_2) | instskip(NEXT) | instid1(VALU_DEP_2)
	v_add_f64 v[41:42], v[39:40], v[21:22]
	v_rcp_f64_e32 v[31:32], v[29:30]
	v_add_f64 v[27:28], v[27:28], -v[29:30]
	s_delay_alu instid0(VALU_DEP_2) | instskip(NEXT) | instid1(VALU_DEP_2)
	v_add_f64 v[39:40], v[39:40], -v[41:42]
	v_add_f64 v[25:26], v[25:26], v[27:28]
	s_waitcnt_depctr 0xfff
	v_fma_f64 v[43:44], -v[29:30], v[31:32], 1.0
	v_add_f64 v[21:22], v[21:22], v[39:40]
	s_delay_alu instid0(VALU_DEP_2) | instskip(NEXT) | instid1(VALU_DEP_1)
	v_fma_f64 v[31:32], v[43:44], v[31:32], v[31:32]
	v_fma_f64 v[23:24], -v[29:30], v[31:32], 1.0
	s_delay_alu instid0(VALU_DEP_1) | instskip(NEXT) | instid1(VALU_DEP_1)
	v_fma_f64 v[23:24], v[23:24], v[31:32], v[31:32]
	v_mul_f64 v[31:32], v[41:42], v[23:24]
	s_delay_alu instid0(VALU_DEP_1) | instskip(NEXT) | instid1(VALU_DEP_1)
	v_mul_f64 v[43:44], v[29:30], v[31:32]
	v_fma_f64 v[27:28], v[31:32], v[29:30], -v[43:44]
	s_delay_alu instid0(VALU_DEP_1) | instskip(NEXT) | instid1(VALU_DEP_1)
	v_fma_f64 v[27:28], v[31:32], v[25:26], v[27:28]
	v_add_f64 v[45:46], v[43:44], v[27:28]
	s_delay_alu instid0(VALU_DEP_1) | instskip(SKIP_2) | instid1(VALU_DEP_3)
	v_add_f64 v[47:48], v[41:42], -v[45:46]
	v_add_f64 v[39:40], v[45:46], -v[43:44]
	v_max_f64 v[43:44], |v[7:8]|, |v[7:8]|
	v_add_f64 v[41:42], v[41:42], -v[47:48]
	s_delay_alu instid0(VALU_DEP_3) | instskip(NEXT) | instid1(VALU_DEP_2)
	v_add_f64 v[27:28], v[39:40], -v[27:28]
	v_add_f64 v[41:42], v[41:42], -v[45:46]
	v_max_f64 v[45:46], |v[5:6]|, |v[5:6]|
	s_delay_alu instid0(VALU_DEP_2) | instskip(NEXT) | instid1(VALU_DEP_2)
	v_add_f64 v[21:22], v[21:22], v[41:42]
	v_max_f64 v[49:50], v[45:46], v[43:44]
	v_min_f64 v[43:44], v[45:46], v[43:44]
	s_delay_alu instid0(VALU_DEP_3) | instskip(NEXT) | instid1(VALU_DEP_1)
	v_add_f64 v[21:22], v[27:28], v[21:22]
	v_add_f64 v[27:28], v[47:48], v[21:22]
	s_delay_alu instid0(VALU_DEP_1) | instskip(SKIP_1) | instid1(VALU_DEP_2)
	v_mul_f64 v[39:40], v[23:24], v[27:28]
	v_add_f64 v[47:48], v[47:48], -v[27:28]
	v_mul_f64 v[41:42], v[29:30], v[39:40]
	s_delay_alu instid0(VALU_DEP_2) | instskip(NEXT) | instid1(VALU_DEP_2)
	v_add_f64 v[21:22], v[21:22], v[47:48]
	v_fma_f64 v[29:30], v[39:40], v[29:30], -v[41:42]
	s_delay_alu instid0(VALU_DEP_1) | instskip(SKIP_1) | instid1(VALU_DEP_2)
	v_fma_f64 v[25:26], v[39:40], v[25:26], v[29:30]
	v_div_scale_f64 v[29:30], null, v[49:50], v[49:50], v[43:44]
	v_add_f64 v[45:46], v[41:42], v[25:26]
	s_delay_alu instid0(VALU_DEP_2) | instskip(NEXT) | instid1(VALU_DEP_1)
	v_rcp_f64_e32 v[51:52], v[29:30]
	v_add_f64 v[53:54], v[27:28], -v[45:46]
	v_add_f64 v[41:42], v[45:46], -v[41:42]
	s_waitcnt_depctr 0xfff
	v_fma_f64 v[57:58], -v[29:30], v[51:52], 1.0
	v_add_f64 v[27:28], v[27:28], -v[53:54]
	v_add_f64 v[25:26], v[41:42], -v[25:26]
	s_delay_alu instid0(VALU_DEP_3) | instskip(NEXT) | instid1(VALU_DEP_3)
	v_fma_f64 v[51:52], v[51:52], v[57:58], v[51:52]
	v_add_f64 v[27:28], v[27:28], -v[45:46]
	s_delay_alu instid0(VALU_DEP_2) | instskip(NEXT) | instid1(VALU_DEP_2)
	v_fma_f64 v[45:46], -v[29:30], v[51:52], 1.0
	v_add_f64 v[21:22], v[21:22], v[27:28]
	v_div_scale_f64 v[27:28], vcc_lo, v[43:44], v[49:50], v[43:44]
	s_delay_alu instid0(VALU_DEP_3) | instskip(SKIP_1) | instid1(VALU_DEP_4)
	v_fma_f64 v[41:42], v[51:52], v[45:46], v[51:52]
	v_add_f64 v[45:46], v[31:32], v[39:40]
	v_add_f64 v[21:22], v[25:26], v[21:22]
	s_delay_alu instid0(VALU_DEP_3) | instskip(NEXT) | instid1(VALU_DEP_3)
	v_mul_f64 v[25:26], v[27:28], v[41:42]
	v_add_f64 v[31:32], v[45:46], -v[31:32]
	s_delay_alu instid0(VALU_DEP_3) | instskip(NEXT) | instid1(VALU_DEP_3)
	v_add_f64 v[21:22], v[53:54], v[21:22]
	v_fma_f64 v[27:28], -v[29:30], v[25:26], v[27:28]
	s_delay_alu instid0(VALU_DEP_3) | instskip(NEXT) | instid1(VALU_DEP_3)
	v_add_f64 v[29:30], v[39:40], -v[31:32]
	v_mul_f64 v[21:22], v[23:24], v[21:22]
	s_delay_alu instid0(VALU_DEP_3) | instskip(SKIP_1) | instid1(VALU_DEP_3)
	v_div_fmas_f64 v[23:24], v[27:28], v[41:42], v[25:26]
	v_cmp_eq_f64_e32 vcc_lo, 0x7ff00000, v[9:10]
	v_add_f64 v[21:22], v[29:30], v[21:22]
	s_delay_alu instid0(VALU_DEP_3) | instskip(NEXT) | instid1(VALU_DEP_2)
	v_div_fixup_f64 v[23:24], v[23:24], v[49:50], v[43:44]
	v_add_f64 v[25:26], v[45:46], v[21:22]
	s_delay_alu instid0(VALU_DEP_2) | instskip(NEXT) | instid1(VALU_DEP_2)
	v_mul_f64 v[27:28], v[23:24], v[23:24]
	v_mul_f64 v[29:30], v[25:26], v[25:26]
	s_delay_alu instid0(VALU_DEP_2) | instskip(NEXT) | instid1(VALU_DEP_2)
	v_fma_f64 v[31:32], v[27:28], s[44:45], s[42:43]
	v_fma_f64 v[39:40], v[29:30], s[26:27], s[24:25]
	v_mul_f64 v[41:42], v[25:26], v[29:30]
	s_delay_alu instid0(VALU_DEP_3) | instskip(NEXT) | instid1(VALU_DEP_3)
	v_fma_f64 v[31:32], v[27:28], v[31:32], s[46:47]
	v_fma_f64 v[39:40], v[29:30], v[39:40], s[28:29]
	s_delay_alu instid0(VALU_DEP_2) | instskip(NEXT) | instid1(VALU_DEP_2)
	v_fma_f64 v[31:32], v[27:28], v[31:32], s[48:49]
	v_fma_f64 v[39:40], v[29:30], v[39:40], s[30:31]
	s_delay_alu instid0(VALU_DEP_2) | instskip(NEXT) | instid1(VALU_DEP_2)
	;; [unrolled: 3-line block ×4, first 2 shown]
	v_fma_f64 v[31:32], v[27:28], v[31:32], s[54:55]
	v_fma_f64 v[29:30], v[29:30], v[39:40], s[90:91]
	v_ldexp_f64 v[39:40], v[25:26], 1
	v_add_f64 v[25:26], v[25:26], -v[45:46]
	s_delay_alu instid0(VALU_DEP_4) | instskip(NEXT) | instid1(VALU_DEP_4)
	v_fma_f64 v[31:32], v[27:28], v[31:32], s[56:57]
	v_mul_f64 v[29:30], v[41:42], v[29:30]
	v_cvt_f64_i32_e32 v[41:42], v11
	s_delay_alu instid0(VALU_DEP_4) | instskip(NEXT) | instid1(VALU_DEP_4)
	v_add_f64 v[21:22], v[21:22], -v[25:26]
	v_fma_f64 v[31:32], v[27:28], v[31:32], s[58:59]
	v_ashrrev_i32_e32 v11, 31, v6
	v_add_f64 v[43:44], v[39:40], v[29:30]
	v_mul_f64 v[45:46], v[41:42], s[38:39]
	v_ldexp_f64 v[21:22], v[21:22], 1
	v_fma_f64 v[31:32], v[27:28], v[31:32], s[60:61]
	s_delay_alu instid0(VALU_DEP_4) | instskip(NEXT) | instid1(VALU_DEP_4)
	v_add_f64 v[25:26], v[43:44], -v[39:40]
	v_fma_f64 v[39:40], v[41:42], s[38:39], -v[45:46]
	s_delay_alu instid0(VALU_DEP_3) | instskip(NEXT) | instid1(VALU_DEP_3)
	v_fma_f64 v[31:32], v[27:28], v[31:32], s[62:63]
	v_add_f64 v[25:26], v[29:30], -v[25:26]
	s_delay_alu instid0(VALU_DEP_2) | instskip(NEXT) | instid1(VALU_DEP_4)
	v_fma_f64 v[29:30], v[27:28], v[31:32], s[64:65]
	v_fma_f64 v[31:32], v[41:42], s[40:41], v[39:40]
	s_delay_alu instid0(VALU_DEP_3) | instskip(NEXT) | instid1(VALU_DEP_3)
	v_add_f64 v[21:22], v[21:22], v[25:26]
	v_fma_f64 v[25:26], v[27:28], v[29:30], s[66:67]
	s_delay_alu instid0(VALU_DEP_3) | instskip(NEXT) | instid1(VALU_DEP_3)
	v_add_f64 v[29:30], v[45:46], v[31:32]
	v_add_f64 v[39:40], v[43:44], v[21:22]
	s_delay_alu instid0(VALU_DEP_3) | instskip(NEXT) | instid1(VALU_DEP_3)
	v_fma_f64 v[25:26], v[27:28], v[25:26], s[68:69]
	v_add_f64 v[45:46], v[29:30], -v[45:46]
	s_delay_alu instid0(VALU_DEP_3) | instskip(SKIP_1) | instid1(VALU_DEP_4)
	v_add_f64 v[41:42], v[29:30], v[39:40]
	v_add_f64 v[43:44], v[39:40], -v[43:44]
	v_fma_f64 v[25:26], v[27:28], v[25:26], s[70:71]
	s_delay_alu instid0(VALU_DEP_4) | instskip(NEXT) | instid1(VALU_DEP_4)
	v_add_f64 v[31:32], v[31:32], -v[45:46]
	v_add_f64 v[47:48], v[41:42], -v[29:30]
	s_delay_alu instid0(VALU_DEP_4) | instskip(NEXT) | instid1(VALU_DEP_4)
	v_add_f64 v[21:22], v[21:22], -v[43:44]
	v_fma_f64 v[25:26], v[27:28], v[25:26], s[72:73]
	s_delay_alu instid0(VALU_DEP_3) | instskip(SKIP_1) | instid1(VALU_DEP_4)
	v_add_f64 v[49:50], v[41:42], -v[47:48]
	v_add_f64 v[39:40], v[39:40], -v[47:48]
	v_add_f64 v[43:44], v[31:32], v[21:22]
	s_delay_alu instid0(VALU_DEP_4) | instskip(NEXT) | instid1(VALU_DEP_4)
	v_fma_f64 v[25:26], v[27:28], v[25:26], s[74:75]
	v_add_f64 v[29:30], v[29:30], -v[49:50]
	s_delay_alu instid0(VALU_DEP_2) | instskip(NEXT) | instid1(VALU_DEP_2)
	v_fma_f64 v[25:26], v[27:28], v[25:26], s[76:77]
	v_add_f64 v[29:30], v[39:40], v[29:30]
	v_add_f64 v[39:40], v[43:44], -v[31:32]
	s_delay_alu instid0(VALU_DEP_3) | instskip(NEXT) | instid1(VALU_DEP_3)
	v_fma_f64 v[25:26], v[27:28], v[25:26], s[78:79]
	v_add_f64 v[29:30], v[43:44], v[29:30]
	s_delay_alu instid0(VALU_DEP_3) | instskip(SKIP_1) | instid1(VALU_DEP_4)
	v_add_f64 v[43:44], v[43:44], -v[39:40]
	v_add_f64 v[21:22], v[21:22], -v[39:40]
	v_fma_f64 v[25:26], v[27:28], v[25:26], s[80:81]
	s_delay_alu instid0(VALU_DEP_4) | instskip(NEXT) | instid1(VALU_DEP_2)
	v_add_f64 v[45:46], v[41:42], v[29:30]
	v_mul_f64 v[25:26], v[27:28], v[25:26]
	v_add_f64 v[27:28], v[31:32], -v[43:44]
	s_delay_alu instid0(VALU_DEP_3) | instskip(NEXT) | instid1(VALU_DEP_3)
	v_add_f64 v[31:32], v[45:46], -v[41:42]
	v_fma_f64 v[23:24], v[23:24], v[25:26], v[23:24]
	s_delay_alu instid0(VALU_DEP_3) | instskip(NEXT) | instid1(VALU_DEP_3)
	v_add_f64 v[21:22], v[21:22], v[27:28]
	v_add_f64 v[25:26], v[29:30], -v[31:32]
	s_delay_alu instid0(VALU_DEP_3) | instskip(NEXT) | instid1(VALU_DEP_2)
	v_add_f64 v[27:28], -v[23:24], s[82:83]
	v_add_f64 v[21:22], v[21:22], v[25:26]
	s_delay_alu instid0(VALU_DEP_2) | instskip(NEXT) | instid1(VALU_DEP_3)
	v_cndmask_b32_e64 v24, v24, v28, s2
	v_cndmask_b32_e64 v23, v23, v27, s2
	;; [unrolled: 1-line block ×3, first 2 shown]
	s_delay_alu instid0(VALU_DEP_2) | instskip(SKIP_2) | instid1(VALU_DEP_3)
	v_add_f64 v[25:26], -v[23:24], s[12:13]
	v_add_f64 v[21:22], v[45:46], v[21:22]
	v_and_b32_e32 v28, 0x54442d18, v11
	v_cndmask_b32_e64 v23, v23, v25, s3
	s_delay_alu instid0(VALU_DEP_3) | instskip(SKIP_1) | instid1(VALU_DEP_3)
	v_dual_cndmask_b32 v5, v21, v9 :: v_dual_cndmask_b32 v6, v22, v10
	v_cndmask_b32_e64 v9, v24, v26, s3
	v_cndmask_b32_e64 v10, v23, v28, s4
	s_and_b32 vcc_lo, s8, s7
                                        ; implicit-def: $vgpr25_vgpr26
	s_delay_alu instid0(VALU_DEP_3) | instskip(SKIP_3) | instid1(VALU_DEP_3)
	v_mul_f64 v[21:22], v[5:6], 0.5
	v_cndmask_b32_e64 v5, 0x3fe921fb, v56, s3
	v_and_b32_e32 v6, 0x400921fb, v11
	v_cndmask_b32_e32 v23, v10, v27, vcc_lo
	v_bfi_b32 v5, 0x7fffffff, v5, v8
	s_delay_alu instid0(VALU_DEP_3) | instskip(NEXT) | instid1(VALU_DEP_1)
	v_cndmask_b32_e64 v6, v9, v6, s4
	v_cndmask_b32_e32 v24, v6, v5, vcc_lo
.LBB168_60:                             ;   in Loop: Header=BB168_5 Depth=1
	s_and_not1_saveexec_b32 s4, s6
	s_cbranch_execz .LBB168_62
; %bb.61:                               ;   in Loop: Header=BB168_5 Depth=1
	v_max_f64 v[9:10], |v[7:8]|, |v[7:8]|
	v_max_f64 v[21:22], |v[5:6]|, |v[5:6]|
	s_mov_b32 s12, s82
	v_cmp_eq_f64_e64 s3, 0, v[7:8]
	v_cmp_class_f64_e64 s6, v[7:8], 0x204
	v_cmp_class_f64_e64 s7, v[5:6], 0x204
	v_ashrrev_i32_e32 v11, 31, v6
	v_max_f64 v[23:24], v[21:22], v[9:10]
	v_min_f64 v[9:10], v[21:22], v[9:10]
	s_delay_alu instid0(VALU_DEP_1) | instskip(SKIP_1) | instid1(VALU_DEP_2)
	v_div_scale_f64 v[21:22], null, v[23:24], v[23:24], v[9:10]
	v_div_scale_f64 v[31:32], vcc_lo, v[9:10], v[23:24], v[9:10]
	v_rcp_f64_e32 v[27:28], v[21:22]
	s_waitcnt_depctr 0xfff
	v_fma_f64 v[29:30], -v[21:22], v[27:28], 1.0
	s_delay_alu instid0(VALU_DEP_1) | instskip(NEXT) | instid1(VALU_DEP_1)
	v_fma_f64 v[27:28], v[27:28], v[29:30], v[27:28]
	v_fma_f64 v[29:30], -v[21:22], v[27:28], 1.0
	s_delay_alu instid0(VALU_DEP_1) | instskip(NEXT) | instid1(VALU_DEP_1)
	v_fma_f64 v[27:28], v[27:28], v[29:30], v[27:28]
	v_mul_f64 v[29:30], v[31:32], v[27:28]
	s_delay_alu instid0(VALU_DEP_1) | instskip(NEXT) | instid1(VALU_DEP_1)
	v_fma_f64 v[21:22], -v[21:22], v[29:30], v[31:32]
	v_div_fmas_f64 v[21:22], v[21:22], v[27:28], v[29:30]
	v_mul_f64 v[27:28], v[25:26], 0.5
	v_cmp_gt_i32_e32 vcc_lo, 0, v6
	v_cndmask_b32_e32 v29, 0x54442d18, v55, vcc_lo
	v_cndmask_b32_e32 v5, 0x3fe921fb, v56, vcc_lo
	s_delay_alu instid0(VALU_DEP_1) | instskip(SKIP_1) | instid1(VALU_DEP_1)
	v_bfi_b32 v5, 0x7fffffff, v5, v8
	v_div_fixup_f64 v[9:10], v[21:22], v[23:24], v[9:10]
	v_mul_f64 v[21:22], v[9:10], v[9:10]
	s_delay_alu instid0(VALU_DEP_1) | instskip(NEXT) | instid1(VALU_DEP_1)
	v_fma_f64 v[23:24], v[21:22], s[44:45], s[42:43]
	v_fma_f64 v[23:24], v[21:22], v[23:24], s[46:47]
	s_delay_alu instid0(VALU_DEP_1) | instskip(NEXT) | instid1(VALU_DEP_1)
	v_fma_f64 v[23:24], v[21:22], v[23:24], s[48:49]
	v_fma_f64 v[23:24], v[21:22], v[23:24], s[50:51]
	;; [unrolled: 3-line block ×9, first 2 shown]
	s_delay_alu instid0(VALU_DEP_1) | instskip(NEXT) | instid1(VALU_DEP_1)
	v_fma_f64 v[23:24], v[21:22], v[23:24], s[80:81]
	v_mul_f64 v[21:22], v[21:22], v[23:24]
	s_delay_alu instid0(VALU_DEP_1) | instskip(NEXT) | instid1(VALU_DEP_1)
	v_fma_f64 v[9:10], v[9:10], v[21:22], v[9:10]
	v_add_f64 v[21:22], -v[9:10], s[82:83]
	s_delay_alu instid0(VALU_DEP_1) | instskip(NEXT) | instid1(VALU_DEP_2)
	v_cndmask_b32_e64 v10, v10, v22, s2
	v_cndmask_b32_e64 v9, v9, v21, s2
	s_delay_alu instid0(VALU_DEP_1) | instskip(NEXT) | instid1(VALU_DEP_1)
	v_add_f64 v[22:23], -v[9:10], s[12:13]
	v_dual_cndmask_b32 v9, v9, v22 :: v_dual_and_b32 v24, 0x54442d18, v11
	v_mul_f64 v[21:22], v[25:26], v[27:28]
	s_delay_alu instid0(VALU_DEP_3) | instskip(SKIP_1) | instid1(VALU_DEP_3)
	v_cndmask_b32_e32 v10, v10, v23, vcc_lo
	s_and_b32 vcc_lo, s7, s6
	v_cndmask_b32_e64 v9, v9, v24, s3
	s_delay_alu instid0(VALU_DEP_1) | instskip(NEXT) | instid1(VALU_DEP_1)
	v_dual_cndmask_b32 v23, v9, v29 :: v_dual_and_b32 v6, 0x400921fb, v11
	v_cndmask_b32_e64 v6, v10, v6, s3
	s_delay_alu instid0(VALU_DEP_1)
	v_cndmask_b32_e32 v24, v6, v5, vcc_lo
.LBB168_62:                             ;   in Loop: Header=BB168_5 Depth=1
	s_or_b32 exec_lo, exec_lo, s4
.LBB168_63:                             ;   in Loop: Header=BB168_5 Depth=1
	s_delay_alu instid0(SALU_CYCLE_1)
	s_or_b32 exec_lo, exec_lo, s5
.LBB168_64:                             ;   in Loop: Header=BB168_5 Depth=1
	s_and_not1_saveexec_b32 s5, s96
	s_cbranch_execz .LBB168_66
; %bb.65:                               ;   in Loop: Header=BB168_5 Depth=1
	v_div_scale_f64 v[9:10], null, s[88:89], s[88:89], v[5:6]
	v_div_scale_f64 v[21:22], null, s[88:89], s[88:89], v[7:8]
	v_div_scale_f64 v[31:32], vcc_lo, v[5:6], s[88:89], v[5:6]
	v_max_f64 v[41:42], |v[5:6]|, |v[5:6]|
	s_mov_b32 s91, s23
	s_mov_b32 s12, s82
	s_delay_alu instid0(VALU_DEP_4) | instskip(NEXT) | instid1(VALU_DEP_3)
	v_rcp_f64_e32 v[23:24], v[9:10]
	v_rcp_f64_e32 v[25:26], v[21:22]
	s_waitcnt_depctr 0xfff
	v_fma_f64 v[27:28], -v[9:10], v[23:24], 1.0
	v_fma_f64 v[29:30], -v[21:22], v[25:26], 1.0
	s_delay_alu instid0(VALU_DEP_2) | instskip(NEXT) | instid1(VALU_DEP_2)
	v_fma_f64 v[23:24], v[23:24], v[27:28], v[23:24]
	v_fma_f64 v[25:26], v[25:26], v[29:30], v[25:26]
	s_delay_alu instid0(VALU_DEP_2) | instskip(NEXT) | instid1(VALU_DEP_2)
	v_fma_f64 v[27:28], -v[9:10], v[23:24], 1.0
	v_fma_f64 v[29:30], -v[21:22], v[25:26], 1.0
	s_delay_alu instid0(VALU_DEP_2) | instskip(SKIP_1) | instid1(VALU_DEP_3)
	v_fma_f64 v[23:24], v[23:24], v[27:28], v[23:24]
	v_div_scale_f64 v[27:28], s3, v[7:8], s[88:89], v[7:8]
	v_fma_f64 v[25:26], v[25:26], v[29:30], v[25:26]
	s_delay_alu instid0(VALU_DEP_3) | instskip(NEXT) | instid1(VALU_DEP_2)
	v_mul_f64 v[29:30], v[31:32], v[23:24]
	v_mul_f64 v[39:40], v[27:28], v[25:26]
	s_delay_alu instid0(VALU_DEP_2) | instskip(NEXT) | instid1(VALU_DEP_2)
	v_fma_f64 v[9:10], -v[9:10], v[29:30], v[31:32]
	v_fma_f64 v[21:22], -v[21:22], v[39:40], v[27:28]
	s_delay_alu instid0(VALU_DEP_2) | instskip(SKIP_1) | instid1(VALU_DEP_2)
	v_div_fmas_f64 v[9:10], v[9:10], v[23:24], v[29:30]
	s_mov_b32 vcc_lo, s3
	v_div_fmas_f64 v[21:22], v[21:22], v[25:26], v[39:40]
	s_delay_alu instid0(VALU_DEP_2) | instskip(NEXT) | instid1(VALU_DEP_2)
	v_div_fixup_f64 v[9:10], v[9:10], s[88:89], v[5:6]
	v_div_fixup_f64 v[21:22], v[21:22], s[88:89], v[7:8]
	s_delay_alu instid0(VALU_DEP_2) | instskip(NEXT) | instid1(VALU_DEP_2)
	v_cmp_class_f64_e64 s4, v[9:10], 0x204
	v_max_f64 v[23:24], |v[9:10]|, |v[21:22]|
	v_cmp_o_f64_e64 s3, v[9:10], v[21:22]
	v_cmp_class_f64_e64 s6, v[21:22], 0x204
	s_delay_alu instid0(VALU_DEP_3) | instskip(NEXT) | instid1(VALU_DEP_2)
	v_frexp_exp_i32_f64_e32 v11, v[23:24]
	s_or_b32 s6, s4, s6
	s_delay_alu instid0(VALU_DEP_1) | instskip(NEXT) | instid1(VALU_DEP_1)
	v_sub_nc_u32_e32 v25, 0, v11
	v_ldexp_f64 v[23:24], |v[21:22]|, v25
	v_ldexp_f64 v[25:26], |v[9:10]|, v25
	s_delay_alu instid0(VALU_DEP_2) | instskip(NEXT) | instid1(VALU_DEP_1)
	v_mul_f64 v[23:24], v[23:24], v[23:24]
	v_fma_f64 v[23:24], v[25:26], v[25:26], v[23:24]
	s_delay_alu instid0(VALU_DEP_1) | instskip(SKIP_4) | instid1(VALU_DEP_1)
	v_rsq_f64_e32 v[25:26], v[23:24]
	v_cmp_eq_f64_e32 vcc_lo, 0, v[23:24]
	s_waitcnt_depctr 0xfff
	v_mul_f64 v[27:28], v[23:24], v[25:26]
	v_mul_f64 v[25:26], v[25:26], 0.5
	v_fma_f64 v[29:30], -v[25:26], v[27:28], 0.5
	s_delay_alu instid0(VALU_DEP_1) | instskip(SKIP_1) | instid1(VALU_DEP_2)
	v_fma_f64 v[27:28], v[27:28], v[29:30], v[27:28]
	v_fma_f64 v[25:26], v[25:26], v[29:30], v[25:26]
	v_fma_f64 v[29:30], -v[27:28], v[27:28], v[23:24]
	s_delay_alu instid0(VALU_DEP_1) | instskip(NEXT) | instid1(VALU_DEP_1)
	v_fma_f64 v[25:26], v[29:30], v[25:26], v[27:28]
	v_dual_cndmask_b32 v24, v26, v24 :: v_dual_cndmask_b32 v23, v25, v23
	s_delay_alu instid0(VALU_DEP_1) | instskip(NEXT) | instid1(VALU_DEP_1)
	v_ldexp_f64 v[23:24], v[23:24], v11
	v_cndmask_b32_e64 v11, 0, v23, s3
	s_delay_alu instid0(VALU_DEP_2) | instskip(NEXT) | instid1(VALU_DEP_2)
	v_cndmask_b32_e64 v53, 0x7ff80000, v24, s3
	v_cndmask_b32_e64 v9, v11, 0, s6
	s_delay_alu instid0(VALU_DEP_2) | instskip(NEXT) | instid1(VALU_DEP_1)
	v_cndmask_b32_e64 v10, v53, 0x7ff00000, s6
	v_frexp_mant_f64_e32 v[21:22], v[9:10]
	s_delay_alu instid0(VALU_DEP_1) | instskip(NEXT) | instid1(VALU_DEP_1)
	v_cmp_gt_f64_e64 s4, s[22:23], v[21:22]
	v_cndmask_b32_e64 v34, 0x3ff00000, 2.0, s4
	s_delay_alu instid0(VALU_DEP_1) | instskip(SKIP_1) | instid1(VALU_DEP_2)
	v_mul_f64 v[21:22], v[21:22], v[33:34]
	v_frexp_exp_i32_f64_e32 v34, v[9:10]
	v_add_f64 v[25:26], v[21:22], 1.0
	v_add_f64 v[31:32], v[21:22], -1.0
	s_delay_alu instid0(VALU_DEP_2) | instskip(SKIP_1) | instid1(VALU_DEP_1)
	v_rcp_f64_e32 v[27:28], v[25:26]
	v_add_f64 v[43:44], v[25:26], -1.0
	v_add_f64 v[21:22], v[21:22], -v[43:44]
	s_waitcnt_depctr 0xfff
	v_fma_f64 v[29:30], -v[25:26], v[27:28], 1.0
	s_delay_alu instid0(VALU_DEP_1) | instskip(NEXT) | instid1(VALU_DEP_1)
	v_fma_f64 v[27:28], v[29:30], v[27:28], v[27:28]
	v_fma_f64 v[29:30], -v[25:26], v[27:28], 1.0
	s_delay_alu instid0(VALU_DEP_1) | instskip(SKIP_1) | instid1(VALU_DEP_2)
	v_fma_f64 v[27:28], v[29:30], v[27:28], v[27:28]
	v_max_f64 v[29:30], |v[7:8]|, |v[7:8]|
	v_mul_f64 v[39:40], v[31:32], v[27:28]
	s_delay_alu instid0(VALU_DEP_2) | instskip(SKIP_1) | instid1(VALU_DEP_3)
	v_max_f64 v[47:48], v[41:42], v[29:30]
	v_min_f64 v[29:30], v[41:42], v[29:30]
	v_mul_f64 v[45:46], v[25:26], v[39:40]
	s_delay_alu instid0(VALU_DEP_2) | instskip(NEXT) | instid1(VALU_DEP_2)
	v_div_scale_f64 v[41:42], null, v[47:48], v[47:48], v[29:30]
	v_fma_f64 v[25:26], v[39:40], v[25:26], -v[45:46]
	s_delay_alu instid0(VALU_DEP_1) | instskip(NEXT) | instid1(VALU_DEP_3)
	v_fma_f64 v[21:22], v[39:40], v[21:22], v[25:26]
	v_rcp_f64_e32 v[25:26], v[41:42]
	s_delay_alu instid0(VALU_DEP_1) | instskip(SKIP_4) | instid1(VALU_DEP_3)
	v_add_f64 v[43:44], v[45:46], v[21:22]
	s_waitcnt_depctr 0xfff
	v_fma_f64 v[49:50], -v[41:42], v[25:26], 1.0
	v_add_f64 v[51:52], v[31:32], -v[43:44]
	v_add_f64 v[45:46], v[43:44], -v[45:46]
	v_fma_f64 v[25:26], v[25:26], v[49:50], v[25:26]
	s_delay_alu instid0(VALU_DEP_3) | instskip(NEXT) | instid1(VALU_DEP_3)
	v_add_f64 v[31:32], v[31:32], -v[51:52]
	v_add_f64 v[21:22], v[45:46], -v[21:22]
	s_delay_alu instid0(VALU_DEP_3) | instskip(NEXT) | instid1(VALU_DEP_3)
	v_fma_f64 v[49:50], -v[41:42], v[25:26], 1.0
	v_add_f64 v[31:32], v[31:32], -v[43:44]
	v_div_scale_f64 v[43:44], vcc_lo, v[29:30], v[47:48], v[29:30]
	s_delay_alu instid0(VALU_DEP_3) | instskip(NEXT) | instid1(VALU_DEP_3)
	v_fma_f64 v[25:26], v[25:26], v[49:50], v[25:26]
	v_add_f64 v[21:22], v[21:22], v[31:32]
	s_delay_alu instid0(VALU_DEP_2) | instskip(NEXT) | instid1(VALU_DEP_2)
	v_mul_f64 v[31:32], v[43:44], v[25:26]
	v_add_f64 v[21:22], v[51:52], v[21:22]
	s_delay_alu instid0(VALU_DEP_2) | instskip(NEXT) | instid1(VALU_DEP_2)
	v_fma_f64 v[41:42], -v[41:42], v[31:32], v[43:44]
	v_mul_f64 v[21:22], v[27:28], v[21:22]
	s_delay_alu instid0(VALU_DEP_2) | instskip(SKIP_2) | instid1(VALU_DEP_4)
	v_div_fmas_f64 v[25:26], v[41:42], v[25:26], v[31:32]
	v_subrev_co_ci_u32_e64 v34, vcc_lo, 0, v34, s4
	v_cmp_class_f64_e64 s4, v[5:6], 0x204
	v_add_f64 v[27:28], v[39:40], v[21:22]
	s_delay_alu instid0(VALU_DEP_4) | instskip(NEXT) | instid1(VALU_DEP_2)
	v_div_fixup_f64 v[25:26], v[25:26], v[47:48], v[29:30]
	v_mul_f64 v[29:30], v[27:28], v[27:28]
	s_delay_alu instid0(VALU_DEP_2) | instskip(NEXT) | instid1(VALU_DEP_2)
	v_mul_f64 v[31:32], v[25:26], v[25:26]
	v_fma_f64 v[41:42], v[29:30], s[26:27], s[24:25]
	v_mul_f64 v[45:46], v[27:28], v[29:30]
	s_delay_alu instid0(VALU_DEP_3) | instskip(NEXT) | instid1(VALU_DEP_3)
	v_fma_f64 v[43:44], v[31:32], s[44:45], s[42:43]
	v_fma_f64 v[41:42], v[29:30], v[41:42], s[28:29]
	s_delay_alu instid0(VALU_DEP_2) | instskip(NEXT) | instid1(VALU_DEP_2)
	v_fma_f64 v[43:44], v[31:32], v[43:44], s[46:47]
	v_fma_f64 v[41:42], v[29:30], v[41:42], s[30:31]
	s_delay_alu instid0(VALU_DEP_2) | instskip(NEXT) | instid1(VALU_DEP_2)
	;; [unrolled: 3-line block ×4, first 2 shown]
	v_fma_f64 v[43:44], v[31:32], v[43:44], s[52:53]
	v_fma_f64 v[29:30], v[29:30], v[41:42], s[90:91]
	s_delay_alu instid0(VALU_DEP_2) | instskip(SKIP_2) | instid1(VALU_DEP_4)
	v_fma_f64 v[41:42], v[31:32], v[43:44], s[54:55]
	v_ldexp_f64 v[43:44], v[27:28], 1
	v_add_f64 v[27:28], v[27:28], -v[39:40]
	v_mul_f64 v[29:30], v[45:46], v[29:30]
	v_cvt_f64_i32_e32 v[45:46], v34
	v_fma_f64 v[41:42], v[31:32], v[41:42], s[56:57]
	s_delay_alu instid0(VALU_DEP_4) | instskip(NEXT) | instid1(VALU_DEP_4)
	v_add_f64 v[21:22], v[21:22], -v[27:28]
	v_add_f64 v[39:40], v[43:44], v[29:30]
	s_delay_alu instid0(VALU_DEP_4) | instskip(NEXT) | instid1(VALU_DEP_4)
	v_mul_f64 v[47:48], v[45:46], s[38:39]
	v_fma_f64 v[41:42], v[31:32], v[41:42], s[58:59]
	s_delay_alu instid0(VALU_DEP_4) | instskip(NEXT) | instid1(VALU_DEP_4)
	v_ldexp_f64 v[21:22], v[21:22], 1
	v_add_f64 v[27:28], v[39:40], -v[43:44]
	s_delay_alu instid0(VALU_DEP_4) | instskip(NEXT) | instid1(VALU_DEP_4)
	v_fma_f64 v[43:44], v[45:46], s[38:39], -v[47:48]
	v_fma_f64 v[41:42], v[31:32], v[41:42], s[60:61]
	s_delay_alu instid0(VALU_DEP_3) | instskip(NEXT) | instid1(VALU_DEP_2)
	v_add_f64 v[27:28], v[29:30], -v[27:28]
	v_fma_f64 v[29:30], v[31:32], v[41:42], s[62:63]
	s_delay_alu instid0(VALU_DEP_4) | instskip(NEXT) | instid1(VALU_DEP_3)
	v_fma_f64 v[41:42], v[45:46], s[40:41], v[43:44]
	v_add_f64 v[21:22], v[21:22], v[27:28]
	s_delay_alu instid0(VALU_DEP_3) | instskip(NEXT) | instid1(VALU_DEP_3)
	v_fma_f64 v[27:28], v[31:32], v[29:30], s[64:65]
	v_add_f64 v[29:30], v[47:48], v[41:42]
	s_delay_alu instid0(VALU_DEP_3) | instskip(NEXT) | instid1(VALU_DEP_3)
	v_add_f64 v[43:44], v[39:40], v[21:22]
	v_fma_f64 v[27:28], v[31:32], v[27:28], s[66:67]
	s_delay_alu instid0(VALU_DEP_3) | instskip(NEXT) | instid1(VALU_DEP_3)
	v_add_f64 v[47:48], v[29:30], -v[47:48]
	v_add_f64 v[45:46], v[29:30], v[43:44]
	v_add_f64 v[39:40], v[43:44], -v[39:40]
	s_delay_alu instid0(VALU_DEP_4) | instskip(NEXT) | instid1(VALU_DEP_4)
	v_fma_f64 v[27:28], v[31:32], v[27:28], s[68:69]
	v_add_f64 v[41:42], v[41:42], -v[47:48]
	s_delay_alu instid0(VALU_DEP_4) | instskip(NEXT) | instid1(VALU_DEP_4)
	v_add_f64 v[49:50], v[45:46], -v[29:30]
	v_add_f64 v[21:22], v[21:22], -v[39:40]
	s_delay_alu instid0(VALU_DEP_4) | instskip(NEXT) | instid1(VALU_DEP_3)
	v_fma_f64 v[27:28], v[31:32], v[27:28], s[70:71]
	v_add_f64 v[51:52], v[45:46], -v[49:50]
	v_add_f64 v[39:40], v[43:44], -v[49:50]
	s_delay_alu instid0(VALU_DEP_4) | instskip(NEXT) | instid1(VALU_DEP_4)
	v_add_f64 v[43:44], v[41:42], v[21:22]
	v_fma_f64 v[27:28], v[31:32], v[27:28], s[72:73]
	s_delay_alu instid0(VALU_DEP_4) | instskip(NEXT) | instid1(VALU_DEP_2)
	v_add_f64 v[29:30], v[29:30], -v[51:52]
	v_fma_f64 v[27:28], v[31:32], v[27:28], s[74:75]
	s_delay_alu instid0(VALU_DEP_2) | instskip(SKIP_1) | instid1(VALU_DEP_3)
	v_add_f64 v[29:30], v[39:40], v[29:30]
	v_add_f64 v[39:40], v[43:44], -v[41:42]
	v_fma_f64 v[27:28], v[31:32], v[27:28], s[76:77]
	s_delay_alu instid0(VALU_DEP_3) | instskip(NEXT) | instid1(VALU_DEP_3)
	v_add_f64 v[29:30], v[43:44], v[29:30]
	v_add_f64 v[43:44], v[43:44], -v[39:40]
	v_add_f64 v[21:22], v[21:22], -v[39:40]
	s_delay_alu instid0(VALU_DEP_4) | instskip(NEXT) | instid1(VALU_DEP_4)
	v_fma_f64 v[27:28], v[31:32], v[27:28], s[78:79]
	v_add_f64 v[47:48], v[45:46], v[29:30]
	s_delay_alu instid0(VALU_DEP_4) | instskip(NEXT) | instid1(VALU_DEP_3)
	v_add_f64 v[39:40], v[41:42], -v[43:44]
	v_fma_f64 v[27:28], v[31:32], v[27:28], s[80:81]
	s_delay_alu instid0(VALU_DEP_3) | instskip(NEXT) | instid1(VALU_DEP_3)
	v_add_f64 v[41:42], v[47:48], -v[45:46]
	v_add_f64 v[21:22], v[21:22], v[39:40]
	s_delay_alu instid0(VALU_DEP_3) | instskip(NEXT) | instid1(VALU_DEP_3)
	v_mul_f64 v[27:28], v[31:32], v[27:28]
	v_add_f64 v[29:30], v[29:30], -v[41:42]
	s_delay_alu instid0(VALU_DEP_2) | instskip(NEXT) | instid1(VALU_DEP_2)
	v_fma_f64 v[25:26], v[25:26], v[27:28], v[25:26]
	v_add_f64 v[21:22], v[21:22], v[29:30]
	s_delay_alu instid0(VALU_DEP_2) | instskip(NEXT) | instid1(VALU_DEP_2)
	v_add_f64 v[27:28], -v[25:26], s[82:83]
	v_add_f64 v[21:22], v[47:48], v[21:22]
	v_and_b32_e32 v24, 0x7fffffff, v24
	s_delay_alu instid0(VALU_DEP_1) | instskip(NEXT) | instid1(VALU_DEP_4)
	v_cmp_eq_f64_e32 vcc_lo, 0x7ff00000, v[23:24]
	v_cndmask_b32_e64 v24, v26, v28, s2
	v_cndmask_b32_e64 v23, v25, v27, s2
	v_cmp_eq_f64_e64 s2, 0, v[7:8]
	v_ashrrev_i32_e32 v27, 31, v6
	s_delay_alu instid0(VALU_DEP_3)
	v_add_f64 v[25:26], -v[23:24], s[12:13]
	s_and_b32 vcc_lo, s3, vcc_lo
	v_cmp_class_f64_e64 s3, v[7:8], 0x204
	v_dual_cndmask_b32 v21, v21, v11 :: v_dual_cndmask_b32 v22, v22, v53
	v_cmp_gt_i32_e32 vcc_lo, 0, v6
	v_and_b32_e32 v28, 0x54442d18, v27
	v_and_b32_e32 v6, 0x400921fb, v27
	s_delay_alu instid0(VALU_DEP_4) | instskip(SKIP_4) | instid1(VALU_DEP_4)
	v_add_f64 v[21:22], v[21:22], 1.0
	v_dual_cndmask_b32 v23, v23, v25 :: v_dual_cndmask_b32 v24, v24, v26
	v_cndmask_b32_e32 v11, 0x54442d18, v55, vcc_lo
	v_cndmask_b32_e32 v5, 0x3fe921fb, v56, vcc_lo
	v_cmp_ngt_f64_e32 vcc_lo, 0, v[9:10]
	v_cndmask_b32_e64 v23, v23, v28, s2
	v_cndmask_b32_e64 v6, v24, v6, s2
	v_cmp_nge_f64_e64 s2, 0, v[9:10]
	v_bfi_b32 v5, 0x7fffffff, v5, v8
	v_cndmask_b32_e64 v21, v21, 0, s6
	v_cndmask_b32_e64 v22, v22, 0x7ff00000, s6
	s_delay_alu instid0(VALU_DEP_1) | instskip(SKIP_1) | instid1(VALU_DEP_3)
	v_cndmask_b32_e32 v22, 0x7ff80000, v22, vcc_lo
	s_and_b32 vcc_lo, s4, s3
	v_cndmask_b32_e64 v21, 0, v21, s2
	v_cmp_neq_f64_e64 s2, 0, v[9:10]
	v_dual_cndmask_b32 v24, v6, v5 :: v_dual_cndmask_b32 v23, v23, v11
	s_delay_alu instid0(VALU_DEP_2)
	v_cndmask_b32_e64 v22, 0xfff00000, v22, s2
.LBB168_66:                             ;   in Loop: Header=BB168_5 Depth=1
	s_or_b32 exec_lo, exec_lo, s5
.LBB168_67:                             ;   in Loop: Header=BB168_5 Depth=1
	s_and_not1_saveexec_b32 s2, s95
	s_cbranch_execz .LBB168_73
; %bb.68:                               ;   in Loop: Header=BB168_5 Depth=1
	v_cmp_ngt_f64_e64 s3, 0x20000000, |v[5:6]|
	v_cmp_ngt_f64_e64 s4, 0x20000000, |v[7:8]|
                                        ; implicit-def: $vgpr9_vgpr10
	s_delay_alu instid0(VALU_DEP_1) | instskip(NEXT) | instid1(SALU_CYCLE_1)
	s_or_b32 s3, s3, s4
	s_and_saveexec_b32 s4, s3
	s_delay_alu instid0(SALU_CYCLE_1)
	s_xor_b32 s3, exec_lo, s4
; %bb.69:                               ;   in Loop: Header=BB168_5 Depth=1
	v_mul_f64 v[9:10], v[7:8], v[7:8]
	s_delay_alu instid0(VALU_DEP_1)
	v_fma_f64 v[9:10], v[5:6], v[5:6], v[9:10]
; %bb.70:                               ;   in Loop: Header=BB168_5 Depth=1
	s_and_not1_saveexec_b32 s3, s3
; %bb.71:                               ;   in Loop: Header=BB168_5 Depth=1
	v_mul_f64 v[9:10], v[7:8], 4.0
	v_mul_f64 v[5:6], v[5:6], 4.0
	s_delay_alu instid0(VALU_DEP_2) | instskip(NEXT) | instid1(VALU_DEP_1)
	v_mul_f64 v[9:10], v[9:10], v[9:10]
	v_fma_f64 v[5:6], v[5:6], v[5:6], v[9:10]
	s_delay_alu instid0(VALU_DEP_1)
	v_ldexp_f64 v[9:10], v[5:6], -4
; %bb.72:                               ;   in Loop: Header=BB168_5 Depth=1
	s_or_b32 exec_lo, exec_lo, s3
	s_delay_alu instid0(VALU_DEP_1) | instskip(SKIP_2) | instid1(VALU_DEP_2)
	v_frexp_mant_f64_e32 v[5:6], v[9:10]
	s_mov_b32 s91, s23
	v_frexp_exp_i32_f64_e32 v7, v[9:10]
	v_cmp_gt_f64_e32 vcc_lo, s[22:23], v[5:6]
	v_cndmask_b32_e64 v34, 0x3ff00000, 2.0, vcc_lo
	s_delay_alu instid0(VALU_DEP_3) | instskip(SKIP_1) | instid1(VALU_DEP_3)
	v_subrev_co_ci_u32_e32 v7, vcc_lo, 0, v7, vcc_lo
	v_cmp_class_f64_e64 vcc_lo, v[9:10], 0x204
	v_mul_f64 v[5:6], v[5:6], v[33:34]
	s_delay_alu instid0(VALU_DEP_1) | instskip(SKIP_1) | instid1(VALU_DEP_2)
	v_add_f64 v[21:22], v[5:6], 1.0
	v_add_f64 v[27:28], v[5:6], -1.0
	v_rcp_f64_e32 v[23:24], v[21:22]
	v_add_f64 v[29:30], v[21:22], -1.0
	s_delay_alu instid0(VALU_DEP_1) | instskip(SKIP_2) | instid1(VALU_DEP_1)
	v_add_f64 v[5:6], v[5:6], -v[29:30]
	s_waitcnt_depctr 0xfff
	v_fma_f64 v[25:26], -v[21:22], v[23:24], 1.0
	v_fma_f64 v[23:24], v[25:26], v[23:24], v[23:24]
	s_delay_alu instid0(VALU_DEP_1) | instskip(NEXT) | instid1(VALU_DEP_1)
	v_fma_f64 v[25:26], -v[21:22], v[23:24], 1.0
	v_fma_f64 v[23:24], v[25:26], v[23:24], v[23:24]
	s_delay_alu instid0(VALU_DEP_1) | instskip(NEXT) | instid1(VALU_DEP_1)
	v_mul_f64 v[25:26], v[27:28], v[23:24]
	v_mul_f64 v[31:32], v[21:22], v[25:26]
	s_delay_alu instid0(VALU_DEP_1) | instskip(NEXT) | instid1(VALU_DEP_1)
	v_fma_f64 v[21:22], v[25:26], v[21:22], -v[31:32]
	v_fma_f64 v[5:6], v[25:26], v[5:6], v[21:22]
	s_delay_alu instid0(VALU_DEP_1) | instskip(NEXT) | instid1(VALU_DEP_1)
	v_add_f64 v[21:22], v[31:32], v[5:6]
	v_add_f64 v[29:30], v[27:28], -v[21:22]
	v_add_f64 v[31:32], v[21:22], -v[31:32]
	s_delay_alu instid0(VALU_DEP_2) | instskip(NEXT) | instid1(VALU_DEP_2)
	v_add_f64 v[27:28], v[27:28], -v[29:30]
	v_add_f64 v[5:6], v[31:32], -v[5:6]
	s_delay_alu instid0(VALU_DEP_2) | instskip(NEXT) | instid1(VALU_DEP_1)
	v_add_f64 v[21:22], v[27:28], -v[21:22]
	v_add_f64 v[5:6], v[5:6], v[21:22]
	s_delay_alu instid0(VALU_DEP_1) | instskip(NEXT) | instid1(VALU_DEP_1)
	v_add_f64 v[5:6], v[29:30], v[5:6]
	v_mul_f64 v[5:6], v[23:24], v[5:6]
	s_delay_alu instid0(VALU_DEP_1) | instskip(NEXT) | instid1(VALU_DEP_1)
	v_add_f64 v[21:22], v[25:26], v[5:6]
	v_mul_f64 v[23:24], v[21:22], v[21:22]
	s_delay_alu instid0(VALU_DEP_1) | instskip(SKIP_1) | instid1(VALU_DEP_2)
	v_fma_f64 v[27:28], v[23:24], s[26:27], s[24:25]
	v_mul_f64 v[29:30], v[21:22], v[23:24]
	v_fma_f64 v[27:28], v[23:24], v[27:28], s[28:29]
	s_delay_alu instid0(VALU_DEP_1) | instskip(NEXT) | instid1(VALU_DEP_1)
	v_fma_f64 v[27:28], v[23:24], v[27:28], s[30:31]
	v_fma_f64 v[27:28], v[23:24], v[27:28], s[34:35]
	s_delay_alu instid0(VALU_DEP_1) | instskip(NEXT) | instid1(VALU_DEP_1)
	v_fma_f64 v[27:28], v[23:24], v[27:28], s[36:37]
	v_fma_f64 v[23:24], v[23:24], v[27:28], s[90:91]
	v_ldexp_f64 v[27:28], v[21:22], 1
	v_add_f64 v[21:22], v[21:22], -v[25:26]
	s_delay_alu instid0(VALU_DEP_3) | instskip(SKIP_1) | instid1(VALU_DEP_3)
	v_mul_f64 v[23:24], v[29:30], v[23:24]
	v_cvt_f64_i32_e32 v[29:30], v7
	v_add_f64 v[5:6], v[5:6], -v[21:22]
	s_delay_alu instid0(VALU_DEP_3) | instskip(NEXT) | instid1(VALU_DEP_3)
	v_add_f64 v[25:26], v[27:28], v[23:24]
	v_mul_f64 v[31:32], v[29:30], s[38:39]
	s_delay_alu instid0(VALU_DEP_3) | instskip(NEXT) | instid1(VALU_DEP_3)
	v_ldexp_f64 v[5:6], v[5:6], 1
	v_add_f64 v[21:22], v[25:26], -v[27:28]
	s_delay_alu instid0(VALU_DEP_3) | instskip(NEXT) | instid1(VALU_DEP_2)
	v_fma_f64 v[27:28], v[29:30], s[38:39], -v[31:32]
	v_add_f64 v[21:22], v[23:24], -v[21:22]
	s_delay_alu instid0(VALU_DEP_2) | instskip(NEXT) | instid1(VALU_DEP_2)
	v_fma_f64 v[23:24], v[29:30], s[40:41], v[27:28]
	v_add_f64 v[5:6], v[5:6], v[21:22]
	s_delay_alu instid0(VALU_DEP_2) | instskip(NEXT) | instid1(VALU_DEP_2)
	v_add_f64 v[21:22], v[31:32], v[23:24]
	v_add_f64 v[27:28], v[25:26], v[5:6]
	s_delay_alu instid0(VALU_DEP_2) | instskip(NEXT) | instid1(VALU_DEP_2)
	v_add_f64 v[31:32], v[21:22], -v[31:32]
	v_add_f64 v[29:30], v[21:22], v[27:28]
	v_add_f64 v[25:26], v[27:28], -v[25:26]
	s_delay_alu instid0(VALU_DEP_3) | instskip(NEXT) | instid1(VALU_DEP_3)
	v_add_f64 v[23:24], v[23:24], -v[31:32]
	v_add_f64 v[39:40], v[29:30], -v[21:22]
	s_delay_alu instid0(VALU_DEP_3) | instskip(NEXT) | instid1(VALU_DEP_2)
	v_add_f64 v[5:6], v[5:6], -v[25:26]
	v_add_f64 v[41:42], v[29:30], -v[39:40]
	v_add_f64 v[25:26], v[27:28], -v[39:40]
	s_delay_alu instid0(VALU_DEP_3) | instskip(NEXT) | instid1(VALU_DEP_3)
	v_add_f64 v[27:28], v[23:24], v[5:6]
	v_add_f64 v[21:22], v[21:22], -v[41:42]
	s_delay_alu instid0(VALU_DEP_1) | instskip(NEXT) | instid1(VALU_DEP_3)
	v_add_f64 v[21:22], v[25:26], v[21:22]
	v_add_f64 v[25:26], v[27:28], -v[23:24]
	s_delay_alu instid0(VALU_DEP_2) | instskip(NEXT) | instid1(VALU_DEP_2)
	v_add_f64 v[21:22], v[27:28], v[21:22]
	v_add_f64 v[27:28], v[27:28], -v[25:26]
	v_add_f64 v[5:6], v[5:6], -v[25:26]
	s_delay_alu instid0(VALU_DEP_3) | instskip(NEXT) | instid1(VALU_DEP_3)
	v_add_f64 v[31:32], v[29:30], v[21:22]
	v_add_f64 v[23:24], v[23:24], -v[27:28]
	s_delay_alu instid0(VALU_DEP_2) | instskip(NEXT) | instid1(VALU_DEP_2)
	v_add_f64 v[25:26], v[31:32], -v[29:30]
	v_add_f64 v[5:6], v[5:6], v[23:24]
	v_mov_b32_e32 v23, 0
	v_mov_b32_e32 v24, 0x7ff80000
	s_delay_alu instid0(VALU_DEP_4) | instskip(NEXT) | instid1(VALU_DEP_1)
	v_add_f64 v[21:22], v[21:22], -v[25:26]
	v_add_f64 v[5:6], v[5:6], v[21:22]
	s_delay_alu instid0(VALU_DEP_1) | instskip(NEXT) | instid1(VALU_DEP_1)
	v_add_f64 v[5:6], v[31:32], v[5:6]
	v_dual_cndmask_b32 v5, v5, v9 :: v_dual_cndmask_b32 v6, v6, v10
	v_cmp_ngt_f64_e32 vcc_lo, 0, v[9:10]
	s_delay_alu instid0(VALU_DEP_2) | instskip(SKIP_1) | instid1(VALU_DEP_4)
	v_cndmask_b32_e32 v6, 0x7ff80000, v6, vcc_lo
	v_cmp_nge_f64_e32 vcc_lo, 0, v[9:10]
	v_cndmask_b32_e32 v21, 0, v5, vcc_lo
	v_cmp_neq_f64_e32 vcc_lo, 0, v[9:10]
	s_delay_alu instid0(VALU_DEP_4)
	v_cndmask_b32_e32 v22, 0xfff00000, v6, vcc_lo
.LBB168_73:                             ;   in Loop: Header=BB168_5 Depth=1
	s_or_b32 exec_lo, exec_lo, s2
                                        ; implicit-def: $vgpr25_vgpr26
	s_delay_alu instid0(SALU_CYCLE_1)
	s_mov_b32 s2, exec_lo
	s_waitcnt vmcnt(0)
	v_cmpx_o_f64_e32 v[13:14], v[15:16]
	s_xor_b32 s95, exec_lo, s2
	s_cbranch_execz .LBB168_101
; %bb.74:                               ;   in Loop: Header=BB168_5 Depth=1
	v_cmp_lt_f64_e64 s2, |v[13:14]|, |v[15:16]|
	v_and_b32_e32 v5, 0x7fffffff, v14
	v_dual_mov_b32 v7, v15 :: v_dual_and_b32 v6, 0x7fffffff, v16
                                        ; implicit-def: $vgpr25_vgpr26
	s_mov_b32 s3, exec_lo
	s_delay_alu instid0(VALU_DEP_1) | instskip(NEXT) | instid1(VALU_DEP_2)
	v_cndmask_b32_e64 v10, v6, v5, s2
	v_cndmask_b32_e64 v9, v7, v13, s2
	s_delay_alu instid0(VALU_DEP_1)
	v_cmpx_nlt_f64_e32 s[14:15], v[9:10]
	s_xor_b32 s96, exec_lo, s3
	s_cbranch_execz .LBB168_98
; %bb.75:                               ;   in Loop: Header=BB168_5 Depth=1
	v_cndmask_b32_e64 v30, v5, v6, s2
	v_cndmask_b32_e64 v29, v13, v7, s2
                                        ; implicit-def: $vgpr25_vgpr26
	s_mov_b32 s3, exec_lo
	s_delay_alu instid0(VALU_DEP_1)
	v_cmpx_neq_f64_e32 1.0, v[29:30]
	s_xor_b32 s97, exec_lo, s3
	s_cbranch_execz .LBB168_91
; %bb.76:                               ;   in Loop: Header=BB168_5 Depth=1
	v_max_f64 v[5:6], v[9:10], v[9:10]
	v_max_f64 v[25:26], v[29:30], v[29:30]
	s_delay_alu instid0(VALU_DEP_1) | instskip(SKIP_1) | instid1(VALU_DEP_2)
	v_min_f64 v[27:28], v[25:26], v[5:6]
	v_max_f64 v[5:6], v[25:26], v[5:6]
                                        ; implicit-def: $vgpr25_vgpr26
	v_cmp_ngt_f64_e32 vcc_lo, s[18:19], v[27:28]
	s_delay_alu instid0(VALU_DEP_2) | instskip(NEXT) | instid1(VALU_DEP_1)
	v_cmp_nlt_f64_e64 s3, s[20:21], v[5:6]
	s_and_b32 s3, s3, vcc_lo
	s_delay_alu instid0(SALU_CYCLE_1) | instskip(NEXT) | instid1(SALU_CYCLE_1)
	s_and_saveexec_b32 s4, s3
	s_xor_b32 s101, exec_lo, s4
	s_cbranch_execz .LBB168_88
; %bb.77:                               ;   in Loop: Header=BB168_5 Depth=1
                                        ; implicit-def: $vgpr25_vgpr26
	s_mov_b32 s3, exec_lo
	v_cmpx_le_f64_e32 1.0, v[29:30]
	s_xor_b32 s4, exec_lo, s3
	s_cbranch_execz .LBB168_79
; %bb.78:                               ;   in Loop: Header=BB168_5 Depth=1
	v_add_f64 v[5:6], v[29:30], -1.0
	v_add_f64 v[25:26], v[29:30], 1.0
	s_mov_b32 s91, s23
	s_mov_b32 s12, s82
	v_cmp_gt_i32_e64 s3, 0, v14
	v_cmp_class_f64_e64 s6, v[13:14], 0x204
	v_cmp_class_f64_e64 s5, v[15:16], 0x204
	s_delay_alu instid0(VALU_DEP_4) | instskip(NEXT) | instid1(VALU_DEP_1)
	v_mul_f64 v[5:6], v[5:6], v[25:26]
	v_fma_f64 v[5:6], v[9:10], v[9:10], v[5:6]
	s_delay_alu instid0(VALU_DEP_1) | instskip(NEXT) | instid1(VALU_DEP_1)
	v_add_f64 v[9:10], v[5:6], 1.0
	v_frexp_mant_f64_e32 v[25:26], v[9:10]
	v_frexp_exp_i32_f64_e32 v7, v[9:10]
	v_add_f64 v[27:28], v[9:10], -1.0
	s_delay_alu instid0(VALU_DEP_3) | instskip(NEXT) | instid1(VALU_DEP_2)
	v_cmp_gt_f64_e32 vcc_lo, s[22:23], v[25:26]
	v_add_f64 v[25:26], v[27:28], -v[9:10]
	v_add_f64 v[27:28], v[5:6], -v[27:28]
	v_subrev_co_ci_u32_e32 v7, vcc_lo, 0, v7, vcc_lo
	s_delay_alu instid0(VALU_DEP_3) | instskip(NEXT) | instid1(VALU_DEP_2)
	v_add_f64 v[25:26], v[25:26], 1.0
	v_sub_nc_u32_e32 v11, 0, v7
	s_delay_alu instid0(VALU_DEP_1) | instskip(NEXT) | instid1(VALU_DEP_3)
	v_ldexp_f64 v[9:10], v[9:10], v11
	v_add_f64 v[25:26], v[27:28], v[25:26]
	s_delay_alu instid0(VALU_DEP_2) | instskip(SKIP_1) | instid1(VALU_DEP_3)
	v_add_f64 v[29:30], v[9:10], 1.0
	v_add_f64 v[41:42], v[9:10], -1.0
	v_ldexp_f64 v[25:26], v[25:26], v11
	v_cndmask_b32_e64 v11, 0x54442d18, v55, s3
	s_delay_alu instid0(VALU_DEP_4) | instskip(NEXT) | instid1(VALU_DEP_4)
	v_add_f64 v[27:28], v[29:30], -1.0
	v_add_f64 v[43:44], v[41:42], 1.0
	s_delay_alu instid0(VALU_DEP_2) | instskip(NEXT) | instid1(VALU_DEP_2)
	v_add_f64 v[27:28], v[9:10], -v[27:28]
	v_add_f64 v[9:10], v[9:10], -v[43:44]
	s_delay_alu instid0(VALU_DEP_2) | instskip(NEXT) | instid1(VALU_DEP_2)
	v_add_f64 v[27:28], v[25:26], v[27:28]
	v_add_f64 v[9:10], v[25:26], v[9:10]
	s_delay_alu instid0(VALU_DEP_2) | instskip(NEXT) | instid1(VALU_DEP_2)
	v_add_f64 v[31:32], v[29:30], v[27:28]
	v_add_f64 v[43:44], v[41:42], v[9:10]
	s_delay_alu instid0(VALU_DEP_2) | instskip(SKIP_1) | instid1(VALU_DEP_2)
	v_rcp_f64_e32 v[39:40], v[31:32]
	v_add_f64 v[29:30], v[31:32], -v[29:30]
	v_add_f64 v[41:42], v[43:44], -v[41:42]
	s_delay_alu instid0(VALU_DEP_2) | instskip(SKIP_3) | instid1(VALU_DEP_2)
	v_add_f64 v[27:28], v[27:28], -v[29:30]
	s_waitcnt_depctr 0xfff
	v_fma_f64 v[45:46], -v[31:32], v[39:40], 1.0
	v_add_f64 v[9:10], v[9:10], -v[41:42]
	v_fma_f64 v[39:40], v[45:46], v[39:40], v[39:40]
	s_delay_alu instid0(VALU_DEP_1) | instskip(NEXT) | instid1(VALU_DEP_1)
	v_fma_f64 v[25:26], -v[31:32], v[39:40], 1.0
	v_fma_f64 v[25:26], v[25:26], v[39:40], v[39:40]
	s_delay_alu instid0(VALU_DEP_1) | instskip(NEXT) | instid1(VALU_DEP_1)
	v_mul_f64 v[39:40], v[43:44], v[25:26]
	v_mul_f64 v[45:46], v[31:32], v[39:40]
	s_delay_alu instid0(VALU_DEP_1) | instskip(NEXT) | instid1(VALU_DEP_1)
	v_fma_f64 v[29:30], v[39:40], v[31:32], -v[45:46]
	v_fma_f64 v[29:30], v[39:40], v[27:28], v[29:30]
	s_delay_alu instid0(VALU_DEP_1) | instskip(NEXT) | instid1(VALU_DEP_1)
	v_add_f64 v[47:48], v[45:46], v[29:30]
	v_add_f64 v[49:50], v[43:44], -v[47:48]
	v_add_f64 v[41:42], v[47:48], -v[45:46]
	v_max_f64 v[45:46], |v[15:16]|, |v[15:16]|
	s_delay_alu instid0(VALU_DEP_3) | instskip(NEXT) | instid1(VALU_DEP_3)
	v_add_f64 v[43:44], v[43:44], -v[49:50]
	v_add_f64 v[29:30], v[41:42], -v[29:30]
	s_delay_alu instid0(VALU_DEP_2) | instskip(SKIP_2) | instid1(VALU_DEP_1)
	v_add_f64 v[43:44], v[43:44], -v[47:48]
	v_max_f64 v[47:48], |v[13:14]|, |v[13:14]|
	v_cndmask_b32_e64 v13, 0x3fe921fb, v56, s3
	v_bfi_b32 v13, 0x7fffffff, v13, v16
	s_delay_alu instid0(VALU_DEP_4) | instskip(NEXT) | instid1(VALU_DEP_4)
	v_add_f64 v[9:10], v[9:10], v[43:44]
	v_max_f64 v[51:52], v[47:48], v[45:46]
	v_min_f64 v[45:46], v[47:48], v[45:46]
	s_delay_alu instid0(VALU_DEP_3) | instskip(NEXT) | instid1(VALU_DEP_1)
	v_add_f64 v[9:10], v[29:30], v[9:10]
	v_add_f64 v[29:30], v[49:50], v[9:10]
	s_delay_alu instid0(VALU_DEP_1) | instskip(SKIP_1) | instid1(VALU_DEP_2)
	v_mul_f64 v[41:42], v[25:26], v[29:30]
	v_add_f64 v[49:50], v[49:50], -v[29:30]
	v_mul_f64 v[43:44], v[31:32], v[41:42]
	s_delay_alu instid0(VALU_DEP_2) | instskip(NEXT) | instid1(VALU_DEP_2)
	v_add_f64 v[9:10], v[9:10], v[49:50]
	v_fma_f64 v[31:32], v[41:42], v[31:32], -v[43:44]
	s_delay_alu instid0(VALU_DEP_1) | instskip(SKIP_1) | instid1(VALU_DEP_2)
	v_fma_f64 v[27:28], v[41:42], v[27:28], v[31:32]
	v_div_scale_f64 v[31:32], null, v[51:52], v[51:52], v[45:46]
	v_add_f64 v[47:48], v[43:44], v[27:28]
	s_delay_alu instid0(VALU_DEP_2) | instskip(NEXT) | instid1(VALU_DEP_1)
	v_rcp_f64_e32 v[53:54], v[31:32]
	v_add_f64 v[57:58], v[29:30], -v[47:48]
	v_add_f64 v[43:44], v[47:48], -v[43:44]
	s_waitcnt_depctr 0xfff
	v_fma_f64 v[59:60], -v[31:32], v[53:54], 1.0
	v_add_f64 v[29:30], v[29:30], -v[57:58]
	v_add_f64 v[27:28], v[43:44], -v[27:28]
	s_delay_alu instid0(VALU_DEP_3) | instskip(NEXT) | instid1(VALU_DEP_3)
	v_fma_f64 v[53:54], v[53:54], v[59:60], v[53:54]
	v_add_f64 v[29:30], v[29:30], -v[47:48]
	s_delay_alu instid0(VALU_DEP_2) | instskip(NEXT) | instid1(VALU_DEP_2)
	v_fma_f64 v[47:48], -v[31:32], v[53:54], 1.0
	v_add_f64 v[9:10], v[9:10], v[29:30]
	v_div_scale_f64 v[29:30], vcc_lo, v[45:46], v[51:52], v[45:46]
	s_delay_alu instid0(VALU_DEP_3) | instskip(SKIP_1) | instid1(VALU_DEP_4)
	v_fma_f64 v[43:44], v[53:54], v[47:48], v[53:54]
	v_add_f64 v[47:48], v[39:40], v[41:42]
	v_add_f64 v[9:10], v[27:28], v[9:10]
	s_delay_alu instid0(VALU_DEP_3) | instskip(NEXT) | instid1(VALU_DEP_3)
	v_mul_f64 v[27:28], v[29:30], v[43:44]
	v_add_f64 v[39:40], v[47:48], -v[39:40]
	s_delay_alu instid0(VALU_DEP_3) | instskip(NEXT) | instid1(VALU_DEP_3)
	v_add_f64 v[9:10], v[57:58], v[9:10]
	v_fma_f64 v[29:30], -v[31:32], v[27:28], v[29:30]
	s_delay_alu instid0(VALU_DEP_3) | instskip(NEXT) | instid1(VALU_DEP_3)
	v_add_f64 v[31:32], v[41:42], -v[39:40]
	v_mul_f64 v[9:10], v[25:26], v[9:10]
	s_delay_alu instid0(VALU_DEP_3) | instskip(SKIP_1) | instid1(VALU_DEP_3)
	v_div_fmas_f64 v[25:26], v[29:30], v[43:44], v[27:28]
	v_cmp_eq_f64_e32 vcc_lo, 0x7ff00000, v[5:6]
	v_add_f64 v[9:10], v[31:32], v[9:10]
	s_delay_alu instid0(VALU_DEP_3) | instskip(NEXT) | instid1(VALU_DEP_2)
	v_div_fixup_f64 v[25:26], v[25:26], v[51:52], v[45:46]
	v_add_f64 v[27:28], v[47:48], v[9:10]
	s_delay_alu instid0(VALU_DEP_2) | instskip(NEXT) | instid1(VALU_DEP_2)
	v_mul_f64 v[29:30], v[25:26], v[25:26]
	v_mul_f64 v[31:32], v[27:28], v[27:28]
	s_delay_alu instid0(VALU_DEP_2) | instskip(NEXT) | instid1(VALU_DEP_2)
	v_fma_f64 v[39:40], v[29:30], s[44:45], s[42:43]
	v_fma_f64 v[41:42], v[31:32], s[26:27], s[24:25]
	v_mul_f64 v[43:44], v[27:28], v[31:32]
	s_delay_alu instid0(VALU_DEP_3) | instskip(NEXT) | instid1(VALU_DEP_3)
	v_fma_f64 v[39:40], v[29:30], v[39:40], s[46:47]
	v_fma_f64 v[41:42], v[31:32], v[41:42], s[28:29]
	s_delay_alu instid0(VALU_DEP_2) | instskip(NEXT) | instid1(VALU_DEP_2)
	v_fma_f64 v[39:40], v[29:30], v[39:40], s[48:49]
	v_fma_f64 v[41:42], v[31:32], v[41:42], s[30:31]
	s_delay_alu instid0(VALU_DEP_2) | instskip(NEXT) | instid1(VALU_DEP_2)
	;; [unrolled: 3-line block ×4, first 2 shown]
	v_fma_f64 v[39:40], v[29:30], v[39:40], s[54:55]
	v_fma_f64 v[31:32], v[31:32], v[41:42], s[90:91]
	v_ldexp_f64 v[41:42], v[27:28], 1
	v_add_f64 v[27:28], v[27:28], -v[47:48]
	s_delay_alu instid0(VALU_DEP_4) | instskip(NEXT) | instid1(VALU_DEP_4)
	v_fma_f64 v[39:40], v[29:30], v[39:40], s[56:57]
	v_mul_f64 v[31:32], v[43:44], v[31:32]
	v_cvt_f64_i32_e32 v[43:44], v7
	s_delay_alu instid0(VALU_DEP_4) | instskip(NEXT) | instid1(VALU_DEP_4)
	v_add_f64 v[9:10], v[9:10], -v[27:28]
	v_fma_f64 v[39:40], v[29:30], v[39:40], s[58:59]
	v_ashrrev_i32_e32 v7, 31, v14
	v_add_f64 v[45:46], v[41:42], v[31:32]
	v_mul_f64 v[47:48], v[43:44], s[38:39]
	v_ldexp_f64 v[9:10], v[9:10], 1
	v_fma_f64 v[39:40], v[29:30], v[39:40], s[60:61]
	s_delay_alu instid0(VALU_DEP_4) | instskip(NEXT) | instid1(VALU_DEP_4)
	v_add_f64 v[27:28], v[45:46], -v[41:42]
	v_fma_f64 v[41:42], v[43:44], s[38:39], -v[47:48]
	s_delay_alu instid0(VALU_DEP_3) | instskip(NEXT) | instid1(VALU_DEP_3)
	v_fma_f64 v[39:40], v[29:30], v[39:40], s[62:63]
	v_add_f64 v[27:28], v[31:32], -v[27:28]
	s_delay_alu instid0(VALU_DEP_2) | instskip(NEXT) | instid1(VALU_DEP_4)
	v_fma_f64 v[31:32], v[29:30], v[39:40], s[64:65]
	v_fma_f64 v[39:40], v[43:44], s[40:41], v[41:42]
	s_delay_alu instid0(VALU_DEP_3) | instskip(NEXT) | instid1(VALU_DEP_3)
	v_add_f64 v[9:10], v[9:10], v[27:28]
	v_fma_f64 v[27:28], v[29:30], v[31:32], s[66:67]
	s_delay_alu instid0(VALU_DEP_3) | instskip(NEXT) | instid1(VALU_DEP_3)
	v_add_f64 v[31:32], v[47:48], v[39:40]
	v_add_f64 v[41:42], v[45:46], v[9:10]
	s_delay_alu instid0(VALU_DEP_3) | instskip(NEXT) | instid1(VALU_DEP_3)
	v_fma_f64 v[27:28], v[29:30], v[27:28], s[68:69]
	v_add_f64 v[47:48], v[31:32], -v[47:48]
	s_delay_alu instid0(VALU_DEP_3) | instskip(SKIP_1) | instid1(VALU_DEP_4)
	v_add_f64 v[43:44], v[31:32], v[41:42]
	v_add_f64 v[45:46], v[41:42], -v[45:46]
	v_fma_f64 v[27:28], v[29:30], v[27:28], s[70:71]
	s_delay_alu instid0(VALU_DEP_4) | instskip(NEXT) | instid1(VALU_DEP_4)
	v_add_f64 v[39:40], v[39:40], -v[47:48]
	v_add_f64 v[49:50], v[43:44], -v[31:32]
	s_delay_alu instid0(VALU_DEP_4) | instskip(NEXT) | instid1(VALU_DEP_4)
	v_add_f64 v[9:10], v[9:10], -v[45:46]
	v_fma_f64 v[27:28], v[29:30], v[27:28], s[72:73]
	s_delay_alu instid0(VALU_DEP_3) | instskip(SKIP_1) | instid1(VALU_DEP_4)
	v_add_f64 v[51:52], v[43:44], -v[49:50]
	v_add_f64 v[41:42], v[41:42], -v[49:50]
	v_add_f64 v[45:46], v[39:40], v[9:10]
	s_delay_alu instid0(VALU_DEP_4) | instskip(NEXT) | instid1(VALU_DEP_4)
	v_fma_f64 v[27:28], v[29:30], v[27:28], s[74:75]
	v_add_f64 v[31:32], v[31:32], -v[51:52]
	s_delay_alu instid0(VALU_DEP_2) | instskip(NEXT) | instid1(VALU_DEP_2)
	v_fma_f64 v[27:28], v[29:30], v[27:28], s[76:77]
	v_add_f64 v[31:32], v[41:42], v[31:32]
	v_add_f64 v[41:42], v[45:46], -v[39:40]
	s_delay_alu instid0(VALU_DEP_3) | instskip(NEXT) | instid1(VALU_DEP_3)
	v_fma_f64 v[27:28], v[29:30], v[27:28], s[78:79]
	v_add_f64 v[31:32], v[45:46], v[31:32]
	s_delay_alu instid0(VALU_DEP_3) | instskip(SKIP_1) | instid1(VALU_DEP_4)
	v_add_f64 v[45:46], v[45:46], -v[41:42]
	v_add_f64 v[9:10], v[9:10], -v[41:42]
	v_fma_f64 v[27:28], v[29:30], v[27:28], s[80:81]
	s_delay_alu instid0(VALU_DEP_4) | instskip(NEXT) | instid1(VALU_DEP_2)
	v_add_f64 v[47:48], v[43:44], v[31:32]
	v_mul_f64 v[27:28], v[29:30], v[27:28]
	v_add_f64 v[29:30], v[39:40], -v[45:46]
	s_delay_alu instid0(VALU_DEP_3) | instskip(NEXT) | instid1(VALU_DEP_3)
	v_add_f64 v[39:40], v[47:48], -v[43:44]
	v_fma_f64 v[25:26], v[25:26], v[27:28], v[25:26]
	s_delay_alu instid0(VALU_DEP_3) | instskip(NEXT) | instid1(VALU_DEP_3)
	v_add_f64 v[9:10], v[9:10], v[29:30]
	v_add_f64 v[27:28], v[31:32], -v[39:40]
	s_delay_alu instid0(VALU_DEP_3) | instskip(NEXT) | instid1(VALU_DEP_2)
	v_add_f64 v[29:30], -v[25:26], s[82:83]
	v_add_f64 v[9:10], v[9:10], v[27:28]
	s_delay_alu instid0(VALU_DEP_2) | instskip(NEXT) | instid1(VALU_DEP_3)
	v_cndmask_b32_e64 v26, v26, v30, s2
	v_cndmask_b32_e64 v25, v25, v29, s2
	s_delay_alu instid0(VALU_DEP_1) | instskip(NEXT) | instid1(VALU_DEP_4)
	v_add_f64 v[27:28], -v[25:26], s[12:13]
	v_add_f64 v[9:10], v[47:48], v[9:10]
	v_and_b32_e32 v29, 0x54442d18, v7
	v_and_b32_e32 v7, 0x400921fb, v7
	s_delay_alu instid0(VALU_DEP_4) | instskip(SKIP_4) | instid1(VALU_DEP_2)
	v_cndmask_b32_e64 v25, v25, v27, s3
	v_cndmask_b32_e64 v14, v26, v28, s3
	v_cmp_nge_f64_e64 s3, -1.0, v[5:6]
	v_dual_cndmask_b32 v10, v10, v6 :: v_dual_cndmask_b32 v9, v9, v5
	v_cmp_eq_f64_e32 vcc_lo, 0, v[15:16]
	v_mul_f64 v[9:10], v[9:10], 0.5
	v_cndmask_b32_e32 v27, v25, v29, vcc_lo
	v_cndmask_b32_e32 v7, v14, v7, vcc_lo
	v_cmp_ngt_f64_e32 vcc_lo, -1.0, v[5:6]
                                        ; implicit-def: $vgpr29_vgpr30
	s_delay_alu instid0(VALU_DEP_4)
	v_cndmask_b32_e64 v25, 0, v9, s3
	v_cmp_neq_f64_e64 s3, -1.0, v[5:6]
	v_cndmask_b32_e32 v10, 0x7ff80000, v10, vcc_lo
	s_and_b32 vcc_lo, s6, s5
	v_cndmask_b32_e32 v28, v7, v13, vcc_lo
	v_cndmask_b32_e32 v27, v27, v11, vcc_lo
	s_delay_alu instid0(VALU_DEP_3)
	v_cndmask_b32_e64 v26, 0xfff00000, v10, s3
                                        ; implicit-def: $vgpr9_vgpr10
.LBB168_79:                             ;   in Loop: Header=BB168_5 Depth=1
	s_and_not1_saveexec_b32 s102, s4
	s_cbranch_execz .LBB168_87
; %bb.80:                               ;   in Loop: Header=BB168_5 Depth=1
	v_mul_f64 v[5:6], v[9:10], v[9:10]
                                        ; implicit-def: $vgpr25_vgpr26
	s_mov_b32 s3, exec_lo
	s_delay_alu instid0(VALU_DEP_1) | instskip(NEXT) | instid1(VALU_DEP_1)
	v_fma_f64 v[5:6], v[29:30], v[29:30], v[5:6]
	v_cmpx_ge_f64_e32 s[84:85], v[5:6]
	s_xor_b32 s5, exec_lo, s3
	s_cbranch_execz .LBB168_82
; %bb.81:                               ;   in Loop: Header=BB168_5 Depth=1
	v_frexp_mant_f64_e32 v[9:10], v[5:6]
	v_max_f64 v[39:40], |v[13:14]|, |v[13:14]|
	s_mov_b32 s91, s23
	v_frexp_exp_i32_f64_e32 v7, v[5:6]
	s_mov_b32 s12, s82
	v_cmp_class_f64_e64 s6, v[15:16], 0x204
	v_cmp_class_f64_e64 s7, v[13:14], 0x204
	v_cmp_neq_f64_e64 s4, 0, v[5:6]
	v_cmp_gt_f64_e64 s3, s[22:23], v[9:10]
	s_delay_alu instid0(VALU_DEP_1) | instskip(NEXT) | instid1(VALU_DEP_1)
	v_cndmask_b32_e64 v34, 0x3ff00000, 2.0, s3
	v_mul_f64 v[9:10], v[9:10], v[33:34]
	s_delay_alu instid0(VALU_DEP_1) | instskip(SKIP_1) | instid1(VALU_DEP_2)
	v_add_f64 v[25:26], v[9:10], 1.0
	v_add_f64 v[31:32], v[9:10], -1.0
	v_rcp_f64_e32 v[27:28], v[25:26]
	s_waitcnt_depctr 0xfff
	v_fma_f64 v[29:30], -v[25:26], v[27:28], 1.0
	s_delay_alu instid0(VALU_DEP_1) | instskip(NEXT) | instid1(VALU_DEP_1)
	v_fma_f64 v[27:28], v[29:30], v[27:28], v[27:28]
	v_fma_f64 v[29:30], -v[25:26], v[27:28], 1.0
	s_delay_alu instid0(VALU_DEP_1) | instskip(SKIP_1) | instid1(VALU_DEP_2)
	v_fma_f64 v[27:28], v[29:30], v[27:28], v[27:28]
	v_max_f64 v[29:30], |v[15:16]|, |v[15:16]|
	v_mul_f64 v[41:42], v[31:32], v[27:28]
	s_delay_alu instid0(VALU_DEP_2) | instskip(SKIP_2) | instid1(VALU_DEP_4)
	v_max_f64 v[43:44], v[39:40], v[29:30]
	v_min_f64 v[29:30], v[39:40], v[29:30]
	v_add_f64 v[39:40], v[25:26], -1.0
	v_mul_f64 v[45:46], v[25:26], v[41:42]
	s_delay_alu instid0(VALU_DEP_3) | instskip(NEXT) | instid1(VALU_DEP_3)
	v_div_scale_f64 v[47:48], null, v[43:44], v[43:44], v[29:30]
	v_add_f64 v[9:10], v[9:10], -v[39:40]
	v_div_scale_f64 v[53:54], vcc_lo, v[29:30], v[43:44], v[29:30]
	s_delay_alu instid0(VALU_DEP_4) | instskip(NEXT) | instid1(VALU_DEP_4)
	v_fma_f64 v[25:26], v[41:42], v[25:26], -v[45:46]
	v_rcp_f64_e32 v[39:40], v[47:48]
	s_delay_alu instid0(VALU_DEP_1) | instskip(SKIP_3) | instid1(VALU_DEP_2)
	v_fma_f64 v[9:10], v[41:42], v[9:10], v[25:26]
	s_waitcnt_depctr 0xfff
	v_fma_f64 v[25:26], -v[47:48], v[39:40], 1.0
	v_add_f64 v[49:50], v[45:46], v[9:10]
	v_fma_f64 v[25:26], v[39:40], v[25:26], v[39:40]
	s_delay_alu instid0(VALU_DEP_2) | instskip(SKIP_1) | instid1(VALU_DEP_3)
	v_add_f64 v[39:40], v[31:32], -v[49:50]
	v_add_f64 v[45:46], v[49:50], -v[45:46]
	v_fma_f64 v[51:52], -v[47:48], v[25:26], 1.0
	s_delay_alu instid0(VALU_DEP_3) | instskip(NEXT) | instid1(VALU_DEP_3)
	v_add_f64 v[31:32], v[31:32], -v[39:40]
	v_add_f64 v[9:10], v[45:46], -v[9:10]
	s_delay_alu instid0(VALU_DEP_3) | instskip(NEXT) | instid1(VALU_DEP_3)
	v_fma_f64 v[25:26], v[25:26], v[51:52], v[25:26]
	v_add_f64 v[31:32], v[31:32], -v[49:50]
	s_delay_alu instid0(VALU_DEP_2) | instskip(NEXT) | instid1(VALU_DEP_2)
	v_mul_f64 v[45:46], v[53:54], v[25:26]
	v_add_f64 v[9:10], v[9:10], v[31:32]
	s_delay_alu instid0(VALU_DEP_2) | instskip(NEXT) | instid1(VALU_DEP_2)
	v_fma_f64 v[31:32], -v[47:48], v[45:46], v[53:54]
	v_add_f64 v[9:10], v[39:40], v[9:10]
	s_delay_alu instid0(VALU_DEP_2)
	v_div_fmas_f64 v[25:26], v[31:32], v[25:26], v[45:46]
	v_subrev_co_ci_u32_e64 v7, vcc_lo, 0, v7, s3
	v_cmp_eq_f64_e64 s3, 0, v[15:16]
	v_cmp_gt_i32_e32 vcc_lo, 0, v14
	v_cndmask_b32_e32 v5, 0x3fe921fb, v56, vcc_lo
	v_cndmask_b32_e32 v11, 0x54442d18, v55, vcc_lo
	s_delay_alu instid0(VALU_DEP_2) | instskip(SKIP_2) | instid1(VALU_DEP_2)
	v_bfi_b32 v5, 0x7fffffff, v5, v16
	v_mul_f64 v[9:10], v[27:28], v[9:10]
	v_div_fixup_f64 v[25:26], v[25:26], v[43:44], v[29:30]
	v_add_f64 v[27:28], v[41:42], v[9:10]
	s_delay_alu instid0(VALU_DEP_2) | instskip(NEXT) | instid1(VALU_DEP_2)
	v_mul_f64 v[29:30], v[25:26], v[25:26]
	v_mul_f64 v[31:32], v[27:28], v[27:28]
	s_delay_alu instid0(VALU_DEP_2) | instskip(NEXT) | instid1(VALU_DEP_2)
	v_fma_f64 v[39:40], v[29:30], s[44:45], s[42:43]
	v_fma_f64 v[43:44], v[31:32], s[26:27], s[24:25]
	v_mul_f64 v[45:46], v[27:28], v[31:32]
	s_delay_alu instid0(VALU_DEP_3) | instskip(NEXT) | instid1(VALU_DEP_3)
	v_fma_f64 v[39:40], v[29:30], v[39:40], s[46:47]
	v_fma_f64 v[43:44], v[31:32], v[43:44], s[28:29]
	s_delay_alu instid0(VALU_DEP_2) | instskip(NEXT) | instid1(VALU_DEP_2)
	v_fma_f64 v[39:40], v[29:30], v[39:40], s[48:49]
	v_fma_f64 v[43:44], v[31:32], v[43:44], s[30:31]
	s_delay_alu instid0(VALU_DEP_2) | instskip(NEXT) | instid1(VALU_DEP_2)
	;; [unrolled: 3-line block ×4, first 2 shown]
	v_fma_f64 v[39:40], v[29:30], v[39:40], s[54:55]
	v_fma_f64 v[31:32], v[31:32], v[43:44], s[90:91]
	v_ldexp_f64 v[43:44], v[27:28], 1
	v_add_f64 v[27:28], v[27:28], -v[41:42]
	s_delay_alu instid0(VALU_DEP_4) | instskip(NEXT) | instid1(VALU_DEP_4)
	v_fma_f64 v[39:40], v[29:30], v[39:40], s[56:57]
	v_mul_f64 v[31:32], v[45:46], v[31:32]
	v_cvt_f64_i32_e32 v[45:46], v7
	s_delay_alu instid0(VALU_DEP_4)
	v_add_f64 v[9:10], v[9:10], -v[27:28]
	v_ashrrev_i32_e32 v7, 31, v14
	v_fma_f64 v[39:40], v[29:30], v[39:40], s[58:59]
	v_add_f64 v[41:42], v[43:44], v[31:32]
	v_mul_f64 v[47:48], v[45:46], s[38:39]
	v_ldexp_f64 v[9:10], v[9:10], 1
	s_delay_alu instid0(VALU_DEP_4) | instskip(NEXT) | instid1(VALU_DEP_4)
	v_fma_f64 v[39:40], v[29:30], v[39:40], s[60:61]
	v_add_f64 v[27:28], v[41:42], -v[43:44]
	s_delay_alu instid0(VALU_DEP_4) | instskip(NEXT) | instid1(VALU_DEP_3)
	v_fma_f64 v[43:44], v[45:46], s[38:39], -v[47:48]
	v_fma_f64 v[39:40], v[29:30], v[39:40], s[62:63]
	s_delay_alu instid0(VALU_DEP_3) | instskip(NEXT) | instid1(VALU_DEP_2)
	v_add_f64 v[27:28], v[31:32], -v[27:28]
	v_fma_f64 v[31:32], v[29:30], v[39:40], s[64:65]
	s_delay_alu instid0(VALU_DEP_4) | instskip(NEXT) | instid1(VALU_DEP_3)
	v_fma_f64 v[39:40], v[45:46], s[40:41], v[43:44]
	v_add_f64 v[9:10], v[9:10], v[27:28]
	s_delay_alu instid0(VALU_DEP_3) | instskip(NEXT) | instid1(VALU_DEP_3)
	v_fma_f64 v[27:28], v[29:30], v[31:32], s[66:67]
	v_add_f64 v[31:32], v[47:48], v[39:40]
	s_delay_alu instid0(VALU_DEP_3) | instskip(NEXT) | instid1(VALU_DEP_3)
	v_add_f64 v[43:44], v[41:42], v[9:10]
	v_fma_f64 v[27:28], v[29:30], v[27:28], s[68:69]
	s_delay_alu instid0(VALU_DEP_3) | instskip(NEXT) | instid1(VALU_DEP_3)
	v_add_f64 v[47:48], v[31:32], -v[47:48]
	v_add_f64 v[45:46], v[31:32], v[43:44]
	v_add_f64 v[41:42], v[43:44], -v[41:42]
	s_delay_alu instid0(VALU_DEP_4) | instskip(NEXT) | instid1(VALU_DEP_4)
	v_fma_f64 v[27:28], v[29:30], v[27:28], s[70:71]
	v_add_f64 v[39:40], v[39:40], -v[47:48]
	s_delay_alu instid0(VALU_DEP_4) | instskip(NEXT) | instid1(VALU_DEP_4)
	v_add_f64 v[49:50], v[45:46], -v[31:32]
	v_add_f64 v[9:10], v[9:10], -v[41:42]
	s_delay_alu instid0(VALU_DEP_4) | instskip(NEXT) | instid1(VALU_DEP_3)
	v_fma_f64 v[27:28], v[29:30], v[27:28], s[72:73]
	v_add_f64 v[51:52], v[45:46], -v[49:50]
	v_add_f64 v[41:42], v[43:44], -v[49:50]
	s_delay_alu instid0(VALU_DEP_4) | instskip(NEXT) | instid1(VALU_DEP_4)
	v_add_f64 v[43:44], v[39:40], v[9:10]
	v_fma_f64 v[27:28], v[29:30], v[27:28], s[74:75]
	s_delay_alu instid0(VALU_DEP_4) | instskip(NEXT) | instid1(VALU_DEP_2)
	v_add_f64 v[31:32], v[31:32], -v[51:52]
	v_fma_f64 v[27:28], v[29:30], v[27:28], s[76:77]
	s_delay_alu instid0(VALU_DEP_2) | instskip(SKIP_1) | instid1(VALU_DEP_3)
	v_add_f64 v[31:32], v[41:42], v[31:32]
	v_add_f64 v[41:42], v[43:44], -v[39:40]
	v_fma_f64 v[27:28], v[29:30], v[27:28], s[78:79]
	s_delay_alu instid0(VALU_DEP_3) | instskip(NEXT) | instid1(VALU_DEP_3)
	v_add_f64 v[31:32], v[43:44], v[31:32]
	v_add_f64 v[43:44], v[43:44], -v[41:42]
	v_add_f64 v[9:10], v[9:10], -v[41:42]
	s_delay_alu instid0(VALU_DEP_4) | instskip(NEXT) | instid1(VALU_DEP_4)
	v_fma_f64 v[27:28], v[29:30], v[27:28], s[80:81]
	v_add_f64 v[47:48], v[45:46], v[31:32]
	s_delay_alu instid0(VALU_DEP_2) | instskip(SKIP_1) | instid1(VALU_DEP_3)
	v_mul_f64 v[27:28], v[29:30], v[27:28]
	v_add_f64 v[29:30], v[39:40], -v[43:44]
	v_add_f64 v[39:40], v[47:48], -v[45:46]
	s_delay_alu instid0(VALU_DEP_3) | instskip(NEXT) | instid1(VALU_DEP_3)
	v_fma_f64 v[25:26], v[25:26], v[27:28], v[25:26]
	v_add_f64 v[9:10], v[9:10], v[29:30]
	s_delay_alu instid0(VALU_DEP_3) | instskip(NEXT) | instid1(VALU_DEP_3)
	v_add_f64 v[27:28], v[31:32], -v[39:40]
	v_add_f64 v[29:30], -v[25:26], s[82:83]
	s_delay_alu instid0(VALU_DEP_2) | instskip(NEXT) | instid1(VALU_DEP_2)
	v_add_f64 v[9:10], v[9:10], v[27:28]
	v_cndmask_b32_e64 v26, v26, v30, s2
	s_delay_alu instid0(VALU_DEP_3) | instskip(SKIP_1) | instid1(VALU_DEP_2)
	v_cndmask_b32_e64 v25, v25, v29, s2
	v_and_b32_e32 v29, 0x54442d18, v7
	v_add_f64 v[27:28], -v[25:26], s[12:13]
	v_and_b32_e32 v6, 0x400921fb, v7
	v_add_f64 v[9:10], v[47:48], v[9:10]
	s_delay_alu instid0(VALU_DEP_3) | instskip(NEXT) | instid1(VALU_DEP_4)
	v_cndmask_b32_e32 v7, v26, v28, vcc_lo
	v_cndmask_b32_e32 v25, v25, v27, vcc_lo
	s_and_b32 vcc_lo, s7, s6
	s_delay_alu instid0(VALU_DEP_2) | instskip(NEXT) | instid1(VALU_DEP_1)
	v_cndmask_b32_e64 v6, v7, v6, s3
	v_cndmask_b32_e32 v28, v6, v5, vcc_lo
	s_delay_alu instid0(VALU_DEP_3) | instskip(NEXT) | instid1(VALU_DEP_1)
	v_cndmask_b32_e64 v13, v25, v29, s3
                                        ; implicit-def: $vgpr29_vgpr30
	v_cndmask_b32_e32 v27, v13, v11, vcc_lo
	v_mul_f64 v[9:10], v[9:10], 0.5
	s_delay_alu instid0(VALU_DEP_1) | instskip(NEXT) | instid1(VALU_DEP_2)
	v_cndmask_b32_e64 v26, 0xfff00000, v10, s4
	v_cndmask_b32_e64 v25, 0, v9, s4
                                        ; implicit-def: $vgpr9_vgpr10
.LBB168_82:                             ;   in Loop: Header=BB168_5 Depth=1
	s_and_not1_saveexec_b32 s103, s5
	s_cbranch_execz .LBB168_86
; %bb.83:                               ;   in Loop: Header=BB168_5 Depth=1
	v_dual_mov_b32 v25, v33 :: v_dual_and_b32 v34, 0x7ffffff8, v30
	v_and_b32_e32 v26, 0x7ffffff8, v10
	s_mov_b32 s91, 0
	s_delay_alu instid0(VALU_DEP_2) | instskip(SKIP_1) | instid1(VALU_DEP_3)
	v_add_f64 v[5:6], v[29:30], -v[33:34]
	v_mov_b32_e32 v29, v33
	v_add_f64 v[9:10], v[9:10], -v[25:26]
	v_mov_b32_e32 v31, v33
	v_add_f64 v[39:40], v[33:34], v[33:34]
	v_add_f64 v[47:48], v[25:26], v[25:26]
	v_mul_f64 v[27:28], v[25:26], v[25:26]
	v_and_b32_e32 v30, -8, v6
	v_and_b32_e32 v32, -8, v10
	s_delay_alu instid0(VALU_DEP_2) | instskip(SKIP_1) | instid1(VALU_DEP_3)
	v_add_f64 v[49:50], v[5:6], -v[29:30]
	v_add_f64 v[53:54], v[29:30], v[29:30]
	v_add_f64 v[51:52], v[9:10], -v[31:32]
	v_add_f64 v[57:58], v[31:32], v[31:32]
	v_mul_f64 v[5:6], v[33:34], v[33:34]
	v_mul_f64 v[45:46], v[39:40], v[29:30]
	v_mul_f64 v[25:26], v[47:48], v[31:32]
	v_mul_f64 v[43:44], v[29:30], v[29:30]
	v_mul_f64 v[9:10], v[31:32], v[31:32]
	v_mul_f64 v[41:42], v[39:40], v[49:50]
	v_mul_f64 v[31:32], v[53:54], v[49:50]
	v_mul_f64 v[39:40], v[47:48], v[51:52]
	v_mul_f64 v[29:30], v[57:58], v[51:52]
	v_mul_f64 v[47:48], v[49:50], v[49:50]
	v_mul_f64 v[49:50], v[51:52], v[51:52]
.LBB168_84:                             ;   Parent Loop BB168_5 Depth=1
                                        ; =>  This Inner Loop Header: Depth=2
	v_cmp_nlt_f64_e32 vcc_lo, v[5:6], v[27:28]
	v_dual_cndmask_b32 v52, v6, v28 :: v_dual_cndmask_b32 v51, v5, v27
	v_dual_cndmask_b32 v6, v28, v6 :: v_dual_cndmask_b32 v5, v27, v5
	s_delay_alu instid0(VALU_DEP_2) | instskip(NEXT) | instid1(VALU_DEP_1)
	v_cmp_nlt_f64_e64 s3, v[51:52], v[45:46]
	v_cndmask_b32_e64 v54, v52, v46, s3
	v_cndmask_b32_e64 v53, v51, v45, s3
	;; [unrolled: 1-line block ×4, first 2 shown]
	s_and_b32 s3, vcc_lo, s3
	s_delay_alu instid0(VALU_DEP_3) | instskip(NEXT) | instid1(VALU_DEP_1)
	v_cmp_nlt_f64_e64 s4, v[53:54], v[25:26]
	v_cndmask_b32_e64 v58, v54, v26, s4
	v_cndmask_b32_e64 v57, v53, v25, s4
	;; [unrolled: 1-line block ×4, first 2 shown]
	s_delay_alu instid0(VALU_DEP_3) | instskip(NEXT) | instid1(VALU_DEP_1)
	v_cmp_nlt_f64_e64 s5, v[57:58], v[43:44]
	v_cndmask_b32_e64 v60, v58, v44, s5
	v_cndmask_b32_e64 v59, v57, v43, s5
	;; [unrolled: 1-line block ×4, first 2 shown]
	s_and_b32 s4, s4, s5
	s_delay_alu instid0(VALU_DEP_3) | instskip(NEXT) | instid1(VALU_DEP_1)
	v_cmp_nlt_f64_e64 s6, v[59:60], v[9:10]
	v_cndmask_b32_e64 v62, v60, v10, s6
	v_cndmask_b32_e64 v61, v59, v9, s6
	;; [unrolled: 1-line block ×4, first 2 shown]
	s_delay_alu instid0(VALU_DEP_3) | instskip(NEXT) | instid1(VALU_DEP_1)
	v_cmp_nlt_f64_e64 s7, v[61:62], v[41:42]
	v_cndmask_b32_e64 v64, v62, v42, s7
	v_cndmask_b32_e64 v63, v61, v41, s7
	s_and_b32 s5, s6, s7
	v_cndmask_b32_e64 v10, v42, v62, s7
	v_cndmask_b32_e64 v9, v41, v61, s7
	s_delay_alu instid0(VALU_DEP_3) | instskip(NEXT) | instid1(VALU_DEP_1)
	v_cmp_nlt_f64_e64 s8, v[63:64], v[39:40]
	v_cndmask_b32_e64 v66, v64, v40, s8
	v_cndmask_b32_e64 v65, v63, v39, s8
	s_and_b32 s5, s5, s8
	v_cndmask_b32_e64 v42, v40, v64, s8
	v_cndmask_b32_e64 v41, v39, v63, s8
	;; [unrolled: 7-line block ×5, first 2 shown]
	s_delay_alu instid0(VALU_DEP_3) | instskip(NEXT) | instid1(VALU_DEP_1)
	v_cmp_nlt_f64_e64 s12, v[71:72], v[49:50]
	v_cndmask_b32_e64 v52, v72, v50, s12
	v_cndmask_b32_e64 v51, v71, v49, s12
	s_and_b32 s5, s5, s12
	v_cndmask_b32_e64 v48, v50, v72, s12
	s_and_b32 s4, s5, s4
	;; [unrolled: 2-line block ×3, first 2 shown]
	v_dual_mov_b32 v49, v51 :: v_dual_mov_b32 v50, v52
	s_and_b32 s3, exec_lo, s3
	s_delay_alu instid0(SALU_CYCLE_1) | instskip(NEXT) | instid1(SALU_CYCLE_1)
	s_or_b32 s91, s3, s91
	s_and_not1_b32 exec_lo, exec_lo, s91
	s_cbranch_execnz .LBB168_84
; %bb.85:                               ;   in Loop: Header=BB168_5 Depth=1
	s_or_b32 exec_lo, exec_lo, s91
	v_add_f64 v[5:6], v[5:6], -1.0
	s_mov_b32 s91, s23
	s_mov_b32 s12, s82
	v_cmp_gt_i32_e64 s3, 0, v14
	v_cmp_class_f64_e64 s5, v[13:14], 0x204
	v_cmp_class_f64_e64 s4, v[15:16], 0x204
	s_delay_alu instid0(VALU_DEP_4) | instskip(NEXT) | instid1(VALU_DEP_1)
	v_add_f64 v[5:6], v[5:6], v[27:28]
	v_add_f64 v[5:6], v[5:6], v[45:46]
	s_delay_alu instid0(VALU_DEP_1) | instskip(NEXT) | instid1(VALU_DEP_1)
	v_add_f64 v[5:6], v[5:6], v[25:26]
	v_add_f64 v[5:6], v[5:6], v[43:44]
	s_delay_alu instid0(VALU_DEP_1) | instskip(NEXT) | instid1(VALU_DEP_1)
	;; [unrolled: 3-line block ×5, first 2 shown]
	v_add_f64 v[5:6], v[51:52], v[5:6]
	v_add_f64 v[9:10], v[5:6], 1.0
	s_delay_alu instid0(VALU_DEP_1) | instskip(SKIP_2) | instid1(VALU_DEP_3)
	v_frexp_mant_f64_e32 v[25:26], v[9:10]
	v_frexp_exp_i32_f64_e32 v7, v[9:10]
	v_add_f64 v[27:28], v[9:10], -1.0
	v_cmp_gt_f64_e32 vcc_lo, s[22:23], v[25:26]
	s_delay_alu instid0(VALU_DEP_2) | instskip(SKIP_2) | instid1(VALU_DEP_3)
	v_add_f64 v[25:26], v[27:28], -v[9:10]
	v_add_f64 v[27:28], v[5:6], -v[27:28]
	v_subrev_co_ci_u32_e32 v7, vcc_lo, 0, v7, vcc_lo
	v_add_f64 v[25:26], v[25:26], 1.0
	s_delay_alu instid0(VALU_DEP_2) | instskip(NEXT) | instid1(VALU_DEP_1)
	v_sub_nc_u32_e32 v11, 0, v7
	v_ldexp_f64 v[9:10], v[9:10], v11
	s_delay_alu instid0(VALU_DEP_3) | instskip(NEXT) | instid1(VALU_DEP_2)
	v_add_f64 v[25:26], v[27:28], v[25:26]
	v_add_f64 v[29:30], v[9:10], 1.0
	v_add_f64 v[41:42], v[9:10], -1.0
	s_delay_alu instid0(VALU_DEP_3) | instskip(SKIP_1) | instid1(VALU_DEP_4)
	v_ldexp_f64 v[25:26], v[25:26], v11
	v_cndmask_b32_e64 v11, 0x54442d18, v55, s3
	v_add_f64 v[27:28], v[29:30], -1.0
	s_delay_alu instid0(VALU_DEP_4) | instskip(NEXT) | instid1(VALU_DEP_2)
	v_add_f64 v[43:44], v[41:42], 1.0
	v_add_f64 v[27:28], v[9:10], -v[27:28]
	s_delay_alu instid0(VALU_DEP_2) | instskip(NEXT) | instid1(VALU_DEP_2)
	v_add_f64 v[9:10], v[9:10], -v[43:44]
	v_add_f64 v[27:28], v[25:26], v[27:28]
	s_delay_alu instid0(VALU_DEP_2) | instskip(NEXT) | instid1(VALU_DEP_2)
	v_add_f64 v[9:10], v[25:26], v[9:10]
	v_add_f64 v[31:32], v[29:30], v[27:28]
	s_delay_alu instid0(VALU_DEP_2) | instskip(NEXT) | instid1(VALU_DEP_2)
	v_add_f64 v[43:44], v[41:42], v[9:10]
	v_rcp_f64_e32 v[39:40], v[31:32]
	v_add_f64 v[29:30], v[31:32], -v[29:30]
	s_delay_alu instid0(VALU_DEP_2) | instskip(NEXT) | instid1(VALU_DEP_2)
	v_add_f64 v[41:42], v[43:44], -v[41:42]
	v_add_f64 v[27:28], v[27:28], -v[29:30]
	s_waitcnt_depctr 0xfff
	v_fma_f64 v[45:46], -v[31:32], v[39:40], 1.0
	v_add_f64 v[9:10], v[9:10], -v[41:42]
	s_delay_alu instid0(VALU_DEP_2) | instskip(NEXT) | instid1(VALU_DEP_1)
	v_fma_f64 v[39:40], v[45:46], v[39:40], v[39:40]
	v_fma_f64 v[25:26], -v[31:32], v[39:40], 1.0
	s_delay_alu instid0(VALU_DEP_1) | instskip(NEXT) | instid1(VALU_DEP_1)
	v_fma_f64 v[25:26], v[25:26], v[39:40], v[39:40]
	v_mul_f64 v[39:40], v[43:44], v[25:26]
	s_delay_alu instid0(VALU_DEP_1) | instskip(NEXT) | instid1(VALU_DEP_1)
	v_mul_f64 v[45:46], v[31:32], v[39:40]
	v_fma_f64 v[29:30], v[39:40], v[31:32], -v[45:46]
	s_delay_alu instid0(VALU_DEP_1) | instskip(NEXT) | instid1(VALU_DEP_1)
	v_fma_f64 v[29:30], v[39:40], v[27:28], v[29:30]
	v_add_f64 v[47:48], v[45:46], v[29:30]
	s_delay_alu instid0(VALU_DEP_1) | instskip(SKIP_2) | instid1(VALU_DEP_3)
	v_add_f64 v[49:50], v[43:44], -v[47:48]
	v_add_f64 v[41:42], v[47:48], -v[45:46]
	v_max_f64 v[45:46], |v[15:16]|, |v[15:16]|
	v_add_f64 v[43:44], v[43:44], -v[49:50]
	s_delay_alu instid0(VALU_DEP_3) | instskip(NEXT) | instid1(VALU_DEP_2)
	v_add_f64 v[29:30], v[41:42], -v[29:30]
	v_add_f64 v[43:44], v[43:44], -v[47:48]
	v_max_f64 v[47:48], |v[13:14]|, |v[13:14]|
	v_cndmask_b32_e64 v13, 0x3fe921fb, v56, s3
	s_delay_alu instid0(VALU_DEP_1) | instskip(NEXT) | instid1(VALU_DEP_4)
	v_bfi_b32 v13, 0x7fffffff, v13, v16
	v_add_f64 v[9:10], v[9:10], v[43:44]
	s_delay_alu instid0(VALU_DEP_4) | instskip(SKIP_1) | instid1(VALU_DEP_3)
	v_max_f64 v[51:52], v[47:48], v[45:46]
	v_min_f64 v[45:46], v[47:48], v[45:46]
	v_add_f64 v[9:10], v[29:30], v[9:10]
	s_delay_alu instid0(VALU_DEP_1) | instskip(NEXT) | instid1(VALU_DEP_1)
	v_add_f64 v[29:30], v[49:50], v[9:10]
	v_mul_f64 v[41:42], v[25:26], v[29:30]
	v_add_f64 v[49:50], v[49:50], -v[29:30]
	s_delay_alu instid0(VALU_DEP_2) | instskip(NEXT) | instid1(VALU_DEP_2)
	v_mul_f64 v[43:44], v[31:32], v[41:42]
	v_add_f64 v[9:10], v[9:10], v[49:50]
	s_delay_alu instid0(VALU_DEP_2) | instskip(NEXT) | instid1(VALU_DEP_1)
	v_fma_f64 v[31:32], v[41:42], v[31:32], -v[43:44]
	v_fma_f64 v[27:28], v[41:42], v[27:28], v[31:32]
	v_div_scale_f64 v[31:32], null, v[51:52], v[51:52], v[45:46]
	s_delay_alu instid0(VALU_DEP_2) | instskip(NEXT) | instid1(VALU_DEP_2)
	v_add_f64 v[47:48], v[43:44], v[27:28]
	v_rcp_f64_e32 v[53:54], v[31:32]
	s_delay_alu instid0(VALU_DEP_1)
	v_add_f64 v[57:58], v[29:30], -v[47:48]
	v_add_f64 v[43:44], v[47:48], -v[43:44]
	s_waitcnt_depctr 0xfff
	v_fma_f64 v[59:60], -v[31:32], v[53:54], 1.0
	v_add_f64 v[29:30], v[29:30], -v[57:58]
	v_add_f64 v[27:28], v[43:44], -v[27:28]
	s_delay_alu instid0(VALU_DEP_3) | instskip(NEXT) | instid1(VALU_DEP_3)
	v_fma_f64 v[53:54], v[53:54], v[59:60], v[53:54]
	v_add_f64 v[29:30], v[29:30], -v[47:48]
	s_delay_alu instid0(VALU_DEP_2) | instskip(NEXT) | instid1(VALU_DEP_2)
	v_fma_f64 v[47:48], -v[31:32], v[53:54], 1.0
	v_add_f64 v[9:10], v[9:10], v[29:30]
	v_div_scale_f64 v[29:30], vcc_lo, v[45:46], v[51:52], v[45:46]
	s_delay_alu instid0(VALU_DEP_3) | instskip(SKIP_1) | instid1(VALU_DEP_4)
	v_fma_f64 v[43:44], v[53:54], v[47:48], v[53:54]
	v_add_f64 v[47:48], v[39:40], v[41:42]
	v_add_f64 v[9:10], v[27:28], v[9:10]
	s_delay_alu instid0(VALU_DEP_3) | instskip(NEXT) | instid1(VALU_DEP_3)
	v_mul_f64 v[27:28], v[29:30], v[43:44]
	v_add_f64 v[39:40], v[47:48], -v[39:40]
	s_delay_alu instid0(VALU_DEP_3) | instskip(NEXT) | instid1(VALU_DEP_3)
	v_add_f64 v[9:10], v[57:58], v[9:10]
	v_fma_f64 v[29:30], -v[31:32], v[27:28], v[29:30]
	s_delay_alu instid0(VALU_DEP_3) | instskip(NEXT) | instid1(VALU_DEP_3)
	v_add_f64 v[31:32], v[41:42], -v[39:40]
	v_mul_f64 v[9:10], v[25:26], v[9:10]
	s_delay_alu instid0(VALU_DEP_3) | instskip(SKIP_1) | instid1(VALU_DEP_3)
	v_div_fmas_f64 v[25:26], v[29:30], v[43:44], v[27:28]
	v_cmp_eq_f64_e32 vcc_lo, 0x7ff00000, v[5:6]
	v_add_f64 v[9:10], v[31:32], v[9:10]
	s_delay_alu instid0(VALU_DEP_3) | instskip(NEXT) | instid1(VALU_DEP_2)
	v_div_fixup_f64 v[25:26], v[25:26], v[51:52], v[45:46]
	v_add_f64 v[27:28], v[47:48], v[9:10]
	s_delay_alu instid0(VALU_DEP_2) | instskip(NEXT) | instid1(VALU_DEP_2)
	v_mul_f64 v[29:30], v[25:26], v[25:26]
	v_mul_f64 v[31:32], v[27:28], v[27:28]
	s_delay_alu instid0(VALU_DEP_2) | instskip(NEXT) | instid1(VALU_DEP_2)
	v_fma_f64 v[39:40], v[29:30], s[44:45], s[42:43]
	v_fma_f64 v[41:42], v[31:32], s[26:27], s[24:25]
	v_mul_f64 v[43:44], v[27:28], v[31:32]
	s_delay_alu instid0(VALU_DEP_3) | instskip(NEXT) | instid1(VALU_DEP_3)
	v_fma_f64 v[39:40], v[29:30], v[39:40], s[46:47]
	v_fma_f64 v[41:42], v[31:32], v[41:42], s[28:29]
	s_delay_alu instid0(VALU_DEP_2) | instskip(NEXT) | instid1(VALU_DEP_2)
	v_fma_f64 v[39:40], v[29:30], v[39:40], s[48:49]
	v_fma_f64 v[41:42], v[31:32], v[41:42], s[30:31]
	s_delay_alu instid0(VALU_DEP_2) | instskip(NEXT) | instid1(VALU_DEP_2)
	;; [unrolled: 3-line block ×4, first 2 shown]
	v_fma_f64 v[39:40], v[29:30], v[39:40], s[54:55]
	v_fma_f64 v[31:32], v[31:32], v[41:42], s[90:91]
	v_ldexp_f64 v[41:42], v[27:28], 1
	v_add_f64 v[27:28], v[27:28], -v[47:48]
	s_delay_alu instid0(VALU_DEP_4) | instskip(NEXT) | instid1(VALU_DEP_4)
	v_fma_f64 v[39:40], v[29:30], v[39:40], s[56:57]
	v_mul_f64 v[31:32], v[43:44], v[31:32]
	v_cvt_f64_i32_e32 v[43:44], v7
	s_delay_alu instid0(VALU_DEP_4) | instskip(NEXT) | instid1(VALU_DEP_4)
	v_add_f64 v[9:10], v[9:10], -v[27:28]
	v_fma_f64 v[39:40], v[29:30], v[39:40], s[58:59]
	v_ashrrev_i32_e32 v7, 31, v14
	v_add_f64 v[45:46], v[41:42], v[31:32]
	v_mul_f64 v[47:48], v[43:44], s[38:39]
	v_ldexp_f64 v[9:10], v[9:10], 1
	v_fma_f64 v[39:40], v[29:30], v[39:40], s[60:61]
	s_delay_alu instid0(VALU_DEP_4) | instskip(NEXT) | instid1(VALU_DEP_4)
	v_add_f64 v[27:28], v[45:46], -v[41:42]
	v_fma_f64 v[41:42], v[43:44], s[38:39], -v[47:48]
	s_delay_alu instid0(VALU_DEP_3) | instskip(NEXT) | instid1(VALU_DEP_3)
	v_fma_f64 v[39:40], v[29:30], v[39:40], s[62:63]
	v_add_f64 v[27:28], v[31:32], -v[27:28]
	s_delay_alu instid0(VALU_DEP_2) | instskip(NEXT) | instid1(VALU_DEP_4)
	v_fma_f64 v[31:32], v[29:30], v[39:40], s[64:65]
	v_fma_f64 v[39:40], v[43:44], s[40:41], v[41:42]
	s_delay_alu instid0(VALU_DEP_3) | instskip(NEXT) | instid1(VALU_DEP_3)
	v_add_f64 v[9:10], v[9:10], v[27:28]
	v_fma_f64 v[27:28], v[29:30], v[31:32], s[66:67]
	s_delay_alu instid0(VALU_DEP_3) | instskip(NEXT) | instid1(VALU_DEP_3)
	v_add_f64 v[31:32], v[47:48], v[39:40]
	v_add_f64 v[41:42], v[45:46], v[9:10]
	s_delay_alu instid0(VALU_DEP_3) | instskip(NEXT) | instid1(VALU_DEP_3)
	v_fma_f64 v[27:28], v[29:30], v[27:28], s[68:69]
	v_add_f64 v[47:48], v[31:32], -v[47:48]
	s_delay_alu instid0(VALU_DEP_3) | instskip(SKIP_1) | instid1(VALU_DEP_4)
	v_add_f64 v[43:44], v[31:32], v[41:42]
	v_add_f64 v[45:46], v[41:42], -v[45:46]
	v_fma_f64 v[27:28], v[29:30], v[27:28], s[70:71]
	s_delay_alu instid0(VALU_DEP_4) | instskip(NEXT) | instid1(VALU_DEP_4)
	v_add_f64 v[39:40], v[39:40], -v[47:48]
	v_add_f64 v[49:50], v[43:44], -v[31:32]
	s_delay_alu instid0(VALU_DEP_4) | instskip(NEXT) | instid1(VALU_DEP_4)
	v_add_f64 v[9:10], v[9:10], -v[45:46]
	v_fma_f64 v[27:28], v[29:30], v[27:28], s[72:73]
	s_delay_alu instid0(VALU_DEP_3) | instskip(SKIP_1) | instid1(VALU_DEP_4)
	v_add_f64 v[51:52], v[43:44], -v[49:50]
	v_add_f64 v[41:42], v[41:42], -v[49:50]
	v_add_f64 v[45:46], v[39:40], v[9:10]
	s_delay_alu instid0(VALU_DEP_4) | instskip(NEXT) | instid1(VALU_DEP_4)
	v_fma_f64 v[27:28], v[29:30], v[27:28], s[74:75]
	v_add_f64 v[31:32], v[31:32], -v[51:52]
	s_delay_alu instid0(VALU_DEP_2) | instskip(NEXT) | instid1(VALU_DEP_2)
	v_fma_f64 v[27:28], v[29:30], v[27:28], s[76:77]
	v_add_f64 v[31:32], v[41:42], v[31:32]
	v_add_f64 v[41:42], v[45:46], -v[39:40]
	s_delay_alu instid0(VALU_DEP_3) | instskip(NEXT) | instid1(VALU_DEP_3)
	v_fma_f64 v[27:28], v[29:30], v[27:28], s[78:79]
	v_add_f64 v[31:32], v[45:46], v[31:32]
	s_delay_alu instid0(VALU_DEP_3) | instskip(SKIP_1) | instid1(VALU_DEP_4)
	v_add_f64 v[45:46], v[45:46], -v[41:42]
	v_add_f64 v[9:10], v[9:10], -v[41:42]
	v_fma_f64 v[27:28], v[29:30], v[27:28], s[80:81]
	s_delay_alu instid0(VALU_DEP_4) | instskip(NEXT) | instid1(VALU_DEP_2)
	v_add_f64 v[47:48], v[43:44], v[31:32]
	v_mul_f64 v[27:28], v[29:30], v[27:28]
	v_add_f64 v[29:30], v[39:40], -v[45:46]
	s_delay_alu instid0(VALU_DEP_3) | instskip(NEXT) | instid1(VALU_DEP_3)
	v_add_f64 v[39:40], v[47:48], -v[43:44]
	v_fma_f64 v[25:26], v[25:26], v[27:28], v[25:26]
	s_delay_alu instid0(VALU_DEP_3) | instskip(NEXT) | instid1(VALU_DEP_3)
	v_add_f64 v[9:10], v[9:10], v[29:30]
	v_add_f64 v[27:28], v[31:32], -v[39:40]
	s_delay_alu instid0(VALU_DEP_3) | instskip(NEXT) | instid1(VALU_DEP_2)
	v_add_f64 v[29:30], -v[25:26], s[82:83]
	v_add_f64 v[9:10], v[9:10], v[27:28]
	s_delay_alu instid0(VALU_DEP_2) | instskip(NEXT) | instid1(VALU_DEP_3)
	v_cndmask_b32_e64 v26, v26, v30, s2
	v_cndmask_b32_e64 v25, v25, v29, s2
	s_delay_alu instid0(VALU_DEP_1) | instskip(NEXT) | instid1(VALU_DEP_4)
	v_add_f64 v[27:28], -v[25:26], s[12:13]
	v_add_f64 v[9:10], v[47:48], v[9:10]
	v_and_b32_e32 v29, 0x54442d18, v7
	v_and_b32_e32 v7, 0x400921fb, v7
	s_delay_alu instid0(VALU_DEP_4) | instskip(SKIP_4) | instid1(VALU_DEP_2)
	v_cndmask_b32_e64 v25, v25, v27, s3
	v_cndmask_b32_e64 v14, v26, v28, s3
	v_cmp_nge_f64_e64 s3, -1.0, v[5:6]
	v_dual_cndmask_b32 v10, v10, v6 :: v_dual_cndmask_b32 v9, v9, v5
	v_cmp_eq_f64_e32 vcc_lo, 0, v[15:16]
	v_mul_f64 v[9:10], v[9:10], 0.5
	v_cndmask_b32_e32 v27, v25, v29, vcc_lo
	v_cndmask_b32_e32 v7, v14, v7, vcc_lo
	v_cmp_ngt_f64_e32 vcc_lo, -1.0, v[5:6]
	s_delay_alu instid0(VALU_DEP_4)
	v_cndmask_b32_e64 v25, 0, v9, s3
	v_cmp_neq_f64_e64 s3, -1.0, v[5:6]
	v_cndmask_b32_e32 v10, 0x7ff80000, v10, vcc_lo
	s_and_b32 vcc_lo, s5, s4
	v_cndmask_b32_e32 v28, v7, v13, vcc_lo
	v_cndmask_b32_e32 v27, v27, v11, vcc_lo
	s_delay_alu instid0(VALU_DEP_3)
	v_cndmask_b32_e64 v26, 0xfff00000, v10, s3
.LBB168_86:                             ;   in Loop: Header=BB168_5 Depth=1
	s_or_b32 exec_lo, exec_lo, s103
.LBB168_87:                             ;   in Loop: Header=BB168_5 Depth=1
	s_delay_alu instid0(SALU_CYCLE_1)
	s_or_b32 exec_lo, exec_lo, s102
.LBB168_88:                             ;   in Loop: Header=BB168_5 Depth=1
	s_and_not1_saveexec_b32 s5, s101
	s_cbranch_execz .LBB168_90
; %bb.89:                               ;   in Loop: Header=BB168_5 Depth=1
	v_max_f64 v[5:6], |v[15:16]|, |v[15:16]|
	v_max_f64 v[9:10], |v[13:14]|, |v[13:14]|
	v_cmp_class_f64_e64 s6, v[13:14], 0x204
	v_cmp_class_f64_e64 s7, v[15:16], 0x204
	s_mov_b32 s91, s23
	s_mov_b32 s12, s82
	v_cmp_eq_f64_e64 s4, 0, v[15:16]
	s_delay_alu instid0(VALU_DEP_4) | instskip(SKIP_1) | instid1(VALU_DEP_4)
	v_max_f64 v[25:26], v[9:10], v[5:6]
	v_min_f64 v[5:6], v[9:10], v[5:6]
	s_or_b32 s8, s6, s7
	s_delay_alu instid0(VALU_DEP_2) | instskip(NEXT) | instid1(VALU_DEP_1)
	v_frexp_exp_i32_f64_e32 v7, v[25:26]
	v_sub_nc_u32_e32 v11, 0, v7
	s_delay_alu instid0(VALU_DEP_1) | instskip(SKIP_1) | instid1(VALU_DEP_2)
	v_ldexp_f64 v[27:28], |v[15:16]|, v11
	v_ldexp_f64 v[29:30], |v[13:14]|, v11
	v_mul_f64 v[27:28], v[27:28], v[27:28]
	s_delay_alu instid0(VALU_DEP_1) | instskip(NEXT) | instid1(VALU_DEP_1)
	v_fma_f64 v[27:28], v[29:30], v[29:30], v[27:28]
	v_rsq_f64_e32 v[29:30], v[27:28]
	v_cmp_eq_f64_e32 vcc_lo, 0, v[27:28]
	s_waitcnt_depctr 0xfff
	v_mul_f64 v[31:32], v[27:28], v[29:30]
	v_mul_f64 v[29:30], v[29:30], 0.5
	s_delay_alu instid0(VALU_DEP_1) | instskip(NEXT) | instid1(VALU_DEP_1)
	v_fma_f64 v[39:40], -v[29:30], v[31:32], 0.5
	v_fma_f64 v[31:32], v[31:32], v[39:40], v[31:32]
	v_fma_f64 v[29:30], v[29:30], v[39:40], v[29:30]
	s_delay_alu instid0(VALU_DEP_2) | instskip(NEXT) | instid1(VALU_DEP_1)
	v_fma_f64 v[39:40], -v[31:32], v[31:32], v[27:28]
	v_fma_f64 v[29:30], v[39:40], v[29:30], v[31:32]
	s_delay_alu instid0(VALU_DEP_1) | instskip(SKIP_1) | instid1(VALU_DEP_2)
	v_dual_cndmask_b32 v28, v30, v28 :: v_dual_cndmask_b32 v27, v29, v27
	v_div_scale_f64 v[57:58], vcc_lo, v[5:6], v[25:26], v[5:6]
	v_ldexp_f64 v[27:28], v[27:28], v7
	s_delay_alu instid0(VALU_DEP_1) | instskip(NEXT) | instid1(VALU_DEP_2)
	v_cndmask_b32_e64 v30, v28, 0x7ff00000, s8
	v_cndmask_b32_e64 v29, v27, 0, s8
	s_delay_alu instid0(VALU_DEP_1) | instskip(SKIP_1) | instid1(VALU_DEP_2)
	v_frexp_mant_f64_e32 v[31:32], v[29:30]
	v_frexp_exp_i32_f64_e32 v7, v[29:30]
	v_cmp_gt_f64_e64 s3, s[22:23], v[31:32]
	s_delay_alu instid0(VALU_DEP_1) | instskip(NEXT) | instid1(VALU_DEP_1)
	v_cndmask_b32_e64 v34, 0x3ff00000, 2.0, s3
	v_mul_f64 v[31:32], v[31:32], v[33:34]
	s_delay_alu instid0(VALU_DEP_1) | instskip(SKIP_1) | instid1(VALU_DEP_2)
	v_add_f64 v[39:40], v[31:32], 1.0
	v_add_f64 v[45:46], v[31:32], -1.0
	v_rcp_f64_e32 v[41:42], v[39:40]
	v_add_f64 v[47:48], v[39:40], -1.0
	s_delay_alu instid0(VALU_DEP_1) | instskip(SKIP_2) | instid1(VALU_DEP_1)
	v_add_f64 v[31:32], v[31:32], -v[47:48]
	s_waitcnt_depctr 0xfff
	v_fma_f64 v[43:44], -v[39:40], v[41:42], 1.0
	v_fma_f64 v[41:42], v[43:44], v[41:42], v[41:42]
	s_delay_alu instid0(VALU_DEP_1) | instskip(NEXT) | instid1(VALU_DEP_1)
	v_fma_f64 v[43:44], -v[39:40], v[41:42], 1.0
	v_fma_f64 v[41:42], v[43:44], v[41:42], v[41:42]
	v_div_scale_f64 v[43:44], null, v[25:26], v[25:26], v[5:6]
	s_delay_alu instid0(VALU_DEP_2) | instskip(NEXT) | instid1(VALU_DEP_2)
	v_mul_f64 v[9:10], v[45:46], v[41:42]
	v_rcp_f64_e32 v[51:52], v[43:44]
	s_delay_alu instid0(VALU_DEP_1) | instskip(SKIP_3) | instid1(VALU_DEP_1)
	v_mul_f64 v[49:50], v[39:40], v[9:10]
	s_waitcnt_depctr 0xfff
	v_fma_f64 v[47:48], -v[43:44], v[51:52], 1.0
	v_fma_f64 v[39:40], v[9:10], v[39:40], -v[49:50]
	v_fma_f64 v[31:32], v[9:10], v[31:32], v[39:40]
	s_delay_alu instid0(VALU_DEP_3) | instskip(NEXT) | instid1(VALU_DEP_2)
	v_fma_f64 v[39:40], v[51:52], v[47:48], v[51:52]
	v_add_f64 v[47:48], v[49:50], v[31:32]
	s_delay_alu instid0(VALU_DEP_2) | instskip(NEXT) | instid1(VALU_DEP_2)
	v_fma_f64 v[51:52], -v[43:44], v[39:40], 1.0
	v_add_f64 v[53:54], v[45:46], -v[47:48]
	s_delay_alu instid0(VALU_DEP_2) | instskip(SKIP_1) | instid1(VALU_DEP_3)
	v_fma_f64 v[39:40], v[39:40], v[51:52], v[39:40]
	v_add_f64 v[49:50], v[47:48], -v[49:50]
	v_add_f64 v[45:46], v[45:46], -v[53:54]
	s_delay_alu instid0(VALU_DEP_3) | instskip(NEXT) | instid1(VALU_DEP_3)
	v_mul_f64 v[51:52], v[57:58], v[39:40]
	v_add_f64 v[31:32], v[49:50], -v[31:32]
	s_delay_alu instid0(VALU_DEP_3) | instskip(NEXT) | instid1(VALU_DEP_3)
	v_add_f64 v[45:46], v[45:46], -v[47:48]
	v_fma_f64 v[43:44], -v[43:44], v[51:52], v[57:58]
	s_delay_alu instid0(VALU_DEP_2) | instskip(NEXT) | instid1(VALU_DEP_2)
	v_add_f64 v[31:32], v[31:32], v[45:46]
	v_div_fmas_f64 v[39:40], v[43:44], v[39:40], v[51:52]
	v_subrev_co_ci_u32_e64 v7, vcc_lo, 0, v7, s3
	v_cmp_class_f64_e64 s3, v[27:28], 0x204
	v_cmp_gt_i32_e32 vcc_lo, 0, v14
	v_cndmask_b32_e32 v11, 0x54442d18, v55, vcc_lo
	v_add_f64 v[31:32], v[53:54], v[31:32]
	v_div_fixup_f64 v[5:6], v[39:40], v[25:26], v[5:6]
	s_delay_alu instid0(VALU_DEP_2) | instskip(NEXT) | instid1(VALU_DEP_2)
	v_mul_f64 v[25:26], v[41:42], v[31:32]
	v_mul_f64 v[31:32], v[5:6], v[5:6]
	s_delay_alu instid0(VALU_DEP_2) | instskip(NEXT) | instid1(VALU_DEP_2)
	v_add_f64 v[39:40], v[9:10], v[25:26]
	v_fma_f64 v[41:42], v[31:32], s[44:45], s[42:43]
	s_delay_alu instid0(VALU_DEP_2) | instskip(NEXT) | instid1(VALU_DEP_2)
	v_mul_f64 v[43:44], v[39:40], v[39:40]
	v_fma_f64 v[41:42], v[31:32], v[41:42], s[46:47]
	v_add_f64 v[9:10], v[39:40], -v[9:10]
	s_delay_alu instid0(VALU_DEP_3) | instskip(NEXT) | instid1(VALU_DEP_3)
	v_fma_f64 v[45:46], v[43:44], s[26:27], s[24:25]
	v_fma_f64 v[41:42], v[31:32], v[41:42], s[48:49]
	v_mul_f64 v[47:48], v[39:40], v[43:44]
	s_delay_alu instid0(VALU_DEP_4) | instskip(NEXT) | instid1(VALU_DEP_4)
	v_add_f64 v[9:10], v[25:26], -v[9:10]
	v_fma_f64 v[45:46], v[43:44], v[45:46], s[28:29]
	s_delay_alu instid0(VALU_DEP_4) | instskip(NEXT) | instid1(VALU_DEP_3)
	v_fma_f64 v[41:42], v[31:32], v[41:42], s[50:51]
	v_ldexp_f64 v[9:10], v[9:10], 1
	s_delay_alu instid0(VALU_DEP_3) | instskip(NEXT) | instid1(VALU_DEP_3)
	v_fma_f64 v[45:46], v[43:44], v[45:46], s[30:31]
	v_fma_f64 v[41:42], v[31:32], v[41:42], s[52:53]
	s_delay_alu instid0(VALU_DEP_2) | instskip(NEXT) | instid1(VALU_DEP_2)
	v_fma_f64 v[45:46], v[43:44], v[45:46], s[34:35]
	v_fma_f64 v[41:42], v[31:32], v[41:42], s[54:55]
	s_delay_alu instid0(VALU_DEP_2) | instskip(NEXT) | instid1(VALU_DEP_2)
	;; [unrolled: 3-line block ×3, first 2 shown]
	v_fma_f64 v[43:44], v[43:44], v[45:46], s[90:91]
	v_fma_f64 v[41:42], v[31:32], v[41:42], s[58:59]
	v_ldexp_f64 v[45:46], v[39:40], 1
	s_delay_alu instid0(VALU_DEP_3) | instskip(NEXT) | instid1(VALU_DEP_3)
	v_mul_f64 v[43:44], v[47:48], v[43:44]
	v_fma_f64 v[41:42], v[31:32], v[41:42], s[60:61]
	v_cvt_f64_i32_e32 v[47:48], v7
	v_ashrrev_i32_e32 v7, 31, v14
	v_cndmask_b32_e32 v14, 0x3fe921fb, v56, vcc_lo
	s_delay_alu instid0(VALU_DEP_1) | instskip(SKIP_3) | instid1(VALU_DEP_3)
	v_bfi_b32 v14, 0x7fffffff, v14, v16
	v_add_f64 v[39:40], v[45:46], v[43:44]
	v_fma_f64 v[41:42], v[31:32], v[41:42], s[62:63]
	v_mul_f64 v[49:50], v[47:48], s[38:39]
	v_add_f64 v[25:26], v[39:40], -v[45:46]
	s_delay_alu instid0(VALU_DEP_3) | instskip(NEXT) | instid1(VALU_DEP_3)
	v_fma_f64 v[41:42], v[31:32], v[41:42], s[64:65]
	v_fma_f64 v[45:46], v[47:48], s[38:39], -v[49:50]
	s_delay_alu instid0(VALU_DEP_3) | instskip(NEXT) | instid1(VALU_DEP_3)
	v_add_f64 v[25:26], v[43:44], -v[25:26]
	v_fma_f64 v[41:42], v[31:32], v[41:42], s[66:67]
	s_delay_alu instid0(VALU_DEP_3) | instskip(NEXT) | instid1(VALU_DEP_3)
	v_fma_f64 v[43:44], v[47:48], s[40:41], v[45:46]
	v_add_f64 v[9:10], v[9:10], v[25:26]
	s_delay_alu instid0(VALU_DEP_3) | instskip(NEXT) | instid1(VALU_DEP_3)
	v_fma_f64 v[25:26], v[31:32], v[41:42], s[68:69]
	v_add_f64 v[41:42], v[49:50], v[43:44]
	s_delay_alu instid0(VALU_DEP_3) | instskip(NEXT) | instid1(VALU_DEP_3)
	v_add_f64 v[45:46], v[39:40], v[9:10]
	v_fma_f64 v[25:26], v[31:32], v[25:26], s[70:71]
	s_delay_alu instid0(VALU_DEP_3) | instskip(NEXT) | instid1(VALU_DEP_3)
	v_add_f64 v[49:50], v[41:42], -v[49:50]
	v_add_f64 v[47:48], v[41:42], v[45:46]
	s_delay_alu instid0(VALU_DEP_3) | instskip(SKIP_1) | instid1(VALU_DEP_4)
	v_fma_f64 v[25:26], v[31:32], v[25:26], s[72:73]
	v_add_f64 v[39:40], v[45:46], -v[39:40]
	v_add_f64 v[43:44], v[43:44], -v[49:50]
	s_delay_alu instid0(VALU_DEP_4) | instskip(NEXT) | instid1(VALU_DEP_4)
	v_add_f64 v[51:52], v[47:48], -v[41:42]
	v_fma_f64 v[25:26], v[31:32], v[25:26], s[74:75]
	s_delay_alu instid0(VALU_DEP_4) | instskip(NEXT) | instid1(VALU_DEP_3)
	v_add_f64 v[9:10], v[9:10], -v[39:40]
	v_add_f64 v[53:54], v[47:48], -v[51:52]
	s_delay_alu instid0(VALU_DEP_3) | instskip(SKIP_1) | instid1(VALU_DEP_4)
	v_fma_f64 v[25:26], v[31:32], v[25:26], s[76:77]
	v_add_f64 v[39:40], v[45:46], -v[51:52]
	v_add_f64 v[45:46], v[43:44], v[9:10]
	s_delay_alu instid0(VALU_DEP_4) | instskip(NEXT) | instid1(VALU_DEP_4)
	v_add_f64 v[41:42], v[41:42], -v[53:54]
	v_fma_f64 v[25:26], v[31:32], v[25:26], s[78:79]
	s_delay_alu instid0(VALU_DEP_2) | instskip(NEXT) | instid1(VALU_DEP_2)
	v_add_f64 v[39:40], v[39:40], v[41:42]
	v_fma_f64 v[25:26], v[31:32], v[25:26], s[80:81]
	v_add_f64 v[41:42], v[45:46], -v[43:44]
	s_delay_alu instid0(VALU_DEP_3) | instskip(NEXT) | instid1(VALU_DEP_3)
	v_add_f64 v[39:40], v[45:46], v[39:40]
	v_mul_f64 v[25:26], v[31:32], v[25:26]
	s_delay_alu instid0(VALU_DEP_3) | instskip(SKIP_1) | instid1(VALU_DEP_4)
	v_add_f64 v[31:32], v[45:46], -v[41:42]
	v_add_f64 v[9:10], v[9:10], -v[41:42]
	v_add_f64 v[45:46], v[47:48], v[39:40]
	s_delay_alu instid0(VALU_DEP_4) | instskip(NEXT) | instid1(VALU_DEP_4)
	v_fma_f64 v[5:6], v[5:6], v[25:26], v[5:6]
	v_add_f64 v[25:26], v[43:44], -v[31:32]
	s_delay_alu instid0(VALU_DEP_3) | instskip(NEXT) | instid1(VALU_DEP_3)
	v_add_f64 v[31:32], v[45:46], -v[47:48]
	v_add_f64 v[41:42], -v[5:6], s[82:83]
	s_delay_alu instid0(VALU_DEP_3) | instskip(NEXT) | instid1(VALU_DEP_3)
	v_add_f64 v[9:10], v[9:10], v[25:26]
	v_add_f64 v[25:26], v[39:40], -v[31:32]
	s_delay_alu instid0(VALU_DEP_3) | instskip(NEXT) | instid1(VALU_DEP_4)
	v_cndmask_b32_e64 v6, v6, v42, s2
	v_cndmask_b32_e64 v5, v5, v41, s2
	s_delay_alu instid0(VALU_DEP_3) | instskip(NEXT) | instid1(VALU_DEP_2)
	v_add_f64 v[9:10], v[9:10], v[25:26]
	v_add_f64 v[25:26], -v[5:6], s[12:13]
	v_and_b32_e32 v13, 0x54442d18, v7
	v_and_b32_e32 v7, 0x400921fb, v7
	s_delay_alu instid0(VALU_DEP_4) | instskip(NEXT) | instid1(VALU_DEP_4)
	v_add_f64 v[9:10], v[45:46], v[9:10]
	v_cndmask_b32_e32 v6, v6, v26, vcc_lo
	s_delay_alu instid0(VALU_DEP_1)
	v_cndmask_b32_e64 v6, v6, v7, s4
	v_cndmask_b32_e32 v5, v5, v25, vcc_lo
	v_cmp_ngt_f64_e32 vcc_lo, 0, v[29:30]
	v_cndmask_b32_e64 v10, v10, v28, s3
	v_cndmask_b32_e64 v9, v9, v27, s3
	v_cmp_nge_f64_e64 s3, 0, v[29:30]
	s_delay_alu instid0(VALU_DEP_3) | instskip(NEXT) | instid1(VALU_DEP_3)
	v_cndmask_b32_e64 v10, v10, 0x7ff00000, s8
	v_cndmask_b32_e64 v7, v9, 0, s8
	s_delay_alu instid0(VALU_DEP_2) | instskip(SKIP_3) | instid1(VALU_DEP_1)
	v_cndmask_b32_e32 v9, 0x7ff80000, v10, vcc_lo
	s_and_b32 vcc_lo, s6, s7
	v_cndmask_b32_e32 v28, v6, v14, vcc_lo
	v_cndmask_b32_e64 v5, v5, v13, s4
	v_cndmask_b32_e32 v27, v5, v11, vcc_lo
	v_cndmask_b32_e64 v25, 0, v7, s3
	v_cmp_neq_f64_e64 s3, 0, v[29:30]
	s_delay_alu instid0(VALU_DEP_1)
	v_cndmask_b32_e64 v26, 0xfff00000, v9, s3
.LBB168_90:                             ;   in Loop: Header=BB168_5 Depth=1
	s_or_b32 exec_lo, exec_lo, s5
                                        ; implicit-def: $vgpr9_vgpr10
.LBB168_91:                             ;   in Loop: Header=BB168_5 Depth=1
	s_and_not1_saveexec_b32 s5, s97
	s_cbranch_execz .LBB168_97
; %bb.92:                               ;   in Loop: Header=BB168_5 Depth=1
                                        ; implicit-def: $vgpr25_vgpr26
	s_mov_b32 s3, exec_lo
	v_cmpx_ngt_f64_e32 s[86:87], v[9:10]
	s_xor_b32 s6, exec_lo, s3
	s_cbranch_execz .LBB168_94
; %bb.93:                               ;   in Loop: Header=BB168_5 Depth=1
	v_mul_f64 v[5:6], v[9:10], v[9:10]
	s_mov_b32 s91, s23
	s_mov_b32 s12, s82
	v_cmp_eq_f64_e64 s4, 0, v[15:16]
	v_cmp_gt_i32_e64 s3, 0, v14
	v_cmp_class_f64_e64 s7, v[15:16], 0x204
	v_cmp_class_f64_e64 s8, v[13:14], 0x204
	v_add_f64 v[9:10], v[5:6], 1.0
	s_delay_alu instid0(VALU_DEP_1) | instskip(SKIP_2) | instid1(VALU_DEP_3)
	v_frexp_mant_f64_e32 v[25:26], v[9:10]
	v_frexp_exp_i32_f64_e32 v7, v[9:10]
	v_add_f64 v[27:28], v[9:10], -1.0
	v_cmp_gt_f64_e32 vcc_lo, s[22:23], v[25:26]
	s_delay_alu instid0(VALU_DEP_2) | instskip(SKIP_2) | instid1(VALU_DEP_3)
	v_add_f64 v[25:26], v[27:28], -v[9:10]
	v_add_f64 v[27:28], v[5:6], -v[27:28]
	v_subrev_co_ci_u32_e32 v7, vcc_lo, 0, v7, vcc_lo
	v_add_f64 v[25:26], v[25:26], 1.0
	s_delay_alu instid0(VALU_DEP_2) | instskip(NEXT) | instid1(VALU_DEP_1)
	v_sub_nc_u32_e32 v11, 0, v7
	v_ldexp_f64 v[9:10], v[9:10], v11
	s_delay_alu instid0(VALU_DEP_3) | instskip(NEXT) | instid1(VALU_DEP_2)
	v_add_f64 v[25:26], v[27:28], v[25:26]
	v_add_f64 v[29:30], v[9:10], 1.0
	v_add_f64 v[41:42], v[9:10], -1.0
	s_delay_alu instid0(VALU_DEP_3) | instskip(SKIP_1) | instid1(VALU_DEP_4)
	v_ldexp_f64 v[25:26], v[25:26], v11
	v_cndmask_b32_e64 v11, 0x54442d18, v55, s3
	v_add_f64 v[27:28], v[29:30], -1.0
	s_delay_alu instid0(VALU_DEP_4) | instskip(NEXT) | instid1(VALU_DEP_2)
	v_add_f64 v[43:44], v[41:42], 1.0
	v_add_f64 v[27:28], v[9:10], -v[27:28]
	s_delay_alu instid0(VALU_DEP_2) | instskip(NEXT) | instid1(VALU_DEP_2)
	v_add_f64 v[9:10], v[9:10], -v[43:44]
	v_add_f64 v[27:28], v[25:26], v[27:28]
	s_delay_alu instid0(VALU_DEP_2) | instskip(NEXT) | instid1(VALU_DEP_2)
	v_add_f64 v[9:10], v[25:26], v[9:10]
	v_add_f64 v[31:32], v[29:30], v[27:28]
	s_delay_alu instid0(VALU_DEP_2) | instskip(NEXT) | instid1(VALU_DEP_2)
	v_add_f64 v[43:44], v[41:42], v[9:10]
	v_rcp_f64_e32 v[39:40], v[31:32]
	v_add_f64 v[29:30], v[29:30], -v[31:32]
	s_delay_alu instid0(VALU_DEP_2) | instskip(NEXT) | instid1(VALU_DEP_2)
	v_add_f64 v[41:42], v[41:42], -v[43:44]
	v_add_f64 v[27:28], v[27:28], v[29:30]
	s_waitcnt_depctr 0xfff
	v_fma_f64 v[45:46], -v[31:32], v[39:40], 1.0
	v_add_f64 v[9:10], v[9:10], v[41:42]
	s_delay_alu instid0(VALU_DEP_2) | instskip(NEXT) | instid1(VALU_DEP_1)
	v_fma_f64 v[39:40], v[45:46], v[39:40], v[39:40]
	v_fma_f64 v[25:26], -v[31:32], v[39:40], 1.0
	s_delay_alu instid0(VALU_DEP_1) | instskip(NEXT) | instid1(VALU_DEP_1)
	v_fma_f64 v[25:26], v[25:26], v[39:40], v[39:40]
	v_mul_f64 v[39:40], v[43:44], v[25:26]
	s_delay_alu instid0(VALU_DEP_1) | instskip(NEXT) | instid1(VALU_DEP_1)
	v_mul_f64 v[45:46], v[31:32], v[39:40]
	v_fma_f64 v[29:30], v[39:40], v[31:32], -v[45:46]
	s_delay_alu instid0(VALU_DEP_1) | instskip(NEXT) | instid1(VALU_DEP_1)
	v_fma_f64 v[29:30], v[39:40], v[27:28], v[29:30]
	v_add_f64 v[47:48], v[45:46], v[29:30]
	s_delay_alu instid0(VALU_DEP_1) | instskip(SKIP_2) | instid1(VALU_DEP_3)
	v_add_f64 v[49:50], v[43:44], -v[47:48]
	v_add_f64 v[41:42], v[47:48], -v[45:46]
	v_max_f64 v[45:46], |v[15:16]|, |v[15:16]|
	v_add_f64 v[43:44], v[43:44], -v[49:50]
	s_delay_alu instid0(VALU_DEP_3) | instskip(NEXT) | instid1(VALU_DEP_2)
	v_add_f64 v[29:30], v[41:42], -v[29:30]
	v_add_f64 v[43:44], v[43:44], -v[47:48]
	v_max_f64 v[47:48], |v[13:14]|, |v[13:14]|
	s_delay_alu instid0(VALU_DEP_2) | instskip(NEXT) | instid1(VALU_DEP_2)
	v_add_f64 v[9:10], v[9:10], v[43:44]
	v_max_f64 v[51:52], v[47:48], v[45:46]
	v_min_f64 v[45:46], v[47:48], v[45:46]
	s_delay_alu instid0(VALU_DEP_3) | instskip(NEXT) | instid1(VALU_DEP_1)
	v_add_f64 v[9:10], v[29:30], v[9:10]
	v_add_f64 v[29:30], v[49:50], v[9:10]
	s_delay_alu instid0(VALU_DEP_1) | instskip(SKIP_1) | instid1(VALU_DEP_2)
	v_mul_f64 v[41:42], v[25:26], v[29:30]
	v_add_f64 v[49:50], v[49:50], -v[29:30]
	v_mul_f64 v[43:44], v[31:32], v[41:42]
	s_delay_alu instid0(VALU_DEP_2) | instskip(NEXT) | instid1(VALU_DEP_2)
	v_add_f64 v[9:10], v[9:10], v[49:50]
	v_fma_f64 v[31:32], v[41:42], v[31:32], -v[43:44]
	s_delay_alu instid0(VALU_DEP_1) | instskip(SKIP_1) | instid1(VALU_DEP_2)
	v_fma_f64 v[27:28], v[41:42], v[27:28], v[31:32]
	v_div_scale_f64 v[31:32], null, v[51:52], v[51:52], v[45:46]
	v_add_f64 v[47:48], v[43:44], v[27:28]
	s_delay_alu instid0(VALU_DEP_2) | instskip(NEXT) | instid1(VALU_DEP_1)
	v_rcp_f64_e32 v[53:54], v[31:32]
	v_add_f64 v[57:58], v[29:30], -v[47:48]
	v_add_f64 v[43:44], v[47:48], -v[43:44]
	s_waitcnt_depctr 0xfff
	v_fma_f64 v[59:60], -v[31:32], v[53:54], 1.0
	v_add_f64 v[29:30], v[29:30], -v[57:58]
	v_add_f64 v[27:28], v[43:44], -v[27:28]
	s_delay_alu instid0(VALU_DEP_3) | instskip(NEXT) | instid1(VALU_DEP_3)
	v_fma_f64 v[53:54], v[53:54], v[59:60], v[53:54]
	v_add_f64 v[29:30], v[29:30], -v[47:48]
	s_delay_alu instid0(VALU_DEP_2) | instskip(NEXT) | instid1(VALU_DEP_2)
	v_fma_f64 v[47:48], -v[31:32], v[53:54], 1.0
	v_add_f64 v[9:10], v[9:10], v[29:30]
	v_div_scale_f64 v[29:30], vcc_lo, v[45:46], v[51:52], v[45:46]
	s_delay_alu instid0(VALU_DEP_3) | instskip(SKIP_1) | instid1(VALU_DEP_4)
	v_fma_f64 v[43:44], v[53:54], v[47:48], v[53:54]
	v_add_f64 v[47:48], v[39:40], v[41:42]
	v_add_f64 v[9:10], v[27:28], v[9:10]
	s_delay_alu instid0(VALU_DEP_3) | instskip(NEXT) | instid1(VALU_DEP_3)
	v_mul_f64 v[27:28], v[29:30], v[43:44]
	v_add_f64 v[39:40], v[47:48], -v[39:40]
	s_delay_alu instid0(VALU_DEP_3) | instskip(NEXT) | instid1(VALU_DEP_3)
	v_add_f64 v[9:10], v[57:58], v[9:10]
	v_fma_f64 v[29:30], -v[31:32], v[27:28], v[29:30]
	s_delay_alu instid0(VALU_DEP_3) | instskip(NEXT) | instid1(VALU_DEP_3)
	v_add_f64 v[31:32], v[41:42], -v[39:40]
	v_mul_f64 v[9:10], v[25:26], v[9:10]
	s_delay_alu instid0(VALU_DEP_3) | instskip(SKIP_1) | instid1(VALU_DEP_3)
	v_div_fmas_f64 v[25:26], v[29:30], v[43:44], v[27:28]
	v_cmp_eq_f64_e32 vcc_lo, 0x7ff00000, v[5:6]
	v_add_f64 v[9:10], v[31:32], v[9:10]
	s_delay_alu instid0(VALU_DEP_3) | instskip(NEXT) | instid1(VALU_DEP_2)
	v_div_fixup_f64 v[25:26], v[25:26], v[51:52], v[45:46]
	v_add_f64 v[27:28], v[47:48], v[9:10]
	s_delay_alu instid0(VALU_DEP_2) | instskip(NEXT) | instid1(VALU_DEP_2)
	v_mul_f64 v[29:30], v[25:26], v[25:26]
	v_mul_f64 v[31:32], v[27:28], v[27:28]
	s_delay_alu instid0(VALU_DEP_2) | instskip(NEXT) | instid1(VALU_DEP_2)
	v_fma_f64 v[39:40], v[29:30], s[44:45], s[42:43]
	v_fma_f64 v[41:42], v[31:32], s[26:27], s[24:25]
	v_mul_f64 v[43:44], v[27:28], v[31:32]
	s_delay_alu instid0(VALU_DEP_3) | instskip(NEXT) | instid1(VALU_DEP_3)
	v_fma_f64 v[39:40], v[29:30], v[39:40], s[46:47]
	v_fma_f64 v[41:42], v[31:32], v[41:42], s[28:29]
	s_delay_alu instid0(VALU_DEP_2) | instskip(NEXT) | instid1(VALU_DEP_2)
	v_fma_f64 v[39:40], v[29:30], v[39:40], s[48:49]
	v_fma_f64 v[41:42], v[31:32], v[41:42], s[30:31]
	s_delay_alu instid0(VALU_DEP_2) | instskip(NEXT) | instid1(VALU_DEP_2)
	;; [unrolled: 3-line block ×4, first 2 shown]
	v_fma_f64 v[39:40], v[29:30], v[39:40], s[54:55]
	v_fma_f64 v[31:32], v[31:32], v[41:42], s[90:91]
	v_ldexp_f64 v[41:42], v[27:28], 1
	v_add_f64 v[27:28], v[27:28], -v[47:48]
	s_delay_alu instid0(VALU_DEP_4) | instskip(NEXT) | instid1(VALU_DEP_4)
	v_fma_f64 v[39:40], v[29:30], v[39:40], s[56:57]
	v_mul_f64 v[31:32], v[43:44], v[31:32]
	v_cvt_f64_i32_e32 v[43:44], v7
	s_delay_alu instid0(VALU_DEP_4) | instskip(NEXT) | instid1(VALU_DEP_4)
	v_add_f64 v[9:10], v[9:10], -v[27:28]
	v_fma_f64 v[39:40], v[29:30], v[39:40], s[58:59]
	v_ashrrev_i32_e32 v7, 31, v14
	v_add_f64 v[45:46], v[41:42], v[31:32]
	v_mul_f64 v[47:48], v[43:44], s[38:39]
	v_ldexp_f64 v[9:10], v[9:10], 1
	v_fma_f64 v[39:40], v[29:30], v[39:40], s[60:61]
	s_delay_alu instid0(VALU_DEP_4) | instskip(NEXT) | instid1(VALU_DEP_4)
	v_add_f64 v[27:28], v[45:46], -v[41:42]
	v_fma_f64 v[41:42], v[43:44], s[38:39], -v[47:48]
	s_delay_alu instid0(VALU_DEP_3) | instskip(NEXT) | instid1(VALU_DEP_3)
	v_fma_f64 v[39:40], v[29:30], v[39:40], s[62:63]
	v_add_f64 v[27:28], v[31:32], -v[27:28]
	s_delay_alu instid0(VALU_DEP_2) | instskip(NEXT) | instid1(VALU_DEP_4)
	v_fma_f64 v[31:32], v[29:30], v[39:40], s[64:65]
	v_fma_f64 v[39:40], v[43:44], s[40:41], v[41:42]
	s_delay_alu instid0(VALU_DEP_3) | instskip(NEXT) | instid1(VALU_DEP_3)
	v_add_f64 v[9:10], v[9:10], v[27:28]
	v_fma_f64 v[27:28], v[29:30], v[31:32], s[66:67]
	s_delay_alu instid0(VALU_DEP_3) | instskip(NEXT) | instid1(VALU_DEP_3)
	v_add_f64 v[31:32], v[47:48], v[39:40]
	v_add_f64 v[41:42], v[45:46], v[9:10]
	s_delay_alu instid0(VALU_DEP_3) | instskip(NEXT) | instid1(VALU_DEP_3)
	v_fma_f64 v[27:28], v[29:30], v[27:28], s[68:69]
	v_add_f64 v[47:48], v[31:32], -v[47:48]
	s_delay_alu instid0(VALU_DEP_3) | instskip(SKIP_1) | instid1(VALU_DEP_4)
	v_add_f64 v[43:44], v[31:32], v[41:42]
	v_add_f64 v[45:46], v[41:42], -v[45:46]
	v_fma_f64 v[27:28], v[29:30], v[27:28], s[70:71]
	s_delay_alu instid0(VALU_DEP_4) | instskip(NEXT) | instid1(VALU_DEP_4)
	v_add_f64 v[39:40], v[39:40], -v[47:48]
	v_add_f64 v[49:50], v[43:44], -v[31:32]
	s_delay_alu instid0(VALU_DEP_4) | instskip(NEXT) | instid1(VALU_DEP_4)
	v_add_f64 v[9:10], v[9:10], -v[45:46]
	v_fma_f64 v[27:28], v[29:30], v[27:28], s[72:73]
	s_delay_alu instid0(VALU_DEP_3) | instskip(SKIP_1) | instid1(VALU_DEP_4)
	v_add_f64 v[51:52], v[43:44], -v[49:50]
	v_add_f64 v[41:42], v[41:42], -v[49:50]
	v_add_f64 v[45:46], v[39:40], v[9:10]
	s_delay_alu instid0(VALU_DEP_4) | instskip(NEXT) | instid1(VALU_DEP_4)
	v_fma_f64 v[27:28], v[29:30], v[27:28], s[74:75]
	v_add_f64 v[31:32], v[31:32], -v[51:52]
	s_delay_alu instid0(VALU_DEP_2) | instskip(NEXT) | instid1(VALU_DEP_2)
	v_fma_f64 v[27:28], v[29:30], v[27:28], s[76:77]
	v_add_f64 v[31:32], v[41:42], v[31:32]
	v_add_f64 v[41:42], v[45:46], -v[39:40]
	s_delay_alu instid0(VALU_DEP_3) | instskip(NEXT) | instid1(VALU_DEP_3)
	v_fma_f64 v[27:28], v[29:30], v[27:28], s[78:79]
	v_add_f64 v[31:32], v[45:46], v[31:32]
	s_delay_alu instid0(VALU_DEP_3) | instskip(SKIP_1) | instid1(VALU_DEP_4)
	v_add_f64 v[45:46], v[45:46], -v[41:42]
	v_add_f64 v[9:10], v[9:10], -v[41:42]
	v_fma_f64 v[27:28], v[29:30], v[27:28], s[80:81]
	s_delay_alu instid0(VALU_DEP_4) | instskip(NEXT) | instid1(VALU_DEP_2)
	v_add_f64 v[47:48], v[43:44], v[31:32]
	v_mul_f64 v[27:28], v[29:30], v[27:28]
	v_add_f64 v[29:30], v[39:40], -v[45:46]
	s_delay_alu instid0(VALU_DEP_3) | instskip(NEXT) | instid1(VALU_DEP_3)
	v_add_f64 v[39:40], v[47:48], -v[43:44]
	v_fma_f64 v[25:26], v[25:26], v[27:28], v[25:26]
	s_delay_alu instid0(VALU_DEP_3) | instskip(NEXT) | instid1(VALU_DEP_3)
	v_add_f64 v[9:10], v[9:10], v[29:30]
	v_add_f64 v[27:28], v[31:32], -v[39:40]
	s_delay_alu instid0(VALU_DEP_3) | instskip(NEXT) | instid1(VALU_DEP_2)
	v_add_f64 v[29:30], -v[25:26], s[82:83]
	v_add_f64 v[9:10], v[9:10], v[27:28]
	s_delay_alu instid0(VALU_DEP_2) | instskip(NEXT) | instid1(VALU_DEP_3)
	v_cndmask_b32_e64 v27, v26, v30, s2
	v_cndmask_b32_e64 v26, v25, v29, s2
	s_delay_alu instid0(VALU_DEP_1) | instskip(NEXT) | instid1(VALU_DEP_4)
	v_add_f64 v[28:29], -v[26:27], s[12:13]
	v_add_f64 v[9:10], v[47:48], v[9:10]
	v_and_b32_e32 v30, 0x54442d18, v7
	s_delay_alu instid0(VALU_DEP_3) | instskip(NEXT) | instid1(VALU_DEP_3)
	v_cndmask_b32_e64 v28, v26, v28, s3
	v_cndmask_b32_e32 v5, v9, v5, vcc_lo
	s_delay_alu instid0(VALU_DEP_2) | instskip(SKIP_2) | instid1(VALU_DEP_1)
	v_cndmask_b32_e64 v9, v28, v30, s4
	v_cndmask_b32_e32 v6, v10, v6, vcc_lo
	s_and_b32 vcc_lo, s8, s7
	v_mul_f64 v[25:26], v[5:6], 0.5
	v_cndmask_b32_e64 v5, 0x3fe921fb, v56, s3
	v_and_b32_e32 v6, 0x400921fb, v7
	v_cndmask_b32_e64 v7, v27, v29, s3
	v_cndmask_b32_e32 v27, v9, v11, vcc_lo
                                        ; implicit-def: $vgpr9_vgpr10
	s_delay_alu instid0(VALU_DEP_4) | instskip(NEXT) | instid1(VALU_DEP_3)
	v_bfi_b32 v5, 0x7fffffff, v5, v16
	v_cndmask_b32_e64 v6, v7, v6, s4
	s_delay_alu instid0(VALU_DEP_1)
	v_cndmask_b32_e32 v28, v6, v5, vcc_lo
.LBB168_94:                             ;   in Loop: Header=BB168_5 Depth=1
	s_and_not1_saveexec_b32 s4, s6
	s_cbranch_execz .LBB168_96
; %bb.95:                               ;   in Loop: Header=BB168_5 Depth=1
	v_max_f64 v[5:6], |v[15:16]|, |v[15:16]|
	v_max_f64 v[25:26], |v[13:14]|, |v[13:14]|
	s_mov_b32 s12, s82
	v_cmp_class_f64_e64 s6, v[15:16], 0x204
	v_cmp_class_f64_e64 s7, v[13:14], 0x204
	v_cmp_eq_f64_e64 s3, 0, v[15:16]
	v_ashrrev_i32_e32 v7, 31, v14
	v_max_f64 v[27:28], v[25:26], v[5:6]
	v_min_f64 v[5:6], v[25:26], v[5:6]
	s_delay_alu instid0(VALU_DEP_1) | instskip(SKIP_1) | instid1(VALU_DEP_2)
	v_div_scale_f64 v[25:26], null, v[27:28], v[27:28], v[5:6]
	v_div_scale_f64 v[39:40], vcc_lo, v[5:6], v[27:28], v[5:6]
	v_rcp_f64_e32 v[29:30], v[25:26]
	s_waitcnt_depctr 0xfff
	v_fma_f64 v[31:32], -v[25:26], v[29:30], 1.0
	s_delay_alu instid0(VALU_DEP_1) | instskip(NEXT) | instid1(VALU_DEP_1)
	v_fma_f64 v[29:30], v[29:30], v[31:32], v[29:30]
	v_fma_f64 v[31:32], -v[25:26], v[29:30], 1.0
	s_delay_alu instid0(VALU_DEP_1) | instskip(NEXT) | instid1(VALU_DEP_1)
	v_fma_f64 v[29:30], v[29:30], v[31:32], v[29:30]
	v_mul_f64 v[31:32], v[39:40], v[29:30]
	s_delay_alu instid0(VALU_DEP_1) | instskip(NEXT) | instid1(VALU_DEP_1)
	v_fma_f64 v[25:26], -v[25:26], v[31:32], v[39:40]
	v_div_fmas_f64 v[25:26], v[25:26], v[29:30], v[31:32]
	v_cmp_gt_i32_e32 vcc_lo, 0, v14
	v_cndmask_b32_e32 v11, 0x54442d18, v55, vcc_lo
	s_delay_alu instid0(VALU_DEP_3) | instskip(NEXT) | instid1(VALU_DEP_1)
	v_div_fixup_f64 v[5:6], v[25:26], v[27:28], v[5:6]
	v_mul_f64 v[25:26], v[5:6], v[5:6]
	s_delay_alu instid0(VALU_DEP_1) | instskip(NEXT) | instid1(VALU_DEP_1)
	v_fma_f64 v[27:28], v[25:26], s[44:45], s[42:43]
	v_fma_f64 v[27:28], v[25:26], v[27:28], s[46:47]
	s_delay_alu instid0(VALU_DEP_1) | instskip(NEXT) | instid1(VALU_DEP_1)
	v_fma_f64 v[27:28], v[25:26], v[27:28], s[48:49]
	v_fma_f64 v[27:28], v[25:26], v[27:28], s[50:51]
	;; [unrolled: 3-line block ×9, first 2 shown]
	s_delay_alu instid0(VALU_DEP_1) | instskip(NEXT) | instid1(VALU_DEP_1)
	v_fma_f64 v[27:28], v[25:26], v[27:28], s[80:81]
	v_mul_f64 v[25:26], v[25:26], v[27:28]
	v_mul_f64 v[28:29], v[9:10], 0.5
	s_delay_alu instid0(VALU_DEP_2) | instskip(NEXT) | instid1(VALU_DEP_1)
	v_fma_f64 v[5:6], v[5:6], v[25:26], v[5:6]
	v_add_f64 v[25:26], -v[5:6], s[82:83]
	s_delay_alu instid0(VALU_DEP_1) | instskip(NEXT) | instid1(VALU_DEP_2)
	v_cndmask_b32_e64 v6, v6, v26, s2
	v_cndmask_b32_e64 v5, v5, v25, s2
	s_delay_alu instid0(VALU_DEP_1) | instskip(NEXT) | instid1(VALU_DEP_1)
	v_add_f64 v[26:27], -v[5:6], s[12:13]
	v_dual_cndmask_b32 v5, v5, v26 :: v_dual_and_b32 v30, 0x54442d18, v7
	v_mul_f64 v[25:26], v[9:10], v[28:29]
	v_cndmask_b32_e32 v9, 0x3fe921fb, v56, vcc_lo
	s_delay_alu instid0(VALU_DEP_4) | instskip(SKIP_2) | instid1(VALU_DEP_3)
	v_cndmask_b32_e32 v6, v6, v27, vcc_lo
	s_and_b32 vcc_lo, s7, s6
	v_cndmask_b32_e64 v5, v5, v30, s3
	v_bfi_b32 v9, 0x7fffffff, v9, v16
	v_and_b32_e32 v7, 0x400921fb, v7
	s_delay_alu instid0(VALU_DEP_3) | instskip(NEXT) | instid1(VALU_DEP_2)
	v_cndmask_b32_e32 v27, v5, v11, vcc_lo
	v_cndmask_b32_e64 v6, v6, v7, s3
	s_delay_alu instid0(VALU_DEP_1)
	v_cndmask_b32_e32 v28, v6, v9, vcc_lo
.LBB168_96:                             ;   in Loop: Header=BB168_5 Depth=1
	s_or_b32 exec_lo, exec_lo, s4
.LBB168_97:                             ;   in Loop: Header=BB168_5 Depth=1
	s_delay_alu instid0(SALU_CYCLE_1)
	s_or_b32 exec_lo, exec_lo, s5
.LBB168_98:                             ;   in Loop: Header=BB168_5 Depth=1
	s_and_not1_saveexec_b32 s5, s96
	s_cbranch_execz .LBB168_100
; %bb.99:                               ;   in Loop: Header=BB168_5 Depth=1
	v_div_scale_f64 v[5:6], null, s[88:89], s[88:89], v[13:14]
	v_div_scale_f64 v[9:10], null, s[88:89], s[88:89], v[15:16]
	v_div_scale_f64 v[39:40], vcc_lo, v[13:14], s[88:89], v[13:14]
	v_max_f64 v[43:44], |v[13:14]|, |v[13:14]|
	s_mov_b32 s91, s23
	s_mov_b32 s12, s82
	s_delay_alu instid0(VALU_DEP_4) | instskip(NEXT) | instid1(VALU_DEP_3)
	v_rcp_f64_e32 v[25:26], v[5:6]
	v_rcp_f64_e32 v[27:28], v[9:10]
	s_waitcnt_depctr 0xfff
	v_fma_f64 v[29:30], -v[5:6], v[25:26], 1.0
	v_fma_f64 v[31:32], -v[9:10], v[27:28], 1.0
	s_delay_alu instid0(VALU_DEP_2) | instskip(NEXT) | instid1(VALU_DEP_2)
	v_fma_f64 v[25:26], v[25:26], v[29:30], v[25:26]
	v_fma_f64 v[27:28], v[27:28], v[31:32], v[27:28]
	s_delay_alu instid0(VALU_DEP_2) | instskip(NEXT) | instid1(VALU_DEP_2)
	v_fma_f64 v[29:30], -v[5:6], v[25:26], 1.0
	v_fma_f64 v[31:32], -v[9:10], v[27:28], 1.0
	s_delay_alu instid0(VALU_DEP_2) | instskip(SKIP_1) | instid1(VALU_DEP_3)
	v_fma_f64 v[25:26], v[25:26], v[29:30], v[25:26]
	v_div_scale_f64 v[29:30], s3, v[15:16], s[88:89], v[15:16]
	v_fma_f64 v[27:28], v[27:28], v[31:32], v[27:28]
	s_delay_alu instid0(VALU_DEP_3) | instskip(NEXT) | instid1(VALU_DEP_2)
	v_mul_f64 v[31:32], v[39:40], v[25:26]
	v_mul_f64 v[41:42], v[29:30], v[27:28]
	s_delay_alu instid0(VALU_DEP_2) | instskip(NEXT) | instid1(VALU_DEP_2)
	v_fma_f64 v[5:6], -v[5:6], v[31:32], v[39:40]
	v_fma_f64 v[9:10], -v[9:10], v[41:42], v[29:30]
	s_delay_alu instid0(VALU_DEP_2) | instskip(SKIP_1) | instid1(VALU_DEP_2)
	v_div_fmas_f64 v[5:6], v[5:6], v[25:26], v[31:32]
	s_mov_b32 vcc_lo, s3
	v_div_fmas_f64 v[9:10], v[9:10], v[27:28], v[41:42]
	s_delay_alu instid0(VALU_DEP_2) | instskip(NEXT) | instid1(VALU_DEP_2)
	v_div_fixup_f64 v[5:6], v[5:6], s[88:89], v[13:14]
	v_div_fixup_f64 v[9:10], v[9:10], s[88:89], v[15:16]
	s_delay_alu instid0(VALU_DEP_2) | instskip(NEXT) | instid1(VALU_DEP_2)
	v_cmp_class_f64_e64 s4, v[5:6], 0x204
	v_max_f64 v[25:26], |v[5:6]|, |v[9:10]|
	v_cmp_o_f64_e64 s3, v[5:6], v[9:10]
	v_cmp_class_f64_e64 s6, v[9:10], 0x204
	s_delay_alu instid0(VALU_DEP_3) | instskip(NEXT) | instid1(VALU_DEP_2)
	v_frexp_exp_i32_f64_e32 v7, v[25:26]
	s_or_b32 s6, s4, s6
	s_delay_alu instid0(VALU_DEP_1) | instskip(NEXT) | instid1(VALU_DEP_1)
	v_sub_nc_u32_e32 v11, 0, v7
	v_ldexp_f64 v[25:26], |v[9:10]|, v11
	v_ldexp_f64 v[27:28], |v[5:6]|, v11
	s_delay_alu instid0(VALU_DEP_2) | instskip(NEXT) | instid1(VALU_DEP_1)
	v_mul_f64 v[25:26], v[25:26], v[25:26]
	v_fma_f64 v[25:26], v[27:28], v[27:28], v[25:26]
	s_delay_alu instid0(VALU_DEP_1) | instskip(SKIP_4) | instid1(VALU_DEP_1)
	v_rsq_f64_e32 v[27:28], v[25:26]
	v_cmp_eq_f64_e32 vcc_lo, 0, v[25:26]
	s_waitcnt_depctr 0xfff
	v_mul_f64 v[29:30], v[25:26], v[27:28]
	v_mul_f64 v[27:28], v[27:28], 0.5
	v_fma_f64 v[31:32], -v[27:28], v[29:30], 0.5
	s_delay_alu instid0(VALU_DEP_1) | instskip(SKIP_1) | instid1(VALU_DEP_2)
	v_fma_f64 v[29:30], v[29:30], v[31:32], v[29:30]
	v_fma_f64 v[27:28], v[27:28], v[31:32], v[27:28]
	v_fma_f64 v[31:32], -v[29:30], v[29:30], v[25:26]
	s_delay_alu instid0(VALU_DEP_1) | instskip(NEXT) | instid1(VALU_DEP_1)
	v_fma_f64 v[27:28], v[31:32], v[27:28], v[29:30]
	v_dual_cndmask_b32 v26, v28, v26 :: v_dual_cndmask_b32 v25, v27, v25
	s_delay_alu instid0(VALU_DEP_1) | instskip(NEXT) | instid1(VALU_DEP_1)
	v_ldexp_f64 v[25:26], v[25:26], v7
	v_cndmask_b32_e64 v7, 0, v25, s3
	s_delay_alu instid0(VALU_DEP_2) | instskip(NEXT) | instid1(VALU_DEP_2)
	v_cndmask_b32_e64 v11, 0x7ff80000, v26, s3
	v_cndmask_b32_e64 v5, v7, 0, s6
	s_delay_alu instid0(VALU_DEP_2) | instskip(NEXT) | instid1(VALU_DEP_1)
	v_cndmask_b32_e64 v6, v11, 0x7ff00000, s6
	v_frexp_mant_f64_e32 v[9:10], v[5:6]
	s_delay_alu instid0(VALU_DEP_1) | instskip(NEXT) | instid1(VALU_DEP_1)
	v_cmp_gt_f64_e64 s4, s[22:23], v[9:10]
	v_cndmask_b32_e64 v34, 0x3ff00000, 2.0, s4
	s_delay_alu instid0(VALU_DEP_1) | instskip(SKIP_1) | instid1(VALU_DEP_2)
	v_mul_f64 v[9:10], v[9:10], v[33:34]
	v_frexp_exp_i32_f64_e32 v34, v[5:6]
	v_add_f64 v[27:28], v[9:10], 1.0
	v_add_f64 v[39:40], v[9:10], -1.0
	s_delay_alu instid0(VALU_DEP_2) | instskip(SKIP_1) | instid1(VALU_DEP_1)
	v_rcp_f64_e32 v[29:30], v[27:28]
	v_add_f64 v[45:46], v[27:28], -1.0
	v_add_f64 v[9:10], v[9:10], -v[45:46]
	s_waitcnt_depctr 0xfff
	v_fma_f64 v[31:32], -v[27:28], v[29:30], 1.0
	s_delay_alu instid0(VALU_DEP_1) | instskip(NEXT) | instid1(VALU_DEP_1)
	v_fma_f64 v[29:30], v[31:32], v[29:30], v[29:30]
	v_fma_f64 v[31:32], -v[27:28], v[29:30], 1.0
	s_delay_alu instid0(VALU_DEP_1) | instskip(SKIP_1) | instid1(VALU_DEP_2)
	v_fma_f64 v[29:30], v[31:32], v[29:30], v[29:30]
	v_max_f64 v[31:32], |v[15:16]|, |v[15:16]|
	v_mul_f64 v[41:42], v[39:40], v[29:30]
	s_delay_alu instid0(VALU_DEP_2) | instskip(SKIP_1) | instid1(VALU_DEP_3)
	v_max_f64 v[49:50], v[43:44], v[31:32]
	v_min_f64 v[31:32], v[43:44], v[31:32]
	v_mul_f64 v[47:48], v[27:28], v[41:42]
	s_delay_alu instid0(VALU_DEP_2) | instskip(NEXT) | instid1(VALU_DEP_2)
	v_div_scale_f64 v[43:44], null, v[49:50], v[49:50], v[31:32]
	v_fma_f64 v[27:28], v[41:42], v[27:28], -v[47:48]
	s_delay_alu instid0(VALU_DEP_1) | instskip(NEXT) | instid1(VALU_DEP_3)
	v_fma_f64 v[9:10], v[41:42], v[9:10], v[27:28]
	v_rcp_f64_e32 v[27:28], v[43:44]
	s_delay_alu instid0(VALU_DEP_1) | instskip(SKIP_4) | instid1(VALU_DEP_3)
	v_add_f64 v[45:46], v[47:48], v[9:10]
	s_waitcnt_depctr 0xfff
	v_fma_f64 v[51:52], -v[43:44], v[27:28], 1.0
	v_add_f64 v[53:54], v[39:40], -v[45:46]
	v_add_f64 v[47:48], v[45:46], -v[47:48]
	v_fma_f64 v[27:28], v[27:28], v[51:52], v[27:28]
	s_delay_alu instid0(VALU_DEP_3) | instskip(NEXT) | instid1(VALU_DEP_3)
	v_add_f64 v[39:40], v[39:40], -v[53:54]
	v_add_f64 v[9:10], v[47:48], -v[9:10]
	s_delay_alu instid0(VALU_DEP_3) | instskip(NEXT) | instid1(VALU_DEP_3)
	v_fma_f64 v[51:52], -v[43:44], v[27:28], 1.0
	v_add_f64 v[39:40], v[39:40], -v[45:46]
	v_div_scale_f64 v[45:46], vcc_lo, v[31:32], v[49:50], v[31:32]
	s_delay_alu instid0(VALU_DEP_3) | instskip(NEXT) | instid1(VALU_DEP_3)
	v_fma_f64 v[27:28], v[27:28], v[51:52], v[27:28]
	v_add_f64 v[9:10], v[9:10], v[39:40]
	s_delay_alu instid0(VALU_DEP_2) | instskip(NEXT) | instid1(VALU_DEP_2)
	v_mul_f64 v[39:40], v[45:46], v[27:28]
	v_add_f64 v[9:10], v[53:54], v[9:10]
	s_delay_alu instid0(VALU_DEP_2) | instskip(NEXT) | instid1(VALU_DEP_2)
	v_fma_f64 v[43:44], -v[43:44], v[39:40], v[45:46]
	v_mul_f64 v[9:10], v[29:30], v[9:10]
	s_delay_alu instid0(VALU_DEP_2) | instskip(SKIP_2) | instid1(VALU_DEP_4)
	v_div_fmas_f64 v[27:28], v[43:44], v[27:28], v[39:40]
	v_subrev_co_ci_u32_e64 v34, vcc_lo, 0, v34, s4
	v_cmp_class_f64_e64 s4, v[13:14], 0x204
	v_add_f64 v[29:30], v[41:42], v[9:10]
	s_delay_alu instid0(VALU_DEP_4) | instskip(NEXT) | instid1(VALU_DEP_2)
	v_div_fixup_f64 v[27:28], v[27:28], v[49:50], v[31:32]
	v_mul_f64 v[31:32], v[29:30], v[29:30]
	s_delay_alu instid0(VALU_DEP_2) | instskip(NEXT) | instid1(VALU_DEP_2)
	v_mul_f64 v[39:40], v[27:28], v[27:28]
	v_fma_f64 v[43:44], v[31:32], s[26:27], s[24:25]
	v_mul_f64 v[47:48], v[29:30], v[31:32]
	s_delay_alu instid0(VALU_DEP_3) | instskip(NEXT) | instid1(VALU_DEP_3)
	v_fma_f64 v[45:46], v[39:40], s[44:45], s[42:43]
	v_fma_f64 v[43:44], v[31:32], v[43:44], s[28:29]
	s_delay_alu instid0(VALU_DEP_2) | instskip(NEXT) | instid1(VALU_DEP_2)
	v_fma_f64 v[45:46], v[39:40], v[45:46], s[46:47]
	v_fma_f64 v[43:44], v[31:32], v[43:44], s[30:31]
	s_delay_alu instid0(VALU_DEP_2) | instskip(NEXT) | instid1(VALU_DEP_2)
	v_fma_f64 v[45:46], v[39:40], v[45:46], s[48:49]
	v_fma_f64 v[43:44], v[31:32], v[43:44], s[34:35]
	s_delay_alu instid0(VALU_DEP_2) | instskip(NEXT) | instid1(VALU_DEP_2)
	v_fma_f64 v[45:46], v[39:40], v[45:46], s[50:51]
	v_fma_f64 v[43:44], v[31:32], v[43:44], s[36:37]
	s_delay_alu instid0(VALU_DEP_2) | instskip(NEXT) | instid1(VALU_DEP_2)
	v_fma_f64 v[45:46], v[39:40], v[45:46], s[52:53]
	v_fma_f64 v[31:32], v[31:32], v[43:44], s[90:91]
	s_delay_alu instid0(VALU_DEP_2) | instskip(SKIP_2) | instid1(VALU_DEP_4)
	v_fma_f64 v[43:44], v[39:40], v[45:46], s[54:55]
	v_ldexp_f64 v[45:46], v[29:30], 1
	v_add_f64 v[29:30], v[29:30], -v[41:42]
	v_mul_f64 v[31:32], v[47:48], v[31:32]
	v_cvt_f64_i32_e32 v[47:48], v34
	v_fma_f64 v[43:44], v[39:40], v[43:44], s[56:57]
	s_delay_alu instid0(VALU_DEP_4) | instskip(NEXT) | instid1(VALU_DEP_4)
	v_add_f64 v[9:10], v[9:10], -v[29:30]
	v_add_f64 v[41:42], v[45:46], v[31:32]
	s_delay_alu instid0(VALU_DEP_4) | instskip(NEXT) | instid1(VALU_DEP_4)
	v_mul_f64 v[49:50], v[47:48], s[38:39]
	v_fma_f64 v[43:44], v[39:40], v[43:44], s[58:59]
	s_delay_alu instid0(VALU_DEP_4) | instskip(NEXT) | instid1(VALU_DEP_4)
	v_ldexp_f64 v[9:10], v[9:10], 1
	v_add_f64 v[29:30], v[41:42], -v[45:46]
	s_delay_alu instid0(VALU_DEP_4) | instskip(NEXT) | instid1(VALU_DEP_4)
	v_fma_f64 v[45:46], v[47:48], s[38:39], -v[49:50]
	v_fma_f64 v[43:44], v[39:40], v[43:44], s[60:61]
	s_delay_alu instid0(VALU_DEP_3) | instskip(NEXT) | instid1(VALU_DEP_2)
	v_add_f64 v[29:30], v[31:32], -v[29:30]
	v_fma_f64 v[31:32], v[39:40], v[43:44], s[62:63]
	s_delay_alu instid0(VALU_DEP_4) | instskip(NEXT) | instid1(VALU_DEP_3)
	v_fma_f64 v[43:44], v[47:48], s[40:41], v[45:46]
	v_add_f64 v[9:10], v[9:10], v[29:30]
	s_delay_alu instid0(VALU_DEP_3) | instskip(NEXT) | instid1(VALU_DEP_3)
	v_fma_f64 v[29:30], v[39:40], v[31:32], s[64:65]
	v_add_f64 v[31:32], v[49:50], v[43:44]
	s_delay_alu instid0(VALU_DEP_3) | instskip(NEXT) | instid1(VALU_DEP_3)
	v_add_f64 v[45:46], v[41:42], v[9:10]
	v_fma_f64 v[29:30], v[39:40], v[29:30], s[66:67]
	s_delay_alu instid0(VALU_DEP_3) | instskip(NEXT) | instid1(VALU_DEP_3)
	v_add_f64 v[49:50], v[31:32], -v[49:50]
	v_add_f64 v[47:48], v[31:32], v[45:46]
	v_add_f64 v[41:42], v[45:46], -v[41:42]
	s_delay_alu instid0(VALU_DEP_4) | instskip(NEXT) | instid1(VALU_DEP_4)
	v_fma_f64 v[29:30], v[39:40], v[29:30], s[68:69]
	v_add_f64 v[43:44], v[43:44], -v[49:50]
	s_delay_alu instid0(VALU_DEP_4) | instskip(NEXT) | instid1(VALU_DEP_4)
	v_add_f64 v[51:52], v[47:48], -v[31:32]
	v_add_f64 v[9:10], v[9:10], -v[41:42]
	s_delay_alu instid0(VALU_DEP_4) | instskip(NEXT) | instid1(VALU_DEP_3)
	v_fma_f64 v[29:30], v[39:40], v[29:30], s[70:71]
	v_add_f64 v[53:54], v[47:48], -v[51:52]
	v_add_f64 v[41:42], v[45:46], -v[51:52]
	s_delay_alu instid0(VALU_DEP_4) | instskip(NEXT) | instid1(VALU_DEP_4)
	v_add_f64 v[45:46], v[43:44], v[9:10]
	v_fma_f64 v[29:30], v[39:40], v[29:30], s[72:73]
	s_delay_alu instid0(VALU_DEP_4) | instskip(NEXT) | instid1(VALU_DEP_2)
	v_add_f64 v[31:32], v[31:32], -v[53:54]
	v_fma_f64 v[29:30], v[39:40], v[29:30], s[74:75]
	s_delay_alu instid0(VALU_DEP_2) | instskip(SKIP_1) | instid1(VALU_DEP_3)
	v_add_f64 v[31:32], v[41:42], v[31:32]
	v_add_f64 v[41:42], v[45:46], -v[43:44]
	v_fma_f64 v[29:30], v[39:40], v[29:30], s[76:77]
	s_delay_alu instid0(VALU_DEP_3) | instskip(NEXT) | instid1(VALU_DEP_3)
	v_add_f64 v[31:32], v[45:46], v[31:32]
	v_add_f64 v[45:46], v[45:46], -v[41:42]
	v_add_f64 v[9:10], v[9:10], -v[41:42]
	s_delay_alu instid0(VALU_DEP_4) | instskip(NEXT) | instid1(VALU_DEP_4)
	v_fma_f64 v[29:30], v[39:40], v[29:30], s[78:79]
	v_add_f64 v[49:50], v[47:48], v[31:32]
	s_delay_alu instid0(VALU_DEP_4) | instskip(NEXT) | instid1(VALU_DEP_3)
	v_add_f64 v[41:42], v[43:44], -v[45:46]
	v_fma_f64 v[29:30], v[39:40], v[29:30], s[80:81]
	s_delay_alu instid0(VALU_DEP_3) | instskip(NEXT) | instid1(VALU_DEP_3)
	v_add_f64 v[43:44], v[49:50], -v[47:48]
	v_add_f64 v[9:10], v[9:10], v[41:42]
	s_delay_alu instid0(VALU_DEP_3) | instskip(NEXT) | instid1(VALU_DEP_3)
	v_mul_f64 v[29:30], v[39:40], v[29:30]
	v_add_f64 v[31:32], v[31:32], -v[43:44]
	s_delay_alu instid0(VALU_DEP_2) | instskip(NEXT) | instid1(VALU_DEP_2)
	v_fma_f64 v[27:28], v[27:28], v[29:30], v[27:28]
	v_add_f64 v[9:10], v[9:10], v[31:32]
	s_delay_alu instid0(VALU_DEP_2) | instskip(NEXT) | instid1(VALU_DEP_2)
	v_add_f64 v[29:30], -v[27:28], s[82:83]
	v_add_f64 v[9:10], v[49:50], v[9:10]
	v_and_b32_e32 v26, 0x7fffffff, v26
	s_delay_alu instid0(VALU_DEP_1) | instskip(NEXT) | instid1(VALU_DEP_4)
	v_cmp_eq_f64_e32 vcc_lo, 0x7ff00000, v[25:26]
	v_cndmask_b32_e64 v26, v28, v30, s2
	v_cndmask_b32_e64 v25, v27, v29, s2
	v_cmp_eq_f64_e64 s2, 0, v[15:16]
	v_ashrrev_i32_e32 v29, 31, v14
	s_delay_alu instid0(VALU_DEP_3)
	v_add_f64 v[27:28], -v[25:26], s[12:13]
	s_and_b32 vcc_lo, s3, vcc_lo
	v_cmp_class_f64_e64 s3, v[15:16], 0x204
	v_cndmask_b32_e32 v9, v9, v7, vcc_lo
	v_dual_cndmask_b32 v10, v10, v11 :: v_dual_and_b32 v11, 0x54442d18, v29
	v_cmp_gt_i32_e32 vcc_lo, 0, v14
	v_and_b32_e32 v14, 0x400921fb, v29
	s_delay_alu instid0(VALU_DEP_3) | instskip(SKIP_3) | instid1(VALU_DEP_3)
	v_add_f64 v[9:10], v[9:10], 1.0
	v_cndmask_b32_e32 v25, v25, v27, vcc_lo
	v_cndmask_b32_e32 v7, 0x54442d18, v55, vcc_lo
	;; [unrolled: 1-line block ×3, first 2 shown]
	v_cndmask_b32_e64 v11, v25, v11, s2
	v_cndmask_b32_e32 v26, v26, v28, vcc_lo
	v_cmp_ngt_f64_e32 vcc_lo, 0, v[5:6]
	s_delay_alu instid0(VALU_DEP_4) | instskip(SKIP_2) | instid1(VALU_DEP_2)
	v_bfi_b32 v13, 0x7fffffff, v13, v16
	v_cndmask_b32_e64 v10, v10, 0x7ff00000, s6
	v_cndmask_b32_e64 v9, v9, 0, s6
	v_cndmask_b32_e32 v10, 0x7ff80000, v10, vcc_lo
	s_and_b32 vcc_lo, s4, s3
	v_cndmask_b32_e32 v27, v11, v7, vcc_lo
	v_cndmask_b32_e64 v14, v26, v14, s2
	v_cmp_nge_f64_e64 s2, 0, v[5:6]
	s_delay_alu instid0(VALU_DEP_2) | instskip(NEXT) | instid1(VALU_DEP_2)
	v_cndmask_b32_e32 v28, v14, v13, vcc_lo
	v_cndmask_b32_e64 v25, 0, v9, s2
	v_cmp_neq_f64_e64 s2, 0, v[5:6]
	s_delay_alu instid0(VALU_DEP_1)
	v_cndmask_b32_e64 v26, 0xfff00000, v10, s2
.LBB168_100:                            ;   in Loop: Header=BB168_5 Depth=1
	s_or_b32 exec_lo, exec_lo, s5
.LBB168_101:                            ;   in Loop: Header=BB168_5 Depth=1
	s_and_not1_saveexec_b32 s2, s95
	s_cbranch_execz .LBB168_107
; %bb.102:                              ;   in Loop: Header=BB168_5 Depth=1
	v_cmp_ngt_f64_e64 s3, 0x20000000, |v[13:14]|
	v_cmp_ngt_f64_e64 s4, 0x20000000, |v[15:16]|
                                        ; implicit-def: $vgpr5_vgpr6
	s_delay_alu instid0(VALU_DEP_1) | instskip(NEXT) | instid1(SALU_CYCLE_1)
	s_or_b32 s3, s3, s4
	s_and_saveexec_b32 s4, s3
	s_delay_alu instid0(SALU_CYCLE_1)
	s_xor_b32 s3, exec_lo, s4
; %bb.103:                              ;   in Loop: Header=BB168_5 Depth=1
	v_mul_f64 v[5:6], v[15:16], v[15:16]
	s_delay_alu instid0(VALU_DEP_1)
	v_fma_f64 v[5:6], v[13:14], v[13:14], v[5:6]
; %bb.104:                              ;   in Loop: Header=BB168_5 Depth=1
	s_and_not1_saveexec_b32 s3, s3
; %bb.105:                              ;   in Loop: Header=BB168_5 Depth=1
	v_mul_f64 v[5:6], v[15:16], 4.0
	v_mul_f64 v[9:10], v[13:14], 4.0
	s_delay_alu instid0(VALU_DEP_2) | instskip(NEXT) | instid1(VALU_DEP_1)
	v_mul_f64 v[5:6], v[5:6], v[5:6]
	v_fma_f64 v[5:6], v[9:10], v[9:10], v[5:6]
	s_delay_alu instid0(VALU_DEP_1)
	v_ldexp_f64 v[5:6], v[5:6], -4
; %bb.106:                              ;   in Loop: Header=BB168_5 Depth=1
	s_or_b32 exec_lo, exec_lo, s3
	s_delay_alu instid0(VALU_DEP_1) | instskip(SKIP_2) | instid1(VALU_DEP_2)
	v_frexp_mant_f64_e32 v[9:10], v[5:6]
	s_mov_b32 s91, s23
	v_frexp_exp_i32_f64_e32 v7, v[5:6]
	v_cmp_gt_f64_e32 vcc_lo, s[22:23], v[9:10]
	v_cndmask_b32_e64 v34, 0x3ff00000, 2.0, vcc_lo
	s_delay_alu instid0(VALU_DEP_3) | instskip(SKIP_1) | instid1(VALU_DEP_3)
	v_subrev_co_ci_u32_e32 v7, vcc_lo, 0, v7, vcc_lo
	v_cmp_class_f64_e64 vcc_lo, v[5:6], 0x204
	v_mul_f64 v[9:10], v[9:10], v[33:34]
	s_delay_alu instid0(VALU_DEP_1) | instskip(SKIP_1) | instid1(VALU_DEP_2)
	v_add_f64 v[13:14], v[9:10], 1.0
	v_add_f64 v[29:30], v[9:10], -1.0
	v_rcp_f64_e32 v[25:26], v[13:14]
	v_add_f64 v[31:32], v[13:14], -1.0
	s_delay_alu instid0(VALU_DEP_1) | instskip(SKIP_2) | instid1(VALU_DEP_1)
	v_add_f64 v[9:10], v[9:10], -v[31:32]
	s_waitcnt_depctr 0xfff
	v_fma_f64 v[27:28], -v[13:14], v[25:26], 1.0
	v_fma_f64 v[25:26], v[27:28], v[25:26], v[25:26]
	s_delay_alu instid0(VALU_DEP_1) | instskip(NEXT) | instid1(VALU_DEP_1)
	v_fma_f64 v[27:28], -v[13:14], v[25:26], 1.0
	v_fma_f64 v[25:26], v[27:28], v[25:26], v[25:26]
	s_delay_alu instid0(VALU_DEP_1) | instskip(NEXT) | instid1(VALU_DEP_1)
	v_mul_f64 v[27:28], v[29:30], v[25:26]
	v_mul_f64 v[39:40], v[13:14], v[27:28]
	s_delay_alu instid0(VALU_DEP_1) | instskip(NEXT) | instid1(VALU_DEP_1)
	v_fma_f64 v[13:14], v[27:28], v[13:14], -v[39:40]
	v_fma_f64 v[9:10], v[27:28], v[9:10], v[13:14]
	s_delay_alu instid0(VALU_DEP_1) | instskip(NEXT) | instid1(VALU_DEP_1)
	v_add_f64 v[13:14], v[39:40], v[9:10]
	v_add_f64 v[31:32], v[29:30], -v[13:14]
	v_add_f64 v[39:40], v[13:14], -v[39:40]
	s_delay_alu instid0(VALU_DEP_2) | instskip(NEXT) | instid1(VALU_DEP_2)
	v_add_f64 v[29:30], v[29:30], -v[31:32]
	v_add_f64 v[9:10], v[39:40], -v[9:10]
	s_delay_alu instid0(VALU_DEP_2) | instskip(NEXT) | instid1(VALU_DEP_1)
	v_add_f64 v[13:14], v[29:30], -v[13:14]
	v_add_f64 v[9:10], v[9:10], v[13:14]
	s_delay_alu instid0(VALU_DEP_1) | instskip(NEXT) | instid1(VALU_DEP_1)
	v_add_f64 v[9:10], v[31:32], v[9:10]
	v_mul_f64 v[9:10], v[25:26], v[9:10]
	s_delay_alu instid0(VALU_DEP_1) | instskip(NEXT) | instid1(VALU_DEP_1)
	v_add_f64 v[13:14], v[27:28], v[9:10]
	v_mul_f64 v[25:26], v[13:14], v[13:14]
	s_delay_alu instid0(VALU_DEP_1) | instskip(SKIP_1) | instid1(VALU_DEP_2)
	v_fma_f64 v[29:30], v[25:26], s[26:27], s[24:25]
	v_mul_f64 v[31:32], v[13:14], v[25:26]
	v_fma_f64 v[29:30], v[25:26], v[29:30], s[28:29]
	s_delay_alu instid0(VALU_DEP_1) | instskip(NEXT) | instid1(VALU_DEP_1)
	v_fma_f64 v[29:30], v[25:26], v[29:30], s[30:31]
	v_fma_f64 v[29:30], v[25:26], v[29:30], s[34:35]
	s_delay_alu instid0(VALU_DEP_1) | instskip(NEXT) | instid1(VALU_DEP_1)
	v_fma_f64 v[29:30], v[25:26], v[29:30], s[36:37]
	v_fma_f64 v[25:26], v[25:26], v[29:30], s[90:91]
	v_ldexp_f64 v[29:30], v[13:14], 1
	v_add_f64 v[13:14], v[13:14], -v[27:28]
	s_delay_alu instid0(VALU_DEP_3) | instskip(SKIP_1) | instid1(VALU_DEP_3)
	v_mul_f64 v[25:26], v[31:32], v[25:26]
	v_cvt_f64_i32_e32 v[31:32], v7
	v_add_f64 v[9:10], v[9:10], -v[13:14]
	s_delay_alu instid0(VALU_DEP_3) | instskip(NEXT) | instid1(VALU_DEP_3)
	v_add_f64 v[27:28], v[29:30], v[25:26]
	v_mul_f64 v[39:40], v[31:32], s[38:39]
	s_delay_alu instid0(VALU_DEP_3) | instskip(NEXT) | instid1(VALU_DEP_3)
	v_ldexp_f64 v[9:10], v[9:10], 1
	v_add_f64 v[13:14], v[27:28], -v[29:30]
	s_delay_alu instid0(VALU_DEP_3) | instskip(NEXT) | instid1(VALU_DEP_2)
	v_fma_f64 v[29:30], v[31:32], s[38:39], -v[39:40]
	v_add_f64 v[13:14], v[25:26], -v[13:14]
	s_delay_alu instid0(VALU_DEP_2) | instskip(NEXT) | instid1(VALU_DEP_2)
	v_fma_f64 v[25:26], v[31:32], s[40:41], v[29:30]
	v_add_f64 v[9:10], v[9:10], v[13:14]
	s_delay_alu instid0(VALU_DEP_2) | instskip(NEXT) | instid1(VALU_DEP_2)
	v_add_f64 v[13:14], v[39:40], v[25:26]
	v_add_f64 v[29:30], v[27:28], v[9:10]
	s_delay_alu instid0(VALU_DEP_2) | instskip(NEXT) | instid1(VALU_DEP_2)
	v_add_f64 v[39:40], v[13:14], -v[39:40]
	v_add_f64 v[31:32], v[13:14], v[29:30]
	v_add_f64 v[27:28], v[29:30], -v[27:28]
	s_delay_alu instid0(VALU_DEP_3) | instskip(NEXT) | instid1(VALU_DEP_3)
	v_add_f64 v[25:26], v[25:26], -v[39:40]
	v_add_f64 v[41:42], v[31:32], -v[13:14]
	s_delay_alu instid0(VALU_DEP_3) | instskip(NEXT) | instid1(VALU_DEP_2)
	v_add_f64 v[9:10], v[9:10], -v[27:28]
	v_add_f64 v[43:44], v[31:32], -v[41:42]
	;; [unrolled: 1-line block ×3, first 2 shown]
	s_delay_alu instid0(VALU_DEP_3) | instskip(NEXT) | instid1(VALU_DEP_3)
	v_add_f64 v[29:30], v[25:26], v[9:10]
	v_add_f64 v[13:14], v[13:14], -v[43:44]
	s_delay_alu instid0(VALU_DEP_1) | instskip(NEXT) | instid1(VALU_DEP_3)
	v_add_f64 v[13:14], v[27:28], v[13:14]
	v_add_f64 v[27:28], v[29:30], -v[25:26]
	s_delay_alu instid0(VALU_DEP_2) | instskip(NEXT) | instid1(VALU_DEP_2)
	v_add_f64 v[13:14], v[29:30], v[13:14]
	v_add_f64 v[29:30], v[29:30], -v[27:28]
	v_add_f64 v[9:10], v[9:10], -v[27:28]
	s_delay_alu instid0(VALU_DEP_3) | instskip(NEXT) | instid1(VALU_DEP_3)
	v_add_f64 v[39:40], v[31:32], v[13:14]
	v_add_f64 v[25:26], v[25:26], -v[29:30]
	s_delay_alu instid0(VALU_DEP_2) | instskip(NEXT) | instid1(VALU_DEP_2)
	v_add_f64 v[27:28], v[39:40], -v[31:32]
	v_add_f64 v[9:10], v[9:10], v[25:26]
	s_delay_alu instid0(VALU_DEP_2) | instskip(NEXT) | instid1(VALU_DEP_1)
	v_add_f64 v[13:14], v[13:14], -v[27:28]
	v_add_f64 v[9:10], v[9:10], v[13:14]
	s_delay_alu instid0(VALU_DEP_1) | instskip(NEXT) | instid1(VALU_DEP_1)
	v_add_f64 v[9:10], v[39:40], v[9:10]
	v_cndmask_b32_e32 v7, v9, v5, vcc_lo
	s_delay_alu instid0(VALU_DEP_2) | instskip(SKIP_1) | instid1(VALU_DEP_2)
	v_cndmask_b32_e32 v9, v10, v6, vcc_lo
	v_cmp_ngt_f64_e32 vcc_lo, 0, v[5:6]
	v_cndmask_b32_e32 v9, 0x7ff80000, v9, vcc_lo
	v_cmp_nge_f64_e32 vcc_lo, 0, v[5:6]
	v_mov_b32_e32 v27, 0
	v_dual_mov_b32 v28, 0x7ff80000 :: v_dual_cndmask_b32 v25, 0, v7
	v_cmp_neq_f64_e32 vcc_lo, 0, v[5:6]
	v_cndmask_b32_e32 v26, 0xfff00000, v9, vcc_lo
.LBB168_107:                            ;   in Loop: Header=BB168_5 Depth=1
	s_or_b32 exec_lo, exec_lo, s2
                                        ; implicit-def: $vgpr29_vgpr30
	s_delay_alu instid0(SALU_CYCLE_1)
	s_mov_b32 s2, exec_lo
	v_cmpx_o_f64_e32 v[1:2], v[3:4]
	s_xor_b32 s95, exec_lo, s2
	s_cbranch_execz .LBB168_135
; %bb.108:                              ;   in Loop: Header=BB168_5 Depth=1
	v_cmp_lt_f64_e64 s2, |v[1:2]|, |v[3:4]|
	v_and_b32_e32 v5, 0x7fffffff, v2
	v_dual_mov_b32 v7, v3 :: v_dual_and_b32 v6, 0x7fffffff, v4
                                        ; implicit-def: $vgpr29_vgpr30
	s_mov_b32 s3, exec_lo
	s_delay_alu instid0(VALU_DEP_1) | instskip(NEXT) | instid1(VALU_DEP_2)
	v_cndmask_b32_e64 v10, v6, v5, s2
	v_cndmask_b32_e64 v9, v7, v1, s2
	s_delay_alu instid0(VALU_DEP_1)
	v_cmpx_nlt_f64_e32 s[14:15], v[9:10]
	s_xor_b32 s96, exec_lo, s3
	s_cbranch_execz .LBB168_132
; %bb.109:                              ;   in Loop: Header=BB168_5 Depth=1
	v_cndmask_b32_e64 v14, v5, v6, s2
	v_cndmask_b32_e64 v13, v1, v7, s2
                                        ; implicit-def: $vgpr29_vgpr30
	s_mov_b32 s3, exec_lo
	s_delay_alu instid0(VALU_DEP_1)
	v_cmpx_neq_f64_e32 1.0, v[13:14]
	s_xor_b32 s97, exec_lo, s3
	s_cbranch_execz .LBB168_125
; %bb.110:                              ;   in Loop: Header=BB168_5 Depth=1
	v_max_f64 v[5:6], v[9:10], v[9:10]
	v_max_f64 v[29:30], v[13:14], v[13:14]
	s_delay_alu instid0(VALU_DEP_1) | instskip(SKIP_1) | instid1(VALU_DEP_2)
	v_min_f64 v[31:32], v[29:30], v[5:6]
	v_max_f64 v[5:6], v[29:30], v[5:6]
                                        ; implicit-def: $vgpr29_vgpr30
	v_cmp_ngt_f64_e32 vcc_lo, s[18:19], v[31:32]
	s_delay_alu instid0(VALU_DEP_2) | instskip(NEXT) | instid1(VALU_DEP_1)
	v_cmp_nlt_f64_e64 s3, s[20:21], v[5:6]
	s_and_b32 s3, s3, vcc_lo
	s_delay_alu instid0(SALU_CYCLE_1) | instskip(NEXT) | instid1(SALU_CYCLE_1)
	s_and_saveexec_b32 s4, s3
	s_xor_b32 s101, exec_lo, s4
	s_cbranch_execz .LBB168_122
; %bb.111:                              ;   in Loop: Header=BB168_5 Depth=1
                                        ; implicit-def: $vgpr29_vgpr30
	s_mov_b32 s3, exec_lo
	v_cmpx_le_f64_e32 1.0, v[13:14]
	s_xor_b32 s4, exec_lo, s3
	s_cbranch_execz .LBB168_113
; %bb.112:                              ;   in Loop: Header=BB168_5 Depth=1
	v_add_f64 v[5:6], v[13:14], -1.0
	v_add_f64 v[13:14], v[13:14], 1.0
	s_mov_b32 s91, s23
	s_mov_b32 s12, s82
	v_cmp_gt_i32_e64 s3, 0, v2
	v_cmp_class_f64_e64 s6, v[1:2], 0x204
	v_cmp_class_f64_e64 s5, v[3:4], 0x204
	s_delay_alu instid0(VALU_DEP_4) | instskip(NEXT) | instid1(VALU_DEP_1)
	v_mul_f64 v[5:6], v[5:6], v[13:14]
	v_fma_f64 v[5:6], v[9:10], v[9:10], v[5:6]
	s_delay_alu instid0(VALU_DEP_1) | instskip(NEXT) | instid1(VALU_DEP_1)
	v_add_f64 v[9:10], v[5:6], 1.0
	v_frexp_mant_f64_e32 v[13:14], v[9:10]
	v_frexp_exp_i32_f64_e32 v7, v[9:10]
	v_add_f64 v[29:30], v[9:10], -1.0
	s_delay_alu instid0(VALU_DEP_3) | instskip(NEXT) | instid1(VALU_DEP_2)
	v_cmp_gt_f64_e32 vcc_lo, s[22:23], v[13:14]
	v_add_f64 v[13:14], v[29:30], -v[9:10]
	v_add_f64 v[29:30], v[5:6], -v[29:30]
	v_subrev_co_ci_u32_e32 v7, vcc_lo, 0, v7, vcc_lo
	s_delay_alu instid0(VALU_DEP_3) | instskip(NEXT) | instid1(VALU_DEP_2)
	v_add_f64 v[13:14], v[13:14], 1.0
	v_sub_nc_u32_e32 v11, 0, v7
	s_delay_alu instid0(VALU_DEP_1) | instskip(NEXT) | instid1(VALU_DEP_3)
	v_ldexp_f64 v[9:10], v[9:10], v11
	v_add_f64 v[13:14], v[29:30], v[13:14]
	s_delay_alu instid0(VALU_DEP_2) | instskip(SKIP_1) | instid1(VALU_DEP_3)
	v_add_f64 v[31:32], v[9:10], 1.0
	v_add_f64 v[43:44], v[9:10], -1.0
	v_ldexp_f64 v[13:14], v[13:14], v11
	v_cndmask_b32_e64 v11, 0x54442d18, v55, s3
	s_delay_alu instid0(VALU_DEP_4) | instskip(NEXT) | instid1(VALU_DEP_4)
	v_add_f64 v[29:30], v[31:32], -1.0
	v_add_f64 v[45:46], v[43:44], 1.0
	s_delay_alu instid0(VALU_DEP_2) | instskip(NEXT) | instid1(VALU_DEP_2)
	v_add_f64 v[29:30], v[9:10], -v[29:30]
	v_add_f64 v[9:10], v[9:10], -v[45:46]
	s_delay_alu instid0(VALU_DEP_2) | instskip(NEXT) | instid1(VALU_DEP_2)
	v_add_f64 v[29:30], v[13:14], v[29:30]
	v_add_f64 v[9:10], v[13:14], v[9:10]
	s_delay_alu instid0(VALU_DEP_2) | instskip(NEXT) | instid1(VALU_DEP_2)
	v_add_f64 v[39:40], v[31:32], v[29:30]
	v_add_f64 v[45:46], v[43:44], v[9:10]
	s_delay_alu instid0(VALU_DEP_2) | instskip(SKIP_1) | instid1(VALU_DEP_2)
	v_rcp_f64_e32 v[41:42], v[39:40]
	v_add_f64 v[31:32], v[39:40], -v[31:32]
	v_add_f64 v[43:44], v[45:46], -v[43:44]
	s_delay_alu instid0(VALU_DEP_2) | instskip(SKIP_3) | instid1(VALU_DEP_2)
	v_add_f64 v[29:30], v[29:30], -v[31:32]
	s_waitcnt_depctr 0xfff
	v_fma_f64 v[47:48], -v[39:40], v[41:42], 1.0
	v_add_f64 v[9:10], v[9:10], -v[43:44]
	v_fma_f64 v[41:42], v[47:48], v[41:42], v[41:42]
	s_delay_alu instid0(VALU_DEP_1) | instskip(NEXT) | instid1(VALU_DEP_1)
	v_fma_f64 v[13:14], -v[39:40], v[41:42], 1.0
	v_fma_f64 v[13:14], v[13:14], v[41:42], v[41:42]
	s_delay_alu instid0(VALU_DEP_1) | instskip(NEXT) | instid1(VALU_DEP_1)
	v_mul_f64 v[41:42], v[45:46], v[13:14]
	v_mul_f64 v[47:48], v[39:40], v[41:42]
	s_delay_alu instid0(VALU_DEP_1) | instskip(NEXT) | instid1(VALU_DEP_1)
	v_fma_f64 v[31:32], v[41:42], v[39:40], -v[47:48]
	v_fma_f64 v[31:32], v[41:42], v[29:30], v[31:32]
	s_delay_alu instid0(VALU_DEP_1) | instskip(NEXT) | instid1(VALU_DEP_1)
	v_add_f64 v[49:50], v[47:48], v[31:32]
	v_add_f64 v[51:52], v[45:46], -v[49:50]
	v_add_f64 v[43:44], v[49:50], -v[47:48]
	v_max_f64 v[47:48], |v[3:4]|, |v[3:4]|
	s_delay_alu instid0(VALU_DEP_3) | instskip(NEXT) | instid1(VALU_DEP_3)
	v_add_f64 v[45:46], v[45:46], -v[51:52]
	v_add_f64 v[31:32], v[43:44], -v[31:32]
	s_delay_alu instid0(VALU_DEP_2) | instskip(SKIP_2) | instid1(VALU_DEP_1)
	v_add_f64 v[45:46], v[45:46], -v[49:50]
	v_max_f64 v[49:50], |v[1:2]|, |v[1:2]|
	v_cndmask_b32_e64 v1, 0x3fe921fb, v56, s3
	v_bfi_b32 v1, 0x7fffffff, v1, v4
	s_delay_alu instid0(VALU_DEP_4) | instskip(NEXT) | instid1(VALU_DEP_4)
	v_add_f64 v[9:10], v[9:10], v[45:46]
	v_max_f64 v[53:54], v[49:50], v[47:48]
	v_min_f64 v[47:48], v[49:50], v[47:48]
	s_delay_alu instid0(VALU_DEP_3) | instskip(NEXT) | instid1(VALU_DEP_1)
	v_add_f64 v[9:10], v[31:32], v[9:10]
	v_add_f64 v[31:32], v[51:52], v[9:10]
	s_delay_alu instid0(VALU_DEP_1) | instskip(SKIP_1) | instid1(VALU_DEP_2)
	v_mul_f64 v[43:44], v[13:14], v[31:32]
	v_add_f64 v[51:52], v[51:52], -v[31:32]
	v_mul_f64 v[45:46], v[39:40], v[43:44]
	s_delay_alu instid0(VALU_DEP_2) | instskip(NEXT) | instid1(VALU_DEP_2)
	v_add_f64 v[9:10], v[9:10], v[51:52]
	v_fma_f64 v[39:40], v[43:44], v[39:40], -v[45:46]
	s_delay_alu instid0(VALU_DEP_1) | instskip(SKIP_1) | instid1(VALU_DEP_2)
	v_fma_f64 v[29:30], v[43:44], v[29:30], v[39:40]
	v_div_scale_f64 v[39:40], null, v[53:54], v[53:54], v[47:48]
	v_add_f64 v[49:50], v[45:46], v[29:30]
	s_delay_alu instid0(VALU_DEP_2) | instskip(NEXT) | instid1(VALU_DEP_1)
	v_rcp_f64_e32 v[57:58], v[39:40]
	v_add_f64 v[59:60], v[31:32], -v[49:50]
	v_add_f64 v[45:46], v[49:50], -v[45:46]
	s_waitcnt_depctr 0xfff
	v_fma_f64 v[61:62], -v[39:40], v[57:58], 1.0
	v_add_f64 v[31:32], v[31:32], -v[59:60]
	v_add_f64 v[29:30], v[45:46], -v[29:30]
	s_delay_alu instid0(VALU_DEP_3) | instskip(NEXT) | instid1(VALU_DEP_3)
	v_fma_f64 v[57:58], v[57:58], v[61:62], v[57:58]
	v_add_f64 v[31:32], v[31:32], -v[49:50]
	s_delay_alu instid0(VALU_DEP_2) | instskip(NEXT) | instid1(VALU_DEP_2)
	v_fma_f64 v[49:50], -v[39:40], v[57:58], 1.0
	v_add_f64 v[9:10], v[9:10], v[31:32]
	v_div_scale_f64 v[31:32], vcc_lo, v[47:48], v[53:54], v[47:48]
	s_delay_alu instid0(VALU_DEP_3) | instskip(SKIP_1) | instid1(VALU_DEP_4)
	v_fma_f64 v[45:46], v[57:58], v[49:50], v[57:58]
	v_add_f64 v[49:50], v[41:42], v[43:44]
	v_add_f64 v[9:10], v[29:30], v[9:10]
	s_delay_alu instid0(VALU_DEP_3) | instskip(NEXT) | instid1(VALU_DEP_3)
	v_mul_f64 v[29:30], v[31:32], v[45:46]
	v_add_f64 v[41:42], v[49:50], -v[41:42]
	s_delay_alu instid0(VALU_DEP_3) | instskip(NEXT) | instid1(VALU_DEP_3)
	v_add_f64 v[9:10], v[59:60], v[9:10]
	v_fma_f64 v[31:32], -v[39:40], v[29:30], v[31:32]
	s_delay_alu instid0(VALU_DEP_3) | instskip(NEXT) | instid1(VALU_DEP_3)
	v_add_f64 v[39:40], v[43:44], -v[41:42]
	v_mul_f64 v[9:10], v[13:14], v[9:10]
	s_delay_alu instid0(VALU_DEP_3) | instskip(SKIP_1) | instid1(VALU_DEP_3)
	v_div_fmas_f64 v[13:14], v[31:32], v[45:46], v[29:30]
	v_cmp_eq_f64_e32 vcc_lo, 0x7ff00000, v[5:6]
	v_add_f64 v[9:10], v[39:40], v[9:10]
	s_delay_alu instid0(VALU_DEP_3) | instskip(NEXT) | instid1(VALU_DEP_2)
	v_div_fixup_f64 v[13:14], v[13:14], v[53:54], v[47:48]
	v_add_f64 v[29:30], v[49:50], v[9:10]
	s_delay_alu instid0(VALU_DEP_2) | instskip(NEXT) | instid1(VALU_DEP_2)
	v_mul_f64 v[31:32], v[13:14], v[13:14]
	v_mul_f64 v[39:40], v[29:30], v[29:30]
	s_delay_alu instid0(VALU_DEP_2) | instskip(NEXT) | instid1(VALU_DEP_2)
	v_fma_f64 v[41:42], v[31:32], s[44:45], s[42:43]
	v_fma_f64 v[43:44], v[39:40], s[26:27], s[24:25]
	v_mul_f64 v[45:46], v[29:30], v[39:40]
	s_delay_alu instid0(VALU_DEP_3) | instskip(NEXT) | instid1(VALU_DEP_3)
	v_fma_f64 v[41:42], v[31:32], v[41:42], s[46:47]
	v_fma_f64 v[43:44], v[39:40], v[43:44], s[28:29]
	s_delay_alu instid0(VALU_DEP_2) | instskip(NEXT) | instid1(VALU_DEP_2)
	v_fma_f64 v[41:42], v[31:32], v[41:42], s[48:49]
	v_fma_f64 v[43:44], v[39:40], v[43:44], s[30:31]
	s_delay_alu instid0(VALU_DEP_2) | instskip(NEXT) | instid1(VALU_DEP_2)
	;; [unrolled: 3-line block ×4, first 2 shown]
	v_fma_f64 v[41:42], v[31:32], v[41:42], s[54:55]
	v_fma_f64 v[39:40], v[39:40], v[43:44], s[90:91]
	v_ldexp_f64 v[43:44], v[29:30], 1
	v_add_f64 v[29:30], v[29:30], -v[49:50]
	s_delay_alu instid0(VALU_DEP_4) | instskip(NEXT) | instid1(VALU_DEP_4)
	v_fma_f64 v[41:42], v[31:32], v[41:42], s[56:57]
	v_mul_f64 v[39:40], v[45:46], v[39:40]
	v_cvt_f64_i32_e32 v[45:46], v7
	s_delay_alu instid0(VALU_DEP_4) | instskip(NEXT) | instid1(VALU_DEP_4)
	v_add_f64 v[9:10], v[9:10], -v[29:30]
	v_fma_f64 v[41:42], v[31:32], v[41:42], s[58:59]
	v_ashrrev_i32_e32 v7, 31, v2
	s_delay_alu instid0(VALU_DEP_1) | instskip(SKIP_4) | instid1(VALU_DEP_4)
	v_and_b32_e32 v2, 0x400921fb, v7
	v_add_f64 v[47:48], v[43:44], v[39:40]
	v_mul_f64 v[49:50], v[45:46], s[38:39]
	v_ldexp_f64 v[9:10], v[9:10], 1
	v_fma_f64 v[41:42], v[31:32], v[41:42], s[60:61]
	v_add_f64 v[29:30], v[47:48], -v[43:44]
	s_delay_alu instid0(VALU_DEP_4) | instskip(NEXT) | instid1(VALU_DEP_3)
	v_fma_f64 v[43:44], v[45:46], s[38:39], -v[49:50]
	v_fma_f64 v[41:42], v[31:32], v[41:42], s[62:63]
	s_delay_alu instid0(VALU_DEP_3) | instskip(NEXT) | instid1(VALU_DEP_2)
	v_add_f64 v[29:30], v[39:40], -v[29:30]
	v_fma_f64 v[39:40], v[31:32], v[41:42], s[64:65]
	s_delay_alu instid0(VALU_DEP_4) | instskip(NEXT) | instid1(VALU_DEP_3)
	v_fma_f64 v[41:42], v[45:46], s[40:41], v[43:44]
	v_add_f64 v[9:10], v[9:10], v[29:30]
	s_delay_alu instid0(VALU_DEP_3) | instskip(NEXT) | instid1(VALU_DEP_3)
	v_fma_f64 v[29:30], v[31:32], v[39:40], s[66:67]
	v_add_f64 v[39:40], v[49:50], v[41:42]
	s_delay_alu instid0(VALU_DEP_3) | instskip(NEXT) | instid1(VALU_DEP_3)
	v_add_f64 v[43:44], v[47:48], v[9:10]
	v_fma_f64 v[29:30], v[31:32], v[29:30], s[68:69]
	s_delay_alu instid0(VALU_DEP_3) | instskip(NEXT) | instid1(VALU_DEP_3)
	v_add_f64 v[49:50], v[39:40], -v[49:50]
	v_add_f64 v[45:46], v[39:40], v[43:44]
	v_add_f64 v[47:48], v[43:44], -v[47:48]
	s_delay_alu instid0(VALU_DEP_4) | instskip(NEXT) | instid1(VALU_DEP_4)
	v_fma_f64 v[29:30], v[31:32], v[29:30], s[70:71]
	v_add_f64 v[41:42], v[41:42], -v[49:50]
	s_delay_alu instid0(VALU_DEP_4) | instskip(NEXT) | instid1(VALU_DEP_4)
	v_add_f64 v[51:52], v[45:46], -v[39:40]
	v_add_f64 v[9:10], v[9:10], -v[47:48]
	s_delay_alu instid0(VALU_DEP_4) | instskip(NEXT) | instid1(VALU_DEP_3)
	v_fma_f64 v[29:30], v[31:32], v[29:30], s[72:73]
	v_add_f64 v[53:54], v[45:46], -v[51:52]
	v_add_f64 v[43:44], v[43:44], -v[51:52]
	s_delay_alu instid0(VALU_DEP_4) | instskip(NEXT) | instid1(VALU_DEP_4)
	v_add_f64 v[47:48], v[41:42], v[9:10]
	v_fma_f64 v[29:30], v[31:32], v[29:30], s[74:75]
	s_delay_alu instid0(VALU_DEP_4) | instskip(NEXT) | instid1(VALU_DEP_2)
	v_add_f64 v[39:40], v[39:40], -v[53:54]
	v_fma_f64 v[29:30], v[31:32], v[29:30], s[76:77]
	s_delay_alu instid0(VALU_DEP_2) | instskip(SKIP_1) | instid1(VALU_DEP_3)
	v_add_f64 v[39:40], v[43:44], v[39:40]
	v_add_f64 v[43:44], v[47:48], -v[41:42]
	v_fma_f64 v[29:30], v[31:32], v[29:30], s[78:79]
	s_delay_alu instid0(VALU_DEP_3) | instskip(NEXT) | instid1(VALU_DEP_3)
	v_add_f64 v[39:40], v[47:48], v[39:40]
	v_add_f64 v[47:48], v[47:48], -v[43:44]
	v_add_f64 v[9:10], v[9:10], -v[43:44]
	s_delay_alu instid0(VALU_DEP_4) | instskip(NEXT) | instid1(VALU_DEP_4)
	v_fma_f64 v[29:30], v[31:32], v[29:30], s[80:81]
	v_add_f64 v[49:50], v[45:46], v[39:40]
	s_delay_alu instid0(VALU_DEP_2) | instskip(SKIP_1) | instid1(VALU_DEP_3)
	v_mul_f64 v[29:30], v[31:32], v[29:30]
	v_add_f64 v[31:32], v[41:42], -v[47:48]
	v_add_f64 v[41:42], v[49:50], -v[45:46]
	s_delay_alu instid0(VALU_DEP_3) | instskip(NEXT) | instid1(VALU_DEP_3)
	v_fma_f64 v[13:14], v[13:14], v[29:30], v[13:14]
	v_add_f64 v[9:10], v[9:10], v[31:32]
	s_delay_alu instid0(VALU_DEP_3) | instskip(NEXT) | instid1(VALU_DEP_3)
	v_add_f64 v[29:30], v[39:40], -v[41:42]
	v_add_f64 v[31:32], -v[13:14], s[82:83]
	s_delay_alu instid0(VALU_DEP_2) | instskip(NEXT) | instid1(VALU_DEP_2)
	v_add_f64 v[9:10], v[9:10], v[29:30]
	v_cndmask_b32_e64 v14, v14, v32, s2
	s_delay_alu instid0(VALU_DEP_3) | instskip(NEXT) | instid1(VALU_DEP_1)
	v_cndmask_b32_e64 v13, v13, v31, s2
	v_add_f64 v[29:30], -v[13:14], s[12:13]
	s_delay_alu instid0(VALU_DEP_4) | instskip(SKIP_1) | instid1(VALU_DEP_3)
	v_add_f64 v[9:10], v[49:50], v[9:10]
	v_and_b32_e32 v15, 0x54442d18, v7
	v_cndmask_b32_e64 v13, v13, v29, s3
	s_delay_alu instid0(VALU_DEP_4) | instskip(SKIP_3) | instid1(VALU_DEP_2)
	v_cndmask_b32_e64 v7, v14, v30, s3
	v_cmp_nge_f64_e64 s3, -1.0, v[5:6]
	v_dual_cndmask_b32 v10, v10, v6 :: v_dual_cndmask_b32 v9, v9, v5
	v_cmp_eq_f64_e32 vcc_lo, 0, v[3:4]
	v_mul_f64 v[9:10], v[9:10], 0.5
	v_dual_cndmask_b32 v13, v13, v15 :: v_dual_cndmask_b32 v2, v7, v2
	v_cmp_ngt_f64_e32 vcc_lo, -1.0, v[5:6]
	s_delay_alu instid0(VALU_DEP_3) | instskip(SKIP_4) | instid1(VALU_DEP_2)
	v_cndmask_b32_e64 v29, 0, v9, s3
	v_cmp_neq_f64_e64 s3, -1.0, v[5:6]
	v_cndmask_b32_e32 v7, 0x7ff80000, v10, vcc_lo
	s_and_b32 vcc_lo, s6, s5
                                        ; implicit-def: $vgpr9_vgpr10
	v_dual_cndmask_b32 v32, v2, v1 :: v_dual_cndmask_b32 v31, v13, v11
	v_cndmask_b32_e64 v30, 0xfff00000, v7, s3
                                        ; implicit-def: $vgpr13_vgpr14
.LBB168_113:                            ;   in Loop: Header=BB168_5 Depth=1
	s_and_not1_saveexec_b32 s102, s4
	s_cbranch_execz .LBB168_121
; %bb.114:                              ;   in Loop: Header=BB168_5 Depth=1
	v_mul_f64 v[5:6], v[9:10], v[9:10]
                                        ; implicit-def: $vgpr29_vgpr30
	s_mov_b32 s3, exec_lo
	s_delay_alu instid0(VALU_DEP_1) | instskip(NEXT) | instid1(VALU_DEP_1)
	v_fma_f64 v[5:6], v[13:14], v[13:14], v[5:6]
	v_cmpx_ge_f64_e32 s[84:85], v[5:6]
	s_xor_b32 s5, exec_lo, s3
	s_cbranch_execz .LBB168_116
; %bb.115:                              ;   in Loop: Header=BB168_5 Depth=1
	v_frexp_mant_f64_e32 v[9:10], v[5:6]
	v_max_f64 v[41:42], |v[1:2]|, |v[1:2]|
	s_mov_b32 s91, s23
	v_frexp_exp_i32_f64_e32 v7, v[5:6]
	s_mov_b32 s12, s82
	v_cmp_class_f64_e64 s6, v[3:4], 0x204
	v_cmp_class_f64_e64 s7, v[1:2], 0x204
	v_cmp_neq_f64_e64 s4, 0, v[5:6]
	v_cmp_gt_f64_e64 s3, s[22:23], v[9:10]
	s_delay_alu instid0(VALU_DEP_1) | instskip(NEXT) | instid1(VALU_DEP_1)
	v_cndmask_b32_e64 v34, 0x3ff00000, 2.0, s3
	v_mul_f64 v[9:10], v[9:10], v[33:34]
	s_delay_alu instid0(VALU_DEP_1) | instskip(SKIP_1) | instid1(VALU_DEP_2)
	v_add_f64 v[13:14], v[9:10], 1.0
	v_add_f64 v[39:40], v[9:10], -1.0
	v_rcp_f64_e32 v[29:30], v[13:14]
	s_waitcnt_depctr 0xfff
	v_fma_f64 v[31:32], -v[13:14], v[29:30], 1.0
	s_delay_alu instid0(VALU_DEP_1) | instskip(NEXT) | instid1(VALU_DEP_1)
	v_fma_f64 v[29:30], v[31:32], v[29:30], v[29:30]
	v_fma_f64 v[31:32], -v[13:14], v[29:30], 1.0
	s_delay_alu instid0(VALU_DEP_1) | instskip(SKIP_1) | instid1(VALU_DEP_2)
	v_fma_f64 v[29:30], v[31:32], v[29:30], v[29:30]
	v_max_f64 v[31:32], |v[3:4]|, |v[3:4]|
	v_mul_f64 v[43:44], v[39:40], v[29:30]
	s_delay_alu instid0(VALU_DEP_2) | instskip(SKIP_2) | instid1(VALU_DEP_4)
	v_max_f64 v[45:46], v[41:42], v[31:32]
	v_min_f64 v[31:32], v[41:42], v[31:32]
	v_add_f64 v[41:42], v[13:14], -1.0
	v_mul_f64 v[47:48], v[13:14], v[43:44]
	s_delay_alu instid0(VALU_DEP_3) | instskip(NEXT) | instid1(VALU_DEP_3)
	v_div_scale_f64 v[49:50], null, v[45:46], v[45:46], v[31:32]
	v_add_f64 v[9:10], v[9:10], -v[41:42]
	v_div_scale_f64 v[57:58], vcc_lo, v[31:32], v[45:46], v[31:32]
	s_delay_alu instid0(VALU_DEP_4) | instskip(NEXT) | instid1(VALU_DEP_4)
	v_fma_f64 v[13:14], v[43:44], v[13:14], -v[47:48]
	v_rcp_f64_e32 v[41:42], v[49:50]
	s_delay_alu instid0(VALU_DEP_1) | instskip(SKIP_3) | instid1(VALU_DEP_2)
	v_fma_f64 v[9:10], v[43:44], v[9:10], v[13:14]
	s_waitcnt_depctr 0xfff
	v_fma_f64 v[13:14], -v[49:50], v[41:42], 1.0
	v_add_f64 v[51:52], v[47:48], v[9:10]
	v_fma_f64 v[13:14], v[41:42], v[13:14], v[41:42]
	s_delay_alu instid0(VALU_DEP_2) | instskip(SKIP_1) | instid1(VALU_DEP_3)
	v_add_f64 v[41:42], v[39:40], -v[51:52]
	v_add_f64 v[47:48], v[51:52], -v[47:48]
	v_fma_f64 v[53:54], -v[49:50], v[13:14], 1.0
	s_delay_alu instid0(VALU_DEP_3) | instskip(NEXT) | instid1(VALU_DEP_3)
	v_add_f64 v[39:40], v[39:40], -v[41:42]
	v_add_f64 v[9:10], v[47:48], -v[9:10]
	s_delay_alu instid0(VALU_DEP_3) | instskip(NEXT) | instid1(VALU_DEP_3)
	v_fma_f64 v[13:14], v[13:14], v[53:54], v[13:14]
	v_add_f64 v[39:40], v[39:40], -v[51:52]
	s_delay_alu instid0(VALU_DEP_2) | instskip(NEXT) | instid1(VALU_DEP_2)
	v_mul_f64 v[47:48], v[57:58], v[13:14]
	v_add_f64 v[9:10], v[9:10], v[39:40]
	s_delay_alu instid0(VALU_DEP_2) | instskip(NEXT) | instid1(VALU_DEP_2)
	v_fma_f64 v[39:40], -v[49:50], v[47:48], v[57:58]
	v_add_f64 v[9:10], v[41:42], v[9:10]
	s_delay_alu instid0(VALU_DEP_2)
	v_div_fmas_f64 v[13:14], v[39:40], v[13:14], v[47:48]
	v_subrev_co_ci_u32_e64 v7, vcc_lo, 0, v7, s3
	v_cmp_eq_f64_e64 s3, 0, v[3:4]
	v_cmp_gt_i32_e32 vcc_lo, 0, v2
	v_cndmask_b32_e32 v5, 0x3fe921fb, v56, vcc_lo
	v_cndmask_b32_e32 v11, 0x54442d18, v55, vcc_lo
	s_delay_alu instid0(VALU_DEP_2) | instskip(SKIP_2) | instid1(VALU_DEP_2)
	v_bfi_b32 v5, 0x7fffffff, v5, v4
	v_mul_f64 v[9:10], v[29:30], v[9:10]
	v_div_fixup_f64 v[13:14], v[13:14], v[45:46], v[31:32]
	v_add_f64 v[29:30], v[43:44], v[9:10]
	s_delay_alu instid0(VALU_DEP_2) | instskip(NEXT) | instid1(VALU_DEP_2)
	v_mul_f64 v[31:32], v[13:14], v[13:14]
	v_mul_f64 v[39:40], v[29:30], v[29:30]
	s_delay_alu instid0(VALU_DEP_2) | instskip(NEXT) | instid1(VALU_DEP_2)
	v_fma_f64 v[41:42], v[31:32], s[44:45], s[42:43]
	v_fma_f64 v[45:46], v[39:40], s[26:27], s[24:25]
	v_mul_f64 v[47:48], v[29:30], v[39:40]
	s_delay_alu instid0(VALU_DEP_3) | instskip(NEXT) | instid1(VALU_DEP_3)
	v_fma_f64 v[41:42], v[31:32], v[41:42], s[46:47]
	v_fma_f64 v[45:46], v[39:40], v[45:46], s[28:29]
	s_delay_alu instid0(VALU_DEP_2) | instskip(NEXT) | instid1(VALU_DEP_2)
	v_fma_f64 v[41:42], v[31:32], v[41:42], s[48:49]
	v_fma_f64 v[45:46], v[39:40], v[45:46], s[30:31]
	s_delay_alu instid0(VALU_DEP_2) | instskip(NEXT) | instid1(VALU_DEP_2)
	;; [unrolled: 3-line block ×4, first 2 shown]
	v_fma_f64 v[41:42], v[31:32], v[41:42], s[54:55]
	v_fma_f64 v[39:40], v[39:40], v[45:46], s[90:91]
	v_ldexp_f64 v[45:46], v[29:30], 1
	v_add_f64 v[29:30], v[29:30], -v[43:44]
	s_delay_alu instid0(VALU_DEP_4) | instskip(NEXT) | instid1(VALU_DEP_4)
	v_fma_f64 v[41:42], v[31:32], v[41:42], s[56:57]
	v_mul_f64 v[39:40], v[47:48], v[39:40]
	v_cvt_f64_i32_e32 v[47:48], v7
	s_delay_alu instid0(VALU_DEP_4) | instskip(SKIP_2) | instid1(VALU_DEP_2)
	v_add_f64 v[9:10], v[9:10], -v[29:30]
	v_ashrrev_i32_e32 v7, 31, v2
	v_fma_f64 v[41:42], v[31:32], v[41:42], s[58:59]
	v_and_b32_e32 v15, 0x54442d18, v7
	v_and_b32_e32 v6, 0x400921fb, v7
	v_add_f64 v[43:44], v[45:46], v[39:40]
	v_mul_f64 v[49:50], v[47:48], s[38:39]
	v_ldexp_f64 v[9:10], v[9:10], 1
	v_fma_f64 v[41:42], v[31:32], v[41:42], s[60:61]
	s_delay_alu instid0(VALU_DEP_4) | instskip(NEXT) | instid1(VALU_DEP_4)
	v_add_f64 v[29:30], v[43:44], -v[45:46]
	v_fma_f64 v[45:46], v[47:48], s[38:39], -v[49:50]
	s_delay_alu instid0(VALU_DEP_3) | instskip(NEXT) | instid1(VALU_DEP_3)
	v_fma_f64 v[41:42], v[31:32], v[41:42], s[62:63]
	v_add_f64 v[29:30], v[39:40], -v[29:30]
	s_delay_alu instid0(VALU_DEP_2) | instskip(NEXT) | instid1(VALU_DEP_4)
	v_fma_f64 v[39:40], v[31:32], v[41:42], s[64:65]
	v_fma_f64 v[41:42], v[47:48], s[40:41], v[45:46]
	s_delay_alu instid0(VALU_DEP_3) | instskip(NEXT) | instid1(VALU_DEP_3)
	v_add_f64 v[9:10], v[9:10], v[29:30]
	v_fma_f64 v[29:30], v[31:32], v[39:40], s[66:67]
	s_delay_alu instid0(VALU_DEP_3) | instskip(NEXT) | instid1(VALU_DEP_3)
	v_add_f64 v[39:40], v[49:50], v[41:42]
	v_add_f64 v[45:46], v[43:44], v[9:10]
	s_delay_alu instid0(VALU_DEP_3) | instskip(NEXT) | instid1(VALU_DEP_3)
	v_fma_f64 v[29:30], v[31:32], v[29:30], s[68:69]
	v_add_f64 v[49:50], v[39:40], -v[49:50]
	s_delay_alu instid0(VALU_DEP_3) | instskip(SKIP_1) | instid1(VALU_DEP_4)
	v_add_f64 v[47:48], v[39:40], v[45:46]
	v_add_f64 v[43:44], v[45:46], -v[43:44]
	v_fma_f64 v[29:30], v[31:32], v[29:30], s[70:71]
	s_delay_alu instid0(VALU_DEP_4) | instskip(NEXT) | instid1(VALU_DEP_4)
	v_add_f64 v[41:42], v[41:42], -v[49:50]
	v_add_f64 v[51:52], v[47:48], -v[39:40]
	s_delay_alu instid0(VALU_DEP_4) | instskip(NEXT) | instid1(VALU_DEP_4)
	v_add_f64 v[9:10], v[9:10], -v[43:44]
	v_fma_f64 v[29:30], v[31:32], v[29:30], s[72:73]
	s_delay_alu instid0(VALU_DEP_3) | instskip(SKIP_1) | instid1(VALU_DEP_4)
	v_add_f64 v[53:54], v[47:48], -v[51:52]
	v_add_f64 v[43:44], v[45:46], -v[51:52]
	v_add_f64 v[45:46], v[41:42], v[9:10]
	s_delay_alu instid0(VALU_DEP_4) | instskip(NEXT) | instid1(VALU_DEP_4)
	v_fma_f64 v[29:30], v[31:32], v[29:30], s[74:75]
	v_add_f64 v[39:40], v[39:40], -v[53:54]
	s_delay_alu instid0(VALU_DEP_2) | instskip(NEXT) | instid1(VALU_DEP_2)
	v_fma_f64 v[29:30], v[31:32], v[29:30], s[76:77]
	v_add_f64 v[39:40], v[43:44], v[39:40]
	v_add_f64 v[43:44], v[45:46], -v[41:42]
	s_delay_alu instid0(VALU_DEP_3) | instskip(NEXT) | instid1(VALU_DEP_3)
	v_fma_f64 v[29:30], v[31:32], v[29:30], s[78:79]
	v_add_f64 v[39:40], v[45:46], v[39:40]
	s_delay_alu instid0(VALU_DEP_3) | instskip(SKIP_1) | instid1(VALU_DEP_4)
	v_add_f64 v[45:46], v[45:46], -v[43:44]
	v_add_f64 v[9:10], v[9:10], -v[43:44]
	v_fma_f64 v[29:30], v[31:32], v[29:30], s[80:81]
	s_delay_alu instid0(VALU_DEP_4) | instskip(NEXT) | instid1(VALU_DEP_2)
	v_add_f64 v[49:50], v[47:48], v[39:40]
	v_mul_f64 v[29:30], v[31:32], v[29:30]
	v_add_f64 v[31:32], v[41:42], -v[45:46]
	s_delay_alu instid0(VALU_DEP_3) | instskip(NEXT) | instid1(VALU_DEP_3)
	v_add_f64 v[41:42], v[49:50], -v[47:48]
	v_fma_f64 v[13:14], v[13:14], v[29:30], v[13:14]
	s_delay_alu instid0(VALU_DEP_3) | instskip(NEXT) | instid1(VALU_DEP_3)
	v_add_f64 v[9:10], v[9:10], v[31:32]
	v_add_f64 v[29:30], v[39:40], -v[41:42]
	s_delay_alu instid0(VALU_DEP_3) | instskip(NEXT) | instid1(VALU_DEP_2)
	v_add_f64 v[31:32], -v[13:14], s[82:83]
	v_add_f64 v[9:10], v[9:10], v[29:30]
	s_delay_alu instid0(VALU_DEP_2) | instskip(NEXT) | instid1(VALU_DEP_3)
	v_cndmask_b32_e64 v14, v14, v32, s2
	v_cndmask_b32_e64 v13, v13, v31, s2
	s_delay_alu instid0(VALU_DEP_1) | instskip(NEXT) | instid1(VALU_DEP_4)
	v_add_f64 v[29:30], -v[13:14], s[12:13]
	v_add_f64 v[9:10], v[49:50], v[9:10]
	s_delay_alu instid0(VALU_DEP_2) | instskip(NEXT) | instid1(VALU_DEP_3)
	v_cndmask_b32_e32 v13, v13, v29, vcc_lo
	v_cndmask_b32_e32 v7, v14, v30, vcc_lo
	s_and_b32 vcc_lo, s7, s6
	s_delay_alu instid0(VALU_DEP_1) | instskip(NEXT) | instid1(VALU_DEP_1)
	v_cndmask_b32_e64 v6, v7, v6, s3
	v_cndmask_b32_e32 v32, v6, v5, vcc_lo
	v_mul_f64 v[1:2], v[9:10], 0.5
	v_cndmask_b32_e64 v9, v13, v15, s3
                                        ; implicit-def: $vgpr13_vgpr14
	s_delay_alu instid0(VALU_DEP_1) | instskip(NEXT) | instid1(VALU_DEP_3)
	v_cndmask_b32_e32 v31, v9, v11, vcc_lo
                                        ; implicit-def: $vgpr9_vgpr10
	v_cndmask_b32_e64 v30, 0xfff00000, v2, s4
	s_delay_alu instid0(VALU_DEP_4)
	v_cndmask_b32_e64 v29, 0, v1, s4
.LBB168_116:                            ;   in Loop: Header=BB168_5 Depth=1
	s_and_not1_saveexec_b32 s103, s5
	s_cbranch_execz .LBB168_120
; %bb.117:                              ;   in Loop: Header=BB168_5 Depth=1
	v_dual_mov_b32 v29, v33 :: v_dual_and_b32 v34, 0x7ffffff8, v14
	v_dual_mov_b32 v31, v33 :: v_dual_and_b32 v30, 0x7ffffff8, v10
	s_mov_b32 s91, 0
	s_delay_alu instid0(VALU_DEP_2) | instskip(SKIP_1) | instid1(VALU_DEP_3)
	v_add_f64 v[5:6], v[13:14], -v[33:34]
	v_mov_b32_e32 v39, v33
	v_add_f64 v[9:10], v[9:10], -v[29:30]
	v_add_f64 v[41:42], v[33:34], v[33:34]
	v_add_f64 v[49:50], v[29:30], v[29:30]
	v_mul_f64 v[29:30], v[29:30], v[29:30]
	v_and_b32_e32 v32, -8, v6
	v_and_b32_e32 v40, -8, v10
	s_delay_alu instid0(VALU_DEP_2) | instskip(SKIP_1) | instid1(VALU_DEP_3)
	v_add_f64 v[51:52], v[5:6], -v[31:32]
	v_add_f64 v[57:58], v[31:32], v[31:32]
	v_add_f64 v[53:54], v[9:10], -v[39:40]
	v_add_f64 v[59:60], v[39:40], v[39:40]
	v_mul_f64 v[5:6], v[33:34], v[33:34]
	v_mul_f64 v[47:48], v[41:42], v[31:32]
	;; [unrolled: 1-line block ×11, first 2 shown]
.LBB168_118:                            ;   Parent Loop BB168_5 Depth=1
                                        ; =>  This Inner Loop Header: Depth=2
	v_cmp_nlt_f64_e32 vcc_lo, v[5:6], v[29:30]
	v_dual_cndmask_b32 v54, v6, v30 :: v_dual_cndmask_b32 v53, v5, v29
	v_dual_cndmask_b32 v6, v30, v6 :: v_dual_cndmask_b32 v5, v29, v5
	s_delay_alu instid0(VALU_DEP_2) | instskip(NEXT) | instid1(VALU_DEP_1)
	v_cmp_nlt_f64_e64 s3, v[53:54], v[47:48]
	v_cndmask_b32_e64 v58, v54, v48, s3
	v_cndmask_b32_e64 v57, v53, v47, s3
	;; [unrolled: 1-line block ×4, first 2 shown]
	s_and_b32 s3, vcc_lo, s3
	s_delay_alu instid0(VALU_DEP_3) | instskip(NEXT) | instid1(VALU_DEP_1)
	v_cmp_nlt_f64_e64 s4, v[57:58], v[13:14]
	v_cndmask_b32_e64 v60, v58, v14, s4
	v_cndmask_b32_e64 v59, v57, v13, s4
	;; [unrolled: 1-line block ×4, first 2 shown]
	s_delay_alu instid0(VALU_DEP_3) | instskip(NEXT) | instid1(VALU_DEP_1)
	v_cmp_nlt_f64_e64 s5, v[59:60], v[45:46]
	v_cndmask_b32_e64 v62, v60, v46, s5
	v_cndmask_b32_e64 v61, v59, v45, s5
	;; [unrolled: 1-line block ×4, first 2 shown]
	s_and_b32 s4, s4, s5
	s_delay_alu instid0(VALU_DEP_3) | instskip(NEXT) | instid1(VALU_DEP_1)
	v_cmp_nlt_f64_e64 s6, v[61:62], v[9:10]
	v_cndmask_b32_e64 v64, v62, v10, s6
	v_cndmask_b32_e64 v63, v61, v9, s6
	;; [unrolled: 1-line block ×4, first 2 shown]
	s_delay_alu instid0(VALU_DEP_3) | instskip(NEXT) | instid1(VALU_DEP_1)
	v_cmp_nlt_f64_e64 s7, v[63:64], v[43:44]
	v_cndmask_b32_e64 v66, v64, v44, s7
	v_cndmask_b32_e64 v65, v63, v43, s7
	s_and_b32 s5, s6, s7
	v_cndmask_b32_e64 v10, v44, v64, s7
	v_cndmask_b32_e64 v9, v43, v63, s7
	s_delay_alu instid0(VALU_DEP_3) | instskip(NEXT) | instid1(VALU_DEP_1)
	v_cmp_nlt_f64_e64 s8, v[65:66], v[41:42]
	v_cndmask_b32_e64 v68, v66, v42, s8
	v_cndmask_b32_e64 v67, v65, v41, s8
	s_and_b32 s5, s5, s8
	v_cndmask_b32_e64 v44, v42, v66, s8
	v_cndmask_b32_e64 v43, v41, v65, s8
	;; [unrolled: 7-line block ×5, first 2 shown]
	s_delay_alu instid0(VALU_DEP_3) | instskip(NEXT) | instid1(VALU_DEP_1)
	v_cmp_nlt_f64_e64 s12, v[73:74], v[51:52]
	v_cndmask_b32_e64 v54, v74, v52, s12
	v_cndmask_b32_e64 v53, v73, v51, s12
	s_and_b32 s5, s5, s12
	v_cndmask_b32_e64 v50, v52, v74, s12
	s_and_b32 s4, s5, s4
	;; [unrolled: 2-line block ×3, first 2 shown]
	v_dual_mov_b32 v51, v53 :: v_dual_mov_b32 v52, v54
	s_and_b32 s3, exec_lo, s3
	s_delay_alu instid0(SALU_CYCLE_1) | instskip(NEXT) | instid1(SALU_CYCLE_1)
	s_or_b32 s91, s3, s91
	s_and_not1_b32 exec_lo, exec_lo, s91
	s_cbranch_execnz .LBB168_118
; %bb.119:                              ;   in Loop: Header=BB168_5 Depth=1
	s_or_b32 exec_lo, exec_lo, s91
	v_add_f64 v[5:6], v[5:6], -1.0
	s_mov_b32 s91, s23
	s_mov_b32 s12, s82
	v_cmp_gt_i32_e64 s3, 0, v2
	v_cmp_class_f64_e64 s5, v[1:2], 0x204
	v_cmp_class_f64_e64 s4, v[3:4], 0x204
	s_delay_alu instid0(VALU_DEP_4) | instskip(NEXT) | instid1(VALU_DEP_1)
	v_add_f64 v[5:6], v[5:6], v[29:30]
	v_add_f64 v[5:6], v[5:6], v[47:48]
	s_delay_alu instid0(VALU_DEP_1) | instskip(NEXT) | instid1(VALU_DEP_1)
	v_add_f64 v[5:6], v[5:6], v[13:14]
	v_add_f64 v[5:6], v[5:6], v[45:46]
	s_delay_alu instid0(VALU_DEP_1) | instskip(NEXT) | instid1(VALU_DEP_1)
	;; [unrolled: 3-line block ×5, first 2 shown]
	v_add_f64 v[5:6], v[53:54], v[5:6]
	v_add_f64 v[9:10], v[5:6], 1.0
	s_delay_alu instid0(VALU_DEP_1) | instskip(SKIP_2) | instid1(VALU_DEP_3)
	v_frexp_mant_f64_e32 v[13:14], v[9:10]
	v_frexp_exp_i32_f64_e32 v7, v[9:10]
	v_add_f64 v[29:30], v[9:10], -1.0
	v_cmp_gt_f64_e32 vcc_lo, s[22:23], v[13:14]
	s_delay_alu instid0(VALU_DEP_2) | instskip(SKIP_2) | instid1(VALU_DEP_3)
	v_add_f64 v[13:14], v[29:30], -v[9:10]
	v_add_f64 v[29:30], v[5:6], -v[29:30]
	v_subrev_co_ci_u32_e32 v7, vcc_lo, 0, v7, vcc_lo
	v_add_f64 v[13:14], v[13:14], 1.0
	s_delay_alu instid0(VALU_DEP_2) | instskip(NEXT) | instid1(VALU_DEP_1)
	v_sub_nc_u32_e32 v11, 0, v7
	v_ldexp_f64 v[9:10], v[9:10], v11
	s_delay_alu instid0(VALU_DEP_3) | instskip(NEXT) | instid1(VALU_DEP_2)
	v_add_f64 v[13:14], v[29:30], v[13:14]
	v_add_f64 v[31:32], v[9:10], 1.0
	v_add_f64 v[43:44], v[9:10], -1.0
	s_delay_alu instid0(VALU_DEP_3) | instskip(SKIP_1) | instid1(VALU_DEP_4)
	v_ldexp_f64 v[13:14], v[13:14], v11
	v_cndmask_b32_e64 v11, 0x54442d18, v55, s3
	v_add_f64 v[29:30], v[31:32], -1.0
	s_delay_alu instid0(VALU_DEP_4) | instskip(NEXT) | instid1(VALU_DEP_2)
	v_add_f64 v[45:46], v[43:44], 1.0
	v_add_f64 v[29:30], v[9:10], -v[29:30]
	s_delay_alu instid0(VALU_DEP_2) | instskip(NEXT) | instid1(VALU_DEP_2)
	v_add_f64 v[9:10], v[9:10], -v[45:46]
	v_add_f64 v[29:30], v[13:14], v[29:30]
	s_delay_alu instid0(VALU_DEP_2) | instskip(NEXT) | instid1(VALU_DEP_2)
	v_add_f64 v[9:10], v[13:14], v[9:10]
	v_add_f64 v[39:40], v[31:32], v[29:30]
	s_delay_alu instid0(VALU_DEP_2) | instskip(NEXT) | instid1(VALU_DEP_2)
	v_add_f64 v[45:46], v[43:44], v[9:10]
	v_rcp_f64_e32 v[41:42], v[39:40]
	v_add_f64 v[31:32], v[39:40], -v[31:32]
	s_delay_alu instid0(VALU_DEP_2) | instskip(NEXT) | instid1(VALU_DEP_2)
	v_add_f64 v[43:44], v[45:46], -v[43:44]
	v_add_f64 v[29:30], v[29:30], -v[31:32]
	s_waitcnt_depctr 0xfff
	v_fma_f64 v[47:48], -v[39:40], v[41:42], 1.0
	v_add_f64 v[9:10], v[9:10], -v[43:44]
	s_delay_alu instid0(VALU_DEP_2) | instskip(NEXT) | instid1(VALU_DEP_1)
	v_fma_f64 v[41:42], v[47:48], v[41:42], v[41:42]
	v_fma_f64 v[13:14], -v[39:40], v[41:42], 1.0
	s_delay_alu instid0(VALU_DEP_1) | instskip(NEXT) | instid1(VALU_DEP_1)
	v_fma_f64 v[13:14], v[13:14], v[41:42], v[41:42]
	v_mul_f64 v[41:42], v[45:46], v[13:14]
	s_delay_alu instid0(VALU_DEP_1) | instskip(NEXT) | instid1(VALU_DEP_1)
	v_mul_f64 v[47:48], v[39:40], v[41:42]
	v_fma_f64 v[31:32], v[41:42], v[39:40], -v[47:48]
	s_delay_alu instid0(VALU_DEP_1) | instskip(NEXT) | instid1(VALU_DEP_1)
	v_fma_f64 v[31:32], v[41:42], v[29:30], v[31:32]
	v_add_f64 v[49:50], v[47:48], v[31:32]
	s_delay_alu instid0(VALU_DEP_1) | instskip(SKIP_2) | instid1(VALU_DEP_3)
	v_add_f64 v[51:52], v[45:46], -v[49:50]
	v_add_f64 v[43:44], v[49:50], -v[47:48]
	v_max_f64 v[47:48], |v[3:4]|, |v[3:4]|
	v_add_f64 v[45:46], v[45:46], -v[51:52]
	s_delay_alu instid0(VALU_DEP_3) | instskip(NEXT) | instid1(VALU_DEP_2)
	v_add_f64 v[31:32], v[43:44], -v[31:32]
	v_add_f64 v[45:46], v[45:46], -v[49:50]
	v_max_f64 v[49:50], |v[1:2]|, |v[1:2]|
	v_cndmask_b32_e64 v1, 0x3fe921fb, v56, s3
	s_delay_alu instid0(VALU_DEP_1) | instskip(NEXT) | instid1(VALU_DEP_4)
	v_bfi_b32 v1, 0x7fffffff, v1, v4
	v_add_f64 v[9:10], v[9:10], v[45:46]
	s_delay_alu instid0(VALU_DEP_4) | instskip(SKIP_1) | instid1(VALU_DEP_3)
	v_max_f64 v[53:54], v[49:50], v[47:48]
	v_min_f64 v[47:48], v[49:50], v[47:48]
	v_add_f64 v[9:10], v[31:32], v[9:10]
	s_delay_alu instid0(VALU_DEP_1) | instskip(NEXT) | instid1(VALU_DEP_1)
	v_add_f64 v[31:32], v[51:52], v[9:10]
	v_mul_f64 v[43:44], v[13:14], v[31:32]
	v_add_f64 v[51:52], v[51:52], -v[31:32]
	s_delay_alu instid0(VALU_DEP_2) | instskip(NEXT) | instid1(VALU_DEP_2)
	v_mul_f64 v[45:46], v[39:40], v[43:44]
	v_add_f64 v[9:10], v[9:10], v[51:52]
	s_delay_alu instid0(VALU_DEP_2) | instskip(NEXT) | instid1(VALU_DEP_1)
	v_fma_f64 v[39:40], v[43:44], v[39:40], -v[45:46]
	v_fma_f64 v[29:30], v[43:44], v[29:30], v[39:40]
	v_div_scale_f64 v[39:40], null, v[53:54], v[53:54], v[47:48]
	s_delay_alu instid0(VALU_DEP_2) | instskip(NEXT) | instid1(VALU_DEP_2)
	v_add_f64 v[49:50], v[45:46], v[29:30]
	v_rcp_f64_e32 v[57:58], v[39:40]
	s_delay_alu instid0(VALU_DEP_1)
	v_add_f64 v[59:60], v[31:32], -v[49:50]
	v_add_f64 v[45:46], v[49:50], -v[45:46]
	s_waitcnt_depctr 0xfff
	v_fma_f64 v[61:62], -v[39:40], v[57:58], 1.0
	v_add_f64 v[31:32], v[31:32], -v[59:60]
	v_add_f64 v[29:30], v[45:46], -v[29:30]
	s_delay_alu instid0(VALU_DEP_3) | instskip(NEXT) | instid1(VALU_DEP_3)
	v_fma_f64 v[57:58], v[57:58], v[61:62], v[57:58]
	v_add_f64 v[31:32], v[31:32], -v[49:50]
	s_delay_alu instid0(VALU_DEP_2) | instskip(NEXT) | instid1(VALU_DEP_2)
	v_fma_f64 v[49:50], -v[39:40], v[57:58], 1.0
	v_add_f64 v[9:10], v[9:10], v[31:32]
	v_div_scale_f64 v[31:32], vcc_lo, v[47:48], v[53:54], v[47:48]
	s_delay_alu instid0(VALU_DEP_3) | instskip(SKIP_1) | instid1(VALU_DEP_4)
	v_fma_f64 v[45:46], v[57:58], v[49:50], v[57:58]
	v_add_f64 v[49:50], v[41:42], v[43:44]
	v_add_f64 v[9:10], v[29:30], v[9:10]
	s_delay_alu instid0(VALU_DEP_3) | instskip(NEXT) | instid1(VALU_DEP_3)
	v_mul_f64 v[29:30], v[31:32], v[45:46]
	v_add_f64 v[41:42], v[49:50], -v[41:42]
	s_delay_alu instid0(VALU_DEP_3) | instskip(NEXT) | instid1(VALU_DEP_3)
	v_add_f64 v[9:10], v[59:60], v[9:10]
	v_fma_f64 v[31:32], -v[39:40], v[29:30], v[31:32]
	s_delay_alu instid0(VALU_DEP_3) | instskip(NEXT) | instid1(VALU_DEP_3)
	v_add_f64 v[39:40], v[43:44], -v[41:42]
	v_mul_f64 v[9:10], v[13:14], v[9:10]
	s_delay_alu instid0(VALU_DEP_3) | instskip(SKIP_1) | instid1(VALU_DEP_3)
	v_div_fmas_f64 v[13:14], v[31:32], v[45:46], v[29:30]
	v_cmp_eq_f64_e32 vcc_lo, 0x7ff00000, v[5:6]
	v_add_f64 v[9:10], v[39:40], v[9:10]
	s_delay_alu instid0(VALU_DEP_3) | instskip(NEXT) | instid1(VALU_DEP_2)
	v_div_fixup_f64 v[13:14], v[13:14], v[53:54], v[47:48]
	v_add_f64 v[29:30], v[49:50], v[9:10]
	s_delay_alu instid0(VALU_DEP_2) | instskip(NEXT) | instid1(VALU_DEP_2)
	v_mul_f64 v[31:32], v[13:14], v[13:14]
	v_mul_f64 v[39:40], v[29:30], v[29:30]
	s_delay_alu instid0(VALU_DEP_2) | instskip(NEXT) | instid1(VALU_DEP_2)
	v_fma_f64 v[41:42], v[31:32], s[44:45], s[42:43]
	v_fma_f64 v[43:44], v[39:40], s[26:27], s[24:25]
	v_mul_f64 v[45:46], v[29:30], v[39:40]
	s_delay_alu instid0(VALU_DEP_3) | instskip(NEXT) | instid1(VALU_DEP_3)
	v_fma_f64 v[41:42], v[31:32], v[41:42], s[46:47]
	v_fma_f64 v[43:44], v[39:40], v[43:44], s[28:29]
	s_delay_alu instid0(VALU_DEP_2) | instskip(NEXT) | instid1(VALU_DEP_2)
	v_fma_f64 v[41:42], v[31:32], v[41:42], s[48:49]
	v_fma_f64 v[43:44], v[39:40], v[43:44], s[30:31]
	s_delay_alu instid0(VALU_DEP_2) | instskip(NEXT) | instid1(VALU_DEP_2)
	;; [unrolled: 3-line block ×4, first 2 shown]
	v_fma_f64 v[41:42], v[31:32], v[41:42], s[54:55]
	v_fma_f64 v[39:40], v[39:40], v[43:44], s[90:91]
	v_ldexp_f64 v[43:44], v[29:30], 1
	v_add_f64 v[29:30], v[29:30], -v[49:50]
	s_delay_alu instid0(VALU_DEP_4) | instskip(NEXT) | instid1(VALU_DEP_4)
	v_fma_f64 v[41:42], v[31:32], v[41:42], s[56:57]
	v_mul_f64 v[39:40], v[45:46], v[39:40]
	v_cvt_f64_i32_e32 v[45:46], v7
	s_delay_alu instid0(VALU_DEP_4) | instskip(NEXT) | instid1(VALU_DEP_4)
	v_add_f64 v[9:10], v[9:10], -v[29:30]
	v_fma_f64 v[41:42], v[31:32], v[41:42], s[58:59]
	v_ashrrev_i32_e32 v7, 31, v2
	s_delay_alu instid0(VALU_DEP_1) | instskip(SKIP_4) | instid1(VALU_DEP_4)
	v_and_b32_e32 v2, 0x400921fb, v7
	v_add_f64 v[47:48], v[43:44], v[39:40]
	v_mul_f64 v[49:50], v[45:46], s[38:39]
	v_ldexp_f64 v[9:10], v[9:10], 1
	v_fma_f64 v[41:42], v[31:32], v[41:42], s[60:61]
	v_add_f64 v[29:30], v[47:48], -v[43:44]
	s_delay_alu instid0(VALU_DEP_4) | instskip(NEXT) | instid1(VALU_DEP_3)
	v_fma_f64 v[43:44], v[45:46], s[38:39], -v[49:50]
	v_fma_f64 v[41:42], v[31:32], v[41:42], s[62:63]
	s_delay_alu instid0(VALU_DEP_3) | instskip(NEXT) | instid1(VALU_DEP_2)
	v_add_f64 v[29:30], v[39:40], -v[29:30]
	v_fma_f64 v[39:40], v[31:32], v[41:42], s[64:65]
	s_delay_alu instid0(VALU_DEP_4) | instskip(NEXT) | instid1(VALU_DEP_3)
	v_fma_f64 v[41:42], v[45:46], s[40:41], v[43:44]
	v_add_f64 v[9:10], v[9:10], v[29:30]
	s_delay_alu instid0(VALU_DEP_3) | instskip(NEXT) | instid1(VALU_DEP_3)
	v_fma_f64 v[29:30], v[31:32], v[39:40], s[66:67]
	v_add_f64 v[39:40], v[49:50], v[41:42]
	s_delay_alu instid0(VALU_DEP_3) | instskip(NEXT) | instid1(VALU_DEP_3)
	v_add_f64 v[43:44], v[47:48], v[9:10]
	v_fma_f64 v[29:30], v[31:32], v[29:30], s[68:69]
	s_delay_alu instid0(VALU_DEP_3) | instskip(NEXT) | instid1(VALU_DEP_3)
	v_add_f64 v[49:50], v[39:40], -v[49:50]
	v_add_f64 v[45:46], v[39:40], v[43:44]
	v_add_f64 v[47:48], v[43:44], -v[47:48]
	s_delay_alu instid0(VALU_DEP_4) | instskip(NEXT) | instid1(VALU_DEP_4)
	v_fma_f64 v[29:30], v[31:32], v[29:30], s[70:71]
	v_add_f64 v[41:42], v[41:42], -v[49:50]
	s_delay_alu instid0(VALU_DEP_4) | instskip(NEXT) | instid1(VALU_DEP_4)
	v_add_f64 v[51:52], v[45:46], -v[39:40]
	v_add_f64 v[9:10], v[9:10], -v[47:48]
	s_delay_alu instid0(VALU_DEP_4) | instskip(NEXT) | instid1(VALU_DEP_3)
	v_fma_f64 v[29:30], v[31:32], v[29:30], s[72:73]
	v_add_f64 v[53:54], v[45:46], -v[51:52]
	v_add_f64 v[43:44], v[43:44], -v[51:52]
	s_delay_alu instid0(VALU_DEP_4) | instskip(NEXT) | instid1(VALU_DEP_4)
	v_add_f64 v[47:48], v[41:42], v[9:10]
	v_fma_f64 v[29:30], v[31:32], v[29:30], s[74:75]
	s_delay_alu instid0(VALU_DEP_4) | instskip(NEXT) | instid1(VALU_DEP_2)
	v_add_f64 v[39:40], v[39:40], -v[53:54]
	v_fma_f64 v[29:30], v[31:32], v[29:30], s[76:77]
	s_delay_alu instid0(VALU_DEP_2) | instskip(SKIP_1) | instid1(VALU_DEP_3)
	v_add_f64 v[39:40], v[43:44], v[39:40]
	v_add_f64 v[43:44], v[47:48], -v[41:42]
	v_fma_f64 v[29:30], v[31:32], v[29:30], s[78:79]
	s_delay_alu instid0(VALU_DEP_3) | instskip(NEXT) | instid1(VALU_DEP_3)
	v_add_f64 v[39:40], v[47:48], v[39:40]
	v_add_f64 v[47:48], v[47:48], -v[43:44]
	v_add_f64 v[9:10], v[9:10], -v[43:44]
	s_delay_alu instid0(VALU_DEP_4) | instskip(NEXT) | instid1(VALU_DEP_4)
	v_fma_f64 v[29:30], v[31:32], v[29:30], s[80:81]
	v_add_f64 v[49:50], v[45:46], v[39:40]
	s_delay_alu instid0(VALU_DEP_2) | instskip(SKIP_1) | instid1(VALU_DEP_3)
	v_mul_f64 v[29:30], v[31:32], v[29:30]
	v_add_f64 v[31:32], v[41:42], -v[47:48]
	v_add_f64 v[41:42], v[49:50], -v[45:46]
	s_delay_alu instid0(VALU_DEP_3) | instskip(NEXT) | instid1(VALU_DEP_3)
	v_fma_f64 v[13:14], v[13:14], v[29:30], v[13:14]
	v_add_f64 v[9:10], v[9:10], v[31:32]
	s_delay_alu instid0(VALU_DEP_3) | instskip(NEXT) | instid1(VALU_DEP_3)
	v_add_f64 v[29:30], v[39:40], -v[41:42]
	v_add_f64 v[31:32], -v[13:14], s[82:83]
	s_delay_alu instid0(VALU_DEP_2) | instskip(NEXT) | instid1(VALU_DEP_2)
	v_add_f64 v[9:10], v[9:10], v[29:30]
	v_cndmask_b32_e64 v14, v14, v32, s2
	s_delay_alu instid0(VALU_DEP_3) | instskip(NEXT) | instid1(VALU_DEP_1)
	v_cndmask_b32_e64 v13, v13, v31, s2
	v_add_f64 v[29:30], -v[13:14], s[12:13]
	s_delay_alu instid0(VALU_DEP_4) | instskip(SKIP_1) | instid1(VALU_DEP_3)
	v_add_f64 v[9:10], v[49:50], v[9:10]
	v_and_b32_e32 v15, 0x54442d18, v7
	v_cndmask_b32_e64 v13, v13, v29, s3
	s_delay_alu instid0(VALU_DEP_4) | instskip(SKIP_3) | instid1(VALU_DEP_2)
	v_cndmask_b32_e64 v7, v14, v30, s3
	v_cmp_nge_f64_e64 s3, -1.0, v[5:6]
	v_dual_cndmask_b32 v10, v10, v6 :: v_dual_cndmask_b32 v9, v9, v5
	v_cmp_eq_f64_e32 vcc_lo, 0, v[3:4]
	v_mul_f64 v[9:10], v[9:10], 0.5
	v_dual_cndmask_b32 v13, v13, v15 :: v_dual_cndmask_b32 v2, v7, v2
	v_cmp_ngt_f64_e32 vcc_lo, -1.0, v[5:6]
	s_delay_alu instid0(VALU_DEP_3) | instskip(SKIP_4) | instid1(VALU_DEP_2)
	v_cndmask_b32_e64 v29, 0, v9, s3
	v_cmp_neq_f64_e64 s3, -1.0, v[5:6]
	v_cndmask_b32_e32 v7, 0x7ff80000, v10, vcc_lo
	s_and_b32 vcc_lo, s5, s4
	v_dual_cndmask_b32 v32, v2, v1 :: v_dual_cndmask_b32 v31, v13, v11
	v_cndmask_b32_e64 v30, 0xfff00000, v7, s3
.LBB168_120:                            ;   in Loop: Header=BB168_5 Depth=1
	s_or_b32 exec_lo, exec_lo, s103
.LBB168_121:                            ;   in Loop: Header=BB168_5 Depth=1
	s_delay_alu instid0(SALU_CYCLE_1)
	s_or_b32 exec_lo, exec_lo, s102
.LBB168_122:                            ;   in Loop: Header=BB168_5 Depth=1
	s_and_not1_saveexec_b32 s5, s101
	s_cbranch_execz .LBB168_124
; %bb.123:                              ;   in Loop: Header=BB168_5 Depth=1
	v_max_f64 v[5:6], |v[3:4]|, |v[3:4]|
	v_max_f64 v[9:10], |v[1:2]|, |v[1:2]|
	v_cmp_class_f64_e64 s6, v[1:2], 0x204
	v_cmp_class_f64_e64 s7, v[3:4], 0x204
	s_mov_b32 s91, s23
	s_mov_b32 s12, s82
	v_cmp_eq_f64_e64 s4, 0, v[3:4]
	s_delay_alu instid0(VALU_DEP_4) | instskip(SKIP_1) | instid1(VALU_DEP_4)
	v_max_f64 v[13:14], v[9:10], v[5:6]
	v_min_f64 v[5:6], v[9:10], v[5:6]
	s_or_b32 s8, s6, s7
	s_delay_alu instid0(VALU_DEP_2) | instskip(NEXT) | instid1(VALU_DEP_1)
	v_frexp_exp_i32_f64_e32 v7, v[13:14]
	v_sub_nc_u32_e32 v11, 0, v7
	s_delay_alu instid0(VALU_DEP_1) | instskip(SKIP_1) | instid1(VALU_DEP_2)
	v_ldexp_f64 v[29:30], |v[3:4]|, v11
	v_ldexp_f64 v[31:32], |v[1:2]|, v11
	v_mul_f64 v[29:30], v[29:30], v[29:30]
	s_delay_alu instid0(VALU_DEP_1) | instskip(NEXT) | instid1(VALU_DEP_1)
	v_fma_f64 v[29:30], v[31:32], v[31:32], v[29:30]
	v_rsq_f64_e32 v[31:32], v[29:30]
	v_cmp_eq_f64_e32 vcc_lo, 0, v[29:30]
	s_waitcnt_depctr 0xfff
	v_mul_f64 v[39:40], v[29:30], v[31:32]
	v_mul_f64 v[31:32], v[31:32], 0.5
	s_delay_alu instid0(VALU_DEP_1) | instskip(NEXT) | instid1(VALU_DEP_1)
	v_fma_f64 v[41:42], -v[31:32], v[39:40], 0.5
	v_fma_f64 v[39:40], v[39:40], v[41:42], v[39:40]
	v_fma_f64 v[31:32], v[31:32], v[41:42], v[31:32]
	s_delay_alu instid0(VALU_DEP_2) | instskip(NEXT) | instid1(VALU_DEP_1)
	v_fma_f64 v[41:42], -v[39:40], v[39:40], v[29:30]
	v_fma_f64 v[31:32], v[41:42], v[31:32], v[39:40]
	s_delay_alu instid0(VALU_DEP_1) | instskip(SKIP_1) | instid1(VALU_DEP_2)
	v_dual_cndmask_b32 v30, v32, v30 :: v_dual_cndmask_b32 v29, v31, v29
	v_div_scale_f64 v[59:60], vcc_lo, v[5:6], v[13:14], v[5:6]
	v_ldexp_f64 v[29:30], v[29:30], v7
	s_delay_alu instid0(VALU_DEP_1) | instskip(NEXT) | instid1(VALU_DEP_2)
	v_cndmask_b32_e64 v40, v30, 0x7ff00000, s8
	v_cndmask_b32_e64 v39, v29, 0, s8
	s_delay_alu instid0(VALU_DEP_1) | instskip(SKIP_1) | instid1(VALU_DEP_2)
	v_frexp_mant_f64_e32 v[31:32], v[39:40]
	v_frexp_exp_i32_f64_e32 v1, v[39:40]
	v_cmp_gt_f64_e64 s3, s[22:23], v[31:32]
	s_delay_alu instid0(VALU_DEP_1) | instskip(NEXT) | instid1(VALU_DEP_1)
	v_cndmask_b32_e64 v34, 0x3ff00000, 2.0, s3
	v_mul_f64 v[31:32], v[31:32], v[33:34]
	s_delay_alu instid0(VALU_DEP_1) | instskip(SKIP_1) | instid1(VALU_DEP_2)
	v_add_f64 v[41:42], v[31:32], 1.0
	v_add_f64 v[47:48], v[31:32], -1.0
	v_rcp_f64_e32 v[43:44], v[41:42]
	v_add_f64 v[49:50], v[41:42], -1.0
	s_delay_alu instid0(VALU_DEP_1) | instskip(SKIP_2) | instid1(VALU_DEP_1)
	v_add_f64 v[31:32], v[31:32], -v[49:50]
	s_waitcnt_depctr 0xfff
	v_fma_f64 v[45:46], -v[41:42], v[43:44], 1.0
	v_fma_f64 v[43:44], v[45:46], v[43:44], v[43:44]
	s_delay_alu instid0(VALU_DEP_1) | instskip(NEXT) | instid1(VALU_DEP_1)
	v_fma_f64 v[45:46], -v[41:42], v[43:44], 1.0
	v_fma_f64 v[43:44], v[45:46], v[43:44], v[43:44]
	v_div_scale_f64 v[45:46], null, v[13:14], v[13:14], v[5:6]
	s_delay_alu instid0(VALU_DEP_2) | instskip(NEXT) | instid1(VALU_DEP_2)
	v_mul_f64 v[9:10], v[47:48], v[43:44]
	v_rcp_f64_e32 v[53:54], v[45:46]
	s_delay_alu instid0(VALU_DEP_1) | instskip(SKIP_3) | instid1(VALU_DEP_1)
	v_mul_f64 v[51:52], v[41:42], v[9:10]
	s_waitcnt_depctr 0xfff
	v_fma_f64 v[49:50], -v[45:46], v[53:54], 1.0
	v_fma_f64 v[41:42], v[9:10], v[41:42], -v[51:52]
	v_fma_f64 v[31:32], v[9:10], v[31:32], v[41:42]
	s_delay_alu instid0(VALU_DEP_3) | instskip(NEXT) | instid1(VALU_DEP_2)
	v_fma_f64 v[41:42], v[53:54], v[49:50], v[53:54]
	v_add_f64 v[49:50], v[51:52], v[31:32]
	s_delay_alu instid0(VALU_DEP_2) | instskip(NEXT) | instid1(VALU_DEP_2)
	v_fma_f64 v[53:54], -v[45:46], v[41:42], 1.0
	v_add_f64 v[57:58], v[47:48], -v[49:50]
	s_delay_alu instid0(VALU_DEP_2) | instskip(SKIP_1) | instid1(VALU_DEP_3)
	v_fma_f64 v[41:42], v[41:42], v[53:54], v[41:42]
	v_add_f64 v[51:52], v[49:50], -v[51:52]
	v_add_f64 v[47:48], v[47:48], -v[57:58]
	s_delay_alu instid0(VALU_DEP_3) | instskip(NEXT) | instid1(VALU_DEP_3)
	v_mul_f64 v[53:54], v[59:60], v[41:42]
	v_add_f64 v[31:32], v[51:52], -v[31:32]
	s_delay_alu instid0(VALU_DEP_3) | instskip(NEXT) | instid1(VALU_DEP_3)
	v_add_f64 v[47:48], v[47:48], -v[49:50]
	v_fma_f64 v[45:46], -v[45:46], v[53:54], v[59:60]
	s_delay_alu instid0(VALU_DEP_2) | instskip(NEXT) | instid1(VALU_DEP_2)
	v_add_f64 v[31:32], v[31:32], v[47:48]
	v_div_fmas_f64 v[41:42], v[45:46], v[41:42], v[53:54]
	v_subrev_co_ci_u32_e64 v1, vcc_lo, 0, v1, s3
	v_cmp_class_f64_e64 s3, v[29:30], 0x204
	v_cmp_gt_i32_e32 vcc_lo, 0, v2
	v_cndmask_b32_e32 v11, 0x3fe921fb, v56, vcc_lo
	s_delay_alu instid0(VALU_DEP_1) | instskip(SKIP_2) | instid1(VALU_DEP_2)
	v_bfi_b32 v11, 0x7fffffff, v11, v4
	v_add_f64 v[31:32], v[57:58], v[31:32]
	v_div_fixup_f64 v[5:6], v[41:42], v[13:14], v[5:6]
	v_mul_f64 v[13:14], v[43:44], v[31:32]
	s_delay_alu instid0(VALU_DEP_2) | instskip(NEXT) | instid1(VALU_DEP_2)
	v_mul_f64 v[31:32], v[5:6], v[5:6]
	v_add_f64 v[41:42], v[9:10], v[13:14]
	s_delay_alu instid0(VALU_DEP_2) | instskip(NEXT) | instid1(VALU_DEP_2)
	v_fma_f64 v[43:44], v[31:32], s[44:45], s[42:43]
	v_mul_f64 v[45:46], v[41:42], v[41:42]
	s_delay_alu instid0(VALU_DEP_2) | instskip(SKIP_1) | instid1(VALU_DEP_3)
	v_fma_f64 v[43:44], v[31:32], v[43:44], s[46:47]
	v_add_f64 v[9:10], v[41:42], -v[9:10]
	v_fma_f64 v[47:48], v[45:46], s[26:27], s[24:25]
	s_delay_alu instid0(VALU_DEP_3) | instskip(SKIP_1) | instid1(VALU_DEP_4)
	v_fma_f64 v[43:44], v[31:32], v[43:44], s[48:49]
	v_mul_f64 v[49:50], v[41:42], v[45:46]
	v_add_f64 v[9:10], v[13:14], -v[9:10]
	s_delay_alu instid0(VALU_DEP_4) | instskip(NEXT) | instid1(VALU_DEP_4)
	v_fma_f64 v[47:48], v[45:46], v[47:48], s[28:29]
	v_fma_f64 v[43:44], v[31:32], v[43:44], s[50:51]
	s_delay_alu instid0(VALU_DEP_3) | instskip(NEXT) | instid1(VALU_DEP_3)
	v_ldexp_f64 v[9:10], v[9:10], 1
	v_fma_f64 v[47:48], v[45:46], v[47:48], s[30:31]
	s_delay_alu instid0(VALU_DEP_3) | instskip(NEXT) | instid1(VALU_DEP_2)
	v_fma_f64 v[43:44], v[31:32], v[43:44], s[52:53]
	v_fma_f64 v[47:48], v[45:46], v[47:48], s[34:35]
	s_delay_alu instid0(VALU_DEP_2) | instskip(NEXT) | instid1(VALU_DEP_2)
	v_fma_f64 v[43:44], v[31:32], v[43:44], s[54:55]
	v_fma_f64 v[47:48], v[45:46], v[47:48], s[36:37]
	s_delay_alu instid0(VALU_DEP_2) | instskip(NEXT) | instid1(VALU_DEP_2)
	v_fma_f64 v[43:44], v[31:32], v[43:44], s[56:57]
	v_fma_f64 v[45:46], v[45:46], v[47:48], s[90:91]
	s_delay_alu instid0(VALU_DEP_2) | instskip(SKIP_1) | instid1(VALU_DEP_3)
	v_fma_f64 v[43:44], v[31:32], v[43:44], s[58:59]
	v_ldexp_f64 v[47:48], v[41:42], 1
	v_mul_f64 v[45:46], v[49:50], v[45:46]
	s_delay_alu instid0(VALU_DEP_3) | instskip(SKIP_2) | instid1(VALU_DEP_1)
	v_fma_f64 v[43:44], v[31:32], v[43:44], s[60:61]
	v_cvt_f64_i32_e32 v[49:50], v1
	v_ashrrev_i32_e32 v1, 31, v2
	v_dual_cndmask_b32 v2, 0x54442d18, v55 :: v_dual_and_b32 v7, 0x54442d18, v1
	v_and_b32_e32 v1, 0x400921fb, v1
	v_add_f64 v[41:42], v[47:48], v[45:46]
	v_fma_f64 v[43:44], v[31:32], v[43:44], s[62:63]
	v_mul_f64 v[51:52], v[49:50], s[38:39]
	s_delay_alu instid0(VALU_DEP_3) | instskip(NEXT) | instid1(VALU_DEP_3)
	v_add_f64 v[13:14], v[41:42], -v[47:48]
	v_fma_f64 v[43:44], v[31:32], v[43:44], s[64:65]
	s_delay_alu instid0(VALU_DEP_3) | instskip(NEXT) | instid1(VALU_DEP_3)
	v_fma_f64 v[47:48], v[49:50], s[38:39], -v[51:52]
	v_add_f64 v[13:14], v[45:46], -v[13:14]
	s_delay_alu instid0(VALU_DEP_3) | instskip(NEXT) | instid1(VALU_DEP_3)
	v_fma_f64 v[43:44], v[31:32], v[43:44], s[66:67]
	v_fma_f64 v[45:46], v[49:50], s[40:41], v[47:48]
	s_delay_alu instid0(VALU_DEP_3) | instskip(NEXT) | instid1(VALU_DEP_3)
	v_add_f64 v[9:10], v[9:10], v[13:14]
	v_fma_f64 v[13:14], v[31:32], v[43:44], s[68:69]
	s_delay_alu instid0(VALU_DEP_3) | instskip(NEXT) | instid1(VALU_DEP_3)
	v_add_f64 v[43:44], v[51:52], v[45:46]
	v_add_f64 v[47:48], v[41:42], v[9:10]
	s_delay_alu instid0(VALU_DEP_3) | instskip(NEXT) | instid1(VALU_DEP_3)
	v_fma_f64 v[13:14], v[31:32], v[13:14], s[70:71]
	v_add_f64 v[51:52], v[43:44], -v[51:52]
	s_delay_alu instid0(VALU_DEP_3) | instskip(NEXT) | instid1(VALU_DEP_3)
	v_add_f64 v[49:50], v[43:44], v[47:48]
	v_fma_f64 v[13:14], v[31:32], v[13:14], s[72:73]
	v_add_f64 v[41:42], v[47:48], -v[41:42]
	s_delay_alu instid0(VALU_DEP_4) | instskip(NEXT) | instid1(VALU_DEP_4)
	v_add_f64 v[45:46], v[45:46], -v[51:52]
	v_add_f64 v[53:54], v[49:50], -v[43:44]
	s_delay_alu instid0(VALU_DEP_4) | instskip(NEXT) | instid1(VALU_DEP_4)
	v_fma_f64 v[13:14], v[31:32], v[13:14], s[74:75]
	v_add_f64 v[9:10], v[9:10], -v[41:42]
	s_delay_alu instid0(VALU_DEP_3) | instskip(NEXT) | instid1(VALU_DEP_3)
	v_add_f64 v[57:58], v[49:50], -v[53:54]
	v_fma_f64 v[13:14], v[31:32], v[13:14], s[76:77]
	v_add_f64 v[41:42], v[47:48], -v[53:54]
	s_delay_alu instid0(VALU_DEP_4) | instskip(NEXT) | instid1(VALU_DEP_4)
	v_add_f64 v[47:48], v[45:46], v[9:10]
	v_add_f64 v[43:44], v[43:44], -v[57:58]
	s_delay_alu instid0(VALU_DEP_4) | instskip(NEXT) | instid1(VALU_DEP_2)
	v_fma_f64 v[13:14], v[31:32], v[13:14], s[78:79]
	v_add_f64 v[41:42], v[41:42], v[43:44]
	s_delay_alu instid0(VALU_DEP_2) | instskip(SKIP_1) | instid1(VALU_DEP_3)
	v_fma_f64 v[13:14], v[31:32], v[13:14], s[80:81]
	v_add_f64 v[43:44], v[47:48], -v[45:46]
	v_add_f64 v[41:42], v[47:48], v[41:42]
	s_delay_alu instid0(VALU_DEP_3) | instskip(NEXT) | instid1(VALU_DEP_3)
	v_mul_f64 v[13:14], v[31:32], v[13:14]
	v_add_f64 v[31:32], v[47:48], -v[43:44]
	v_add_f64 v[9:10], v[9:10], -v[43:44]
	s_delay_alu instid0(VALU_DEP_4) | instskip(NEXT) | instid1(VALU_DEP_4)
	v_add_f64 v[47:48], v[49:50], v[41:42]
	v_fma_f64 v[5:6], v[5:6], v[13:14], v[5:6]
	s_delay_alu instid0(VALU_DEP_4) | instskip(NEXT) | instid1(VALU_DEP_3)
	v_add_f64 v[13:14], v[45:46], -v[31:32]
	v_add_f64 v[31:32], v[47:48], -v[49:50]
	s_delay_alu instid0(VALU_DEP_3) | instskip(NEXT) | instid1(VALU_DEP_3)
	v_add_f64 v[43:44], -v[5:6], s[82:83]
	v_add_f64 v[9:10], v[9:10], v[13:14]
	s_delay_alu instid0(VALU_DEP_3) | instskip(NEXT) | instid1(VALU_DEP_3)
	v_add_f64 v[13:14], v[41:42], -v[31:32]
	v_cndmask_b32_e64 v6, v6, v44, s2
	s_delay_alu instid0(VALU_DEP_4) | instskip(NEXT) | instid1(VALU_DEP_3)
	v_cndmask_b32_e64 v5, v5, v43, s2
	v_add_f64 v[9:10], v[9:10], v[13:14]
	s_delay_alu instid0(VALU_DEP_2) | instskip(NEXT) | instid1(VALU_DEP_2)
	v_add_f64 v[13:14], -v[5:6], s[12:13]
	v_add_f64 v[9:10], v[47:48], v[9:10]
	s_delay_alu instid0(VALU_DEP_2) | instskip(SKIP_1) | instid1(VALU_DEP_2)
	v_dual_cndmask_b32 v5, v5, v13 :: v_dual_cndmask_b32 v6, v6, v14
	v_cmp_ngt_f64_e32 vcc_lo, 0, v[39:40]
	v_cndmask_b32_e64 v5, v5, v7, s4
	s_delay_alu instid0(VALU_DEP_3) | instskip(SKIP_3) | instid1(VALU_DEP_3)
	v_cndmask_b32_e64 v1, v6, v1, s4
	v_cndmask_b32_e64 v10, v10, v30, s3
	v_cndmask_b32_e64 v9, v9, v29, s3
	v_cmp_nge_f64_e64 s3, 0, v[39:40]
	v_cndmask_b32_e64 v10, v10, 0x7ff00000, s8
	s_delay_alu instid0(VALU_DEP_3) | instskip(NEXT) | instid1(VALU_DEP_2)
	v_cndmask_b32_e64 v6, v9, 0, s8
	v_cndmask_b32_e32 v7, 0x7ff80000, v10, vcc_lo
	s_and_b32 vcc_lo, s6, s7
	v_cndmask_b32_e32 v32, v1, v11, vcc_lo
	v_cndmask_b32_e32 v31, v5, v2, vcc_lo
	v_cndmask_b32_e64 v29, 0, v6, s3
	v_cmp_neq_f64_e64 s3, 0, v[39:40]
	s_delay_alu instid0(VALU_DEP_1)
	v_cndmask_b32_e64 v30, 0xfff00000, v7, s3
.LBB168_124:                            ;   in Loop: Header=BB168_5 Depth=1
	s_or_b32 exec_lo, exec_lo, s5
                                        ; implicit-def: $vgpr9_vgpr10
.LBB168_125:                            ;   in Loop: Header=BB168_5 Depth=1
	s_and_not1_saveexec_b32 s5, s97
	s_cbranch_execz .LBB168_131
; %bb.126:                              ;   in Loop: Header=BB168_5 Depth=1
                                        ; implicit-def: $vgpr29_vgpr30
	s_mov_b32 s3, exec_lo
	v_cmpx_ngt_f64_e32 s[86:87], v[9:10]
	s_xor_b32 s6, exec_lo, s3
	s_cbranch_execz .LBB168_128
; %bb.127:                              ;   in Loop: Header=BB168_5 Depth=1
	v_mul_f64 v[5:6], v[9:10], v[9:10]
	s_mov_b32 s91, s23
	s_mov_b32 s12, s82
	v_cmp_eq_f64_e64 s4, 0, v[3:4]
	v_cmp_class_f64_e64 s7, v[3:4], 0x204
	v_cmp_class_f64_e64 s8, v[1:2], 0x204
	v_cmp_gt_i32_e64 s3, 0, v2
	v_add_f64 v[9:10], v[5:6], 1.0
	s_delay_alu instid0(VALU_DEP_1) | instskip(SKIP_2) | instid1(VALU_DEP_3)
	v_frexp_mant_f64_e32 v[13:14], v[9:10]
	v_frexp_exp_i32_f64_e32 v7, v[9:10]
	v_add_f64 v[29:30], v[9:10], -1.0
	v_cmp_gt_f64_e32 vcc_lo, s[22:23], v[13:14]
	s_delay_alu instid0(VALU_DEP_2) | instskip(SKIP_2) | instid1(VALU_DEP_3)
	v_add_f64 v[13:14], v[29:30], -v[9:10]
	v_add_f64 v[29:30], v[5:6], -v[29:30]
	v_subrev_co_ci_u32_e32 v7, vcc_lo, 0, v7, vcc_lo
	v_add_f64 v[13:14], v[13:14], 1.0
	s_delay_alu instid0(VALU_DEP_2) | instskip(NEXT) | instid1(VALU_DEP_1)
	v_sub_nc_u32_e32 v11, 0, v7
	v_ldexp_f64 v[9:10], v[9:10], v11
	s_delay_alu instid0(VALU_DEP_3) | instskip(NEXT) | instid1(VALU_DEP_2)
	v_add_f64 v[13:14], v[29:30], v[13:14]
	v_add_f64 v[31:32], v[9:10], 1.0
	v_add_f64 v[43:44], v[9:10], -1.0
	s_delay_alu instid0(VALU_DEP_3) | instskip(SKIP_1) | instid1(VALU_DEP_4)
	v_ldexp_f64 v[13:14], v[13:14], v11
	v_cndmask_b32_e64 v11, 0x54442d18, v55, s3
	v_add_f64 v[29:30], v[31:32], -1.0
	s_delay_alu instid0(VALU_DEP_4) | instskip(NEXT) | instid1(VALU_DEP_2)
	v_add_f64 v[45:46], v[43:44], 1.0
	v_add_f64 v[29:30], v[9:10], -v[29:30]
	s_delay_alu instid0(VALU_DEP_2) | instskip(NEXT) | instid1(VALU_DEP_2)
	v_add_f64 v[9:10], v[9:10], -v[45:46]
	v_add_f64 v[29:30], v[13:14], v[29:30]
	s_delay_alu instid0(VALU_DEP_2) | instskip(NEXT) | instid1(VALU_DEP_2)
	v_add_f64 v[9:10], v[13:14], v[9:10]
	v_add_f64 v[39:40], v[31:32], v[29:30]
	s_delay_alu instid0(VALU_DEP_2) | instskip(NEXT) | instid1(VALU_DEP_2)
	v_add_f64 v[45:46], v[43:44], v[9:10]
	v_rcp_f64_e32 v[41:42], v[39:40]
	v_add_f64 v[31:32], v[31:32], -v[39:40]
	s_delay_alu instid0(VALU_DEP_2) | instskip(NEXT) | instid1(VALU_DEP_2)
	v_add_f64 v[43:44], v[43:44], -v[45:46]
	v_add_f64 v[29:30], v[29:30], v[31:32]
	s_waitcnt_depctr 0xfff
	v_fma_f64 v[47:48], -v[39:40], v[41:42], 1.0
	v_add_f64 v[9:10], v[9:10], v[43:44]
	s_delay_alu instid0(VALU_DEP_2) | instskip(NEXT) | instid1(VALU_DEP_1)
	v_fma_f64 v[41:42], v[47:48], v[41:42], v[41:42]
	v_fma_f64 v[13:14], -v[39:40], v[41:42], 1.0
	s_delay_alu instid0(VALU_DEP_1) | instskip(NEXT) | instid1(VALU_DEP_1)
	v_fma_f64 v[13:14], v[13:14], v[41:42], v[41:42]
	v_mul_f64 v[41:42], v[45:46], v[13:14]
	s_delay_alu instid0(VALU_DEP_1) | instskip(NEXT) | instid1(VALU_DEP_1)
	v_mul_f64 v[47:48], v[39:40], v[41:42]
	v_fma_f64 v[31:32], v[41:42], v[39:40], -v[47:48]
	s_delay_alu instid0(VALU_DEP_1) | instskip(NEXT) | instid1(VALU_DEP_1)
	v_fma_f64 v[31:32], v[41:42], v[29:30], v[31:32]
	v_add_f64 v[49:50], v[47:48], v[31:32]
	s_delay_alu instid0(VALU_DEP_1) | instskip(SKIP_2) | instid1(VALU_DEP_3)
	v_add_f64 v[51:52], v[45:46], -v[49:50]
	v_add_f64 v[43:44], v[49:50], -v[47:48]
	v_max_f64 v[47:48], |v[3:4]|, |v[3:4]|
	v_add_f64 v[45:46], v[45:46], -v[51:52]
	s_delay_alu instid0(VALU_DEP_3) | instskip(NEXT) | instid1(VALU_DEP_2)
	v_add_f64 v[31:32], v[43:44], -v[31:32]
	v_add_f64 v[45:46], v[45:46], -v[49:50]
	v_max_f64 v[49:50], |v[1:2]|, |v[1:2]|
	s_delay_alu instid0(VALU_DEP_2) | instskip(NEXT) | instid1(VALU_DEP_2)
	v_add_f64 v[9:10], v[9:10], v[45:46]
	v_max_f64 v[53:54], v[49:50], v[47:48]
	v_min_f64 v[47:48], v[49:50], v[47:48]
	s_delay_alu instid0(VALU_DEP_3) | instskip(NEXT) | instid1(VALU_DEP_1)
	v_add_f64 v[9:10], v[31:32], v[9:10]
	v_add_f64 v[31:32], v[51:52], v[9:10]
	s_delay_alu instid0(VALU_DEP_1) | instskip(SKIP_1) | instid1(VALU_DEP_2)
	v_mul_f64 v[43:44], v[13:14], v[31:32]
	v_add_f64 v[51:52], v[51:52], -v[31:32]
	v_mul_f64 v[45:46], v[39:40], v[43:44]
	s_delay_alu instid0(VALU_DEP_2) | instskip(NEXT) | instid1(VALU_DEP_2)
	v_add_f64 v[9:10], v[9:10], v[51:52]
	v_fma_f64 v[39:40], v[43:44], v[39:40], -v[45:46]
	s_delay_alu instid0(VALU_DEP_1) | instskip(SKIP_1) | instid1(VALU_DEP_2)
	v_fma_f64 v[29:30], v[43:44], v[29:30], v[39:40]
	v_div_scale_f64 v[39:40], null, v[53:54], v[53:54], v[47:48]
	v_add_f64 v[49:50], v[45:46], v[29:30]
	s_delay_alu instid0(VALU_DEP_2) | instskip(NEXT) | instid1(VALU_DEP_1)
	v_rcp_f64_e32 v[57:58], v[39:40]
	v_add_f64 v[59:60], v[31:32], -v[49:50]
	v_add_f64 v[45:46], v[49:50], -v[45:46]
	s_waitcnt_depctr 0xfff
	v_fma_f64 v[61:62], -v[39:40], v[57:58], 1.0
	v_add_f64 v[31:32], v[31:32], -v[59:60]
	v_add_f64 v[29:30], v[45:46], -v[29:30]
	s_delay_alu instid0(VALU_DEP_3) | instskip(NEXT) | instid1(VALU_DEP_3)
	v_fma_f64 v[57:58], v[57:58], v[61:62], v[57:58]
	v_add_f64 v[31:32], v[31:32], -v[49:50]
	s_delay_alu instid0(VALU_DEP_2) | instskip(NEXT) | instid1(VALU_DEP_2)
	v_fma_f64 v[49:50], -v[39:40], v[57:58], 1.0
	v_add_f64 v[9:10], v[9:10], v[31:32]
	v_div_scale_f64 v[31:32], vcc_lo, v[47:48], v[53:54], v[47:48]
	s_delay_alu instid0(VALU_DEP_3) | instskip(SKIP_1) | instid1(VALU_DEP_4)
	v_fma_f64 v[45:46], v[57:58], v[49:50], v[57:58]
	v_add_f64 v[49:50], v[41:42], v[43:44]
	v_add_f64 v[9:10], v[29:30], v[9:10]
	s_delay_alu instid0(VALU_DEP_3) | instskip(NEXT) | instid1(VALU_DEP_3)
	v_mul_f64 v[29:30], v[31:32], v[45:46]
	v_add_f64 v[41:42], v[49:50], -v[41:42]
	s_delay_alu instid0(VALU_DEP_3) | instskip(NEXT) | instid1(VALU_DEP_3)
	v_add_f64 v[9:10], v[59:60], v[9:10]
	v_fma_f64 v[31:32], -v[39:40], v[29:30], v[31:32]
	s_delay_alu instid0(VALU_DEP_3) | instskip(NEXT) | instid1(VALU_DEP_3)
	v_add_f64 v[39:40], v[43:44], -v[41:42]
	v_mul_f64 v[9:10], v[13:14], v[9:10]
	s_delay_alu instid0(VALU_DEP_3) | instskip(SKIP_1) | instid1(VALU_DEP_3)
	v_div_fmas_f64 v[13:14], v[31:32], v[45:46], v[29:30]
	v_cmp_eq_f64_e32 vcc_lo, 0x7ff00000, v[5:6]
	v_add_f64 v[9:10], v[39:40], v[9:10]
	s_delay_alu instid0(VALU_DEP_3) | instskip(NEXT) | instid1(VALU_DEP_2)
	v_div_fixup_f64 v[13:14], v[13:14], v[53:54], v[47:48]
	v_add_f64 v[29:30], v[49:50], v[9:10]
	s_delay_alu instid0(VALU_DEP_2) | instskip(NEXT) | instid1(VALU_DEP_2)
	v_mul_f64 v[31:32], v[13:14], v[13:14]
	v_mul_f64 v[39:40], v[29:30], v[29:30]
	s_delay_alu instid0(VALU_DEP_2) | instskip(NEXT) | instid1(VALU_DEP_2)
	v_fma_f64 v[41:42], v[31:32], s[44:45], s[42:43]
	v_fma_f64 v[43:44], v[39:40], s[26:27], s[24:25]
	v_mul_f64 v[45:46], v[29:30], v[39:40]
	s_delay_alu instid0(VALU_DEP_3) | instskip(NEXT) | instid1(VALU_DEP_3)
	v_fma_f64 v[41:42], v[31:32], v[41:42], s[46:47]
	v_fma_f64 v[43:44], v[39:40], v[43:44], s[28:29]
	s_delay_alu instid0(VALU_DEP_2) | instskip(NEXT) | instid1(VALU_DEP_2)
	v_fma_f64 v[41:42], v[31:32], v[41:42], s[48:49]
	v_fma_f64 v[43:44], v[39:40], v[43:44], s[30:31]
	s_delay_alu instid0(VALU_DEP_2) | instskip(NEXT) | instid1(VALU_DEP_2)
	;; [unrolled: 3-line block ×4, first 2 shown]
	v_fma_f64 v[41:42], v[31:32], v[41:42], s[54:55]
	v_fma_f64 v[39:40], v[39:40], v[43:44], s[90:91]
	v_ldexp_f64 v[43:44], v[29:30], 1
	v_add_f64 v[29:30], v[29:30], -v[49:50]
	s_delay_alu instid0(VALU_DEP_4) | instskip(NEXT) | instid1(VALU_DEP_4)
	v_fma_f64 v[41:42], v[31:32], v[41:42], s[56:57]
	v_mul_f64 v[39:40], v[45:46], v[39:40]
	v_cvt_f64_i32_e32 v[45:46], v7
	s_delay_alu instid0(VALU_DEP_4) | instskip(NEXT) | instid1(VALU_DEP_4)
	v_add_f64 v[9:10], v[9:10], -v[29:30]
	v_fma_f64 v[41:42], v[31:32], v[41:42], s[58:59]
	v_ashrrev_i32_e32 v7, 31, v2
	v_add_f64 v[47:48], v[43:44], v[39:40]
	v_mul_f64 v[49:50], v[45:46], s[38:39]
	v_ldexp_f64 v[9:10], v[9:10], 1
	v_fma_f64 v[41:42], v[31:32], v[41:42], s[60:61]
	s_delay_alu instid0(VALU_DEP_4) | instskip(NEXT) | instid1(VALU_DEP_4)
	v_add_f64 v[29:30], v[47:48], -v[43:44]
	v_fma_f64 v[43:44], v[45:46], s[38:39], -v[49:50]
	s_delay_alu instid0(VALU_DEP_3) | instskip(NEXT) | instid1(VALU_DEP_3)
	v_fma_f64 v[41:42], v[31:32], v[41:42], s[62:63]
	v_add_f64 v[29:30], v[39:40], -v[29:30]
	s_delay_alu instid0(VALU_DEP_2) | instskip(NEXT) | instid1(VALU_DEP_4)
	v_fma_f64 v[39:40], v[31:32], v[41:42], s[64:65]
	v_fma_f64 v[41:42], v[45:46], s[40:41], v[43:44]
	s_delay_alu instid0(VALU_DEP_3) | instskip(NEXT) | instid1(VALU_DEP_3)
	v_add_f64 v[9:10], v[9:10], v[29:30]
	v_fma_f64 v[29:30], v[31:32], v[39:40], s[66:67]
	s_delay_alu instid0(VALU_DEP_3) | instskip(NEXT) | instid1(VALU_DEP_3)
	v_add_f64 v[39:40], v[49:50], v[41:42]
	v_add_f64 v[43:44], v[47:48], v[9:10]
	s_delay_alu instid0(VALU_DEP_3) | instskip(NEXT) | instid1(VALU_DEP_3)
	v_fma_f64 v[29:30], v[31:32], v[29:30], s[68:69]
	v_add_f64 v[49:50], v[39:40], -v[49:50]
	s_delay_alu instid0(VALU_DEP_3) | instskip(SKIP_1) | instid1(VALU_DEP_4)
	v_add_f64 v[45:46], v[39:40], v[43:44]
	v_add_f64 v[47:48], v[43:44], -v[47:48]
	v_fma_f64 v[29:30], v[31:32], v[29:30], s[70:71]
	s_delay_alu instid0(VALU_DEP_4) | instskip(NEXT) | instid1(VALU_DEP_4)
	v_add_f64 v[41:42], v[41:42], -v[49:50]
	v_add_f64 v[51:52], v[45:46], -v[39:40]
	s_delay_alu instid0(VALU_DEP_4) | instskip(NEXT) | instid1(VALU_DEP_4)
	v_add_f64 v[9:10], v[9:10], -v[47:48]
	v_fma_f64 v[29:30], v[31:32], v[29:30], s[72:73]
	s_delay_alu instid0(VALU_DEP_3) | instskip(SKIP_1) | instid1(VALU_DEP_4)
	v_add_f64 v[53:54], v[45:46], -v[51:52]
	v_add_f64 v[43:44], v[43:44], -v[51:52]
	v_add_f64 v[47:48], v[41:42], v[9:10]
	s_delay_alu instid0(VALU_DEP_4) | instskip(NEXT) | instid1(VALU_DEP_4)
	v_fma_f64 v[29:30], v[31:32], v[29:30], s[74:75]
	v_add_f64 v[39:40], v[39:40], -v[53:54]
	s_delay_alu instid0(VALU_DEP_2) | instskip(NEXT) | instid1(VALU_DEP_2)
	v_fma_f64 v[29:30], v[31:32], v[29:30], s[76:77]
	v_add_f64 v[39:40], v[43:44], v[39:40]
	v_add_f64 v[43:44], v[47:48], -v[41:42]
	s_delay_alu instid0(VALU_DEP_3) | instskip(NEXT) | instid1(VALU_DEP_3)
	v_fma_f64 v[29:30], v[31:32], v[29:30], s[78:79]
	v_add_f64 v[39:40], v[47:48], v[39:40]
	s_delay_alu instid0(VALU_DEP_3) | instskip(SKIP_1) | instid1(VALU_DEP_4)
	v_add_f64 v[47:48], v[47:48], -v[43:44]
	v_add_f64 v[9:10], v[9:10], -v[43:44]
	v_fma_f64 v[29:30], v[31:32], v[29:30], s[80:81]
	s_delay_alu instid0(VALU_DEP_4) | instskip(NEXT) | instid1(VALU_DEP_2)
	v_add_f64 v[49:50], v[45:46], v[39:40]
	v_mul_f64 v[29:30], v[31:32], v[29:30]
	v_add_f64 v[31:32], v[41:42], -v[47:48]
	s_delay_alu instid0(VALU_DEP_3) | instskip(NEXT) | instid1(VALU_DEP_3)
	v_add_f64 v[41:42], v[49:50], -v[45:46]
	v_fma_f64 v[13:14], v[13:14], v[29:30], v[13:14]
	s_delay_alu instid0(VALU_DEP_3) | instskip(NEXT) | instid1(VALU_DEP_3)
	v_add_f64 v[9:10], v[9:10], v[31:32]
	v_add_f64 v[29:30], v[39:40], -v[41:42]
	s_delay_alu instid0(VALU_DEP_3) | instskip(NEXT) | instid1(VALU_DEP_2)
	v_add_f64 v[31:32], -v[13:14], s[82:83]
	v_add_f64 v[9:10], v[9:10], v[29:30]
	s_delay_alu instid0(VALU_DEP_2) | instskip(NEXT) | instid1(VALU_DEP_3)
	v_cndmask_b32_e64 v14, v14, v32, s2
	v_cndmask_b32_e64 v13, v13, v31, s2
	s_delay_alu instid0(VALU_DEP_1) | instskip(NEXT) | instid1(VALU_DEP_4)
	v_add_f64 v[30:31], -v[13:14], s[12:13]
	v_add_f64 v[9:10], v[49:50], v[9:10]
	v_and_b32_e32 v15, 0x54442d18, v7
	s_delay_alu instid0(VALU_DEP_3) | instskip(NEXT) | instid1(VALU_DEP_3)
	v_cndmask_b32_e64 v13, v13, v30, s3
	v_dual_cndmask_b32 v2, v10, v6 :: v_dual_cndmask_b32 v1, v9, v5
	v_cndmask_b32_e64 v5, v14, v31, s3
	s_delay_alu instid0(VALU_DEP_3) | instskip(SKIP_1) | instid1(VALU_DEP_3)
	v_cndmask_b32_e64 v6, v13, v15, s4
	s_and_b32 vcc_lo, s8, s7
                                        ; implicit-def: $vgpr9_vgpr10
	v_mul_f64 v[29:30], v[1:2], 0.5
	v_and_b32_e32 v2, 0x400921fb, v7
	v_cndmask_b32_e64 v1, 0x3fe921fb, v56, s3
	v_cndmask_b32_e32 v31, v6, v11, vcc_lo
	s_delay_alu instid0(VALU_DEP_3) | instskip(NEXT) | instid1(VALU_DEP_3)
	v_cndmask_b32_e64 v2, v5, v2, s4
	v_bfi_b32 v1, 0x7fffffff, v1, v4
	s_delay_alu instid0(VALU_DEP_1)
	v_cndmask_b32_e32 v32, v2, v1, vcc_lo
.LBB168_128:                            ;   in Loop: Header=BB168_5 Depth=1
	s_and_not1_saveexec_b32 s4, s6
	s_cbranch_execz .LBB168_130
; %bb.129:                              ;   in Loop: Header=BB168_5 Depth=1
	v_max_f64 v[5:6], |v[3:4]|, |v[3:4]|
	v_max_f64 v[13:14], |v[1:2]|, |v[1:2]|
	s_mov_b32 s12, s82
	v_cmp_eq_f64_e64 s3, 0, v[3:4]
	v_cmp_class_f64_e64 s6, v[3:4], 0x204
	v_cmp_class_f64_e64 s7, v[1:2], 0x204
	v_ashrrev_i32_e32 v7, 31, v2
	v_max_f64 v[29:30], v[13:14], v[5:6]
	v_min_f64 v[5:6], v[13:14], v[5:6]
	s_delay_alu instid0(VALU_DEP_1) | instskip(SKIP_1) | instid1(VALU_DEP_2)
	v_div_scale_f64 v[13:14], null, v[29:30], v[29:30], v[5:6]
	v_div_scale_f64 v[41:42], vcc_lo, v[5:6], v[29:30], v[5:6]
	v_rcp_f64_e32 v[31:32], v[13:14]
	s_waitcnt_depctr 0xfff
	v_fma_f64 v[39:40], -v[13:14], v[31:32], 1.0
	s_delay_alu instid0(VALU_DEP_1) | instskip(NEXT) | instid1(VALU_DEP_1)
	v_fma_f64 v[31:32], v[31:32], v[39:40], v[31:32]
	v_fma_f64 v[39:40], -v[13:14], v[31:32], 1.0
	s_delay_alu instid0(VALU_DEP_1) | instskip(NEXT) | instid1(VALU_DEP_1)
	v_fma_f64 v[31:32], v[31:32], v[39:40], v[31:32]
	v_mul_f64 v[39:40], v[41:42], v[31:32]
	s_delay_alu instid0(VALU_DEP_1) | instskip(NEXT) | instid1(VALU_DEP_1)
	v_fma_f64 v[13:14], -v[13:14], v[39:40], v[41:42]
	v_div_fmas_f64 v[13:14], v[13:14], v[31:32], v[39:40]
	v_cmp_gt_i32_e32 vcc_lo, 0, v2
	v_and_b32_e32 v2, 0x400921fb, v7
	v_cndmask_b32_e32 v1, 0x3fe921fb, v56, vcc_lo
	v_cndmask_b32_e32 v11, 0x54442d18, v55, vcc_lo
	s_delay_alu instid0(VALU_DEP_2) | instskip(SKIP_1) | instid1(VALU_DEP_1)
	v_bfi_b32 v1, 0x7fffffff, v1, v4
	v_div_fixup_f64 v[5:6], v[13:14], v[29:30], v[5:6]
	v_mul_f64 v[13:14], v[5:6], v[5:6]
	s_delay_alu instid0(VALU_DEP_1) | instskip(NEXT) | instid1(VALU_DEP_1)
	v_fma_f64 v[29:30], v[13:14], s[44:45], s[42:43]
	v_fma_f64 v[29:30], v[13:14], v[29:30], s[46:47]
	s_delay_alu instid0(VALU_DEP_1) | instskip(NEXT) | instid1(VALU_DEP_1)
	v_fma_f64 v[29:30], v[13:14], v[29:30], s[48:49]
	v_fma_f64 v[29:30], v[13:14], v[29:30], s[50:51]
	;; [unrolled: 3-line block ×9, first 2 shown]
	s_delay_alu instid0(VALU_DEP_1) | instskip(NEXT) | instid1(VALU_DEP_1)
	v_fma_f64 v[29:30], v[13:14], v[29:30], s[80:81]
	v_mul_f64 v[13:14], v[13:14], v[29:30]
	v_mul_f64 v[29:30], v[9:10], 0.5
	s_delay_alu instid0(VALU_DEP_2) | instskip(NEXT) | instid1(VALU_DEP_2)
	v_fma_f64 v[5:6], v[5:6], v[13:14], v[5:6]
	v_mul_f64 v[29:30], v[9:10], v[29:30]
	s_delay_alu instid0(VALU_DEP_2) | instskip(NEXT) | instid1(VALU_DEP_1)
	v_add_f64 v[13:14], -v[5:6], s[82:83]
	v_cndmask_b32_e64 v6, v6, v14, s2
	s_delay_alu instid0(VALU_DEP_2) | instskip(NEXT) | instid1(VALU_DEP_1)
	v_cndmask_b32_e64 v5, v5, v13, s2
	v_add_f64 v[13:14], -v[5:6], s[12:13]
	s_delay_alu instid0(VALU_DEP_1) | instskip(NEXT) | instid1(VALU_DEP_2)
	v_dual_cndmask_b32 v6, v6, v14 :: v_dual_and_b32 v15, 0x54442d18, v7
	v_cndmask_b32_e32 v5, v5, v13, vcc_lo
	s_and_b32 vcc_lo, s7, s6
	s_delay_alu instid0(VALU_DEP_2) | instskip(NEXT) | instid1(VALU_DEP_2)
	v_cndmask_b32_e64 v2, v6, v2, s3
	v_cndmask_b32_e64 v5, v5, v15, s3
	s_delay_alu instid0(VALU_DEP_1)
	v_dual_cndmask_b32 v32, v2, v1 :: v_dual_cndmask_b32 v31, v5, v11
.LBB168_130:                            ;   in Loop: Header=BB168_5 Depth=1
	s_or_b32 exec_lo, exec_lo, s4
.LBB168_131:                            ;   in Loop: Header=BB168_5 Depth=1
	s_delay_alu instid0(SALU_CYCLE_1)
	s_or_b32 exec_lo, exec_lo, s5
.LBB168_132:                            ;   in Loop: Header=BB168_5 Depth=1
	s_and_not1_saveexec_b32 s5, s96
	s_cbranch_execz .LBB168_134
; %bb.133:                              ;   in Loop: Header=BB168_5 Depth=1
	v_div_scale_f64 v[5:6], null, s[88:89], s[88:89], v[1:2]
	v_div_scale_f64 v[9:10], null, s[88:89], s[88:89], v[3:4]
	v_div_scale_f64 v[41:42], vcc_lo, v[1:2], s[88:89], v[1:2]
	v_max_f64 v[45:46], |v[1:2]|, |v[1:2]|
	s_mov_b32 s91, s23
	s_mov_b32 s12, s82
	s_delay_alu instid0(VALU_DEP_4) | instskip(NEXT) | instid1(VALU_DEP_3)
	v_rcp_f64_e32 v[13:14], v[5:6]
	v_rcp_f64_e32 v[29:30], v[9:10]
	s_waitcnt_depctr 0xfff
	v_fma_f64 v[31:32], -v[5:6], v[13:14], 1.0
	v_fma_f64 v[39:40], -v[9:10], v[29:30], 1.0
	s_delay_alu instid0(VALU_DEP_2) | instskip(NEXT) | instid1(VALU_DEP_2)
	v_fma_f64 v[13:14], v[13:14], v[31:32], v[13:14]
	v_fma_f64 v[29:30], v[29:30], v[39:40], v[29:30]
	s_delay_alu instid0(VALU_DEP_2) | instskip(NEXT) | instid1(VALU_DEP_2)
	v_fma_f64 v[31:32], -v[5:6], v[13:14], 1.0
	v_fma_f64 v[39:40], -v[9:10], v[29:30], 1.0
	s_delay_alu instid0(VALU_DEP_2) | instskip(SKIP_1) | instid1(VALU_DEP_3)
	v_fma_f64 v[13:14], v[13:14], v[31:32], v[13:14]
	v_div_scale_f64 v[31:32], s3, v[3:4], s[88:89], v[3:4]
	v_fma_f64 v[29:30], v[29:30], v[39:40], v[29:30]
	s_delay_alu instid0(VALU_DEP_3) | instskip(NEXT) | instid1(VALU_DEP_2)
	v_mul_f64 v[39:40], v[41:42], v[13:14]
	v_mul_f64 v[43:44], v[31:32], v[29:30]
	s_delay_alu instid0(VALU_DEP_2) | instskip(NEXT) | instid1(VALU_DEP_2)
	v_fma_f64 v[5:6], -v[5:6], v[39:40], v[41:42]
	v_fma_f64 v[9:10], -v[9:10], v[43:44], v[31:32]
	s_delay_alu instid0(VALU_DEP_2) | instskip(SKIP_1) | instid1(VALU_DEP_2)
	v_div_fmas_f64 v[5:6], v[5:6], v[13:14], v[39:40]
	s_mov_b32 vcc_lo, s3
	v_div_fmas_f64 v[9:10], v[9:10], v[29:30], v[43:44]
	s_delay_alu instid0(VALU_DEP_2) | instskip(NEXT) | instid1(VALU_DEP_2)
	v_div_fixup_f64 v[5:6], v[5:6], s[88:89], v[1:2]
	v_div_fixup_f64 v[9:10], v[9:10], s[88:89], v[3:4]
	s_delay_alu instid0(VALU_DEP_2) | instskip(NEXT) | instid1(VALU_DEP_2)
	v_cmp_class_f64_e64 s4, v[5:6], 0x204
	v_max_f64 v[13:14], |v[5:6]|, |v[9:10]|
	v_cmp_o_f64_e64 s3, v[5:6], v[9:10]
	v_cmp_class_f64_e64 s6, v[9:10], 0x204
	s_delay_alu instid0(VALU_DEP_3) | instskip(NEXT) | instid1(VALU_DEP_2)
	v_frexp_exp_i32_f64_e32 v7, v[13:14]
	s_or_b32 s6, s4, s6
	s_delay_alu instid0(VALU_DEP_1) | instskip(NEXT) | instid1(VALU_DEP_1)
	v_sub_nc_u32_e32 v11, 0, v7
	v_ldexp_f64 v[13:14], |v[9:10]|, v11
	v_ldexp_f64 v[29:30], |v[5:6]|, v11
	s_delay_alu instid0(VALU_DEP_2) | instskip(NEXT) | instid1(VALU_DEP_1)
	v_mul_f64 v[13:14], v[13:14], v[13:14]
	v_fma_f64 v[13:14], v[29:30], v[29:30], v[13:14]
	s_delay_alu instid0(VALU_DEP_1) | instskip(SKIP_4) | instid1(VALU_DEP_1)
	v_rsq_f64_e32 v[29:30], v[13:14]
	v_cmp_eq_f64_e32 vcc_lo, 0, v[13:14]
	s_waitcnt_depctr 0xfff
	v_mul_f64 v[31:32], v[13:14], v[29:30]
	v_mul_f64 v[29:30], v[29:30], 0.5
	v_fma_f64 v[39:40], -v[29:30], v[31:32], 0.5
	s_delay_alu instid0(VALU_DEP_1) | instskip(SKIP_1) | instid1(VALU_DEP_2)
	v_fma_f64 v[31:32], v[31:32], v[39:40], v[31:32]
	v_fma_f64 v[29:30], v[29:30], v[39:40], v[29:30]
	v_fma_f64 v[39:40], -v[31:32], v[31:32], v[13:14]
	s_delay_alu instid0(VALU_DEP_1) | instskip(NEXT) | instid1(VALU_DEP_1)
	v_fma_f64 v[29:30], v[39:40], v[29:30], v[31:32]
	v_dual_cndmask_b32 v14, v30, v14 :: v_dual_cndmask_b32 v13, v29, v13
	s_delay_alu instid0(VALU_DEP_1) | instskip(NEXT) | instid1(VALU_DEP_1)
	v_ldexp_f64 v[13:14], v[13:14], v7
	v_cndmask_b32_e64 v7, 0, v13, s3
	s_delay_alu instid0(VALU_DEP_2) | instskip(NEXT) | instid1(VALU_DEP_2)
	v_cndmask_b32_e64 v11, 0x7ff80000, v14, s3
	v_cndmask_b32_e64 v5, v7, 0, s6
	s_delay_alu instid0(VALU_DEP_2) | instskip(NEXT) | instid1(VALU_DEP_1)
	v_cndmask_b32_e64 v6, v11, 0x7ff00000, s6
	v_frexp_mant_f64_e32 v[9:10], v[5:6]
	v_frexp_exp_i32_f64_e32 v15, v[5:6]
	s_delay_alu instid0(VALU_DEP_2) | instskip(NEXT) | instid1(VALU_DEP_1)
	v_cmp_gt_f64_e64 s4, s[22:23], v[9:10]
	v_cndmask_b32_e64 v34, 0x3ff00000, 2.0, s4
	s_delay_alu instid0(VALU_DEP_1) | instskip(NEXT) | instid1(VALU_DEP_1)
	v_mul_f64 v[9:10], v[9:10], v[33:34]
	v_add_f64 v[29:30], v[9:10], 1.0
	v_add_f64 v[41:42], v[9:10], -1.0
	s_delay_alu instid0(VALU_DEP_2) | instskip(SKIP_1) | instid1(VALU_DEP_1)
	v_rcp_f64_e32 v[31:32], v[29:30]
	v_add_f64 v[47:48], v[29:30], -1.0
	v_add_f64 v[9:10], v[9:10], -v[47:48]
	s_waitcnt_depctr 0xfff
	v_fma_f64 v[39:40], -v[29:30], v[31:32], 1.0
	s_delay_alu instid0(VALU_DEP_1) | instskip(NEXT) | instid1(VALU_DEP_1)
	v_fma_f64 v[31:32], v[39:40], v[31:32], v[31:32]
	v_fma_f64 v[39:40], -v[29:30], v[31:32], 1.0
	s_delay_alu instid0(VALU_DEP_1) | instskip(SKIP_1) | instid1(VALU_DEP_2)
	v_fma_f64 v[31:32], v[39:40], v[31:32], v[31:32]
	v_max_f64 v[39:40], |v[3:4]|, |v[3:4]|
	v_mul_f64 v[43:44], v[41:42], v[31:32]
	s_delay_alu instid0(VALU_DEP_2) | instskip(SKIP_1) | instid1(VALU_DEP_3)
	v_max_f64 v[51:52], v[45:46], v[39:40]
	v_min_f64 v[39:40], v[45:46], v[39:40]
	v_mul_f64 v[49:50], v[29:30], v[43:44]
	s_delay_alu instid0(VALU_DEP_2) | instskip(NEXT) | instid1(VALU_DEP_2)
	v_div_scale_f64 v[45:46], null, v[51:52], v[51:52], v[39:40]
	v_fma_f64 v[29:30], v[43:44], v[29:30], -v[49:50]
	s_delay_alu instid0(VALU_DEP_1) | instskip(NEXT) | instid1(VALU_DEP_3)
	v_fma_f64 v[9:10], v[43:44], v[9:10], v[29:30]
	v_rcp_f64_e32 v[29:30], v[45:46]
	s_delay_alu instid0(VALU_DEP_1) | instskip(SKIP_4) | instid1(VALU_DEP_3)
	v_add_f64 v[47:48], v[49:50], v[9:10]
	s_waitcnt_depctr 0xfff
	v_fma_f64 v[53:54], -v[45:46], v[29:30], 1.0
	v_add_f64 v[57:58], v[41:42], -v[47:48]
	v_add_f64 v[49:50], v[47:48], -v[49:50]
	v_fma_f64 v[29:30], v[29:30], v[53:54], v[29:30]
	s_delay_alu instid0(VALU_DEP_3) | instskip(NEXT) | instid1(VALU_DEP_3)
	v_add_f64 v[41:42], v[41:42], -v[57:58]
	v_add_f64 v[9:10], v[49:50], -v[9:10]
	s_delay_alu instid0(VALU_DEP_3) | instskip(NEXT) | instid1(VALU_DEP_3)
	v_fma_f64 v[53:54], -v[45:46], v[29:30], 1.0
	v_add_f64 v[41:42], v[41:42], -v[47:48]
	v_div_scale_f64 v[47:48], vcc_lo, v[39:40], v[51:52], v[39:40]
	s_delay_alu instid0(VALU_DEP_3) | instskip(NEXT) | instid1(VALU_DEP_3)
	v_fma_f64 v[29:30], v[29:30], v[53:54], v[29:30]
	v_add_f64 v[9:10], v[9:10], v[41:42]
	s_delay_alu instid0(VALU_DEP_2) | instskip(NEXT) | instid1(VALU_DEP_2)
	v_mul_f64 v[41:42], v[47:48], v[29:30]
	v_add_f64 v[9:10], v[57:58], v[9:10]
	s_delay_alu instid0(VALU_DEP_2) | instskip(NEXT) | instid1(VALU_DEP_2)
	v_fma_f64 v[45:46], -v[45:46], v[41:42], v[47:48]
	v_mul_f64 v[9:10], v[31:32], v[9:10]
	s_delay_alu instid0(VALU_DEP_2) | instskip(SKIP_2) | instid1(VALU_DEP_4)
	v_div_fmas_f64 v[29:30], v[45:46], v[29:30], v[41:42]
	v_subrev_co_ci_u32_e64 v15, vcc_lo, 0, v15, s4
	v_cmp_class_f64_e64 s4, v[1:2], 0x204
	v_add_f64 v[31:32], v[43:44], v[9:10]
	s_delay_alu instid0(VALU_DEP_4) | instskip(NEXT) | instid1(VALU_DEP_2)
	v_div_fixup_f64 v[29:30], v[29:30], v[51:52], v[39:40]
	v_mul_f64 v[39:40], v[31:32], v[31:32]
	s_delay_alu instid0(VALU_DEP_2) | instskip(NEXT) | instid1(VALU_DEP_2)
	v_mul_f64 v[41:42], v[29:30], v[29:30]
	v_fma_f64 v[45:46], v[39:40], s[26:27], s[24:25]
	v_mul_f64 v[49:50], v[31:32], v[39:40]
	s_delay_alu instid0(VALU_DEP_3) | instskip(NEXT) | instid1(VALU_DEP_3)
	v_fma_f64 v[47:48], v[41:42], s[44:45], s[42:43]
	v_fma_f64 v[45:46], v[39:40], v[45:46], s[28:29]
	s_delay_alu instid0(VALU_DEP_2) | instskip(NEXT) | instid1(VALU_DEP_2)
	v_fma_f64 v[47:48], v[41:42], v[47:48], s[46:47]
	v_fma_f64 v[45:46], v[39:40], v[45:46], s[30:31]
	s_delay_alu instid0(VALU_DEP_2) | instskip(NEXT) | instid1(VALU_DEP_2)
	;; [unrolled: 3-line block ×4, first 2 shown]
	v_fma_f64 v[47:48], v[41:42], v[47:48], s[52:53]
	v_fma_f64 v[39:40], v[39:40], v[45:46], s[90:91]
	s_delay_alu instid0(VALU_DEP_2) | instskip(SKIP_2) | instid1(VALU_DEP_4)
	v_fma_f64 v[45:46], v[41:42], v[47:48], s[54:55]
	v_ldexp_f64 v[47:48], v[31:32], 1
	v_add_f64 v[31:32], v[31:32], -v[43:44]
	v_mul_f64 v[39:40], v[49:50], v[39:40]
	v_cvt_f64_i32_e32 v[49:50], v15
	v_ashrrev_i32_e32 v15, 31, v2
	v_fma_f64 v[45:46], v[41:42], v[45:46], s[56:57]
	v_add_f64 v[9:10], v[9:10], -v[31:32]
	v_add_f64 v[43:44], v[47:48], v[39:40]
	v_mul_f64 v[51:52], v[49:50], s[38:39]
	s_delay_alu instid0(VALU_DEP_4) | instskip(NEXT) | instid1(VALU_DEP_4)
	v_fma_f64 v[45:46], v[41:42], v[45:46], s[58:59]
	v_ldexp_f64 v[9:10], v[9:10], 1
	s_delay_alu instid0(VALU_DEP_4) | instskip(NEXT) | instid1(VALU_DEP_4)
	v_add_f64 v[31:32], v[43:44], -v[47:48]
	v_fma_f64 v[47:48], v[49:50], s[38:39], -v[51:52]
	s_delay_alu instid0(VALU_DEP_4) | instskip(NEXT) | instid1(VALU_DEP_3)
	v_fma_f64 v[45:46], v[41:42], v[45:46], s[60:61]
	v_add_f64 v[31:32], v[39:40], -v[31:32]
	s_delay_alu instid0(VALU_DEP_2) | instskip(NEXT) | instid1(VALU_DEP_4)
	v_fma_f64 v[39:40], v[41:42], v[45:46], s[62:63]
	v_fma_f64 v[45:46], v[49:50], s[40:41], v[47:48]
	s_delay_alu instid0(VALU_DEP_3) | instskip(NEXT) | instid1(VALU_DEP_3)
	v_add_f64 v[9:10], v[9:10], v[31:32]
	v_fma_f64 v[31:32], v[41:42], v[39:40], s[64:65]
	s_delay_alu instid0(VALU_DEP_3) | instskip(NEXT) | instid1(VALU_DEP_3)
	v_add_f64 v[39:40], v[51:52], v[45:46]
	v_add_f64 v[47:48], v[43:44], v[9:10]
	s_delay_alu instid0(VALU_DEP_3) | instskip(NEXT) | instid1(VALU_DEP_3)
	v_fma_f64 v[31:32], v[41:42], v[31:32], s[66:67]
	v_add_f64 v[51:52], v[39:40], -v[51:52]
	s_delay_alu instid0(VALU_DEP_3) | instskip(SKIP_1) | instid1(VALU_DEP_4)
	v_add_f64 v[49:50], v[39:40], v[47:48]
	v_add_f64 v[43:44], v[47:48], -v[43:44]
	v_fma_f64 v[31:32], v[41:42], v[31:32], s[68:69]
	s_delay_alu instid0(VALU_DEP_4) | instskip(NEXT) | instid1(VALU_DEP_4)
	v_add_f64 v[45:46], v[45:46], -v[51:52]
	v_add_f64 v[53:54], v[49:50], -v[39:40]
	s_delay_alu instid0(VALU_DEP_4) | instskip(NEXT) | instid1(VALU_DEP_4)
	v_add_f64 v[9:10], v[9:10], -v[43:44]
	v_fma_f64 v[31:32], v[41:42], v[31:32], s[70:71]
	s_delay_alu instid0(VALU_DEP_3) | instskip(SKIP_1) | instid1(VALU_DEP_4)
	v_add_f64 v[57:58], v[49:50], -v[53:54]
	v_add_f64 v[43:44], v[47:48], -v[53:54]
	v_add_f64 v[47:48], v[45:46], v[9:10]
	s_delay_alu instid0(VALU_DEP_4) | instskip(NEXT) | instid1(VALU_DEP_4)
	v_fma_f64 v[31:32], v[41:42], v[31:32], s[72:73]
	v_add_f64 v[39:40], v[39:40], -v[57:58]
	s_delay_alu instid0(VALU_DEP_2) | instskip(NEXT) | instid1(VALU_DEP_2)
	v_fma_f64 v[31:32], v[41:42], v[31:32], s[74:75]
	v_add_f64 v[39:40], v[43:44], v[39:40]
	v_add_f64 v[43:44], v[47:48], -v[45:46]
	s_delay_alu instid0(VALU_DEP_3) | instskip(NEXT) | instid1(VALU_DEP_3)
	v_fma_f64 v[31:32], v[41:42], v[31:32], s[76:77]
	v_add_f64 v[39:40], v[47:48], v[39:40]
	s_delay_alu instid0(VALU_DEP_3) | instskip(SKIP_1) | instid1(VALU_DEP_4)
	v_add_f64 v[47:48], v[47:48], -v[43:44]
	v_add_f64 v[9:10], v[9:10], -v[43:44]
	v_fma_f64 v[31:32], v[41:42], v[31:32], s[78:79]
	s_delay_alu instid0(VALU_DEP_4) | instskip(NEXT) | instid1(VALU_DEP_4)
	v_add_f64 v[51:52], v[49:50], v[39:40]
	v_add_f64 v[43:44], v[45:46], -v[47:48]
	s_delay_alu instid0(VALU_DEP_3) | instskip(NEXT) | instid1(VALU_DEP_3)
	v_fma_f64 v[31:32], v[41:42], v[31:32], s[80:81]
	v_add_f64 v[45:46], v[51:52], -v[49:50]
	s_delay_alu instid0(VALU_DEP_3) | instskip(NEXT) | instid1(VALU_DEP_3)
	v_add_f64 v[9:10], v[9:10], v[43:44]
	v_mul_f64 v[31:32], v[41:42], v[31:32]
	s_delay_alu instid0(VALU_DEP_3) | instskip(NEXT) | instid1(VALU_DEP_2)
	v_add_f64 v[39:40], v[39:40], -v[45:46]
	v_fma_f64 v[29:30], v[29:30], v[31:32], v[29:30]
	s_delay_alu instid0(VALU_DEP_2) | instskip(NEXT) | instid1(VALU_DEP_2)
	v_add_f64 v[9:10], v[9:10], v[39:40]
	v_add_f64 v[31:32], -v[29:30], s[82:83]
	s_delay_alu instid0(VALU_DEP_2) | instskip(SKIP_1) | instid1(VALU_DEP_1)
	v_add_f64 v[9:10], v[51:52], v[9:10]
	v_and_b32_e32 v14, 0x7fffffff, v14
	v_cmp_eq_f64_e32 vcc_lo, 0x7ff00000, v[13:14]
	s_delay_alu instid0(VALU_DEP_4) | instskip(SKIP_2) | instid1(VALU_DEP_2)
	v_cndmask_b32_e64 v14, v30, v32, s2
	v_cndmask_b32_e64 v13, v29, v31, s2
	v_cmp_eq_f64_e64 s2, 0, v[3:4]
	v_add_f64 v[29:30], -v[13:14], s[12:13]
	s_and_b32 vcc_lo, s3, vcc_lo
	v_cmp_class_f64_e64 s3, v[3:4], 0x204
	v_cndmask_b32_e32 v9, v9, v7, vcc_lo
	v_cndmask_b32_e32 v10, v10, v11, vcc_lo
	v_cmp_gt_i32_e32 vcc_lo, 0, v2
	v_and_b32_e32 v11, 0x54442d18, v15
	v_and_b32_e32 v2, 0x400921fb, v15
	v_dual_cndmask_b32 v14, v14, v30 :: v_dual_cndmask_b32 v13, v13, v29
	v_add_f64 v[9:10], v[9:10], 1.0
	v_cndmask_b32_e32 v7, 0x54442d18, v55, vcc_lo
	v_cndmask_b32_e32 v1, 0x3fe921fb, v56, vcc_lo
	s_delay_alu instid0(VALU_DEP_4)
	v_cndmask_b32_e64 v2, v14, v2, s2
	v_cndmask_b32_e64 v11, v13, v11, s2
	v_cmp_nge_f64_e64 s2, 0, v[5:6]
	v_cmp_ngt_f64_e32 vcc_lo, 0, v[5:6]
	v_bfi_b32 v1, 0x7fffffff, v1, v4
	v_cndmask_b32_e64 v9, v9, 0, s6
	v_cndmask_b32_e64 v10, v10, 0x7ff00000, s6
	s_delay_alu instid0(VALU_DEP_2) | instskip(SKIP_1) | instid1(VALU_DEP_3)
	v_cndmask_b32_e64 v29, 0, v9, s2
	v_cmp_neq_f64_e64 s2, 0, v[5:6]
	v_cndmask_b32_e32 v10, 0x7ff80000, v10, vcc_lo
	s_and_b32 vcc_lo, s4, s3
	v_dual_cndmask_b32 v32, v2, v1 :: v_dual_cndmask_b32 v31, v11, v7
	s_delay_alu instid0(VALU_DEP_2)
	v_cndmask_b32_e64 v30, 0xfff00000, v10, s2
.LBB168_134:                            ;   in Loop: Header=BB168_5 Depth=1
	s_or_b32 exec_lo, exec_lo, s5
.LBB168_135:                            ;   in Loop: Header=BB168_5 Depth=1
	s_and_not1_saveexec_b32 s2, s95
	s_cbranch_execz .LBB168_4
; %bb.136:                              ;   in Loop: Header=BB168_5 Depth=1
	v_cmp_ngt_f64_e64 s3, 0x20000000, |v[1:2]|
	v_cmp_ngt_f64_e64 s4, 0x20000000, |v[3:4]|
                                        ; implicit-def: $vgpr5_vgpr6
	s_delay_alu instid0(VALU_DEP_1) | instskip(NEXT) | instid1(SALU_CYCLE_1)
	s_or_b32 s3, s3, s4
	s_and_saveexec_b32 s4, s3
	s_delay_alu instid0(SALU_CYCLE_1)
	s_xor_b32 s3, exec_lo, s4
; %bb.137:                              ;   in Loop: Header=BB168_5 Depth=1
	v_mul_f64 v[5:6], v[3:4], v[3:4]
	s_delay_alu instid0(VALU_DEP_1)
	v_fma_f64 v[5:6], v[1:2], v[1:2], v[5:6]
; %bb.138:                              ;   in Loop: Header=BB168_5 Depth=1
	s_and_not1_saveexec_b32 s3, s3
	s_cbranch_execz .LBB168_3
; %bb.139:                              ;   in Loop: Header=BB168_5 Depth=1
	v_mul_f64 v[5:6], v[3:4], 4.0
	v_mul_f64 v[1:2], v[1:2], 4.0
	s_delay_alu instid0(VALU_DEP_2) | instskip(NEXT) | instid1(VALU_DEP_1)
	v_mul_f64 v[5:6], v[5:6], v[5:6]
	v_fma_f64 v[1:2], v[1:2], v[1:2], v[5:6]
	s_delay_alu instid0(VALU_DEP_1)
	v_ldexp_f64 v[5:6], v[1:2], -4
	s_branch .LBB168_3
.LBB168_140:
	s_or_b32 exec_lo, exec_lo, s92
	s_mov_b32 s2, 0
.LBB168_141:
	s_delay_alu instid0(SALU_CYCLE_1)
	s_and_not1_b32 vcc_lo, exec_lo, s2
	s_cbranch_vccnz .LBB168_297
; %bb.142:
	v_cmp_lt_i64_e64 s2, s[16:17], 1
	s_delay_alu instid0(VALU_DEP_1)
	s_and_b32 vcc_lo, exec_lo, s2
	s_cbranch_vccnz .LBB168_297
; %bb.143:
	s_load_b32 s0, s[0:1], 0xc5c
	v_cmp_gt_u64_e64 s1, 0x10000, s[16:17]
	v_dual_mov_b32 v33, 0 :: v_dual_mov_b32 v60, 0x4002d97c
	v_mov_b32_e32 v59, 0x7f3321d2
	s_mov_b32 s18, 0x85ebc8a0
	s_mov_b32 s12, 0x4ad4b81f
	;; [unrolled: 1-line block ×15, first 2 shown]
	s_waitcnt lgkmcnt(0)
	s_and_b32 s101, s0, 0xffff
	s_and_b32 s0, s1, exec_lo
	s_mov_b32 s54, 0xa595c56f
	s_mov_b32 s56, 0xa57d9582
	;; [unrolled: 1-line block ×24, first 2 shown]
	s_cselect_b32 s31, s17, 0
	s_cselect_b32 s30, s16, 0x10000
	s_lshl_b32 s102, s101, 1
	s_mul_i32 s103, s101, 3
	s_lshl_b32 s104, s101, 2
	s_mov_b32 s35, 0x3fc7474d
	s_mov_b32 s37, 0x3fcc71c0
	;; [unrolled: 1-line block ×29, first 2 shown]
	s_mov_b64 s[94:95], 0
	s_mov_b32 s96, 0x55555780
	s_mov_b32 s15, 0x400921fb
	s_branch .LBB168_145
.LBB168_144:                            ;   in Loop: Header=BB168_145 Depth=1
	s_or_b32 exec_lo, exec_lo, s0
	s_add_u32 s94, s94, s104
	s_addc_u32 s95, s95, 0
	s_delay_alu instid0(SALU_CYCLE_1) | instskip(SKIP_1) | instid1(VALU_DEP_1)
	v_cmp_ge_i64_e64 s0, s[94:95], s[16:17]
	v_cmp_lt_u64_e64 s1, 0xffff, s[94:95]
	s_or_b32 s0, s0, s1
	s_delay_alu instid0(SALU_CYCLE_1)
	s_and_b32 vcc_lo, exec_lo, s0
	s_cbranch_vccnz .LBB168_297
.LBB168_145:                            ; =>This Loop Header: Depth=1
                                        ;     Child Loop BB168_164 Depth 2
                                        ;     Child Loop BB168_198 Depth 2
	;; [unrolled: 1-line block ×4, first 2 shown]
	v_add_co_u32 v35, s0, s94, v0
	s_delay_alu instid0(VALU_DEP_1) | instskip(SKIP_2) | instid1(VALU_DEP_3)
	v_add_co_ci_u32_e64 v36, null, s95, 0, s0
	v_mov_b32_e32 v3, 0
	v_mov_b32_e32 v4, 0
	v_cmp_gt_u64_e64 s0, s[30:31], v[35:36]
	s_delay_alu instid0(VALU_DEP_2) | instskip(SKIP_1) | instid1(VALU_DEP_3)
	v_dual_mov_b32 v8, v4 :: v_dual_mov_b32 v7, v3
	v_dual_mov_b32 v6, v4 :: v_dual_mov_b32 v5, v3
	s_and_saveexec_b32 s1, s0
	s_cbranch_execz .LBB168_147
; %bb.146:                              ;   in Loop: Header=BB168_145 Depth=1
	v_lshlrev_b64 v[1:2], 4, v[35:36]
	s_delay_alu instid0(VALU_DEP_1) | instskip(NEXT) | instid1(VALU_DEP_2)
	v_add_co_u32 v1, vcc_lo, s33, v1
	v_add_co_ci_u32_e32 v2, vcc_lo, s98, v2, vcc_lo
	global_load_b128 v[5:8], v[1:2], off
.LBB168_147:                            ;   in Loop: Header=BB168_145 Depth=1
	s_or_b32 exec_lo, exec_lo, s1
	v_add_co_u32 v37, vcc_lo, v35, s101
	v_add_co_ci_u32_e32 v38, vcc_lo, 0, v36, vcc_lo
	v_dual_mov_b32 v1, v3 :: v_dual_mov_b32 v2, v4
	s_delay_alu instid0(VALU_DEP_2) | instskip(NEXT) | instid1(VALU_DEP_1)
	v_cmp_gt_u64_e64 s1, s[30:31], v[37:38]
	s_and_saveexec_b32 s2, s1
	s_cbranch_execz .LBB168_149
; %bb.148:                              ;   in Loop: Header=BB168_145 Depth=1
	v_lshlrev_b64 v[1:2], 4, v[37:38]
	s_delay_alu instid0(VALU_DEP_1) | instskip(NEXT) | instid1(VALU_DEP_2)
	v_add_co_u32 v1, vcc_lo, s33, v1
	v_add_co_ci_u32_e32 v2, vcc_lo, s98, v2, vcc_lo
	global_load_b128 v[1:4], v[1:2], off
.LBB168_149:                            ;   in Loop: Header=BB168_145 Depth=1
	s_or_b32 exec_lo, exec_lo, s2
	v_add_co_u32 v39, vcc_lo, v35, s102
	v_add_co_ci_u32_e32 v40, vcc_lo, 0, v36, vcc_lo
	v_mov_b32_e32 v11, 0
	v_mov_b32_e32 v12, 0
	s_delay_alu instid0(VALU_DEP_3) | instskip(NEXT) | instid1(VALU_DEP_2)
	v_cmp_gt_u64_e64 s2, s[30:31], v[39:40]
	v_dual_mov_b32 v16, v12 :: v_dual_mov_b32 v15, v11
	v_dual_mov_b32 v14, v12 :: v_dual_mov_b32 v13, v11
	s_delay_alu instid0(VALU_DEP_3)
	s_and_saveexec_b32 s3, s2
	s_cbranch_execz .LBB168_151
; %bb.150:                              ;   in Loop: Header=BB168_145 Depth=1
	v_lshlrev_b64 v[9:10], 4, v[39:40]
	s_delay_alu instid0(VALU_DEP_1) | instskip(NEXT) | instid1(VALU_DEP_2)
	v_add_co_u32 v9, vcc_lo, s33, v9
	v_add_co_ci_u32_e32 v10, vcc_lo, s98, v10, vcc_lo
	global_load_b128 v[13:16], v[9:10], off
.LBB168_151:                            ;   in Loop: Header=BB168_145 Depth=1
	s_or_b32 exec_lo, exec_lo, s3
	v_add_co_u32 v41, vcc_lo, v35, s103
	v_add_co_ci_u32_e32 v42, vcc_lo, 0, v36, vcc_lo
	v_dual_mov_b32 v9, v11 :: v_dual_mov_b32 v10, v12
	s_delay_alu instid0(VALU_DEP_2) | instskip(NEXT) | instid1(VALU_DEP_1)
	v_cmp_gt_u64_e64 s3, s[30:31], v[41:42]
	s_and_saveexec_b32 s4, s3
	s_cbranch_execz .LBB168_153
; %bb.152:                              ;   in Loop: Header=BB168_145 Depth=1
	v_lshlrev_b64 v[9:10], 4, v[41:42]
	s_delay_alu instid0(VALU_DEP_1) | instskip(NEXT) | instid1(VALU_DEP_2)
	v_add_co_u32 v9, vcc_lo, s33, v9
	v_add_co_ci_u32_e32 v10, vcc_lo, s98, v10, vcc_lo
	global_load_b128 v[9:12], v[9:10], off
.LBB168_153:                            ;   in Loop: Header=BB168_145 Depth=1
	s_or_b32 exec_lo, exec_lo, s4
                                        ; implicit-def: $vgpr17_vgpr18
	s_delay_alu instid0(SALU_CYCLE_1)
	s_mov_b32 s4, exec_lo
	s_waitcnt vmcnt(0)
	v_cmpx_o_f64_e32 v[5:6], v[7:8]
	s_xor_b32 vcc_hi, exec_lo, s4
	s_cbranch_execz .LBB168_181
; %bb.154:                              ;   in Loop: Header=BB168_145 Depth=1
	v_cmp_lt_f64_e64 s4, |v[5:6]|, |v[7:8]|
	v_and_b32_e32 v19, 0x7fffffff, v6
	v_dual_mov_b32 v23, v7 :: v_dual_and_b32 v20, 0x7fffffff, v8
                                        ; implicit-def: $vgpr17_vgpr18
	s_mov_b32 s5, exec_lo
	s_delay_alu instid0(VALU_DEP_1) | instskip(NEXT) | instid1(VALU_DEP_2)
	v_cndmask_b32_e64 v22, v20, v19, s4
	v_cndmask_b32_e64 v21, v23, v5, s4
	s_delay_alu instid0(VALU_DEP_1)
	v_cmpx_nlt_f64_e32 s[18:19], v[21:22]
	s_xor_b32 s88, exec_lo, s5
	s_cbranch_execz .LBB168_178
; %bb.155:                              ;   in Loop: Header=BB168_145 Depth=1
	v_cndmask_b32_e64 v24, v19, v20, s4
	v_cndmask_b32_e64 v23, v5, v23, s4
                                        ; implicit-def: $vgpr17_vgpr18
	s_mov_b32 s5, exec_lo
	s_delay_alu instid0(VALU_DEP_1)
	v_cmpx_neq_f64_e32 1.0, v[23:24]
	s_xor_b32 s89, exec_lo, s5
	s_cbranch_execz .LBB168_171
; %bb.156:                              ;   in Loop: Header=BB168_145 Depth=1
	v_max_f64 v[17:18], v[21:22], v[21:22]
	v_max_f64 v[19:20], v[23:24], v[23:24]
	s_mov_b32 s6, 0xc57e649a
	s_mov_b32 s7, 0x4a511b0e
	s_delay_alu instid0(VALU_DEP_1) | instskip(SKIP_1) | instid1(VALU_DEP_2)
	v_min_f64 v[25:26], v[19:20], v[17:18]
	v_max_f64 v[17:18], v[19:20], v[17:18]
	v_cmp_ngt_f64_e32 vcc_lo, s[12:13], v[25:26]
	s_delay_alu instid0(VALU_DEP_2) | instskip(NEXT) | instid1(VALU_DEP_1)
	v_cmp_nlt_f64_e64 s5, s[6:7], v[17:18]
                                        ; implicit-def: $vgpr17_vgpr18
	s_and_b32 s5, s5, vcc_lo
	s_delay_alu instid0(SALU_CYCLE_1) | instskip(NEXT) | instid1(SALU_CYCLE_1)
	s_and_saveexec_b32 s6, s5
	s_xor_b32 s20, exec_lo, s6
	s_cbranch_execz .LBB168_168
; %bb.157:                              ;   in Loop: Header=BB168_145 Depth=1
                                        ; implicit-def: $vgpr17_vgpr18
	s_mov_b32 s5, exec_lo
	v_cmpx_le_f64_e32 1.0, v[23:24]
	s_xor_b32 s6, exec_lo, s5
	s_cbranch_execz .LBB168_159
; %bb.158:                              ;   in Loop: Header=BB168_145 Depth=1
	v_add_f64 v[17:18], v[23:24], -1.0
	v_add_f64 v[19:20], v[23:24], 1.0
	s_mov_b32 s97, s25
	s_mov_b32 s14, s86
	v_cmp_gt_i32_e64 s5, 0, v6
	v_cmp_class_f64_e64 s8, v[5:6], 0x204
	v_cmp_class_f64_e64 s7, v[7:8], 0x204
	s_delay_alu instid0(VALU_DEP_4) | instskip(NEXT) | instid1(VALU_DEP_1)
	v_mul_f64 v[17:18], v[17:18], v[19:20]
	v_fma_f64 v[18:19], v[21:22], v[21:22], v[17:18]
	s_delay_alu instid0(VALU_DEP_1) | instskip(NEXT) | instid1(VALU_DEP_1)
	v_add_f64 v[20:21], v[18:19], 1.0
	v_frexp_mant_f64_e32 v[22:23], v[20:21]
	v_frexp_exp_i32_f64_e32 v17, v[20:21]
	v_add_f64 v[24:25], v[20:21], -1.0
	s_delay_alu instid0(VALU_DEP_3) | instskip(NEXT) | instid1(VALU_DEP_2)
	v_cmp_gt_f64_e32 vcc_lo, s[24:25], v[22:23]
	v_add_f64 v[22:23], v[24:25], -v[20:21]
	v_add_f64 v[24:25], v[18:19], -v[24:25]
	v_subrev_co_ci_u32_e32 v17, vcc_lo, 0, v17, vcc_lo
	s_delay_alu instid0(VALU_DEP_3) | instskip(NEXT) | instid1(VALU_DEP_2)
	v_add_f64 v[22:23], v[22:23], 1.0
	v_sub_nc_u32_e32 v28, 0, v17
	s_delay_alu instid0(VALU_DEP_1) | instskip(NEXT) | instid1(VALU_DEP_3)
	v_ldexp_f64 v[20:21], v[20:21], v28
	v_add_f64 v[22:23], v[24:25], v[22:23]
	s_delay_alu instid0(VALU_DEP_2) | instskip(SKIP_1) | instid1(VALU_DEP_3)
	v_add_f64 v[26:27], v[20:21], 1.0
	v_add_f64 v[43:44], v[20:21], -1.0
	v_ldexp_f64 v[22:23], v[22:23], v28
	s_delay_alu instid0(VALU_DEP_3) | instskip(NEXT) | instid1(VALU_DEP_3)
	v_add_f64 v[24:25], v[26:27], -1.0
	v_add_f64 v[45:46], v[43:44], 1.0
	s_delay_alu instid0(VALU_DEP_2) | instskip(NEXT) | instid1(VALU_DEP_2)
	v_add_f64 v[24:25], v[20:21], -v[24:25]
	v_add_f64 v[20:21], v[20:21], -v[45:46]
	s_delay_alu instid0(VALU_DEP_2) | instskip(NEXT) | instid1(VALU_DEP_2)
	v_add_f64 v[24:25], v[22:23], v[24:25]
	v_add_f64 v[20:21], v[22:23], v[20:21]
	s_delay_alu instid0(VALU_DEP_2) | instskip(NEXT) | instid1(VALU_DEP_2)
	v_add_f64 v[28:29], v[26:27], v[24:25]
	v_add_f64 v[45:46], v[43:44], v[20:21]
	s_delay_alu instid0(VALU_DEP_2) | instskip(SKIP_1) | instid1(VALU_DEP_2)
	v_rcp_f64_e32 v[30:31], v[28:29]
	v_add_f64 v[26:27], v[28:29], -v[26:27]
	v_add_f64 v[43:44], v[45:46], -v[43:44]
	s_delay_alu instid0(VALU_DEP_2) | instskip(SKIP_3) | instid1(VALU_DEP_2)
	v_add_f64 v[24:25], v[24:25], -v[26:27]
	s_waitcnt_depctr 0xfff
	v_fma_f64 v[47:48], -v[28:29], v[30:31], 1.0
	v_add_f64 v[20:21], v[20:21], -v[43:44]
	v_fma_f64 v[30:31], v[47:48], v[30:31], v[30:31]
	s_delay_alu instid0(VALU_DEP_1) | instskip(NEXT) | instid1(VALU_DEP_1)
	v_fma_f64 v[22:23], -v[28:29], v[30:31], 1.0
	v_fma_f64 v[22:23], v[22:23], v[30:31], v[30:31]
	s_delay_alu instid0(VALU_DEP_1) | instskip(NEXT) | instid1(VALU_DEP_1)
	v_mul_f64 v[30:31], v[45:46], v[22:23]
	v_mul_f64 v[47:48], v[28:29], v[30:31]
	s_delay_alu instid0(VALU_DEP_1) | instskip(NEXT) | instid1(VALU_DEP_1)
	v_fma_f64 v[26:27], v[30:31], v[28:29], -v[47:48]
	v_fma_f64 v[26:27], v[30:31], v[24:25], v[26:27]
	s_delay_alu instid0(VALU_DEP_1) | instskip(NEXT) | instid1(VALU_DEP_1)
	v_add_f64 v[49:50], v[47:48], v[26:27]
	v_add_f64 v[51:52], v[45:46], -v[49:50]
	v_add_f64 v[43:44], v[49:50], -v[47:48]
	v_max_f64 v[47:48], |v[7:8]|, |v[7:8]|
	s_delay_alu instid0(VALU_DEP_3) | instskip(NEXT) | instid1(VALU_DEP_3)
	v_add_f64 v[45:46], v[45:46], -v[51:52]
	v_add_f64 v[26:27], v[43:44], -v[26:27]
	s_delay_alu instid0(VALU_DEP_2) | instskip(SKIP_2) | instid1(VALU_DEP_1)
	v_add_f64 v[45:46], v[45:46], -v[49:50]
	v_max_f64 v[49:50], |v[5:6]|, |v[5:6]|
	v_cndmask_b32_e64 v5, 0x3fe921fb, v60, s5
	v_bfi_b32 v5, 0x7fffffff, v5, v8
	s_delay_alu instid0(VALU_DEP_4) | instskip(NEXT) | instid1(VALU_DEP_4)
	v_add_f64 v[20:21], v[20:21], v[45:46]
	v_max_f64 v[53:54], v[49:50], v[47:48]
	v_min_f64 v[47:48], v[49:50], v[47:48]
	s_delay_alu instid0(VALU_DEP_3) | instskip(NEXT) | instid1(VALU_DEP_1)
	v_add_f64 v[20:21], v[26:27], v[20:21]
	v_add_f64 v[26:27], v[51:52], v[20:21]
	s_delay_alu instid0(VALU_DEP_1) | instskip(SKIP_1) | instid1(VALU_DEP_2)
	v_mul_f64 v[43:44], v[22:23], v[26:27]
	v_add_f64 v[51:52], v[51:52], -v[26:27]
	v_mul_f64 v[45:46], v[28:29], v[43:44]
	s_delay_alu instid0(VALU_DEP_2) | instskip(NEXT) | instid1(VALU_DEP_2)
	v_add_f64 v[20:21], v[20:21], v[51:52]
	v_fma_f64 v[28:29], v[43:44], v[28:29], -v[45:46]
	s_delay_alu instid0(VALU_DEP_1) | instskip(SKIP_1) | instid1(VALU_DEP_2)
	v_fma_f64 v[24:25], v[43:44], v[24:25], v[28:29]
	v_div_scale_f64 v[28:29], null, v[53:54], v[53:54], v[47:48]
	v_add_f64 v[49:50], v[45:46], v[24:25]
	s_delay_alu instid0(VALU_DEP_2) | instskip(NEXT) | instid1(VALU_DEP_1)
	v_rcp_f64_e32 v[55:56], v[28:29]
	v_add_f64 v[57:58], v[26:27], -v[49:50]
	v_add_f64 v[45:46], v[49:50], -v[45:46]
	s_waitcnt_depctr 0xfff
	v_fma_f64 v[61:62], -v[28:29], v[55:56], 1.0
	v_add_f64 v[26:27], v[26:27], -v[57:58]
	v_add_f64 v[24:25], v[45:46], -v[24:25]
	s_delay_alu instid0(VALU_DEP_3) | instskip(NEXT) | instid1(VALU_DEP_3)
	v_fma_f64 v[55:56], v[55:56], v[61:62], v[55:56]
	v_add_f64 v[26:27], v[26:27], -v[49:50]
	s_delay_alu instid0(VALU_DEP_2) | instskip(NEXT) | instid1(VALU_DEP_2)
	v_fma_f64 v[49:50], -v[28:29], v[55:56], 1.0
	v_add_f64 v[20:21], v[20:21], v[26:27]
	v_div_scale_f64 v[26:27], vcc_lo, v[47:48], v[53:54], v[47:48]
	s_delay_alu instid0(VALU_DEP_3) | instskip(SKIP_1) | instid1(VALU_DEP_4)
	v_fma_f64 v[45:46], v[55:56], v[49:50], v[55:56]
	v_add_f64 v[49:50], v[30:31], v[43:44]
	v_add_f64 v[20:21], v[24:25], v[20:21]
	s_delay_alu instid0(VALU_DEP_3) | instskip(NEXT) | instid1(VALU_DEP_3)
	v_mul_f64 v[24:25], v[26:27], v[45:46]
	v_add_f64 v[30:31], v[49:50], -v[30:31]
	s_delay_alu instid0(VALU_DEP_3) | instskip(NEXT) | instid1(VALU_DEP_3)
	v_add_f64 v[20:21], v[57:58], v[20:21]
	v_fma_f64 v[26:27], -v[28:29], v[24:25], v[26:27]
	s_delay_alu instid0(VALU_DEP_3) | instskip(NEXT) | instid1(VALU_DEP_3)
	v_add_f64 v[28:29], v[43:44], -v[30:31]
	v_mul_f64 v[20:21], v[22:23], v[20:21]
	s_delay_alu instid0(VALU_DEP_3) | instskip(SKIP_1) | instid1(VALU_DEP_3)
	v_div_fmas_f64 v[22:23], v[26:27], v[45:46], v[24:25]
	v_cmp_eq_f64_e32 vcc_lo, 0x7ff00000, v[18:19]
	v_add_f64 v[20:21], v[28:29], v[20:21]
	s_delay_alu instid0(VALU_DEP_3) | instskip(NEXT) | instid1(VALU_DEP_2)
	v_div_fixup_f64 v[22:23], v[22:23], v[53:54], v[47:48]
	v_add_f64 v[24:25], v[49:50], v[20:21]
	s_delay_alu instid0(VALU_DEP_2) | instskip(NEXT) | instid1(VALU_DEP_2)
	v_mul_f64 v[26:27], v[22:23], v[22:23]
	v_mul_f64 v[28:29], v[24:25], v[24:25]
	s_delay_alu instid0(VALU_DEP_2) | instskip(NEXT) | instid1(VALU_DEP_2)
	v_fma_f64 v[30:31], v[26:27], s[48:49], s[46:47]
	v_fma_f64 v[43:44], v[28:29], s[28:29], s[26:27]
	v_mul_f64 v[45:46], v[24:25], v[28:29]
	s_delay_alu instid0(VALU_DEP_3) | instskip(NEXT) | instid1(VALU_DEP_3)
	v_fma_f64 v[30:31], v[26:27], v[30:31], s[50:51]
	v_fma_f64 v[43:44], v[28:29], v[43:44], s[34:35]
	s_delay_alu instid0(VALU_DEP_2) | instskip(NEXT) | instid1(VALU_DEP_2)
	v_fma_f64 v[30:31], v[26:27], v[30:31], s[52:53]
	v_fma_f64 v[43:44], v[28:29], v[43:44], s[36:37]
	s_delay_alu instid0(VALU_DEP_2) | instskip(NEXT) | instid1(VALU_DEP_2)
	;; [unrolled: 3-line block ×4, first 2 shown]
	v_fma_f64 v[30:31], v[26:27], v[30:31], s[58:59]
	v_fma_f64 v[28:29], v[28:29], v[43:44], s[96:97]
	v_ldexp_f64 v[43:44], v[24:25], 1
	v_add_f64 v[24:25], v[24:25], -v[49:50]
	s_delay_alu instid0(VALU_DEP_4) | instskip(NEXT) | instid1(VALU_DEP_4)
	v_fma_f64 v[30:31], v[26:27], v[30:31], s[60:61]
	v_mul_f64 v[28:29], v[45:46], v[28:29]
	v_cvt_f64_i32_e32 v[45:46], v17
	s_delay_alu instid0(VALU_DEP_4) | instskip(NEXT) | instid1(VALU_DEP_4)
	v_add_f64 v[20:21], v[20:21], -v[24:25]
	v_fma_f64 v[30:31], v[26:27], v[30:31], s[62:63]
	v_ashrrev_i32_e32 v17, 31, v6
	s_delay_alu instid0(VALU_DEP_1) | instskip(SKIP_4) | instid1(VALU_DEP_4)
	v_and_b32_e32 v6, 0x400921fb, v17
	v_add_f64 v[47:48], v[43:44], v[28:29]
	v_mul_f64 v[49:50], v[45:46], s[42:43]
	v_ldexp_f64 v[20:21], v[20:21], 1
	v_fma_f64 v[30:31], v[26:27], v[30:31], s[64:65]
	v_add_f64 v[24:25], v[47:48], -v[43:44]
	s_delay_alu instid0(VALU_DEP_4) | instskip(NEXT) | instid1(VALU_DEP_3)
	v_fma_f64 v[43:44], v[45:46], s[42:43], -v[49:50]
	v_fma_f64 v[30:31], v[26:27], v[30:31], s[66:67]
	s_delay_alu instid0(VALU_DEP_3) | instskip(NEXT) | instid1(VALU_DEP_2)
	v_add_f64 v[24:25], v[28:29], -v[24:25]
	v_fma_f64 v[28:29], v[26:27], v[30:31], s[68:69]
	s_delay_alu instid0(VALU_DEP_4) | instskip(NEXT) | instid1(VALU_DEP_3)
	v_fma_f64 v[30:31], v[45:46], s[44:45], v[43:44]
	v_add_f64 v[20:21], v[20:21], v[24:25]
	s_delay_alu instid0(VALU_DEP_3) | instskip(NEXT) | instid1(VALU_DEP_3)
	v_fma_f64 v[24:25], v[26:27], v[28:29], s[70:71]
	v_add_f64 v[28:29], v[49:50], v[30:31]
	s_delay_alu instid0(VALU_DEP_3) | instskip(NEXT) | instid1(VALU_DEP_3)
	v_add_f64 v[43:44], v[47:48], v[20:21]
	v_fma_f64 v[24:25], v[26:27], v[24:25], s[72:73]
	s_delay_alu instid0(VALU_DEP_3) | instskip(NEXT) | instid1(VALU_DEP_3)
	v_add_f64 v[49:50], v[28:29], -v[49:50]
	v_add_f64 v[45:46], v[28:29], v[43:44]
	v_add_f64 v[47:48], v[43:44], -v[47:48]
	s_delay_alu instid0(VALU_DEP_4) | instskip(NEXT) | instid1(VALU_DEP_4)
	v_fma_f64 v[24:25], v[26:27], v[24:25], s[74:75]
	v_add_f64 v[30:31], v[30:31], -v[49:50]
	s_delay_alu instid0(VALU_DEP_4) | instskip(NEXT) | instid1(VALU_DEP_4)
	v_add_f64 v[51:52], v[45:46], -v[28:29]
	v_add_f64 v[20:21], v[20:21], -v[47:48]
	s_delay_alu instid0(VALU_DEP_4) | instskip(NEXT) | instid1(VALU_DEP_3)
	v_fma_f64 v[24:25], v[26:27], v[24:25], s[76:77]
	v_add_f64 v[53:54], v[45:46], -v[51:52]
	v_add_f64 v[43:44], v[43:44], -v[51:52]
	s_delay_alu instid0(VALU_DEP_4) | instskip(NEXT) | instid1(VALU_DEP_4)
	v_add_f64 v[47:48], v[30:31], v[20:21]
	v_fma_f64 v[24:25], v[26:27], v[24:25], s[78:79]
	s_delay_alu instid0(VALU_DEP_4) | instskip(NEXT) | instid1(VALU_DEP_2)
	v_add_f64 v[28:29], v[28:29], -v[53:54]
	v_fma_f64 v[24:25], v[26:27], v[24:25], s[80:81]
	s_delay_alu instid0(VALU_DEP_2) | instskip(SKIP_1) | instid1(VALU_DEP_3)
	v_add_f64 v[28:29], v[43:44], v[28:29]
	v_add_f64 v[43:44], v[47:48], -v[30:31]
	v_fma_f64 v[24:25], v[26:27], v[24:25], s[82:83]
	s_delay_alu instid0(VALU_DEP_3) | instskip(NEXT) | instid1(VALU_DEP_3)
	v_add_f64 v[28:29], v[47:48], v[28:29]
	v_add_f64 v[47:48], v[47:48], -v[43:44]
	v_add_f64 v[20:21], v[20:21], -v[43:44]
	s_delay_alu instid0(VALU_DEP_4) | instskip(NEXT) | instid1(VALU_DEP_4)
	v_fma_f64 v[24:25], v[26:27], v[24:25], s[84:85]
	v_add_f64 v[49:50], v[45:46], v[28:29]
	s_delay_alu instid0(VALU_DEP_2) | instskip(SKIP_1) | instid1(VALU_DEP_3)
	v_mul_f64 v[24:25], v[26:27], v[24:25]
	v_add_f64 v[26:27], v[30:31], -v[47:48]
	v_add_f64 v[30:31], v[49:50], -v[45:46]
	s_delay_alu instid0(VALU_DEP_3) | instskip(NEXT) | instid1(VALU_DEP_3)
	v_fma_f64 v[22:23], v[22:23], v[24:25], v[22:23]
	v_add_f64 v[20:21], v[20:21], v[26:27]
	s_delay_alu instid0(VALU_DEP_3) | instskip(NEXT) | instid1(VALU_DEP_3)
	v_add_f64 v[24:25], v[28:29], -v[30:31]
	v_add_f64 v[26:27], -v[22:23], s[86:87]
	s_delay_alu instid0(VALU_DEP_2) | instskip(NEXT) | instid1(VALU_DEP_2)
	v_add_f64 v[20:21], v[20:21], v[24:25]
	v_cndmask_b32_e64 v23, v23, v27, s4
	s_delay_alu instid0(VALU_DEP_3) | instskip(SKIP_1) | instid1(VALU_DEP_2)
	v_cndmask_b32_e64 v22, v22, v26, s4
	v_cndmask_b32_e64 v26, 0x54442d18, v59, s5
	v_add_f64 v[24:25], -v[22:23], s[14:15]
	v_add_f64 v[20:21], v[49:50], v[20:21]
	v_and_b32_e32 v27, 0x54442d18, v17
	s_delay_alu instid0(VALU_DEP_3) | instskip(NEXT) | instid1(VALU_DEP_4)
	v_cndmask_b32_e64 v24, v22, v24, s5
	v_cndmask_b32_e64 v17, v23, v25, s5
	v_cmp_nge_f64_e64 s5, -1.0, v[18:19]
	v_dual_cndmask_b32 v20, v20, v18 :: v_dual_cndmask_b32 v21, v21, v19
	v_cmp_eq_f64_e32 vcc_lo, 0, v[7:8]
	s_delay_alu instid0(VALU_DEP_2) | instskip(SKIP_2) | instid1(VALU_DEP_3)
	v_mul_f64 v[21:22], v[20:21], 0.5
	v_dual_cndmask_b32 v23, v24, v27 :: v_dual_cndmask_b32 v6, v17, v6
	v_cmp_ngt_f64_e32 vcc_lo, -1.0, v[18:19]
	v_cndmask_b32_e64 v17, 0, v21, s5
	v_cmp_neq_f64_e64 s5, -1.0, v[18:19]
	v_cndmask_b32_e32 v22, 0x7ff80000, v22, vcc_lo
	s_and_b32 vcc_lo, s7, s8
	v_dual_cndmask_b32 v20, v6, v5 :: v_dual_cndmask_b32 v19, v23, v26
	s_delay_alu instid0(VALU_DEP_2)
	v_cndmask_b32_e64 v18, 0xfff00000, v22, s5
                                        ; implicit-def: $vgpr21_vgpr22
                                        ; implicit-def: $vgpr23_vgpr24
.LBB168_159:                            ;   in Loop: Header=BB168_145 Depth=1
	s_and_not1_saveexec_b32 s21, s6
	s_cbranch_execz .LBB168_167
; %bb.160:                              ;   in Loop: Header=BB168_145 Depth=1
	v_mul_f64 v[17:18], v[21:22], v[21:22]
	s_mov_b32 s6, 0x66666666
	s_mov_b32 s7, 0x3fe66666
	s_mov_b32 s5, exec_lo
	s_delay_alu instid0(VALU_DEP_1) | instskip(NEXT) | instid1(VALU_DEP_1)
	v_fma_f64 v[19:20], v[23:24], v[23:24], v[17:18]
                                        ; implicit-def: $vgpr17_vgpr18
	v_cmpx_ge_f64_e32 s[6:7], v[19:20]
	s_xor_b32 s7, exec_lo, s5
	s_cbranch_execz .LBB168_162
; %bb.161:                              ;   in Loop: Header=BB168_145 Depth=1
	v_frexp_mant_f64_e32 v[17:18], v[19:20]
	v_max_f64 v[29:30], |v[5:6]|, |v[5:6]|
	s_mov_b32 s97, s25
	s_mov_b32 s14, s86
	v_cmp_class_f64_e64 s8, v[7:8], 0x204
	v_cmp_class_f64_e64 s9, v[5:6], 0x204
	v_cmp_neq_f64_e64 s6, 0, v[19:20]
	v_cmp_gt_f64_e64 s5, s[24:25], v[17:18]
	s_delay_alu instid0(VALU_DEP_1) | instskip(NEXT) | instid1(VALU_DEP_1)
	v_cndmask_b32_e64 v34, 0x3ff00000, 2.0, s5
	v_mul_f64 v[17:18], v[17:18], v[33:34]
	v_frexp_exp_i32_f64_e32 v34, v[19:20]
	s_delay_alu instid0(VALU_DEP_2) | instskip(SKIP_1) | instid1(VALU_DEP_2)
	v_add_f64 v[21:22], v[17:18], 1.0
	v_add_f64 v[27:28], v[17:18], -1.0
	v_rcp_f64_e32 v[23:24], v[21:22]
	s_waitcnt_depctr 0xfff
	v_fma_f64 v[25:26], -v[21:22], v[23:24], 1.0
	s_delay_alu instid0(VALU_DEP_1) | instskip(NEXT) | instid1(VALU_DEP_1)
	v_fma_f64 v[23:24], v[25:26], v[23:24], v[23:24]
	v_fma_f64 v[25:26], -v[21:22], v[23:24], 1.0
	s_delay_alu instid0(VALU_DEP_1) | instskip(SKIP_1) | instid1(VALU_DEP_2)
	v_fma_f64 v[23:24], v[25:26], v[23:24], v[23:24]
	v_max_f64 v[25:26], |v[7:8]|, |v[7:8]|
	v_mul_f64 v[31:32], v[27:28], v[23:24]
	s_delay_alu instid0(VALU_DEP_2) | instskip(SKIP_2) | instid1(VALU_DEP_4)
	v_max_f64 v[43:44], v[29:30], v[25:26]
	v_min_f64 v[25:26], v[29:30], v[25:26]
	v_add_f64 v[29:30], v[21:22], -1.0
	v_mul_f64 v[45:46], v[21:22], v[31:32]
	s_delay_alu instid0(VALU_DEP_3) | instskip(NEXT) | instid1(VALU_DEP_3)
	v_div_scale_f64 v[47:48], null, v[43:44], v[43:44], v[25:26]
	v_add_f64 v[17:18], v[17:18], -v[29:30]
	v_div_scale_f64 v[53:54], vcc_lo, v[25:26], v[43:44], v[25:26]
	s_delay_alu instid0(VALU_DEP_4) | instskip(NEXT) | instid1(VALU_DEP_4)
	v_fma_f64 v[21:22], v[31:32], v[21:22], -v[45:46]
	v_rcp_f64_e32 v[29:30], v[47:48]
	s_delay_alu instid0(VALU_DEP_1) | instskip(SKIP_3) | instid1(VALU_DEP_2)
	v_fma_f64 v[17:18], v[31:32], v[17:18], v[21:22]
	s_waitcnt_depctr 0xfff
	v_fma_f64 v[21:22], -v[47:48], v[29:30], 1.0
	v_add_f64 v[49:50], v[45:46], v[17:18]
	v_fma_f64 v[21:22], v[29:30], v[21:22], v[29:30]
	s_delay_alu instid0(VALU_DEP_2) | instskip(SKIP_1) | instid1(VALU_DEP_3)
	v_add_f64 v[29:30], v[27:28], -v[49:50]
	v_add_f64 v[45:46], v[49:50], -v[45:46]
	v_fma_f64 v[51:52], -v[47:48], v[21:22], 1.0
	s_delay_alu instid0(VALU_DEP_3) | instskip(NEXT) | instid1(VALU_DEP_3)
	v_add_f64 v[27:28], v[27:28], -v[29:30]
	v_add_f64 v[17:18], v[45:46], -v[17:18]
	s_delay_alu instid0(VALU_DEP_3) | instskip(NEXT) | instid1(VALU_DEP_3)
	v_fma_f64 v[21:22], v[21:22], v[51:52], v[21:22]
	v_add_f64 v[27:28], v[27:28], -v[49:50]
	s_delay_alu instid0(VALU_DEP_2) | instskip(NEXT) | instid1(VALU_DEP_2)
	v_mul_f64 v[45:46], v[53:54], v[21:22]
	v_add_f64 v[17:18], v[17:18], v[27:28]
	s_delay_alu instid0(VALU_DEP_2) | instskip(NEXT) | instid1(VALU_DEP_2)
	v_fma_f64 v[27:28], -v[47:48], v[45:46], v[53:54]
	v_add_f64 v[17:18], v[29:30], v[17:18]
	s_delay_alu instid0(VALU_DEP_2)
	v_div_fmas_f64 v[21:22], v[27:28], v[21:22], v[45:46]
	v_subrev_co_ci_u32_e64 v34, vcc_lo, 0, v34, s5
	v_cmp_eq_f64_e64 s5, 0, v[7:8]
	v_cmp_gt_i32_e32 vcc_lo, 0, v6
	v_mul_f64 v[17:18], v[23:24], v[17:18]
	v_div_fixup_f64 v[21:22], v[21:22], v[43:44], v[25:26]
	s_delay_alu instid0(VALU_DEP_2) | instskip(NEXT) | instid1(VALU_DEP_2)
	v_add_f64 v[23:24], v[31:32], v[17:18]
	v_mul_f64 v[25:26], v[21:22], v[21:22]
	s_delay_alu instid0(VALU_DEP_2) | instskip(NEXT) | instid1(VALU_DEP_2)
	v_mul_f64 v[27:28], v[23:24], v[23:24]
	v_fma_f64 v[29:30], v[25:26], s[48:49], s[46:47]
	s_delay_alu instid0(VALU_DEP_2) | instskip(SKIP_1) | instid1(VALU_DEP_3)
	v_fma_f64 v[43:44], v[27:28], s[28:29], s[26:27]
	v_mul_f64 v[45:46], v[23:24], v[27:28]
	v_fma_f64 v[29:30], v[25:26], v[29:30], s[50:51]
	s_delay_alu instid0(VALU_DEP_3) | instskip(NEXT) | instid1(VALU_DEP_2)
	v_fma_f64 v[43:44], v[27:28], v[43:44], s[34:35]
	v_fma_f64 v[29:30], v[25:26], v[29:30], s[52:53]
	s_delay_alu instid0(VALU_DEP_2) | instskip(NEXT) | instid1(VALU_DEP_2)
	v_fma_f64 v[43:44], v[27:28], v[43:44], s[36:37]
	v_fma_f64 v[29:30], v[25:26], v[29:30], s[54:55]
	s_delay_alu instid0(VALU_DEP_2) | instskip(NEXT) | instid1(VALU_DEP_2)
	;; [unrolled: 3-line block ×3, first 2 shown]
	v_fma_f64 v[43:44], v[27:28], v[43:44], s[40:41]
	v_fma_f64 v[29:30], v[25:26], v[29:30], s[58:59]
	s_delay_alu instid0(VALU_DEP_2) | instskip(SKIP_2) | instid1(VALU_DEP_4)
	v_fma_f64 v[27:28], v[27:28], v[43:44], s[96:97]
	v_ldexp_f64 v[43:44], v[23:24], 1
	v_add_f64 v[23:24], v[23:24], -v[31:32]
	v_fma_f64 v[29:30], v[25:26], v[29:30], s[60:61]
	s_delay_alu instid0(VALU_DEP_4) | instskip(SKIP_1) | instid1(VALU_DEP_4)
	v_mul_f64 v[27:28], v[45:46], v[27:28]
	v_cvt_f64_i32_e32 v[45:46], v34
	v_add_f64 v[17:18], v[17:18], -v[23:24]
	s_delay_alu instid0(VALU_DEP_4) | instskip(NEXT) | instid1(VALU_DEP_4)
	v_fma_f64 v[29:30], v[25:26], v[29:30], s[62:63]
	v_add_f64 v[31:32], v[43:44], v[27:28]
	s_delay_alu instid0(VALU_DEP_4) | instskip(NEXT) | instid1(VALU_DEP_4)
	v_mul_f64 v[47:48], v[45:46], s[42:43]
	v_ldexp_f64 v[17:18], v[17:18], 1
	s_delay_alu instid0(VALU_DEP_4) | instskip(NEXT) | instid1(VALU_DEP_4)
	v_fma_f64 v[29:30], v[25:26], v[29:30], s[64:65]
	v_add_f64 v[23:24], v[31:32], -v[43:44]
	s_delay_alu instid0(VALU_DEP_4) | instskip(NEXT) | instid1(VALU_DEP_3)
	v_fma_f64 v[43:44], v[45:46], s[42:43], -v[47:48]
	v_fma_f64 v[29:30], v[25:26], v[29:30], s[66:67]
	s_delay_alu instid0(VALU_DEP_3) | instskip(NEXT) | instid1(VALU_DEP_2)
	v_add_f64 v[23:24], v[27:28], -v[23:24]
	v_fma_f64 v[27:28], v[25:26], v[29:30], s[68:69]
	s_delay_alu instid0(VALU_DEP_4) | instskip(NEXT) | instid1(VALU_DEP_3)
	v_fma_f64 v[29:30], v[45:46], s[44:45], v[43:44]
	v_add_f64 v[17:18], v[17:18], v[23:24]
	s_delay_alu instid0(VALU_DEP_3) | instskip(NEXT) | instid1(VALU_DEP_3)
	v_fma_f64 v[23:24], v[25:26], v[27:28], s[70:71]
	v_add_f64 v[27:28], v[47:48], v[29:30]
	s_delay_alu instid0(VALU_DEP_3) | instskip(NEXT) | instid1(VALU_DEP_3)
	v_add_f64 v[43:44], v[31:32], v[17:18]
	v_fma_f64 v[23:24], v[25:26], v[23:24], s[72:73]
	s_delay_alu instid0(VALU_DEP_3) | instskip(NEXT) | instid1(VALU_DEP_3)
	v_add_f64 v[47:48], v[27:28], -v[47:48]
	v_add_f64 v[45:46], v[27:28], v[43:44]
	v_add_f64 v[31:32], v[43:44], -v[31:32]
	s_delay_alu instid0(VALU_DEP_4) | instskip(NEXT) | instid1(VALU_DEP_4)
	v_fma_f64 v[23:24], v[25:26], v[23:24], s[74:75]
	v_add_f64 v[29:30], v[29:30], -v[47:48]
	s_delay_alu instid0(VALU_DEP_4) | instskip(NEXT) | instid1(VALU_DEP_4)
	v_add_f64 v[49:50], v[45:46], -v[27:28]
	v_add_f64 v[17:18], v[17:18], -v[31:32]
	s_delay_alu instid0(VALU_DEP_4) | instskip(NEXT) | instid1(VALU_DEP_3)
	v_fma_f64 v[23:24], v[25:26], v[23:24], s[76:77]
	v_add_f64 v[51:52], v[45:46], -v[49:50]
	v_add_f64 v[31:32], v[43:44], -v[49:50]
	s_delay_alu instid0(VALU_DEP_4) | instskip(NEXT) | instid1(VALU_DEP_4)
	v_add_f64 v[43:44], v[29:30], v[17:18]
	v_fma_f64 v[23:24], v[25:26], v[23:24], s[78:79]
	s_delay_alu instid0(VALU_DEP_4) | instskip(NEXT) | instid1(VALU_DEP_2)
	v_add_f64 v[27:28], v[27:28], -v[51:52]
	v_fma_f64 v[23:24], v[25:26], v[23:24], s[80:81]
	s_delay_alu instid0(VALU_DEP_2) | instskip(SKIP_1) | instid1(VALU_DEP_3)
	v_add_f64 v[27:28], v[31:32], v[27:28]
	v_add_f64 v[31:32], v[43:44], -v[29:30]
	v_fma_f64 v[23:24], v[25:26], v[23:24], s[82:83]
	s_delay_alu instid0(VALU_DEP_3) | instskip(NEXT) | instid1(VALU_DEP_3)
	v_add_f64 v[27:28], v[43:44], v[27:28]
	v_add_f64 v[43:44], v[43:44], -v[31:32]
	v_add_f64 v[17:18], v[17:18], -v[31:32]
	s_delay_alu instid0(VALU_DEP_4) | instskip(NEXT) | instid1(VALU_DEP_4)
	v_fma_f64 v[23:24], v[25:26], v[23:24], s[84:85]
	v_add_f64 v[47:48], v[45:46], v[27:28]
	s_delay_alu instid0(VALU_DEP_2) | instskip(SKIP_1) | instid1(VALU_DEP_3)
	v_mul_f64 v[23:24], v[25:26], v[23:24]
	v_add_f64 v[25:26], v[29:30], -v[43:44]
	v_add_f64 v[29:30], v[47:48], -v[45:46]
	s_delay_alu instid0(VALU_DEP_3) | instskip(NEXT) | instid1(VALU_DEP_3)
	v_fma_f64 v[21:22], v[21:22], v[23:24], v[21:22]
	v_add_f64 v[17:18], v[17:18], v[25:26]
	s_delay_alu instid0(VALU_DEP_3) | instskip(NEXT) | instid1(VALU_DEP_3)
	v_add_f64 v[23:24], v[27:28], -v[29:30]
	v_add_f64 v[25:26], -v[21:22], s[86:87]
	s_delay_alu instid0(VALU_DEP_2) | instskip(NEXT) | instid1(VALU_DEP_2)
	v_add_f64 v[17:18], v[17:18], v[23:24]
	v_cndmask_b32_e64 v22, v22, v26, s4
	s_delay_alu instid0(VALU_DEP_3) | instskip(SKIP_2) | instid1(VALU_DEP_3)
	v_cndmask_b32_e64 v21, v21, v25, s4
	v_ashrrev_i32_e32 v25, 31, v6
	v_cndmask_b32_e32 v26, 0x54442d18, v59, vcc_lo
	v_add_f64 v[23:24], -v[21:22], s[14:15]
	s_delay_alu instid0(VALU_DEP_3) | instskip(SKIP_1) | instid1(VALU_DEP_3)
	v_and_b32_e32 v27, 0x54442d18, v25
	v_add_f64 v[17:18], v[47:48], v[17:18]
	v_cndmask_b32_e32 v21, v21, v23, vcc_lo
	s_delay_alu instid0(VALU_DEP_4) | instskip(NEXT) | instid1(VALU_DEP_3)
	v_cndmask_b32_e32 v19, v22, v24, vcc_lo
                                        ; implicit-def: $vgpr23_vgpr24
	v_mul_f64 v[5:6], v[17:18], 0.5
	v_and_b32_e32 v18, 0x400921fb, v25
	v_cndmask_b32_e32 v17, 0x3fe921fb, v60, vcc_lo
	v_cndmask_b32_e64 v21, v21, v27, s5
	s_and_b32 vcc_lo, s8, s9
	s_delay_alu instid0(VALU_DEP_3) | instskip(NEXT) | instid1(VALU_DEP_3)
	v_cndmask_b32_e64 v18, v19, v18, s5
	v_bfi_b32 v17, 0x7fffffff, v17, v8
	s_delay_alu instid0(VALU_DEP_3) | instskip(NEXT) | instid1(VALU_DEP_2)
	v_cndmask_b32_e32 v19, v21, v26, vcc_lo
                                        ; implicit-def: $vgpr21_vgpr22
	v_cndmask_b32_e32 v20, v18, v17, vcc_lo
	v_cndmask_b32_e64 v18, 0xfff00000, v6, s6
	v_cndmask_b32_e64 v17, 0, v5, s6
.LBB168_162:                            ;   in Loop: Header=BB168_145 Depth=1
	s_and_not1_saveexec_b32 s22, s7
	s_cbranch_execz .LBB168_166
; %bb.163:                              ;   in Loop: Header=BB168_145 Depth=1
	v_dual_mov_b32 v19, v33 :: v_dual_and_b32 v34, 0x7ffffff8, v24
	v_dual_mov_b32 v25, v33 :: v_dual_and_b32 v20, 0x7ffffff8, v22
	s_mov_b32 s23, 0
	s_delay_alu instid0(VALU_DEP_2) | instskip(SKIP_1) | instid1(VALU_DEP_3)
	v_add_f64 v[17:18], v[23:24], -v[33:34]
	v_mov_b32_e32 v27, v33
	v_add_f64 v[21:22], v[21:22], -v[19:20]
	v_add_f64 v[29:30], v[33:34], v[33:34]
	v_add_f64 v[47:48], v[19:20], v[19:20]
	v_mul_f64 v[23:24], v[19:20], v[19:20]
	v_and_b32_e32 v26, -8, v18
	v_and_b32_e32 v28, -8, v22
	s_delay_alu instid0(VALU_DEP_2) | instskip(SKIP_1) | instid1(VALU_DEP_3)
	v_add_f64 v[49:50], v[17:18], -v[25:26]
	v_add_f64 v[53:54], v[25:26], v[25:26]
	v_add_f64 v[51:52], v[21:22], -v[27:28]
	v_add_f64 v[55:56], v[27:28], v[27:28]
	v_mul_f64 v[17:18], v[33:34], v[33:34]
	v_mul_f64 v[45:46], v[29:30], v[25:26]
	;; [unrolled: 1-line block ×11, first 2 shown]
.LBB168_164:                            ;   Parent Loop BB168_145 Depth=1
                                        ; =>  This Inner Loop Header: Depth=2
	v_cmp_nlt_f64_e32 vcc_lo, v[17:18], v[23:24]
	v_dual_cndmask_b32 v52, v18, v24 :: v_dual_cndmask_b32 v51, v17, v23
	v_dual_cndmask_b32 v18, v24, v18 :: v_dual_cndmask_b32 v17, v23, v17
	s_delay_alu instid0(VALU_DEP_2) | instskip(NEXT) | instid1(VALU_DEP_1)
	v_cmp_nlt_f64_e64 s5, v[51:52], v[45:46]
	v_cndmask_b32_e64 v54, v52, v46, s5
	v_cndmask_b32_e64 v53, v51, v45, s5
	v_cndmask_b32_e64 v24, v46, v52, s5
	v_cndmask_b32_e64 v23, v45, v51, s5
	s_and_b32 s5, vcc_lo, s5
	s_delay_alu instid0(VALU_DEP_3) | instskip(NEXT) | instid1(VALU_DEP_1)
	v_cmp_nlt_f64_e64 s6, v[53:54], v[21:22]
	v_cndmask_b32_e64 v52, v54, v22, s6
	v_cndmask_b32_e64 v51, v53, v21, s6
	;; [unrolled: 1-line block ×4, first 2 shown]
	s_delay_alu instid0(VALU_DEP_3) | instskip(NEXT) | instid1(VALU_DEP_1)
	v_cmp_nlt_f64_e64 s7, v[51:52], v[43:44]
	v_cndmask_b32_e64 v54, v52, v44, s7
	v_cndmask_b32_e64 v53, v51, v43, s7
	;; [unrolled: 1-line block ×4, first 2 shown]
	s_and_b32 s6, s6, s7
	s_delay_alu instid0(VALU_DEP_3) | instskip(NEXT) | instid1(VALU_DEP_1)
	v_cmp_nlt_f64_e64 s8, v[53:54], v[19:20]
	v_cndmask_b32_e64 v52, v54, v20, s8
	v_cndmask_b32_e64 v51, v53, v19, s8
	;; [unrolled: 1-line block ×4, first 2 shown]
	s_delay_alu instid0(VALU_DEP_3) | instskip(NEXT) | instid1(VALU_DEP_1)
	v_cmp_nlt_f64_e64 s9, v[51:52], v[31:32]
	v_cndmask_b32_e64 v54, v52, v32, s9
	v_cndmask_b32_e64 v53, v51, v31, s9
	v_cndmask_b32_e64 v20, v32, v52, s9
	v_cndmask_b32_e64 v19, v31, v51, s9
	s_and_b32 s7, s8, s9
	s_delay_alu instid0(VALU_DEP_3) | instskip(NEXT) | instid1(VALU_DEP_1)
	v_cmp_nlt_f64_e64 s10, v[53:54], v[29:30]
	v_cndmask_b32_e64 v52, v54, v30, s10
	v_cndmask_b32_e64 v51, v53, v29, s10
	v_cndmask_b32_e64 v32, v30, v54, s10
	v_cndmask_b32_e64 v31, v29, v53, s10
	s_and_b32 s7, s7, s10
	;; [unrolled: 7-line block ×4, first 2 shown]
	s_delay_alu instid0(VALU_DEP_3) | instskip(NEXT) | instid1(VALU_DEP_1)
	v_cmp_nlt_f64_e64 s13, v[51:52], v[47:48]
	v_cndmask_b32_e64 v54, v52, v48, s13
	v_cndmask_b32_e64 v53, v51, v47, s13
	s_and_b32 s7, s7, s13
	v_cndmask_b32_e64 v26, v48, v52, s13
	v_cndmask_b32_e64 v25, v47, v51, s13
	s_delay_alu instid0(VALU_DEP_3) | instskip(NEXT) | instid1(VALU_DEP_1)
	v_cmp_nlt_f64_e64 s14, v[53:54], v[49:50]
	v_cndmask_b32_e64 v52, v54, v50, s14
	v_cndmask_b32_e64 v51, v53, v49, s14
	s_and_b32 s7, s7, s14
	v_cndmask_b32_e64 v48, v50, v54, s14
	s_and_b32 s6, s7, s6
	;; [unrolled: 2-line block ×3, first 2 shown]
	v_dual_mov_b32 v49, v51 :: v_dual_mov_b32 v50, v52
	s_and_b32 s5, exec_lo, s5
	s_delay_alu instid0(SALU_CYCLE_1) | instskip(NEXT) | instid1(SALU_CYCLE_1)
	s_or_b32 s23, s5, s23
	s_and_not1_b32 exec_lo, exec_lo, s23
	s_cbranch_execnz .LBB168_164
; %bb.165:                              ;   in Loop: Header=BB168_145 Depth=1
	s_or_b32 exec_lo, exec_lo, s23
	v_add_f64 v[17:18], v[17:18], -1.0
	s_mov_b32 s97, s25
	s_mov_b32 s14, s86
	v_cmp_gt_i32_e64 s5, 0, v6
	v_cmp_class_f64_e64 s7, v[5:6], 0x204
	v_cmp_class_f64_e64 s6, v[7:8], 0x204
	s_mov_b32 s12, 0x4ad4b81f
	s_mov_b32 s13, 0x358dee7a
	s_delay_alu instid0(VALU_DEP_4) | instskip(NEXT) | instid1(VALU_DEP_1)
	v_add_f64 v[17:18], v[17:18], v[23:24]
	v_add_f64 v[17:18], v[17:18], v[45:46]
	s_delay_alu instid0(VALU_DEP_1) | instskip(NEXT) | instid1(VALU_DEP_1)
	v_add_f64 v[17:18], v[17:18], v[21:22]
	v_add_f64 v[17:18], v[17:18], v[43:44]
	s_delay_alu instid0(VALU_DEP_1) | instskip(NEXT) | instid1(VALU_DEP_1)
	;; [unrolled: 3-line block ×5, first 2 shown]
	v_add_f64 v[18:19], v[51:52], v[17:18]
	v_add_f64 v[20:21], v[18:19], 1.0
	s_delay_alu instid0(VALU_DEP_1) | instskip(SKIP_2) | instid1(VALU_DEP_3)
	v_frexp_mant_f64_e32 v[22:23], v[20:21]
	v_frexp_exp_i32_f64_e32 v17, v[20:21]
	v_add_f64 v[24:25], v[20:21], -1.0
	v_cmp_gt_f64_e32 vcc_lo, s[24:25], v[22:23]
	s_delay_alu instid0(VALU_DEP_2) | instskip(SKIP_2) | instid1(VALU_DEP_3)
	v_add_f64 v[22:23], v[24:25], -v[20:21]
	v_add_f64 v[24:25], v[18:19], -v[24:25]
	v_subrev_co_ci_u32_e32 v17, vcc_lo, 0, v17, vcc_lo
	v_add_f64 v[22:23], v[22:23], 1.0
	s_delay_alu instid0(VALU_DEP_2) | instskip(NEXT) | instid1(VALU_DEP_1)
	v_sub_nc_u32_e32 v28, 0, v17
	v_ldexp_f64 v[20:21], v[20:21], v28
	s_delay_alu instid0(VALU_DEP_3) | instskip(NEXT) | instid1(VALU_DEP_2)
	v_add_f64 v[22:23], v[24:25], v[22:23]
	v_add_f64 v[26:27], v[20:21], 1.0
	v_add_f64 v[43:44], v[20:21], -1.0
	s_delay_alu instid0(VALU_DEP_3) | instskip(NEXT) | instid1(VALU_DEP_3)
	v_ldexp_f64 v[22:23], v[22:23], v28
	v_add_f64 v[24:25], v[26:27], -1.0
	s_delay_alu instid0(VALU_DEP_3) | instskip(NEXT) | instid1(VALU_DEP_2)
	v_add_f64 v[45:46], v[43:44], 1.0
	v_add_f64 v[24:25], v[20:21], -v[24:25]
	s_delay_alu instid0(VALU_DEP_2) | instskip(NEXT) | instid1(VALU_DEP_2)
	v_add_f64 v[20:21], v[20:21], -v[45:46]
	v_add_f64 v[24:25], v[22:23], v[24:25]
	s_delay_alu instid0(VALU_DEP_2) | instskip(NEXT) | instid1(VALU_DEP_2)
	v_add_f64 v[20:21], v[22:23], v[20:21]
	v_add_f64 v[28:29], v[26:27], v[24:25]
	s_delay_alu instid0(VALU_DEP_2) | instskip(NEXT) | instid1(VALU_DEP_2)
	v_add_f64 v[45:46], v[43:44], v[20:21]
	v_rcp_f64_e32 v[30:31], v[28:29]
	v_add_f64 v[26:27], v[28:29], -v[26:27]
	s_delay_alu instid0(VALU_DEP_2) | instskip(NEXT) | instid1(VALU_DEP_2)
	v_add_f64 v[43:44], v[45:46], -v[43:44]
	v_add_f64 v[24:25], v[24:25], -v[26:27]
	s_waitcnt_depctr 0xfff
	v_fma_f64 v[47:48], -v[28:29], v[30:31], 1.0
	v_add_f64 v[20:21], v[20:21], -v[43:44]
	s_delay_alu instid0(VALU_DEP_2) | instskip(NEXT) | instid1(VALU_DEP_1)
	v_fma_f64 v[30:31], v[47:48], v[30:31], v[30:31]
	v_fma_f64 v[22:23], -v[28:29], v[30:31], 1.0
	s_delay_alu instid0(VALU_DEP_1) | instskip(NEXT) | instid1(VALU_DEP_1)
	v_fma_f64 v[22:23], v[22:23], v[30:31], v[30:31]
	v_mul_f64 v[30:31], v[45:46], v[22:23]
	s_delay_alu instid0(VALU_DEP_1) | instskip(NEXT) | instid1(VALU_DEP_1)
	v_mul_f64 v[47:48], v[28:29], v[30:31]
	v_fma_f64 v[26:27], v[30:31], v[28:29], -v[47:48]
	s_delay_alu instid0(VALU_DEP_1) | instskip(NEXT) | instid1(VALU_DEP_1)
	v_fma_f64 v[26:27], v[30:31], v[24:25], v[26:27]
	v_add_f64 v[49:50], v[47:48], v[26:27]
	s_delay_alu instid0(VALU_DEP_1) | instskip(SKIP_2) | instid1(VALU_DEP_3)
	v_add_f64 v[51:52], v[45:46], -v[49:50]
	v_add_f64 v[43:44], v[49:50], -v[47:48]
	v_max_f64 v[47:48], |v[7:8]|, |v[7:8]|
	v_add_f64 v[45:46], v[45:46], -v[51:52]
	s_delay_alu instid0(VALU_DEP_3) | instskip(NEXT) | instid1(VALU_DEP_2)
	v_add_f64 v[26:27], v[43:44], -v[26:27]
	v_add_f64 v[45:46], v[45:46], -v[49:50]
	v_max_f64 v[49:50], |v[5:6]|, |v[5:6]|
	v_cndmask_b32_e64 v5, 0x3fe921fb, v60, s5
	s_delay_alu instid0(VALU_DEP_1) | instskip(NEXT) | instid1(VALU_DEP_4)
	v_bfi_b32 v5, 0x7fffffff, v5, v8
	v_add_f64 v[20:21], v[20:21], v[45:46]
	s_delay_alu instid0(VALU_DEP_4) | instskip(SKIP_1) | instid1(VALU_DEP_3)
	v_max_f64 v[53:54], v[49:50], v[47:48]
	v_min_f64 v[47:48], v[49:50], v[47:48]
	v_add_f64 v[20:21], v[26:27], v[20:21]
	s_delay_alu instid0(VALU_DEP_1) | instskip(NEXT) | instid1(VALU_DEP_1)
	v_add_f64 v[26:27], v[51:52], v[20:21]
	v_mul_f64 v[43:44], v[22:23], v[26:27]
	v_add_f64 v[51:52], v[51:52], -v[26:27]
	s_delay_alu instid0(VALU_DEP_2) | instskip(NEXT) | instid1(VALU_DEP_2)
	v_mul_f64 v[45:46], v[28:29], v[43:44]
	v_add_f64 v[20:21], v[20:21], v[51:52]
	s_delay_alu instid0(VALU_DEP_2) | instskip(NEXT) | instid1(VALU_DEP_1)
	v_fma_f64 v[28:29], v[43:44], v[28:29], -v[45:46]
	v_fma_f64 v[24:25], v[43:44], v[24:25], v[28:29]
	v_div_scale_f64 v[28:29], null, v[53:54], v[53:54], v[47:48]
	s_delay_alu instid0(VALU_DEP_2) | instskip(NEXT) | instid1(VALU_DEP_2)
	v_add_f64 v[49:50], v[45:46], v[24:25]
	v_rcp_f64_e32 v[55:56], v[28:29]
	s_delay_alu instid0(VALU_DEP_1)
	v_add_f64 v[57:58], v[26:27], -v[49:50]
	v_add_f64 v[45:46], v[49:50], -v[45:46]
	s_waitcnt_depctr 0xfff
	v_fma_f64 v[61:62], -v[28:29], v[55:56], 1.0
	v_add_f64 v[26:27], v[26:27], -v[57:58]
	v_add_f64 v[24:25], v[45:46], -v[24:25]
	s_delay_alu instid0(VALU_DEP_3) | instskip(NEXT) | instid1(VALU_DEP_3)
	v_fma_f64 v[55:56], v[55:56], v[61:62], v[55:56]
	v_add_f64 v[26:27], v[26:27], -v[49:50]
	s_delay_alu instid0(VALU_DEP_2) | instskip(NEXT) | instid1(VALU_DEP_2)
	v_fma_f64 v[49:50], -v[28:29], v[55:56], 1.0
	v_add_f64 v[20:21], v[20:21], v[26:27]
	v_div_scale_f64 v[26:27], vcc_lo, v[47:48], v[53:54], v[47:48]
	s_delay_alu instid0(VALU_DEP_3) | instskip(SKIP_1) | instid1(VALU_DEP_4)
	v_fma_f64 v[45:46], v[55:56], v[49:50], v[55:56]
	v_add_f64 v[49:50], v[30:31], v[43:44]
	v_add_f64 v[20:21], v[24:25], v[20:21]
	s_delay_alu instid0(VALU_DEP_3) | instskip(NEXT) | instid1(VALU_DEP_3)
	v_mul_f64 v[24:25], v[26:27], v[45:46]
	v_add_f64 v[30:31], v[49:50], -v[30:31]
	s_delay_alu instid0(VALU_DEP_3) | instskip(NEXT) | instid1(VALU_DEP_3)
	v_add_f64 v[20:21], v[57:58], v[20:21]
	v_fma_f64 v[26:27], -v[28:29], v[24:25], v[26:27]
	s_delay_alu instid0(VALU_DEP_3) | instskip(NEXT) | instid1(VALU_DEP_3)
	v_add_f64 v[28:29], v[43:44], -v[30:31]
	v_mul_f64 v[20:21], v[22:23], v[20:21]
	s_delay_alu instid0(VALU_DEP_3) | instskip(SKIP_1) | instid1(VALU_DEP_3)
	v_div_fmas_f64 v[22:23], v[26:27], v[45:46], v[24:25]
	v_cmp_eq_f64_e32 vcc_lo, 0x7ff00000, v[18:19]
	v_add_f64 v[20:21], v[28:29], v[20:21]
	s_delay_alu instid0(VALU_DEP_3) | instskip(NEXT) | instid1(VALU_DEP_2)
	v_div_fixup_f64 v[22:23], v[22:23], v[53:54], v[47:48]
	v_add_f64 v[24:25], v[49:50], v[20:21]
	s_delay_alu instid0(VALU_DEP_2) | instskip(NEXT) | instid1(VALU_DEP_2)
	v_mul_f64 v[26:27], v[22:23], v[22:23]
	v_mul_f64 v[28:29], v[24:25], v[24:25]
	s_delay_alu instid0(VALU_DEP_2) | instskip(NEXT) | instid1(VALU_DEP_2)
	v_fma_f64 v[30:31], v[26:27], s[48:49], s[46:47]
	v_fma_f64 v[43:44], v[28:29], s[28:29], s[26:27]
	v_mul_f64 v[45:46], v[24:25], v[28:29]
	s_delay_alu instid0(VALU_DEP_3) | instskip(NEXT) | instid1(VALU_DEP_3)
	v_fma_f64 v[30:31], v[26:27], v[30:31], s[50:51]
	v_fma_f64 v[43:44], v[28:29], v[43:44], s[34:35]
	s_delay_alu instid0(VALU_DEP_2) | instskip(NEXT) | instid1(VALU_DEP_2)
	v_fma_f64 v[30:31], v[26:27], v[30:31], s[52:53]
	v_fma_f64 v[43:44], v[28:29], v[43:44], s[36:37]
	s_delay_alu instid0(VALU_DEP_2) | instskip(NEXT) | instid1(VALU_DEP_2)
	;; [unrolled: 3-line block ×4, first 2 shown]
	v_fma_f64 v[30:31], v[26:27], v[30:31], s[58:59]
	v_fma_f64 v[28:29], v[28:29], v[43:44], s[96:97]
	v_ldexp_f64 v[43:44], v[24:25], 1
	v_add_f64 v[24:25], v[24:25], -v[49:50]
	s_delay_alu instid0(VALU_DEP_4) | instskip(NEXT) | instid1(VALU_DEP_4)
	v_fma_f64 v[30:31], v[26:27], v[30:31], s[60:61]
	v_mul_f64 v[28:29], v[45:46], v[28:29]
	v_cvt_f64_i32_e32 v[45:46], v17
	s_delay_alu instid0(VALU_DEP_4) | instskip(NEXT) | instid1(VALU_DEP_4)
	v_add_f64 v[20:21], v[20:21], -v[24:25]
	v_fma_f64 v[30:31], v[26:27], v[30:31], s[62:63]
	v_ashrrev_i32_e32 v17, 31, v6
	s_delay_alu instid0(VALU_DEP_1) | instskip(SKIP_4) | instid1(VALU_DEP_4)
	v_and_b32_e32 v6, 0x400921fb, v17
	v_add_f64 v[47:48], v[43:44], v[28:29]
	v_mul_f64 v[49:50], v[45:46], s[42:43]
	v_ldexp_f64 v[20:21], v[20:21], 1
	v_fma_f64 v[30:31], v[26:27], v[30:31], s[64:65]
	v_add_f64 v[24:25], v[47:48], -v[43:44]
	s_delay_alu instid0(VALU_DEP_4) | instskip(NEXT) | instid1(VALU_DEP_3)
	v_fma_f64 v[43:44], v[45:46], s[42:43], -v[49:50]
	v_fma_f64 v[30:31], v[26:27], v[30:31], s[66:67]
	s_delay_alu instid0(VALU_DEP_3) | instskip(NEXT) | instid1(VALU_DEP_2)
	v_add_f64 v[24:25], v[28:29], -v[24:25]
	v_fma_f64 v[28:29], v[26:27], v[30:31], s[68:69]
	s_delay_alu instid0(VALU_DEP_4) | instskip(NEXT) | instid1(VALU_DEP_3)
	v_fma_f64 v[30:31], v[45:46], s[44:45], v[43:44]
	v_add_f64 v[20:21], v[20:21], v[24:25]
	s_delay_alu instid0(VALU_DEP_3) | instskip(NEXT) | instid1(VALU_DEP_3)
	v_fma_f64 v[24:25], v[26:27], v[28:29], s[70:71]
	v_add_f64 v[28:29], v[49:50], v[30:31]
	s_delay_alu instid0(VALU_DEP_3) | instskip(NEXT) | instid1(VALU_DEP_3)
	v_add_f64 v[43:44], v[47:48], v[20:21]
	v_fma_f64 v[24:25], v[26:27], v[24:25], s[72:73]
	s_delay_alu instid0(VALU_DEP_3) | instskip(NEXT) | instid1(VALU_DEP_3)
	v_add_f64 v[49:50], v[28:29], -v[49:50]
	v_add_f64 v[45:46], v[28:29], v[43:44]
	v_add_f64 v[47:48], v[43:44], -v[47:48]
	s_delay_alu instid0(VALU_DEP_4) | instskip(NEXT) | instid1(VALU_DEP_4)
	v_fma_f64 v[24:25], v[26:27], v[24:25], s[74:75]
	v_add_f64 v[30:31], v[30:31], -v[49:50]
	s_delay_alu instid0(VALU_DEP_4) | instskip(NEXT) | instid1(VALU_DEP_4)
	v_add_f64 v[51:52], v[45:46], -v[28:29]
	v_add_f64 v[20:21], v[20:21], -v[47:48]
	s_delay_alu instid0(VALU_DEP_4) | instskip(NEXT) | instid1(VALU_DEP_3)
	v_fma_f64 v[24:25], v[26:27], v[24:25], s[76:77]
	v_add_f64 v[53:54], v[45:46], -v[51:52]
	v_add_f64 v[43:44], v[43:44], -v[51:52]
	s_delay_alu instid0(VALU_DEP_4) | instskip(NEXT) | instid1(VALU_DEP_4)
	v_add_f64 v[47:48], v[30:31], v[20:21]
	v_fma_f64 v[24:25], v[26:27], v[24:25], s[78:79]
	s_delay_alu instid0(VALU_DEP_4) | instskip(NEXT) | instid1(VALU_DEP_2)
	v_add_f64 v[28:29], v[28:29], -v[53:54]
	v_fma_f64 v[24:25], v[26:27], v[24:25], s[80:81]
	s_delay_alu instid0(VALU_DEP_2) | instskip(SKIP_1) | instid1(VALU_DEP_3)
	v_add_f64 v[28:29], v[43:44], v[28:29]
	v_add_f64 v[43:44], v[47:48], -v[30:31]
	v_fma_f64 v[24:25], v[26:27], v[24:25], s[82:83]
	s_delay_alu instid0(VALU_DEP_3) | instskip(NEXT) | instid1(VALU_DEP_3)
	v_add_f64 v[28:29], v[47:48], v[28:29]
	v_add_f64 v[47:48], v[47:48], -v[43:44]
	v_add_f64 v[20:21], v[20:21], -v[43:44]
	s_delay_alu instid0(VALU_DEP_4) | instskip(NEXT) | instid1(VALU_DEP_4)
	v_fma_f64 v[24:25], v[26:27], v[24:25], s[84:85]
	v_add_f64 v[49:50], v[45:46], v[28:29]
	s_delay_alu instid0(VALU_DEP_2) | instskip(SKIP_1) | instid1(VALU_DEP_3)
	v_mul_f64 v[24:25], v[26:27], v[24:25]
	v_add_f64 v[26:27], v[30:31], -v[47:48]
	v_add_f64 v[30:31], v[49:50], -v[45:46]
	s_delay_alu instid0(VALU_DEP_3) | instskip(NEXT) | instid1(VALU_DEP_3)
	v_fma_f64 v[22:23], v[22:23], v[24:25], v[22:23]
	v_add_f64 v[20:21], v[20:21], v[26:27]
	s_delay_alu instid0(VALU_DEP_3) | instskip(NEXT) | instid1(VALU_DEP_3)
	v_add_f64 v[24:25], v[28:29], -v[30:31]
	v_add_f64 v[26:27], -v[22:23], s[86:87]
	s_delay_alu instid0(VALU_DEP_2) | instskip(NEXT) | instid1(VALU_DEP_2)
	v_add_f64 v[20:21], v[20:21], v[24:25]
	v_cndmask_b32_e64 v23, v23, v27, s4
	s_delay_alu instid0(VALU_DEP_3) | instskip(SKIP_1) | instid1(VALU_DEP_2)
	v_cndmask_b32_e64 v22, v22, v26, s4
	v_cndmask_b32_e64 v26, 0x54442d18, v59, s5
	v_add_f64 v[24:25], -v[22:23], s[14:15]
	v_add_f64 v[20:21], v[49:50], v[20:21]
	v_and_b32_e32 v27, 0x54442d18, v17
	s_delay_alu instid0(VALU_DEP_3) | instskip(NEXT) | instid1(VALU_DEP_4)
	v_cndmask_b32_e64 v24, v22, v24, s5
	v_cndmask_b32_e64 v17, v23, v25, s5
	v_cmp_nge_f64_e64 s5, -1.0, v[18:19]
	v_dual_cndmask_b32 v20, v20, v18 :: v_dual_cndmask_b32 v21, v21, v19
	v_cmp_eq_f64_e32 vcc_lo, 0, v[7:8]
	s_delay_alu instid0(VALU_DEP_2) | instskip(SKIP_2) | instid1(VALU_DEP_3)
	v_mul_f64 v[21:22], v[20:21], 0.5
	v_dual_cndmask_b32 v23, v24, v27 :: v_dual_cndmask_b32 v6, v17, v6
	v_cmp_ngt_f64_e32 vcc_lo, -1.0, v[18:19]
	v_cndmask_b32_e64 v17, 0, v21, s5
	v_cmp_neq_f64_e64 s5, -1.0, v[18:19]
	v_cndmask_b32_e32 v22, 0x7ff80000, v22, vcc_lo
	s_and_b32 vcc_lo, s6, s7
	v_dual_cndmask_b32 v20, v6, v5 :: v_dual_cndmask_b32 v19, v23, v26
	s_delay_alu instid0(VALU_DEP_2)
	v_cndmask_b32_e64 v18, 0xfff00000, v22, s5
.LBB168_166:                            ;   in Loop: Header=BB168_145 Depth=1
	s_or_b32 exec_lo, exec_lo, s22
.LBB168_167:                            ;   in Loop: Header=BB168_145 Depth=1
	s_delay_alu instid0(SALU_CYCLE_1)
	s_or_b32 exec_lo, exec_lo, s21
.LBB168_168:                            ;   in Loop: Header=BB168_145 Depth=1
	s_and_not1_saveexec_b32 s7, s20
	s_cbranch_execz .LBB168_170
; %bb.169:                              ;   in Loop: Header=BB168_145 Depth=1
	v_max_f64 v[17:18], |v[7:8]|, |v[7:8]|
	v_max_f64 v[19:20], |v[5:6]|, |v[5:6]|
	v_cmp_class_f64_e64 s8, v[5:6], 0x204
	v_cmp_class_f64_e64 s9, v[7:8], 0x204
	s_mov_b32 s97, s25
	s_mov_b32 s14, s86
	v_cmp_eq_f64_e64 s6, 0, v[7:8]
	s_delay_alu instid0(VALU_DEP_4) | instskip(SKIP_1) | instid1(VALU_DEP_4)
	v_max_f64 v[21:22], v[19:20], v[17:18]
	v_min_f64 v[17:18], v[19:20], v[17:18]
	s_or_b32 s10, s9, s8
	s_delay_alu instid0(VALU_DEP_2) | instskip(NEXT) | instid1(VALU_DEP_1)
	v_frexp_exp_i32_f64_e32 v31, v[21:22]
	v_sub_nc_u32_e32 v25, 0, v31
	s_delay_alu instid0(VALU_DEP_1) | instskip(SKIP_1) | instid1(VALU_DEP_2)
	v_ldexp_f64 v[23:24], |v[7:8]|, v25
	v_ldexp_f64 v[25:26], |v[5:6]|, v25
	v_mul_f64 v[23:24], v[23:24], v[23:24]
	s_delay_alu instid0(VALU_DEP_1) | instskip(NEXT) | instid1(VALU_DEP_1)
	v_fma_f64 v[23:24], v[25:26], v[25:26], v[23:24]
	v_rsq_f64_e32 v[25:26], v[23:24]
	v_cmp_eq_f64_e32 vcc_lo, 0, v[23:24]
	s_waitcnt_depctr 0xfff
	v_mul_f64 v[27:28], v[23:24], v[25:26]
	v_mul_f64 v[25:26], v[25:26], 0.5
	s_delay_alu instid0(VALU_DEP_1) | instskip(NEXT) | instid1(VALU_DEP_1)
	v_fma_f64 v[29:30], -v[25:26], v[27:28], 0.5
	v_fma_f64 v[27:28], v[27:28], v[29:30], v[27:28]
	v_fma_f64 v[25:26], v[25:26], v[29:30], v[25:26]
	s_delay_alu instid0(VALU_DEP_2) | instskip(NEXT) | instid1(VALU_DEP_1)
	v_fma_f64 v[29:30], -v[27:28], v[27:28], v[23:24]
	v_fma_f64 v[25:26], v[29:30], v[25:26], v[27:28]
	s_delay_alu instid0(VALU_DEP_1) | instskip(SKIP_1) | instid1(VALU_DEP_2)
	v_dual_cndmask_b32 v24, v26, v24 :: v_dual_cndmask_b32 v23, v25, v23
	v_div_scale_f64 v[55:56], vcc_lo, v[17:18], v[21:22], v[17:18]
	v_ldexp_f64 v[23:24], v[23:24], v31
	s_delay_alu instid0(VALU_DEP_1) | instskip(NEXT) | instid1(VALU_DEP_2)
	v_cndmask_b32_e64 v26, v24, 0x7ff00000, s10
	v_cndmask_b32_e64 v25, v23, 0, s10
	s_delay_alu instid0(VALU_DEP_1) | instskip(SKIP_1) | instid1(VALU_DEP_2)
	v_frexp_mant_f64_e32 v[27:28], v[25:26]
	v_frexp_exp_i32_f64_e32 v5, v[25:26]
	v_cmp_gt_f64_e64 s5, s[24:25], v[27:28]
	s_delay_alu instid0(VALU_DEP_1) | instskip(NEXT) | instid1(VALU_DEP_1)
	v_cndmask_b32_e64 v34, 0x3ff00000, 2.0, s5
	v_mul_f64 v[27:28], v[27:28], v[33:34]
	s_delay_alu instid0(VALU_DEP_1) | instskip(SKIP_1) | instid1(VALU_DEP_2)
	v_add_f64 v[29:30], v[27:28], 1.0
	v_add_f64 v[45:46], v[27:28], -1.0
	v_rcp_f64_e32 v[31:32], v[29:30]
	v_add_f64 v[47:48], v[29:30], -1.0
	s_delay_alu instid0(VALU_DEP_1) | instskip(SKIP_2) | instid1(VALU_DEP_1)
	v_add_f64 v[27:28], v[27:28], -v[47:48]
	s_waitcnt_depctr 0xfff
	v_fma_f64 v[43:44], -v[29:30], v[31:32], 1.0
	v_fma_f64 v[31:32], v[43:44], v[31:32], v[31:32]
	s_delay_alu instid0(VALU_DEP_1) | instskip(NEXT) | instid1(VALU_DEP_1)
	v_fma_f64 v[43:44], -v[29:30], v[31:32], 1.0
	v_fma_f64 v[31:32], v[43:44], v[31:32], v[31:32]
	v_div_scale_f64 v[43:44], null, v[21:22], v[21:22], v[17:18]
	s_delay_alu instid0(VALU_DEP_2) | instskip(NEXT) | instid1(VALU_DEP_2)
	v_mul_f64 v[19:20], v[45:46], v[31:32]
	v_rcp_f64_e32 v[51:52], v[43:44]
	s_delay_alu instid0(VALU_DEP_1) | instskip(SKIP_3) | instid1(VALU_DEP_1)
	v_mul_f64 v[49:50], v[29:30], v[19:20]
	s_waitcnt_depctr 0xfff
	v_fma_f64 v[47:48], -v[43:44], v[51:52], 1.0
	v_fma_f64 v[29:30], v[19:20], v[29:30], -v[49:50]
	v_fma_f64 v[27:28], v[19:20], v[27:28], v[29:30]
	s_delay_alu instid0(VALU_DEP_3) | instskip(NEXT) | instid1(VALU_DEP_2)
	v_fma_f64 v[29:30], v[51:52], v[47:48], v[51:52]
	v_add_f64 v[47:48], v[49:50], v[27:28]
	s_delay_alu instid0(VALU_DEP_2) | instskip(NEXT) | instid1(VALU_DEP_2)
	v_fma_f64 v[51:52], -v[43:44], v[29:30], 1.0
	v_add_f64 v[53:54], v[45:46], -v[47:48]
	s_delay_alu instid0(VALU_DEP_2) | instskip(SKIP_1) | instid1(VALU_DEP_3)
	v_fma_f64 v[29:30], v[29:30], v[51:52], v[29:30]
	v_add_f64 v[49:50], v[47:48], -v[49:50]
	v_add_f64 v[45:46], v[45:46], -v[53:54]
	s_delay_alu instid0(VALU_DEP_3) | instskip(NEXT) | instid1(VALU_DEP_3)
	v_mul_f64 v[51:52], v[55:56], v[29:30]
	v_add_f64 v[27:28], v[49:50], -v[27:28]
	s_delay_alu instid0(VALU_DEP_3) | instskip(NEXT) | instid1(VALU_DEP_3)
	v_add_f64 v[45:46], v[45:46], -v[47:48]
	v_fma_f64 v[43:44], -v[43:44], v[51:52], v[55:56]
	s_delay_alu instid0(VALU_DEP_2) | instskip(NEXT) | instid1(VALU_DEP_2)
	v_add_f64 v[27:28], v[27:28], v[45:46]
	v_div_fmas_f64 v[29:30], v[43:44], v[29:30], v[51:52]
	v_subrev_co_ci_u32_e64 v5, vcc_lo, 0, v5, s5
	v_cmp_class_f64_e64 s5, v[23:24], 0x204
	v_cmp_gt_i32_e32 vcc_lo, 0, v6
	v_add_f64 v[27:28], v[53:54], v[27:28]
	v_div_fixup_f64 v[17:18], v[29:30], v[21:22], v[17:18]
	s_delay_alu instid0(VALU_DEP_2) | instskip(NEXT) | instid1(VALU_DEP_2)
	v_mul_f64 v[21:22], v[31:32], v[27:28]
	v_mul_f64 v[27:28], v[17:18], v[17:18]
	s_delay_alu instid0(VALU_DEP_2) | instskip(NEXT) | instid1(VALU_DEP_2)
	v_add_f64 v[29:30], v[19:20], v[21:22]
	v_fma_f64 v[31:32], v[27:28], s[48:49], s[46:47]
	s_delay_alu instid0(VALU_DEP_2) | instskip(NEXT) | instid1(VALU_DEP_2)
	v_mul_f64 v[43:44], v[29:30], v[29:30]
	v_fma_f64 v[31:32], v[27:28], v[31:32], s[50:51]
	v_add_f64 v[19:20], v[29:30], -v[19:20]
	s_delay_alu instid0(VALU_DEP_3) | instskip(NEXT) | instid1(VALU_DEP_3)
	v_fma_f64 v[45:46], v[43:44], s[28:29], s[26:27]
	v_fma_f64 v[31:32], v[27:28], v[31:32], s[52:53]
	v_mul_f64 v[47:48], v[29:30], v[43:44]
	s_delay_alu instid0(VALU_DEP_4) | instskip(NEXT) | instid1(VALU_DEP_4)
	v_add_f64 v[19:20], v[21:22], -v[19:20]
	v_fma_f64 v[45:46], v[43:44], v[45:46], s[34:35]
	s_delay_alu instid0(VALU_DEP_4) | instskip(NEXT) | instid1(VALU_DEP_3)
	v_fma_f64 v[31:32], v[27:28], v[31:32], s[54:55]
	v_ldexp_f64 v[19:20], v[19:20], 1
	s_delay_alu instid0(VALU_DEP_3) | instskip(NEXT) | instid1(VALU_DEP_3)
	v_fma_f64 v[45:46], v[43:44], v[45:46], s[36:37]
	v_fma_f64 v[31:32], v[27:28], v[31:32], s[56:57]
	s_delay_alu instid0(VALU_DEP_2) | instskip(NEXT) | instid1(VALU_DEP_2)
	v_fma_f64 v[45:46], v[43:44], v[45:46], s[38:39]
	v_fma_f64 v[31:32], v[27:28], v[31:32], s[58:59]
	s_delay_alu instid0(VALU_DEP_2) | instskip(NEXT) | instid1(VALU_DEP_2)
	;; [unrolled: 3-line block ×3, first 2 shown]
	v_fma_f64 v[43:44], v[43:44], v[45:46], s[96:97]
	v_fma_f64 v[31:32], v[27:28], v[31:32], s[62:63]
	v_ldexp_f64 v[45:46], v[29:30], 1
	s_delay_alu instid0(VALU_DEP_3) | instskip(NEXT) | instid1(VALU_DEP_3)
	v_mul_f64 v[43:44], v[47:48], v[43:44]
	v_fma_f64 v[31:32], v[27:28], v[31:32], s[64:65]
	v_cvt_f64_i32_e32 v[47:48], v5
	v_ashrrev_i32_e32 v5, 31, v6
	v_cndmask_b32_e32 v6, 0x54442d18, v59, vcc_lo
	v_add_f64 v[29:30], v[45:46], v[43:44]
	v_fma_f64 v[31:32], v[27:28], v[31:32], s[66:67]
	v_mul_f64 v[49:50], v[47:48], s[42:43]
	s_delay_alu instid0(VALU_DEP_3) | instskip(NEXT) | instid1(VALU_DEP_3)
	v_add_f64 v[21:22], v[29:30], -v[45:46]
	v_fma_f64 v[31:32], v[27:28], v[31:32], s[68:69]
	s_delay_alu instid0(VALU_DEP_3) | instskip(NEXT) | instid1(VALU_DEP_3)
	v_fma_f64 v[45:46], v[47:48], s[42:43], -v[49:50]
	v_add_f64 v[21:22], v[43:44], -v[21:22]
	s_delay_alu instid0(VALU_DEP_3) | instskip(NEXT) | instid1(VALU_DEP_3)
	v_fma_f64 v[31:32], v[27:28], v[31:32], s[70:71]
	v_fma_f64 v[43:44], v[47:48], s[44:45], v[45:46]
	s_delay_alu instid0(VALU_DEP_3) | instskip(NEXT) | instid1(VALU_DEP_3)
	v_add_f64 v[19:20], v[19:20], v[21:22]
	v_fma_f64 v[21:22], v[27:28], v[31:32], s[72:73]
	s_delay_alu instid0(VALU_DEP_3) | instskip(NEXT) | instid1(VALU_DEP_3)
	v_add_f64 v[31:32], v[49:50], v[43:44]
	v_add_f64 v[45:46], v[29:30], v[19:20]
	s_delay_alu instid0(VALU_DEP_3) | instskip(NEXT) | instid1(VALU_DEP_3)
	v_fma_f64 v[21:22], v[27:28], v[21:22], s[74:75]
	v_add_f64 v[49:50], v[31:32], -v[49:50]
	s_delay_alu instid0(VALU_DEP_3) | instskip(NEXT) | instid1(VALU_DEP_3)
	v_add_f64 v[47:48], v[31:32], v[45:46]
	v_fma_f64 v[21:22], v[27:28], v[21:22], s[76:77]
	v_add_f64 v[29:30], v[45:46], -v[29:30]
	s_delay_alu instid0(VALU_DEP_4) | instskip(NEXT) | instid1(VALU_DEP_4)
	v_add_f64 v[43:44], v[43:44], -v[49:50]
	v_add_f64 v[51:52], v[47:48], -v[31:32]
	s_delay_alu instid0(VALU_DEP_4) | instskip(NEXT) | instid1(VALU_DEP_4)
	v_fma_f64 v[21:22], v[27:28], v[21:22], s[78:79]
	v_add_f64 v[19:20], v[19:20], -v[29:30]
	s_delay_alu instid0(VALU_DEP_3) | instskip(NEXT) | instid1(VALU_DEP_3)
	v_add_f64 v[53:54], v[47:48], -v[51:52]
	v_fma_f64 v[21:22], v[27:28], v[21:22], s[80:81]
	v_add_f64 v[29:30], v[45:46], -v[51:52]
	s_delay_alu instid0(VALU_DEP_4) | instskip(NEXT) | instid1(VALU_DEP_4)
	v_add_f64 v[45:46], v[43:44], v[19:20]
	v_add_f64 v[31:32], v[31:32], -v[53:54]
	s_delay_alu instid0(VALU_DEP_4) | instskip(NEXT) | instid1(VALU_DEP_2)
	v_fma_f64 v[21:22], v[27:28], v[21:22], s[82:83]
	v_add_f64 v[29:30], v[29:30], v[31:32]
	s_delay_alu instid0(VALU_DEP_2) | instskip(SKIP_1) | instid1(VALU_DEP_3)
	v_fma_f64 v[21:22], v[27:28], v[21:22], s[84:85]
	v_add_f64 v[31:32], v[45:46], -v[43:44]
	v_add_f64 v[29:30], v[45:46], v[29:30]
	s_delay_alu instid0(VALU_DEP_3) | instskip(NEXT) | instid1(VALU_DEP_3)
	v_mul_f64 v[21:22], v[27:28], v[21:22]
	v_add_f64 v[27:28], v[45:46], -v[31:32]
	v_add_f64 v[19:20], v[19:20], -v[31:32]
	s_delay_alu instid0(VALU_DEP_4) | instskip(NEXT) | instid1(VALU_DEP_4)
	v_add_f64 v[45:46], v[47:48], v[29:30]
	v_fma_f64 v[17:18], v[17:18], v[21:22], v[17:18]
	s_delay_alu instid0(VALU_DEP_4) | instskip(NEXT) | instid1(VALU_DEP_3)
	v_add_f64 v[21:22], v[43:44], -v[27:28]
	v_add_f64 v[27:28], v[45:46], -v[47:48]
	s_delay_alu instid0(VALU_DEP_3) | instskip(NEXT) | instid1(VALU_DEP_3)
	v_add_f64 v[31:32], -v[17:18], s[86:87]
	v_add_f64 v[19:20], v[19:20], v[21:22]
	s_delay_alu instid0(VALU_DEP_3) | instskip(SKIP_1) | instid1(VALU_DEP_4)
	v_add_f64 v[21:22], v[29:30], -v[27:28]
	v_and_b32_e32 v27, 0x54442d18, v5
	v_cndmask_b32_e64 v18, v18, v32, s4
	v_cndmask_b32_e64 v17, v17, v31, s4
	v_and_b32_e32 v5, 0x400921fb, v5
	v_add_f64 v[19:20], v[19:20], v[21:22]
	s_delay_alu instid0(VALU_DEP_3) | instskip(NEXT) | instid1(VALU_DEP_2)
	v_add_f64 v[21:22], -v[17:18], s[14:15]
	v_add_f64 v[19:20], v[45:46], v[19:20]
	s_delay_alu instid0(VALU_DEP_2) | instskip(SKIP_2) | instid1(VALU_DEP_3)
	v_dual_cndmask_b32 v17, v17, v21 :: v_dual_cndmask_b32 v18, v18, v22
	v_cndmask_b32_e32 v21, 0x3fe921fb, v60, vcc_lo
	v_cmp_ngt_f64_e32 vcc_lo, 0, v[25:26]
	v_cndmask_b32_e64 v22, v17, v27, s6
	s_delay_alu instid0(VALU_DEP_4) | instskip(NEXT) | instid1(VALU_DEP_4)
	v_cndmask_b32_e64 v5, v18, v5, s6
	v_bfi_b32 v21, 0x7fffffff, v21, v8
	v_cndmask_b32_e64 v20, v20, v24, s5
	v_cndmask_b32_e64 v19, v19, v23, s5
	v_cmp_nge_f64_e64 s5, 0, v[25:26]
	s_delay_alu instid0(VALU_DEP_3) | instskip(NEXT) | instid1(VALU_DEP_3)
	v_cndmask_b32_e64 v20, v20, 0x7ff00000, s10
	v_cndmask_b32_e64 v17, v19, 0, s10
	s_delay_alu instid0(VALU_DEP_2) | instskip(SKIP_2) | instid1(VALU_DEP_3)
	v_cndmask_b32_e32 v18, 0x7ff80000, v20, vcc_lo
	s_and_b32 vcc_lo, s9, s8
	v_dual_cndmask_b32 v20, v5, v21 :: v_dual_cndmask_b32 v19, v22, v6
	v_cndmask_b32_e64 v17, 0, v17, s5
	v_cmp_neq_f64_e64 s5, 0, v[25:26]
	s_delay_alu instid0(VALU_DEP_1)
	v_cndmask_b32_e64 v18, 0xfff00000, v18, s5
.LBB168_170:                            ;   in Loop: Header=BB168_145 Depth=1
	s_or_b32 exec_lo, exec_lo, s7
                                        ; implicit-def: $vgpr21_vgpr22
.LBB168_171:                            ;   in Loop: Header=BB168_145 Depth=1
	s_and_not1_saveexec_b32 s7, s89
	s_cbranch_execz .LBB168_177
; %bb.172:                              ;   in Loop: Header=BB168_145 Depth=1
                                        ; implicit-def: $vgpr17_vgpr18
	s_mov_b32 s5, exec_lo
	v_cmpx_ngt_f64_e32 s[90:91], v[21:22]
	s_xor_b32 s8, exec_lo, s5
	s_cbranch_execz .LBB168_174
; %bb.173:                              ;   in Loop: Header=BB168_145 Depth=1
	v_mul_f64 v[17:18], v[21:22], v[21:22]
	s_mov_b32 s97, s25
	s_mov_b32 s14, s86
	v_cmp_eq_f64_e64 s6, 0, v[7:8]
	v_cmp_class_f64_e64 s9, v[7:8], 0x204
	v_cmp_class_f64_e64 s10, v[5:6], 0x204
	v_cmp_gt_i32_e64 s5, 0, v6
	v_add_f64 v[19:20], v[17:18], 1.0
	s_delay_alu instid0(VALU_DEP_1) | instskip(SKIP_2) | instid1(VALU_DEP_3)
	v_frexp_mant_f64_e32 v[21:22], v[19:20]
	v_frexp_exp_i32_f64_e32 v25, v[19:20]
	v_add_f64 v[23:24], v[19:20], -1.0
	v_cmp_gt_f64_e32 vcc_lo, s[24:25], v[21:22]
	s_delay_alu instid0(VALU_DEP_2) | instskip(SKIP_2) | instid1(VALU_DEP_3)
	v_add_f64 v[21:22], v[23:24], -v[19:20]
	v_add_f64 v[23:24], v[17:18], -v[23:24]
	v_subrev_co_ci_u32_e32 v34, vcc_lo, 0, v25, vcc_lo
	v_add_f64 v[21:22], v[21:22], 1.0
	s_delay_alu instid0(VALU_DEP_2) | instskip(NEXT) | instid1(VALU_DEP_1)
	v_sub_nc_u32_e32 v27, 0, v34
	v_ldexp_f64 v[19:20], v[19:20], v27
	s_delay_alu instid0(VALU_DEP_3) | instskip(NEXT) | instid1(VALU_DEP_2)
	v_add_f64 v[21:22], v[23:24], v[21:22]
	v_add_f64 v[25:26], v[19:20], 1.0
	v_add_f64 v[31:32], v[19:20], -1.0
	s_delay_alu instid0(VALU_DEP_3) | instskip(NEXT) | instid1(VALU_DEP_3)
	v_ldexp_f64 v[21:22], v[21:22], v27
	v_add_f64 v[23:24], v[25:26], -1.0
	s_delay_alu instid0(VALU_DEP_3) | instskip(NEXT) | instid1(VALU_DEP_2)
	v_add_f64 v[43:44], v[31:32], 1.0
	v_add_f64 v[23:24], v[19:20], -v[23:24]
	s_delay_alu instid0(VALU_DEP_2) | instskip(NEXT) | instid1(VALU_DEP_2)
	v_add_f64 v[19:20], v[19:20], -v[43:44]
	v_add_f64 v[23:24], v[21:22], v[23:24]
	s_delay_alu instid0(VALU_DEP_2) | instskip(NEXT) | instid1(VALU_DEP_2)
	v_add_f64 v[19:20], v[21:22], v[19:20]
	v_add_f64 v[27:28], v[25:26], v[23:24]
	s_delay_alu instid0(VALU_DEP_2) | instskip(NEXT) | instid1(VALU_DEP_2)
	v_add_f64 v[43:44], v[31:32], v[19:20]
	v_rcp_f64_e32 v[29:30], v[27:28]
	v_add_f64 v[25:26], v[25:26], -v[27:28]
	s_delay_alu instid0(VALU_DEP_2) | instskip(NEXT) | instid1(VALU_DEP_2)
	v_add_f64 v[31:32], v[31:32], -v[43:44]
	v_add_f64 v[23:24], v[23:24], v[25:26]
	s_waitcnt_depctr 0xfff
	v_fma_f64 v[45:46], -v[27:28], v[29:30], 1.0
	v_add_f64 v[19:20], v[19:20], v[31:32]
	s_delay_alu instid0(VALU_DEP_2) | instskip(NEXT) | instid1(VALU_DEP_1)
	v_fma_f64 v[29:30], v[45:46], v[29:30], v[29:30]
	v_fma_f64 v[21:22], -v[27:28], v[29:30], 1.0
	s_delay_alu instid0(VALU_DEP_1) | instskip(NEXT) | instid1(VALU_DEP_1)
	v_fma_f64 v[21:22], v[21:22], v[29:30], v[29:30]
	v_mul_f64 v[29:30], v[43:44], v[21:22]
	s_delay_alu instid0(VALU_DEP_1) | instskip(NEXT) | instid1(VALU_DEP_1)
	v_mul_f64 v[45:46], v[27:28], v[29:30]
	v_fma_f64 v[25:26], v[29:30], v[27:28], -v[45:46]
	s_delay_alu instid0(VALU_DEP_1) | instskip(NEXT) | instid1(VALU_DEP_1)
	v_fma_f64 v[25:26], v[29:30], v[23:24], v[25:26]
	v_add_f64 v[47:48], v[45:46], v[25:26]
	s_delay_alu instid0(VALU_DEP_1) | instskip(SKIP_2) | instid1(VALU_DEP_3)
	v_add_f64 v[49:50], v[43:44], -v[47:48]
	v_add_f64 v[31:32], v[47:48], -v[45:46]
	v_max_f64 v[45:46], |v[7:8]|, |v[7:8]|
	v_add_f64 v[43:44], v[43:44], -v[49:50]
	s_delay_alu instid0(VALU_DEP_3) | instskip(NEXT) | instid1(VALU_DEP_2)
	v_add_f64 v[25:26], v[31:32], -v[25:26]
	v_add_f64 v[43:44], v[43:44], -v[47:48]
	v_max_f64 v[47:48], |v[5:6]|, |v[5:6]|
	s_delay_alu instid0(VALU_DEP_2) | instskip(NEXT) | instid1(VALU_DEP_2)
	v_add_f64 v[19:20], v[19:20], v[43:44]
	v_max_f64 v[51:52], v[47:48], v[45:46]
	v_min_f64 v[45:46], v[47:48], v[45:46]
	s_delay_alu instid0(VALU_DEP_3) | instskip(NEXT) | instid1(VALU_DEP_1)
	v_add_f64 v[19:20], v[25:26], v[19:20]
	v_add_f64 v[25:26], v[49:50], v[19:20]
	s_delay_alu instid0(VALU_DEP_1) | instskip(SKIP_1) | instid1(VALU_DEP_2)
	v_mul_f64 v[31:32], v[21:22], v[25:26]
	v_add_f64 v[49:50], v[49:50], -v[25:26]
	v_mul_f64 v[43:44], v[27:28], v[31:32]
	s_delay_alu instid0(VALU_DEP_2) | instskip(NEXT) | instid1(VALU_DEP_2)
	v_add_f64 v[19:20], v[19:20], v[49:50]
	v_fma_f64 v[27:28], v[31:32], v[27:28], -v[43:44]
	s_delay_alu instid0(VALU_DEP_1) | instskip(SKIP_1) | instid1(VALU_DEP_2)
	v_fma_f64 v[23:24], v[31:32], v[23:24], v[27:28]
	v_div_scale_f64 v[27:28], null, v[51:52], v[51:52], v[45:46]
	v_add_f64 v[47:48], v[43:44], v[23:24]
	s_delay_alu instid0(VALU_DEP_2) | instskip(NEXT) | instid1(VALU_DEP_1)
	v_rcp_f64_e32 v[53:54], v[27:28]
	v_add_f64 v[55:56], v[25:26], -v[47:48]
	v_add_f64 v[43:44], v[47:48], -v[43:44]
	s_waitcnt_depctr 0xfff
	v_fma_f64 v[57:58], -v[27:28], v[53:54], 1.0
	v_add_f64 v[25:26], v[25:26], -v[55:56]
	v_add_f64 v[23:24], v[43:44], -v[23:24]
	s_delay_alu instid0(VALU_DEP_3) | instskip(NEXT) | instid1(VALU_DEP_3)
	v_fma_f64 v[53:54], v[53:54], v[57:58], v[53:54]
	v_add_f64 v[25:26], v[25:26], -v[47:48]
	s_delay_alu instid0(VALU_DEP_2) | instskip(NEXT) | instid1(VALU_DEP_2)
	v_fma_f64 v[47:48], -v[27:28], v[53:54], 1.0
	v_add_f64 v[19:20], v[19:20], v[25:26]
	v_div_scale_f64 v[25:26], vcc_lo, v[45:46], v[51:52], v[45:46]
	s_delay_alu instid0(VALU_DEP_3) | instskip(SKIP_1) | instid1(VALU_DEP_4)
	v_fma_f64 v[43:44], v[53:54], v[47:48], v[53:54]
	v_add_f64 v[47:48], v[29:30], v[31:32]
	v_add_f64 v[19:20], v[23:24], v[19:20]
	s_delay_alu instid0(VALU_DEP_3) | instskip(NEXT) | instid1(VALU_DEP_3)
	v_mul_f64 v[23:24], v[25:26], v[43:44]
	v_add_f64 v[29:30], v[47:48], -v[29:30]
	s_delay_alu instid0(VALU_DEP_3) | instskip(NEXT) | instid1(VALU_DEP_3)
	v_add_f64 v[19:20], v[55:56], v[19:20]
	v_fma_f64 v[25:26], -v[27:28], v[23:24], v[25:26]
	s_delay_alu instid0(VALU_DEP_3) | instskip(NEXT) | instid1(VALU_DEP_3)
	v_add_f64 v[27:28], v[31:32], -v[29:30]
	v_mul_f64 v[19:20], v[21:22], v[19:20]
	s_delay_alu instid0(VALU_DEP_3) | instskip(SKIP_1) | instid1(VALU_DEP_3)
	v_div_fmas_f64 v[21:22], v[25:26], v[43:44], v[23:24]
	v_cmp_eq_f64_e32 vcc_lo, 0x7ff00000, v[17:18]
	v_add_f64 v[19:20], v[27:28], v[19:20]
	s_delay_alu instid0(VALU_DEP_3) | instskip(NEXT) | instid1(VALU_DEP_2)
	v_div_fixup_f64 v[21:22], v[21:22], v[51:52], v[45:46]
	v_add_f64 v[23:24], v[47:48], v[19:20]
	s_delay_alu instid0(VALU_DEP_2) | instskip(NEXT) | instid1(VALU_DEP_2)
	v_mul_f64 v[25:26], v[21:22], v[21:22]
	v_mul_f64 v[27:28], v[23:24], v[23:24]
	s_delay_alu instid0(VALU_DEP_2) | instskip(NEXT) | instid1(VALU_DEP_2)
	v_fma_f64 v[29:30], v[25:26], s[48:49], s[46:47]
	v_fma_f64 v[31:32], v[27:28], s[28:29], s[26:27]
	v_mul_f64 v[43:44], v[23:24], v[27:28]
	s_delay_alu instid0(VALU_DEP_3) | instskip(NEXT) | instid1(VALU_DEP_3)
	v_fma_f64 v[29:30], v[25:26], v[29:30], s[50:51]
	v_fma_f64 v[31:32], v[27:28], v[31:32], s[34:35]
	s_delay_alu instid0(VALU_DEP_2) | instskip(NEXT) | instid1(VALU_DEP_2)
	v_fma_f64 v[29:30], v[25:26], v[29:30], s[52:53]
	v_fma_f64 v[31:32], v[27:28], v[31:32], s[36:37]
	s_delay_alu instid0(VALU_DEP_2) | instskip(NEXT) | instid1(VALU_DEP_2)
	;; [unrolled: 3-line block ×4, first 2 shown]
	v_fma_f64 v[29:30], v[25:26], v[29:30], s[58:59]
	v_fma_f64 v[27:28], v[27:28], v[31:32], s[96:97]
	v_ldexp_f64 v[31:32], v[23:24], 1
	v_add_f64 v[23:24], v[23:24], -v[47:48]
	s_delay_alu instid0(VALU_DEP_4) | instskip(NEXT) | instid1(VALU_DEP_4)
	v_fma_f64 v[29:30], v[25:26], v[29:30], s[60:61]
	v_mul_f64 v[27:28], v[43:44], v[27:28]
	v_cvt_f64_i32_e32 v[43:44], v34
	s_delay_alu instid0(VALU_DEP_4) | instskip(NEXT) | instid1(VALU_DEP_4)
	v_add_f64 v[19:20], v[19:20], -v[23:24]
	v_fma_f64 v[29:30], v[25:26], v[29:30], s[62:63]
	s_delay_alu instid0(VALU_DEP_4) | instskip(NEXT) | instid1(VALU_DEP_4)
	v_add_f64 v[45:46], v[31:32], v[27:28]
	v_mul_f64 v[47:48], v[43:44], s[42:43]
	s_delay_alu instid0(VALU_DEP_4) | instskip(NEXT) | instid1(VALU_DEP_4)
	v_ldexp_f64 v[19:20], v[19:20], 1
	v_fma_f64 v[29:30], v[25:26], v[29:30], s[64:65]
	s_delay_alu instid0(VALU_DEP_4) | instskip(NEXT) | instid1(VALU_DEP_4)
	v_add_f64 v[23:24], v[45:46], -v[31:32]
	v_fma_f64 v[31:32], v[43:44], s[42:43], -v[47:48]
	s_delay_alu instid0(VALU_DEP_3) | instskip(NEXT) | instid1(VALU_DEP_3)
	v_fma_f64 v[29:30], v[25:26], v[29:30], s[66:67]
	v_add_f64 v[23:24], v[27:28], -v[23:24]
	s_delay_alu instid0(VALU_DEP_2) | instskip(NEXT) | instid1(VALU_DEP_4)
	v_fma_f64 v[27:28], v[25:26], v[29:30], s[68:69]
	v_fma_f64 v[29:30], v[43:44], s[44:45], v[31:32]
	s_delay_alu instid0(VALU_DEP_3) | instskip(NEXT) | instid1(VALU_DEP_3)
	v_add_f64 v[19:20], v[19:20], v[23:24]
	v_fma_f64 v[23:24], v[25:26], v[27:28], s[70:71]
	s_delay_alu instid0(VALU_DEP_3) | instskip(NEXT) | instid1(VALU_DEP_3)
	v_add_f64 v[27:28], v[47:48], v[29:30]
	v_add_f64 v[31:32], v[45:46], v[19:20]
	s_delay_alu instid0(VALU_DEP_3) | instskip(NEXT) | instid1(VALU_DEP_3)
	v_fma_f64 v[23:24], v[25:26], v[23:24], s[72:73]
	v_add_f64 v[47:48], v[27:28], -v[47:48]
	s_delay_alu instid0(VALU_DEP_3) | instskip(SKIP_1) | instid1(VALU_DEP_4)
	v_add_f64 v[43:44], v[27:28], v[31:32]
	v_add_f64 v[45:46], v[31:32], -v[45:46]
	v_fma_f64 v[23:24], v[25:26], v[23:24], s[74:75]
	s_delay_alu instid0(VALU_DEP_4) | instskip(NEXT) | instid1(VALU_DEP_4)
	v_add_f64 v[29:30], v[29:30], -v[47:48]
	v_add_f64 v[49:50], v[43:44], -v[27:28]
	s_delay_alu instid0(VALU_DEP_4) | instskip(NEXT) | instid1(VALU_DEP_4)
	v_add_f64 v[19:20], v[19:20], -v[45:46]
	v_fma_f64 v[23:24], v[25:26], v[23:24], s[76:77]
	s_delay_alu instid0(VALU_DEP_3) | instskip(SKIP_1) | instid1(VALU_DEP_4)
	v_add_f64 v[51:52], v[43:44], -v[49:50]
	v_add_f64 v[31:32], v[31:32], -v[49:50]
	v_add_f64 v[45:46], v[29:30], v[19:20]
	s_delay_alu instid0(VALU_DEP_4) | instskip(NEXT) | instid1(VALU_DEP_4)
	v_fma_f64 v[23:24], v[25:26], v[23:24], s[78:79]
	v_add_f64 v[27:28], v[27:28], -v[51:52]
	s_delay_alu instid0(VALU_DEP_2) | instskip(NEXT) | instid1(VALU_DEP_2)
	v_fma_f64 v[23:24], v[25:26], v[23:24], s[80:81]
	v_add_f64 v[27:28], v[31:32], v[27:28]
	v_add_f64 v[31:32], v[45:46], -v[29:30]
	s_delay_alu instid0(VALU_DEP_3) | instskip(NEXT) | instid1(VALU_DEP_3)
	v_fma_f64 v[23:24], v[25:26], v[23:24], s[82:83]
	v_add_f64 v[27:28], v[45:46], v[27:28]
	s_delay_alu instid0(VALU_DEP_3) | instskip(SKIP_1) | instid1(VALU_DEP_4)
	v_add_f64 v[45:46], v[45:46], -v[31:32]
	v_add_f64 v[19:20], v[19:20], -v[31:32]
	v_fma_f64 v[23:24], v[25:26], v[23:24], s[84:85]
	s_delay_alu instid0(VALU_DEP_4) | instskip(NEXT) | instid1(VALU_DEP_2)
	v_add_f64 v[47:48], v[43:44], v[27:28]
	v_mul_f64 v[23:24], v[25:26], v[23:24]
	v_add_f64 v[25:26], v[29:30], -v[45:46]
	s_delay_alu instid0(VALU_DEP_3) | instskip(NEXT) | instid1(VALU_DEP_3)
	v_add_f64 v[29:30], v[47:48], -v[43:44]
	v_fma_f64 v[21:22], v[21:22], v[23:24], v[21:22]
	s_delay_alu instid0(VALU_DEP_3) | instskip(NEXT) | instid1(VALU_DEP_3)
	v_add_f64 v[19:20], v[19:20], v[25:26]
	v_add_f64 v[23:24], v[27:28], -v[29:30]
	s_delay_alu instid0(VALU_DEP_3) | instskip(NEXT) | instid1(VALU_DEP_2)
	v_add_f64 v[25:26], -v[21:22], s[86:87]
	v_add_f64 v[19:20], v[19:20], v[23:24]
	s_delay_alu instid0(VALU_DEP_2) | instskip(NEXT) | instid1(VALU_DEP_3)
	v_cndmask_b32_e64 v22, v22, v26, s4
	v_cndmask_b32_e64 v21, v21, v25, s4
	v_ashrrev_i32_e32 v25, 31, v6
	v_cndmask_b32_e64 v26, 0x54442d18, v59, s5
	s_delay_alu instid0(VALU_DEP_3) | instskip(SKIP_1) | instid1(VALU_DEP_4)
	v_add_f64 v[23:24], -v[21:22], s[14:15]
	v_add_f64 v[19:20], v[47:48], v[19:20]
	v_and_b32_e32 v27, 0x54442d18, v25
	s_delay_alu instid0(VALU_DEP_3) | instskip(NEXT) | instid1(VALU_DEP_3)
	v_cndmask_b32_e64 v21, v21, v23, s5
	v_dual_cndmask_b32 v6, v20, v18 :: v_dual_cndmask_b32 v5, v19, v17
	v_cndmask_b32_e64 v19, v22, v24, s5
	s_delay_alu instid0(VALU_DEP_3) | instskip(SKIP_1) | instid1(VALU_DEP_3)
	v_cndmask_b32_e64 v21, v21, v27, s6
	s_and_b32 vcc_lo, s9, s10
	v_mul_f64 v[17:18], v[5:6], 0.5
	v_cndmask_b32_e64 v5, 0x3fe921fb, v60, s5
	v_and_b32_e32 v6, 0x400921fb, v25
	s_delay_alu instid0(VALU_DEP_2) | instskip(NEXT) | instid1(VALU_DEP_2)
	v_bfi_b32 v5, 0x7fffffff, v5, v8
	v_cndmask_b32_e64 v6, v19, v6, s6
	v_cndmask_b32_e32 v19, v21, v26, vcc_lo
                                        ; implicit-def: $vgpr21_vgpr22
	s_delay_alu instid0(VALU_DEP_2)
	v_cndmask_b32_e32 v20, v6, v5, vcc_lo
.LBB168_174:                            ;   in Loop: Header=BB168_145 Depth=1
	s_and_not1_saveexec_b32 s6, s8
	s_cbranch_execz .LBB168_176
; %bb.175:                              ;   in Loop: Header=BB168_145 Depth=1
	v_max_f64 v[17:18], |v[7:8]|, |v[7:8]|
	v_max_f64 v[19:20], |v[5:6]|, |v[5:6]|
	s_mov_b32 s14, s86
	v_cmp_eq_f64_e64 s5, 0, v[7:8]
	v_cmp_class_f64_e64 s8, v[7:8], 0x204
	v_cmp_class_f64_e64 s9, v[5:6], 0x204
	s_delay_alu instid0(VALU_DEP_4) | instskip(SKIP_1) | instid1(VALU_DEP_1)
	v_max_f64 v[23:24], v[19:20], v[17:18]
	v_min_f64 v[17:18], v[19:20], v[17:18]
	v_div_scale_f64 v[19:20], null, v[23:24], v[23:24], v[17:18]
	v_div_scale_f64 v[29:30], vcc_lo, v[17:18], v[23:24], v[17:18]
	s_delay_alu instid0(VALU_DEP_2) | instskip(SKIP_2) | instid1(VALU_DEP_1)
	v_rcp_f64_e32 v[25:26], v[19:20]
	s_waitcnt_depctr 0xfff
	v_fma_f64 v[27:28], -v[19:20], v[25:26], 1.0
	v_fma_f64 v[25:26], v[25:26], v[27:28], v[25:26]
	s_delay_alu instid0(VALU_DEP_1) | instskip(NEXT) | instid1(VALU_DEP_1)
	v_fma_f64 v[27:28], -v[19:20], v[25:26], 1.0
	v_fma_f64 v[25:26], v[25:26], v[27:28], v[25:26]
	s_delay_alu instid0(VALU_DEP_1) | instskip(NEXT) | instid1(VALU_DEP_1)
	v_mul_f64 v[27:28], v[29:30], v[25:26]
	v_fma_f64 v[19:20], -v[19:20], v[27:28], v[29:30]
	s_delay_alu instid0(VALU_DEP_1) | instskip(SKIP_2) | instid1(VALU_DEP_2)
	v_div_fmas_f64 v[19:20], v[19:20], v[25:26], v[27:28]
	v_ashrrev_i32_e32 v25, 31, v6
	v_cmp_gt_i32_e32 vcc_lo, 0, v6
	v_dual_cndmask_b32 v26, 0x54442d18, v59 :: v_dual_and_b32 v27, 0x54442d18, v25
	v_cndmask_b32_e32 v5, 0x3fe921fb, v60, vcc_lo
	v_and_b32_e32 v6, 0x400921fb, v25
	s_delay_alu instid0(VALU_DEP_2) | instskip(SKIP_1) | instid1(VALU_DEP_1)
	v_bfi_b32 v5, 0x7fffffff, v5, v8
	v_div_fixup_f64 v[17:18], v[19:20], v[23:24], v[17:18]
	v_mul_f64 v[19:20], v[17:18], v[17:18]
	s_delay_alu instid0(VALU_DEP_1) | instskip(NEXT) | instid1(VALU_DEP_1)
	v_fma_f64 v[23:24], v[19:20], s[48:49], s[46:47]
	v_fma_f64 v[23:24], v[19:20], v[23:24], s[50:51]
	s_delay_alu instid0(VALU_DEP_1) | instskip(NEXT) | instid1(VALU_DEP_1)
	v_fma_f64 v[23:24], v[19:20], v[23:24], s[52:53]
	v_fma_f64 v[23:24], v[19:20], v[23:24], s[54:55]
	;; [unrolled: 3-line block ×9, first 2 shown]
	s_delay_alu instid0(VALU_DEP_1) | instskip(NEXT) | instid1(VALU_DEP_1)
	v_fma_f64 v[23:24], v[19:20], v[23:24], s[84:85]
	v_mul_f64 v[19:20], v[19:20], v[23:24]
	s_delay_alu instid0(VALU_DEP_1) | instskip(NEXT) | instid1(VALU_DEP_1)
	v_fma_f64 v[17:18], v[17:18], v[19:20], v[17:18]
	v_add_f64 v[19:20], -v[17:18], s[86:87]
	s_delay_alu instid0(VALU_DEP_1) | instskip(NEXT) | instid1(VALU_DEP_2)
	v_cndmask_b32_e64 v20, v18, v20, s4
	v_cndmask_b32_e64 v19, v17, v19, s4
	v_mul_f64 v[17:18], v[21:22], 0.5
	s_delay_alu instid0(VALU_DEP_2) | instskip(NEXT) | instid1(VALU_DEP_2)
	v_add_f64 v[23:24], -v[19:20], s[14:15]
	v_mul_f64 v[17:18], v[21:22], v[17:18]
	s_delay_alu instid0(VALU_DEP_2) | instskip(NEXT) | instid1(VALU_DEP_1)
	v_cndmask_b32_e32 v19, v19, v23, vcc_lo
	v_cndmask_b32_e64 v19, v19, v27, s5
	s_delay_alu instid0(VALU_DEP_4) | instskip(SKIP_1) | instid1(VALU_DEP_2)
	v_cndmask_b32_e32 v20, v20, v24, vcc_lo
	s_and_b32 vcc_lo, s8, s9
	v_cndmask_b32_e32 v19, v19, v26, vcc_lo
	s_delay_alu instid0(VALU_DEP_2) | instskip(NEXT) | instid1(VALU_DEP_1)
	v_cndmask_b32_e64 v6, v20, v6, s5
	v_cndmask_b32_e32 v20, v6, v5, vcc_lo
.LBB168_176:                            ;   in Loop: Header=BB168_145 Depth=1
	s_or_b32 exec_lo, exec_lo, s6
.LBB168_177:                            ;   in Loop: Header=BB168_145 Depth=1
	s_delay_alu instid0(SALU_CYCLE_1)
	s_or_b32 exec_lo, exec_lo, s7
.LBB168_178:                            ;   in Loop: Header=BB168_145 Depth=1
	s_and_not1_saveexec_b32 s7, s88
	s_cbranch_execz .LBB168_180
; %bb.179:                              ;   in Loop: Header=BB168_145 Depth=1
	v_div_scale_f64 v[17:18], null, s[92:93], s[92:93], v[5:6]
	v_div_scale_f64 v[19:20], null, s[92:93], s[92:93], v[7:8]
	v_div_scale_f64 v[29:30], vcc_lo, v[5:6], s[92:93], v[5:6]
	v_max_f64 v[45:46], |v[5:6]|, |v[5:6]|
	s_mov_b32 s97, s25
	s_mov_b32 s14, s86
	s_delay_alu instid0(VALU_DEP_4) | instskip(NEXT) | instid1(VALU_DEP_3)
	v_rcp_f64_e32 v[21:22], v[17:18]
	v_rcp_f64_e32 v[23:24], v[19:20]
	s_waitcnt_depctr 0xfff
	v_fma_f64 v[25:26], -v[17:18], v[21:22], 1.0
	v_fma_f64 v[27:28], -v[19:20], v[23:24], 1.0
	s_delay_alu instid0(VALU_DEP_2) | instskip(NEXT) | instid1(VALU_DEP_2)
	v_fma_f64 v[21:22], v[21:22], v[25:26], v[21:22]
	v_fma_f64 v[23:24], v[23:24], v[27:28], v[23:24]
	s_delay_alu instid0(VALU_DEP_2) | instskip(NEXT) | instid1(VALU_DEP_2)
	v_fma_f64 v[25:26], -v[17:18], v[21:22], 1.0
	v_fma_f64 v[27:28], -v[19:20], v[23:24], 1.0
	s_delay_alu instid0(VALU_DEP_2) | instskip(SKIP_1) | instid1(VALU_DEP_3)
	v_fma_f64 v[21:22], v[21:22], v[25:26], v[21:22]
	v_div_scale_f64 v[25:26], s5, v[7:8], s[92:93], v[7:8]
	v_fma_f64 v[23:24], v[23:24], v[27:28], v[23:24]
	s_delay_alu instid0(VALU_DEP_3) | instskip(NEXT) | instid1(VALU_DEP_2)
	v_mul_f64 v[27:28], v[29:30], v[21:22]
	v_mul_f64 v[31:32], v[25:26], v[23:24]
	s_delay_alu instid0(VALU_DEP_2) | instskip(NEXT) | instid1(VALU_DEP_2)
	v_fma_f64 v[17:18], -v[17:18], v[27:28], v[29:30]
	v_fma_f64 v[19:20], -v[19:20], v[31:32], v[25:26]
	s_delay_alu instid0(VALU_DEP_2) | instskip(SKIP_1) | instid1(VALU_DEP_2)
	v_div_fmas_f64 v[17:18], v[17:18], v[21:22], v[27:28]
	s_mov_b32 vcc_lo, s5
	v_div_fmas_f64 v[19:20], v[19:20], v[23:24], v[31:32]
	s_delay_alu instid0(VALU_DEP_2) | instskip(NEXT) | instid1(VALU_DEP_2)
	v_div_fixup_f64 v[17:18], v[17:18], s[92:93], v[5:6]
	v_div_fixup_f64 v[19:20], v[19:20], s[92:93], v[7:8]
	s_delay_alu instid0(VALU_DEP_2) | instskip(NEXT) | instid1(VALU_DEP_2)
	v_cmp_class_f64_e64 s6, v[17:18], 0x204
	v_max_f64 v[21:22], |v[17:18]|, |v[19:20]|
	v_cmp_o_f64_e64 s5, v[17:18], v[19:20]
	v_cmp_class_f64_e64 s8, v[19:20], 0x204
	s_delay_alu instid0(VALU_DEP_3) | instskip(NEXT) | instid1(VALU_DEP_2)
	v_frexp_exp_i32_f64_e32 v29, v[21:22]
	s_or_b32 s8, s8, s6
	s_delay_alu instid0(VALU_DEP_1) | instskip(NEXT) | instid1(VALU_DEP_1)
	v_sub_nc_u32_e32 v23, 0, v29
	v_ldexp_f64 v[21:22], |v[19:20]|, v23
	v_ldexp_f64 v[23:24], |v[17:18]|, v23
	s_delay_alu instid0(VALU_DEP_2) | instskip(NEXT) | instid1(VALU_DEP_1)
	v_mul_f64 v[21:22], v[21:22], v[21:22]
	v_fma_f64 v[21:22], v[23:24], v[23:24], v[21:22]
	s_delay_alu instid0(VALU_DEP_1) | instskip(SKIP_4) | instid1(VALU_DEP_1)
	v_rsq_f64_e32 v[23:24], v[21:22]
	v_cmp_eq_f64_e32 vcc_lo, 0, v[21:22]
	s_waitcnt_depctr 0xfff
	v_mul_f64 v[25:26], v[21:22], v[23:24]
	v_mul_f64 v[23:24], v[23:24], 0.5
	v_fma_f64 v[27:28], -v[23:24], v[25:26], 0.5
	s_delay_alu instid0(VALU_DEP_1) | instskip(SKIP_1) | instid1(VALU_DEP_2)
	v_fma_f64 v[25:26], v[25:26], v[27:28], v[25:26]
	v_fma_f64 v[23:24], v[23:24], v[27:28], v[23:24]
	v_fma_f64 v[27:28], -v[25:26], v[25:26], v[21:22]
	s_delay_alu instid0(VALU_DEP_1) | instskip(NEXT) | instid1(VALU_DEP_1)
	v_fma_f64 v[23:24], v[27:28], v[23:24], v[25:26]
	v_dual_cndmask_b32 v22, v24, v22 :: v_dual_cndmask_b32 v21, v23, v21
	s_delay_alu instid0(VALU_DEP_1) | instskip(NEXT) | instid1(VALU_DEP_1)
	v_ldexp_f64 v[21:22], v[21:22], v29
	v_cndmask_b32_e64 v17, 0, v21, s5
	s_delay_alu instid0(VALU_DEP_2) | instskip(SKIP_1) | instid1(VALU_DEP_3)
	v_cndmask_b32_e64 v57, 0x7ff80000, v22, s5
	v_and_b32_e32 v22, 0x7fffffff, v22
	v_cndmask_b32_e64 v18, v17, 0, s8
	s_delay_alu instid0(VALU_DEP_3) | instskip(NEXT) | instid1(VALU_DEP_1)
	v_cndmask_b32_e64 v19, v57, 0x7ff00000, s8
	v_frexp_mant_f64_e32 v[23:24], v[18:19]
	v_frexp_exp_i32_f64_e32 v20, v[18:19]
	s_delay_alu instid0(VALU_DEP_2) | instskip(NEXT) | instid1(VALU_DEP_1)
	v_cmp_gt_f64_e64 s6, s[24:25], v[23:24]
	v_cndmask_b32_e64 v34, 0x3ff00000, 2.0, s6
	s_delay_alu instid0(VALU_DEP_1) | instskip(NEXT) | instid1(VALU_DEP_1)
	v_mul_f64 v[23:24], v[23:24], v[33:34]
	v_add_f64 v[25:26], v[23:24], 1.0
	v_add_f64 v[31:32], v[23:24], -1.0
	s_delay_alu instid0(VALU_DEP_2) | instskip(SKIP_1) | instid1(VALU_DEP_1)
	v_rcp_f64_e32 v[27:28], v[25:26]
	v_add_f64 v[47:48], v[25:26], -1.0
	v_add_f64 v[23:24], v[23:24], -v[47:48]
	s_waitcnt_depctr 0xfff
	v_fma_f64 v[29:30], -v[25:26], v[27:28], 1.0
	s_delay_alu instid0(VALU_DEP_1) | instskip(NEXT) | instid1(VALU_DEP_1)
	v_fma_f64 v[27:28], v[29:30], v[27:28], v[27:28]
	v_fma_f64 v[29:30], -v[25:26], v[27:28], 1.0
	s_delay_alu instid0(VALU_DEP_1) | instskip(SKIP_1) | instid1(VALU_DEP_2)
	v_fma_f64 v[27:28], v[29:30], v[27:28], v[27:28]
	v_max_f64 v[29:30], |v[7:8]|, |v[7:8]|
	v_mul_f64 v[43:44], v[31:32], v[27:28]
	s_delay_alu instid0(VALU_DEP_2) | instskip(SKIP_1) | instid1(VALU_DEP_3)
	v_max_f64 v[51:52], v[45:46], v[29:30]
	v_min_f64 v[29:30], v[45:46], v[29:30]
	v_mul_f64 v[49:50], v[25:26], v[43:44]
	s_delay_alu instid0(VALU_DEP_2) | instskip(NEXT) | instid1(VALU_DEP_2)
	v_div_scale_f64 v[45:46], null, v[51:52], v[51:52], v[29:30]
	v_fma_f64 v[25:26], v[43:44], v[25:26], -v[49:50]
	s_delay_alu instid0(VALU_DEP_1) | instskip(NEXT) | instid1(VALU_DEP_3)
	v_fma_f64 v[23:24], v[43:44], v[23:24], v[25:26]
	v_rcp_f64_e32 v[25:26], v[45:46]
	s_delay_alu instid0(VALU_DEP_1) | instskip(SKIP_4) | instid1(VALU_DEP_3)
	v_add_f64 v[47:48], v[49:50], v[23:24]
	s_waitcnt_depctr 0xfff
	v_fma_f64 v[53:54], -v[45:46], v[25:26], 1.0
	v_add_f64 v[55:56], v[31:32], -v[47:48]
	v_add_f64 v[49:50], v[47:48], -v[49:50]
	v_fma_f64 v[25:26], v[25:26], v[53:54], v[25:26]
	s_delay_alu instid0(VALU_DEP_3) | instskip(NEXT) | instid1(VALU_DEP_3)
	v_add_f64 v[31:32], v[31:32], -v[55:56]
	v_add_f64 v[23:24], v[49:50], -v[23:24]
	s_delay_alu instid0(VALU_DEP_3) | instskip(NEXT) | instid1(VALU_DEP_3)
	v_fma_f64 v[53:54], -v[45:46], v[25:26], 1.0
	v_add_f64 v[31:32], v[31:32], -v[47:48]
	v_div_scale_f64 v[47:48], vcc_lo, v[29:30], v[51:52], v[29:30]
	s_delay_alu instid0(VALU_DEP_3) | instskip(NEXT) | instid1(VALU_DEP_3)
	v_fma_f64 v[25:26], v[25:26], v[53:54], v[25:26]
	v_add_f64 v[23:24], v[23:24], v[31:32]
	s_delay_alu instid0(VALU_DEP_2) | instskip(NEXT) | instid1(VALU_DEP_2)
	v_mul_f64 v[31:32], v[47:48], v[25:26]
	v_add_f64 v[23:24], v[55:56], v[23:24]
	s_delay_alu instid0(VALU_DEP_2) | instskip(NEXT) | instid1(VALU_DEP_2)
	v_fma_f64 v[45:46], -v[45:46], v[31:32], v[47:48]
	v_mul_f64 v[23:24], v[27:28], v[23:24]
	s_delay_alu instid0(VALU_DEP_2)
	v_div_fmas_f64 v[25:26], v[45:46], v[25:26], v[31:32]
	v_subrev_co_ci_u32_e64 v20, vcc_lo, 0, v20, s6
	v_cmp_eq_f64_e32 vcc_lo, 0x7ff00000, v[21:22]
	v_cmp_class_f64_e64 s6, v[5:6], 0x204
	v_add_f64 v[27:28], v[43:44], v[23:24]
	v_div_fixup_f64 v[25:26], v[25:26], v[51:52], v[29:30]
	s_and_b32 vcc_lo, s5, vcc_lo
	v_cmp_class_f64_e64 s5, v[7:8], 0x204
	s_delay_alu instid0(VALU_DEP_3) | instskip(NEXT) | instid1(VALU_DEP_3)
	v_mul_f64 v[29:30], v[27:28], v[27:28]
	v_mul_f64 v[31:32], v[25:26], v[25:26]
	s_delay_alu instid0(VALU_DEP_2) | instskip(SKIP_1) | instid1(VALU_DEP_3)
	v_fma_f64 v[45:46], v[29:30], s[28:29], s[26:27]
	v_mul_f64 v[49:50], v[27:28], v[29:30]
	v_fma_f64 v[47:48], v[31:32], s[48:49], s[46:47]
	s_delay_alu instid0(VALU_DEP_3) | instskip(NEXT) | instid1(VALU_DEP_2)
	v_fma_f64 v[45:46], v[29:30], v[45:46], s[34:35]
	v_fma_f64 v[47:48], v[31:32], v[47:48], s[50:51]
	s_delay_alu instid0(VALU_DEP_2) | instskip(NEXT) | instid1(VALU_DEP_2)
	v_fma_f64 v[45:46], v[29:30], v[45:46], s[36:37]
	v_fma_f64 v[47:48], v[31:32], v[47:48], s[52:53]
	s_delay_alu instid0(VALU_DEP_2) | instskip(NEXT) | instid1(VALU_DEP_2)
	;; [unrolled: 3-line block ×4, first 2 shown]
	v_fma_f64 v[29:30], v[29:30], v[45:46], s[96:97]
	v_fma_f64 v[45:46], v[31:32], v[47:48], s[58:59]
	v_ldexp_f64 v[47:48], v[27:28], 1
	v_add_f64 v[27:28], v[27:28], -v[43:44]
	s_delay_alu instid0(VALU_DEP_4) | instskip(SKIP_2) | instid1(VALU_DEP_4)
	v_mul_f64 v[29:30], v[49:50], v[29:30]
	v_cvt_f64_i32_e32 v[49:50], v20
	v_fma_f64 v[45:46], v[31:32], v[45:46], s[60:61]
	v_add_f64 v[23:24], v[23:24], -v[27:28]
	s_delay_alu instid0(VALU_DEP_4) | instskip(NEXT) | instid1(VALU_DEP_4)
	v_add_f64 v[43:44], v[47:48], v[29:30]
	v_mul_f64 v[51:52], v[49:50], s[42:43]
	s_delay_alu instid0(VALU_DEP_4) | instskip(NEXT) | instid1(VALU_DEP_4)
	v_fma_f64 v[45:46], v[31:32], v[45:46], s[62:63]
	v_ldexp_f64 v[23:24], v[23:24], 1
	s_delay_alu instid0(VALU_DEP_4) | instskip(NEXT) | instid1(VALU_DEP_4)
	v_add_f64 v[27:28], v[43:44], -v[47:48]
	v_fma_f64 v[47:48], v[49:50], s[42:43], -v[51:52]
	s_delay_alu instid0(VALU_DEP_4) | instskip(NEXT) | instid1(VALU_DEP_3)
	v_fma_f64 v[45:46], v[31:32], v[45:46], s[64:65]
	v_add_f64 v[27:28], v[29:30], -v[27:28]
	s_delay_alu instid0(VALU_DEP_2) | instskip(NEXT) | instid1(VALU_DEP_4)
	v_fma_f64 v[29:30], v[31:32], v[45:46], s[66:67]
	v_fma_f64 v[45:46], v[49:50], s[44:45], v[47:48]
	s_delay_alu instid0(VALU_DEP_3) | instskip(NEXT) | instid1(VALU_DEP_3)
	v_add_f64 v[23:24], v[23:24], v[27:28]
	v_fma_f64 v[27:28], v[31:32], v[29:30], s[68:69]
	s_delay_alu instid0(VALU_DEP_3) | instskip(NEXT) | instid1(VALU_DEP_3)
	v_add_f64 v[29:30], v[51:52], v[45:46]
	v_add_f64 v[47:48], v[43:44], v[23:24]
	s_delay_alu instid0(VALU_DEP_3) | instskip(NEXT) | instid1(VALU_DEP_3)
	v_fma_f64 v[27:28], v[31:32], v[27:28], s[70:71]
	v_add_f64 v[51:52], v[29:30], -v[51:52]
	s_delay_alu instid0(VALU_DEP_3) | instskip(SKIP_1) | instid1(VALU_DEP_4)
	v_add_f64 v[49:50], v[29:30], v[47:48]
	v_add_f64 v[43:44], v[47:48], -v[43:44]
	v_fma_f64 v[27:28], v[31:32], v[27:28], s[72:73]
	s_delay_alu instid0(VALU_DEP_4) | instskip(NEXT) | instid1(VALU_DEP_4)
	v_add_f64 v[45:46], v[45:46], -v[51:52]
	v_add_f64 v[53:54], v[49:50], -v[29:30]
	s_delay_alu instid0(VALU_DEP_4) | instskip(NEXT) | instid1(VALU_DEP_4)
	v_add_f64 v[23:24], v[23:24], -v[43:44]
	v_fma_f64 v[27:28], v[31:32], v[27:28], s[74:75]
	s_delay_alu instid0(VALU_DEP_3) | instskip(SKIP_1) | instid1(VALU_DEP_4)
	v_add_f64 v[55:56], v[49:50], -v[53:54]
	v_add_f64 v[43:44], v[47:48], -v[53:54]
	v_add_f64 v[47:48], v[45:46], v[23:24]
	s_delay_alu instid0(VALU_DEP_4) | instskip(NEXT) | instid1(VALU_DEP_4)
	v_fma_f64 v[27:28], v[31:32], v[27:28], s[76:77]
	v_add_f64 v[29:30], v[29:30], -v[55:56]
	s_delay_alu instid0(VALU_DEP_2) | instskip(NEXT) | instid1(VALU_DEP_2)
	v_fma_f64 v[27:28], v[31:32], v[27:28], s[78:79]
	v_add_f64 v[29:30], v[43:44], v[29:30]
	v_add_f64 v[43:44], v[47:48], -v[45:46]
	s_delay_alu instid0(VALU_DEP_3) | instskip(NEXT) | instid1(VALU_DEP_3)
	v_fma_f64 v[27:28], v[31:32], v[27:28], s[80:81]
	v_add_f64 v[29:30], v[47:48], v[29:30]
	s_delay_alu instid0(VALU_DEP_3) | instskip(SKIP_1) | instid1(VALU_DEP_4)
	v_add_f64 v[47:48], v[47:48], -v[43:44]
	v_add_f64 v[23:24], v[23:24], -v[43:44]
	v_fma_f64 v[27:28], v[31:32], v[27:28], s[82:83]
	s_delay_alu instid0(VALU_DEP_4) | instskip(NEXT) | instid1(VALU_DEP_4)
	v_add_f64 v[51:52], v[49:50], v[29:30]
	v_add_f64 v[43:44], v[45:46], -v[47:48]
	s_delay_alu instid0(VALU_DEP_3) | instskip(NEXT) | instid1(VALU_DEP_3)
	v_fma_f64 v[27:28], v[31:32], v[27:28], s[84:85]
	v_add_f64 v[45:46], v[51:52], -v[49:50]
	s_delay_alu instid0(VALU_DEP_3) | instskip(NEXT) | instid1(VALU_DEP_3)
	v_add_f64 v[23:24], v[23:24], v[43:44]
	v_mul_f64 v[27:28], v[31:32], v[27:28]
	s_delay_alu instid0(VALU_DEP_3) | instskip(NEXT) | instid1(VALU_DEP_2)
	v_add_f64 v[29:30], v[29:30], -v[45:46]
	v_fma_f64 v[25:26], v[25:26], v[27:28], v[25:26]
	s_delay_alu instid0(VALU_DEP_2) | instskip(NEXT) | instid1(VALU_DEP_2)
	v_add_f64 v[23:24], v[23:24], v[29:30]
	v_add_f64 v[27:28], -v[25:26], s[86:87]
	s_delay_alu instid0(VALU_DEP_2) | instskip(NEXT) | instid1(VALU_DEP_2)
	v_add_f64 v[20:21], v[51:52], v[23:24]
	v_cndmask_b32_e64 v23, v26, v28, s4
	s_delay_alu instid0(VALU_DEP_3) | instskip(SKIP_2) | instid1(VALU_DEP_3)
	v_cndmask_b32_e64 v22, v25, v27, s4
	v_ashrrev_i32_e32 v26, 31, v6
	v_cmp_eq_f64_e64 s4, 0, v[7:8]
	v_add_f64 v[24:25], -v[22:23], s[14:15]
	v_cndmask_b32_e32 v21, v21, v57, vcc_lo
	s_delay_alu instid0(VALU_DEP_4) | instskip(SKIP_1) | instid1(VALU_DEP_2)
	v_dual_cndmask_b32 v20, v20, v17 :: v_dual_and_b32 v17, 0x54442d18, v26
	v_cmp_gt_i32_e32 vcc_lo, 0, v6
	v_add_f64 v[20:21], v[20:21], 1.0
	v_cndmask_b32_e32 v27, 0x54442d18, v59, vcc_lo
	v_dual_cndmask_b32 v22, v22, v24 :: v_dual_cndmask_b32 v23, v23, v25
	v_cndmask_b32_e32 v5, 0x3fe921fb, v60, vcc_lo
	v_cmp_ngt_f64_e32 vcc_lo, 0, v[18:19]
	s_delay_alu instid0(VALU_DEP_3) | instskip(NEXT) | instid1(VALU_DEP_3)
	v_cndmask_b32_e64 v22, v22, v17, s4
	v_bfi_b32 v5, 0x7fffffff, v5, v8
	v_cndmask_b32_e64 v21, v21, 0x7ff00000, s8
	v_cndmask_b32_e64 v17, v20, 0, s8
	s_delay_alu instid0(VALU_DEP_2) | instskip(SKIP_2) | instid1(VALU_DEP_1)
	v_cndmask_b32_e32 v21, 0x7ff80000, v21, vcc_lo
	s_and_b32 vcc_lo, s5, s6
	v_and_b32_e32 v6, 0x400921fb, v26
	v_cndmask_b32_e64 v6, v23, v6, s4
	v_cmp_nge_f64_e64 s4, 0, v[18:19]
	s_delay_alu instid0(VALU_DEP_2) | instskip(NEXT) | instid1(VALU_DEP_2)
	v_cndmask_b32_e32 v20, v6, v5, vcc_lo
	v_cndmask_b32_e64 v17, 0, v17, s4
	v_cmp_neq_f64_e64 s4, 0, v[18:19]
	v_cndmask_b32_e32 v19, v22, v27, vcc_lo
	s_delay_alu instid0(VALU_DEP_2)
	v_cndmask_b32_e64 v18, 0xfff00000, v21, s4
.LBB168_180:                            ;   in Loop: Header=BB168_145 Depth=1
	s_or_b32 exec_lo, exec_lo, s7
.LBB168_181:                            ;   in Loop: Header=BB168_145 Depth=1
	s_and_not1_saveexec_b32 s4, vcc_hi
	s_cbranch_execz .LBB168_187
; %bb.182:                              ;   in Loop: Header=BB168_145 Depth=1
	v_cmp_ngt_f64_e64 s5, 0x20000000, |v[5:6]|
	v_cmp_ngt_f64_e64 s6, 0x20000000, |v[7:8]|
                                        ; implicit-def: $vgpr21_vgpr22
	s_delay_alu instid0(VALU_DEP_1) | instskip(NEXT) | instid1(SALU_CYCLE_1)
	s_or_b32 s5, s6, s5
	s_and_saveexec_b32 s6, s5
	s_delay_alu instid0(SALU_CYCLE_1)
	s_xor_b32 s5, exec_lo, s6
; %bb.183:                              ;   in Loop: Header=BB168_145 Depth=1
	v_mul_f64 v[5:6], v[5:6], v[5:6]
	s_delay_alu instid0(VALU_DEP_1)
	v_fma_f64 v[21:22], v[7:8], v[7:8], v[5:6]
; %bb.184:                              ;   in Loop: Header=BB168_145 Depth=1
	s_and_not1_saveexec_b32 s5, s5
; %bb.185:                              ;   in Loop: Header=BB168_145 Depth=1
	v_mul_f64 v[5:6], v[5:6], 4.0
	v_mul_f64 v[17:18], v[7:8], 4.0
	s_delay_alu instid0(VALU_DEP_2) | instskip(NEXT) | instid1(VALU_DEP_1)
	v_mul_f64 v[5:6], v[5:6], v[5:6]
	v_fma_f64 v[5:6], v[17:18], v[17:18], v[5:6]
	s_delay_alu instid0(VALU_DEP_1)
	v_ldexp_f64 v[21:22], v[5:6], -4
; %bb.186:                              ;   in Loop: Header=BB168_145 Depth=1
	s_or_b32 exec_lo, exec_lo, s5
	s_delay_alu instid0(VALU_DEP_1) | instskip(SKIP_2) | instid1(VALU_DEP_2)
	v_frexp_mant_f64_e32 v[5:6], v[21:22]
	s_mov_b32 s97, s25
	v_frexp_exp_i32_f64_e32 v7, v[21:22]
	v_cmp_gt_f64_e32 vcc_lo, s[24:25], v[5:6]
	v_cndmask_b32_e64 v34, 0x3ff00000, 2.0, vcc_lo
	s_delay_alu instid0(VALU_DEP_3) | instskip(SKIP_1) | instid1(VALU_DEP_3)
	v_subrev_co_ci_u32_e32 v7, vcc_lo, 0, v7, vcc_lo
	v_cmp_class_f64_e64 vcc_lo, v[21:22], 0x204
	v_mul_f64 v[5:6], v[5:6], v[33:34]
	s_delay_alu instid0(VALU_DEP_1) | instskip(SKIP_1) | instid1(VALU_DEP_2)
	v_add_f64 v[17:18], v[5:6], 1.0
	v_add_f64 v[25:26], v[5:6], -1.0
	v_rcp_f64_e32 v[19:20], v[17:18]
	v_add_f64 v[27:28], v[17:18], -1.0
	s_delay_alu instid0(VALU_DEP_1) | instskip(SKIP_2) | instid1(VALU_DEP_1)
	v_add_f64 v[5:6], v[5:6], -v[27:28]
	s_waitcnt_depctr 0xfff
	v_fma_f64 v[23:24], -v[17:18], v[19:20], 1.0
	v_fma_f64 v[19:20], v[23:24], v[19:20], v[19:20]
	s_delay_alu instid0(VALU_DEP_1) | instskip(NEXT) | instid1(VALU_DEP_1)
	v_fma_f64 v[23:24], -v[17:18], v[19:20], 1.0
	v_fma_f64 v[19:20], v[23:24], v[19:20], v[19:20]
	s_delay_alu instid0(VALU_DEP_1) | instskip(NEXT) | instid1(VALU_DEP_1)
	v_mul_f64 v[23:24], v[25:26], v[19:20]
	v_mul_f64 v[29:30], v[17:18], v[23:24]
	s_delay_alu instid0(VALU_DEP_1) | instskip(NEXT) | instid1(VALU_DEP_1)
	v_fma_f64 v[17:18], v[23:24], v[17:18], -v[29:30]
	v_fma_f64 v[5:6], v[23:24], v[5:6], v[17:18]
	s_delay_alu instid0(VALU_DEP_1) | instskip(NEXT) | instid1(VALU_DEP_1)
	v_add_f64 v[17:18], v[29:30], v[5:6]
	v_add_f64 v[27:28], v[25:26], -v[17:18]
	v_add_f64 v[29:30], v[17:18], -v[29:30]
	s_delay_alu instid0(VALU_DEP_2) | instskip(NEXT) | instid1(VALU_DEP_2)
	v_add_f64 v[25:26], v[25:26], -v[27:28]
	v_add_f64 v[5:6], v[29:30], -v[5:6]
	s_delay_alu instid0(VALU_DEP_2) | instskip(NEXT) | instid1(VALU_DEP_1)
	v_add_f64 v[17:18], v[25:26], -v[17:18]
	v_add_f64 v[5:6], v[5:6], v[17:18]
	s_delay_alu instid0(VALU_DEP_1) | instskip(NEXT) | instid1(VALU_DEP_1)
	v_add_f64 v[5:6], v[27:28], v[5:6]
	v_mul_f64 v[5:6], v[19:20], v[5:6]
	s_delay_alu instid0(VALU_DEP_1) | instskip(NEXT) | instid1(VALU_DEP_1)
	v_add_f64 v[17:18], v[23:24], v[5:6]
	v_mul_f64 v[19:20], v[17:18], v[17:18]
	s_delay_alu instid0(VALU_DEP_1) | instskip(SKIP_1) | instid1(VALU_DEP_2)
	v_fma_f64 v[25:26], v[19:20], s[28:29], s[26:27]
	v_mul_f64 v[27:28], v[17:18], v[19:20]
	v_fma_f64 v[25:26], v[19:20], v[25:26], s[34:35]
	s_delay_alu instid0(VALU_DEP_1) | instskip(NEXT) | instid1(VALU_DEP_1)
	v_fma_f64 v[25:26], v[19:20], v[25:26], s[36:37]
	v_fma_f64 v[25:26], v[19:20], v[25:26], s[38:39]
	s_delay_alu instid0(VALU_DEP_1) | instskip(NEXT) | instid1(VALU_DEP_1)
	v_fma_f64 v[25:26], v[19:20], v[25:26], s[40:41]
	v_fma_f64 v[19:20], v[19:20], v[25:26], s[96:97]
	v_ldexp_f64 v[25:26], v[17:18], 1
	v_add_f64 v[17:18], v[17:18], -v[23:24]
	s_delay_alu instid0(VALU_DEP_3) | instskip(SKIP_1) | instid1(VALU_DEP_3)
	v_mul_f64 v[19:20], v[27:28], v[19:20]
	v_cvt_f64_i32_e32 v[27:28], v7
	v_add_f64 v[5:6], v[5:6], -v[17:18]
	s_delay_alu instid0(VALU_DEP_3) | instskip(NEXT) | instid1(VALU_DEP_3)
	v_add_f64 v[23:24], v[25:26], v[19:20]
	v_mul_f64 v[29:30], v[27:28], s[42:43]
	s_delay_alu instid0(VALU_DEP_3) | instskip(NEXT) | instid1(VALU_DEP_3)
	v_ldexp_f64 v[5:6], v[5:6], 1
	v_add_f64 v[17:18], v[23:24], -v[25:26]
	s_delay_alu instid0(VALU_DEP_3) | instskip(NEXT) | instid1(VALU_DEP_2)
	v_fma_f64 v[25:26], v[27:28], s[42:43], -v[29:30]
	v_add_f64 v[17:18], v[19:20], -v[17:18]
	s_delay_alu instid0(VALU_DEP_2) | instskip(NEXT) | instid1(VALU_DEP_2)
	v_fma_f64 v[19:20], v[27:28], s[44:45], v[25:26]
	v_add_f64 v[5:6], v[5:6], v[17:18]
	s_delay_alu instid0(VALU_DEP_2) | instskip(NEXT) | instid1(VALU_DEP_2)
	v_add_f64 v[17:18], v[29:30], v[19:20]
	v_add_f64 v[25:26], v[23:24], v[5:6]
	s_delay_alu instid0(VALU_DEP_2) | instskip(NEXT) | instid1(VALU_DEP_2)
	v_add_f64 v[29:30], v[17:18], -v[29:30]
	v_add_f64 v[27:28], v[17:18], v[25:26]
	v_add_f64 v[23:24], v[25:26], -v[23:24]
	s_delay_alu instid0(VALU_DEP_3) | instskip(NEXT) | instid1(VALU_DEP_3)
	v_add_f64 v[19:20], v[19:20], -v[29:30]
	v_add_f64 v[31:32], v[27:28], -v[17:18]
	s_delay_alu instid0(VALU_DEP_3) | instskip(NEXT) | instid1(VALU_DEP_2)
	v_add_f64 v[5:6], v[5:6], -v[23:24]
	v_add_f64 v[43:44], v[27:28], -v[31:32]
	;; [unrolled: 1-line block ×3, first 2 shown]
	s_delay_alu instid0(VALU_DEP_3) | instskip(NEXT) | instid1(VALU_DEP_3)
	v_add_f64 v[25:26], v[19:20], v[5:6]
	v_add_f64 v[17:18], v[17:18], -v[43:44]
	s_delay_alu instid0(VALU_DEP_1) | instskip(NEXT) | instid1(VALU_DEP_3)
	v_add_f64 v[17:18], v[23:24], v[17:18]
	v_add_f64 v[23:24], v[25:26], -v[19:20]
	s_delay_alu instid0(VALU_DEP_2) | instskip(NEXT) | instid1(VALU_DEP_2)
	v_add_f64 v[17:18], v[25:26], v[17:18]
	v_add_f64 v[25:26], v[25:26], -v[23:24]
	v_add_f64 v[5:6], v[5:6], -v[23:24]
	s_delay_alu instid0(VALU_DEP_3) | instskip(NEXT) | instid1(VALU_DEP_3)
	v_add_f64 v[29:30], v[27:28], v[17:18]
	v_add_f64 v[19:20], v[19:20], -v[25:26]
	s_delay_alu instid0(VALU_DEP_2) | instskip(NEXT) | instid1(VALU_DEP_2)
	v_add_f64 v[23:24], v[29:30], -v[27:28]
	v_add_f64 v[5:6], v[5:6], v[19:20]
	v_mov_b32_e32 v19, 0
	v_mov_b32_e32 v20, 0x7ff80000
	s_delay_alu instid0(VALU_DEP_4) | instskip(NEXT) | instid1(VALU_DEP_1)
	v_add_f64 v[17:18], v[17:18], -v[23:24]
	v_add_f64 v[5:6], v[5:6], v[17:18]
	s_delay_alu instid0(VALU_DEP_1) | instskip(NEXT) | instid1(VALU_DEP_1)
	v_add_f64 v[5:6], v[29:30], v[5:6]
	v_dual_cndmask_b32 v5, v5, v21 :: v_dual_cndmask_b32 v6, v6, v22
	v_cmp_ngt_f64_e32 vcc_lo, 0, v[21:22]
	s_delay_alu instid0(VALU_DEP_2) | instskip(SKIP_1) | instid1(VALU_DEP_4)
	v_cndmask_b32_e32 v6, 0x7ff80000, v6, vcc_lo
	v_cmp_nge_f64_e32 vcc_lo, 0, v[21:22]
	v_cndmask_b32_e32 v17, 0, v5, vcc_lo
	v_cmp_neq_f64_e32 vcc_lo, 0, v[21:22]
	s_delay_alu instid0(VALU_DEP_4)
	v_cndmask_b32_e32 v18, 0xfff00000, v6, vcc_lo
.LBB168_187:                            ;   in Loop: Header=BB168_145 Depth=1
	s_or_b32 exec_lo, exec_lo, s4
                                        ; implicit-def: $vgpr21_vgpr22
	s_delay_alu instid0(SALU_CYCLE_1)
	s_mov_b32 s4, exec_lo
	v_cmpx_o_f64_e32 v[1:2], v[3:4]
	s_xor_b32 vcc_hi, exec_lo, s4
	s_cbranch_execz .LBB168_215
; %bb.188:                              ;   in Loop: Header=BB168_145 Depth=1
	v_cmp_lt_f64_e64 s4, |v[1:2]|, |v[3:4]|
	v_and_b32_e32 v5, 0x7fffffff, v2
	v_dual_mov_b32 v7, v3 :: v_dual_and_b32 v6, 0x7fffffff, v4
                                        ; implicit-def: $vgpr21_vgpr22
	s_mov_b32 s5, exec_lo
	s_delay_alu instid0(VALU_DEP_1) | instskip(NEXT) | instid1(VALU_DEP_2)
	v_cndmask_b32_e64 v26, v6, v5, s4
	v_cndmask_b32_e64 v25, v7, v1, s4
	s_delay_alu instid0(VALU_DEP_1)
	v_cmpx_nlt_f64_e32 s[18:19], v[25:26]
	s_xor_b32 s88, exec_lo, s5
	s_cbranch_execz .LBB168_212
; %bb.189:                              ;   in Loop: Header=BB168_145 Depth=1
	v_cndmask_b32_e64 v28, v5, v6, s4
	v_cndmask_b32_e64 v27, v1, v7, s4
                                        ; implicit-def: $vgpr21_vgpr22
	s_mov_b32 s5, exec_lo
	s_delay_alu instid0(VALU_DEP_1)
	v_cmpx_neq_f64_e32 1.0, v[27:28]
	s_xor_b32 s89, exec_lo, s5
	s_cbranch_execz .LBB168_205
; %bb.190:                              ;   in Loop: Header=BB168_145 Depth=1
	v_max_f64 v[5:6], v[25:26], v[25:26]
	v_max_f64 v[21:22], v[27:28], v[27:28]
	s_mov_b32 s6, 0xc57e649a
	s_mov_b32 s7, 0x4a511b0e
	s_delay_alu instid0(VALU_DEP_1) | instskip(SKIP_1) | instid1(VALU_DEP_2)
	v_min_f64 v[23:24], v[21:22], v[5:6]
	v_max_f64 v[5:6], v[21:22], v[5:6]
                                        ; implicit-def: $vgpr21_vgpr22
	v_cmp_ngt_f64_e32 vcc_lo, s[12:13], v[23:24]
	s_delay_alu instid0(VALU_DEP_2) | instskip(NEXT) | instid1(VALU_DEP_1)
	v_cmp_nlt_f64_e64 s5, s[6:7], v[5:6]
	s_and_b32 s5, s5, vcc_lo
	s_delay_alu instid0(SALU_CYCLE_1) | instskip(NEXT) | instid1(SALU_CYCLE_1)
	s_and_saveexec_b32 s6, s5
	s_xor_b32 s20, exec_lo, s6
	s_cbranch_execz .LBB168_202
; %bb.191:                              ;   in Loop: Header=BB168_145 Depth=1
                                        ; implicit-def: $vgpr21_vgpr22
	s_mov_b32 s5, exec_lo
	v_cmpx_le_f64_e32 1.0, v[27:28]
	s_xor_b32 s6, exec_lo, s5
	s_cbranch_execz .LBB168_193
; %bb.192:                              ;   in Loop: Header=BB168_145 Depth=1
	v_add_f64 v[5:6], v[27:28], -1.0
	v_add_f64 v[21:22], v[27:28], 1.0
	s_mov_b32 s97, s25
	s_mov_b32 s14, s86
	v_cmp_gt_i32_e64 s5, 0, v2
	v_cmp_class_f64_e64 s8, v[1:2], 0x204
	v_cmp_class_f64_e64 s7, v[3:4], 0x204
	s_delay_alu instid0(VALU_DEP_4) | instskip(NEXT) | instid1(VALU_DEP_1)
	v_mul_f64 v[5:6], v[5:6], v[21:22]
	v_fma_f64 v[5:6], v[25:26], v[25:26], v[5:6]
	s_delay_alu instid0(VALU_DEP_1) | instskip(NEXT) | instid1(VALU_DEP_1)
	v_add_f64 v[21:22], v[5:6], 1.0
	v_frexp_mant_f64_e32 v[23:24], v[21:22]
	v_frexp_exp_i32_f64_e32 v7, v[21:22]
	v_add_f64 v[25:26], v[21:22], -1.0
	s_delay_alu instid0(VALU_DEP_3) | instskip(NEXT) | instid1(VALU_DEP_2)
	v_cmp_gt_f64_e32 vcc_lo, s[24:25], v[23:24]
	v_add_f64 v[23:24], v[25:26], -v[21:22]
	v_add_f64 v[25:26], v[5:6], -v[25:26]
	v_subrev_co_ci_u32_e32 v7, vcc_lo, 0, v7, vcc_lo
	s_delay_alu instid0(VALU_DEP_3) | instskip(NEXT) | instid1(VALU_DEP_2)
	v_add_f64 v[23:24], v[23:24], 1.0
	v_sub_nc_u32_e32 v29, 0, v7
	s_delay_alu instid0(VALU_DEP_1) | instskip(NEXT) | instid1(VALU_DEP_3)
	v_ldexp_f64 v[21:22], v[21:22], v29
	v_add_f64 v[23:24], v[25:26], v[23:24]
	s_delay_alu instid0(VALU_DEP_2) | instskip(SKIP_1) | instid1(VALU_DEP_3)
	v_add_f64 v[27:28], v[21:22], 1.0
	v_add_f64 v[43:44], v[21:22], -1.0
	v_ldexp_f64 v[23:24], v[23:24], v29
	s_delay_alu instid0(VALU_DEP_3) | instskip(NEXT) | instid1(VALU_DEP_3)
	v_add_f64 v[25:26], v[27:28], -1.0
	v_add_f64 v[45:46], v[43:44], 1.0
	s_delay_alu instid0(VALU_DEP_2) | instskip(NEXT) | instid1(VALU_DEP_2)
	v_add_f64 v[25:26], v[21:22], -v[25:26]
	v_add_f64 v[21:22], v[21:22], -v[45:46]
	s_delay_alu instid0(VALU_DEP_2) | instskip(NEXT) | instid1(VALU_DEP_2)
	v_add_f64 v[25:26], v[23:24], v[25:26]
	v_add_f64 v[21:22], v[23:24], v[21:22]
	s_delay_alu instid0(VALU_DEP_2) | instskip(NEXT) | instid1(VALU_DEP_2)
	v_add_f64 v[29:30], v[27:28], v[25:26]
	v_add_f64 v[45:46], v[43:44], v[21:22]
	s_delay_alu instid0(VALU_DEP_2) | instskip(SKIP_1) | instid1(VALU_DEP_2)
	v_rcp_f64_e32 v[31:32], v[29:30]
	v_add_f64 v[27:28], v[29:30], -v[27:28]
	v_add_f64 v[43:44], v[45:46], -v[43:44]
	s_delay_alu instid0(VALU_DEP_2) | instskip(SKIP_3) | instid1(VALU_DEP_2)
	v_add_f64 v[25:26], v[25:26], -v[27:28]
	s_waitcnt_depctr 0xfff
	v_fma_f64 v[47:48], -v[29:30], v[31:32], 1.0
	v_add_f64 v[21:22], v[21:22], -v[43:44]
	v_fma_f64 v[31:32], v[47:48], v[31:32], v[31:32]
	s_delay_alu instid0(VALU_DEP_1) | instskip(NEXT) | instid1(VALU_DEP_1)
	v_fma_f64 v[23:24], -v[29:30], v[31:32], 1.0
	v_fma_f64 v[23:24], v[23:24], v[31:32], v[31:32]
	s_delay_alu instid0(VALU_DEP_1) | instskip(NEXT) | instid1(VALU_DEP_1)
	v_mul_f64 v[31:32], v[45:46], v[23:24]
	v_mul_f64 v[47:48], v[29:30], v[31:32]
	s_delay_alu instid0(VALU_DEP_1) | instskip(NEXT) | instid1(VALU_DEP_1)
	v_fma_f64 v[27:28], v[31:32], v[29:30], -v[47:48]
	v_fma_f64 v[27:28], v[31:32], v[25:26], v[27:28]
	s_delay_alu instid0(VALU_DEP_1) | instskip(NEXT) | instid1(VALU_DEP_1)
	v_add_f64 v[49:50], v[47:48], v[27:28]
	v_add_f64 v[51:52], v[45:46], -v[49:50]
	v_add_f64 v[43:44], v[49:50], -v[47:48]
	v_max_f64 v[47:48], |v[3:4]|, |v[3:4]|
	s_delay_alu instid0(VALU_DEP_3) | instskip(NEXT) | instid1(VALU_DEP_3)
	v_add_f64 v[45:46], v[45:46], -v[51:52]
	v_add_f64 v[27:28], v[43:44], -v[27:28]
	s_delay_alu instid0(VALU_DEP_2) | instskip(SKIP_2) | instid1(VALU_DEP_1)
	v_add_f64 v[45:46], v[45:46], -v[49:50]
	v_max_f64 v[49:50], |v[1:2]|, |v[1:2]|
	v_cndmask_b32_e64 v1, 0x3fe921fb, v60, s5
	v_bfi_b32 v1, 0x7fffffff, v1, v4
	s_delay_alu instid0(VALU_DEP_4) | instskip(NEXT) | instid1(VALU_DEP_4)
	v_add_f64 v[21:22], v[21:22], v[45:46]
	v_max_f64 v[53:54], v[49:50], v[47:48]
	v_min_f64 v[47:48], v[49:50], v[47:48]
	s_delay_alu instid0(VALU_DEP_3) | instskip(NEXT) | instid1(VALU_DEP_1)
	v_add_f64 v[21:22], v[27:28], v[21:22]
	v_add_f64 v[27:28], v[51:52], v[21:22]
	s_delay_alu instid0(VALU_DEP_1) | instskip(SKIP_1) | instid1(VALU_DEP_2)
	v_mul_f64 v[43:44], v[23:24], v[27:28]
	v_add_f64 v[51:52], v[51:52], -v[27:28]
	v_mul_f64 v[45:46], v[29:30], v[43:44]
	s_delay_alu instid0(VALU_DEP_2) | instskip(NEXT) | instid1(VALU_DEP_2)
	v_add_f64 v[21:22], v[21:22], v[51:52]
	v_fma_f64 v[29:30], v[43:44], v[29:30], -v[45:46]
	s_delay_alu instid0(VALU_DEP_1) | instskip(SKIP_1) | instid1(VALU_DEP_2)
	v_fma_f64 v[25:26], v[43:44], v[25:26], v[29:30]
	v_div_scale_f64 v[29:30], null, v[53:54], v[53:54], v[47:48]
	v_add_f64 v[49:50], v[45:46], v[25:26]
	s_delay_alu instid0(VALU_DEP_2) | instskip(NEXT) | instid1(VALU_DEP_1)
	v_rcp_f64_e32 v[55:56], v[29:30]
	v_add_f64 v[57:58], v[27:28], -v[49:50]
	v_add_f64 v[45:46], v[49:50], -v[45:46]
	s_waitcnt_depctr 0xfff
	v_fma_f64 v[61:62], -v[29:30], v[55:56], 1.0
	v_add_f64 v[27:28], v[27:28], -v[57:58]
	v_add_f64 v[25:26], v[45:46], -v[25:26]
	s_delay_alu instid0(VALU_DEP_3) | instskip(NEXT) | instid1(VALU_DEP_3)
	v_fma_f64 v[55:56], v[55:56], v[61:62], v[55:56]
	v_add_f64 v[27:28], v[27:28], -v[49:50]
	s_delay_alu instid0(VALU_DEP_2) | instskip(NEXT) | instid1(VALU_DEP_2)
	v_fma_f64 v[49:50], -v[29:30], v[55:56], 1.0
	v_add_f64 v[21:22], v[21:22], v[27:28]
	v_div_scale_f64 v[27:28], vcc_lo, v[47:48], v[53:54], v[47:48]
	s_delay_alu instid0(VALU_DEP_3) | instskip(SKIP_1) | instid1(VALU_DEP_4)
	v_fma_f64 v[45:46], v[55:56], v[49:50], v[55:56]
	v_add_f64 v[49:50], v[31:32], v[43:44]
	v_add_f64 v[21:22], v[25:26], v[21:22]
	s_delay_alu instid0(VALU_DEP_3) | instskip(NEXT) | instid1(VALU_DEP_3)
	v_mul_f64 v[25:26], v[27:28], v[45:46]
	v_add_f64 v[31:32], v[49:50], -v[31:32]
	s_delay_alu instid0(VALU_DEP_3) | instskip(NEXT) | instid1(VALU_DEP_3)
	v_add_f64 v[21:22], v[57:58], v[21:22]
	v_fma_f64 v[27:28], -v[29:30], v[25:26], v[27:28]
	s_delay_alu instid0(VALU_DEP_3) | instskip(NEXT) | instid1(VALU_DEP_3)
	v_add_f64 v[29:30], v[43:44], -v[31:32]
	v_mul_f64 v[21:22], v[23:24], v[21:22]
	s_delay_alu instid0(VALU_DEP_3) | instskip(SKIP_1) | instid1(VALU_DEP_3)
	v_div_fmas_f64 v[23:24], v[27:28], v[45:46], v[25:26]
	v_cmp_eq_f64_e32 vcc_lo, 0x7ff00000, v[5:6]
	v_add_f64 v[21:22], v[29:30], v[21:22]
	s_delay_alu instid0(VALU_DEP_3) | instskip(NEXT) | instid1(VALU_DEP_2)
	v_div_fixup_f64 v[23:24], v[23:24], v[53:54], v[47:48]
	v_add_f64 v[25:26], v[49:50], v[21:22]
	s_delay_alu instid0(VALU_DEP_2) | instskip(NEXT) | instid1(VALU_DEP_2)
	v_mul_f64 v[27:28], v[23:24], v[23:24]
	v_mul_f64 v[29:30], v[25:26], v[25:26]
	s_delay_alu instid0(VALU_DEP_2) | instskip(NEXT) | instid1(VALU_DEP_2)
	v_fma_f64 v[31:32], v[27:28], s[48:49], s[46:47]
	v_fma_f64 v[43:44], v[29:30], s[28:29], s[26:27]
	v_mul_f64 v[45:46], v[25:26], v[29:30]
	s_delay_alu instid0(VALU_DEP_3) | instskip(NEXT) | instid1(VALU_DEP_3)
	v_fma_f64 v[31:32], v[27:28], v[31:32], s[50:51]
	v_fma_f64 v[43:44], v[29:30], v[43:44], s[34:35]
	s_delay_alu instid0(VALU_DEP_2) | instskip(NEXT) | instid1(VALU_DEP_2)
	v_fma_f64 v[31:32], v[27:28], v[31:32], s[52:53]
	v_fma_f64 v[43:44], v[29:30], v[43:44], s[36:37]
	s_delay_alu instid0(VALU_DEP_2) | instskip(NEXT) | instid1(VALU_DEP_2)
	v_fma_f64 v[31:32], v[27:28], v[31:32], s[54:55]
	v_fma_f64 v[43:44], v[29:30], v[43:44], s[38:39]
	s_delay_alu instid0(VALU_DEP_2) | instskip(NEXT) | instid1(VALU_DEP_2)
	v_fma_f64 v[31:32], v[27:28], v[31:32], s[56:57]
	v_fma_f64 v[43:44], v[29:30], v[43:44], s[40:41]
	s_delay_alu instid0(VALU_DEP_2) | instskip(NEXT) | instid1(VALU_DEP_2)
	v_fma_f64 v[31:32], v[27:28], v[31:32], s[58:59]
	v_fma_f64 v[29:30], v[29:30], v[43:44], s[96:97]
	v_ldexp_f64 v[43:44], v[25:26], 1
	v_add_f64 v[25:26], v[25:26], -v[49:50]
	s_delay_alu instid0(VALU_DEP_4) | instskip(NEXT) | instid1(VALU_DEP_4)
	v_fma_f64 v[31:32], v[27:28], v[31:32], s[60:61]
	v_mul_f64 v[29:30], v[45:46], v[29:30]
	v_cvt_f64_i32_e32 v[45:46], v7
	s_delay_alu instid0(VALU_DEP_4) | instskip(NEXT) | instid1(VALU_DEP_4)
	v_add_f64 v[21:22], v[21:22], -v[25:26]
	v_fma_f64 v[31:32], v[27:28], v[31:32], s[62:63]
	v_ashrrev_i32_e32 v7, 31, v2
	s_delay_alu instid0(VALU_DEP_1) | instskip(SKIP_4) | instid1(VALU_DEP_4)
	v_and_b32_e32 v2, 0x400921fb, v7
	v_add_f64 v[47:48], v[43:44], v[29:30]
	v_mul_f64 v[49:50], v[45:46], s[42:43]
	v_ldexp_f64 v[21:22], v[21:22], 1
	v_fma_f64 v[31:32], v[27:28], v[31:32], s[64:65]
	v_add_f64 v[25:26], v[47:48], -v[43:44]
	s_delay_alu instid0(VALU_DEP_4) | instskip(NEXT) | instid1(VALU_DEP_3)
	v_fma_f64 v[43:44], v[45:46], s[42:43], -v[49:50]
	v_fma_f64 v[31:32], v[27:28], v[31:32], s[66:67]
	s_delay_alu instid0(VALU_DEP_3) | instskip(NEXT) | instid1(VALU_DEP_2)
	v_add_f64 v[25:26], v[29:30], -v[25:26]
	v_fma_f64 v[29:30], v[27:28], v[31:32], s[68:69]
	s_delay_alu instid0(VALU_DEP_4) | instskip(NEXT) | instid1(VALU_DEP_3)
	v_fma_f64 v[31:32], v[45:46], s[44:45], v[43:44]
	v_add_f64 v[21:22], v[21:22], v[25:26]
	s_delay_alu instid0(VALU_DEP_3) | instskip(NEXT) | instid1(VALU_DEP_3)
	v_fma_f64 v[25:26], v[27:28], v[29:30], s[70:71]
	v_add_f64 v[29:30], v[49:50], v[31:32]
	s_delay_alu instid0(VALU_DEP_3) | instskip(NEXT) | instid1(VALU_DEP_3)
	v_add_f64 v[43:44], v[47:48], v[21:22]
	v_fma_f64 v[25:26], v[27:28], v[25:26], s[72:73]
	s_delay_alu instid0(VALU_DEP_3) | instskip(NEXT) | instid1(VALU_DEP_3)
	v_add_f64 v[49:50], v[29:30], -v[49:50]
	v_add_f64 v[45:46], v[29:30], v[43:44]
	v_add_f64 v[47:48], v[43:44], -v[47:48]
	s_delay_alu instid0(VALU_DEP_4) | instskip(NEXT) | instid1(VALU_DEP_4)
	v_fma_f64 v[25:26], v[27:28], v[25:26], s[74:75]
	v_add_f64 v[31:32], v[31:32], -v[49:50]
	s_delay_alu instid0(VALU_DEP_4) | instskip(NEXT) | instid1(VALU_DEP_4)
	v_add_f64 v[51:52], v[45:46], -v[29:30]
	v_add_f64 v[21:22], v[21:22], -v[47:48]
	s_delay_alu instid0(VALU_DEP_4) | instskip(NEXT) | instid1(VALU_DEP_3)
	v_fma_f64 v[25:26], v[27:28], v[25:26], s[76:77]
	v_add_f64 v[53:54], v[45:46], -v[51:52]
	v_add_f64 v[43:44], v[43:44], -v[51:52]
	s_delay_alu instid0(VALU_DEP_4) | instskip(NEXT) | instid1(VALU_DEP_4)
	v_add_f64 v[47:48], v[31:32], v[21:22]
	v_fma_f64 v[25:26], v[27:28], v[25:26], s[78:79]
	s_delay_alu instid0(VALU_DEP_4) | instskip(NEXT) | instid1(VALU_DEP_2)
	v_add_f64 v[29:30], v[29:30], -v[53:54]
	v_fma_f64 v[25:26], v[27:28], v[25:26], s[80:81]
	s_delay_alu instid0(VALU_DEP_2) | instskip(SKIP_1) | instid1(VALU_DEP_3)
	v_add_f64 v[29:30], v[43:44], v[29:30]
	v_add_f64 v[43:44], v[47:48], -v[31:32]
	v_fma_f64 v[25:26], v[27:28], v[25:26], s[82:83]
	s_delay_alu instid0(VALU_DEP_3) | instskip(NEXT) | instid1(VALU_DEP_3)
	v_add_f64 v[29:30], v[47:48], v[29:30]
	v_add_f64 v[47:48], v[47:48], -v[43:44]
	v_add_f64 v[21:22], v[21:22], -v[43:44]
	s_delay_alu instid0(VALU_DEP_4) | instskip(NEXT) | instid1(VALU_DEP_4)
	v_fma_f64 v[25:26], v[27:28], v[25:26], s[84:85]
	v_add_f64 v[49:50], v[45:46], v[29:30]
	s_delay_alu instid0(VALU_DEP_2) | instskip(SKIP_1) | instid1(VALU_DEP_3)
	v_mul_f64 v[25:26], v[27:28], v[25:26]
	v_add_f64 v[27:28], v[31:32], -v[47:48]
	v_add_f64 v[31:32], v[49:50], -v[45:46]
	s_delay_alu instid0(VALU_DEP_3) | instskip(NEXT) | instid1(VALU_DEP_3)
	v_fma_f64 v[23:24], v[23:24], v[25:26], v[23:24]
	v_add_f64 v[21:22], v[21:22], v[27:28]
	s_delay_alu instid0(VALU_DEP_3) | instskip(NEXT) | instid1(VALU_DEP_3)
	v_add_f64 v[25:26], v[29:30], -v[31:32]
	v_add_f64 v[27:28], -v[23:24], s[86:87]
	s_delay_alu instid0(VALU_DEP_2) | instskip(NEXT) | instid1(VALU_DEP_2)
	v_add_f64 v[21:22], v[21:22], v[25:26]
	v_cndmask_b32_e64 v24, v24, v28, s4
	s_delay_alu instid0(VALU_DEP_3) | instskip(SKIP_1) | instid1(VALU_DEP_2)
	v_cndmask_b32_e64 v23, v23, v27, s4
	v_cndmask_b32_e64 v27, 0x54442d18, v59, s5
	v_add_f64 v[25:26], -v[23:24], s[14:15]
	v_add_f64 v[21:22], v[49:50], v[21:22]
	v_and_b32_e32 v28, 0x54442d18, v7
	s_delay_alu instid0(VALU_DEP_3) | instskip(NEXT) | instid1(VALU_DEP_4)
	v_cndmask_b32_e64 v23, v23, v25, s5
	v_cndmask_b32_e64 v7, v24, v26, s5
	v_cmp_nge_f64_e64 s5, -1.0, v[5:6]
                                        ; implicit-def: $vgpr25_vgpr26
	v_dual_cndmask_b32 v21, v21, v5 :: v_dual_cndmask_b32 v22, v22, v6
	v_cmp_eq_f64_e32 vcc_lo, 0, v[3:4]
	v_cndmask_b32_e32 v23, v23, v28, vcc_lo
	s_delay_alu instid0(VALU_DEP_3) | instskip(SKIP_2) | instid1(VALU_DEP_3)
	v_mul_f64 v[21:22], v[21:22], 0.5
	v_cndmask_b32_e32 v2, v7, v2, vcc_lo
	v_cmp_ngt_f64_e32 vcc_lo, -1.0, v[5:6]
	v_cndmask_b32_e64 v21, 0, v21, s5
	v_cmp_neq_f64_e64 s5, -1.0, v[5:6]
	v_cndmask_b32_e32 v7, 0x7ff80000, v22, vcc_lo
	s_and_b32 vcc_lo, s7, s8
	v_dual_cndmask_b32 v24, v2, v1 :: v_dual_cndmask_b32 v23, v23, v27
                                        ; implicit-def: $vgpr27_vgpr28
	s_delay_alu instid0(VALU_DEP_2)
	v_cndmask_b32_e64 v22, 0xfff00000, v7, s5
.LBB168_193:                            ;   in Loop: Header=BB168_145 Depth=1
	s_and_not1_saveexec_b32 s21, s6
	s_cbranch_execz .LBB168_201
; %bb.194:                              ;   in Loop: Header=BB168_145 Depth=1
	v_mul_f64 v[5:6], v[25:26], v[25:26]
	s_mov_b32 s6, 0x66666666
	s_mov_b32 s7, 0x3fe66666
                                        ; implicit-def: $vgpr21_vgpr22
	s_mov_b32 s5, exec_lo
	s_delay_alu instid0(VALU_DEP_1) | instskip(NEXT) | instid1(VALU_DEP_1)
	v_fma_f64 v[5:6], v[27:28], v[27:28], v[5:6]
	v_cmpx_ge_f64_e32 s[6:7], v[5:6]
	s_xor_b32 s7, exec_lo, s5
	s_cbranch_execz .LBB168_196
; %bb.195:                              ;   in Loop: Header=BB168_145 Depth=1
	v_frexp_mant_f64_e32 v[21:22], v[5:6]
	v_max_f64 v[31:32], |v[1:2]|, |v[1:2]|
	s_mov_b32 s97, s25
	v_frexp_exp_i32_f64_e32 v7, v[5:6]
	s_mov_b32 s14, s86
	v_cmp_class_f64_e64 s8, v[3:4], 0x204
	v_cmp_class_f64_e64 s9, v[1:2], 0x204
	v_cmp_neq_f64_e64 s6, 0, v[5:6]
	v_cmp_gt_f64_e64 s5, s[24:25], v[21:22]
	s_delay_alu instid0(VALU_DEP_1) | instskip(NEXT) | instid1(VALU_DEP_1)
	v_cndmask_b32_e64 v34, 0x3ff00000, 2.0, s5
	v_mul_f64 v[21:22], v[21:22], v[33:34]
	s_delay_alu instid0(VALU_DEP_1) | instskip(SKIP_1) | instid1(VALU_DEP_2)
	v_add_f64 v[23:24], v[21:22], 1.0
	v_add_f64 v[29:30], v[21:22], -1.0
	v_rcp_f64_e32 v[25:26], v[23:24]
	s_waitcnt_depctr 0xfff
	v_fma_f64 v[27:28], -v[23:24], v[25:26], 1.0
	s_delay_alu instid0(VALU_DEP_1) | instskip(NEXT) | instid1(VALU_DEP_1)
	v_fma_f64 v[25:26], v[27:28], v[25:26], v[25:26]
	v_fma_f64 v[27:28], -v[23:24], v[25:26], 1.0
	s_delay_alu instid0(VALU_DEP_1) | instskip(SKIP_1) | instid1(VALU_DEP_2)
	v_fma_f64 v[25:26], v[27:28], v[25:26], v[25:26]
	v_max_f64 v[27:28], |v[3:4]|, |v[3:4]|
	v_mul_f64 v[43:44], v[29:30], v[25:26]
	s_delay_alu instid0(VALU_DEP_2) | instskip(SKIP_2) | instid1(VALU_DEP_4)
	v_max_f64 v[45:46], v[31:32], v[27:28]
	v_min_f64 v[27:28], v[31:32], v[27:28]
	v_add_f64 v[31:32], v[23:24], -1.0
	v_mul_f64 v[47:48], v[23:24], v[43:44]
	s_delay_alu instid0(VALU_DEP_3) | instskip(NEXT) | instid1(VALU_DEP_3)
	v_div_scale_f64 v[49:50], null, v[45:46], v[45:46], v[27:28]
	v_add_f64 v[21:22], v[21:22], -v[31:32]
	v_div_scale_f64 v[55:56], vcc_lo, v[27:28], v[45:46], v[27:28]
	s_delay_alu instid0(VALU_DEP_4) | instskip(NEXT) | instid1(VALU_DEP_4)
	v_fma_f64 v[23:24], v[43:44], v[23:24], -v[47:48]
	v_rcp_f64_e32 v[31:32], v[49:50]
	s_delay_alu instid0(VALU_DEP_1) | instskip(SKIP_3) | instid1(VALU_DEP_2)
	v_fma_f64 v[21:22], v[43:44], v[21:22], v[23:24]
	s_waitcnt_depctr 0xfff
	v_fma_f64 v[23:24], -v[49:50], v[31:32], 1.0
	v_add_f64 v[51:52], v[47:48], v[21:22]
	v_fma_f64 v[23:24], v[31:32], v[23:24], v[31:32]
	s_delay_alu instid0(VALU_DEP_2) | instskip(SKIP_1) | instid1(VALU_DEP_3)
	v_add_f64 v[31:32], v[29:30], -v[51:52]
	v_add_f64 v[47:48], v[51:52], -v[47:48]
	v_fma_f64 v[53:54], -v[49:50], v[23:24], 1.0
	s_delay_alu instid0(VALU_DEP_3) | instskip(NEXT) | instid1(VALU_DEP_3)
	v_add_f64 v[29:30], v[29:30], -v[31:32]
	v_add_f64 v[21:22], v[47:48], -v[21:22]
	s_delay_alu instid0(VALU_DEP_3) | instskip(NEXT) | instid1(VALU_DEP_3)
	v_fma_f64 v[23:24], v[23:24], v[53:54], v[23:24]
	v_add_f64 v[29:30], v[29:30], -v[51:52]
	s_delay_alu instid0(VALU_DEP_2) | instskip(NEXT) | instid1(VALU_DEP_2)
	v_mul_f64 v[47:48], v[55:56], v[23:24]
	v_add_f64 v[21:22], v[21:22], v[29:30]
	s_delay_alu instid0(VALU_DEP_2) | instskip(NEXT) | instid1(VALU_DEP_2)
	v_fma_f64 v[29:30], -v[49:50], v[47:48], v[55:56]
	v_add_f64 v[21:22], v[31:32], v[21:22]
	s_delay_alu instid0(VALU_DEP_2) | instskip(SKIP_4) | instid1(VALU_DEP_1)
	v_div_fmas_f64 v[23:24], v[29:30], v[23:24], v[47:48]
	v_subrev_co_ci_u32_e64 v7, vcc_lo, 0, v7, s5
	v_cmp_eq_f64_e64 s5, 0, v[3:4]
	v_cmp_gt_i32_e32 vcc_lo, 0, v2
	v_cndmask_b32_e32 v5, 0x3fe921fb, v60, vcc_lo
	v_bfi_b32 v5, 0x7fffffff, v5, v4
	v_mul_f64 v[21:22], v[25:26], v[21:22]
	v_div_fixup_f64 v[23:24], v[23:24], v[45:46], v[27:28]
	s_delay_alu instid0(VALU_DEP_2) | instskip(NEXT) | instid1(VALU_DEP_2)
	v_add_f64 v[25:26], v[43:44], v[21:22]
	v_mul_f64 v[27:28], v[23:24], v[23:24]
	s_delay_alu instid0(VALU_DEP_2) | instskip(NEXT) | instid1(VALU_DEP_2)
	v_mul_f64 v[29:30], v[25:26], v[25:26]
	v_fma_f64 v[31:32], v[27:28], s[48:49], s[46:47]
	s_delay_alu instid0(VALU_DEP_2) | instskip(SKIP_1) | instid1(VALU_DEP_3)
	v_fma_f64 v[45:46], v[29:30], s[28:29], s[26:27]
	v_mul_f64 v[47:48], v[25:26], v[29:30]
	v_fma_f64 v[31:32], v[27:28], v[31:32], s[50:51]
	s_delay_alu instid0(VALU_DEP_3) | instskip(NEXT) | instid1(VALU_DEP_2)
	v_fma_f64 v[45:46], v[29:30], v[45:46], s[34:35]
	v_fma_f64 v[31:32], v[27:28], v[31:32], s[52:53]
	s_delay_alu instid0(VALU_DEP_2) | instskip(NEXT) | instid1(VALU_DEP_2)
	v_fma_f64 v[45:46], v[29:30], v[45:46], s[36:37]
	v_fma_f64 v[31:32], v[27:28], v[31:32], s[54:55]
	s_delay_alu instid0(VALU_DEP_2) | instskip(NEXT) | instid1(VALU_DEP_2)
	;; [unrolled: 3-line block ×3, first 2 shown]
	v_fma_f64 v[45:46], v[29:30], v[45:46], s[40:41]
	v_fma_f64 v[31:32], v[27:28], v[31:32], s[58:59]
	s_delay_alu instid0(VALU_DEP_2) | instskip(SKIP_2) | instid1(VALU_DEP_4)
	v_fma_f64 v[29:30], v[29:30], v[45:46], s[96:97]
	v_ldexp_f64 v[45:46], v[25:26], 1
	v_add_f64 v[25:26], v[25:26], -v[43:44]
	v_fma_f64 v[31:32], v[27:28], v[31:32], s[60:61]
	s_delay_alu instid0(VALU_DEP_4) | instskip(SKIP_1) | instid1(VALU_DEP_4)
	v_mul_f64 v[29:30], v[47:48], v[29:30]
	v_cvt_f64_i32_e32 v[47:48], v7
	v_add_f64 v[21:22], v[21:22], -v[25:26]
	v_ashrrev_i32_e32 v7, 31, v2
	v_fma_f64 v[31:32], v[27:28], v[31:32], s[62:63]
	v_add_f64 v[43:44], v[45:46], v[29:30]
	v_mul_f64 v[49:50], v[47:48], s[42:43]
	v_ldexp_f64 v[21:22], v[21:22], 1
	s_delay_alu instid0(VALU_DEP_4) | instskip(NEXT) | instid1(VALU_DEP_4)
	v_fma_f64 v[31:32], v[27:28], v[31:32], s[64:65]
	v_add_f64 v[25:26], v[43:44], -v[45:46]
	s_delay_alu instid0(VALU_DEP_4) | instskip(NEXT) | instid1(VALU_DEP_3)
	v_fma_f64 v[45:46], v[47:48], s[42:43], -v[49:50]
	v_fma_f64 v[31:32], v[27:28], v[31:32], s[66:67]
	s_delay_alu instid0(VALU_DEP_3) | instskip(NEXT) | instid1(VALU_DEP_2)
	v_add_f64 v[25:26], v[29:30], -v[25:26]
	v_fma_f64 v[29:30], v[27:28], v[31:32], s[68:69]
	s_delay_alu instid0(VALU_DEP_4) | instskip(NEXT) | instid1(VALU_DEP_3)
	v_fma_f64 v[31:32], v[47:48], s[44:45], v[45:46]
	v_add_f64 v[21:22], v[21:22], v[25:26]
	s_delay_alu instid0(VALU_DEP_3) | instskip(NEXT) | instid1(VALU_DEP_3)
	v_fma_f64 v[25:26], v[27:28], v[29:30], s[70:71]
	v_add_f64 v[29:30], v[49:50], v[31:32]
	s_delay_alu instid0(VALU_DEP_3) | instskip(NEXT) | instid1(VALU_DEP_3)
	v_add_f64 v[45:46], v[43:44], v[21:22]
	v_fma_f64 v[25:26], v[27:28], v[25:26], s[72:73]
	s_delay_alu instid0(VALU_DEP_3) | instskip(NEXT) | instid1(VALU_DEP_3)
	v_add_f64 v[49:50], v[29:30], -v[49:50]
	v_add_f64 v[47:48], v[29:30], v[45:46]
	v_add_f64 v[43:44], v[45:46], -v[43:44]
	s_delay_alu instid0(VALU_DEP_4) | instskip(NEXT) | instid1(VALU_DEP_4)
	v_fma_f64 v[25:26], v[27:28], v[25:26], s[74:75]
	v_add_f64 v[31:32], v[31:32], -v[49:50]
	s_delay_alu instid0(VALU_DEP_4) | instskip(NEXT) | instid1(VALU_DEP_4)
	v_add_f64 v[51:52], v[47:48], -v[29:30]
	v_add_f64 v[21:22], v[21:22], -v[43:44]
	s_delay_alu instid0(VALU_DEP_4) | instskip(NEXT) | instid1(VALU_DEP_3)
	v_fma_f64 v[25:26], v[27:28], v[25:26], s[76:77]
	v_add_f64 v[53:54], v[47:48], -v[51:52]
	v_add_f64 v[43:44], v[45:46], -v[51:52]
	s_delay_alu instid0(VALU_DEP_4) | instskip(NEXT) | instid1(VALU_DEP_4)
	v_add_f64 v[45:46], v[31:32], v[21:22]
	v_fma_f64 v[25:26], v[27:28], v[25:26], s[78:79]
	s_delay_alu instid0(VALU_DEP_4) | instskip(NEXT) | instid1(VALU_DEP_2)
	v_add_f64 v[29:30], v[29:30], -v[53:54]
	v_fma_f64 v[25:26], v[27:28], v[25:26], s[80:81]
	s_delay_alu instid0(VALU_DEP_2) | instskip(SKIP_1) | instid1(VALU_DEP_3)
	v_add_f64 v[29:30], v[43:44], v[29:30]
	v_add_f64 v[43:44], v[45:46], -v[31:32]
	v_fma_f64 v[25:26], v[27:28], v[25:26], s[82:83]
	s_delay_alu instid0(VALU_DEP_3) | instskip(NEXT) | instid1(VALU_DEP_3)
	v_add_f64 v[29:30], v[45:46], v[29:30]
	v_add_f64 v[45:46], v[45:46], -v[43:44]
	v_add_f64 v[21:22], v[21:22], -v[43:44]
	s_delay_alu instid0(VALU_DEP_4) | instskip(NEXT) | instid1(VALU_DEP_4)
	v_fma_f64 v[25:26], v[27:28], v[25:26], s[84:85]
	v_add_f64 v[49:50], v[47:48], v[29:30]
	s_delay_alu instid0(VALU_DEP_2) | instskip(SKIP_1) | instid1(VALU_DEP_3)
	v_mul_f64 v[25:26], v[27:28], v[25:26]
	v_add_f64 v[27:28], v[31:32], -v[45:46]
	v_add_f64 v[31:32], v[49:50], -v[47:48]
	s_delay_alu instid0(VALU_DEP_3) | instskip(NEXT) | instid1(VALU_DEP_3)
	v_fma_f64 v[23:24], v[23:24], v[25:26], v[23:24]
	v_add_f64 v[21:22], v[21:22], v[27:28]
	s_delay_alu instid0(VALU_DEP_3) | instskip(NEXT) | instid1(VALU_DEP_3)
	v_add_f64 v[25:26], v[29:30], -v[31:32]
	v_add_f64 v[27:28], -v[23:24], s[86:87]
	s_delay_alu instid0(VALU_DEP_2) | instskip(NEXT) | instid1(VALU_DEP_2)
	v_add_f64 v[21:22], v[21:22], v[25:26]
	v_cndmask_b32_e64 v24, v24, v28, s4
	s_delay_alu instid0(VALU_DEP_3) | instskip(SKIP_1) | instid1(VALU_DEP_2)
	v_cndmask_b32_e64 v23, v23, v27, s4
	v_cndmask_b32_e32 v27, 0x54442d18, v59, vcc_lo
	v_add_f64 v[25:26], -v[23:24], s[14:15]
	v_and_b32_e32 v28, 0x54442d18, v7
	v_and_b32_e32 v6, 0x400921fb, v7
	v_add_f64 v[21:22], v[49:50], v[21:22]
	s_delay_alu instid0(VALU_DEP_4) | instskip(SKIP_2) | instid1(VALU_DEP_2)
	v_cndmask_b32_e32 v7, v24, v26, vcc_lo
	v_cndmask_b32_e32 v23, v23, v25, vcc_lo
	s_and_b32 vcc_lo, s8, s9
                                        ; implicit-def: $vgpr25_vgpr26
	v_cndmask_b32_e64 v6, v7, v6, s5
	s_delay_alu instid0(VALU_DEP_2) | instskip(NEXT) | instid1(VALU_DEP_1)
	v_cndmask_b32_e64 v23, v23, v28, s5
	v_dual_cndmask_b32 v24, v6, v5 :: v_dual_cndmask_b32 v23, v23, v27
                                        ; implicit-def: $vgpr27_vgpr28
	v_mul_f64 v[1:2], v[21:22], 0.5
	s_delay_alu instid0(VALU_DEP_1) | instskip(NEXT) | instid1(VALU_DEP_2)
	v_cndmask_b32_e64 v22, 0xfff00000, v2, s6
	v_cndmask_b32_e64 v21, 0, v1, s6
.LBB168_196:                            ;   in Loop: Header=BB168_145 Depth=1
	s_and_not1_saveexec_b32 s22, s7
	s_cbranch_execz .LBB168_200
; %bb.197:                              ;   in Loop: Header=BB168_145 Depth=1
	v_dual_mov_b32 v21, v33 :: v_dual_and_b32 v34, 0x7ffffff8, v28
	v_and_b32_e32 v22, 0x7ffffff8, v26
	s_mov_b32 s23, 0
	s_delay_alu instid0(VALU_DEP_2) | instskip(SKIP_1) | instid1(VALU_DEP_3)
	v_add_f64 v[5:6], v[27:28], -v[33:34]
	v_mov_b32_e32 v27, v33
	v_add_f64 v[23:24], v[25:26], -v[21:22]
	v_mov_b32_e32 v29, v33
	v_add_f64 v[31:32], v[33:34], v[33:34]
	v_add_f64 v[49:50], v[21:22], v[21:22]
	v_mul_f64 v[25:26], v[21:22], v[21:22]
	v_and_b32_e32 v28, -8, v6
	v_and_b32_e32 v30, -8, v24
	s_delay_alu instid0(VALU_DEP_2) | instskip(SKIP_1) | instid1(VALU_DEP_3)
	v_add_f64 v[51:52], v[5:6], -v[27:28]
	v_add_f64 v[55:56], v[27:28], v[27:28]
	v_add_f64 v[53:54], v[23:24], -v[29:30]
	v_add_f64 v[57:58], v[29:30], v[29:30]
	v_mul_f64 v[5:6], v[33:34], v[33:34]
	v_mul_f64 v[47:48], v[31:32], v[27:28]
	;; [unrolled: 1-line block ×11, first 2 shown]
.LBB168_198:                            ;   Parent Loop BB168_145 Depth=1
                                        ; =>  This Inner Loop Header: Depth=2
	v_cmp_nlt_f64_e32 vcc_lo, v[5:6], v[25:26]
	v_dual_cndmask_b32 v54, v6, v26 :: v_dual_cndmask_b32 v53, v5, v25
	v_dual_cndmask_b32 v6, v26, v6 :: v_dual_cndmask_b32 v5, v25, v5
	s_delay_alu instid0(VALU_DEP_2) | instskip(NEXT) | instid1(VALU_DEP_1)
	v_cmp_nlt_f64_e64 s5, v[53:54], v[47:48]
	v_cndmask_b32_e64 v56, v54, v48, s5
	v_cndmask_b32_e64 v55, v53, v47, s5
	;; [unrolled: 1-line block ×4, first 2 shown]
	s_and_b32 s5, vcc_lo, s5
	s_delay_alu instid0(VALU_DEP_3) | instskip(NEXT) | instid1(VALU_DEP_1)
	v_cmp_nlt_f64_e64 s6, v[55:56], v[23:24]
	v_cndmask_b32_e64 v54, v56, v24, s6
	v_cndmask_b32_e64 v53, v55, v23, s6
	;; [unrolled: 1-line block ×4, first 2 shown]
	s_delay_alu instid0(VALU_DEP_3) | instskip(NEXT) | instid1(VALU_DEP_1)
	v_cmp_nlt_f64_e64 s7, v[53:54], v[45:46]
	v_cndmask_b32_e64 v56, v54, v46, s7
	v_cndmask_b32_e64 v55, v53, v45, s7
	;; [unrolled: 1-line block ×4, first 2 shown]
	s_and_b32 s6, s6, s7
	s_delay_alu instid0(VALU_DEP_3) | instskip(NEXT) | instid1(VALU_DEP_1)
	v_cmp_nlt_f64_e64 s8, v[55:56], v[21:22]
	v_cndmask_b32_e64 v54, v56, v22, s8
	v_cndmask_b32_e64 v53, v55, v21, s8
	;; [unrolled: 1-line block ×4, first 2 shown]
	s_delay_alu instid0(VALU_DEP_3) | instskip(NEXT) | instid1(VALU_DEP_1)
	v_cmp_nlt_f64_e64 s9, v[53:54], v[43:44]
	v_cndmask_b32_e64 v56, v54, v44, s9
	v_cndmask_b32_e64 v55, v53, v43, s9
	v_cndmask_b32_e64 v22, v44, v54, s9
	v_cndmask_b32_e64 v21, v43, v53, s9
	s_and_b32 s7, s8, s9
	s_delay_alu instid0(VALU_DEP_3) | instskip(NEXT) | instid1(VALU_DEP_1)
	v_cmp_nlt_f64_e64 s10, v[55:56], v[31:32]
	v_cndmask_b32_e64 v54, v56, v32, s10
	v_cndmask_b32_e64 v53, v55, v31, s10
	v_cndmask_b32_e64 v44, v32, v56, s10
	v_cndmask_b32_e64 v43, v31, v55, s10
	s_and_b32 s7, s7, s10
	;; [unrolled: 7-line block ×4, first 2 shown]
	s_delay_alu instid0(VALU_DEP_3) | instskip(NEXT) | instid1(VALU_DEP_1)
	v_cmp_nlt_f64_e64 s13, v[53:54], v[49:50]
	v_cndmask_b32_e64 v56, v54, v50, s13
	v_cndmask_b32_e64 v55, v53, v49, s13
	s_and_b32 s7, s7, s13
	v_cndmask_b32_e64 v28, v50, v54, s13
	v_cndmask_b32_e64 v27, v49, v53, s13
	s_delay_alu instid0(VALU_DEP_3) | instskip(NEXT) | instid1(VALU_DEP_1)
	v_cmp_nlt_f64_e64 s14, v[55:56], v[51:52]
	v_cndmask_b32_e64 v54, v56, v52, s14
	v_cndmask_b32_e64 v53, v55, v51, s14
	s_and_b32 s7, s7, s14
	v_cndmask_b32_e64 v50, v52, v56, s14
	s_and_b32 s6, s7, s6
	;; [unrolled: 2-line block ×3, first 2 shown]
	v_dual_mov_b32 v51, v53 :: v_dual_mov_b32 v52, v54
	s_and_b32 s5, exec_lo, s5
	s_delay_alu instid0(SALU_CYCLE_1) | instskip(NEXT) | instid1(SALU_CYCLE_1)
	s_or_b32 s23, s5, s23
	s_and_not1_b32 exec_lo, exec_lo, s23
	s_cbranch_execnz .LBB168_198
; %bb.199:                              ;   in Loop: Header=BB168_145 Depth=1
	s_or_b32 exec_lo, exec_lo, s23
	v_add_f64 v[5:6], v[5:6], -1.0
	s_mov_b32 s97, s25
	s_mov_b32 s14, s86
	v_cmp_gt_i32_e64 s5, 0, v2
	v_cmp_class_f64_e64 s7, v[1:2], 0x204
	v_cmp_class_f64_e64 s6, v[3:4], 0x204
	s_mov_b32 s12, 0x4ad4b81f
	s_mov_b32 s13, 0x358dee7a
	s_delay_alu instid0(VALU_DEP_4) | instskip(NEXT) | instid1(VALU_DEP_1)
	v_add_f64 v[5:6], v[5:6], v[25:26]
	v_add_f64 v[5:6], v[5:6], v[47:48]
	s_delay_alu instid0(VALU_DEP_1) | instskip(NEXT) | instid1(VALU_DEP_1)
	v_add_f64 v[5:6], v[5:6], v[23:24]
	v_add_f64 v[5:6], v[5:6], v[45:46]
	s_delay_alu instid0(VALU_DEP_1) | instskip(NEXT) | instid1(VALU_DEP_1)
	;; [unrolled: 3-line block ×5, first 2 shown]
	v_add_f64 v[5:6], v[53:54], v[5:6]
	v_add_f64 v[21:22], v[5:6], 1.0
	s_delay_alu instid0(VALU_DEP_1) | instskip(SKIP_2) | instid1(VALU_DEP_3)
	v_frexp_mant_f64_e32 v[23:24], v[21:22]
	v_frexp_exp_i32_f64_e32 v7, v[21:22]
	v_add_f64 v[25:26], v[21:22], -1.0
	v_cmp_gt_f64_e32 vcc_lo, s[24:25], v[23:24]
	s_delay_alu instid0(VALU_DEP_2) | instskip(SKIP_2) | instid1(VALU_DEP_3)
	v_add_f64 v[23:24], v[25:26], -v[21:22]
	v_add_f64 v[25:26], v[5:6], -v[25:26]
	v_subrev_co_ci_u32_e32 v7, vcc_lo, 0, v7, vcc_lo
	v_add_f64 v[23:24], v[23:24], 1.0
	s_delay_alu instid0(VALU_DEP_2) | instskip(NEXT) | instid1(VALU_DEP_1)
	v_sub_nc_u32_e32 v29, 0, v7
	v_ldexp_f64 v[21:22], v[21:22], v29
	s_delay_alu instid0(VALU_DEP_3) | instskip(NEXT) | instid1(VALU_DEP_2)
	v_add_f64 v[23:24], v[25:26], v[23:24]
	v_add_f64 v[27:28], v[21:22], 1.0
	v_add_f64 v[43:44], v[21:22], -1.0
	s_delay_alu instid0(VALU_DEP_3) | instskip(NEXT) | instid1(VALU_DEP_3)
	v_ldexp_f64 v[23:24], v[23:24], v29
	v_add_f64 v[25:26], v[27:28], -1.0
	s_delay_alu instid0(VALU_DEP_3) | instskip(NEXT) | instid1(VALU_DEP_2)
	v_add_f64 v[45:46], v[43:44], 1.0
	v_add_f64 v[25:26], v[21:22], -v[25:26]
	s_delay_alu instid0(VALU_DEP_2) | instskip(NEXT) | instid1(VALU_DEP_2)
	v_add_f64 v[21:22], v[21:22], -v[45:46]
	v_add_f64 v[25:26], v[23:24], v[25:26]
	s_delay_alu instid0(VALU_DEP_2) | instskip(NEXT) | instid1(VALU_DEP_2)
	v_add_f64 v[21:22], v[23:24], v[21:22]
	v_add_f64 v[29:30], v[27:28], v[25:26]
	s_delay_alu instid0(VALU_DEP_2) | instskip(NEXT) | instid1(VALU_DEP_2)
	v_add_f64 v[45:46], v[43:44], v[21:22]
	v_rcp_f64_e32 v[31:32], v[29:30]
	v_add_f64 v[27:28], v[29:30], -v[27:28]
	s_delay_alu instid0(VALU_DEP_2) | instskip(NEXT) | instid1(VALU_DEP_2)
	v_add_f64 v[43:44], v[45:46], -v[43:44]
	v_add_f64 v[25:26], v[25:26], -v[27:28]
	s_waitcnt_depctr 0xfff
	v_fma_f64 v[47:48], -v[29:30], v[31:32], 1.0
	v_add_f64 v[21:22], v[21:22], -v[43:44]
	s_delay_alu instid0(VALU_DEP_2) | instskip(NEXT) | instid1(VALU_DEP_1)
	v_fma_f64 v[31:32], v[47:48], v[31:32], v[31:32]
	v_fma_f64 v[23:24], -v[29:30], v[31:32], 1.0
	s_delay_alu instid0(VALU_DEP_1) | instskip(NEXT) | instid1(VALU_DEP_1)
	v_fma_f64 v[23:24], v[23:24], v[31:32], v[31:32]
	v_mul_f64 v[31:32], v[45:46], v[23:24]
	s_delay_alu instid0(VALU_DEP_1) | instskip(NEXT) | instid1(VALU_DEP_1)
	v_mul_f64 v[47:48], v[29:30], v[31:32]
	v_fma_f64 v[27:28], v[31:32], v[29:30], -v[47:48]
	s_delay_alu instid0(VALU_DEP_1) | instskip(NEXT) | instid1(VALU_DEP_1)
	v_fma_f64 v[27:28], v[31:32], v[25:26], v[27:28]
	v_add_f64 v[49:50], v[47:48], v[27:28]
	s_delay_alu instid0(VALU_DEP_1) | instskip(SKIP_2) | instid1(VALU_DEP_3)
	v_add_f64 v[51:52], v[45:46], -v[49:50]
	v_add_f64 v[43:44], v[49:50], -v[47:48]
	v_max_f64 v[47:48], |v[3:4]|, |v[3:4]|
	v_add_f64 v[45:46], v[45:46], -v[51:52]
	s_delay_alu instid0(VALU_DEP_3) | instskip(NEXT) | instid1(VALU_DEP_2)
	v_add_f64 v[27:28], v[43:44], -v[27:28]
	v_add_f64 v[45:46], v[45:46], -v[49:50]
	v_max_f64 v[49:50], |v[1:2]|, |v[1:2]|
	v_cndmask_b32_e64 v1, 0x3fe921fb, v60, s5
	s_delay_alu instid0(VALU_DEP_1) | instskip(NEXT) | instid1(VALU_DEP_4)
	v_bfi_b32 v1, 0x7fffffff, v1, v4
	v_add_f64 v[21:22], v[21:22], v[45:46]
	s_delay_alu instid0(VALU_DEP_4) | instskip(SKIP_1) | instid1(VALU_DEP_3)
	v_max_f64 v[53:54], v[49:50], v[47:48]
	v_min_f64 v[47:48], v[49:50], v[47:48]
	v_add_f64 v[21:22], v[27:28], v[21:22]
	s_delay_alu instid0(VALU_DEP_1) | instskip(NEXT) | instid1(VALU_DEP_1)
	v_add_f64 v[27:28], v[51:52], v[21:22]
	v_mul_f64 v[43:44], v[23:24], v[27:28]
	v_add_f64 v[51:52], v[51:52], -v[27:28]
	s_delay_alu instid0(VALU_DEP_2) | instskip(NEXT) | instid1(VALU_DEP_2)
	v_mul_f64 v[45:46], v[29:30], v[43:44]
	v_add_f64 v[21:22], v[21:22], v[51:52]
	s_delay_alu instid0(VALU_DEP_2) | instskip(NEXT) | instid1(VALU_DEP_1)
	v_fma_f64 v[29:30], v[43:44], v[29:30], -v[45:46]
	v_fma_f64 v[25:26], v[43:44], v[25:26], v[29:30]
	v_div_scale_f64 v[29:30], null, v[53:54], v[53:54], v[47:48]
	s_delay_alu instid0(VALU_DEP_2) | instskip(NEXT) | instid1(VALU_DEP_2)
	v_add_f64 v[49:50], v[45:46], v[25:26]
	v_rcp_f64_e32 v[55:56], v[29:30]
	s_delay_alu instid0(VALU_DEP_1)
	v_add_f64 v[57:58], v[27:28], -v[49:50]
	v_add_f64 v[45:46], v[49:50], -v[45:46]
	s_waitcnt_depctr 0xfff
	v_fma_f64 v[61:62], -v[29:30], v[55:56], 1.0
	v_add_f64 v[27:28], v[27:28], -v[57:58]
	v_add_f64 v[25:26], v[45:46], -v[25:26]
	s_delay_alu instid0(VALU_DEP_3) | instskip(NEXT) | instid1(VALU_DEP_3)
	v_fma_f64 v[55:56], v[55:56], v[61:62], v[55:56]
	v_add_f64 v[27:28], v[27:28], -v[49:50]
	s_delay_alu instid0(VALU_DEP_2) | instskip(NEXT) | instid1(VALU_DEP_2)
	v_fma_f64 v[49:50], -v[29:30], v[55:56], 1.0
	v_add_f64 v[21:22], v[21:22], v[27:28]
	v_div_scale_f64 v[27:28], vcc_lo, v[47:48], v[53:54], v[47:48]
	s_delay_alu instid0(VALU_DEP_3) | instskip(SKIP_1) | instid1(VALU_DEP_4)
	v_fma_f64 v[45:46], v[55:56], v[49:50], v[55:56]
	v_add_f64 v[49:50], v[31:32], v[43:44]
	v_add_f64 v[21:22], v[25:26], v[21:22]
	s_delay_alu instid0(VALU_DEP_3) | instskip(NEXT) | instid1(VALU_DEP_3)
	v_mul_f64 v[25:26], v[27:28], v[45:46]
	v_add_f64 v[31:32], v[49:50], -v[31:32]
	s_delay_alu instid0(VALU_DEP_3) | instskip(NEXT) | instid1(VALU_DEP_3)
	v_add_f64 v[21:22], v[57:58], v[21:22]
	v_fma_f64 v[27:28], -v[29:30], v[25:26], v[27:28]
	s_delay_alu instid0(VALU_DEP_3) | instskip(NEXT) | instid1(VALU_DEP_3)
	v_add_f64 v[29:30], v[43:44], -v[31:32]
	v_mul_f64 v[21:22], v[23:24], v[21:22]
	s_delay_alu instid0(VALU_DEP_3) | instskip(SKIP_1) | instid1(VALU_DEP_3)
	v_div_fmas_f64 v[23:24], v[27:28], v[45:46], v[25:26]
	v_cmp_eq_f64_e32 vcc_lo, 0x7ff00000, v[5:6]
	v_add_f64 v[21:22], v[29:30], v[21:22]
	s_delay_alu instid0(VALU_DEP_3) | instskip(NEXT) | instid1(VALU_DEP_2)
	v_div_fixup_f64 v[23:24], v[23:24], v[53:54], v[47:48]
	v_add_f64 v[25:26], v[49:50], v[21:22]
	s_delay_alu instid0(VALU_DEP_2) | instskip(NEXT) | instid1(VALU_DEP_2)
	v_mul_f64 v[27:28], v[23:24], v[23:24]
	v_mul_f64 v[29:30], v[25:26], v[25:26]
	s_delay_alu instid0(VALU_DEP_2) | instskip(NEXT) | instid1(VALU_DEP_2)
	v_fma_f64 v[31:32], v[27:28], s[48:49], s[46:47]
	v_fma_f64 v[43:44], v[29:30], s[28:29], s[26:27]
	v_mul_f64 v[45:46], v[25:26], v[29:30]
	s_delay_alu instid0(VALU_DEP_3) | instskip(NEXT) | instid1(VALU_DEP_3)
	v_fma_f64 v[31:32], v[27:28], v[31:32], s[50:51]
	v_fma_f64 v[43:44], v[29:30], v[43:44], s[34:35]
	s_delay_alu instid0(VALU_DEP_2) | instskip(NEXT) | instid1(VALU_DEP_2)
	v_fma_f64 v[31:32], v[27:28], v[31:32], s[52:53]
	v_fma_f64 v[43:44], v[29:30], v[43:44], s[36:37]
	s_delay_alu instid0(VALU_DEP_2) | instskip(NEXT) | instid1(VALU_DEP_2)
	;; [unrolled: 3-line block ×4, first 2 shown]
	v_fma_f64 v[31:32], v[27:28], v[31:32], s[58:59]
	v_fma_f64 v[29:30], v[29:30], v[43:44], s[96:97]
	v_ldexp_f64 v[43:44], v[25:26], 1
	v_add_f64 v[25:26], v[25:26], -v[49:50]
	s_delay_alu instid0(VALU_DEP_4) | instskip(NEXT) | instid1(VALU_DEP_4)
	v_fma_f64 v[31:32], v[27:28], v[31:32], s[60:61]
	v_mul_f64 v[29:30], v[45:46], v[29:30]
	v_cvt_f64_i32_e32 v[45:46], v7
	s_delay_alu instid0(VALU_DEP_4) | instskip(NEXT) | instid1(VALU_DEP_4)
	v_add_f64 v[21:22], v[21:22], -v[25:26]
	v_fma_f64 v[31:32], v[27:28], v[31:32], s[62:63]
	v_ashrrev_i32_e32 v7, 31, v2
	s_delay_alu instid0(VALU_DEP_1) | instskip(SKIP_4) | instid1(VALU_DEP_4)
	v_and_b32_e32 v2, 0x400921fb, v7
	v_add_f64 v[47:48], v[43:44], v[29:30]
	v_mul_f64 v[49:50], v[45:46], s[42:43]
	v_ldexp_f64 v[21:22], v[21:22], 1
	v_fma_f64 v[31:32], v[27:28], v[31:32], s[64:65]
	v_add_f64 v[25:26], v[47:48], -v[43:44]
	s_delay_alu instid0(VALU_DEP_4) | instskip(NEXT) | instid1(VALU_DEP_3)
	v_fma_f64 v[43:44], v[45:46], s[42:43], -v[49:50]
	v_fma_f64 v[31:32], v[27:28], v[31:32], s[66:67]
	s_delay_alu instid0(VALU_DEP_3) | instskip(NEXT) | instid1(VALU_DEP_2)
	v_add_f64 v[25:26], v[29:30], -v[25:26]
	v_fma_f64 v[29:30], v[27:28], v[31:32], s[68:69]
	s_delay_alu instid0(VALU_DEP_4) | instskip(NEXT) | instid1(VALU_DEP_3)
	v_fma_f64 v[31:32], v[45:46], s[44:45], v[43:44]
	v_add_f64 v[21:22], v[21:22], v[25:26]
	s_delay_alu instid0(VALU_DEP_3) | instskip(NEXT) | instid1(VALU_DEP_3)
	v_fma_f64 v[25:26], v[27:28], v[29:30], s[70:71]
	v_add_f64 v[29:30], v[49:50], v[31:32]
	s_delay_alu instid0(VALU_DEP_3) | instskip(NEXT) | instid1(VALU_DEP_3)
	v_add_f64 v[43:44], v[47:48], v[21:22]
	v_fma_f64 v[25:26], v[27:28], v[25:26], s[72:73]
	s_delay_alu instid0(VALU_DEP_3) | instskip(NEXT) | instid1(VALU_DEP_3)
	v_add_f64 v[49:50], v[29:30], -v[49:50]
	v_add_f64 v[45:46], v[29:30], v[43:44]
	v_add_f64 v[47:48], v[43:44], -v[47:48]
	s_delay_alu instid0(VALU_DEP_4) | instskip(NEXT) | instid1(VALU_DEP_4)
	v_fma_f64 v[25:26], v[27:28], v[25:26], s[74:75]
	v_add_f64 v[31:32], v[31:32], -v[49:50]
	s_delay_alu instid0(VALU_DEP_4) | instskip(NEXT) | instid1(VALU_DEP_4)
	v_add_f64 v[51:52], v[45:46], -v[29:30]
	v_add_f64 v[21:22], v[21:22], -v[47:48]
	s_delay_alu instid0(VALU_DEP_4) | instskip(NEXT) | instid1(VALU_DEP_3)
	v_fma_f64 v[25:26], v[27:28], v[25:26], s[76:77]
	v_add_f64 v[53:54], v[45:46], -v[51:52]
	v_add_f64 v[43:44], v[43:44], -v[51:52]
	s_delay_alu instid0(VALU_DEP_4) | instskip(NEXT) | instid1(VALU_DEP_4)
	v_add_f64 v[47:48], v[31:32], v[21:22]
	v_fma_f64 v[25:26], v[27:28], v[25:26], s[78:79]
	s_delay_alu instid0(VALU_DEP_4) | instskip(NEXT) | instid1(VALU_DEP_2)
	v_add_f64 v[29:30], v[29:30], -v[53:54]
	v_fma_f64 v[25:26], v[27:28], v[25:26], s[80:81]
	s_delay_alu instid0(VALU_DEP_2) | instskip(SKIP_1) | instid1(VALU_DEP_3)
	v_add_f64 v[29:30], v[43:44], v[29:30]
	v_add_f64 v[43:44], v[47:48], -v[31:32]
	v_fma_f64 v[25:26], v[27:28], v[25:26], s[82:83]
	s_delay_alu instid0(VALU_DEP_3) | instskip(NEXT) | instid1(VALU_DEP_3)
	v_add_f64 v[29:30], v[47:48], v[29:30]
	v_add_f64 v[47:48], v[47:48], -v[43:44]
	v_add_f64 v[21:22], v[21:22], -v[43:44]
	s_delay_alu instid0(VALU_DEP_4) | instskip(NEXT) | instid1(VALU_DEP_4)
	v_fma_f64 v[25:26], v[27:28], v[25:26], s[84:85]
	v_add_f64 v[49:50], v[45:46], v[29:30]
	s_delay_alu instid0(VALU_DEP_2) | instskip(SKIP_1) | instid1(VALU_DEP_3)
	v_mul_f64 v[25:26], v[27:28], v[25:26]
	v_add_f64 v[27:28], v[31:32], -v[47:48]
	v_add_f64 v[31:32], v[49:50], -v[45:46]
	s_delay_alu instid0(VALU_DEP_3) | instskip(NEXT) | instid1(VALU_DEP_3)
	v_fma_f64 v[23:24], v[23:24], v[25:26], v[23:24]
	v_add_f64 v[21:22], v[21:22], v[27:28]
	s_delay_alu instid0(VALU_DEP_3) | instskip(NEXT) | instid1(VALU_DEP_3)
	v_add_f64 v[25:26], v[29:30], -v[31:32]
	v_add_f64 v[27:28], -v[23:24], s[86:87]
	s_delay_alu instid0(VALU_DEP_2) | instskip(NEXT) | instid1(VALU_DEP_2)
	v_add_f64 v[21:22], v[21:22], v[25:26]
	v_cndmask_b32_e64 v24, v24, v28, s4
	s_delay_alu instid0(VALU_DEP_3) | instskip(SKIP_1) | instid1(VALU_DEP_2)
	v_cndmask_b32_e64 v23, v23, v27, s4
	v_cndmask_b32_e64 v27, 0x54442d18, v59, s5
	v_add_f64 v[25:26], -v[23:24], s[14:15]
	v_add_f64 v[21:22], v[49:50], v[21:22]
	v_and_b32_e32 v28, 0x54442d18, v7
	s_delay_alu instid0(VALU_DEP_3) | instskip(NEXT) | instid1(VALU_DEP_4)
	v_cndmask_b32_e64 v23, v23, v25, s5
	v_cndmask_b32_e64 v7, v24, v26, s5
	v_cmp_nge_f64_e64 s5, -1.0, v[5:6]
	v_dual_cndmask_b32 v21, v21, v5 :: v_dual_cndmask_b32 v22, v22, v6
	v_cmp_eq_f64_e32 vcc_lo, 0, v[3:4]
	v_cndmask_b32_e32 v23, v23, v28, vcc_lo
	s_delay_alu instid0(VALU_DEP_3) | instskip(SKIP_2) | instid1(VALU_DEP_3)
	v_mul_f64 v[21:22], v[21:22], 0.5
	v_cndmask_b32_e32 v2, v7, v2, vcc_lo
	v_cmp_ngt_f64_e32 vcc_lo, -1.0, v[5:6]
	v_cndmask_b32_e64 v21, 0, v21, s5
	v_cmp_neq_f64_e64 s5, -1.0, v[5:6]
	v_cndmask_b32_e32 v7, 0x7ff80000, v22, vcc_lo
	s_and_b32 vcc_lo, s6, s7
	v_dual_cndmask_b32 v24, v2, v1 :: v_dual_cndmask_b32 v23, v23, v27
	s_delay_alu instid0(VALU_DEP_2)
	v_cndmask_b32_e64 v22, 0xfff00000, v7, s5
.LBB168_200:                            ;   in Loop: Header=BB168_145 Depth=1
	s_or_b32 exec_lo, exec_lo, s22
.LBB168_201:                            ;   in Loop: Header=BB168_145 Depth=1
	s_delay_alu instid0(SALU_CYCLE_1)
	s_or_b32 exec_lo, exec_lo, s21
.LBB168_202:                            ;   in Loop: Header=BB168_145 Depth=1
	s_and_not1_saveexec_b32 s7, s20
	s_cbranch_execz .LBB168_204
; %bb.203:                              ;   in Loop: Header=BB168_145 Depth=1
	v_max_f64 v[5:6], |v[3:4]|, |v[3:4]|
	v_max_f64 v[21:22], |v[1:2]|, |v[1:2]|
	v_cmp_class_f64_e64 s8, v[1:2], 0x204
	v_cmp_class_f64_e64 s9, v[3:4], 0x204
	s_mov_b32 s97, s25
	s_mov_b32 s14, s86
	v_cmp_eq_f64_e64 s6, 0, v[3:4]
	s_delay_alu instid0(VALU_DEP_4) | instskip(SKIP_1) | instid1(VALU_DEP_4)
	v_max_f64 v[23:24], v[21:22], v[5:6]
	v_min_f64 v[5:6], v[21:22], v[5:6]
	s_or_b32 s10, s9, s8
	s_delay_alu instid0(VALU_DEP_2) | instskip(NEXT) | instid1(VALU_DEP_1)
	v_frexp_exp_i32_f64_e32 v7, v[23:24]
	v_sub_nc_u32_e32 v27, 0, v7
	s_delay_alu instid0(VALU_DEP_1) | instskip(SKIP_1) | instid1(VALU_DEP_2)
	v_ldexp_f64 v[25:26], |v[3:4]|, v27
	v_ldexp_f64 v[27:28], |v[1:2]|, v27
	v_mul_f64 v[25:26], v[25:26], v[25:26]
	s_delay_alu instid0(VALU_DEP_1) | instskip(NEXT) | instid1(VALU_DEP_1)
	v_fma_f64 v[25:26], v[27:28], v[27:28], v[25:26]
	v_rsq_f64_e32 v[27:28], v[25:26]
	v_cmp_eq_f64_e32 vcc_lo, 0, v[25:26]
	s_waitcnt_depctr 0xfff
	v_mul_f64 v[29:30], v[25:26], v[27:28]
	v_mul_f64 v[27:28], v[27:28], 0.5
	s_delay_alu instid0(VALU_DEP_1) | instskip(NEXT) | instid1(VALU_DEP_1)
	v_fma_f64 v[31:32], -v[27:28], v[29:30], 0.5
	v_fma_f64 v[29:30], v[29:30], v[31:32], v[29:30]
	v_fma_f64 v[27:28], v[27:28], v[31:32], v[27:28]
	s_delay_alu instid0(VALU_DEP_2) | instskip(NEXT) | instid1(VALU_DEP_1)
	v_fma_f64 v[31:32], -v[29:30], v[29:30], v[25:26]
	v_fma_f64 v[27:28], v[31:32], v[27:28], v[29:30]
	s_delay_alu instid0(VALU_DEP_1) | instskip(SKIP_1) | instid1(VALU_DEP_2)
	v_dual_cndmask_b32 v26, v28, v26 :: v_dual_cndmask_b32 v25, v27, v25
	v_div_scale_f64 v[57:58], vcc_lo, v[5:6], v[23:24], v[5:6]
	v_ldexp_f64 v[25:26], v[25:26], v7
	s_delay_alu instid0(VALU_DEP_1) | instskip(NEXT) | instid1(VALU_DEP_2)
	v_cndmask_b32_e64 v28, v26, 0x7ff00000, s10
	v_cndmask_b32_e64 v27, v25, 0, s10
	s_delay_alu instid0(VALU_DEP_1) | instskip(SKIP_1) | instid1(VALU_DEP_2)
	v_frexp_mant_f64_e32 v[29:30], v[27:28]
	v_frexp_exp_i32_f64_e32 v1, v[27:28]
	v_cmp_gt_f64_e64 s5, s[24:25], v[29:30]
	s_delay_alu instid0(VALU_DEP_1) | instskip(NEXT) | instid1(VALU_DEP_1)
	v_cndmask_b32_e64 v34, 0x3ff00000, 2.0, s5
	v_mul_f64 v[29:30], v[29:30], v[33:34]
	s_delay_alu instid0(VALU_DEP_1) | instskip(SKIP_1) | instid1(VALU_DEP_2)
	v_add_f64 v[31:32], v[29:30], 1.0
	v_add_f64 v[47:48], v[29:30], -1.0
	v_rcp_f64_e32 v[43:44], v[31:32]
	v_add_f64 v[49:50], v[31:32], -1.0
	s_delay_alu instid0(VALU_DEP_1) | instskip(SKIP_2) | instid1(VALU_DEP_1)
	v_add_f64 v[29:30], v[29:30], -v[49:50]
	s_waitcnt_depctr 0xfff
	v_fma_f64 v[45:46], -v[31:32], v[43:44], 1.0
	v_fma_f64 v[43:44], v[45:46], v[43:44], v[43:44]
	s_delay_alu instid0(VALU_DEP_1) | instskip(NEXT) | instid1(VALU_DEP_1)
	v_fma_f64 v[45:46], -v[31:32], v[43:44], 1.0
	v_fma_f64 v[43:44], v[45:46], v[43:44], v[43:44]
	v_div_scale_f64 v[45:46], null, v[23:24], v[23:24], v[5:6]
	s_delay_alu instid0(VALU_DEP_2) | instskip(NEXT) | instid1(VALU_DEP_2)
	v_mul_f64 v[21:22], v[47:48], v[43:44]
	v_rcp_f64_e32 v[53:54], v[45:46]
	s_delay_alu instid0(VALU_DEP_1) | instskip(SKIP_3) | instid1(VALU_DEP_1)
	v_mul_f64 v[51:52], v[31:32], v[21:22]
	s_waitcnt_depctr 0xfff
	v_fma_f64 v[49:50], -v[45:46], v[53:54], 1.0
	v_fma_f64 v[31:32], v[21:22], v[31:32], -v[51:52]
	v_fma_f64 v[29:30], v[21:22], v[29:30], v[31:32]
	s_delay_alu instid0(VALU_DEP_3) | instskip(NEXT) | instid1(VALU_DEP_2)
	v_fma_f64 v[31:32], v[53:54], v[49:50], v[53:54]
	v_add_f64 v[49:50], v[51:52], v[29:30]
	s_delay_alu instid0(VALU_DEP_2) | instskip(NEXT) | instid1(VALU_DEP_2)
	v_fma_f64 v[53:54], -v[45:46], v[31:32], 1.0
	v_add_f64 v[55:56], v[47:48], -v[49:50]
	s_delay_alu instid0(VALU_DEP_2) | instskip(SKIP_1) | instid1(VALU_DEP_3)
	v_fma_f64 v[31:32], v[31:32], v[53:54], v[31:32]
	v_add_f64 v[51:52], v[49:50], -v[51:52]
	v_add_f64 v[47:48], v[47:48], -v[55:56]
	s_delay_alu instid0(VALU_DEP_3) | instskip(NEXT) | instid1(VALU_DEP_3)
	v_mul_f64 v[53:54], v[57:58], v[31:32]
	v_add_f64 v[29:30], v[51:52], -v[29:30]
	s_delay_alu instid0(VALU_DEP_3) | instskip(NEXT) | instid1(VALU_DEP_3)
	v_add_f64 v[47:48], v[47:48], -v[49:50]
	v_fma_f64 v[45:46], -v[45:46], v[53:54], v[57:58]
	s_delay_alu instid0(VALU_DEP_2) | instskip(NEXT) | instid1(VALU_DEP_2)
	v_add_f64 v[29:30], v[29:30], v[47:48]
	v_div_fmas_f64 v[31:32], v[45:46], v[31:32], v[53:54]
	v_subrev_co_ci_u32_e64 v1, vcc_lo, 0, v1, s5
	v_cmp_class_f64_e64 s5, v[25:26], 0x204
	v_cmp_gt_i32_e32 vcc_lo, 0, v2
	v_add_f64 v[29:30], v[55:56], v[29:30]
	v_div_fixup_f64 v[5:6], v[31:32], v[23:24], v[5:6]
	s_delay_alu instid0(VALU_DEP_2) | instskip(NEXT) | instid1(VALU_DEP_2)
	v_mul_f64 v[23:24], v[43:44], v[29:30]
	v_mul_f64 v[29:30], v[5:6], v[5:6]
	s_delay_alu instid0(VALU_DEP_2) | instskip(NEXT) | instid1(VALU_DEP_2)
	v_add_f64 v[31:32], v[21:22], v[23:24]
	v_fma_f64 v[43:44], v[29:30], s[48:49], s[46:47]
	s_delay_alu instid0(VALU_DEP_2) | instskip(NEXT) | instid1(VALU_DEP_2)
	v_mul_f64 v[45:46], v[31:32], v[31:32]
	v_fma_f64 v[43:44], v[29:30], v[43:44], s[50:51]
	v_add_f64 v[21:22], v[31:32], -v[21:22]
	s_delay_alu instid0(VALU_DEP_3) | instskip(NEXT) | instid1(VALU_DEP_3)
	v_fma_f64 v[47:48], v[45:46], s[28:29], s[26:27]
	v_fma_f64 v[43:44], v[29:30], v[43:44], s[52:53]
	v_mul_f64 v[49:50], v[31:32], v[45:46]
	s_delay_alu instid0(VALU_DEP_4) | instskip(NEXT) | instid1(VALU_DEP_4)
	v_add_f64 v[21:22], v[23:24], -v[21:22]
	v_fma_f64 v[47:48], v[45:46], v[47:48], s[34:35]
	s_delay_alu instid0(VALU_DEP_4) | instskip(NEXT) | instid1(VALU_DEP_3)
	v_fma_f64 v[43:44], v[29:30], v[43:44], s[54:55]
	v_ldexp_f64 v[21:22], v[21:22], 1
	s_delay_alu instid0(VALU_DEP_3) | instskip(NEXT) | instid1(VALU_DEP_3)
	v_fma_f64 v[47:48], v[45:46], v[47:48], s[36:37]
	v_fma_f64 v[43:44], v[29:30], v[43:44], s[56:57]
	s_delay_alu instid0(VALU_DEP_2) | instskip(NEXT) | instid1(VALU_DEP_2)
	v_fma_f64 v[47:48], v[45:46], v[47:48], s[38:39]
	v_fma_f64 v[43:44], v[29:30], v[43:44], s[58:59]
	s_delay_alu instid0(VALU_DEP_2) | instskip(NEXT) | instid1(VALU_DEP_2)
	;; [unrolled: 3-line block ×3, first 2 shown]
	v_fma_f64 v[45:46], v[45:46], v[47:48], s[96:97]
	v_fma_f64 v[43:44], v[29:30], v[43:44], s[62:63]
	v_ldexp_f64 v[47:48], v[31:32], 1
	s_delay_alu instid0(VALU_DEP_3) | instskip(NEXT) | instid1(VALU_DEP_3)
	v_mul_f64 v[45:46], v[49:50], v[45:46]
	v_fma_f64 v[43:44], v[29:30], v[43:44], s[64:65]
	v_cvt_f64_i32_e32 v[49:50], v1
	v_ashrrev_i32_e32 v1, 31, v2
	s_delay_alu instid0(VALU_DEP_1) | instskip(SKIP_4) | instid1(VALU_DEP_3)
	v_dual_cndmask_b32 v2, 0x54442d18, v59 :: v_dual_and_b32 v7, 0x54442d18, v1
	v_and_b32_e32 v1, 0x400921fb, v1
	v_add_f64 v[31:32], v[47:48], v[45:46]
	v_fma_f64 v[43:44], v[29:30], v[43:44], s[66:67]
	v_mul_f64 v[51:52], v[49:50], s[42:43]
	v_add_f64 v[23:24], v[31:32], -v[47:48]
	s_delay_alu instid0(VALU_DEP_3) | instskip(NEXT) | instid1(VALU_DEP_3)
	v_fma_f64 v[43:44], v[29:30], v[43:44], s[68:69]
	v_fma_f64 v[47:48], v[49:50], s[42:43], -v[51:52]
	s_delay_alu instid0(VALU_DEP_3) | instskip(NEXT) | instid1(VALU_DEP_3)
	v_add_f64 v[23:24], v[45:46], -v[23:24]
	v_fma_f64 v[43:44], v[29:30], v[43:44], s[70:71]
	s_delay_alu instid0(VALU_DEP_3) | instskip(NEXT) | instid1(VALU_DEP_3)
	v_fma_f64 v[45:46], v[49:50], s[44:45], v[47:48]
	v_add_f64 v[21:22], v[21:22], v[23:24]
	s_delay_alu instid0(VALU_DEP_3) | instskip(NEXT) | instid1(VALU_DEP_3)
	v_fma_f64 v[23:24], v[29:30], v[43:44], s[72:73]
	v_add_f64 v[43:44], v[51:52], v[45:46]
	s_delay_alu instid0(VALU_DEP_3) | instskip(NEXT) | instid1(VALU_DEP_3)
	v_add_f64 v[47:48], v[31:32], v[21:22]
	v_fma_f64 v[23:24], v[29:30], v[23:24], s[74:75]
	s_delay_alu instid0(VALU_DEP_3) | instskip(NEXT) | instid1(VALU_DEP_3)
	v_add_f64 v[51:52], v[43:44], -v[51:52]
	v_add_f64 v[49:50], v[43:44], v[47:48]
	s_delay_alu instid0(VALU_DEP_3) | instskip(SKIP_1) | instid1(VALU_DEP_4)
	v_fma_f64 v[23:24], v[29:30], v[23:24], s[76:77]
	v_add_f64 v[31:32], v[47:48], -v[31:32]
	v_add_f64 v[45:46], v[45:46], -v[51:52]
	s_delay_alu instid0(VALU_DEP_4) | instskip(NEXT) | instid1(VALU_DEP_4)
	v_add_f64 v[53:54], v[49:50], -v[43:44]
	v_fma_f64 v[23:24], v[29:30], v[23:24], s[78:79]
	s_delay_alu instid0(VALU_DEP_4) | instskip(NEXT) | instid1(VALU_DEP_3)
	v_add_f64 v[21:22], v[21:22], -v[31:32]
	v_add_f64 v[55:56], v[49:50], -v[53:54]
	s_delay_alu instid0(VALU_DEP_3) | instskip(SKIP_1) | instid1(VALU_DEP_4)
	v_fma_f64 v[23:24], v[29:30], v[23:24], s[80:81]
	v_add_f64 v[31:32], v[47:48], -v[53:54]
	v_add_f64 v[47:48], v[45:46], v[21:22]
	s_delay_alu instid0(VALU_DEP_4) | instskip(NEXT) | instid1(VALU_DEP_4)
	v_add_f64 v[43:44], v[43:44], -v[55:56]
	v_fma_f64 v[23:24], v[29:30], v[23:24], s[82:83]
	s_delay_alu instid0(VALU_DEP_2) | instskip(NEXT) | instid1(VALU_DEP_2)
	v_add_f64 v[31:32], v[31:32], v[43:44]
	v_fma_f64 v[23:24], v[29:30], v[23:24], s[84:85]
	v_add_f64 v[43:44], v[47:48], -v[45:46]
	s_delay_alu instid0(VALU_DEP_3) | instskip(NEXT) | instid1(VALU_DEP_3)
	v_add_f64 v[31:32], v[47:48], v[31:32]
	v_mul_f64 v[23:24], v[29:30], v[23:24]
	s_delay_alu instid0(VALU_DEP_3) | instskip(SKIP_1) | instid1(VALU_DEP_4)
	v_add_f64 v[29:30], v[47:48], -v[43:44]
	v_add_f64 v[21:22], v[21:22], -v[43:44]
	v_add_f64 v[47:48], v[49:50], v[31:32]
	s_delay_alu instid0(VALU_DEP_4) | instskip(NEXT) | instid1(VALU_DEP_4)
	v_fma_f64 v[5:6], v[5:6], v[23:24], v[5:6]
	v_add_f64 v[23:24], v[45:46], -v[29:30]
	s_delay_alu instid0(VALU_DEP_3) | instskip(NEXT) | instid1(VALU_DEP_3)
	v_add_f64 v[29:30], v[47:48], -v[49:50]
	v_add_f64 v[43:44], -v[5:6], s[86:87]
	s_delay_alu instid0(VALU_DEP_3) | instskip(NEXT) | instid1(VALU_DEP_3)
	v_add_f64 v[21:22], v[21:22], v[23:24]
	v_add_f64 v[23:24], v[31:32], -v[29:30]
	s_delay_alu instid0(VALU_DEP_3) | instskip(NEXT) | instid1(VALU_DEP_4)
	v_cndmask_b32_e64 v6, v6, v44, s4
	v_cndmask_b32_e64 v5, v5, v43, s4
	s_delay_alu instid0(VALU_DEP_3) | instskip(NEXT) | instid1(VALU_DEP_2)
	v_add_f64 v[21:22], v[21:22], v[23:24]
	v_add_f64 v[23:24], -v[5:6], s[14:15]
	s_delay_alu instid0(VALU_DEP_2) | instskip(NEXT) | instid1(VALU_DEP_2)
	v_add_f64 v[21:22], v[47:48], v[21:22]
	v_dual_cndmask_b32 v5, v5, v23 :: v_dual_cndmask_b32 v6, v6, v24
	v_cndmask_b32_e32 v23, 0x3fe921fb, v60, vcc_lo
	v_cmp_ngt_f64_e32 vcc_lo, 0, v[27:28]
	s_delay_alu instid0(VALU_DEP_3) | instskip(NEXT) | instid1(VALU_DEP_4)
	v_cndmask_b32_e64 v5, v5, v7, s6
	v_cndmask_b32_e64 v1, v6, v1, s6
	s_delay_alu instid0(VALU_DEP_4) | instskip(SKIP_3) | instid1(VALU_DEP_3)
	v_bfi_b32 v23, 0x7fffffff, v23, v4
	v_cndmask_b32_e64 v22, v22, v26, s5
	v_cndmask_b32_e64 v21, v21, v25, s5
	v_cmp_nge_f64_e64 s5, 0, v[27:28]
	v_cndmask_b32_e64 v22, v22, 0x7ff00000, s10
	s_delay_alu instid0(VALU_DEP_3) | instskip(NEXT) | instid1(VALU_DEP_2)
	v_cndmask_b32_e64 v6, v21, 0, s10
	v_cndmask_b32_e32 v7, 0x7ff80000, v22, vcc_lo
	s_and_b32 vcc_lo, s9, s8
	v_cndmask_b32_e32 v24, v1, v23, vcc_lo
	v_cndmask_b32_e32 v23, v5, v2, vcc_lo
	v_cndmask_b32_e64 v21, 0, v6, s5
	v_cmp_neq_f64_e64 s5, 0, v[27:28]
	s_delay_alu instid0(VALU_DEP_1)
	v_cndmask_b32_e64 v22, 0xfff00000, v7, s5
.LBB168_204:                            ;   in Loop: Header=BB168_145 Depth=1
	s_or_b32 exec_lo, exec_lo, s7
                                        ; implicit-def: $vgpr25_vgpr26
.LBB168_205:                            ;   in Loop: Header=BB168_145 Depth=1
	s_and_not1_saveexec_b32 s7, s89
	s_cbranch_execz .LBB168_211
; %bb.206:                              ;   in Loop: Header=BB168_145 Depth=1
                                        ; implicit-def: $vgpr21_vgpr22
	s_mov_b32 s5, exec_lo
	v_cmpx_ngt_f64_e32 s[90:91], v[25:26]
	s_xor_b32 s8, exec_lo, s5
	s_cbranch_execz .LBB168_208
; %bb.207:                              ;   in Loop: Header=BB168_145 Depth=1
	v_mul_f64 v[5:6], v[25:26], v[25:26]
	s_mov_b32 s97, s25
	s_mov_b32 s14, s86
	v_cmp_eq_f64_e64 s6, 0, v[3:4]
	v_cmp_class_f64_e64 s9, v[3:4], 0x204
	v_cmp_class_f64_e64 s10, v[1:2], 0x204
	v_cmp_gt_i32_e64 s5, 0, v2
	v_add_f64 v[21:22], v[5:6], 1.0
	s_delay_alu instid0(VALU_DEP_1) | instskip(SKIP_2) | instid1(VALU_DEP_3)
	v_frexp_mant_f64_e32 v[23:24], v[21:22]
	v_frexp_exp_i32_f64_e32 v7, v[21:22]
	v_add_f64 v[25:26], v[21:22], -1.0
	v_cmp_gt_f64_e32 vcc_lo, s[24:25], v[23:24]
	s_delay_alu instid0(VALU_DEP_2) | instskip(SKIP_2) | instid1(VALU_DEP_3)
	v_add_f64 v[23:24], v[25:26], -v[21:22]
	v_add_f64 v[25:26], v[5:6], -v[25:26]
	v_subrev_co_ci_u32_e32 v7, vcc_lo, 0, v7, vcc_lo
	v_add_f64 v[23:24], v[23:24], 1.0
	s_delay_alu instid0(VALU_DEP_2) | instskip(NEXT) | instid1(VALU_DEP_1)
	v_sub_nc_u32_e32 v29, 0, v7
	v_ldexp_f64 v[21:22], v[21:22], v29
	s_delay_alu instid0(VALU_DEP_3) | instskip(NEXT) | instid1(VALU_DEP_2)
	v_add_f64 v[23:24], v[25:26], v[23:24]
	v_add_f64 v[27:28], v[21:22], 1.0
	v_add_f64 v[43:44], v[21:22], -1.0
	s_delay_alu instid0(VALU_DEP_3) | instskip(NEXT) | instid1(VALU_DEP_3)
	v_ldexp_f64 v[23:24], v[23:24], v29
	v_add_f64 v[25:26], v[27:28], -1.0
	s_delay_alu instid0(VALU_DEP_3) | instskip(NEXT) | instid1(VALU_DEP_2)
	v_add_f64 v[45:46], v[43:44], 1.0
	v_add_f64 v[25:26], v[21:22], -v[25:26]
	s_delay_alu instid0(VALU_DEP_2) | instskip(NEXT) | instid1(VALU_DEP_2)
	v_add_f64 v[21:22], v[21:22], -v[45:46]
	v_add_f64 v[25:26], v[23:24], v[25:26]
	s_delay_alu instid0(VALU_DEP_2) | instskip(NEXT) | instid1(VALU_DEP_2)
	v_add_f64 v[21:22], v[23:24], v[21:22]
	v_add_f64 v[29:30], v[27:28], v[25:26]
	s_delay_alu instid0(VALU_DEP_2) | instskip(NEXT) | instid1(VALU_DEP_2)
	v_add_f64 v[45:46], v[43:44], v[21:22]
	v_rcp_f64_e32 v[31:32], v[29:30]
	v_add_f64 v[27:28], v[27:28], -v[29:30]
	s_delay_alu instid0(VALU_DEP_2) | instskip(NEXT) | instid1(VALU_DEP_2)
	v_add_f64 v[43:44], v[43:44], -v[45:46]
	v_add_f64 v[25:26], v[25:26], v[27:28]
	s_waitcnt_depctr 0xfff
	v_fma_f64 v[47:48], -v[29:30], v[31:32], 1.0
	v_add_f64 v[21:22], v[21:22], v[43:44]
	s_delay_alu instid0(VALU_DEP_2) | instskip(NEXT) | instid1(VALU_DEP_1)
	v_fma_f64 v[31:32], v[47:48], v[31:32], v[31:32]
	v_fma_f64 v[23:24], -v[29:30], v[31:32], 1.0
	s_delay_alu instid0(VALU_DEP_1) | instskip(NEXT) | instid1(VALU_DEP_1)
	v_fma_f64 v[23:24], v[23:24], v[31:32], v[31:32]
	v_mul_f64 v[31:32], v[45:46], v[23:24]
	s_delay_alu instid0(VALU_DEP_1) | instskip(NEXT) | instid1(VALU_DEP_1)
	v_mul_f64 v[47:48], v[29:30], v[31:32]
	v_fma_f64 v[27:28], v[31:32], v[29:30], -v[47:48]
	s_delay_alu instid0(VALU_DEP_1) | instskip(NEXT) | instid1(VALU_DEP_1)
	v_fma_f64 v[27:28], v[31:32], v[25:26], v[27:28]
	v_add_f64 v[49:50], v[47:48], v[27:28]
	s_delay_alu instid0(VALU_DEP_1) | instskip(SKIP_2) | instid1(VALU_DEP_3)
	v_add_f64 v[51:52], v[45:46], -v[49:50]
	v_add_f64 v[43:44], v[49:50], -v[47:48]
	v_max_f64 v[47:48], |v[3:4]|, |v[3:4]|
	v_add_f64 v[45:46], v[45:46], -v[51:52]
	s_delay_alu instid0(VALU_DEP_3) | instskip(NEXT) | instid1(VALU_DEP_2)
	v_add_f64 v[27:28], v[43:44], -v[27:28]
	v_add_f64 v[45:46], v[45:46], -v[49:50]
	v_max_f64 v[49:50], |v[1:2]|, |v[1:2]|
	s_delay_alu instid0(VALU_DEP_2) | instskip(NEXT) | instid1(VALU_DEP_2)
	v_add_f64 v[21:22], v[21:22], v[45:46]
	v_max_f64 v[53:54], v[49:50], v[47:48]
	v_min_f64 v[47:48], v[49:50], v[47:48]
	s_delay_alu instid0(VALU_DEP_3) | instskip(NEXT) | instid1(VALU_DEP_1)
	v_add_f64 v[21:22], v[27:28], v[21:22]
	v_add_f64 v[27:28], v[51:52], v[21:22]
	s_delay_alu instid0(VALU_DEP_1) | instskip(SKIP_1) | instid1(VALU_DEP_2)
	v_mul_f64 v[43:44], v[23:24], v[27:28]
	v_add_f64 v[51:52], v[51:52], -v[27:28]
	v_mul_f64 v[45:46], v[29:30], v[43:44]
	s_delay_alu instid0(VALU_DEP_2) | instskip(NEXT) | instid1(VALU_DEP_2)
	v_add_f64 v[21:22], v[21:22], v[51:52]
	v_fma_f64 v[29:30], v[43:44], v[29:30], -v[45:46]
	s_delay_alu instid0(VALU_DEP_1) | instskip(SKIP_1) | instid1(VALU_DEP_2)
	v_fma_f64 v[25:26], v[43:44], v[25:26], v[29:30]
	v_div_scale_f64 v[29:30], null, v[53:54], v[53:54], v[47:48]
	v_add_f64 v[49:50], v[45:46], v[25:26]
	s_delay_alu instid0(VALU_DEP_2) | instskip(NEXT) | instid1(VALU_DEP_1)
	v_rcp_f64_e32 v[55:56], v[29:30]
	v_add_f64 v[57:58], v[27:28], -v[49:50]
	v_add_f64 v[45:46], v[49:50], -v[45:46]
	s_waitcnt_depctr 0xfff
	v_fma_f64 v[61:62], -v[29:30], v[55:56], 1.0
	v_add_f64 v[27:28], v[27:28], -v[57:58]
	v_add_f64 v[25:26], v[45:46], -v[25:26]
	s_delay_alu instid0(VALU_DEP_3) | instskip(NEXT) | instid1(VALU_DEP_3)
	v_fma_f64 v[55:56], v[55:56], v[61:62], v[55:56]
	v_add_f64 v[27:28], v[27:28], -v[49:50]
	s_delay_alu instid0(VALU_DEP_2) | instskip(NEXT) | instid1(VALU_DEP_2)
	v_fma_f64 v[49:50], -v[29:30], v[55:56], 1.0
	v_add_f64 v[21:22], v[21:22], v[27:28]
	v_div_scale_f64 v[27:28], vcc_lo, v[47:48], v[53:54], v[47:48]
	s_delay_alu instid0(VALU_DEP_3) | instskip(SKIP_1) | instid1(VALU_DEP_4)
	v_fma_f64 v[45:46], v[55:56], v[49:50], v[55:56]
	v_add_f64 v[49:50], v[31:32], v[43:44]
	v_add_f64 v[21:22], v[25:26], v[21:22]
	s_delay_alu instid0(VALU_DEP_3) | instskip(NEXT) | instid1(VALU_DEP_3)
	v_mul_f64 v[25:26], v[27:28], v[45:46]
	v_add_f64 v[31:32], v[49:50], -v[31:32]
	s_delay_alu instid0(VALU_DEP_3) | instskip(NEXT) | instid1(VALU_DEP_3)
	v_add_f64 v[21:22], v[57:58], v[21:22]
	v_fma_f64 v[27:28], -v[29:30], v[25:26], v[27:28]
	s_delay_alu instid0(VALU_DEP_3) | instskip(NEXT) | instid1(VALU_DEP_3)
	v_add_f64 v[29:30], v[43:44], -v[31:32]
	v_mul_f64 v[21:22], v[23:24], v[21:22]
	s_delay_alu instid0(VALU_DEP_3) | instskip(SKIP_1) | instid1(VALU_DEP_3)
	v_div_fmas_f64 v[23:24], v[27:28], v[45:46], v[25:26]
	v_cmp_eq_f64_e32 vcc_lo, 0x7ff00000, v[5:6]
	v_add_f64 v[21:22], v[29:30], v[21:22]
	s_delay_alu instid0(VALU_DEP_3) | instskip(NEXT) | instid1(VALU_DEP_2)
	v_div_fixup_f64 v[23:24], v[23:24], v[53:54], v[47:48]
	v_add_f64 v[25:26], v[49:50], v[21:22]
	s_delay_alu instid0(VALU_DEP_2) | instskip(NEXT) | instid1(VALU_DEP_2)
	v_mul_f64 v[27:28], v[23:24], v[23:24]
	v_mul_f64 v[29:30], v[25:26], v[25:26]
	s_delay_alu instid0(VALU_DEP_2) | instskip(NEXT) | instid1(VALU_DEP_2)
	v_fma_f64 v[31:32], v[27:28], s[48:49], s[46:47]
	v_fma_f64 v[43:44], v[29:30], s[28:29], s[26:27]
	v_mul_f64 v[45:46], v[25:26], v[29:30]
	s_delay_alu instid0(VALU_DEP_3) | instskip(NEXT) | instid1(VALU_DEP_3)
	v_fma_f64 v[31:32], v[27:28], v[31:32], s[50:51]
	v_fma_f64 v[43:44], v[29:30], v[43:44], s[34:35]
	s_delay_alu instid0(VALU_DEP_2) | instskip(NEXT) | instid1(VALU_DEP_2)
	v_fma_f64 v[31:32], v[27:28], v[31:32], s[52:53]
	v_fma_f64 v[43:44], v[29:30], v[43:44], s[36:37]
	s_delay_alu instid0(VALU_DEP_2) | instskip(NEXT) | instid1(VALU_DEP_2)
	;; [unrolled: 3-line block ×4, first 2 shown]
	v_fma_f64 v[31:32], v[27:28], v[31:32], s[58:59]
	v_fma_f64 v[29:30], v[29:30], v[43:44], s[96:97]
	v_ldexp_f64 v[43:44], v[25:26], 1
	v_add_f64 v[25:26], v[25:26], -v[49:50]
	s_delay_alu instid0(VALU_DEP_4) | instskip(NEXT) | instid1(VALU_DEP_4)
	v_fma_f64 v[31:32], v[27:28], v[31:32], s[60:61]
	v_mul_f64 v[29:30], v[45:46], v[29:30]
	v_cvt_f64_i32_e32 v[45:46], v7
	s_delay_alu instid0(VALU_DEP_4) | instskip(NEXT) | instid1(VALU_DEP_4)
	v_add_f64 v[21:22], v[21:22], -v[25:26]
	v_fma_f64 v[31:32], v[27:28], v[31:32], s[62:63]
	v_ashrrev_i32_e32 v7, 31, v2
	v_add_f64 v[47:48], v[43:44], v[29:30]
	v_mul_f64 v[49:50], v[45:46], s[42:43]
	v_ldexp_f64 v[21:22], v[21:22], 1
	v_fma_f64 v[31:32], v[27:28], v[31:32], s[64:65]
	s_delay_alu instid0(VALU_DEP_4) | instskip(NEXT) | instid1(VALU_DEP_4)
	v_add_f64 v[25:26], v[47:48], -v[43:44]
	v_fma_f64 v[43:44], v[45:46], s[42:43], -v[49:50]
	s_delay_alu instid0(VALU_DEP_3) | instskip(NEXT) | instid1(VALU_DEP_3)
	v_fma_f64 v[31:32], v[27:28], v[31:32], s[66:67]
	v_add_f64 v[25:26], v[29:30], -v[25:26]
	s_delay_alu instid0(VALU_DEP_2) | instskip(NEXT) | instid1(VALU_DEP_4)
	v_fma_f64 v[29:30], v[27:28], v[31:32], s[68:69]
	v_fma_f64 v[31:32], v[45:46], s[44:45], v[43:44]
	s_delay_alu instid0(VALU_DEP_3) | instskip(NEXT) | instid1(VALU_DEP_3)
	v_add_f64 v[21:22], v[21:22], v[25:26]
	v_fma_f64 v[25:26], v[27:28], v[29:30], s[70:71]
	s_delay_alu instid0(VALU_DEP_3) | instskip(NEXT) | instid1(VALU_DEP_3)
	v_add_f64 v[29:30], v[49:50], v[31:32]
	v_add_f64 v[43:44], v[47:48], v[21:22]
	s_delay_alu instid0(VALU_DEP_3) | instskip(NEXT) | instid1(VALU_DEP_3)
	v_fma_f64 v[25:26], v[27:28], v[25:26], s[72:73]
	v_add_f64 v[49:50], v[29:30], -v[49:50]
	s_delay_alu instid0(VALU_DEP_3) | instskip(SKIP_1) | instid1(VALU_DEP_4)
	v_add_f64 v[45:46], v[29:30], v[43:44]
	v_add_f64 v[47:48], v[43:44], -v[47:48]
	v_fma_f64 v[25:26], v[27:28], v[25:26], s[74:75]
	s_delay_alu instid0(VALU_DEP_4) | instskip(NEXT) | instid1(VALU_DEP_4)
	v_add_f64 v[31:32], v[31:32], -v[49:50]
	v_add_f64 v[51:52], v[45:46], -v[29:30]
	s_delay_alu instid0(VALU_DEP_4) | instskip(NEXT) | instid1(VALU_DEP_4)
	v_add_f64 v[21:22], v[21:22], -v[47:48]
	v_fma_f64 v[25:26], v[27:28], v[25:26], s[76:77]
	s_delay_alu instid0(VALU_DEP_3) | instskip(SKIP_1) | instid1(VALU_DEP_4)
	v_add_f64 v[53:54], v[45:46], -v[51:52]
	v_add_f64 v[43:44], v[43:44], -v[51:52]
	v_add_f64 v[47:48], v[31:32], v[21:22]
	s_delay_alu instid0(VALU_DEP_4) | instskip(NEXT) | instid1(VALU_DEP_4)
	v_fma_f64 v[25:26], v[27:28], v[25:26], s[78:79]
	v_add_f64 v[29:30], v[29:30], -v[53:54]
	s_delay_alu instid0(VALU_DEP_2) | instskip(NEXT) | instid1(VALU_DEP_2)
	v_fma_f64 v[25:26], v[27:28], v[25:26], s[80:81]
	v_add_f64 v[29:30], v[43:44], v[29:30]
	v_add_f64 v[43:44], v[47:48], -v[31:32]
	s_delay_alu instid0(VALU_DEP_3) | instskip(NEXT) | instid1(VALU_DEP_3)
	v_fma_f64 v[25:26], v[27:28], v[25:26], s[82:83]
	v_add_f64 v[29:30], v[47:48], v[29:30]
	s_delay_alu instid0(VALU_DEP_3) | instskip(SKIP_1) | instid1(VALU_DEP_4)
	v_add_f64 v[47:48], v[47:48], -v[43:44]
	v_add_f64 v[21:22], v[21:22], -v[43:44]
	v_fma_f64 v[25:26], v[27:28], v[25:26], s[84:85]
	s_delay_alu instid0(VALU_DEP_4) | instskip(NEXT) | instid1(VALU_DEP_2)
	v_add_f64 v[49:50], v[45:46], v[29:30]
	v_mul_f64 v[25:26], v[27:28], v[25:26]
	v_add_f64 v[27:28], v[31:32], -v[47:48]
	s_delay_alu instid0(VALU_DEP_3) | instskip(NEXT) | instid1(VALU_DEP_3)
	v_add_f64 v[31:32], v[49:50], -v[45:46]
	v_fma_f64 v[23:24], v[23:24], v[25:26], v[23:24]
	s_delay_alu instid0(VALU_DEP_3) | instskip(NEXT) | instid1(VALU_DEP_3)
	v_add_f64 v[21:22], v[21:22], v[27:28]
	v_add_f64 v[25:26], v[29:30], -v[31:32]
	s_delay_alu instid0(VALU_DEP_3) | instskip(NEXT) | instid1(VALU_DEP_2)
	v_add_f64 v[27:28], -v[23:24], s[86:87]
	v_add_f64 v[21:22], v[21:22], v[25:26]
	s_delay_alu instid0(VALU_DEP_2) | instskip(NEXT) | instid1(VALU_DEP_3)
	v_cndmask_b32_e64 v24, v24, v28, s4
	v_cndmask_b32_e64 v23, v23, v27, s4
	;; [unrolled: 1-line block ×3, first 2 shown]
	s_delay_alu instid0(VALU_DEP_2) | instskip(SKIP_2) | instid1(VALU_DEP_3)
	v_add_f64 v[25:26], -v[23:24], s[14:15]
	v_add_f64 v[21:22], v[49:50], v[21:22]
	v_and_b32_e32 v28, 0x54442d18, v7
	v_cndmask_b32_e64 v23, v23, v25, s5
	s_delay_alu instid0(VALU_DEP_3) | instskip(SKIP_1) | instid1(VALU_DEP_3)
	v_dual_cndmask_b32 v1, v21, v5 :: v_dual_cndmask_b32 v2, v22, v6
	v_cndmask_b32_e64 v5, v24, v26, s5
	v_cndmask_b32_e64 v6, v23, v28, s6
	s_and_b32 vcc_lo, s9, s10
                                        ; implicit-def: $vgpr25_vgpr26
	s_delay_alu instid0(VALU_DEP_3) | instskip(SKIP_3) | instid1(VALU_DEP_3)
	v_mul_f64 v[21:22], v[1:2], 0.5
	v_cndmask_b32_e64 v1, 0x3fe921fb, v60, s5
	v_and_b32_e32 v2, 0x400921fb, v7
	v_cndmask_b32_e32 v23, v6, v27, vcc_lo
	v_bfi_b32 v1, 0x7fffffff, v1, v4
	s_delay_alu instid0(VALU_DEP_3) | instskip(NEXT) | instid1(VALU_DEP_1)
	v_cndmask_b32_e64 v2, v5, v2, s6
	v_cndmask_b32_e32 v24, v2, v1, vcc_lo
.LBB168_208:                            ;   in Loop: Header=BB168_145 Depth=1
	s_and_not1_saveexec_b32 s6, s8
	s_cbranch_execz .LBB168_210
; %bb.209:                              ;   in Loop: Header=BB168_145 Depth=1
	v_max_f64 v[5:6], |v[3:4]|, |v[3:4]|
	v_max_f64 v[21:22], |v[1:2]|, |v[1:2]|
	s_mov_b32 s14, s86
	v_cmp_eq_f64_e64 s5, 0, v[3:4]
	v_cmp_class_f64_e64 s8, v[3:4], 0x204
	v_cmp_class_f64_e64 s9, v[1:2], 0x204
	v_ashrrev_i32_e32 v7, 31, v2
	v_max_f64 v[23:24], v[21:22], v[5:6]
	v_min_f64 v[5:6], v[21:22], v[5:6]
	s_delay_alu instid0(VALU_DEP_1) | instskip(SKIP_1) | instid1(VALU_DEP_2)
	v_div_scale_f64 v[21:22], null, v[23:24], v[23:24], v[5:6]
	v_div_scale_f64 v[31:32], vcc_lo, v[5:6], v[23:24], v[5:6]
	v_rcp_f64_e32 v[27:28], v[21:22]
	s_waitcnt_depctr 0xfff
	v_fma_f64 v[29:30], -v[21:22], v[27:28], 1.0
	s_delay_alu instid0(VALU_DEP_1) | instskip(NEXT) | instid1(VALU_DEP_1)
	v_fma_f64 v[27:28], v[27:28], v[29:30], v[27:28]
	v_fma_f64 v[29:30], -v[21:22], v[27:28], 1.0
	s_delay_alu instid0(VALU_DEP_1) | instskip(NEXT) | instid1(VALU_DEP_1)
	v_fma_f64 v[27:28], v[27:28], v[29:30], v[27:28]
	v_mul_f64 v[29:30], v[31:32], v[27:28]
	s_delay_alu instid0(VALU_DEP_1) | instskip(NEXT) | instid1(VALU_DEP_1)
	v_fma_f64 v[21:22], -v[21:22], v[29:30], v[31:32]
	v_div_fmas_f64 v[21:22], v[21:22], v[27:28], v[29:30]
	v_mul_f64 v[27:28], v[25:26], 0.5
	v_cmp_gt_i32_e32 vcc_lo, 0, v2
	v_cndmask_b32_e32 v29, 0x54442d18, v59, vcc_lo
	v_cndmask_b32_e32 v1, 0x3fe921fb, v60, vcc_lo
	s_delay_alu instid0(VALU_DEP_1) | instskip(SKIP_1) | instid1(VALU_DEP_1)
	v_bfi_b32 v1, 0x7fffffff, v1, v4
	v_div_fixup_f64 v[5:6], v[21:22], v[23:24], v[5:6]
	v_mul_f64 v[21:22], v[5:6], v[5:6]
	s_delay_alu instid0(VALU_DEP_1) | instskip(NEXT) | instid1(VALU_DEP_1)
	v_fma_f64 v[23:24], v[21:22], s[48:49], s[46:47]
	v_fma_f64 v[23:24], v[21:22], v[23:24], s[50:51]
	s_delay_alu instid0(VALU_DEP_1) | instskip(NEXT) | instid1(VALU_DEP_1)
	v_fma_f64 v[23:24], v[21:22], v[23:24], s[52:53]
	v_fma_f64 v[23:24], v[21:22], v[23:24], s[54:55]
	;; [unrolled: 3-line block ×9, first 2 shown]
	s_delay_alu instid0(VALU_DEP_1) | instskip(NEXT) | instid1(VALU_DEP_1)
	v_fma_f64 v[23:24], v[21:22], v[23:24], s[84:85]
	v_mul_f64 v[21:22], v[21:22], v[23:24]
	s_delay_alu instid0(VALU_DEP_1) | instskip(NEXT) | instid1(VALU_DEP_1)
	v_fma_f64 v[5:6], v[5:6], v[21:22], v[5:6]
	v_add_f64 v[21:22], -v[5:6], s[86:87]
	s_delay_alu instid0(VALU_DEP_1) | instskip(NEXT) | instid1(VALU_DEP_2)
	v_cndmask_b32_e64 v6, v6, v22, s4
	v_cndmask_b32_e64 v5, v5, v21, s4
	s_delay_alu instid0(VALU_DEP_1) | instskip(NEXT) | instid1(VALU_DEP_1)
	v_add_f64 v[22:23], -v[5:6], s[14:15]
	v_dual_cndmask_b32 v5, v5, v22 :: v_dual_and_b32 v24, 0x54442d18, v7
	v_mul_f64 v[21:22], v[25:26], v[27:28]
	s_delay_alu instid0(VALU_DEP_3) | instskip(SKIP_1) | instid1(VALU_DEP_3)
	v_cndmask_b32_e32 v6, v6, v23, vcc_lo
	s_and_b32 vcc_lo, s8, s9
	v_cndmask_b32_e64 v5, v5, v24, s5
	s_delay_alu instid0(VALU_DEP_1) | instskip(NEXT) | instid1(VALU_DEP_1)
	v_dual_cndmask_b32 v23, v5, v29 :: v_dual_and_b32 v2, 0x400921fb, v7
	v_cndmask_b32_e64 v2, v6, v2, s5
	s_delay_alu instid0(VALU_DEP_1)
	v_cndmask_b32_e32 v24, v2, v1, vcc_lo
.LBB168_210:                            ;   in Loop: Header=BB168_145 Depth=1
	s_or_b32 exec_lo, exec_lo, s6
.LBB168_211:                            ;   in Loop: Header=BB168_145 Depth=1
	s_delay_alu instid0(SALU_CYCLE_1)
	s_or_b32 exec_lo, exec_lo, s7
.LBB168_212:                            ;   in Loop: Header=BB168_145 Depth=1
	s_and_not1_saveexec_b32 s7, s88
	s_cbranch_execz .LBB168_214
; %bb.213:                              ;   in Loop: Header=BB168_145 Depth=1
	v_div_scale_f64 v[5:6], null, s[92:93], s[92:93], v[1:2]
	v_div_scale_f64 v[21:22], null, s[92:93], s[92:93], v[3:4]
	v_div_scale_f64 v[31:32], vcc_lo, v[1:2], s[92:93], v[1:2]
	v_max_f64 v[45:46], |v[1:2]|, |v[1:2]|
	s_mov_b32 s97, s25
	s_mov_b32 s14, s86
	s_delay_alu instid0(VALU_DEP_4) | instskip(NEXT) | instid1(VALU_DEP_3)
	v_rcp_f64_e32 v[23:24], v[5:6]
	v_rcp_f64_e32 v[25:26], v[21:22]
	s_waitcnt_depctr 0xfff
	v_fma_f64 v[27:28], -v[5:6], v[23:24], 1.0
	v_fma_f64 v[29:30], -v[21:22], v[25:26], 1.0
	s_delay_alu instid0(VALU_DEP_2) | instskip(NEXT) | instid1(VALU_DEP_2)
	v_fma_f64 v[23:24], v[23:24], v[27:28], v[23:24]
	v_fma_f64 v[25:26], v[25:26], v[29:30], v[25:26]
	s_delay_alu instid0(VALU_DEP_2) | instskip(NEXT) | instid1(VALU_DEP_2)
	v_fma_f64 v[27:28], -v[5:6], v[23:24], 1.0
	v_fma_f64 v[29:30], -v[21:22], v[25:26], 1.0
	s_delay_alu instid0(VALU_DEP_2) | instskip(SKIP_1) | instid1(VALU_DEP_3)
	v_fma_f64 v[23:24], v[23:24], v[27:28], v[23:24]
	v_div_scale_f64 v[27:28], s5, v[3:4], s[92:93], v[3:4]
	v_fma_f64 v[25:26], v[25:26], v[29:30], v[25:26]
	s_delay_alu instid0(VALU_DEP_3) | instskip(NEXT) | instid1(VALU_DEP_2)
	v_mul_f64 v[29:30], v[31:32], v[23:24]
	v_mul_f64 v[43:44], v[27:28], v[25:26]
	s_delay_alu instid0(VALU_DEP_2) | instskip(NEXT) | instid1(VALU_DEP_2)
	v_fma_f64 v[5:6], -v[5:6], v[29:30], v[31:32]
	v_fma_f64 v[21:22], -v[21:22], v[43:44], v[27:28]
	s_delay_alu instid0(VALU_DEP_2) | instskip(SKIP_1) | instid1(VALU_DEP_2)
	v_div_fmas_f64 v[5:6], v[5:6], v[23:24], v[29:30]
	s_mov_b32 vcc_lo, s5
	v_div_fmas_f64 v[21:22], v[21:22], v[25:26], v[43:44]
	s_delay_alu instid0(VALU_DEP_2) | instskip(NEXT) | instid1(VALU_DEP_2)
	v_div_fixup_f64 v[5:6], v[5:6], s[92:93], v[1:2]
	v_div_fixup_f64 v[21:22], v[21:22], s[92:93], v[3:4]
	s_delay_alu instid0(VALU_DEP_2) | instskip(NEXT) | instid1(VALU_DEP_2)
	v_cmp_class_f64_e64 s6, v[5:6], 0x204
	v_max_f64 v[23:24], |v[5:6]|, |v[21:22]|
	v_cmp_o_f64_e64 s5, v[5:6], v[21:22]
	v_cmp_class_f64_e64 s8, v[21:22], 0x204
	s_delay_alu instid0(VALU_DEP_3) | instskip(NEXT) | instid1(VALU_DEP_2)
	v_frexp_exp_i32_f64_e32 v7, v[23:24]
	s_or_b32 s8, s8, s6
	s_delay_alu instid0(VALU_DEP_1) | instskip(NEXT) | instid1(VALU_DEP_1)
	v_sub_nc_u32_e32 v25, 0, v7
	v_ldexp_f64 v[23:24], |v[21:22]|, v25
	v_ldexp_f64 v[25:26], |v[5:6]|, v25
	s_delay_alu instid0(VALU_DEP_2) | instskip(NEXT) | instid1(VALU_DEP_1)
	v_mul_f64 v[23:24], v[23:24], v[23:24]
	v_fma_f64 v[23:24], v[25:26], v[25:26], v[23:24]
	s_delay_alu instid0(VALU_DEP_1) | instskip(SKIP_4) | instid1(VALU_DEP_1)
	v_rsq_f64_e32 v[25:26], v[23:24]
	v_cmp_eq_f64_e32 vcc_lo, 0, v[23:24]
	s_waitcnt_depctr 0xfff
	v_mul_f64 v[27:28], v[23:24], v[25:26]
	v_mul_f64 v[25:26], v[25:26], 0.5
	v_fma_f64 v[29:30], -v[25:26], v[27:28], 0.5
	s_delay_alu instid0(VALU_DEP_1) | instskip(SKIP_1) | instid1(VALU_DEP_2)
	v_fma_f64 v[27:28], v[27:28], v[29:30], v[27:28]
	v_fma_f64 v[25:26], v[25:26], v[29:30], v[25:26]
	v_fma_f64 v[29:30], -v[27:28], v[27:28], v[23:24]
	s_delay_alu instid0(VALU_DEP_1) | instskip(NEXT) | instid1(VALU_DEP_1)
	v_fma_f64 v[25:26], v[29:30], v[25:26], v[27:28]
	v_dual_cndmask_b32 v24, v26, v24 :: v_dual_cndmask_b32 v23, v25, v23
	s_delay_alu instid0(VALU_DEP_1) | instskip(NEXT) | instid1(VALU_DEP_1)
	v_ldexp_f64 v[23:24], v[23:24], v7
	v_cndmask_b32_e64 v7, 0, v23, s5
	s_delay_alu instid0(VALU_DEP_2) | instskip(NEXT) | instid1(VALU_DEP_2)
	v_cndmask_b32_e64 v57, 0x7ff80000, v24, s5
	v_cndmask_b32_e64 v5, v7, 0, s8
	s_delay_alu instid0(VALU_DEP_2) | instskip(NEXT) | instid1(VALU_DEP_1)
	v_cndmask_b32_e64 v6, v57, 0x7ff00000, s8
	v_frexp_mant_f64_e32 v[21:22], v[5:6]
	s_delay_alu instid0(VALU_DEP_1) | instskip(NEXT) | instid1(VALU_DEP_1)
	v_cmp_gt_f64_e64 s6, s[24:25], v[21:22]
	v_cndmask_b32_e64 v34, 0x3ff00000, 2.0, s6
	s_delay_alu instid0(VALU_DEP_1) | instskip(SKIP_1) | instid1(VALU_DEP_2)
	v_mul_f64 v[21:22], v[21:22], v[33:34]
	v_frexp_exp_i32_f64_e32 v34, v[5:6]
	v_add_f64 v[25:26], v[21:22], 1.0
	v_add_f64 v[31:32], v[21:22], -1.0
	s_delay_alu instid0(VALU_DEP_2) | instskip(SKIP_1) | instid1(VALU_DEP_1)
	v_rcp_f64_e32 v[27:28], v[25:26]
	v_add_f64 v[47:48], v[25:26], -1.0
	v_add_f64 v[21:22], v[21:22], -v[47:48]
	s_waitcnt_depctr 0xfff
	v_fma_f64 v[29:30], -v[25:26], v[27:28], 1.0
	s_delay_alu instid0(VALU_DEP_1) | instskip(NEXT) | instid1(VALU_DEP_1)
	v_fma_f64 v[27:28], v[29:30], v[27:28], v[27:28]
	v_fma_f64 v[29:30], -v[25:26], v[27:28], 1.0
	s_delay_alu instid0(VALU_DEP_1) | instskip(SKIP_1) | instid1(VALU_DEP_2)
	v_fma_f64 v[27:28], v[29:30], v[27:28], v[27:28]
	v_max_f64 v[29:30], |v[3:4]|, |v[3:4]|
	v_mul_f64 v[43:44], v[31:32], v[27:28]
	s_delay_alu instid0(VALU_DEP_2) | instskip(SKIP_1) | instid1(VALU_DEP_3)
	v_max_f64 v[51:52], v[45:46], v[29:30]
	v_min_f64 v[29:30], v[45:46], v[29:30]
	v_mul_f64 v[49:50], v[25:26], v[43:44]
	s_delay_alu instid0(VALU_DEP_2) | instskip(NEXT) | instid1(VALU_DEP_2)
	v_div_scale_f64 v[45:46], null, v[51:52], v[51:52], v[29:30]
	v_fma_f64 v[25:26], v[43:44], v[25:26], -v[49:50]
	s_delay_alu instid0(VALU_DEP_1) | instskip(NEXT) | instid1(VALU_DEP_3)
	v_fma_f64 v[21:22], v[43:44], v[21:22], v[25:26]
	v_rcp_f64_e32 v[25:26], v[45:46]
	s_delay_alu instid0(VALU_DEP_1) | instskip(SKIP_4) | instid1(VALU_DEP_3)
	v_add_f64 v[47:48], v[49:50], v[21:22]
	s_waitcnt_depctr 0xfff
	v_fma_f64 v[53:54], -v[45:46], v[25:26], 1.0
	v_add_f64 v[55:56], v[31:32], -v[47:48]
	v_add_f64 v[49:50], v[47:48], -v[49:50]
	v_fma_f64 v[25:26], v[25:26], v[53:54], v[25:26]
	s_delay_alu instid0(VALU_DEP_3) | instskip(NEXT) | instid1(VALU_DEP_3)
	v_add_f64 v[31:32], v[31:32], -v[55:56]
	v_add_f64 v[21:22], v[49:50], -v[21:22]
	s_delay_alu instid0(VALU_DEP_3) | instskip(NEXT) | instid1(VALU_DEP_3)
	v_fma_f64 v[53:54], -v[45:46], v[25:26], 1.0
	v_add_f64 v[31:32], v[31:32], -v[47:48]
	v_div_scale_f64 v[47:48], vcc_lo, v[29:30], v[51:52], v[29:30]
	s_delay_alu instid0(VALU_DEP_3) | instskip(NEXT) | instid1(VALU_DEP_3)
	v_fma_f64 v[25:26], v[25:26], v[53:54], v[25:26]
	v_add_f64 v[21:22], v[21:22], v[31:32]
	s_delay_alu instid0(VALU_DEP_2) | instskip(NEXT) | instid1(VALU_DEP_2)
	v_mul_f64 v[31:32], v[47:48], v[25:26]
	v_add_f64 v[21:22], v[55:56], v[21:22]
	s_delay_alu instid0(VALU_DEP_2) | instskip(NEXT) | instid1(VALU_DEP_2)
	v_fma_f64 v[45:46], -v[45:46], v[31:32], v[47:48]
	v_mul_f64 v[21:22], v[27:28], v[21:22]
	s_delay_alu instid0(VALU_DEP_2) | instskip(SKIP_2) | instid1(VALU_DEP_4)
	v_div_fmas_f64 v[25:26], v[45:46], v[25:26], v[31:32]
	v_subrev_co_ci_u32_e64 v34, vcc_lo, 0, v34, s6
	v_cmp_class_f64_e64 s6, v[1:2], 0x204
	v_add_f64 v[27:28], v[43:44], v[21:22]
	s_delay_alu instid0(VALU_DEP_4) | instskip(NEXT) | instid1(VALU_DEP_2)
	v_div_fixup_f64 v[25:26], v[25:26], v[51:52], v[29:30]
	v_mul_f64 v[29:30], v[27:28], v[27:28]
	s_delay_alu instid0(VALU_DEP_2) | instskip(NEXT) | instid1(VALU_DEP_2)
	v_mul_f64 v[31:32], v[25:26], v[25:26]
	v_fma_f64 v[45:46], v[29:30], s[28:29], s[26:27]
	v_mul_f64 v[49:50], v[27:28], v[29:30]
	s_delay_alu instid0(VALU_DEP_3) | instskip(NEXT) | instid1(VALU_DEP_3)
	v_fma_f64 v[47:48], v[31:32], s[48:49], s[46:47]
	v_fma_f64 v[45:46], v[29:30], v[45:46], s[34:35]
	s_delay_alu instid0(VALU_DEP_2) | instskip(NEXT) | instid1(VALU_DEP_2)
	v_fma_f64 v[47:48], v[31:32], v[47:48], s[50:51]
	v_fma_f64 v[45:46], v[29:30], v[45:46], s[36:37]
	s_delay_alu instid0(VALU_DEP_2) | instskip(NEXT) | instid1(VALU_DEP_2)
	;; [unrolled: 3-line block ×4, first 2 shown]
	v_fma_f64 v[47:48], v[31:32], v[47:48], s[56:57]
	v_fma_f64 v[29:30], v[29:30], v[45:46], s[96:97]
	s_delay_alu instid0(VALU_DEP_2) | instskip(SKIP_2) | instid1(VALU_DEP_4)
	v_fma_f64 v[45:46], v[31:32], v[47:48], s[58:59]
	v_ldexp_f64 v[47:48], v[27:28], 1
	v_add_f64 v[27:28], v[27:28], -v[43:44]
	v_mul_f64 v[29:30], v[49:50], v[29:30]
	v_cvt_f64_i32_e32 v[49:50], v34
	v_fma_f64 v[45:46], v[31:32], v[45:46], s[60:61]
	s_delay_alu instid0(VALU_DEP_4) | instskip(NEXT) | instid1(VALU_DEP_4)
	v_add_f64 v[21:22], v[21:22], -v[27:28]
	v_add_f64 v[43:44], v[47:48], v[29:30]
	s_delay_alu instid0(VALU_DEP_4) | instskip(NEXT) | instid1(VALU_DEP_4)
	v_mul_f64 v[51:52], v[49:50], s[42:43]
	v_fma_f64 v[45:46], v[31:32], v[45:46], s[62:63]
	s_delay_alu instid0(VALU_DEP_4) | instskip(NEXT) | instid1(VALU_DEP_4)
	v_ldexp_f64 v[21:22], v[21:22], 1
	v_add_f64 v[27:28], v[43:44], -v[47:48]
	s_delay_alu instid0(VALU_DEP_4) | instskip(NEXT) | instid1(VALU_DEP_4)
	v_fma_f64 v[47:48], v[49:50], s[42:43], -v[51:52]
	v_fma_f64 v[45:46], v[31:32], v[45:46], s[64:65]
	s_delay_alu instid0(VALU_DEP_3) | instskip(NEXT) | instid1(VALU_DEP_2)
	v_add_f64 v[27:28], v[29:30], -v[27:28]
	v_fma_f64 v[29:30], v[31:32], v[45:46], s[66:67]
	s_delay_alu instid0(VALU_DEP_4) | instskip(NEXT) | instid1(VALU_DEP_3)
	v_fma_f64 v[45:46], v[49:50], s[44:45], v[47:48]
	v_add_f64 v[21:22], v[21:22], v[27:28]
	s_delay_alu instid0(VALU_DEP_3) | instskip(NEXT) | instid1(VALU_DEP_3)
	v_fma_f64 v[27:28], v[31:32], v[29:30], s[68:69]
	v_add_f64 v[29:30], v[51:52], v[45:46]
	s_delay_alu instid0(VALU_DEP_3) | instskip(NEXT) | instid1(VALU_DEP_3)
	v_add_f64 v[47:48], v[43:44], v[21:22]
	v_fma_f64 v[27:28], v[31:32], v[27:28], s[70:71]
	s_delay_alu instid0(VALU_DEP_3) | instskip(NEXT) | instid1(VALU_DEP_3)
	v_add_f64 v[51:52], v[29:30], -v[51:52]
	v_add_f64 v[49:50], v[29:30], v[47:48]
	v_add_f64 v[43:44], v[47:48], -v[43:44]
	s_delay_alu instid0(VALU_DEP_4) | instskip(NEXT) | instid1(VALU_DEP_4)
	v_fma_f64 v[27:28], v[31:32], v[27:28], s[72:73]
	v_add_f64 v[45:46], v[45:46], -v[51:52]
	s_delay_alu instid0(VALU_DEP_4) | instskip(NEXT) | instid1(VALU_DEP_4)
	v_add_f64 v[53:54], v[49:50], -v[29:30]
	v_add_f64 v[21:22], v[21:22], -v[43:44]
	s_delay_alu instid0(VALU_DEP_4) | instskip(NEXT) | instid1(VALU_DEP_3)
	v_fma_f64 v[27:28], v[31:32], v[27:28], s[74:75]
	v_add_f64 v[55:56], v[49:50], -v[53:54]
	v_add_f64 v[43:44], v[47:48], -v[53:54]
	s_delay_alu instid0(VALU_DEP_4) | instskip(NEXT) | instid1(VALU_DEP_4)
	v_add_f64 v[47:48], v[45:46], v[21:22]
	v_fma_f64 v[27:28], v[31:32], v[27:28], s[76:77]
	s_delay_alu instid0(VALU_DEP_4) | instskip(NEXT) | instid1(VALU_DEP_2)
	v_add_f64 v[29:30], v[29:30], -v[55:56]
	v_fma_f64 v[27:28], v[31:32], v[27:28], s[78:79]
	s_delay_alu instid0(VALU_DEP_2) | instskip(SKIP_1) | instid1(VALU_DEP_3)
	v_add_f64 v[29:30], v[43:44], v[29:30]
	v_add_f64 v[43:44], v[47:48], -v[45:46]
	v_fma_f64 v[27:28], v[31:32], v[27:28], s[80:81]
	s_delay_alu instid0(VALU_DEP_3) | instskip(NEXT) | instid1(VALU_DEP_3)
	v_add_f64 v[29:30], v[47:48], v[29:30]
	v_add_f64 v[47:48], v[47:48], -v[43:44]
	v_add_f64 v[21:22], v[21:22], -v[43:44]
	s_delay_alu instid0(VALU_DEP_4) | instskip(NEXT) | instid1(VALU_DEP_4)
	v_fma_f64 v[27:28], v[31:32], v[27:28], s[82:83]
	v_add_f64 v[51:52], v[49:50], v[29:30]
	s_delay_alu instid0(VALU_DEP_4) | instskip(NEXT) | instid1(VALU_DEP_3)
	v_add_f64 v[43:44], v[45:46], -v[47:48]
	v_fma_f64 v[27:28], v[31:32], v[27:28], s[84:85]
	s_delay_alu instid0(VALU_DEP_3) | instskip(NEXT) | instid1(VALU_DEP_3)
	v_add_f64 v[45:46], v[51:52], -v[49:50]
	v_add_f64 v[21:22], v[21:22], v[43:44]
	s_delay_alu instid0(VALU_DEP_3) | instskip(NEXT) | instid1(VALU_DEP_3)
	v_mul_f64 v[27:28], v[31:32], v[27:28]
	v_add_f64 v[29:30], v[29:30], -v[45:46]
	s_delay_alu instid0(VALU_DEP_2) | instskip(NEXT) | instid1(VALU_DEP_2)
	v_fma_f64 v[25:26], v[25:26], v[27:28], v[25:26]
	v_add_f64 v[21:22], v[21:22], v[29:30]
	s_delay_alu instid0(VALU_DEP_2) | instskip(NEXT) | instid1(VALU_DEP_2)
	v_add_f64 v[27:28], -v[25:26], s[86:87]
	v_add_f64 v[21:22], v[51:52], v[21:22]
	v_and_b32_e32 v24, 0x7fffffff, v24
	s_delay_alu instid0(VALU_DEP_1) | instskip(NEXT) | instid1(VALU_DEP_4)
	v_cmp_eq_f64_e32 vcc_lo, 0x7ff00000, v[23:24]
	v_cndmask_b32_e64 v24, v26, v28, s4
	v_cndmask_b32_e64 v23, v25, v27, s4
	v_cmp_eq_f64_e64 s4, 0, v[3:4]
	v_ashrrev_i32_e32 v27, 31, v2
	s_delay_alu instid0(VALU_DEP_3)
	v_add_f64 v[25:26], -v[23:24], s[14:15]
	s_and_b32 vcc_lo, s5, vcc_lo
	v_cmp_class_f64_e64 s5, v[3:4], 0x204
	v_dual_cndmask_b32 v21, v21, v7 :: v_dual_cndmask_b32 v22, v22, v57
	v_cmp_gt_i32_e32 vcc_lo, 0, v2
	v_and_b32_e32 v28, 0x54442d18, v27
	v_and_b32_e32 v2, 0x400921fb, v27
	s_delay_alu instid0(VALU_DEP_4) | instskip(SKIP_4) | instid1(VALU_DEP_4)
	v_add_f64 v[21:22], v[21:22], 1.0
	v_dual_cndmask_b32 v23, v23, v25 :: v_dual_cndmask_b32 v24, v24, v26
	v_cndmask_b32_e32 v7, 0x54442d18, v59, vcc_lo
	v_cndmask_b32_e32 v1, 0x3fe921fb, v60, vcc_lo
	v_cmp_ngt_f64_e32 vcc_lo, 0, v[5:6]
	v_cndmask_b32_e64 v23, v23, v28, s4
	v_cndmask_b32_e64 v2, v24, v2, s4
	v_cmp_nge_f64_e64 s4, 0, v[5:6]
	v_bfi_b32 v1, 0x7fffffff, v1, v4
	v_cndmask_b32_e64 v21, v21, 0, s8
	v_cndmask_b32_e64 v22, v22, 0x7ff00000, s8
	s_delay_alu instid0(VALU_DEP_1) | instskip(SKIP_1) | instid1(VALU_DEP_3)
	v_cndmask_b32_e32 v22, 0x7ff80000, v22, vcc_lo
	s_and_b32 vcc_lo, s5, s6
	v_cndmask_b32_e64 v21, 0, v21, s4
	v_cmp_neq_f64_e64 s4, 0, v[5:6]
	v_dual_cndmask_b32 v24, v2, v1 :: v_dual_cndmask_b32 v23, v23, v7
	s_delay_alu instid0(VALU_DEP_2)
	v_cndmask_b32_e64 v22, 0xfff00000, v22, s4
.LBB168_214:                            ;   in Loop: Header=BB168_145 Depth=1
	s_or_b32 exec_lo, exec_lo, s7
.LBB168_215:                            ;   in Loop: Header=BB168_145 Depth=1
	s_and_not1_saveexec_b32 s4, vcc_hi
	s_cbranch_execz .LBB168_221
; %bb.216:                              ;   in Loop: Header=BB168_145 Depth=1
	v_cmp_ngt_f64_e64 s5, 0x20000000, |v[1:2]|
	v_cmp_ngt_f64_e64 s6, 0x20000000, |v[3:4]|
                                        ; implicit-def: $vgpr5_vgpr6
	s_delay_alu instid0(VALU_DEP_1) | instskip(NEXT) | instid1(SALU_CYCLE_1)
	s_or_b32 s5, s6, s5
	s_and_saveexec_b32 s6, s5
	s_delay_alu instid0(SALU_CYCLE_1)
	s_xor_b32 s5, exec_lo, s6
; %bb.217:                              ;   in Loop: Header=BB168_145 Depth=1
	v_mul_f64 v[1:2], v[1:2], v[1:2]
	s_delay_alu instid0(VALU_DEP_1)
	v_fma_f64 v[5:6], v[3:4], v[3:4], v[1:2]
; %bb.218:                              ;   in Loop: Header=BB168_145 Depth=1
	s_and_not1_saveexec_b32 s5, s5
; %bb.219:                              ;   in Loop: Header=BB168_145 Depth=1
	v_mul_f64 v[1:2], v[1:2], 4.0
	v_mul_f64 v[5:6], v[3:4], 4.0
	s_delay_alu instid0(VALU_DEP_2) | instskip(NEXT) | instid1(VALU_DEP_1)
	v_mul_f64 v[1:2], v[1:2], v[1:2]
	v_fma_f64 v[1:2], v[5:6], v[5:6], v[1:2]
	s_delay_alu instid0(VALU_DEP_1)
	v_ldexp_f64 v[5:6], v[1:2], -4
; %bb.220:                              ;   in Loop: Header=BB168_145 Depth=1
	s_or_b32 exec_lo, exec_lo, s5
	s_delay_alu instid0(VALU_DEP_1) | instskip(SKIP_2) | instid1(VALU_DEP_2)
	v_frexp_mant_f64_e32 v[1:2], v[5:6]
	s_mov_b32 s97, s25
	v_frexp_exp_i32_f64_e32 v3, v[5:6]
	v_cmp_gt_f64_e32 vcc_lo, s[24:25], v[1:2]
	v_cndmask_b32_e64 v34, 0x3ff00000, 2.0, vcc_lo
	s_delay_alu instid0(VALU_DEP_3) | instskip(SKIP_1) | instid1(VALU_DEP_3)
	v_subrev_co_ci_u32_e32 v3, vcc_lo, 0, v3, vcc_lo
	v_cmp_class_f64_e64 vcc_lo, v[5:6], 0x204
	v_mul_f64 v[1:2], v[1:2], v[33:34]
	s_delay_alu instid0(VALU_DEP_1) | instskip(SKIP_1) | instid1(VALU_DEP_2)
	v_add_f64 v[21:22], v[1:2], 1.0
	v_add_f64 v[27:28], v[1:2], -1.0
	v_rcp_f64_e32 v[23:24], v[21:22]
	v_add_f64 v[29:30], v[21:22], -1.0
	s_delay_alu instid0(VALU_DEP_1) | instskip(SKIP_2) | instid1(VALU_DEP_1)
	v_add_f64 v[1:2], v[1:2], -v[29:30]
	s_waitcnt_depctr 0xfff
	v_fma_f64 v[25:26], -v[21:22], v[23:24], 1.0
	v_fma_f64 v[23:24], v[25:26], v[23:24], v[23:24]
	s_delay_alu instid0(VALU_DEP_1) | instskip(NEXT) | instid1(VALU_DEP_1)
	v_fma_f64 v[25:26], -v[21:22], v[23:24], 1.0
	v_fma_f64 v[23:24], v[25:26], v[23:24], v[23:24]
	s_delay_alu instid0(VALU_DEP_1) | instskip(NEXT) | instid1(VALU_DEP_1)
	v_mul_f64 v[25:26], v[27:28], v[23:24]
	v_mul_f64 v[31:32], v[21:22], v[25:26]
	s_delay_alu instid0(VALU_DEP_1) | instskip(NEXT) | instid1(VALU_DEP_1)
	v_fma_f64 v[21:22], v[25:26], v[21:22], -v[31:32]
	v_fma_f64 v[1:2], v[25:26], v[1:2], v[21:22]
	s_delay_alu instid0(VALU_DEP_1) | instskip(NEXT) | instid1(VALU_DEP_1)
	v_add_f64 v[21:22], v[31:32], v[1:2]
	v_add_f64 v[29:30], v[27:28], -v[21:22]
	v_add_f64 v[31:32], v[21:22], -v[31:32]
	s_delay_alu instid0(VALU_DEP_2) | instskip(NEXT) | instid1(VALU_DEP_2)
	v_add_f64 v[27:28], v[27:28], -v[29:30]
	v_add_f64 v[1:2], v[31:32], -v[1:2]
	s_delay_alu instid0(VALU_DEP_2) | instskip(NEXT) | instid1(VALU_DEP_1)
	v_add_f64 v[21:22], v[27:28], -v[21:22]
	v_add_f64 v[1:2], v[1:2], v[21:22]
	s_delay_alu instid0(VALU_DEP_1) | instskip(NEXT) | instid1(VALU_DEP_1)
	v_add_f64 v[1:2], v[29:30], v[1:2]
	v_mul_f64 v[1:2], v[23:24], v[1:2]
	s_delay_alu instid0(VALU_DEP_1) | instskip(NEXT) | instid1(VALU_DEP_1)
	v_add_f64 v[21:22], v[25:26], v[1:2]
	v_mul_f64 v[23:24], v[21:22], v[21:22]
	s_delay_alu instid0(VALU_DEP_1) | instskip(SKIP_1) | instid1(VALU_DEP_2)
	v_fma_f64 v[27:28], v[23:24], s[28:29], s[26:27]
	v_mul_f64 v[29:30], v[21:22], v[23:24]
	v_fma_f64 v[27:28], v[23:24], v[27:28], s[34:35]
	s_delay_alu instid0(VALU_DEP_1) | instskip(NEXT) | instid1(VALU_DEP_1)
	v_fma_f64 v[27:28], v[23:24], v[27:28], s[36:37]
	v_fma_f64 v[27:28], v[23:24], v[27:28], s[38:39]
	s_delay_alu instid0(VALU_DEP_1) | instskip(NEXT) | instid1(VALU_DEP_1)
	v_fma_f64 v[27:28], v[23:24], v[27:28], s[40:41]
	v_fma_f64 v[23:24], v[23:24], v[27:28], s[96:97]
	v_ldexp_f64 v[27:28], v[21:22], 1
	v_add_f64 v[21:22], v[21:22], -v[25:26]
	s_delay_alu instid0(VALU_DEP_3) | instskip(SKIP_1) | instid1(VALU_DEP_3)
	v_mul_f64 v[23:24], v[29:30], v[23:24]
	v_cvt_f64_i32_e32 v[29:30], v3
	v_add_f64 v[1:2], v[1:2], -v[21:22]
	s_delay_alu instid0(VALU_DEP_3) | instskip(NEXT) | instid1(VALU_DEP_3)
	v_add_f64 v[25:26], v[27:28], v[23:24]
	v_mul_f64 v[31:32], v[29:30], s[42:43]
	s_delay_alu instid0(VALU_DEP_3) | instskip(NEXT) | instid1(VALU_DEP_3)
	v_ldexp_f64 v[1:2], v[1:2], 1
	v_add_f64 v[21:22], v[25:26], -v[27:28]
	s_delay_alu instid0(VALU_DEP_3) | instskip(NEXT) | instid1(VALU_DEP_2)
	v_fma_f64 v[27:28], v[29:30], s[42:43], -v[31:32]
	v_add_f64 v[21:22], v[23:24], -v[21:22]
	s_delay_alu instid0(VALU_DEP_2) | instskip(NEXT) | instid1(VALU_DEP_2)
	v_fma_f64 v[23:24], v[29:30], s[44:45], v[27:28]
	v_add_f64 v[1:2], v[1:2], v[21:22]
	s_delay_alu instid0(VALU_DEP_2) | instskip(NEXT) | instid1(VALU_DEP_2)
	v_add_f64 v[21:22], v[31:32], v[23:24]
	v_add_f64 v[27:28], v[25:26], v[1:2]
	s_delay_alu instid0(VALU_DEP_2) | instskip(NEXT) | instid1(VALU_DEP_2)
	v_add_f64 v[31:32], v[21:22], -v[31:32]
	v_add_f64 v[29:30], v[21:22], v[27:28]
	v_add_f64 v[25:26], v[27:28], -v[25:26]
	s_delay_alu instid0(VALU_DEP_3) | instskip(NEXT) | instid1(VALU_DEP_3)
	v_add_f64 v[23:24], v[23:24], -v[31:32]
	v_add_f64 v[43:44], v[29:30], -v[21:22]
	s_delay_alu instid0(VALU_DEP_3) | instskip(NEXT) | instid1(VALU_DEP_2)
	v_add_f64 v[1:2], v[1:2], -v[25:26]
	v_add_f64 v[45:46], v[29:30], -v[43:44]
	;; [unrolled: 1-line block ×3, first 2 shown]
	s_delay_alu instid0(VALU_DEP_3) | instskip(NEXT) | instid1(VALU_DEP_3)
	v_add_f64 v[27:28], v[23:24], v[1:2]
	v_add_f64 v[21:22], v[21:22], -v[45:46]
	s_delay_alu instid0(VALU_DEP_1) | instskip(NEXT) | instid1(VALU_DEP_3)
	v_add_f64 v[21:22], v[25:26], v[21:22]
	v_add_f64 v[25:26], v[27:28], -v[23:24]
	s_delay_alu instid0(VALU_DEP_2) | instskip(NEXT) | instid1(VALU_DEP_2)
	v_add_f64 v[21:22], v[27:28], v[21:22]
	v_add_f64 v[27:28], v[27:28], -v[25:26]
	v_add_f64 v[1:2], v[1:2], -v[25:26]
	s_delay_alu instid0(VALU_DEP_3) | instskip(NEXT) | instid1(VALU_DEP_3)
	v_add_f64 v[31:32], v[29:30], v[21:22]
	v_add_f64 v[23:24], v[23:24], -v[27:28]
	s_delay_alu instid0(VALU_DEP_2) | instskip(NEXT) | instid1(VALU_DEP_2)
	v_add_f64 v[25:26], v[31:32], -v[29:30]
	v_add_f64 v[1:2], v[1:2], v[23:24]
	v_mov_b32_e32 v23, 0
	v_mov_b32_e32 v24, 0x7ff80000
	s_delay_alu instid0(VALU_DEP_4) | instskip(NEXT) | instid1(VALU_DEP_1)
	v_add_f64 v[21:22], v[21:22], -v[25:26]
	v_add_f64 v[1:2], v[1:2], v[21:22]
	s_delay_alu instid0(VALU_DEP_1) | instskip(NEXT) | instid1(VALU_DEP_1)
	v_add_f64 v[1:2], v[31:32], v[1:2]
	v_dual_cndmask_b32 v1, v1, v5 :: v_dual_cndmask_b32 v2, v2, v6
	v_cmp_ngt_f64_e32 vcc_lo, 0, v[5:6]
	s_delay_alu instid0(VALU_DEP_2) | instskip(SKIP_1) | instid1(VALU_DEP_4)
	v_cndmask_b32_e32 v2, 0x7ff80000, v2, vcc_lo
	v_cmp_nge_f64_e32 vcc_lo, 0, v[5:6]
	v_cndmask_b32_e32 v21, 0, v1, vcc_lo
	v_cmp_neq_f64_e32 vcc_lo, 0, v[5:6]
	s_delay_alu instid0(VALU_DEP_4)
	v_cndmask_b32_e32 v22, 0xfff00000, v2, vcc_lo
.LBB168_221:                            ;   in Loop: Header=BB168_145 Depth=1
	s_or_b32 exec_lo, exec_lo, s4
                                        ; implicit-def: $vgpr25_vgpr26
	s_delay_alu instid0(SALU_CYCLE_1)
	s_mov_b32 s4, exec_lo
	v_cmpx_o_f64_e32 v[13:14], v[15:16]
	s_xor_b32 vcc_hi, exec_lo, s4
	s_cbranch_execz .LBB168_249
; %bb.222:                              ;   in Loop: Header=BB168_145 Depth=1
	v_cmp_lt_f64_e64 s4, |v[13:14]|, |v[15:16]|
	v_and_b32_e32 v1, 0x7fffffff, v14
	v_dual_mov_b32 v3, v15 :: v_dual_and_b32 v2, 0x7fffffff, v16
                                        ; implicit-def: $vgpr25_vgpr26
	s_mov_b32 s5, exec_lo
	s_delay_alu instid0(VALU_DEP_1) | instskip(NEXT) | instid1(VALU_DEP_2)
	v_cndmask_b32_e64 v6, v2, v1, s4
	v_cndmask_b32_e64 v5, v3, v13, s4
	s_delay_alu instid0(VALU_DEP_1)
	v_cmpx_nlt_f64_e32 s[18:19], v[5:6]
	s_xor_b32 s88, exec_lo, s5
	s_cbranch_execz .LBB168_246
; %bb.223:                              ;   in Loop: Header=BB168_145 Depth=1
	v_cndmask_b32_e64 v30, v1, v2, s4
	v_cndmask_b32_e64 v29, v13, v3, s4
                                        ; implicit-def: $vgpr25_vgpr26
	s_mov_b32 s5, exec_lo
	s_delay_alu instid0(VALU_DEP_1)
	v_cmpx_neq_f64_e32 1.0, v[29:30]
	s_xor_b32 s89, exec_lo, s5
	s_cbranch_execz .LBB168_239
; %bb.224:                              ;   in Loop: Header=BB168_145 Depth=1
	v_max_f64 v[1:2], v[5:6], v[5:6]
	v_max_f64 v[25:26], v[29:30], v[29:30]
	s_mov_b32 s6, 0xc57e649a
	s_mov_b32 s7, 0x4a511b0e
	s_delay_alu instid0(VALU_DEP_1) | instskip(SKIP_1) | instid1(VALU_DEP_2)
	v_min_f64 v[27:28], v[25:26], v[1:2]
	v_max_f64 v[1:2], v[25:26], v[1:2]
                                        ; implicit-def: $vgpr25_vgpr26
	v_cmp_ngt_f64_e32 vcc_lo, s[12:13], v[27:28]
	s_delay_alu instid0(VALU_DEP_2) | instskip(NEXT) | instid1(VALU_DEP_1)
	v_cmp_nlt_f64_e64 s5, s[6:7], v[1:2]
	s_and_b32 s5, s5, vcc_lo
	s_delay_alu instid0(SALU_CYCLE_1) | instskip(NEXT) | instid1(SALU_CYCLE_1)
	s_and_saveexec_b32 s6, s5
	s_xor_b32 s20, exec_lo, s6
	s_cbranch_execz .LBB168_236
; %bb.225:                              ;   in Loop: Header=BB168_145 Depth=1
                                        ; implicit-def: $vgpr25_vgpr26
	s_mov_b32 s5, exec_lo
	v_cmpx_le_f64_e32 1.0, v[29:30]
	s_xor_b32 s6, exec_lo, s5
	s_cbranch_execz .LBB168_227
; %bb.226:                              ;   in Loop: Header=BB168_145 Depth=1
	v_add_f64 v[1:2], v[29:30], -1.0
	v_add_f64 v[25:26], v[29:30], 1.0
	s_mov_b32 s97, s25
	s_mov_b32 s14, s86
	v_cmp_gt_i32_e64 s5, 0, v14
	v_cmp_class_f64_e64 s8, v[13:14], 0x204
	v_cmp_class_f64_e64 s7, v[15:16], 0x204
	s_delay_alu instid0(VALU_DEP_4) | instskip(NEXT) | instid1(VALU_DEP_1)
	v_mul_f64 v[1:2], v[1:2], v[25:26]
	v_fma_f64 v[1:2], v[5:6], v[5:6], v[1:2]
	s_delay_alu instid0(VALU_DEP_1) | instskip(NEXT) | instid1(VALU_DEP_1)
	v_add_f64 v[5:6], v[1:2], 1.0
	v_frexp_mant_f64_e32 v[25:26], v[5:6]
	v_frexp_exp_i32_f64_e32 v3, v[5:6]
	v_add_f64 v[27:28], v[5:6], -1.0
	s_delay_alu instid0(VALU_DEP_3) | instskip(NEXT) | instid1(VALU_DEP_2)
	v_cmp_gt_f64_e32 vcc_lo, s[24:25], v[25:26]
	v_add_f64 v[25:26], v[27:28], -v[5:6]
	v_add_f64 v[27:28], v[1:2], -v[27:28]
	v_subrev_co_ci_u32_e32 v3, vcc_lo, 0, v3, vcc_lo
	s_delay_alu instid0(VALU_DEP_3) | instskip(NEXT) | instid1(VALU_DEP_2)
	v_add_f64 v[25:26], v[25:26], 1.0
	v_sub_nc_u32_e32 v7, 0, v3
	s_delay_alu instid0(VALU_DEP_1) | instskip(NEXT) | instid1(VALU_DEP_3)
	v_ldexp_f64 v[5:6], v[5:6], v7
	v_add_f64 v[25:26], v[27:28], v[25:26]
	s_delay_alu instid0(VALU_DEP_2) | instskip(SKIP_1) | instid1(VALU_DEP_3)
	v_add_f64 v[29:30], v[5:6], 1.0
	v_add_f64 v[45:46], v[5:6], -1.0
	v_ldexp_f64 v[25:26], v[25:26], v7
	v_cndmask_b32_e64 v7, 0x54442d18, v59, s5
	s_delay_alu instid0(VALU_DEP_4) | instskip(NEXT) | instid1(VALU_DEP_4)
	v_add_f64 v[27:28], v[29:30], -1.0
	v_add_f64 v[47:48], v[45:46], 1.0
	s_delay_alu instid0(VALU_DEP_2) | instskip(NEXT) | instid1(VALU_DEP_2)
	v_add_f64 v[27:28], v[5:6], -v[27:28]
	v_add_f64 v[5:6], v[5:6], -v[47:48]
	s_delay_alu instid0(VALU_DEP_2) | instskip(NEXT) | instid1(VALU_DEP_2)
	v_add_f64 v[27:28], v[25:26], v[27:28]
	v_add_f64 v[5:6], v[25:26], v[5:6]
	s_delay_alu instid0(VALU_DEP_2) | instskip(NEXT) | instid1(VALU_DEP_2)
	v_add_f64 v[31:32], v[29:30], v[27:28]
	v_add_f64 v[47:48], v[45:46], v[5:6]
	s_delay_alu instid0(VALU_DEP_2) | instskip(SKIP_1) | instid1(VALU_DEP_2)
	v_rcp_f64_e32 v[43:44], v[31:32]
	v_add_f64 v[29:30], v[31:32], -v[29:30]
	v_add_f64 v[45:46], v[47:48], -v[45:46]
	s_delay_alu instid0(VALU_DEP_2) | instskip(SKIP_3) | instid1(VALU_DEP_2)
	v_add_f64 v[27:28], v[27:28], -v[29:30]
	s_waitcnt_depctr 0xfff
	v_fma_f64 v[49:50], -v[31:32], v[43:44], 1.0
	v_add_f64 v[5:6], v[5:6], -v[45:46]
	v_fma_f64 v[43:44], v[49:50], v[43:44], v[43:44]
	s_delay_alu instid0(VALU_DEP_1) | instskip(NEXT) | instid1(VALU_DEP_1)
	v_fma_f64 v[25:26], -v[31:32], v[43:44], 1.0
	v_fma_f64 v[25:26], v[25:26], v[43:44], v[43:44]
	s_delay_alu instid0(VALU_DEP_1) | instskip(NEXT) | instid1(VALU_DEP_1)
	v_mul_f64 v[43:44], v[47:48], v[25:26]
	v_mul_f64 v[49:50], v[31:32], v[43:44]
	s_delay_alu instid0(VALU_DEP_1) | instskip(NEXT) | instid1(VALU_DEP_1)
	v_fma_f64 v[29:30], v[43:44], v[31:32], -v[49:50]
	v_fma_f64 v[29:30], v[43:44], v[27:28], v[29:30]
	s_delay_alu instid0(VALU_DEP_1) | instskip(NEXT) | instid1(VALU_DEP_1)
	v_add_f64 v[51:52], v[49:50], v[29:30]
	v_add_f64 v[53:54], v[47:48], -v[51:52]
	v_add_f64 v[45:46], v[51:52], -v[49:50]
	v_max_f64 v[49:50], |v[15:16]|, |v[15:16]|
	s_delay_alu instid0(VALU_DEP_3) | instskip(NEXT) | instid1(VALU_DEP_3)
	v_add_f64 v[47:48], v[47:48], -v[53:54]
	v_add_f64 v[29:30], v[45:46], -v[29:30]
	s_delay_alu instid0(VALU_DEP_2) | instskip(SKIP_2) | instid1(VALU_DEP_1)
	v_add_f64 v[47:48], v[47:48], -v[51:52]
	v_max_f64 v[51:52], |v[13:14]|, |v[13:14]|
	v_cndmask_b32_e64 v13, 0x3fe921fb, v60, s5
	v_bfi_b32 v13, 0x7fffffff, v13, v16
	s_delay_alu instid0(VALU_DEP_4) | instskip(NEXT) | instid1(VALU_DEP_4)
	v_add_f64 v[5:6], v[5:6], v[47:48]
	v_max_f64 v[55:56], v[51:52], v[49:50]
	v_min_f64 v[49:50], v[51:52], v[49:50]
	s_delay_alu instid0(VALU_DEP_3) | instskip(NEXT) | instid1(VALU_DEP_1)
	v_add_f64 v[5:6], v[29:30], v[5:6]
	v_add_f64 v[29:30], v[53:54], v[5:6]
	s_delay_alu instid0(VALU_DEP_1) | instskip(SKIP_1) | instid1(VALU_DEP_2)
	v_mul_f64 v[45:46], v[25:26], v[29:30]
	v_add_f64 v[53:54], v[53:54], -v[29:30]
	v_mul_f64 v[47:48], v[31:32], v[45:46]
	s_delay_alu instid0(VALU_DEP_2) | instskip(NEXT) | instid1(VALU_DEP_2)
	v_add_f64 v[5:6], v[5:6], v[53:54]
	v_fma_f64 v[31:32], v[45:46], v[31:32], -v[47:48]
	s_delay_alu instid0(VALU_DEP_1) | instskip(SKIP_1) | instid1(VALU_DEP_2)
	v_fma_f64 v[27:28], v[45:46], v[27:28], v[31:32]
	v_div_scale_f64 v[31:32], null, v[55:56], v[55:56], v[49:50]
	v_add_f64 v[51:52], v[47:48], v[27:28]
	s_delay_alu instid0(VALU_DEP_2) | instskip(NEXT) | instid1(VALU_DEP_1)
	v_rcp_f64_e32 v[57:58], v[31:32]
	v_add_f64 v[61:62], v[29:30], -v[51:52]
	v_add_f64 v[47:48], v[51:52], -v[47:48]
	s_waitcnt_depctr 0xfff
	v_fma_f64 v[63:64], -v[31:32], v[57:58], 1.0
	v_add_f64 v[29:30], v[29:30], -v[61:62]
	v_add_f64 v[27:28], v[47:48], -v[27:28]
	s_delay_alu instid0(VALU_DEP_3) | instskip(NEXT) | instid1(VALU_DEP_3)
	v_fma_f64 v[57:58], v[57:58], v[63:64], v[57:58]
	v_add_f64 v[29:30], v[29:30], -v[51:52]
	s_delay_alu instid0(VALU_DEP_2) | instskip(NEXT) | instid1(VALU_DEP_2)
	v_fma_f64 v[51:52], -v[31:32], v[57:58], 1.0
	v_add_f64 v[5:6], v[5:6], v[29:30]
	v_div_scale_f64 v[29:30], vcc_lo, v[49:50], v[55:56], v[49:50]
	s_delay_alu instid0(VALU_DEP_3) | instskip(SKIP_1) | instid1(VALU_DEP_4)
	v_fma_f64 v[47:48], v[57:58], v[51:52], v[57:58]
	v_add_f64 v[51:52], v[43:44], v[45:46]
	v_add_f64 v[5:6], v[27:28], v[5:6]
	s_delay_alu instid0(VALU_DEP_3) | instskip(NEXT) | instid1(VALU_DEP_3)
	v_mul_f64 v[27:28], v[29:30], v[47:48]
	v_add_f64 v[43:44], v[51:52], -v[43:44]
	s_delay_alu instid0(VALU_DEP_3) | instskip(NEXT) | instid1(VALU_DEP_3)
	v_add_f64 v[5:6], v[61:62], v[5:6]
	v_fma_f64 v[29:30], -v[31:32], v[27:28], v[29:30]
	s_delay_alu instid0(VALU_DEP_3) | instskip(NEXT) | instid1(VALU_DEP_3)
	v_add_f64 v[31:32], v[45:46], -v[43:44]
	v_mul_f64 v[5:6], v[25:26], v[5:6]
	s_delay_alu instid0(VALU_DEP_3) | instskip(SKIP_1) | instid1(VALU_DEP_3)
	v_div_fmas_f64 v[25:26], v[29:30], v[47:48], v[27:28]
	v_cmp_eq_f64_e32 vcc_lo, 0x7ff00000, v[1:2]
	v_add_f64 v[5:6], v[31:32], v[5:6]
	s_delay_alu instid0(VALU_DEP_3) | instskip(NEXT) | instid1(VALU_DEP_2)
	v_div_fixup_f64 v[25:26], v[25:26], v[55:56], v[49:50]
	v_add_f64 v[27:28], v[51:52], v[5:6]
	s_delay_alu instid0(VALU_DEP_2) | instskip(NEXT) | instid1(VALU_DEP_2)
	v_mul_f64 v[29:30], v[25:26], v[25:26]
	v_mul_f64 v[31:32], v[27:28], v[27:28]
	s_delay_alu instid0(VALU_DEP_2) | instskip(NEXT) | instid1(VALU_DEP_2)
	v_fma_f64 v[43:44], v[29:30], s[48:49], s[46:47]
	v_fma_f64 v[45:46], v[31:32], s[28:29], s[26:27]
	v_mul_f64 v[47:48], v[27:28], v[31:32]
	s_delay_alu instid0(VALU_DEP_3) | instskip(NEXT) | instid1(VALU_DEP_3)
	v_fma_f64 v[43:44], v[29:30], v[43:44], s[50:51]
	v_fma_f64 v[45:46], v[31:32], v[45:46], s[34:35]
	s_delay_alu instid0(VALU_DEP_2) | instskip(NEXT) | instid1(VALU_DEP_2)
	v_fma_f64 v[43:44], v[29:30], v[43:44], s[52:53]
	v_fma_f64 v[45:46], v[31:32], v[45:46], s[36:37]
	s_delay_alu instid0(VALU_DEP_2) | instskip(NEXT) | instid1(VALU_DEP_2)
	;; [unrolled: 3-line block ×4, first 2 shown]
	v_fma_f64 v[43:44], v[29:30], v[43:44], s[58:59]
	v_fma_f64 v[31:32], v[31:32], v[45:46], s[96:97]
	v_ldexp_f64 v[45:46], v[27:28], 1
	v_add_f64 v[27:28], v[27:28], -v[51:52]
	s_delay_alu instid0(VALU_DEP_4) | instskip(NEXT) | instid1(VALU_DEP_4)
	v_fma_f64 v[43:44], v[29:30], v[43:44], s[60:61]
	v_mul_f64 v[31:32], v[47:48], v[31:32]
	v_cvt_f64_i32_e32 v[47:48], v3
	s_delay_alu instid0(VALU_DEP_4) | instskip(NEXT) | instid1(VALU_DEP_4)
	v_add_f64 v[5:6], v[5:6], -v[27:28]
	v_fma_f64 v[43:44], v[29:30], v[43:44], s[62:63]
	v_ashrrev_i32_e32 v3, 31, v14
	v_add_f64 v[49:50], v[45:46], v[31:32]
	v_mul_f64 v[51:52], v[47:48], s[42:43]
	v_ldexp_f64 v[5:6], v[5:6], 1
	v_fma_f64 v[43:44], v[29:30], v[43:44], s[64:65]
	s_delay_alu instid0(VALU_DEP_4) | instskip(NEXT) | instid1(VALU_DEP_4)
	v_add_f64 v[27:28], v[49:50], -v[45:46]
	v_fma_f64 v[45:46], v[47:48], s[42:43], -v[51:52]
	s_delay_alu instid0(VALU_DEP_3) | instskip(NEXT) | instid1(VALU_DEP_3)
	v_fma_f64 v[43:44], v[29:30], v[43:44], s[66:67]
	v_add_f64 v[27:28], v[31:32], -v[27:28]
	s_delay_alu instid0(VALU_DEP_2) | instskip(NEXT) | instid1(VALU_DEP_4)
	v_fma_f64 v[31:32], v[29:30], v[43:44], s[68:69]
	v_fma_f64 v[43:44], v[47:48], s[44:45], v[45:46]
	s_delay_alu instid0(VALU_DEP_3) | instskip(NEXT) | instid1(VALU_DEP_3)
	v_add_f64 v[5:6], v[5:6], v[27:28]
	v_fma_f64 v[27:28], v[29:30], v[31:32], s[70:71]
	s_delay_alu instid0(VALU_DEP_3) | instskip(NEXT) | instid1(VALU_DEP_3)
	v_add_f64 v[31:32], v[51:52], v[43:44]
	v_add_f64 v[45:46], v[49:50], v[5:6]
	s_delay_alu instid0(VALU_DEP_3) | instskip(NEXT) | instid1(VALU_DEP_3)
	v_fma_f64 v[27:28], v[29:30], v[27:28], s[72:73]
	v_add_f64 v[51:52], v[31:32], -v[51:52]
	s_delay_alu instid0(VALU_DEP_3) | instskip(SKIP_1) | instid1(VALU_DEP_4)
	v_add_f64 v[47:48], v[31:32], v[45:46]
	v_add_f64 v[49:50], v[45:46], -v[49:50]
	v_fma_f64 v[27:28], v[29:30], v[27:28], s[74:75]
	s_delay_alu instid0(VALU_DEP_4) | instskip(NEXT) | instid1(VALU_DEP_4)
	v_add_f64 v[43:44], v[43:44], -v[51:52]
	v_add_f64 v[53:54], v[47:48], -v[31:32]
	s_delay_alu instid0(VALU_DEP_4) | instskip(NEXT) | instid1(VALU_DEP_4)
	v_add_f64 v[5:6], v[5:6], -v[49:50]
	v_fma_f64 v[27:28], v[29:30], v[27:28], s[76:77]
	s_delay_alu instid0(VALU_DEP_3) | instskip(SKIP_1) | instid1(VALU_DEP_4)
	v_add_f64 v[55:56], v[47:48], -v[53:54]
	v_add_f64 v[45:46], v[45:46], -v[53:54]
	v_add_f64 v[49:50], v[43:44], v[5:6]
	s_delay_alu instid0(VALU_DEP_4) | instskip(NEXT) | instid1(VALU_DEP_4)
	v_fma_f64 v[27:28], v[29:30], v[27:28], s[78:79]
	v_add_f64 v[31:32], v[31:32], -v[55:56]
	s_delay_alu instid0(VALU_DEP_2) | instskip(NEXT) | instid1(VALU_DEP_2)
	v_fma_f64 v[27:28], v[29:30], v[27:28], s[80:81]
	v_add_f64 v[31:32], v[45:46], v[31:32]
	v_add_f64 v[45:46], v[49:50], -v[43:44]
	s_delay_alu instid0(VALU_DEP_3) | instskip(NEXT) | instid1(VALU_DEP_3)
	v_fma_f64 v[27:28], v[29:30], v[27:28], s[82:83]
	v_add_f64 v[31:32], v[49:50], v[31:32]
	s_delay_alu instid0(VALU_DEP_3) | instskip(SKIP_1) | instid1(VALU_DEP_4)
	v_add_f64 v[49:50], v[49:50], -v[45:46]
	v_add_f64 v[5:6], v[5:6], -v[45:46]
	v_fma_f64 v[27:28], v[29:30], v[27:28], s[84:85]
	s_delay_alu instid0(VALU_DEP_4) | instskip(NEXT) | instid1(VALU_DEP_2)
	v_add_f64 v[51:52], v[47:48], v[31:32]
	v_mul_f64 v[27:28], v[29:30], v[27:28]
	v_add_f64 v[29:30], v[43:44], -v[49:50]
	s_delay_alu instid0(VALU_DEP_3) | instskip(NEXT) | instid1(VALU_DEP_3)
	v_add_f64 v[43:44], v[51:52], -v[47:48]
	v_fma_f64 v[25:26], v[25:26], v[27:28], v[25:26]
	s_delay_alu instid0(VALU_DEP_3) | instskip(NEXT) | instid1(VALU_DEP_3)
	v_add_f64 v[5:6], v[5:6], v[29:30]
	v_add_f64 v[27:28], v[31:32], -v[43:44]
	s_delay_alu instid0(VALU_DEP_3) | instskip(NEXT) | instid1(VALU_DEP_2)
	v_add_f64 v[29:30], -v[25:26], s[86:87]
	v_add_f64 v[5:6], v[5:6], v[27:28]
	s_delay_alu instid0(VALU_DEP_2) | instskip(NEXT) | instid1(VALU_DEP_3)
	v_cndmask_b32_e64 v26, v26, v30, s4
	v_cndmask_b32_e64 v25, v25, v29, s4
	s_delay_alu instid0(VALU_DEP_1) | instskip(NEXT) | instid1(VALU_DEP_4)
	v_add_f64 v[27:28], -v[25:26], s[14:15]
	v_add_f64 v[5:6], v[51:52], v[5:6]
	v_and_b32_e32 v29, 0x54442d18, v3
	v_and_b32_e32 v3, 0x400921fb, v3
	s_delay_alu instid0(VALU_DEP_4) | instskip(SKIP_4) | instid1(VALU_DEP_2)
	v_cndmask_b32_e64 v25, v25, v27, s5
	v_cndmask_b32_e64 v14, v26, v28, s5
	v_cmp_nge_f64_e64 s5, -1.0, v[1:2]
	v_dual_cndmask_b32 v6, v6, v2 :: v_dual_cndmask_b32 v5, v5, v1
	v_cmp_eq_f64_e32 vcc_lo, 0, v[15:16]
	v_mul_f64 v[5:6], v[5:6], 0.5
	v_cndmask_b32_e32 v27, v25, v29, vcc_lo
	v_cndmask_b32_e32 v3, v14, v3, vcc_lo
	v_cmp_ngt_f64_e32 vcc_lo, -1.0, v[1:2]
                                        ; implicit-def: $vgpr29_vgpr30
	s_delay_alu instid0(VALU_DEP_4)
	v_cndmask_b32_e64 v25, 0, v5, s5
	v_cmp_neq_f64_e64 s5, -1.0, v[1:2]
	v_cndmask_b32_e32 v6, 0x7ff80000, v6, vcc_lo
	s_and_b32 vcc_lo, s7, s8
	v_cndmask_b32_e32 v28, v3, v13, vcc_lo
	v_cndmask_b32_e32 v27, v27, v7, vcc_lo
	s_delay_alu instid0(VALU_DEP_3)
	v_cndmask_b32_e64 v26, 0xfff00000, v6, s5
                                        ; implicit-def: $vgpr5_vgpr6
.LBB168_227:                            ;   in Loop: Header=BB168_145 Depth=1
	s_and_not1_saveexec_b32 s21, s6
	s_cbranch_execz .LBB168_235
; %bb.228:                              ;   in Loop: Header=BB168_145 Depth=1
	v_mul_f64 v[1:2], v[5:6], v[5:6]
	s_mov_b32 s6, 0x66666666
	s_mov_b32 s7, 0x3fe66666
                                        ; implicit-def: $vgpr25_vgpr26
	s_mov_b32 s5, exec_lo
	s_delay_alu instid0(VALU_DEP_1) | instskip(NEXT) | instid1(VALU_DEP_1)
	v_fma_f64 v[1:2], v[29:30], v[29:30], v[1:2]
	v_cmpx_ge_f64_e32 s[6:7], v[1:2]
	s_xor_b32 s7, exec_lo, s5
	s_cbranch_execz .LBB168_230
; %bb.229:                              ;   in Loop: Header=BB168_145 Depth=1
	v_frexp_mant_f64_e32 v[5:6], v[1:2]
	v_max_f64 v[43:44], |v[13:14]|, |v[13:14]|
	s_mov_b32 s97, s25
	v_frexp_exp_i32_f64_e32 v3, v[1:2]
	s_mov_b32 s14, s86
	v_cmp_class_f64_e64 s8, v[15:16], 0x204
	v_cmp_class_f64_e64 s9, v[13:14], 0x204
	v_cmp_neq_f64_e64 s6, 0, v[1:2]
	v_cmp_gt_f64_e64 s5, s[24:25], v[5:6]
	s_delay_alu instid0(VALU_DEP_1) | instskip(NEXT) | instid1(VALU_DEP_1)
	v_cndmask_b32_e64 v34, 0x3ff00000, 2.0, s5
	v_mul_f64 v[5:6], v[5:6], v[33:34]
	s_delay_alu instid0(VALU_DEP_1) | instskip(SKIP_1) | instid1(VALU_DEP_2)
	v_add_f64 v[25:26], v[5:6], 1.0
	v_add_f64 v[31:32], v[5:6], -1.0
	v_rcp_f64_e32 v[27:28], v[25:26]
	s_waitcnt_depctr 0xfff
	v_fma_f64 v[29:30], -v[25:26], v[27:28], 1.0
	s_delay_alu instid0(VALU_DEP_1) | instskip(NEXT) | instid1(VALU_DEP_1)
	v_fma_f64 v[27:28], v[29:30], v[27:28], v[27:28]
	v_fma_f64 v[29:30], -v[25:26], v[27:28], 1.0
	s_delay_alu instid0(VALU_DEP_1) | instskip(SKIP_1) | instid1(VALU_DEP_2)
	v_fma_f64 v[27:28], v[29:30], v[27:28], v[27:28]
	v_max_f64 v[29:30], |v[15:16]|, |v[15:16]|
	v_mul_f64 v[45:46], v[31:32], v[27:28]
	s_delay_alu instid0(VALU_DEP_2) | instskip(SKIP_2) | instid1(VALU_DEP_4)
	v_max_f64 v[47:48], v[43:44], v[29:30]
	v_min_f64 v[29:30], v[43:44], v[29:30]
	v_add_f64 v[43:44], v[25:26], -1.0
	v_mul_f64 v[49:50], v[25:26], v[45:46]
	s_delay_alu instid0(VALU_DEP_3) | instskip(NEXT) | instid1(VALU_DEP_3)
	v_div_scale_f64 v[51:52], null, v[47:48], v[47:48], v[29:30]
	v_add_f64 v[5:6], v[5:6], -v[43:44]
	v_div_scale_f64 v[57:58], vcc_lo, v[29:30], v[47:48], v[29:30]
	s_delay_alu instid0(VALU_DEP_4) | instskip(NEXT) | instid1(VALU_DEP_4)
	v_fma_f64 v[25:26], v[45:46], v[25:26], -v[49:50]
	v_rcp_f64_e32 v[43:44], v[51:52]
	s_delay_alu instid0(VALU_DEP_1) | instskip(SKIP_3) | instid1(VALU_DEP_2)
	v_fma_f64 v[5:6], v[45:46], v[5:6], v[25:26]
	s_waitcnt_depctr 0xfff
	v_fma_f64 v[25:26], -v[51:52], v[43:44], 1.0
	v_add_f64 v[53:54], v[49:50], v[5:6]
	v_fma_f64 v[25:26], v[43:44], v[25:26], v[43:44]
	s_delay_alu instid0(VALU_DEP_2) | instskip(SKIP_1) | instid1(VALU_DEP_3)
	v_add_f64 v[43:44], v[31:32], -v[53:54]
	v_add_f64 v[49:50], v[53:54], -v[49:50]
	v_fma_f64 v[55:56], -v[51:52], v[25:26], 1.0
	s_delay_alu instid0(VALU_DEP_3) | instskip(NEXT) | instid1(VALU_DEP_3)
	v_add_f64 v[31:32], v[31:32], -v[43:44]
	v_add_f64 v[5:6], v[49:50], -v[5:6]
	s_delay_alu instid0(VALU_DEP_3) | instskip(NEXT) | instid1(VALU_DEP_3)
	v_fma_f64 v[25:26], v[25:26], v[55:56], v[25:26]
	v_add_f64 v[31:32], v[31:32], -v[53:54]
	s_delay_alu instid0(VALU_DEP_2) | instskip(NEXT) | instid1(VALU_DEP_2)
	v_mul_f64 v[49:50], v[57:58], v[25:26]
	v_add_f64 v[5:6], v[5:6], v[31:32]
	s_delay_alu instid0(VALU_DEP_2) | instskip(NEXT) | instid1(VALU_DEP_2)
	v_fma_f64 v[31:32], -v[51:52], v[49:50], v[57:58]
	v_add_f64 v[5:6], v[43:44], v[5:6]
	s_delay_alu instid0(VALU_DEP_2)
	v_div_fmas_f64 v[25:26], v[31:32], v[25:26], v[49:50]
	v_subrev_co_ci_u32_e64 v3, vcc_lo, 0, v3, s5
	v_cmp_eq_f64_e64 s5, 0, v[15:16]
	v_cmp_gt_i32_e32 vcc_lo, 0, v14
	v_cndmask_b32_e32 v1, 0x3fe921fb, v60, vcc_lo
	v_cndmask_b32_e32 v7, 0x54442d18, v59, vcc_lo
	s_delay_alu instid0(VALU_DEP_2) | instskip(SKIP_2) | instid1(VALU_DEP_2)
	v_bfi_b32 v1, 0x7fffffff, v1, v16
	v_mul_f64 v[5:6], v[27:28], v[5:6]
	v_div_fixup_f64 v[25:26], v[25:26], v[47:48], v[29:30]
	v_add_f64 v[27:28], v[45:46], v[5:6]
	s_delay_alu instid0(VALU_DEP_2) | instskip(NEXT) | instid1(VALU_DEP_2)
	v_mul_f64 v[29:30], v[25:26], v[25:26]
	v_mul_f64 v[31:32], v[27:28], v[27:28]
	s_delay_alu instid0(VALU_DEP_2) | instskip(NEXT) | instid1(VALU_DEP_2)
	v_fma_f64 v[43:44], v[29:30], s[48:49], s[46:47]
	v_fma_f64 v[47:48], v[31:32], s[28:29], s[26:27]
	v_mul_f64 v[49:50], v[27:28], v[31:32]
	s_delay_alu instid0(VALU_DEP_3) | instskip(NEXT) | instid1(VALU_DEP_3)
	v_fma_f64 v[43:44], v[29:30], v[43:44], s[50:51]
	v_fma_f64 v[47:48], v[31:32], v[47:48], s[34:35]
	s_delay_alu instid0(VALU_DEP_2) | instskip(NEXT) | instid1(VALU_DEP_2)
	v_fma_f64 v[43:44], v[29:30], v[43:44], s[52:53]
	v_fma_f64 v[47:48], v[31:32], v[47:48], s[36:37]
	s_delay_alu instid0(VALU_DEP_2) | instskip(NEXT) | instid1(VALU_DEP_2)
	;; [unrolled: 3-line block ×4, first 2 shown]
	v_fma_f64 v[43:44], v[29:30], v[43:44], s[58:59]
	v_fma_f64 v[31:32], v[31:32], v[47:48], s[96:97]
	v_ldexp_f64 v[47:48], v[27:28], 1
	v_add_f64 v[27:28], v[27:28], -v[45:46]
	s_delay_alu instid0(VALU_DEP_4) | instskip(NEXT) | instid1(VALU_DEP_4)
	v_fma_f64 v[43:44], v[29:30], v[43:44], s[60:61]
	v_mul_f64 v[31:32], v[49:50], v[31:32]
	v_cvt_f64_i32_e32 v[49:50], v3
	s_delay_alu instid0(VALU_DEP_4)
	v_add_f64 v[5:6], v[5:6], -v[27:28]
	v_ashrrev_i32_e32 v3, 31, v14
	v_fma_f64 v[43:44], v[29:30], v[43:44], s[62:63]
	v_add_f64 v[45:46], v[47:48], v[31:32]
	v_mul_f64 v[51:52], v[49:50], s[42:43]
	v_ldexp_f64 v[5:6], v[5:6], 1
	s_delay_alu instid0(VALU_DEP_4) | instskip(NEXT) | instid1(VALU_DEP_4)
	v_fma_f64 v[43:44], v[29:30], v[43:44], s[64:65]
	v_add_f64 v[27:28], v[45:46], -v[47:48]
	s_delay_alu instid0(VALU_DEP_4) | instskip(NEXT) | instid1(VALU_DEP_3)
	v_fma_f64 v[47:48], v[49:50], s[42:43], -v[51:52]
	v_fma_f64 v[43:44], v[29:30], v[43:44], s[66:67]
	s_delay_alu instid0(VALU_DEP_3) | instskip(NEXT) | instid1(VALU_DEP_2)
	v_add_f64 v[27:28], v[31:32], -v[27:28]
	v_fma_f64 v[31:32], v[29:30], v[43:44], s[68:69]
	s_delay_alu instid0(VALU_DEP_4) | instskip(NEXT) | instid1(VALU_DEP_3)
	v_fma_f64 v[43:44], v[49:50], s[44:45], v[47:48]
	v_add_f64 v[5:6], v[5:6], v[27:28]
	s_delay_alu instid0(VALU_DEP_3) | instskip(NEXT) | instid1(VALU_DEP_3)
	v_fma_f64 v[27:28], v[29:30], v[31:32], s[70:71]
	v_add_f64 v[31:32], v[51:52], v[43:44]
	s_delay_alu instid0(VALU_DEP_3) | instskip(NEXT) | instid1(VALU_DEP_3)
	v_add_f64 v[47:48], v[45:46], v[5:6]
	v_fma_f64 v[27:28], v[29:30], v[27:28], s[72:73]
	s_delay_alu instid0(VALU_DEP_3) | instskip(NEXT) | instid1(VALU_DEP_3)
	v_add_f64 v[51:52], v[31:32], -v[51:52]
	v_add_f64 v[49:50], v[31:32], v[47:48]
	v_add_f64 v[45:46], v[47:48], -v[45:46]
	s_delay_alu instid0(VALU_DEP_4) | instskip(NEXT) | instid1(VALU_DEP_4)
	v_fma_f64 v[27:28], v[29:30], v[27:28], s[74:75]
	v_add_f64 v[43:44], v[43:44], -v[51:52]
	s_delay_alu instid0(VALU_DEP_4) | instskip(NEXT) | instid1(VALU_DEP_4)
	v_add_f64 v[53:54], v[49:50], -v[31:32]
	v_add_f64 v[5:6], v[5:6], -v[45:46]
	s_delay_alu instid0(VALU_DEP_4) | instskip(NEXT) | instid1(VALU_DEP_3)
	v_fma_f64 v[27:28], v[29:30], v[27:28], s[76:77]
	v_add_f64 v[55:56], v[49:50], -v[53:54]
	v_add_f64 v[45:46], v[47:48], -v[53:54]
	s_delay_alu instid0(VALU_DEP_4) | instskip(NEXT) | instid1(VALU_DEP_4)
	v_add_f64 v[47:48], v[43:44], v[5:6]
	v_fma_f64 v[27:28], v[29:30], v[27:28], s[78:79]
	s_delay_alu instid0(VALU_DEP_4) | instskip(NEXT) | instid1(VALU_DEP_2)
	v_add_f64 v[31:32], v[31:32], -v[55:56]
	v_fma_f64 v[27:28], v[29:30], v[27:28], s[80:81]
	s_delay_alu instid0(VALU_DEP_2) | instskip(SKIP_1) | instid1(VALU_DEP_3)
	v_add_f64 v[31:32], v[45:46], v[31:32]
	v_add_f64 v[45:46], v[47:48], -v[43:44]
	v_fma_f64 v[27:28], v[29:30], v[27:28], s[82:83]
	s_delay_alu instid0(VALU_DEP_3) | instskip(NEXT) | instid1(VALU_DEP_3)
	v_add_f64 v[31:32], v[47:48], v[31:32]
	v_add_f64 v[47:48], v[47:48], -v[45:46]
	v_add_f64 v[5:6], v[5:6], -v[45:46]
	s_delay_alu instid0(VALU_DEP_4) | instskip(NEXT) | instid1(VALU_DEP_4)
	v_fma_f64 v[27:28], v[29:30], v[27:28], s[84:85]
	v_add_f64 v[51:52], v[49:50], v[31:32]
	s_delay_alu instid0(VALU_DEP_2) | instskip(SKIP_1) | instid1(VALU_DEP_3)
	v_mul_f64 v[27:28], v[29:30], v[27:28]
	v_add_f64 v[29:30], v[43:44], -v[47:48]
	v_add_f64 v[43:44], v[51:52], -v[49:50]
	s_delay_alu instid0(VALU_DEP_3) | instskip(NEXT) | instid1(VALU_DEP_3)
	v_fma_f64 v[25:26], v[25:26], v[27:28], v[25:26]
	v_add_f64 v[5:6], v[5:6], v[29:30]
	s_delay_alu instid0(VALU_DEP_3) | instskip(NEXT) | instid1(VALU_DEP_3)
	v_add_f64 v[27:28], v[31:32], -v[43:44]
	v_add_f64 v[29:30], -v[25:26], s[86:87]
	s_delay_alu instid0(VALU_DEP_2) | instskip(NEXT) | instid1(VALU_DEP_2)
	v_add_f64 v[5:6], v[5:6], v[27:28]
	v_cndmask_b32_e64 v26, v26, v30, s4
	s_delay_alu instid0(VALU_DEP_3) | instskip(SKIP_1) | instid1(VALU_DEP_2)
	v_cndmask_b32_e64 v25, v25, v29, s4
	v_and_b32_e32 v29, 0x54442d18, v3
	v_add_f64 v[27:28], -v[25:26], s[14:15]
	v_and_b32_e32 v2, 0x400921fb, v3
	v_add_f64 v[5:6], v[51:52], v[5:6]
	s_delay_alu instid0(VALU_DEP_3) | instskip(NEXT) | instid1(VALU_DEP_4)
	v_cndmask_b32_e32 v3, v26, v28, vcc_lo
	v_cndmask_b32_e32 v25, v25, v27, vcc_lo
	s_and_b32 vcc_lo, s8, s9
	s_delay_alu instid0(VALU_DEP_2) | instskip(NEXT) | instid1(VALU_DEP_1)
	v_cndmask_b32_e64 v2, v3, v2, s5
	v_cndmask_b32_e32 v28, v2, v1, vcc_lo
	s_delay_alu instid0(VALU_DEP_3) | instskip(NEXT) | instid1(VALU_DEP_1)
	v_cndmask_b32_e64 v13, v25, v29, s5
                                        ; implicit-def: $vgpr29_vgpr30
	v_cndmask_b32_e32 v27, v13, v7, vcc_lo
	v_mul_f64 v[5:6], v[5:6], 0.5
	s_delay_alu instid0(VALU_DEP_1) | instskip(NEXT) | instid1(VALU_DEP_2)
	v_cndmask_b32_e64 v26, 0xfff00000, v6, s6
	v_cndmask_b32_e64 v25, 0, v5, s6
                                        ; implicit-def: $vgpr5_vgpr6
.LBB168_230:                            ;   in Loop: Header=BB168_145 Depth=1
	s_and_not1_saveexec_b32 s22, s7
	s_cbranch_execz .LBB168_234
; %bb.231:                              ;   in Loop: Header=BB168_145 Depth=1
	v_dual_mov_b32 v25, v33 :: v_dual_and_b32 v34, 0x7ffffff8, v30
	v_and_b32_e32 v26, 0x7ffffff8, v6
	s_mov_b32 s23, 0
	s_delay_alu instid0(VALU_DEP_2) | instskip(SKIP_1) | instid1(VALU_DEP_3)
	v_add_f64 v[1:2], v[29:30], -v[33:34]
	v_mov_b32_e32 v29, v33
	v_add_f64 v[5:6], v[5:6], -v[25:26]
	v_mov_b32_e32 v31, v33
	v_add_f64 v[43:44], v[33:34], v[33:34]
	v_add_f64 v[51:52], v[25:26], v[25:26]
	v_mul_f64 v[27:28], v[25:26], v[25:26]
	v_and_b32_e32 v30, -8, v2
	v_and_b32_e32 v32, -8, v6
	s_delay_alu instid0(VALU_DEP_2) | instskip(SKIP_1) | instid1(VALU_DEP_3)
	v_add_f64 v[53:54], v[1:2], -v[29:30]
	v_add_f64 v[57:58], v[29:30], v[29:30]
	v_add_f64 v[55:56], v[5:6], -v[31:32]
	v_add_f64 v[61:62], v[31:32], v[31:32]
	v_mul_f64 v[1:2], v[33:34], v[33:34]
	v_mul_f64 v[49:50], v[43:44], v[29:30]
	;; [unrolled: 1-line block ×11, first 2 shown]
.LBB168_232:                            ;   Parent Loop BB168_145 Depth=1
                                        ; =>  This Inner Loop Header: Depth=2
	v_cmp_nlt_f64_e32 vcc_lo, v[1:2], v[27:28]
	v_dual_cndmask_b32 v56, v2, v28 :: v_dual_cndmask_b32 v55, v1, v27
	v_dual_cndmask_b32 v2, v28, v2 :: v_dual_cndmask_b32 v1, v27, v1
	s_delay_alu instid0(VALU_DEP_2) | instskip(NEXT) | instid1(VALU_DEP_1)
	v_cmp_nlt_f64_e64 s5, v[55:56], v[49:50]
	v_cndmask_b32_e64 v58, v56, v50, s5
	v_cndmask_b32_e64 v57, v55, v49, s5
	;; [unrolled: 1-line block ×4, first 2 shown]
	s_and_b32 s5, vcc_lo, s5
	s_delay_alu instid0(VALU_DEP_3) | instskip(NEXT) | instid1(VALU_DEP_1)
	v_cmp_nlt_f64_e64 s6, v[57:58], v[25:26]
	v_cndmask_b32_e64 v56, v58, v26, s6
	v_cndmask_b32_e64 v55, v57, v25, s6
	;; [unrolled: 1-line block ×4, first 2 shown]
	s_delay_alu instid0(VALU_DEP_3) | instskip(NEXT) | instid1(VALU_DEP_1)
	v_cmp_nlt_f64_e64 s7, v[55:56], v[47:48]
	v_cndmask_b32_e64 v58, v56, v48, s7
	v_cndmask_b32_e64 v57, v55, v47, s7
	;; [unrolled: 1-line block ×4, first 2 shown]
	s_and_b32 s6, s6, s7
	s_delay_alu instid0(VALU_DEP_3) | instskip(NEXT) | instid1(VALU_DEP_1)
	v_cmp_nlt_f64_e64 s8, v[57:58], v[5:6]
	v_cndmask_b32_e64 v56, v58, v6, s8
	v_cndmask_b32_e64 v55, v57, v5, s8
	;; [unrolled: 1-line block ×4, first 2 shown]
	s_delay_alu instid0(VALU_DEP_3) | instskip(NEXT) | instid1(VALU_DEP_1)
	v_cmp_nlt_f64_e64 s9, v[55:56], v[45:46]
	v_cndmask_b32_e64 v58, v56, v46, s9
	v_cndmask_b32_e64 v57, v55, v45, s9
	v_cndmask_b32_e64 v6, v46, v56, s9
	v_cndmask_b32_e64 v5, v45, v55, s9
	s_and_b32 s7, s8, s9
	s_delay_alu instid0(VALU_DEP_3) | instskip(NEXT) | instid1(VALU_DEP_1)
	v_cmp_nlt_f64_e64 s10, v[57:58], v[43:44]
	v_cndmask_b32_e64 v56, v58, v44, s10
	v_cndmask_b32_e64 v55, v57, v43, s10
	v_cndmask_b32_e64 v46, v44, v58, s10
	v_cndmask_b32_e64 v45, v43, v57, s10
	s_and_b32 s7, s7, s10
	;; [unrolled: 7-line block ×4, first 2 shown]
	s_delay_alu instid0(VALU_DEP_3) | instskip(NEXT) | instid1(VALU_DEP_1)
	v_cmp_nlt_f64_e64 s13, v[55:56], v[51:52]
	v_cndmask_b32_e64 v58, v56, v52, s13
	v_cndmask_b32_e64 v57, v55, v51, s13
	s_and_b32 s7, s7, s13
	v_cndmask_b32_e64 v30, v52, v56, s13
	v_cndmask_b32_e64 v29, v51, v55, s13
	s_delay_alu instid0(VALU_DEP_3) | instskip(NEXT) | instid1(VALU_DEP_1)
	v_cmp_nlt_f64_e64 s14, v[57:58], v[53:54]
	v_cndmask_b32_e64 v56, v58, v54, s14
	v_cndmask_b32_e64 v55, v57, v53, s14
	s_and_b32 s7, s7, s14
	v_cndmask_b32_e64 v52, v54, v58, s14
	s_and_b32 s6, s7, s6
	;; [unrolled: 2-line block ×3, first 2 shown]
	v_dual_mov_b32 v53, v55 :: v_dual_mov_b32 v54, v56
	s_and_b32 s5, exec_lo, s5
	s_delay_alu instid0(SALU_CYCLE_1) | instskip(NEXT) | instid1(SALU_CYCLE_1)
	s_or_b32 s23, s5, s23
	s_and_not1_b32 exec_lo, exec_lo, s23
	s_cbranch_execnz .LBB168_232
; %bb.233:                              ;   in Loop: Header=BB168_145 Depth=1
	s_or_b32 exec_lo, exec_lo, s23
	v_add_f64 v[1:2], v[1:2], -1.0
	s_mov_b32 s97, s25
	s_mov_b32 s14, s86
	v_cmp_gt_i32_e64 s5, 0, v14
	v_cmp_class_f64_e64 s7, v[13:14], 0x204
	v_cmp_class_f64_e64 s6, v[15:16], 0x204
	s_mov_b32 s12, 0x4ad4b81f
	s_mov_b32 s13, 0x358dee7a
	s_delay_alu instid0(VALU_DEP_4) | instskip(NEXT) | instid1(VALU_DEP_1)
	v_add_f64 v[1:2], v[1:2], v[27:28]
	v_add_f64 v[1:2], v[1:2], v[49:50]
	s_delay_alu instid0(VALU_DEP_1) | instskip(NEXT) | instid1(VALU_DEP_1)
	v_add_f64 v[1:2], v[1:2], v[25:26]
	v_add_f64 v[1:2], v[1:2], v[47:48]
	s_delay_alu instid0(VALU_DEP_1) | instskip(NEXT) | instid1(VALU_DEP_1)
	;; [unrolled: 3-line block ×5, first 2 shown]
	v_add_f64 v[1:2], v[55:56], v[1:2]
	v_add_f64 v[5:6], v[1:2], 1.0
	s_delay_alu instid0(VALU_DEP_1) | instskip(SKIP_2) | instid1(VALU_DEP_3)
	v_frexp_mant_f64_e32 v[25:26], v[5:6]
	v_frexp_exp_i32_f64_e32 v3, v[5:6]
	v_add_f64 v[27:28], v[5:6], -1.0
	v_cmp_gt_f64_e32 vcc_lo, s[24:25], v[25:26]
	s_delay_alu instid0(VALU_DEP_2) | instskip(SKIP_2) | instid1(VALU_DEP_3)
	v_add_f64 v[25:26], v[27:28], -v[5:6]
	v_add_f64 v[27:28], v[1:2], -v[27:28]
	v_subrev_co_ci_u32_e32 v3, vcc_lo, 0, v3, vcc_lo
	v_add_f64 v[25:26], v[25:26], 1.0
	s_delay_alu instid0(VALU_DEP_2) | instskip(NEXT) | instid1(VALU_DEP_1)
	v_sub_nc_u32_e32 v7, 0, v3
	v_ldexp_f64 v[5:6], v[5:6], v7
	s_delay_alu instid0(VALU_DEP_3) | instskip(NEXT) | instid1(VALU_DEP_2)
	v_add_f64 v[25:26], v[27:28], v[25:26]
	v_add_f64 v[29:30], v[5:6], 1.0
	v_add_f64 v[45:46], v[5:6], -1.0
	s_delay_alu instid0(VALU_DEP_3) | instskip(SKIP_1) | instid1(VALU_DEP_4)
	v_ldexp_f64 v[25:26], v[25:26], v7
	v_cndmask_b32_e64 v7, 0x54442d18, v59, s5
	v_add_f64 v[27:28], v[29:30], -1.0
	s_delay_alu instid0(VALU_DEP_4) | instskip(NEXT) | instid1(VALU_DEP_2)
	v_add_f64 v[47:48], v[45:46], 1.0
	v_add_f64 v[27:28], v[5:6], -v[27:28]
	s_delay_alu instid0(VALU_DEP_2) | instskip(NEXT) | instid1(VALU_DEP_2)
	v_add_f64 v[5:6], v[5:6], -v[47:48]
	v_add_f64 v[27:28], v[25:26], v[27:28]
	s_delay_alu instid0(VALU_DEP_2) | instskip(NEXT) | instid1(VALU_DEP_2)
	v_add_f64 v[5:6], v[25:26], v[5:6]
	v_add_f64 v[31:32], v[29:30], v[27:28]
	s_delay_alu instid0(VALU_DEP_2) | instskip(NEXT) | instid1(VALU_DEP_2)
	v_add_f64 v[47:48], v[45:46], v[5:6]
	v_rcp_f64_e32 v[43:44], v[31:32]
	v_add_f64 v[29:30], v[31:32], -v[29:30]
	s_delay_alu instid0(VALU_DEP_2) | instskip(NEXT) | instid1(VALU_DEP_2)
	v_add_f64 v[45:46], v[47:48], -v[45:46]
	v_add_f64 v[27:28], v[27:28], -v[29:30]
	s_waitcnt_depctr 0xfff
	v_fma_f64 v[49:50], -v[31:32], v[43:44], 1.0
	v_add_f64 v[5:6], v[5:6], -v[45:46]
	s_delay_alu instid0(VALU_DEP_2) | instskip(NEXT) | instid1(VALU_DEP_1)
	v_fma_f64 v[43:44], v[49:50], v[43:44], v[43:44]
	v_fma_f64 v[25:26], -v[31:32], v[43:44], 1.0
	s_delay_alu instid0(VALU_DEP_1) | instskip(NEXT) | instid1(VALU_DEP_1)
	v_fma_f64 v[25:26], v[25:26], v[43:44], v[43:44]
	v_mul_f64 v[43:44], v[47:48], v[25:26]
	s_delay_alu instid0(VALU_DEP_1) | instskip(NEXT) | instid1(VALU_DEP_1)
	v_mul_f64 v[49:50], v[31:32], v[43:44]
	v_fma_f64 v[29:30], v[43:44], v[31:32], -v[49:50]
	s_delay_alu instid0(VALU_DEP_1) | instskip(NEXT) | instid1(VALU_DEP_1)
	v_fma_f64 v[29:30], v[43:44], v[27:28], v[29:30]
	v_add_f64 v[51:52], v[49:50], v[29:30]
	s_delay_alu instid0(VALU_DEP_1) | instskip(SKIP_2) | instid1(VALU_DEP_3)
	v_add_f64 v[53:54], v[47:48], -v[51:52]
	v_add_f64 v[45:46], v[51:52], -v[49:50]
	v_max_f64 v[49:50], |v[15:16]|, |v[15:16]|
	v_add_f64 v[47:48], v[47:48], -v[53:54]
	s_delay_alu instid0(VALU_DEP_3) | instskip(NEXT) | instid1(VALU_DEP_2)
	v_add_f64 v[29:30], v[45:46], -v[29:30]
	v_add_f64 v[47:48], v[47:48], -v[51:52]
	v_max_f64 v[51:52], |v[13:14]|, |v[13:14]|
	v_cndmask_b32_e64 v13, 0x3fe921fb, v60, s5
	s_delay_alu instid0(VALU_DEP_1) | instskip(NEXT) | instid1(VALU_DEP_4)
	v_bfi_b32 v13, 0x7fffffff, v13, v16
	v_add_f64 v[5:6], v[5:6], v[47:48]
	s_delay_alu instid0(VALU_DEP_4) | instskip(SKIP_1) | instid1(VALU_DEP_3)
	v_max_f64 v[55:56], v[51:52], v[49:50]
	v_min_f64 v[49:50], v[51:52], v[49:50]
	v_add_f64 v[5:6], v[29:30], v[5:6]
	s_delay_alu instid0(VALU_DEP_1) | instskip(NEXT) | instid1(VALU_DEP_1)
	v_add_f64 v[29:30], v[53:54], v[5:6]
	v_mul_f64 v[45:46], v[25:26], v[29:30]
	v_add_f64 v[53:54], v[53:54], -v[29:30]
	s_delay_alu instid0(VALU_DEP_2) | instskip(NEXT) | instid1(VALU_DEP_2)
	v_mul_f64 v[47:48], v[31:32], v[45:46]
	v_add_f64 v[5:6], v[5:6], v[53:54]
	s_delay_alu instid0(VALU_DEP_2) | instskip(NEXT) | instid1(VALU_DEP_1)
	v_fma_f64 v[31:32], v[45:46], v[31:32], -v[47:48]
	v_fma_f64 v[27:28], v[45:46], v[27:28], v[31:32]
	v_div_scale_f64 v[31:32], null, v[55:56], v[55:56], v[49:50]
	s_delay_alu instid0(VALU_DEP_2) | instskip(NEXT) | instid1(VALU_DEP_2)
	v_add_f64 v[51:52], v[47:48], v[27:28]
	v_rcp_f64_e32 v[57:58], v[31:32]
	s_delay_alu instid0(VALU_DEP_1)
	v_add_f64 v[61:62], v[29:30], -v[51:52]
	v_add_f64 v[47:48], v[51:52], -v[47:48]
	s_waitcnt_depctr 0xfff
	v_fma_f64 v[63:64], -v[31:32], v[57:58], 1.0
	v_add_f64 v[29:30], v[29:30], -v[61:62]
	v_add_f64 v[27:28], v[47:48], -v[27:28]
	s_delay_alu instid0(VALU_DEP_3) | instskip(NEXT) | instid1(VALU_DEP_3)
	v_fma_f64 v[57:58], v[57:58], v[63:64], v[57:58]
	v_add_f64 v[29:30], v[29:30], -v[51:52]
	s_delay_alu instid0(VALU_DEP_2) | instskip(NEXT) | instid1(VALU_DEP_2)
	v_fma_f64 v[51:52], -v[31:32], v[57:58], 1.0
	v_add_f64 v[5:6], v[5:6], v[29:30]
	v_div_scale_f64 v[29:30], vcc_lo, v[49:50], v[55:56], v[49:50]
	s_delay_alu instid0(VALU_DEP_3) | instskip(SKIP_1) | instid1(VALU_DEP_4)
	v_fma_f64 v[47:48], v[57:58], v[51:52], v[57:58]
	v_add_f64 v[51:52], v[43:44], v[45:46]
	v_add_f64 v[5:6], v[27:28], v[5:6]
	s_delay_alu instid0(VALU_DEP_3) | instskip(NEXT) | instid1(VALU_DEP_3)
	v_mul_f64 v[27:28], v[29:30], v[47:48]
	v_add_f64 v[43:44], v[51:52], -v[43:44]
	s_delay_alu instid0(VALU_DEP_3) | instskip(NEXT) | instid1(VALU_DEP_3)
	v_add_f64 v[5:6], v[61:62], v[5:6]
	v_fma_f64 v[29:30], -v[31:32], v[27:28], v[29:30]
	s_delay_alu instid0(VALU_DEP_3) | instskip(NEXT) | instid1(VALU_DEP_3)
	v_add_f64 v[31:32], v[45:46], -v[43:44]
	v_mul_f64 v[5:6], v[25:26], v[5:6]
	s_delay_alu instid0(VALU_DEP_3) | instskip(SKIP_1) | instid1(VALU_DEP_3)
	v_div_fmas_f64 v[25:26], v[29:30], v[47:48], v[27:28]
	v_cmp_eq_f64_e32 vcc_lo, 0x7ff00000, v[1:2]
	v_add_f64 v[5:6], v[31:32], v[5:6]
	s_delay_alu instid0(VALU_DEP_3) | instskip(NEXT) | instid1(VALU_DEP_2)
	v_div_fixup_f64 v[25:26], v[25:26], v[55:56], v[49:50]
	v_add_f64 v[27:28], v[51:52], v[5:6]
	s_delay_alu instid0(VALU_DEP_2) | instskip(NEXT) | instid1(VALU_DEP_2)
	v_mul_f64 v[29:30], v[25:26], v[25:26]
	v_mul_f64 v[31:32], v[27:28], v[27:28]
	s_delay_alu instid0(VALU_DEP_2) | instskip(NEXT) | instid1(VALU_DEP_2)
	v_fma_f64 v[43:44], v[29:30], s[48:49], s[46:47]
	v_fma_f64 v[45:46], v[31:32], s[28:29], s[26:27]
	v_mul_f64 v[47:48], v[27:28], v[31:32]
	s_delay_alu instid0(VALU_DEP_3) | instskip(NEXT) | instid1(VALU_DEP_3)
	v_fma_f64 v[43:44], v[29:30], v[43:44], s[50:51]
	v_fma_f64 v[45:46], v[31:32], v[45:46], s[34:35]
	s_delay_alu instid0(VALU_DEP_2) | instskip(NEXT) | instid1(VALU_DEP_2)
	v_fma_f64 v[43:44], v[29:30], v[43:44], s[52:53]
	v_fma_f64 v[45:46], v[31:32], v[45:46], s[36:37]
	s_delay_alu instid0(VALU_DEP_2) | instskip(NEXT) | instid1(VALU_DEP_2)
	;; [unrolled: 3-line block ×4, first 2 shown]
	v_fma_f64 v[43:44], v[29:30], v[43:44], s[58:59]
	v_fma_f64 v[31:32], v[31:32], v[45:46], s[96:97]
	v_ldexp_f64 v[45:46], v[27:28], 1
	v_add_f64 v[27:28], v[27:28], -v[51:52]
	s_delay_alu instid0(VALU_DEP_4) | instskip(NEXT) | instid1(VALU_DEP_4)
	v_fma_f64 v[43:44], v[29:30], v[43:44], s[60:61]
	v_mul_f64 v[31:32], v[47:48], v[31:32]
	v_cvt_f64_i32_e32 v[47:48], v3
	s_delay_alu instid0(VALU_DEP_4) | instskip(NEXT) | instid1(VALU_DEP_4)
	v_add_f64 v[5:6], v[5:6], -v[27:28]
	v_fma_f64 v[43:44], v[29:30], v[43:44], s[62:63]
	v_ashrrev_i32_e32 v3, 31, v14
	v_add_f64 v[49:50], v[45:46], v[31:32]
	v_mul_f64 v[51:52], v[47:48], s[42:43]
	v_ldexp_f64 v[5:6], v[5:6], 1
	v_fma_f64 v[43:44], v[29:30], v[43:44], s[64:65]
	s_delay_alu instid0(VALU_DEP_4) | instskip(NEXT) | instid1(VALU_DEP_4)
	v_add_f64 v[27:28], v[49:50], -v[45:46]
	v_fma_f64 v[45:46], v[47:48], s[42:43], -v[51:52]
	s_delay_alu instid0(VALU_DEP_3) | instskip(NEXT) | instid1(VALU_DEP_3)
	v_fma_f64 v[43:44], v[29:30], v[43:44], s[66:67]
	v_add_f64 v[27:28], v[31:32], -v[27:28]
	s_delay_alu instid0(VALU_DEP_2) | instskip(NEXT) | instid1(VALU_DEP_4)
	v_fma_f64 v[31:32], v[29:30], v[43:44], s[68:69]
	v_fma_f64 v[43:44], v[47:48], s[44:45], v[45:46]
	s_delay_alu instid0(VALU_DEP_3) | instskip(NEXT) | instid1(VALU_DEP_3)
	v_add_f64 v[5:6], v[5:6], v[27:28]
	v_fma_f64 v[27:28], v[29:30], v[31:32], s[70:71]
	s_delay_alu instid0(VALU_DEP_3) | instskip(NEXT) | instid1(VALU_DEP_3)
	v_add_f64 v[31:32], v[51:52], v[43:44]
	v_add_f64 v[45:46], v[49:50], v[5:6]
	s_delay_alu instid0(VALU_DEP_3) | instskip(NEXT) | instid1(VALU_DEP_3)
	v_fma_f64 v[27:28], v[29:30], v[27:28], s[72:73]
	v_add_f64 v[51:52], v[31:32], -v[51:52]
	s_delay_alu instid0(VALU_DEP_3) | instskip(SKIP_1) | instid1(VALU_DEP_4)
	v_add_f64 v[47:48], v[31:32], v[45:46]
	v_add_f64 v[49:50], v[45:46], -v[49:50]
	v_fma_f64 v[27:28], v[29:30], v[27:28], s[74:75]
	s_delay_alu instid0(VALU_DEP_4) | instskip(NEXT) | instid1(VALU_DEP_4)
	v_add_f64 v[43:44], v[43:44], -v[51:52]
	v_add_f64 v[53:54], v[47:48], -v[31:32]
	s_delay_alu instid0(VALU_DEP_4) | instskip(NEXT) | instid1(VALU_DEP_4)
	v_add_f64 v[5:6], v[5:6], -v[49:50]
	v_fma_f64 v[27:28], v[29:30], v[27:28], s[76:77]
	s_delay_alu instid0(VALU_DEP_3) | instskip(SKIP_1) | instid1(VALU_DEP_4)
	v_add_f64 v[55:56], v[47:48], -v[53:54]
	v_add_f64 v[45:46], v[45:46], -v[53:54]
	v_add_f64 v[49:50], v[43:44], v[5:6]
	s_delay_alu instid0(VALU_DEP_4) | instskip(NEXT) | instid1(VALU_DEP_4)
	v_fma_f64 v[27:28], v[29:30], v[27:28], s[78:79]
	v_add_f64 v[31:32], v[31:32], -v[55:56]
	s_delay_alu instid0(VALU_DEP_2) | instskip(NEXT) | instid1(VALU_DEP_2)
	v_fma_f64 v[27:28], v[29:30], v[27:28], s[80:81]
	v_add_f64 v[31:32], v[45:46], v[31:32]
	v_add_f64 v[45:46], v[49:50], -v[43:44]
	s_delay_alu instid0(VALU_DEP_3) | instskip(NEXT) | instid1(VALU_DEP_3)
	v_fma_f64 v[27:28], v[29:30], v[27:28], s[82:83]
	v_add_f64 v[31:32], v[49:50], v[31:32]
	s_delay_alu instid0(VALU_DEP_3) | instskip(SKIP_1) | instid1(VALU_DEP_4)
	v_add_f64 v[49:50], v[49:50], -v[45:46]
	v_add_f64 v[5:6], v[5:6], -v[45:46]
	v_fma_f64 v[27:28], v[29:30], v[27:28], s[84:85]
	s_delay_alu instid0(VALU_DEP_4) | instskip(NEXT) | instid1(VALU_DEP_2)
	v_add_f64 v[51:52], v[47:48], v[31:32]
	v_mul_f64 v[27:28], v[29:30], v[27:28]
	v_add_f64 v[29:30], v[43:44], -v[49:50]
	s_delay_alu instid0(VALU_DEP_3) | instskip(NEXT) | instid1(VALU_DEP_3)
	v_add_f64 v[43:44], v[51:52], -v[47:48]
	v_fma_f64 v[25:26], v[25:26], v[27:28], v[25:26]
	s_delay_alu instid0(VALU_DEP_3) | instskip(NEXT) | instid1(VALU_DEP_3)
	v_add_f64 v[5:6], v[5:6], v[29:30]
	v_add_f64 v[27:28], v[31:32], -v[43:44]
	s_delay_alu instid0(VALU_DEP_3) | instskip(NEXT) | instid1(VALU_DEP_2)
	v_add_f64 v[29:30], -v[25:26], s[86:87]
	v_add_f64 v[5:6], v[5:6], v[27:28]
	s_delay_alu instid0(VALU_DEP_2) | instskip(NEXT) | instid1(VALU_DEP_3)
	v_cndmask_b32_e64 v26, v26, v30, s4
	v_cndmask_b32_e64 v25, v25, v29, s4
	s_delay_alu instid0(VALU_DEP_1) | instskip(NEXT) | instid1(VALU_DEP_4)
	v_add_f64 v[27:28], -v[25:26], s[14:15]
	v_add_f64 v[5:6], v[51:52], v[5:6]
	v_and_b32_e32 v29, 0x54442d18, v3
	v_and_b32_e32 v3, 0x400921fb, v3
	s_delay_alu instid0(VALU_DEP_4) | instskip(SKIP_4) | instid1(VALU_DEP_2)
	v_cndmask_b32_e64 v25, v25, v27, s5
	v_cndmask_b32_e64 v14, v26, v28, s5
	v_cmp_nge_f64_e64 s5, -1.0, v[1:2]
	v_dual_cndmask_b32 v6, v6, v2 :: v_dual_cndmask_b32 v5, v5, v1
	v_cmp_eq_f64_e32 vcc_lo, 0, v[15:16]
	v_mul_f64 v[5:6], v[5:6], 0.5
	v_cndmask_b32_e32 v27, v25, v29, vcc_lo
	v_cndmask_b32_e32 v3, v14, v3, vcc_lo
	v_cmp_ngt_f64_e32 vcc_lo, -1.0, v[1:2]
	s_delay_alu instid0(VALU_DEP_4)
	v_cndmask_b32_e64 v25, 0, v5, s5
	v_cmp_neq_f64_e64 s5, -1.0, v[1:2]
	v_cndmask_b32_e32 v6, 0x7ff80000, v6, vcc_lo
	s_and_b32 vcc_lo, s6, s7
	v_cndmask_b32_e32 v28, v3, v13, vcc_lo
	v_cndmask_b32_e32 v27, v27, v7, vcc_lo
	s_delay_alu instid0(VALU_DEP_3)
	v_cndmask_b32_e64 v26, 0xfff00000, v6, s5
.LBB168_234:                            ;   in Loop: Header=BB168_145 Depth=1
	s_or_b32 exec_lo, exec_lo, s22
.LBB168_235:                            ;   in Loop: Header=BB168_145 Depth=1
	s_delay_alu instid0(SALU_CYCLE_1)
	s_or_b32 exec_lo, exec_lo, s21
.LBB168_236:                            ;   in Loop: Header=BB168_145 Depth=1
	s_and_not1_saveexec_b32 s7, s20
	s_cbranch_execz .LBB168_238
; %bb.237:                              ;   in Loop: Header=BB168_145 Depth=1
	v_max_f64 v[1:2], |v[15:16]|, |v[15:16]|
	v_max_f64 v[5:6], |v[13:14]|, |v[13:14]|
	v_cmp_class_f64_e64 s8, v[13:14], 0x204
	v_cmp_class_f64_e64 s9, v[15:16], 0x204
	s_mov_b32 s97, s25
	s_mov_b32 s14, s86
	v_cmp_eq_f64_e64 s6, 0, v[15:16]
	s_delay_alu instid0(VALU_DEP_4) | instskip(SKIP_1) | instid1(VALU_DEP_4)
	v_max_f64 v[25:26], v[5:6], v[1:2]
	v_min_f64 v[1:2], v[5:6], v[1:2]
	s_or_b32 s10, s9, s8
	s_delay_alu instid0(VALU_DEP_2) | instskip(NEXT) | instid1(VALU_DEP_1)
	v_frexp_exp_i32_f64_e32 v3, v[25:26]
	v_sub_nc_u32_e32 v7, 0, v3
	s_delay_alu instid0(VALU_DEP_1) | instskip(SKIP_1) | instid1(VALU_DEP_2)
	v_ldexp_f64 v[27:28], |v[15:16]|, v7
	v_ldexp_f64 v[29:30], |v[13:14]|, v7
	v_mul_f64 v[27:28], v[27:28], v[27:28]
	s_delay_alu instid0(VALU_DEP_1) | instskip(NEXT) | instid1(VALU_DEP_1)
	v_fma_f64 v[27:28], v[29:30], v[29:30], v[27:28]
	v_rsq_f64_e32 v[29:30], v[27:28]
	v_cmp_eq_f64_e32 vcc_lo, 0, v[27:28]
	s_waitcnt_depctr 0xfff
	v_mul_f64 v[31:32], v[27:28], v[29:30]
	v_mul_f64 v[29:30], v[29:30], 0.5
	s_delay_alu instid0(VALU_DEP_1) | instskip(NEXT) | instid1(VALU_DEP_1)
	v_fma_f64 v[43:44], -v[29:30], v[31:32], 0.5
	v_fma_f64 v[31:32], v[31:32], v[43:44], v[31:32]
	v_fma_f64 v[29:30], v[29:30], v[43:44], v[29:30]
	s_delay_alu instid0(VALU_DEP_2) | instskip(NEXT) | instid1(VALU_DEP_1)
	v_fma_f64 v[43:44], -v[31:32], v[31:32], v[27:28]
	v_fma_f64 v[29:30], v[43:44], v[29:30], v[31:32]
	s_delay_alu instid0(VALU_DEP_1) | instskip(SKIP_1) | instid1(VALU_DEP_2)
	v_dual_cndmask_b32 v28, v30, v28 :: v_dual_cndmask_b32 v27, v29, v27
	v_div_scale_f64 v[61:62], vcc_lo, v[1:2], v[25:26], v[1:2]
	v_ldexp_f64 v[27:28], v[27:28], v3
	s_delay_alu instid0(VALU_DEP_1) | instskip(NEXT) | instid1(VALU_DEP_2)
	v_cndmask_b32_e64 v30, v28, 0x7ff00000, s10
	v_cndmask_b32_e64 v29, v27, 0, s10
	s_delay_alu instid0(VALU_DEP_1) | instskip(SKIP_1) | instid1(VALU_DEP_2)
	v_frexp_mant_f64_e32 v[31:32], v[29:30]
	v_frexp_exp_i32_f64_e32 v3, v[29:30]
	v_cmp_gt_f64_e64 s5, s[24:25], v[31:32]
	s_delay_alu instid0(VALU_DEP_1) | instskip(NEXT) | instid1(VALU_DEP_1)
	v_cndmask_b32_e64 v34, 0x3ff00000, 2.0, s5
	v_mul_f64 v[31:32], v[31:32], v[33:34]
	s_delay_alu instid0(VALU_DEP_1) | instskip(SKIP_1) | instid1(VALU_DEP_2)
	v_add_f64 v[43:44], v[31:32], 1.0
	v_add_f64 v[49:50], v[31:32], -1.0
	v_rcp_f64_e32 v[45:46], v[43:44]
	v_add_f64 v[51:52], v[43:44], -1.0
	s_delay_alu instid0(VALU_DEP_1) | instskip(SKIP_2) | instid1(VALU_DEP_1)
	v_add_f64 v[31:32], v[31:32], -v[51:52]
	s_waitcnt_depctr 0xfff
	v_fma_f64 v[47:48], -v[43:44], v[45:46], 1.0
	v_fma_f64 v[45:46], v[47:48], v[45:46], v[45:46]
	s_delay_alu instid0(VALU_DEP_1) | instskip(NEXT) | instid1(VALU_DEP_1)
	v_fma_f64 v[47:48], -v[43:44], v[45:46], 1.0
	v_fma_f64 v[45:46], v[47:48], v[45:46], v[45:46]
	v_div_scale_f64 v[47:48], null, v[25:26], v[25:26], v[1:2]
	s_delay_alu instid0(VALU_DEP_2) | instskip(NEXT) | instid1(VALU_DEP_2)
	v_mul_f64 v[5:6], v[49:50], v[45:46]
	v_rcp_f64_e32 v[55:56], v[47:48]
	s_delay_alu instid0(VALU_DEP_1) | instskip(SKIP_3) | instid1(VALU_DEP_1)
	v_mul_f64 v[53:54], v[43:44], v[5:6]
	s_waitcnt_depctr 0xfff
	v_fma_f64 v[51:52], -v[47:48], v[55:56], 1.0
	v_fma_f64 v[43:44], v[5:6], v[43:44], -v[53:54]
	v_fma_f64 v[31:32], v[5:6], v[31:32], v[43:44]
	s_delay_alu instid0(VALU_DEP_3) | instskip(NEXT) | instid1(VALU_DEP_2)
	v_fma_f64 v[43:44], v[55:56], v[51:52], v[55:56]
	v_add_f64 v[51:52], v[53:54], v[31:32]
	s_delay_alu instid0(VALU_DEP_2) | instskip(NEXT) | instid1(VALU_DEP_2)
	v_fma_f64 v[55:56], -v[47:48], v[43:44], 1.0
	v_add_f64 v[57:58], v[49:50], -v[51:52]
	s_delay_alu instid0(VALU_DEP_2) | instskip(SKIP_1) | instid1(VALU_DEP_3)
	v_fma_f64 v[43:44], v[43:44], v[55:56], v[43:44]
	v_add_f64 v[53:54], v[51:52], -v[53:54]
	v_add_f64 v[49:50], v[49:50], -v[57:58]
	s_delay_alu instid0(VALU_DEP_3) | instskip(NEXT) | instid1(VALU_DEP_3)
	v_mul_f64 v[55:56], v[61:62], v[43:44]
	v_add_f64 v[31:32], v[53:54], -v[31:32]
	s_delay_alu instid0(VALU_DEP_3) | instskip(NEXT) | instid1(VALU_DEP_3)
	v_add_f64 v[49:50], v[49:50], -v[51:52]
	v_fma_f64 v[47:48], -v[47:48], v[55:56], v[61:62]
	s_delay_alu instid0(VALU_DEP_2) | instskip(NEXT) | instid1(VALU_DEP_2)
	v_add_f64 v[31:32], v[31:32], v[49:50]
	v_div_fmas_f64 v[43:44], v[47:48], v[43:44], v[55:56]
	v_subrev_co_ci_u32_e64 v3, vcc_lo, 0, v3, s5
	v_cmp_class_f64_e64 s5, v[27:28], 0x204
	v_cmp_gt_i32_e32 vcc_lo, 0, v14
	v_cndmask_b32_e32 v7, 0x54442d18, v59, vcc_lo
	v_add_f64 v[31:32], v[57:58], v[31:32]
	v_div_fixup_f64 v[1:2], v[43:44], v[25:26], v[1:2]
	s_delay_alu instid0(VALU_DEP_2) | instskip(NEXT) | instid1(VALU_DEP_2)
	v_mul_f64 v[25:26], v[45:46], v[31:32]
	v_mul_f64 v[31:32], v[1:2], v[1:2]
	s_delay_alu instid0(VALU_DEP_2) | instskip(NEXT) | instid1(VALU_DEP_2)
	v_add_f64 v[43:44], v[5:6], v[25:26]
	v_fma_f64 v[45:46], v[31:32], s[48:49], s[46:47]
	s_delay_alu instid0(VALU_DEP_2) | instskip(NEXT) | instid1(VALU_DEP_2)
	v_mul_f64 v[47:48], v[43:44], v[43:44]
	v_fma_f64 v[45:46], v[31:32], v[45:46], s[50:51]
	v_add_f64 v[5:6], v[43:44], -v[5:6]
	s_delay_alu instid0(VALU_DEP_3) | instskip(NEXT) | instid1(VALU_DEP_3)
	v_fma_f64 v[49:50], v[47:48], s[28:29], s[26:27]
	v_fma_f64 v[45:46], v[31:32], v[45:46], s[52:53]
	v_mul_f64 v[51:52], v[43:44], v[47:48]
	s_delay_alu instid0(VALU_DEP_4) | instskip(NEXT) | instid1(VALU_DEP_4)
	v_add_f64 v[5:6], v[25:26], -v[5:6]
	v_fma_f64 v[49:50], v[47:48], v[49:50], s[34:35]
	s_delay_alu instid0(VALU_DEP_4) | instskip(NEXT) | instid1(VALU_DEP_3)
	v_fma_f64 v[45:46], v[31:32], v[45:46], s[54:55]
	v_ldexp_f64 v[5:6], v[5:6], 1
	s_delay_alu instid0(VALU_DEP_3) | instskip(NEXT) | instid1(VALU_DEP_3)
	v_fma_f64 v[49:50], v[47:48], v[49:50], s[36:37]
	v_fma_f64 v[45:46], v[31:32], v[45:46], s[56:57]
	s_delay_alu instid0(VALU_DEP_2) | instskip(NEXT) | instid1(VALU_DEP_2)
	v_fma_f64 v[49:50], v[47:48], v[49:50], s[38:39]
	v_fma_f64 v[45:46], v[31:32], v[45:46], s[58:59]
	s_delay_alu instid0(VALU_DEP_2) | instskip(NEXT) | instid1(VALU_DEP_2)
	;; [unrolled: 3-line block ×3, first 2 shown]
	v_fma_f64 v[47:48], v[47:48], v[49:50], s[96:97]
	v_fma_f64 v[45:46], v[31:32], v[45:46], s[62:63]
	v_ldexp_f64 v[49:50], v[43:44], 1
	s_delay_alu instid0(VALU_DEP_3) | instskip(NEXT) | instid1(VALU_DEP_3)
	v_mul_f64 v[47:48], v[51:52], v[47:48]
	v_fma_f64 v[45:46], v[31:32], v[45:46], s[64:65]
	v_cvt_f64_i32_e32 v[51:52], v3
	v_ashrrev_i32_e32 v3, 31, v14
	v_cndmask_b32_e32 v14, 0x3fe921fb, v60, vcc_lo
	s_delay_alu instid0(VALU_DEP_1) | instskip(SKIP_3) | instid1(VALU_DEP_3)
	v_bfi_b32 v14, 0x7fffffff, v14, v16
	v_add_f64 v[43:44], v[49:50], v[47:48]
	v_fma_f64 v[45:46], v[31:32], v[45:46], s[66:67]
	v_mul_f64 v[53:54], v[51:52], s[42:43]
	v_add_f64 v[25:26], v[43:44], -v[49:50]
	s_delay_alu instid0(VALU_DEP_3) | instskip(NEXT) | instid1(VALU_DEP_3)
	v_fma_f64 v[45:46], v[31:32], v[45:46], s[68:69]
	v_fma_f64 v[49:50], v[51:52], s[42:43], -v[53:54]
	s_delay_alu instid0(VALU_DEP_3) | instskip(NEXT) | instid1(VALU_DEP_3)
	v_add_f64 v[25:26], v[47:48], -v[25:26]
	v_fma_f64 v[45:46], v[31:32], v[45:46], s[70:71]
	s_delay_alu instid0(VALU_DEP_3) | instskip(NEXT) | instid1(VALU_DEP_3)
	v_fma_f64 v[47:48], v[51:52], s[44:45], v[49:50]
	v_add_f64 v[5:6], v[5:6], v[25:26]
	s_delay_alu instid0(VALU_DEP_3) | instskip(NEXT) | instid1(VALU_DEP_3)
	v_fma_f64 v[25:26], v[31:32], v[45:46], s[72:73]
	v_add_f64 v[45:46], v[53:54], v[47:48]
	s_delay_alu instid0(VALU_DEP_3) | instskip(NEXT) | instid1(VALU_DEP_3)
	v_add_f64 v[49:50], v[43:44], v[5:6]
	v_fma_f64 v[25:26], v[31:32], v[25:26], s[74:75]
	s_delay_alu instid0(VALU_DEP_3) | instskip(NEXT) | instid1(VALU_DEP_3)
	v_add_f64 v[53:54], v[45:46], -v[53:54]
	v_add_f64 v[51:52], v[45:46], v[49:50]
	s_delay_alu instid0(VALU_DEP_3) | instskip(SKIP_1) | instid1(VALU_DEP_4)
	v_fma_f64 v[25:26], v[31:32], v[25:26], s[76:77]
	v_add_f64 v[43:44], v[49:50], -v[43:44]
	v_add_f64 v[47:48], v[47:48], -v[53:54]
	s_delay_alu instid0(VALU_DEP_4) | instskip(NEXT) | instid1(VALU_DEP_4)
	v_add_f64 v[55:56], v[51:52], -v[45:46]
	v_fma_f64 v[25:26], v[31:32], v[25:26], s[78:79]
	s_delay_alu instid0(VALU_DEP_4) | instskip(NEXT) | instid1(VALU_DEP_3)
	v_add_f64 v[5:6], v[5:6], -v[43:44]
	v_add_f64 v[57:58], v[51:52], -v[55:56]
	s_delay_alu instid0(VALU_DEP_3) | instskip(SKIP_1) | instid1(VALU_DEP_4)
	v_fma_f64 v[25:26], v[31:32], v[25:26], s[80:81]
	v_add_f64 v[43:44], v[49:50], -v[55:56]
	v_add_f64 v[49:50], v[47:48], v[5:6]
	s_delay_alu instid0(VALU_DEP_4) | instskip(NEXT) | instid1(VALU_DEP_4)
	v_add_f64 v[45:46], v[45:46], -v[57:58]
	v_fma_f64 v[25:26], v[31:32], v[25:26], s[82:83]
	s_delay_alu instid0(VALU_DEP_2) | instskip(NEXT) | instid1(VALU_DEP_2)
	v_add_f64 v[43:44], v[43:44], v[45:46]
	v_fma_f64 v[25:26], v[31:32], v[25:26], s[84:85]
	v_add_f64 v[45:46], v[49:50], -v[47:48]
	s_delay_alu instid0(VALU_DEP_3) | instskip(NEXT) | instid1(VALU_DEP_3)
	v_add_f64 v[43:44], v[49:50], v[43:44]
	v_mul_f64 v[25:26], v[31:32], v[25:26]
	s_delay_alu instid0(VALU_DEP_3) | instskip(SKIP_1) | instid1(VALU_DEP_4)
	v_add_f64 v[31:32], v[49:50], -v[45:46]
	v_add_f64 v[5:6], v[5:6], -v[45:46]
	v_add_f64 v[49:50], v[51:52], v[43:44]
	s_delay_alu instid0(VALU_DEP_4) | instskip(NEXT) | instid1(VALU_DEP_4)
	v_fma_f64 v[1:2], v[1:2], v[25:26], v[1:2]
	v_add_f64 v[25:26], v[47:48], -v[31:32]
	s_delay_alu instid0(VALU_DEP_3) | instskip(NEXT) | instid1(VALU_DEP_3)
	v_add_f64 v[31:32], v[49:50], -v[51:52]
	v_add_f64 v[45:46], -v[1:2], s[86:87]
	s_delay_alu instid0(VALU_DEP_3) | instskip(NEXT) | instid1(VALU_DEP_3)
	v_add_f64 v[5:6], v[5:6], v[25:26]
	v_add_f64 v[25:26], v[43:44], -v[31:32]
	s_delay_alu instid0(VALU_DEP_3) | instskip(NEXT) | instid1(VALU_DEP_4)
	v_cndmask_b32_e64 v2, v2, v46, s4
	v_cndmask_b32_e64 v1, v1, v45, s4
	s_delay_alu instid0(VALU_DEP_3) | instskip(NEXT) | instid1(VALU_DEP_2)
	v_add_f64 v[5:6], v[5:6], v[25:26]
	v_add_f64 v[25:26], -v[1:2], s[14:15]
	v_and_b32_e32 v13, 0x54442d18, v3
	v_and_b32_e32 v3, 0x400921fb, v3
	s_delay_alu instid0(VALU_DEP_4) | instskip(NEXT) | instid1(VALU_DEP_4)
	v_add_f64 v[5:6], v[49:50], v[5:6]
	v_cndmask_b32_e32 v2, v2, v26, vcc_lo
	s_delay_alu instid0(VALU_DEP_1)
	v_cndmask_b32_e64 v2, v2, v3, s6
	v_cndmask_b32_e32 v1, v1, v25, vcc_lo
	v_cmp_ngt_f64_e32 vcc_lo, 0, v[29:30]
	v_cndmask_b32_e64 v6, v6, v28, s5
	v_cndmask_b32_e64 v5, v5, v27, s5
	v_cmp_nge_f64_e64 s5, 0, v[29:30]
	s_delay_alu instid0(VALU_DEP_3) | instskip(NEXT) | instid1(VALU_DEP_3)
	v_cndmask_b32_e64 v6, v6, 0x7ff00000, s10
	v_cndmask_b32_e64 v3, v5, 0, s10
	s_delay_alu instid0(VALU_DEP_2) | instskip(SKIP_3) | instid1(VALU_DEP_1)
	v_cndmask_b32_e32 v5, 0x7ff80000, v6, vcc_lo
	s_and_b32 vcc_lo, s9, s8
	v_cndmask_b32_e32 v28, v2, v14, vcc_lo
	v_cndmask_b32_e64 v1, v1, v13, s6
	v_cndmask_b32_e32 v27, v1, v7, vcc_lo
	v_cndmask_b32_e64 v25, 0, v3, s5
	v_cmp_neq_f64_e64 s5, 0, v[29:30]
	s_delay_alu instid0(VALU_DEP_1)
	v_cndmask_b32_e64 v26, 0xfff00000, v5, s5
.LBB168_238:                            ;   in Loop: Header=BB168_145 Depth=1
	s_or_b32 exec_lo, exec_lo, s7
                                        ; implicit-def: $vgpr5_vgpr6
.LBB168_239:                            ;   in Loop: Header=BB168_145 Depth=1
	s_and_not1_saveexec_b32 s7, s89
	s_cbranch_execz .LBB168_245
; %bb.240:                              ;   in Loop: Header=BB168_145 Depth=1
                                        ; implicit-def: $vgpr25_vgpr26
	s_mov_b32 s5, exec_lo
	v_cmpx_ngt_f64_e32 s[90:91], v[5:6]
	s_xor_b32 s8, exec_lo, s5
	s_cbranch_execz .LBB168_242
; %bb.241:                              ;   in Loop: Header=BB168_145 Depth=1
	v_mul_f64 v[1:2], v[5:6], v[5:6]
	s_mov_b32 s97, s25
	s_mov_b32 s14, s86
	v_cmp_eq_f64_e64 s6, 0, v[15:16]
	v_cmp_gt_i32_e64 s5, 0, v14
	v_cmp_class_f64_e64 s9, v[15:16], 0x204
	v_cmp_class_f64_e64 s10, v[13:14], 0x204
	v_add_f64 v[5:6], v[1:2], 1.0
	s_delay_alu instid0(VALU_DEP_1) | instskip(SKIP_2) | instid1(VALU_DEP_3)
	v_frexp_mant_f64_e32 v[25:26], v[5:6]
	v_frexp_exp_i32_f64_e32 v3, v[5:6]
	v_add_f64 v[27:28], v[5:6], -1.0
	v_cmp_gt_f64_e32 vcc_lo, s[24:25], v[25:26]
	s_delay_alu instid0(VALU_DEP_2) | instskip(SKIP_2) | instid1(VALU_DEP_3)
	v_add_f64 v[25:26], v[27:28], -v[5:6]
	v_add_f64 v[27:28], v[1:2], -v[27:28]
	v_subrev_co_ci_u32_e32 v3, vcc_lo, 0, v3, vcc_lo
	v_add_f64 v[25:26], v[25:26], 1.0
	s_delay_alu instid0(VALU_DEP_2) | instskip(NEXT) | instid1(VALU_DEP_1)
	v_sub_nc_u32_e32 v7, 0, v3
	v_ldexp_f64 v[5:6], v[5:6], v7
	s_delay_alu instid0(VALU_DEP_3) | instskip(NEXT) | instid1(VALU_DEP_2)
	v_add_f64 v[25:26], v[27:28], v[25:26]
	v_add_f64 v[29:30], v[5:6], 1.0
	v_add_f64 v[45:46], v[5:6], -1.0
	s_delay_alu instid0(VALU_DEP_3) | instskip(SKIP_1) | instid1(VALU_DEP_4)
	v_ldexp_f64 v[25:26], v[25:26], v7
	v_cndmask_b32_e64 v7, 0x54442d18, v59, s5
	v_add_f64 v[27:28], v[29:30], -1.0
	s_delay_alu instid0(VALU_DEP_4) | instskip(NEXT) | instid1(VALU_DEP_2)
	v_add_f64 v[47:48], v[45:46], 1.0
	v_add_f64 v[27:28], v[5:6], -v[27:28]
	s_delay_alu instid0(VALU_DEP_2) | instskip(NEXT) | instid1(VALU_DEP_2)
	v_add_f64 v[5:6], v[5:6], -v[47:48]
	v_add_f64 v[27:28], v[25:26], v[27:28]
	s_delay_alu instid0(VALU_DEP_2) | instskip(NEXT) | instid1(VALU_DEP_2)
	v_add_f64 v[5:6], v[25:26], v[5:6]
	v_add_f64 v[31:32], v[29:30], v[27:28]
	s_delay_alu instid0(VALU_DEP_2) | instskip(NEXT) | instid1(VALU_DEP_2)
	v_add_f64 v[47:48], v[45:46], v[5:6]
	v_rcp_f64_e32 v[43:44], v[31:32]
	v_add_f64 v[29:30], v[29:30], -v[31:32]
	s_delay_alu instid0(VALU_DEP_2) | instskip(NEXT) | instid1(VALU_DEP_2)
	v_add_f64 v[45:46], v[45:46], -v[47:48]
	v_add_f64 v[27:28], v[27:28], v[29:30]
	s_waitcnt_depctr 0xfff
	v_fma_f64 v[49:50], -v[31:32], v[43:44], 1.0
	v_add_f64 v[5:6], v[5:6], v[45:46]
	s_delay_alu instid0(VALU_DEP_2) | instskip(NEXT) | instid1(VALU_DEP_1)
	v_fma_f64 v[43:44], v[49:50], v[43:44], v[43:44]
	v_fma_f64 v[25:26], -v[31:32], v[43:44], 1.0
	s_delay_alu instid0(VALU_DEP_1) | instskip(NEXT) | instid1(VALU_DEP_1)
	v_fma_f64 v[25:26], v[25:26], v[43:44], v[43:44]
	v_mul_f64 v[43:44], v[47:48], v[25:26]
	s_delay_alu instid0(VALU_DEP_1) | instskip(NEXT) | instid1(VALU_DEP_1)
	v_mul_f64 v[49:50], v[31:32], v[43:44]
	v_fma_f64 v[29:30], v[43:44], v[31:32], -v[49:50]
	s_delay_alu instid0(VALU_DEP_1) | instskip(NEXT) | instid1(VALU_DEP_1)
	v_fma_f64 v[29:30], v[43:44], v[27:28], v[29:30]
	v_add_f64 v[51:52], v[49:50], v[29:30]
	s_delay_alu instid0(VALU_DEP_1) | instskip(SKIP_2) | instid1(VALU_DEP_3)
	v_add_f64 v[53:54], v[47:48], -v[51:52]
	v_add_f64 v[45:46], v[51:52], -v[49:50]
	v_max_f64 v[49:50], |v[15:16]|, |v[15:16]|
	v_add_f64 v[47:48], v[47:48], -v[53:54]
	s_delay_alu instid0(VALU_DEP_3) | instskip(NEXT) | instid1(VALU_DEP_2)
	v_add_f64 v[29:30], v[45:46], -v[29:30]
	v_add_f64 v[47:48], v[47:48], -v[51:52]
	v_max_f64 v[51:52], |v[13:14]|, |v[13:14]|
	s_delay_alu instid0(VALU_DEP_2) | instskip(NEXT) | instid1(VALU_DEP_2)
	v_add_f64 v[5:6], v[5:6], v[47:48]
	v_max_f64 v[55:56], v[51:52], v[49:50]
	v_min_f64 v[49:50], v[51:52], v[49:50]
	s_delay_alu instid0(VALU_DEP_3) | instskip(NEXT) | instid1(VALU_DEP_1)
	v_add_f64 v[5:6], v[29:30], v[5:6]
	v_add_f64 v[29:30], v[53:54], v[5:6]
	s_delay_alu instid0(VALU_DEP_1) | instskip(SKIP_1) | instid1(VALU_DEP_2)
	v_mul_f64 v[45:46], v[25:26], v[29:30]
	v_add_f64 v[53:54], v[53:54], -v[29:30]
	v_mul_f64 v[47:48], v[31:32], v[45:46]
	s_delay_alu instid0(VALU_DEP_2) | instskip(NEXT) | instid1(VALU_DEP_2)
	v_add_f64 v[5:6], v[5:6], v[53:54]
	v_fma_f64 v[31:32], v[45:46], v[31:32], -v[47:48]
	s_delay_alu instid0(VALU_DEP_1) | instskip(SKIP_1) | instid1(VALU_DEP_2)
	v_fma_f64 v[27:28], v[45:46], v[27:28], v[31:32]
	v_div_scale_f64 v[31:32], null, v[55:56], v[55:56], v[49:50]
	v_add_f64 v[51:52], v[47:48], v[27:28]
	s_delay_alu instid0(VALU_DEP_2) | instskip(NEXT) | instid1(VALU_DEP_1)
	v_rcp_f64_e32 v[57:58], v[31:32]
	v_add_f64 v[61:62], v[29:30], -v[51:52]
	v_add_f64 v[47:48], v[51:52], -v[47:48]
	s_waitcnt_depctr 0xfff
	v_fma_f64 v[63:64], -v[31:32], v[57:58], 1.0
	v_add_f64 v[29:30], v[29:30], -v[61:62]
	v_add_f64 v[27:28], v[47:48], -v[27:28]
	s_delay_alu instid0(VALU_DEP_3) | instskip(NEXT) | instid1(VALU_DEP_3)
	v_fma_f64 v[57:58], v[57:58], v[63:64], v[57:58]
	v_add_f64 v[29:30], v[29:30], -v[51:52]
	s_delay_alu instid0(VALU_DEP_2) | instskip(NEXT) | instid1(VALU_DEP_2)
	v_fma_f64 v[51:52], -v[31:32], v[57:58], 1.0
	v_add_f64 v[5:6], v[5:6], v[29:30]
	v_div_scale_f64 v[29:30], vcc_lo, v[49:50], v[55:56], v[49:50]
	s_delay_alu instid0(VALU_DEP_3) | instskip(SKIP_1) | instid1(VALU_DEP_4)
	v_fma_f64 v[47:48], v[57:58], v[51:52], v[57:58]
	v_add_f64 v[51:52], v[43:44], v[45:46]
	v_add_f64 v[5:6], v[27:28], v[5:6]
	s_delay_alu instid0(VALU_DEP_3) | instskip(NEXT) | instid1(VALU_DEP_3)
	v_mul_f64 v[27:28], v[29:30], v[47:48]
	v_add_f64 v[43:44], v[51:52], -v[43:44]
	s_delay_alu instid0(VALU_DEP_3) | instskip(NEXT) | instid1(VALU_DEP_3)
	v_add_f64 v[5:6], v[61:62], v[5:6]
	v_fma_f64 v[29:30], -v[31:32], v[27:28], v[29:30]
	s_delay_alu instid0(VALU_DEP_3) | instskip(NEXT) | instid1(VALU_DEP_3)
	v_add_f64 v[31:32], v[45:46], -v[43:44]
	v_mul_f64 v[5:6], v[25:26], v[5:6]
	s_delay_alu instid0(VALU_DEP_3) | instskip(SKIP_1) | instid1(VALU_DEP_3)
	v_div_fmas_f64 v[25:26], v[29:30], v[47:48], v[27:28]
	v_cmp_eq_f64_e32 vcc_lo, 0x7ff00000, v[1:2]
	v_add_f64 v[5:6], v[31:32], v[5:6]
	s_delay_alu instid0(VALU_DEP_3) | instskip(NEXT) | instid1(VALU_DEP_2)
	v_div_fixup_f64 v[25:26], v[25:26], v[55:56], v[49:50]
	v_add_f64 v[27:28], v[51:52], v[5:6]
	s_delay_alu instid0(VALU_DEP_2) | instskip(NEXT) | instid1(VALU_DEP_2)
	v_mul_f64 v[29:30], v[25:26], v[25:26]
	v_mul_f64 v[31:32], v[27:28], v[27:28]
	s_delay_alu instid0(VALU_DEP_2) | instskip(NEXT) | instid1(VALU_DEP_2)
	v_fma_f64 v[43:44], v[29:30], s[48:49], s[46:47]
	v_fma_f64 v[45:46], v[31:32], s[28:29], s[26:27]
	v_mul_f64 v[47:48], v[27:28], v[31:32]
	s_delay_alu instid0(VALU_DEP_3) | instskip(NEXT) | instid1(VALU_DEP_3)
	v_fma_f64 v[43:44], v[29:30], v[43:44], s[50:51]
	v_fma_f64 v[45:46], v[31:32], v[45:46], s[34:35]
	s_delay_alu instid0(VALU_DEP_2) | instskip(NEXT) | instid1(VALU_DEP_2)
	v_fma_f64 v[43:44], v[29:30], v[43:44], s[52:53]
	v_fma_f64 v[45:46], v[31:32], v[45:46], s[36:37]
	s_delay_alu instid0(VALU_DEP_2) | instskip(NEXT) | instid1(VALU_DEP_2)
	;; [unrolled: 3-line block ×4, first 2 shown]
	v_fma_f64 v[43:44], v[29:30], v[43:44], s[58:59]
	v_fma_f64 v[31:32], v[31:32], v[45:46], s[96:97]
	v_ldexp_f64 v[45:46], v[27:28], 1
	v_add_f64 v[27:28], v[27:28], -v[51:52]
	s_delay_alu instid0(VALU_DEP_4) | instskip(NEXT) | instid1(VALU_DEP_4)
	v_fma_f64 v[43:44], v[29:30], v[43:44], s[60:61]
	v_mul_f64 v[31:32], v[47:48], v[31:32]
	v_cvt_f64_i32_e32 v[47:48], v3
	s_delay_alu instid0(VALU_DEP_4) | instskip(NEXT) | instid1(VALU_DEP_4)
	v_add_f64 v[5:6], v[5:6], -v[27:28]
	v_fma_f64 v[43:44], v[29:30], v[43:44], s[62:63]
	v_ashrrev_i32_e32 v3, 31, v14
	v_add_f64 v[49:50], v[45:46], v[31:32]
	v_mul_f64 v[51:52], v[47:48], s[42:43]
	v_ldexp_f64 v[5:6], v[5:6], 1
	v_fma_f64 v[43:44], v[29:30], v[43:44], s[64:65]
	s_delay_alu instid0(VALU_DEP_4) | instskip(NEXT) | instid1(VALU_DEP_4)
	v_add_f64 v[27:28], v[49:50], -v[45:46]
	v_fma_f64 v[45:46], v[47:48], s[42:43], -v[51:52]
	s_delay_alu instid0(VALU_DEP_3) | instskip(NEXT) | instid1(VALU_DEP_3)
	v_fma_f64 v[43:44], v[29:30], v[43:44], s[66:67]
	v_add_f64 v[27:28], v[31:32], -v[27:28]
	s_delay_alu instid0(VALU_DEP_2) | instskip(NEXT) | instid1(VALU_DEP_4)
	v_fma_f64 v[31:32], v[29:30], v[43:44], s[68:69]
	v_fma_f64 v[43:44], v[47:48], s[44:45], v[45:46]
	s_delay_alu instid0(VALU_DEP_3) | instskip(NEXT) | instid1(VALU_DEP_3)
	v_add_f64 v[5:6], v[5:6], v[27:28]
	v_fma_f64 v[27:28], v[29:30], v[31:32], s[70:71]
	s_delay_alu instid0(VALU_DEP_3) | instskip(NEXT) | instid1(VALU_DEP_3)
	v_add_f64 v[31:32], v[51:52], v[43:44]
	v_add_f64 v[45:46], v[49:50], v[5:6]
	s_delay_alu instid0(VALU_DEP_3) | instskip(NEXT) | instid1(VALU_DEP_3)
	v_fma_f64 v[27:28], v[29:30], v[27:28], s[72:73]
	v_add_f64 v[51:52], v[31:32], -v[51:52]
	s_delay_alu instid0(VALU_DEP_3) | instskip(SKIP_1) | instid1(VALU_DEP_4)
	v_add_f64 v[47:48], v[31:32], v[45:46]
	v_add_f64 v[49:50], v[45:46], -v[49:50]
	v_fma_f64 v[27:28], v[29:30], v[27:28], s[74:75]
	s_delay_alu instid0(VALU_DEP_4) | instskip(NEXT) | instid1(VALU_DEP_4)
	v_add_f64 v[43:44], v[43:44], -v[51:52]
	v_add_f64 v[53:54], v[47:48], -v[31:32]
	s_delay_alu instid0(VALU_DEP_4) | instskip(NEXT) | instid1(VALU_DEP_4)
	v_add_f64 v[5:6], v[5:6], -v[49:50]
	v_fma_f64 v[27:28], v[29:30], v[27:28], s[76:77]
	s_delay_alu instid0(VALU_DEP_3) | instskip(SKIP_1) | instid1(VALU_DEP_4)
	v_add_f64 v[55:56], v[47:48], -v[53:54]
	v_add_f64 v[45:46], v[45:46], -v[53:54]
	v_add_f64 v[49:50], v[43:44], v[5:6]
	s_delay_alu instid0(VALU_DEP_4) | instskip(NEXT) | instid1(VALU_DEP_4)
	v_fma_f64 v[27:28], v[29:30], v[27:28], s[78:79]
	v_add_f64 v[31:32], v[31:32], -v[55:56]
	s_delay_alu instid0(VALU_DEP_2) | instskip(NEXT) | instid1(VALU_DEP_2)
	v_fma_f64 v[27:28], v[29:30], v[27:28], s[80:81]
	v_add_f64 v[31:32], v[45:46], v[31:32]
	v_add_f64 v[45:46], v[49:50], -v[43:44]
	s_delay_alu instid0(VALU_DEP_3) | instskip(NEXT) | instid1(VALU_DEP_3)
	v_fma_f64 v[27:28], v[29:30], v[27:28], s[82:83]
	v_add_f64 v[31:32], v[49:50], v[31:32]
	s_delay_alu instid0(VALU_DEP_3) | instskip(SKIP_1) | instid1(VALU_DEP_4)
	v_add_f64 v[49:50], v[49:50], -v[45:46]
	v_add_f64 v[5:6], v[5:6], -v[45:46]
	v_fma_f64 v[27:28], v[29:30], v[27:28], s[84:85]
	s_delay_alu instid0(VALU_DEP_4) | instskip(NEXT) | instid1(VALU_DEP_2)
	v_add_f64 v[51:52], v[47:48], v[31:32]
	v_mul_f64 v[27:28], v[29:30], v[27:28]
	v_add_f64 v[29:30], v[43:44], -v[49:50]
	s_delay_alu instid0(VALU_DEP_3) | instskip(NEXT) | instid1(VALU_DEP_3)
	v_add_f64 v[43:44], v[51:52], -v[47:48]
	v_fma_f64 v[25:26], v[25:26], v[27:28], v[25:26]
	s_delay_alu instid0(VALU_DEP_3) | instskip(NEXT) | instid1(VALU_DEP_3)
	v_add_f64 v[5:6], v[5:6], v[29:30]
	v_add_f64 v[27:28], v[31:32], -v[43:44]
	s_delay_alu instid0(VALU_DEP_3) | instskip(NEXT) | instid1(VALU_DEP_2)
	v_add_f64 v[29:30], -v[25:26], s[86:87]
	v_add_f64 v[5:6], v[5:6], v[27:28]
	s_delay_alu instid0(VALU_DEP_2) | instskip(NEXT) | instid1(VALU_DEP_3)
	v_cndmask_b32_e64 v27, v26, v30, s4
	v_cndmask_b32_e64 v26, v25, v29, s4
	s_delay_alu instid0(VALU_DEP_1) | instskip(NEXT) | instid1(VALU_DEP_4)
	v_add_f64 v[28:29], -v[26:27], s[14:15]
	v_add_f64 v[5:6], v[51:52], v[5:6]
	v_and_b32_e32 v30, 0x54442d18, v3
	s_delay_alu instid0(VALU_DEP_3) | instskip(NEXT) | instid1(VALU_DEP_3)
	v_cndmask_b32_e64 v28, v26, v28, s5
	v_cndmask_b32_e32 v1, v5, v1, vcc_lo
	s_delay_alu instid0(VALU_DEP_2) | instskip(SKIP_2) | instid1(VALU_DEP_1)
	v_cndmask_b32_e64 v5, v28, v30, s6
	v_cndmask_b32_e32 v2, v6, v2, vcc_lo
	s_and_b32 vcc_lo, s9, s10
	v_mul_f64 v[25:26], v[1:2], 0.5
	v_cndmask_b32_e64 v1, 0x3fe921fb, v60, s5
	v_and_b32_e32 v2, 0x400921fb, v3
	v_cndmask_b32_e64 v3, v27, v29, s5
	v_cndmask_b32_e32 v27, v5, v7, vcc_lo
                                        ; implicit-def: $vgpr5_vgpr6
	s_delay_alu instid0(VALU_DEP_4) | instskip(NEXT) | instid1(VALU_DEP_3)
	v_bfi_b32 v1, 0x7fffffff, v1, v16
	v_cndmask_b32_e64 v2, v3, v2, s6
	s_delay_alu instid0(VALU_DEP_1)
	v_cndmask_b32_e32 v28, v2, v1, vcc_lo
.LBB168_242:                            ;   in Loop: Header=BB168_145 Depth=1
	s_and_not1_saveexec_b32 s6, s8
	s_cbranch_execz .LBB168_244
; %bb.243:                              ;   in Loop: Header=BB168_145 Depth=1
	v_max_f64 v[1:2], |v[15:16]|, |v[15:16]|
	v_max_f64 v[25:26], |v[13:14]|, |v[13:14]|
	s_mov_b32 s14, s86
	v_cmp_class_f64_e64 s8, v[15:16], 0x204
	v_cmp_class_f64_e64 s9, v[13:14], 0x204
	v_cmp_eq_f64_e64 s5, 0, v[15:16]
	v_ashrrev_i32_e32 v3, 31, v14
	v_max_f64 v[27:28], v[25:26], v[1:2]
	v_min_f64 v[1:2], v[25:26], v[1:2]
	s_delay_alu instid0(VALU_DEP_1) | instskip(SKIP_1) | instid1(VALU_DEP_2)
	v_div_scale_f64 v[25:26], null, v[27:28], v[27:28], v[1:2]
	v_div_scale_f64 v[43:44], vcc_lo, v[1:2], v[27:28], v[1:2]
	v_rcp_f64_e32 v[29:30], v[25:26]
	s_waitcnt_depctr 0xfff
	v_fma_f64 v[31:32], -v[25:26], v[29:30], 1.0
	s_delay_alu instid0(VALU_DEP_1) | instskip(NEXT) | instid1(VALU_DEP_1)
	v_fma_f64 v[29:30], v[29:30], v[31:32], v[29:30]
	v_fma_f64 v[31:32], -v[25:26], v[29:30], 1.0
	s_delay_alu instid0(VALU_DEP_1) | instskip(NEXT) | instid1(VALU_DEP_1)
	v_fma_f64 v[29:30], v[29:30], v[31:32], v[29:30]
	v_mul_f64 v[31:32], v[43:44], v[29:30]
	s_delay_alu instid0(VALU_DEP_1) | instskip(NEXT) | instid1(VALU_DEP_1)
	v_fma_f64 v[25:26], -v[25:26], v[31:32], v[43:44]
	v_div_fmas_f64 v[25:26], v[25:26], v[29:30], v[31:32]
	v_cmp_gt_i32_e32 vcc_lo, 0, v14
	v_cndmask_b32_e32 v7, 0x54442d18, v59, vcc_lo
	s_delay_alu instid0(VALU_DEP_3) | instskip(NEXT) | instid1(VALU_DEP_1)
	v_div_fixup_f64 v[1:2], v[25:26], v[27:28], v[1:2]
	v_mul_f64 v[25:26], v[1:2], v[1:2]
	s_delay_alu instid0(VALU_DEP_1) | instskip(NEXT) | instid1(VALU_DEP_1)
	v_fma_f64 v[27:28], v[25:26], s[48:49], s[46:47]
	v_fma_f64 v[27:28], v[25:26], v[27:28], s[50:51]
	s_delay_alu instid0(VALU_DEP_1) | instskip(NEXT) | instid1(VALU_DEP_1)
	v_fma_f64 v[27:28], v[25:26], v[27:28], s[52:53]
	v_fma_f64 v[27:28], v[25:26], v[27:28], s[54:55]
	;; [unrolled: 3-line block ×9, first 2 shown]
	s_delay_alu instid0(VALU_DEP_1) | instskip(NEXT) | instid1(VALU_DEP_1)
	v_fma_f64 v[27:28], v[25:26], v[27:28], s[84:85]
	v_mul_f64 v[25:26], v[25:26], v[27:28]
	v_mul_f64 v[28:29], v[5:6], 0.5
	s_delay_alu instid0(VALU_DEP_2) | instskip(NEXT) | instid1(VALU_DEP_1)
	v_fma_f64 v[1:2], v[1:2], v[25:26], v[1:2]
	v_add_f64 v[25:26], -v[1:2], s[86:87]
	s_delay_alu instid0(VALU_DEP_1) | instskip(NEXT) | instid1(VALU_DEP_2)
	v_cndmask_b32_e64 v2, v2, v26, s4
	v_cndmask_b32_e64 v1, v1, v25, s4
	s_delay_alu instid0(VALU_DEP_1) | instskip(NEXT) | instid1(VALU_DEP_1)
	v_add_f64 v[26:27], -v[1:2], s[14:15]
	v_dual_cndmask_b32 v1, v1, v26 :: v_dual_and_b32 v30, 0x54442d18, v3
	v_mul_f64 v[25:26], v[5:6], v[28:29]
	v_cndmask_b32_e32 v5, 0x3fe921fb, v60, vcc_lo
	s_delay_alu instid0(VALU_DEP_4) | instskip(SKIP_2) | instid1(VALU_DEP_3)
	v_cndmask_b32_e32 v2, v2, v27, vcc_lo
	s_and_b32 vcc_lo, s8, s9
	v_cndmask_b32_e64 v1, v1, v30, s5
	v_bfi_b32 v5, 0x7fffffff, v5, v16
	v_and_b32_e32 v3, 0x400921fb, v3
	s_delay_alu instid0(VALU_DEP_3) | instskip(NEXT) | instid1(VALU_DEP_2)
	v_cndmask_b32_e32 v27, v1, v7, vcc_lo
	v_cndmask_b32_e64 v2, v2, v3, s5
	s_delay_alu instid0(VALU_DEP_1)
	v_cndmask_b32_e32 v28, v2, v5, vcc_lo
.LBB168_244:                            ;   in Loop: Header=BB168_145 Depth=1
	s_or_b32 exec_lo, exec_lo, s6
.LBB168_245:                            ;   in Loop: Header=BB168_145 Depth=1
	s_delay_alu instid0(SALU_CYCLE_1)
	s_or_b32 exec_lo, exec_lo, s7
.LBB168_246:                            ;   in Loop: Header=BB168_145 Depth=1
	s_and_not1_saveexec_b32 s7, s88
	s_cbranch_execz .LBB168_248
; %bb.247:                              ;   in Loop: Header=BB168_145 Depth=1
	v_div_scale_f64 v[1:2], null, s[92:93], s[92:93], v[13:14]
	v_div_scale_f64 v[5:6], null, s[92:93], s[92:93], v[15:16]
	v_div_scale_f64 v[43:44], vcc_lo, v[13:14], s[92:93], v[13:14]
	v_max_f64 v[47:48], |v[13:14]|, |v[13:14]|
	s_mov_b32 s97, s25
	s_mov_b32 s14, s86
	s_delay_alu instid0(VALU_DEP_4) | instskip(NEXT) | instid1(VALU_DEP_3)
	v_rcp_f64_e32 v[25:26], v[1:2]
	v_rcp_f64_e32 v[27:28], v[5:6]
	s_waitcnt_depctr 0xfff
	v_fma_f64 v[29:30], -v[1:2], v[25:26], 1.0
	v_fma_f64 v[31:32], -v[5:6], v[27:28], 1.0
	s_delay_alu instid0(VALU_DEP_2) | instskip(NEXT) | instid1(VALU_DEP_2)
	v_fma_f64 v[25:26], v[25:26], v[29:30], v[25:26]
	v_fma_f64 v[27:28], v[27:28], v[31:32], v[27:28]
	s_delay_alu instid0(VALU_DEP_2) | instskip(NEXT) | instid1(VALU_DEP_2)
	v_fma_f64 v[29:30], -v[1:2], v[25:26], 1.0
	v_fma_f64 v[31:32], -v[5:6], v[27:28], 1.0
	s_delay_alu instid0(VALU_DEP_2) | instskip(SKIP_1) | instid1(VALU_DEP_3)
	v_fma_f64 v[25:26], v[25:26], v[29:30], v[25:26]
	v_div_scale_f64 v[29:30], s5, v[15:16], s[92:93], v[15:16]
	v_fma_f64 v[27:28], v[27:28], v[31:32], v[27:28]
	s_delay_alu instid0(VALU_DEP_3) | instskip(NEXT) | instid1(VALU_DEP_2)
	v_mul_f64 v[31:32], v[43:44], v[25:26]
	v_mul_f64 v[45:46], v[29:30], v[27:28]
	s_delay_alu instid0(VALU_DEP_2) | instskip(NEXT) | instid1(VALU_DEP_2)
	v_fma_f64 v[1:2], -v[1:2], v[31:32], v[43:44]
	v_fma_f64 v[5:6], -v[5:6], v[45:46], v[29:30]
	s_delay_alu instid0(VALU_DEP_2) | instskip(SKIP_1) | instid1(VALU_DEP_2)
	v_div_fmas_f64 v[1:2], v[1:2], v[25:26], v[31:32]
	s_mov_b32 vcc_lo, s5
	v_div_fmas_f64 v[5:6], v[5:6], v[27:28], v[45:46]
	s_delay_alu instid0(VALU_DEP_2) | instskip(NEXT) | instid1(VALU_DEP_2)
	v_div_fixup_f64 v[1:2], v[1:2], s[92:93], v[13:14]
	v_div_fixup_f64 v[5:6], v[5:6], s[92:93], v[15:16]
	s_delay_alu instid0(VALU_DEP_2) | instskip(NEXT) | instid1(VALU_DEP_2)
	v_cmp_class_f64_e64 s6, v[1:2], 0x204
	v_max_f64 v[25:26], |v[1:2]|, |v[5:6]|
	v_cmp_o_f64_e64 s5, v[1:2], v[5:6]
	v_cmp_class_f64_e64 s8, v[5:6], 0x204
	s_delay_alu instid0(VALU_DEP_3) | instskip(NEXT) | instid1(VALU_DEP_2)
	v_frexp_exp_i32_f64_e32 v3, v[25:26]
	s_or_b32 s8, s8, s6
	s_delay_alu instid0(VALU_DEP_1) | instskip(NEXT) | instid1(VALU_DEP_1)
	v_sub_nc_u32_e32 v7, 0, v3
	v_ldexp_f64 v[25:26], |v[5:6]|, v7
	v_ldexp_f64 v[27:28], |v[1:2]|, v7
	s_delay_alu instid0(VALU_DEP_2) | instskip(NEXT) | instid1(VALU_DEP_1)
	v_mul_f64 v[25:26], v[25:26], v[25:26]
	v_fma_f64 v[25:26], v[27:28], v[27:28], v[25:26]
	s_delay_alu instid0(VALU_DEP_1) | instskip(SKIP_4) | instid1(VALU_DEP_1)
	v_rsq_f64_e32 v[27:28], v[25:26]
	v_cmp_eq_f64_e32 vcc_lo, 0, v[25:26]
	s_waitcnt_depctr 0xfff
	v_mul_f64 v[29:30], v[25:26], v[27:28]
	v_mul_f64 v[27:28], v[27:28], 0.5
	v_fma_f64 v[31:32], -v[27:28], v[29:30], 0.5
	s_delay_alu instid0(VALU_DEP_1) | instskip(SKIP_1) | instid1(VALU_DEP_2)
	v_fma_f64 v[29:30], v[29:30], v[31:32], v[29:30]
	v_fma_f64 v[27:28], v[27:28], v[31:32], v[27:28]
	v_fma_f64 v[31:32], -v[29:30], v[29:30], v[25:26]
	s_delay_alu instid0(VALU_DEP_1) | instskip(NEXT) | instid1(VALU_DEP_1)
	v_fma_f64 v[27:28], v[31:32], v[27:28], v[29:30]
	v_dual_cndmask_b32 v26, v28, v26 :: v_dual_cndmask_b32 v25, v27, v25
	s_delay_alu instid0(VALU_DEP_1) | instskip(NEXT) | instid1(VALU_DEP_1)
	v_ldexp_f64 v[25:26], v[25:26], v3
	v_cndmask_b32_e64 v3, 0, v25, s5
	s_delay_alu instid0(VALU_DEP_2) | instskip(NEXT) | instid1(VALU_DEP_2)
	v_cndmask_b32_e64 v7, 0x7ff80000, v26, s5
	v_cndmask_b32_e64 v1, v3, 0, s8
	s_delay_alu instid0(VALU_DEP_2) | instskip(NEXT) | instid1(VALU_DEP_1)
	v_cndmask_b32_e64 v2, v7, 0x7ff00000, s8
	v_frexp_mant_f64_e32 v[5:6], v[1:2]
	s_delay_alu instid0(VALU_DEP_1) | instskip(NEXT) | instid1(VALU_DEP_1)
	v_cmp_gt_f64_e64 s6, s[24:25], v[5:6]
	v_cndmask_b32_e64 v34, 0x3ff00000, 2.0, s6
	s_delay_alu instid0(VALU_DEP_1) | instskip(SKIP_1) | instid1(VALU_DEP_2)
	v_mul_f64 v[5:6], v[5:6], v[33:34]
	v_frexp_exp_i32_f64_e32 v34, v[1:2]
	v_add_f64 v[27:28], v[5:6], 1.0
	v_add_f64 v[43:44], v[5:6], -1.0
	s_delay_alu instid0(VALU_DEP_2) | instskip(SKIP_1) | instid1(VALU_DEP_1)
	v_rcp_f64_e32 v[29:30], v[27:28]
	v_add_f64 v[49:50], v[27:28], -1.0
	v_add_f64 v[5:6], v[5:6], -v[49:50]
	s_waitcnt_depctr 0xfff
	v_fma_f64 v[31:32], -v[27:28], v[29:30], 1.0
	s_delay_alu instid0(VALU_DEP_1) | instskip(NEXT) | instid1(VALU_DEP_1)
	v_fma_f64 v[29:30], v[31:32], v[29:30], v[29:30]
	v_fma_f64 v[31:32], -v[27:28], v[29:30], 1.0
	s_delay_alu instid0(VALU_DEP_1) | instskip(SKIP_1) | instid1(VALU_DEP_2)
	v_fma_f64 v[29:30], v[31:32], v[29:30], v[29:30]
	v_max_f64 v[31:32], |v[15:16]|, |v[15:16]|
	v_mul_f64 v[45:46], v[43:44], v[29:30]
	s_delay_alu instid0(VALU_DEP_2) | instskip(SKIP_1) | instid1(VALU_DEP_3)
	v_max_f64 v[53:54], v[47:48], v[31:32]
	v_min_f64 v[31:32], v[47:48], v[31:32]
	v_mul_f64 v[51:52], v[27:28], v[45:46]
	s_delay_alu instid0(VALU_DEP_2) | instskip(NEXT) | instid1(VALU_DEP_2)
	v_div_scale_f64 v[47:48], null, v[53:54], v[53:54], v[31:32]
	v_fma_f64 v[27:28], v[45:46], v[27:28], -v[51:52]
	s_delay_alu instid0(VALU_DEP_1) | instskip(NEXT) | instid1(VALU_DEP_3)
	v_fma_f64 v[5:6], v[45:46], v[5:6], v[27:28]
	v_rcp_f64_e32 v[27:28], v[47:48]
	s_delay_alu instid0(VALU_DEP_1) | instskip(SKIP_4) | instid1(VALU_DEP_3)
	v_add_f64 v[49:50], v[51:52], v[5:6]
	s_waitcnt_depctr 0xfff
	v_fma_f64 v[55:56], -v[47:48], v[27:28], 1.0
	v_add_f64 v[57:58], v[43:44], -v[49:50]
	v_add_f64 v[51:52], v[49:50], -v[51:52]
	v_fma_f64 v[27:28], v[27:28], v[55:56], v[27:28]
	s_delay_alu instid0(VALU_DEP_3) | instskip(NEXT) | instid1(VALU_DEP_3)
	v_add_f64 v[43:44], v[43:44], -v[57:58]
	v_add_f64 v[5:6], v[51:52], -v[5:6]
	s_delay_alu instid0(VALU_DEP_3) | instskip(NEXT) | instid1(VALU_DEP_3)
	v_fma_f64 v[55:56], -v[47:48], v[27:28], 1.0
	v_add_f64 v[43:44], v[43:44], -v[49:50]
	v_div_scale_f64 v[49:50], vcc_lo, v[31:32], v[53:54], v[31:32]
	s_delay_alu instid0(VALU_DEP_3) | instskip(NEXT) | instid1(VALU_DEP_3)
	v_fma_f64 v[27:28], v[27:28], v[55:56], v[27:28]
	v_add_f64 v[5:6], v[5:6], v[43:44]
	s_delay_alu instid0(VALU_DEP_2) | instskip(NEXT) | instid1(VALU_DEP_2)
	v_mul_f64 v[43:44], v[49:50], v[27:28]
	v_add_f64 v[5:6], v[57:58], v[5:6]
	s_delay_alu instid0(VALU_DEP_2) | instskip(NEXT) | instid1(VALU_DEP_2)
	v_fma_f64 v[47:48], -v[47:48], v[43:44], v[49:50]
	v_mul_f64 v[5:6], v[29:30], v[5:6]
	s_delay_alu instid0(VALU_DEP_2) | instskip(SKIP_2) | instid1(VALU_DEP_4)
	v_div_fmas_f64 v[27:28], v[47:48], v[27:28], v[43:44]
	v_subrev_co_ci_u32_e64 v34, vcc_lo, 0, v34, s6
	v_cmp_class_f64_e64 s6, v[13:14], 0x204
	v_add_f64 v[29:30], v[45:46], v[5:6]
	s_delay_alu instid0(VALU_DEP_4) | instskip(NEXT) | instid1(VALU_DEP_2)
	v_div_fixup_f64 v[27:28], v[27:28], v[53:54], v[31:32]
	v_mul_f64 v[31:32], v[29:30], v[29:30]
	s_delay_alu instid0(VALU_DEP_2) | instskip(NEXT) | instid1(VALU_DEP_2)
	v_mul_f64 v[43:44], v[27:28], v[27:28]
	v_fma_f64 v[47:48], v[31:32], s[28:29], s[26:27]
	v_mul_f64 v[51:52], v[29:30], v[31:32]
	s_delay_alu instid0(VALU_DEP_3) | instskip(NEXT) | instid1(VALU_DEP_3)
	v_fma_f64 v[49:50], v[43:44], s[48:49], s[46:47]
	v_fma_f64 v[47:48], v[31:32], v[47:48], s[34:35]
	s_delay_alu instid0(VALU_DEP_2) | instskip(NEXT) | instid1(VALU_DEP_2)
	v_fma_f64 v[49:50], v[43:44], v[49:50], s[50:51]
	v_fma_f64 v[47:48], v[31:32], v[47:48], s[36:37]
	s_delay_alu instid0(VALU_DEP_2) | instskip(NEXT) | instid1(VALU_DEP_2)
	;; [unrolled: 3-line block ×4, first 2 shown]
	v_fma_f64 v[49:50], v[43:44], v[49:50], s[56:57]
	v_fma_f64 v[31:32], v[31:32], v[47:48], s[96:97]
	s_delay_alu instid0(VALU_DEP_2) | instskip(SKIP_2) | instid1(VALU_DEP_4)
	v_fma_f64 v[47:48], v[43:44], v[49:50], s[58:59]
	v_ldexp_f64 v[49:50], v[29:30], 1
	v_add_f64 v[29:30], v[29:30], -v[45:46]
	v_mul_f64 v[31:32], v[51:52], v[31:32]
	v_cvt_f64_i32_e32 v[51:52], v34
	v_fma_f64 v[47:48], v[43:44], v[47:48], s[60:61]
	s_delay_alu instid0(VALU_DEP_4) | instskip(NEXT) | instid1(VALU_DEP_4)
	v_add_f64 v[5:6], v[5:6], -v[29:30]
	v_add_f64 v[45:46], v[49:50], v[31:32]
	s_delay_alu instid0(VALU_DEP_4) | instskip(NEXT) | instid1(VALU_DEP_4)
	v_mul_f64 v[53:54], v[51:52], s[42:43]
	v_fma_f64 v[47:48], v[43:44], v[47:48], s[62:63]
	s_delay_alu instid0(VALU_DEP_4) | instskip(NEXT) | instid1(VALU_DEP_4)
	v_ldexp_f64 v[5:6], v[5:6], 1
	v_add_f64 v[29:30], v[45:46], -v[49:50]
	s_delay_alu instid0(VALU_DEP_4) | instskip(NEXT) | instid1(VALU_DEP_4)
	v_fma_f64 v[49:50], v[51:52], s[42:43], -v[53:54]
	v_fma_f64 v[47:48], v[43:44], v[47:48], s[64:65]
	s_delay_alu instid0(VALU_DEP_3) | instskip(NEXT) | instid1(VALU_DEP_2)
	v_add_f64 v[29:30], v[31:32], -v[29:30]
	v_fma_f64 v[31:32], v[43:44], v[47:48], s[66:67]
	s_delay_alu instid0(VALU_DEP_4) | instskip(NEXT) | instid1(VALU_DEP_3)
	v_fma_f64 v[47:48], v[51:52], s[44:45], v[49:50]
	v_add_f64 v[5:6], v[5:6], v[29:30]
	s_delay_alu instid0(VALU_DEP_3) | instskip(NEXT) | instid1(VALU_DEP_3)
	v_fma_f64 v[29:30], v[43:44], v[31:32], s[68:69]
	v_add_f64 v[31:32], v[53:54], v[47:48]
	s_delay_alu instid0(VALU_DEP_3) | instskip(NEXT) | instid1(VALU_DEP_3)
	v_add_f64 v[49:50], v[45:46], v[5:6]
	v_fma_f64 v[29:30], v[43:44], v[29:30], s[70:71]
	s_delay_alu instid0(VALU_DEP_3) | instskip(NEXT) | instid1(VALU_DEP_3)
	v_add_f64 v[53:54], v[31:32], -v[53:54]
	v_add_f64 v[51:52], v[31:32], v[49:50]
	v_add_f64 v[45:46], v[49:50], -v[45:46]
	s_delay_alu instid0(VALU_DEP_4) | instskip(NEXT) | instid1(VALU_DEP_4)
	v_fma_f64 v[29:30], v[43:44], v[29:30], s[72:73]
	v_add_f64 v[47:48], v[47:48], -v[53:54]
	s_delay_alu instid0(VALU_DEP_4) | instskip(NEXT) | instid1(VALU_DEP_4)
	v_add_f64 v[55:56], v[51:52], -v[31:32]
	v_add_f64 v[5:6], v[5:6], -v[45:46]
	s_delay_alu instid0(VALU_DEP_4) | instskip(NEXT) | instid1(VALU_DEP_3)
	v_fma_f64 v[29:30], v[43:44], v[29:30], s[74:75]
	v_add_f64 v[57:58], v[51:52], -v[55:56]
	v_add_f64 v[45:46], v[49:50], -v[55:56]
	s_delay_alu instid0(VALU_DEP_4) | instskip(NEXT) | instid1(VALU_DEP_4)
	v_add_f64 v[49:50], v[47:48], v[5:6]
	v_fma_f64 v[29:30], v[43:44], v[29:30], s[76:77]
	s_delay_alu instid0(VALU_DEP_4) | instskip(NEXT) | instid1(VALU_DEP_2)
	v_add_f64 v[31:32], v[31:32], -v[57:58]
	v_fma_f64 v[29:30], v[43:44], v[29:30], s[78:79]
	s_delay_alu instid0(VALU_DEP_2) | instskip(SKIP_1) | instid1(VALU_DEP_3)
	v_add_f64 v[31:32], v[45:46], v[31:32]
	v_add_f64 v[45:46], v[49:50], -v[47:48]
	v_fma_f64 v[29:30], v[43:44], v[29:30], s[80:81]
	s_delay_alu instid0(VALU_DEP_3) | instskip(NEXT) | instid1(VALU_DEP_3)
	v_add_f64 v[31:32], v[49:50], v[31:32]
	v_add_f64 v[49:50], v[49:50], -v[45:46]
	v_add_f64 v[5:6], v[5:6], -v[45:46]
	s_delay_alu instid0(VALU_DEP_4) | instskip(NEXT) | instid1(VALU_DEP_4)
	v_fma_f64 v[29:30], v[43:44], v[29:30], s[82:83]
	v_add_f64 v[53:54], v[51:52], v[31:32]
	s_delay_alu instid0(VALU_DEP_4) | instskip(NEXT) | instid1(VALU_DEP_3)
	v_add_f64 v[45:46], v[47:48], -v[49:50]
	v_fma_f64 v[29:30], v[43:44], v[29:30], s[84:85]
	s_delay_alu instid0(VALU_DEP_3) | instskip(NEXT) | instid1(VALU_DEP_3)
	v_add_f64 v[47:48], v[53:54], -v[51:52]
	v_add_f64 v[5:6], v[5:6], v[45:46]
	s_delay_alu instid0(VALU_DEP_3) | instskip(NEXT) | instid1(VALU_DEP_3)
	v_mul_f64 v[29:30], v[43:44], v[29:30]
	v_add_f64 v[31:32], v[31:32], -v[47:48]
	s_delay_alu instid0(VALU_DEP_2) | instskip(NEXT) | instid1(VALU_DEP_2)
	v_fma_f64 v[27:28], v[27:28], v[29:30], v[27:28]
	v_add_f64 v[5:6], v[5:6], v[31:32]
	s_delay_alu instid0(VALU_DEP_2) | instskip(NEXT) | instid1(VALU_DEP_2)
	v_add_f64 v[29:30], -v[27:28], s[86:87]
	v_add_f64 v[5:6], v[53:54], v[5:6]
	v_and_b32_e32 v26, 0x7fffffff, v26
	s_delay_alu instid0(VALU_DEP_1) | instskip(NEXT) | instid1(VALU_DEP_4)
	v_cmp_eq_f64_e32 vcc_lo, 0x7ff00000, v[25:26]
	v_cndmask_b32_e64 v26, v28, v30, s4
	v_cndmask_b32_e64 v25, v27, v29, s4
	v_cmp_eq_f64_e64 s4, 0, v[15:16]
	v_ashrrev_i32_e32 v29, 31, v14
	s_delay_alu instid0(VALU_DEP_3)
	v_add_f64 v[27:28], -v[25:26], s[14:15]
	s_and_b32 vcc_lo, s5, vcc_lo
	v_cmp_class_f64_e64 s5, v[15:16], 0x204
	v_cndmask_b32_e32 v5, v5, v3, vcc_lo
	v_dual_cndmask_b32 v6, v6, v7 :: v_dual_and_b32 v7, 0x54442d18, v29
	v_cmp_gt_i32_e32 vcc_lo, 0, v14
	v_and_b32_e32 v14, 0x400921fb, v29
	s_delay_alu instid0(VALU_DEP_3) | instskip(SKIP_3) | instid1(VALU_DEP_3)
	v_add_f64 v[5:6], v[5:6], 1.0
	v_cndmask_b32_e32 v25, v25, v27, vcc_lo
	v_cndmask_b32_e32 v3, 0x54442d18, v59, vcc_lo
	;; [unrolled: 1-line block ×3, first 2 shown]
	v_cndmask_b32_e64 v7, v25, v7, s4
	v_cndmask_b32_e32 v26, v26, v28, vcc_lo
	v_cmp_ngt_f64_e32 vcc_lo, 0, v[1:2]
	s_delay_alu instid0(VALU_DEP_4) | instskip(SKIP_2) | instid1(VALU_DEP_2)
	v_bfi_b32 v13, 0x7fffffff, v13, v16
	v_cndmask_b32_e64 v6, v6, 0x7ff00000, s8
	v_cndmask_b32_e64 v5, v5, 0, s8
	v_cndmask_b32_e32 v6, 0x7ff80000, v6, vcc_lo
	s_and_b32 vcc_lo, s5, s6
	v_cndmask_b32_e32 v27, v7, v3, vcc_lo
	v_cndmask_b32_e64 v14, v26, v14, s4
	v_cmp_nge_f64_e64 s4, 0, v[1:2]
	s_delay_alu instid0(VALU_DEP_2) | instskip(NEXT) | instid1(VALU_DEP_2)
	v_cndmask_b32_e32 v28, v14, v13, vcc_lo
	v_cndmask_b32_e64 v25, 0, v5, s4
	v_cmp_neq_f64_e64 s4, 0, v[1:2]
	s_delay_alu instid0(VALU_DEP_1)
	v_cndmask_b32_e64 v26, 0xfff00000, v6, s4
.LBB168_248:                            ;   in Loop: Header=BB168_145 Depth=1
	s_or_b32 exec_lo, exec_lo, s7
.LBB168_249:                            ;   in Loop: Header=BB168_145 Depth=1
	s_and_not1_saveexec_b32 s4, vcc_hi
	s_cbranch_execz .LBB168_255
; %bb.250:                              ;   in Loop: Header=BB168_145 Depth=1
	v_cmp_ngt_f64_e64 s5, 0x20000000, |v[13:14]|
	v_cmp_ngt_f64_e64 s6, 0x20000000, |v[15:16]|
                                        ; implicit-def: $vgpr1_vgpr2
	s_delay_alu instid0(VALU_DEP_1) | instskip(NEXT) | instid1(SALU_CYCLE_1)
	s_or_b32 s5, s6, s5
	s_and_saveexec_b32 s6, s5
	s_delay_alu instid0(SALU_CYCLE_1)
	s_xor_b32 s5, exec_lo, s6
; %bb.251:                              ;   in Loop: Header=BB168_145 Depth=1
	v_mul_f64 v[1:2], v[13:14], v[13:14]
	s_delay_alu instid0(VALU_DEP_1)
	v_fma_f64 v[1:2], v[15:16], v[15:16], v[1:2]
; %bb.252:                              ;   in Loop: Header=BB168_145 Depth=1
	s_and_not1_saveexec_b32 s5, s5
; %bb.253:                              ;   in Loop: Header=BB168_145 Depth=1
	v_mul_f64 v[1:2], v[13:14], 4.0
	v_mul_f64 v[5:6], v[15:16], 4.0
	s_delay_alu instid0(VALU_DEP_2) | instskip(NEXT) | instid1(VALU_DEP_1)
	v_mul_f64 v[1:2], v[1:2], v[1:2]
	v_fma_f64 v[1:2], v[5:6], v[5:6], v[1:2]
	s_delay_alu instid0(VALU_DEP_1)
	v_ldexp_f64 v[1:2], v[1:2], -4
; %bb.254:                              ;   in Loop: Header=BB168_145 Depth=1
	s_or_b32 exec_lo, exec_lo, s5
	s_delay_alu instid0(VALU_DEP_1) | instskip(SKIP_2) | instid1(VALU_DEP_2)
	v_frexp_mant_f64_e32 v[5:6], v[1:2]
	s_mov_b32 s97, s25
	v_frexp_exp_i32_f64_e32 v3, v[1:2]
	v_cmp_gt_f64_e32 vcc_lo, s[24:25], v[5:6]
	v_cndmask_b32_e64 v34, 0x3ff00000, 2.0, vcc_lo
	s_delay_alu instid0(VALU_DEP_3) | instskip(SKIP_1) | instid1(VALU_DEP_3)
	v_subrev_co_ci_u32_e32 v3, vcc_lo, 0, v3, vcc_lo
	v_cmp_class_f64_e64 vcc_lo, v[1:2], 0x204
	v_mul_f64 v[5:6], v[5:6], v[33:34]
	s_delay_alu instid0(VALU_DEP_1) | instskip(SKIP_1) | instid1(VALU_DEP_2)
	v_add_f64 v[13:14], v[5:6], 1.0
	v_add_f64 v[29:30], v[5:6], -1.0
	v_rcp_f64_e32 v[25:26], v[13:14]
	v_add_f64 v[31:32], v[13:14], -1.0
	s_delay_alu instid0(VALU_DEP_1) | instskip(SKIP_2) | instid1(VALU_DEP_1)
	v_add_f64 v[5:6], v[5:6], -v[31:32]
	s_waitcnt_depctr 0xfff
	v_fma_f64 v[27:28], -v[13:14], v[25:26], 1.0
	v_fma_f64 v[25:26], v[27:28], v[25:26], v[25:26]
	s_delay_alu instid0(VALU_DEP_1) | instskip(NEXT) | instid1(VALU_DEP_1)
	v_fma_f64 v[27:28], -v[13:14], v[25:26], 1.0
	v_fma_f64 v[25:26], v[27:28], v[25:26], v[25:26]
	s_delay_alu instid0(VALU_DEP_1) | instskip(NEXT) | instid1(VALU_DEP_1)
	v_mul_f64 v[27:28], v[29:30], v[25:26]
	v_mul_f64 v[43:44], v[13:14], v[27:28]
	s_delay_alu instid0(VALU_DEP_1) | instskip(NEXT) | instid1(VALU_DEP_1)
	v_fma_f64 v[13:14], v[27:28], v[13:14], -v[43:44]
	v_fma_f64 v[5:6], v[27:28], v[5:6], v[13:14]
	s_delay_alu instid0(VALU_DEP_1) | instskip(NEXT) | instid1(VALU_DEP_1)
	v_add_f64 v[13:14], v[43:44], v[5:6]
	v_add_f64 v[31:32], v[29:30], -v[13:14]
	v_add_f64 v[43:44], v[13:14], -v[43:44]
	s_delay_alu instid0(VALU_DEP_2) | instskip(NEXT) | instid1(VALU_DEP_2)
	v_add_f64 v[29:30], v[29:30], -v[31:32]
	v_add_f64 v[5:6], v[43:44], -v[5:6]
	s_delay_alu instid0(VALU_DEP_2) | instskip(NEXT) | instid1(VALU_DEP_1)
	v_add_f64 v[13:14], v[29:30], -v[13:14]
	v_add_f64 v[5:6], v[5:6], v[13:14]
	s_delay_alu instid0(VALU_DEP_1) | instskip(NEXT) | instid1(VALU_DEP_1)
	v_add_f64 v[5:6], v[31:32], v[5:6]
	v_mul_f64 v[5:6], v[25:26], v[5:6]
	s_delay_alu instid0(VALU_DEP_1) | instskip(NEXT) | instid1(VALU_DEP_1)
	v_add_f64 v[13:14], v[27:28], v[5:6]
	v_mul_f64 v[25:26], v[13:14], v[13:14]
	s_delay_alu instid0(VALU_DEP_1) | instskip(SKIP_1) | instid1(VALU_DEP_2)
	v_fma_f64 v[29:30], v[25:26], s[28:29], s[26:27]
	v_mul_f64 v[31:32], v[13:14], v[25:26]
	v_fma_f64 v[29:30], v[25:26], v[29:30], s[34:35]
	s_delay_alu instid0(VALU_DEP_1) | instskip(NEXT) | instid1(VALU_DEP_1)
	v_fma_f64 v[29:30], v[25:26], v[29:30], s[36:37]
	v_fma_f64 v[29:30], v[25:26], v[29:30], s[38:39]
	s_delay_alu instid0(VALU_DEP_1) | instskip(NEXT) | instid1(VALU_DEP_1)
	v_fma_f64 v[29:30], v[25:26], v[29:30], s[40:41]
	v_fma_f64 v[25:26], v[25:26], v[29:30], s[96:97]
	v_ldexp_f64 v[29:30], v[13:14], 1
	v_add_f64 v[13:14], v[13:14], -v[27:28]
	s_delay_alu instid0(VALU_DEP_3) | instskip(SKIP_1) | instid1(VALU_DEP_3)
	v_mul_f64 v[25:26], v[31:32], v[25:26]
	v_cvt_f64_i32_e32 v[31:32], v3
	v_add_f64 v[5:6], v[5:6], -v[13:14]
	s_delay_alu instid0(VALU_DEP_3) | instskip(NEXT) | instid1(VALU_DEP_3)
	v_add_f64 v[27:28], v[29:30], v[25:26]
	v_mul_f64 v[43:44], v[31:32], s[42:43]
	s_delay_alu instid0(VALU_DEP_3) | instskip(NEXT) | instid1(VALU_DEP_3)
	v_ldexp_f64 v[5:6], v[5:6], 1
	v_add_f64 v[13:14], v[27:28], -v[29:30]
	s_delay_alu instid0(VALU_DEP_3) | instskip(NEXT) | instid1(VALU_DEP_2)
	v_fma_f64 v[29:30], v[31:32], s[42:43], -v[43:44]
	v_add_f64 v[13:14], v[25:26], -v[13:14]
	s_delay_alu instid0(VALU_DEP_2) | instskip(NEXT) | instid1(VALU_DEP_2)
	v_fma_f64 v[25:26], v[31:32], s[44:45], v[29:30]
	v_add_f64 v[5:6], v[5:6], v[13:14]
	s_delay_alu instid0(VALU_DEP_2) | instskip(NEXT) | instid1(VALU_DEP_2)
	v_add_f64 v[13:14], v[43:44], v[25:26]
	v_add_f64 v[29:30], v[27:28], v[5:6]
	s_delay_alu instid0(VALU_DEP_2) | instskip(NEXT) | instid1(VALU_DEP_2)
	v_add_f64 v[43:44], v[13:14], -v[43:44]
	v_add_f64 v[31:32], v[13:14], v[29:30]
	v_add_f64 v[27:28], v[29:30], -v[27:28]
	s_delay_alu instid0(VALU_DEP_3) | instskip(NEXT) | instid1(VALU_DEP_3)
	v_add_f64 v[25:26], v[25:26], -v[43:44]
	v_add_f64 v[45:46], v[31:32], -v[13:14]
	s_delay_alu instid0(VALU_DEP_3) | instskip(NEXT) | instid1(VALU_DEP_2)
	v_add_f64 v[5:6], v[5:6], -v[27:28]
	v_add_f64 v[47:48], v[31:32], -v[45:46]
	;; [unrolled: 1-line block ×3, first 2 shown]
	s_delay_alu instid0(VALU_DEP_3) | instskip(NEXT) | instid1(VALU_DEP_3)
	v_add_f64 v[29:30], v[25:26], v[5:6]
	v_add_f64 v[13:14], v[13:14], -v[47:48]
	s_delay_alu instid0(VALU_DEP_1) | instskip(NEXT) | instid1(VALU_DEP_3)
	v_add_f64 v[13:14], v[27:28], v[13:14]
	v_add_f64 v[27:28], v[29:30], -v[25:26]
	s_delay_alu instid0(VALU_DEP_2) | instskip(NEXT) | instid1(VALU_DEP_2)
	v_add_f64 v[13:14], v[29:30], v[13:14]
	v_add_f64 v[29:30], v[29:30], -v[27:28]
	v_add_f64 v[5:6], v[5:6], -v[27:28]
	s_delay_alu instid0(VALU_DEP_3) | instskip(NEXT) | instid1(VALU_DEP_3)
	v_add_f64 v[43:44], v[31:32], v[13:14]
	v_add_f64 v[25:26], v[25:26], -v[29:30]
	s_delay_alu instid0(VALU_DEP_2) | instskip(NEXT) | instid1(VALU_DEP_2)
	v_add_f64 v[27:28], v[43:44], -v[31:32]
	v_add_f64 v[5:6], v[5:6], v[25:26]
	s_delay_alu instid0(VALU_DEP_2) | instskip(NEXT) | instid1(VALU_DEP_1)
	v_add_f64 v[13:14], v[13:14], -v[27:28]
	v_add_f64 v[5:6], v[5:6], v[13:14]
	s_delay_alu instid0(VALU_DEP_1) | instskip(NEXT) | instid1(VALU_DEP_1)
	v_add_f64 v[5:6], v[43:44], v[5:6]
	v_cndmask_b32_e32 v3, v5, v1, vcc_lo
	s_delay_alu instid0(VALU_DEP_2) | instskip(SKIP_1) | instid1(VALU_DEP_2)
	v_cndmask_b32_e32 v5, v6, v2, vcc_lo
	v_cmp_ngt_f64_e32 vcc_lo, 0, v[1:2]
	v_cndmask_b32_e32 v5, 0x7ff80000, v5, vcc_lo
	v_cmp_nge_f64_e32 vcc_lo, 0, v[1:2]
	v_mov_b32_e32 v27, 0
	v_dual_mov_b32 v28, 0x7ff80000 :: v_dual_cndmask_b32 v25, 0, v3
	v_cmp_neq_f64_e32 vcc_lo, 0, v[1:2]
	v_cndmask_b32_e32 v26, 0xfff00000, v5, vcc_lo
.LBB168_255:                            ;   in Loop: Header=BB168_145 Depth=1
	s_or_b32 exec_lo, exec_lo, s4
                                        ; implicit-def: $vgpr29_vgpr30
	s_delay_alu instid0(SALU_CYCLE_1)
	s_mov_b32 s4, exec_lo
	v_cmpx_o_f64_e32 v[9:10], v[11:12]
	s_xor_b32 vcc_hi, exec_lo, s4
	s_cbranch_execnz .LBB168_261
; %bb.256:                              ;   in Loop: Header=BB168_145 Depth=1
	s_and_not1_saveexec_b32 s4, vcc_hi
	s_cbranch_execnz .LBB168_288
.LBB168_257:                            ;   in Loop: Header=BB168_145 Depth=1
	s_or_b32 exec_lo, exec_lo, s4
	s_and_saveexec_b32 s4, s0
	s_delay_alu instid0(SALU_CYCLE_1)
	s_xor_b32 s0, exec_lo, s4
	s_cbranch_execnz .LBB168_293
.LBB168_258:                            ;   in Loop: Header=BB168_145 Depth=1
	s_or_b32 exec_lo, exec_lo, s0
	s_and_saveexec_b32 s0, s1
	s_cbranch_execnz .LBB168_294
.LBB168_259:                            ;   in Loop: Header=BB168_145 Depth=1
	s_or_b32 exec_lo, exec_lo, s0
	s_and_saveexec_b32 s0, s2
	s_cbranch_execnz .LBB168_295
.LBB168_260:                            ;   in Loop: Header=BB168_145 Depth=1
	s_or_b32 exec_lo, exec_lo, s0
	s_and_saveexec_b32 s0, s3
	s_cbranch_execz .LBB168_144
	s_branch .LBB168_296
.LBB168_261:                            ;   in Loop: Header=BB168_145 Depth=1
	v_cmp_lt_f64_e64 s4, |v[9:10]|, |v[11:12]|
	v_and_b32_e32 v1, 0x7fffffff, v10
	v_dual_mov_b32 v3, v11 :: v_dual_and_b32 v2, 0x7fffffff, v12
                                        ; implicit-def: $vgpr29_vgpr30
	s_mov_b32 s5, exec_lo
	s_delay_alu instid0(VALU_DEP_1) | instskip(NEXT) | instid1(VALU_DEP_2)
	v_cndmask_b32_e64 v6, v2, v1, s4
	v_cndmask_b32_e64 v5, v3, v9, s4
	s_delay_alu instid0(VALU_DEP_1)
	v_cmpx_nlt_f64_e32 s[18:19], v[5:6]
	s_xor_b32 s88, exec_lo, s5
	s_cbranch_execz .LBB168_285
; %bb.262:                              ;   in Loop: Header=BB168_145 Depth=1
	v_cndmask_b32_e64 v14, v1, v2, s4
	v_cndmask_b32_e64 v13, v9, v3, s4
                                        ; implicit-def: $vgpr29_vgpr30
	s_mov_b32 s5, exec_lo
	s_delay_alu instid0(VALU_DEP_1)
	v_cmpx_neq_f64_e32 1.0, v[13:14]
	s_xor_b32 s89, exec_lo, s5
	s_cbranch_execz .LBB168_278
; %bb.263:                              ;   in Loop: Header=BB168_145 Depth=1
	v_max_f64 v[1:2], v[5:6], v[5:6]
	v_max_f64 v[29:30], v[13:14], v[13:14]
	s_mov_b32 s6, 0xc57e649a
	s_mov_b32 s7, 0x4a511b0e
	s_delay_alu instid0(VALU_DEP_1) | instskip(SKIP_1) | instid1(VALU_DEP_2)
	v_min_f64 v[31:32], v[29:30], v[1:2]
	v_max_f64 v[1:2], v[29:30], v[1:2]
                                        ; implicit-def: $vgpr29_vgpr30
	v_cmp_ngt_f64_e32 vcc_lo, s[12:13], v[31:32]
	s_delay_alu instid0(VALU_DEP_2) | instskip(NEXT) | instid1(VALU_DEP_1)
	v_cmp_nlt_f64_e64 s5, s[6:7], v[1:2]
	s_and_b32 s5, s5, vcc_lo
	s_delay_alu instid0(SALU_CYCLE_1) | instskip(NEXT) | instid1(SALU_CYCLE_1)
	s_and_saveexec_b32 s6, s5
	s_xor_b32 s20, exec_lo, s6
	s_cbranch_execz .LBB168_275
; %bb.264:                              ;   in Loop: Header=BB168_145 Depth=1
                                        ; implicit-def: $vgpr29_vgpr30
	s_mov_b32 s5, exec_lo
	v_cmpx_le_f64_e32 1.0, v[13:14]
	s_xor_b32 s6, exec_lo, s5
	s_cbranch_execz .LBB168_266
; %bb.265:                              ;   in Loop: Header=BB168_145 Depth=1
	v_add_f64 v[1:2], v[13:14], -1.0
	v_add_f64 v[13:14], v[13:14], 1.0
	s_mov_b32 s97, s25
	s_mov_b32 s14, s86
	v_cmp_gt_i32_e64 s5, 0, v10
	v_cmp_class_f64_e64 s8, v[9:10], 0x204
	v_cmp_class_f64_e64 s7, v[11:12], 0x204
	s_delay_alu instid0(VALU_DEP_4) | instskip(NEXT) | instid1(VALU_DEP_1)
	v_mul_f64 v[1:2], v[1:2], v[13:14]
	v_fma_f64 v[1:2], v[5:6], v[5:6], v[1:2]
	s_delay_alu instid0(VALU_DEP_1) | instskip(NEXT) | instid1(VALU_DEP_1)
	v_add_f64 v[5:6], v[1:2], 1.0
	v_frexp_mant_f64_e32 v[13:14], v[5:6]
	v_frexp_exp_i32_f64_e32 v3, v[5:6]
	v_add_f64 v[29:30], v[5:6], -1.0
	s_delay_alu instid0(VALU_DEP_3) | instskip(NEXT) | instid1(VALU_DEP_2)
	v_cmp_gt_f64_e32 vcc_lo, s[24:25], v[13:14]
	v_add_f64 v[13:14], v[29:30], -v[5:6]
	v_add_f64 v[29:30], v[1:2], -v[29:30]
	v_subrev_co_ci_u32_e32 v3, vcc_lo, 0, v3, vcc_lo
	s_delay_alu instid0(VALU_DEP_3) | instskip(NEXT) | instid1(VALU_DEP_2)
	v_add_f64 v[13:14], v[13:14], 1.0
	v_sub_nc_u32_e32 v7, 0, v3
	s_delay_alu instid0(VALU_DEP_1) | instskip(NEXT) | instid1(VALU_DEP_3)
	v_ldexp_f64 v[5:6], v[5:6], v7
	v_add_f64 v[13:14], v[29:30], v[13:14]
	s_delay_alu instid0(VALU_DEP_2) | instskip(SKIP_1) | instid1(VALU_DEP_3)
	v_add_f64 v[31:32], v[5:6], 1.0
	v_add_f64 v[47:48], v[5:6], -1.0
	v_ldexp_f64 v[13:14], v[13:14], v7
	v_cndmask_b32_e64 v7, 0x54442d18, v59, s5
	s_delay_alu instid0(VALU_DEP_4) | instskip(NEXT) | instid1(VALU_DEP_4)
	v_add_f64 v[29:30], v[31:32], -1.0
	v_add_f64 v[49:50], v[47:48], 1.0
	s_delay_alu instid0(VALU_DEP_2) | instskip(NEXT) | instid1(VALU_DEP_2)
	v_add_f64 v[29:30], v[5:6], -v[29:30]
	v_add_f64 v[5:6], v[5:6], -v[49:50]
	s_delay_alu instid0(VALU_DEP_2) | instskip(NEXT) | instid1(VALU_DEP_2)
	v_add_f64 v[29:30], v[13:14], v[29:30]
	v_add_f64 v[5:6], v[13:14], v[5:6]
	s_delay_alu instid0(VALU_DEP_2) | instskip(NEXT) | instid1(VALU_DEP_2)
	v_add_f64 v[43:44], v[31:32], v[29:30]
	v_add_f64 v[49:50], v[47:48], v[5:6]
	s_delay_alu instid0(VALU_DEP_2) | instskip(SKIP_1) | instid1(VALU_DEP_2)
	v_rcp_f64_e32 v[45:46], v[43:44]
	v_add_f64 v[31:32], v[43:44], -v[31:32]
	v_add_f64 v[47:48], v[49:50], -v[47:48]
	s_delay_alu instid0(VALU_DEP_2) | instskip(SKIP_3) | instid1(VALU_DEP_2)
	v_add_f64 v[29:30], v[29:30], -v[31:32]
	s_waitcnt_depctr 0xfff
	v_fma_f64 v[51:52], -v[43:44], v[45:46], 1.0
	v_add_f64 v[5:6], v[5:6], -v[47:48]
	v_fma_f64 v[45:46], v[51:52], v[45:46], v[45:46]
	s_delay_alu instid0(VALU_DEP_1) | instskip(NEXT) | instid1(VALU_DEP_1)
	v_fma_f64 v[13:14], -v[43:44], v[45:46], 1.0
	v_fma_f64 v[13:14], v[13:14], v[45:46], v[45:46]
	s_delay_alu instid0(VALU_DEP_1) | instskip(NEXT) | instid1(VALU_DEP_1)
	v_mul_f64 v[45:46], v[49:50], v[13:14]
	v_mul_f64 v[51:52], v[43:44], v[45:46]
	s_delay_alu instid0(VALU_DEP_1) | instskip(NEXT) | instid1(VALU_DEP_1)
	v_fma_f64 v[31:32], v[45:46], v[43:44], -v[51:52]
	v_fma_f64 v[31:32], v[45:46], v[29:30], v[31:32]
	s_delay_alu instid0(VALU_DEP_1) | instskip(NEXT) | instid1(VALU_DEP_1)
	v_add_f64 v[53:54], v[51:52], v[31:32]
	v_add_f64 v[55:56], v[49:50], -v[53:54]
	v_add_f64 v[47:48], v[53:54], -v[51:52]
	v_max_f64 v[51:52], |v[11:12]|, |v[11:12]|
	s_delay_alu instid0(VALU_DEP_3) | instskip(NEXT) | instid1(VALU_DEP_3)
	v_add_f64 v[49:50], v[49:50], -v[55:56]
	v_add_f64 v[31:32], v[47:48], -v[31:32]
	s_delay_alu instid0(VALU_DEP_2) | instskip(SKIP_2) | instid1(VALU_DEP_1)
	v_add_f64 v[49:50], v[49:50], -v[53:54]
	v_max_f64 v[53:54], |v[9:10]|, |v[9:10]|
	v_cndmask_b32_e64 v9, 0x3fe921fb, v60, s5
	v_bfi_b32 v9, 0x7fffffff, v9, v12
	s_delay_alu instid0(VALU_DEP_4) | instskip(NEXT) | instid1(VALU_DEP_4)
	v_add_f64 v[5:6], v[5:6], v[49:50]
	v_max_f64 v[57:58], v[53:54], v[51:52]
	v_min_f64 v[51:52], v[53:54], v[51:52]
	s_delay_alu instid0(VALU_DEP_3) | instskip(NEXT) | instid1(VALU_DEP_1)
	v_add_f64 v[5:6], v[31:32], v[5:6]
	v_add_f64 v[31:32], v[55:56], v[5:6]
	s_delay_alu instid0(VALU_DEP_1) | instskip(SKIP_1) | instid1(VALU_DEP_2)
	v_mul_f64 v[47:48], v[13:14], v[31:32]
	v_add_f64 v[55:56], v[55:56], -v[31:32]
	v_mul_f64 v[49:50], v[43:44], v[47:48]
	s_delay_alu instid0(VALU_DEP_2) | instskip(NEXT) | instid1(VALU_DEP_2)
	v_add_f64 v[5:6], v[5:6], v[55:56]
	v_fma_f64 v[43:44], v[47:48], v[43:44], -v[49:50]
	s_delay_alu instid0(VALU_DEP_1) | instskip(SKIP_1) | instid1(VALU_DEP_2)
	v_fma_f64 v[29:30], v[47:48], v[29:30], v[43:44]
	v_div_scale_f64 v[43:44], null, v[57:58], v[57:58], v[51:52]
	v_add_f64 v[53:54], v[49:50], v[29:30]
	s_delay_alu instid0(VALU_DEP_2) | instskip(NEXT) | instid1(VALU_DEP_1)
	v_rcp_f64_e32 v[61:62], v[43:44]
	v_add_f64 v[63:64], v[31:32], -v[53:54]
	v_add_f64 v[49:50], v[53:54], -v[49:50]
	s_waitcnt_depctr 0xfff
	v_fma_f64 v[65:66], -v[43:44], v[61:62], 1.0
	v_add_f64 v[31:32], v[31:32], -v[63:64]
	v_add_f64 v[29:30], v[49:50], -v[29:30]
	s_delay_alu instid0(VALU_DEP_3) | instskip(NEXT) | instid1(VALU_DEP_3)
	v_fma_f64 v[61:62], v[61:62], v[65:66], v[61:62]
	v_add_f64 v[31:32], v[31:32], -v[53:54]
	s_delay_alu instid0(VALU_DEP_2) | instskip(NEXT) | instid1(VALU_DEP_2)
	v_fma_f64 v[53:54], -v[43:44], v[61:62], 1.0
	v_add_f64 v[5:6], v[5:6], v[31:32]
	v_div_scale_f64 v[31:32], vcc_lo, v[51:52], v[57:58], v[51:52]
	s_delay_alu instid0(VALU_DEP_3) | instskip(SKIP_1) | instid1(VALU_DEP_4)
	v_fma_f64 v[49:50], v[61:62], v[53:54], v[61:62]
	v_add_f64 v[53:54], v[45:46], v[47:48]
	v_add_f64 v[5:6], v[29:30], v[5:6]
	s_delay_alu instid0(VALU_DEP_3) | instskip(NEXT) | instid1(VALU_DEP_3)
	v_mul_f64 v[29:30], v[31:32], v[49:50]
	v_add_f64 v[45:46], v[53:54], -v[45:46]
	s_delay_alu instid0(VALU_DEP_3) | instskip(NEXT) | instid1(VALU_DEP_3)
	v_add_f64 v[5:6], v[63:64], v[5:6]
	v_fma_f64 v[31:32], -v[43:44], v[29:30], v[31:32]
	s_delay_alu instid0(VALU_DEP_3) | instskip(NEXT) | instid1(VALU_DEP_3)
	v_add_f64 v[43:44], v[47:48], -v[45:46]
	v_mul_f64 v[5:6], v[13:14], v[5:6]
	s_delay_alu instid0(VALU_DEP_3) | instskip(SKIP_1) | instid1(VALU_DEP_3)
	v_div_fmas_f64 v[13:14], v[31:32], v[49:50], v[29:30]
	v_cmp_eq_f64_e32 vcc_lo, 0x7ff00000, v[1:2]
	v_add_f64 v[5:6], v[43:44], v[5:6]
	s_delay_alu instid0(VALU_DEP_3) | instskip(NEXT) | instid1(VALU_DEP_2)
	v_div_fixup_f64 v[13:14], v[13:14], v[57:58], v[51:52]
	v_add_f64 v[29:30], v[53:54], v[5:6]
	s_delay_alu instid0(VALU_DEP_2) | instskip(NEXT) | instid1(VALU_DEP_2)
	v_mul_f64 v[31:32], v[13:14], v[13:14]
	v_mul_f64 v[43:44], v[29:30], v[29:30]
	s_delay_alu instid0(VALU_DEP_2) | instskip(NEXT) | instid1(VALU_DEP_2)
	v_fma_f64 v[45:46], v[31:32], s[48:49], s[46:47]
	v_fma_f64 v[47:48], v[43:44], s[28:29], s[26:27]
	v_mul_f64 v[49:50], v[29:30], v[43:44]
	s_delay_alu instid0(VALU_DEP_3) | instskip(NEXT) | instid1(VALU_DEP_3)
	v_fma_f64 v[45:46], v[31:32], v[45:46], s[50:51]
	v_fma_f64 v[47:48], v[43:44], v[47:48], s[34:35]
	s_delay_alu instid0(VALU_DEP_2) | instskip(NEXT) | instid1(VALU_DEP_2)
	v_fma_f64 v[45:46], v[31:32], v[45:46], s[52:53]
	v_fma_f64 v[47:48], v[43:44], v[47:48], s[36:37]
	s_delay_alu instid0(VALU_DEP_2) | instskip(NEXT) | instid1(VALU_DEP_2)
	;; [unrolled: 3-line block ×4, first 2 shown]
	v_fma_f64 v[45:46], v[31:32], v[45:46], s[58:59]
	v_fma_f64 v[43:44], v[43:44], v[47:48], s[96:97]
	v_ldexp_f64 v[47:48], v[29:30], 1
	v_add_f64 v[29:30], v[29:30], -v[53:54]
	s_delay_alu instid0(VALU_DEP_4) | instskip(NEXT) | instid1(VALU_DEP_4)
	v_fma_f64 v[45:46], v[31:32], v[45:46], s[60:61]
	v_mul_f64 v[43:44], v[49:50], v[43:44]
	v_cvt_f64_i32_e32 v[49:50], v3
	s_delay_alu instid0(VALU_DEP_4) | instskip(NEXT) | instid1(VALU_DEP_4)
	v_add_f64 v[5:6], v[5:6], -v[29:30]
	v_fma_f64 v[45:46], v[31:32], v[45:46], s[62:63]
	v_ashrrev_i32_e32 v3, 31, v10
	v_add_f64 v[51:52], v[47:48], v[43:44]
	v_mul_f64 v[53:54], v[49:50], s[42:43]
	v_ldexp_f64 v[5:6], v[5:6], 1
	v_fma_f64 v[45:46], v[31:32], v[45:46], s[64:65]
	s_delay_alu instid0(VALU_DEP_4) | instskip(NEXT) | instid1(VALU_DEP_4)
	v_add_f64 v[29:30], v[51:52], -v[47:48]
	v_fma_f64 v[47:48], v[49:50], s[42:43], -v[53:54]
	s_delay_alu instid0(VALU_DEP_3) | instskip(NEXT) | instid1(VALU_DEP_3)
	v_fma_f64 v[45:46], v[31:32], v[45:46], s[66:67]
	v_add_f64 v[29:30], v[43:44], -v[29:30]
	s_delay_alu instid0(VALU_DEP_2) | instskip(NEXT) | instid1(VALU_DEP_4)
	v_fma_f64 v[43:44], v[31:32], v[45:46], s[68:69]
	v_fma_f64 v[45:46], v[49:50], s[44:45], v[47:48]
	s_delay_alu instid0(VALU_DEP_3) | instskip(NEXT) | instid1(VALU_DEP_3)
	v_add_f64 v[5:6], v[5:6], v[29:30]
	v_fma_f64 v[29:30], v[31:32], v[43:44], s[70:71]
	s_delay_alu instid0(VALU_DEP_3) | instskip(NEXT) | instid1(VALU_DEP_3)
	v_add_f64 v[43:44], v[53:54], v[45:46]
	v_add_f64 v[47:48], v[51:52], v[5:6]
	s_delay_alu instid0(VALU_DEP_3) | instskip(NEXT) | instid1(VALU_DEP_3)
	v_fma_f64 v[29:30], v[31:32], v[29:30], s[72:73]
	v_add_f64 v[53:54], v[43:44], -v[53:54]
	s_delay_alu instid0(VALU_DEP_3) | instskip(SKIP_1) | instid1(VALU_DEP_4)
	v_add_f64 v[49:50], v[43:44], v[47:48]
	v_add_f64 v[51:52], v[47:48], -v[51:52]
	v_fma_f64 v[29:30], v[31:32], v[29:30], s[74:75]
	s_delay_alu instid0(VALU_DEP_4) | instskip(NEXT) | instid1(VALU_DEP_4)
	v_add_f64 v[45:46], v[45:46], -v[53:54]
	v_add_f64 v[55:56], v[49:50], -v[43:44]
	s_delay_alu instid0(VALU_DEP_4) | instskip(NEXT) | instid1(VALU_DEP_4)
	v_add_f64 v[5:6], v[5:6], -v[51:52]
	v_fma_f64 v[29:30], v[31:32], v[29:30], s[76:77]
	s_delay_alu instid0(VALU_DEP_3) | instskip(SKIP_1) | instid1(VALU_DEP_4)
	v_add_f64 v[57:58], v[49:50], -v[55:56]
	v_add_f64 v[47:48], v[47:48], -v[55:56]
	v_add_f64 v[51:52], v[45:46], v[5:6]
	s_delay_alu instid0(VALU_DEP_4) | instskip(NEXT) | instid1(VALU_DEP_4)
	v_fma_f64 v[29:30], v[31:32], v[29:30], s[78:79]
	v_add_f64 v[43:44], v[43:44], -v[57:58]
	s_delay_alu instid0(VALU_DEP_2) | instskip(NEXT) | instid1(VALU_DEP_2)
	v_fma_f64 v[29:30], v[31:32], v[29:30], s[80:81]
	v_add_f64 v[43:44], v[47:48], v[43:44]
	v_add_f64 v[47:48], v[51:52], -v[45:46]
	s_delay_alu instid0(VALU_DEP_3) | instskip(NEXT) | instid1(VALU_DEP_3)
	v_fma_f64 v[29:30], v[31:32], v[29:30], s[82:83]
	v_add_f64 v[43:44], v[51:52], v[43:44]
	s_delay_alu instid0(VALU_DEP_3) | instskip(SKIP_1) | instid1(VALU_DEP_4)
	v_add_f64 v[51:52], v[51:52], -v[47:48]
	v_add_f64 v[5:6], v[5:6], -v[47:48]
	v_fma_f64 v[29:30], v[31:32], v[29:30], s[84:85]
	s_delay_alu instid0(VALU_DEP_4) | instskip(NEXT) | instid1(VALU_DEP_2)
	v_add_f64 v[53:54], v[49:50], v[43:44]
	v_mul_f64 v[29:30], v[31:32], v[29:30]
	v_add_f64 v[31:32], v[45:46], -v[51:52]
	s_delay_alu instid0(VALU_DEP_3) | instskip(NEXT) | instid1(VALU_DEP_3)
	v_add_f64 v[45:46], v[53:54], -v[49:50]
	v_fma_f64 v[13:14], v[13:14], v[29:30], v[13:14]
	s_delay_alu instid0(VALU_DEP_3) | instskip(NEXT) | instid1(VALU_DEP_3)
	v_add_f64 v[5:6], v[5:6], v[31:32]
	v_add_f64 v[29:30], v[43:44], -v[45:46]
	s_delay_alu instid0(VALU_DEP_3) | instskip(NEXT) | instid1(VALU_DEP_2)
	v_add_f64 v[31:32], -v[13:14], s[86:87]
	v_add_f64 v[5:6], v[5:6], v[29:30]
	s_delay_alu instid0(VALU_DEP_2) | instskip(NEXT) | instid1(VALU_DEP_3)
	v_cndmask_b32_e64 v14, v14, v32, s4
	v_cndmask_b32_e64 v13, v13, v31, s4
	s_delay_alu instid0(VALU_DEP_1) | instskip(NEXT) | instid1(VALU_DEP_4)
	v_add_f64 v[29:30], -v[13:14], s[14:15]
	v_add_f64 v[5:6], v[53:54], v[5:6]
	v_and_b32_e32 v15, 0x54442d18, v3
	v_and_b32_e32 v3, 0x400921fb, v3
	s_delay_alu instid0(VALU_DEP_4) | instskip(SKIP_4) | instid1(VALU_DEP_2)
	v_cndmask_b32_e64 v13, v13, v29, s5
	v_cndmask_b32_e64 v10, v14, v30, s5
	v_cmp_nge_f64_e64 s5, -1.0, v[1:2]
	v_dual_cndmask_b32 v6, v6, v2 :: v_dual_cndmask_b32 v5, v5, v1
	v_cmp_eq_f64_e32 vcc_lo, 0, v[11:12]
	v_mul_f64 v[5:6], v[5:6], 0.5
	v_cndmask_b32_e32 v3, v10, v3, vcc_lo
	v_cndmask_b32_e32 v13, v13, v15, vcc_lo
	v_cmp_ngt_f64_e32 vcc_lo, -1.0, v[1:2]
	s_delay_alu instid0(VALU_DEP_4) | instskip(SKIP_4) | instid1(VALU_DEP_2)
	v_cndmask_b32_e64 v29, 0, v5, s5
	v_cmp_neq_f64_e64 s5, -1.0, v[1:2]
	v_cndmask_b32_e32 v6, 0x7ff80000, v6, vcc_lo
	s_and_b32 vcc_lo, s7, s8
	v_dual_cndmask_b32 v32, v3, v9 :: v_dual_cndmask_b32 v31, v13, v7
	v_cndmask_b32_e64 v30, 0xfff00000, v6, s5
                                        ; implicit-def: $vgpr5_vgpr6
                                        ; implicit-def: $vgpr13_vgpr14
.LBB168_266:                            ;   in Loop: Header=BB168_145 Depth=1
	s_and_not1_saveexec_b32 s21, s6
	s_cbranch_execz .LBB168_274
; %bb.267:                              ;   in Loop: Header=BB168_145 Depth=1
	v_mul_f64 v[1:2], v[5:6], v[5:6]
	s_mov_b32 s6, 0x66666666
	s_mov_b32 s7, 0x3fe66666
                                        ; implicit-def: $vgpr29_vgpr30
	s_mov_b32 s5, exec_lo
	s_delay_alu instid0(VALU_DEP_1) | instskip(NEXT) | instid1(VALU_DEP_1)
	v_fma_f64 v[1:2], v[13:14], v[13:14], v[1:2]
	v_cmpx_ge_f64_e32 s[6:7], v[1:2]
	s_xor_b32 s7, exec_lo, s5
	s_cbranch_execz .LBB168_269
; %bb.268:                              ;   in Loop: Header=BB168_145 Depth=1
	v_frexp_mant_f64_e32 v[5:6], v[1:2]
	v_max_f64 v[45:46], |v[9:10]|, |v[9:10]|
	s_mov_b32 s97, s25
	v_frexp_exp_i32_f64_e32 v3, v[1:2]
	s_mov_b32 s14, s86
	v_cmp_class_f64_e64 s8, v[11:12], 0x204
	v_cmp_class_f64_e64 s9, v[9:10], 0x204
	v_cmp_neq_f64_e64 s6, 0, v[1:2]
	v_cmp_gt_f64_e64 s5, s[24:25], v[5:6]
	s_delay_alu instid0(VALU_DEP_1) | instskip(NEXT) | instid1(VALU_DEP_1)
	v_cndmask_b32_e64 v34, 0x3ff00000, 2.0, s5
	v_mul_f64 v[5:6], v[5:6], v[33:34]
	s_delay_alu instid0(VALU_DEP_1) | instskip(SKIP_1) | instid1(VALU_DEP_2)
	v_add_f64 v[13:14], v[5:6], 1.0
	v_add_f64 v[43:44], v[5:6], -1.0
	v_rcp_f64_e32 v[29:30], v[13:14]
	s_waitcnt_depctr 0xfff
	v_fma_f64 v[31:32], -v[13:14], v[29:30], 1.0
	s_delay_alu instid0(VALU_DEP_1) | instskip(NEXT) | instid1(VALU_DEP_1)
	v_fma_f64 v[29:30], v[31:32], v[29:30], v[29:30]
	v_fma_f64 v[31:32], -v[13:14], v[29:30], 1.0
	s_delay_alu instid0(VALU_DEP_1) | instskip(SKIP_1) | instid1(VALU_DEP_2)
	v_fma_f64 v[29:30], v[31:32], v[29:30], v[29:30]
	v_max_f64 v[31:32], |v[11:12]|, |v[11:12]|
	v_mul_f64 v[47:48], v[43:44], v[29:30]
	s_delay_alu instid0(VALU_DEP_2) | instskip(SKIP_2) | instid1(VALU_DEP_4)
	v_max_f64 v[49:50], v[45:46], v[31:32]
	v_min_f64 v[31:32], v[45:46], v[31:32]
	v_add_f64 v[45:46], v[13:14], -1.0
	v_mul_f64 v[51:52], v[13:14], v[47:48]
	s_delay_alu instid0(VALU_DEP_3) | instskip(NEXT) | instid1(VALU_DEP_3)
	v_div_scale_f64 v[53:54], null, v[49:50], v[49:50], v[31:32]
	v_add_f64 v[5:6], v[5:6], -v[45:46]
	v_div_scale_f64 v[61:62], vcc_lo, v[31:32], v[49:50], v[31:32]
	s_delay_alu instid0(VALU_DEP_4) | instskip(NEXT) | instid1(VALU_DEP_4)
	v_fma_f64 v[13:14], v[47:48], v[13:14], -v[51:52]
	v_rcp_f64_e32 v[45:46], v[53:54]
	s_delay_alu instid0(VALU_DEP_1) | instskip(SKIP_3) | instid1(VALU_DEP_2)
	v_fma_f64 v[5:6], v[47:48], v[5:6], v[13:14]
	s_waitcnt_depctr 0xfff
	v_fma_f64 v[13:14], -v[53:54], v[45:46], 1.0
	v_add_f64 v[55:56], v[51:52], v[5:6]
	v_fma_f64 v[13:14], v[45:46], v[13:14], v[45:46]
	s_delay_alu instid0(VALU_DEP_2) | instskip(SKIP_1) | instid1(VALU_DEP_3)
	v_add_f64 v[45:46], v[43:44], -v[55:56]
	v_add_f64 v[51:52], v[55:56], -v[51:52]
	v_fma_f64 v[57:58], -v[53:54], v[13:14], 1.0
	s_delay_alu instid0(VALU_DEP_3) | instskip(NEXT) | instid1(VALU_DEP_3)
	v_add_f64 v[43:44], v[43:44], -v[45:46]
	v_add_f64 v[5:6], v[51:52], -v[5:6]
	s_delay_alu instid0(VALU_DEP_3) | instskip(NEXT) | instid1(VALU_DEP_3)
	v_fma_f64 v[13:14], v[13:14], v[57:58], v[13:14]
	v_add_f64 v[43:44], v[43:44], -v[55:56]
	s_delay_alu instid0(VALU_DEP_2) | instskip(NEXT) | instid1(VALU_DEP_2)
	v_mul_f64 v[51:52], v[61:62], v[13:14]
	v_add_f64 v[5:6], v[5:6], v[43:44]
	s_delay_alu instid0(VALU_DEP_2) | instskip(NEXT) | instid1(VALU_DEP_2)
	v_fma_f64 v[43:44], -v[53:54], v[51:52], v[61:62]
	v_add_f64 v[5:6], v[45:46], v[5:6]
	s_delay_alu instid0(VALU_DEP_2)
	v_div_fmas_f64 v[13:14], v[43:44], v[13:14], v[51:52]
	v_subrev_co_ci_u32_e64 v3, vcc_lo, 0, v3, s5
	v_cmp_eq_f64_e64 s5, 0, v[11:12]
	v_cmp_gt_i32_e32 vcc_lo, 0, v10
	v_cndmask_b32_e32 v1, 0x3fe921fb, v60, vcc_lo
	v_cndmask_b32_e32 v7, 0x54442d18, v59, vcc_lo
	s_delay_alu instid0(VALU_DEP_2) | instskip(SKIP_2) | instid1(VALU_DEP_2)
	v_bfi_b32 v1, 0x7fffffff, v1, v12
	v_mul_f64 v[5:6], v[29:30], v[5:6]
	v_div_fixup_f64 v[13:14], v[13:14], v[49:50], v[31:32]
	v_add_f64 v[29:30], v[47:48], v[5:6]
	s_delay_alu instid0(VALU_DEP_2) | instskip(NEXT) | instid1(VALU_DEP_2)
	v_mul_f64 v[31:32], v[13:14], v[13:14]
	v_mul_f64 v[43:44], v[29:30], v[29:30]
	s_delay_alu instid0(VALU_DEP_2) | instskip(NEXT) | instid1(VALU_DEP_2)
	v_fma_f64 v[45:46], v[31:32], s[48:49], s[46:47]
	v_fma_f64 v[49:50], v[43:44], s[28:29], s[26:27]
	v_mul_f64 v[51:52], v[29:30], v[43:44]
	s_delay_alu instid0(VALU_DEP_3) | instskip(NEXT) | instid1(VALU_DEP_3)
	v_fma_f64 v[45:46], v[31:32], v[45:46], s[50:51]
	v_fma_f64 v[49:50], v[43:44], v[49:50], s[34:35]
	s_delay_alu instid0(VALU_DEP_2) | instskip(NEXT) | instid1(VALU_DEP_2)
	v_fma_f64 v[45:46], v[31:32], v[45:46], s[52:53]
	v_fma_f64 v[49:50], v[43:44], v[49:50], s[36:37]
	s_delay_alu instid0(VALU_DEP_2) | instskip(NEXT) | instid1(VALU_DEP_2)
	;; [unrolled: 3-line block ×4, first 2 shown]
	v_fma_f64 v[45:46], v[31:32], v[45:46], s[58:59]
	v_fma_f64 v[43:44], v[43:44], v[49:50], s[96:97]
	v_ldexp_f64 v[49:50], v[29:30], 1
	v_add_f64 v[29:30], v[29:30], -v[47:48]
	s_delay_alu instid0(VALU_DEP_4) | instskip(NEXT) | instid1(VALU_DEP_4)
	v_fma_f64 v[45:46], v[31:32], v[45:46], s[60:61]
	v_mul_f64 v[43:44], v[51:52], v[43:44]
	v_cvt_f64_i32_e32 v[51:52], v3
	s_delay_alu instid0(VALU_DEP_4) | instskip(SKIP_2) | instid1(VALU_DEP_2)
	v_add_f64 v[5:6], v[5:6], -v[29:30]
	v_ashrrev_i32_e32 v3, 31, v10
	v_fma_f64 v[45:46], v[31:32], v[45:46], s[62:63]
	v_and_b32_e32 v15, 0x54442d18, v3
	v_and_b32_e32 v2, 0x400921fb, v3
	v_add_f64 v[47:48], v[49:50], v[43:44]
	v_mul_f64 v[53:54], v[51:52], s[42:43]
	v_ldexp_f64 v[5:6], v[5:6], 1
	v_fma_f64 v[45:46], v[31:32], v[45:46], s[64:65]
	s_delay_alu instid0(VALU_DEP_4) | instskip(NEXT) | instid1(VALU_DEP_4)
	v_add_f64 v[29:30], v[47:48], -v[49:50]
	v_fma_f64 v[49:50], v[51:52], s[42:43], -v[53:54]
	s_delay_alu instid0(VALU_DEP_3) | instskip(NEXT) | instid1(VALU_DEP_3)
	v_fma_f64 v[45:46], v[31:32], v[45:46], s[66:67]
	v_add_f64 v[29:30], v[43:44], -v[29:30]
	s_delay_alu instid0(VALU_DEP_2) | instskip(NEXT) | instid1(VALU_DEP_4)
	v_fma_f64 v[43:44], v[31:32], v[45:46], s[68:69]
	v_fma_f64 v[45:46], v[51:52], s[44:45], v[49:50]
	s_delay_alu instid0(VALU_DEP_3) | instskip(NEXT) | instid1(VALU_DEP_3)
	v_add_f64 v[5:6], v[5:6], v[29:30]
	v_fma_f64 v[29:30], v[31:32], v[43:44], s[70:71]
	s_delay_alu instid0(VALU_DEP_3) | instskip(NEXT) | instid1(VALU_DEP_3)
	v_add_f64 v[43:44], v[53:54], v[45:46]
	v_add_f64 v[49:50], v[47:48], v[5:6]
	s_delay_alu instid0(VALU_DEP_3) | instskip(NEXT) | instid1(VALU_DEP_3)
	v_fma_f64 v[29:30], v[31:32], v[29:30], s[72:73]
	v_add_f64 v[53:54], v[43:44], -v[53:54]
	s_delay_alu instid0(VALU_DEP_3) | instskip(SKIP_1) | instid1(VALU_DEP_4)
	v_add_f64 v[51:52], v[43:44], v[49:50]
	v_add_f64 v[47:48], v[49:50], -v[47:48]
	v_fma_f64 v[29:30], v[31:32], v[29:30], s[74:75]
	s_delay_alu instid0(VALU_DEP_4) | instskip(NEXT) | instid1(VALU_DEP_4)
	v_add_f64 v[45:46], v[45:46], -v[53:54]
	v_add_f64 v[55:56], v[51:52], -v[43:44]
	s_delay_alu instid0(VALU_DEP_4) | instskip(NEXT) | instid1(VALU_DEP_4)
	v_add_f64 v[5:6], v[5:6], -v[47:48]
	v_fma_f64 v[29:30], v[31:32], v[29:30], s[76:77]
	s_delay_alu instid0(VALU_DEP_3) | instskip(SKIP_1) | instid1(VALU_DEP_4)
	v_add_f64 v[57:58], v[51:52], -v[55:56]
	v_add_f64 v[47:48], v[49:50], -v[55:56]
	v_add_f64 v[49:50], v[45:46], v[5:6]
	s_delay_alu instid0(VALU_DEP_4) | instskip(NEXT) | instid1(VALU_DEP_4)
	v_fma_f64 v[29:30], v[31:32], v[29:30], s[78:79]
	v_add_f64 v[43:44], v[43:44], -v[57:58]
	s_delay_alu instid0(VALU_DEP_2) | instskip(NEXT) | instid1(VALU_DEP_2)
	v_fma_f64 v[29:30], v[31:32], v[29:30], s[80:81]
	v_add_f64 v[43:44], v[47:48], v[43:44]
	v_add_f64 v[47:48], v[49:50], -v[45:46]
	s_delay_alu instid0(VALU_DEP_3) | instskip(NEXT) | instid1(VALU_DEP_3)
	v_fma_f64 v[29:30], v[31:32], v[29:30], s[82:83]
	v_add_f64 v[43:44], v[49:50], v[43:44]
	s_delay_alu instid0(VALU_DEP_3) | instskip(SKIP_1) | instid1(VALU_DEP_4)
	v_add_f64 v[49:50], v[49:50], -v[47:48]
	v_add_f64 v[5:6], v[5:6], -v[47:48]
	v_fma_f64 v[29:30], v[31:32], v[29:30], s[84:85]
	s_delay_alu instid0(VALU_DEP_4) | instskip(NEXT) | instid1(VALU_DEP_2)
	v_add_f64 v[53:54], v[51:52], v[43:44]
	v_mul_f64 v[29:30], v[31:32], v[29:30]
	v_add_f64 v[31:32], v[45:46], -v[49:50]
	s_delay_alu instid0(VALU_DEP_3) | instskip(NEXT) | instid1(VALU_DEP_3)
	v_add_f64 v[45:46], v[53:54], -v[51:52]
	v_fma_f64 v[13:14], v[13:14], v[29:30], v[13:14]
	s_delay_alu instid0(VALU_DEP_3) | instskip(NEXT) | instid1(VALU_DEP_3)
	v_add_f64 v[5:6], v[5:6], v[31:32]
	v_add_f64 v[29:30], v[43:44], -v[45:46]
	s_delay_alu instid0(VALU_DEP_3) | instskip(NEXT) | instid1(VALU_DEP_2)
	v_add_f64 v[31:32], -v[13:14], s[86:87]
	v_add_f64 v[5:6], v[5:6], v[29:30]
	s_delay_alu instid0(VALU_DEP_2) | instskip(NEXT) | instid1(VALU_DEP_3)
	v_cndmask_b32_e64 v14, v14, v32, s4
	v_cndmask_b32_e64 v13, v13, v31, s4
	s_delay_alu instid0(VALU_DEP_1) | instskip(NEXT) | instid1(VALU_DEP_4)
	v_add_f64 v[29:30], -v[13:14], s[14:15]
	v_add_f64 v[5:6], v[53:54], v[5:6]
	s_delay_alu instid0(VALU_DEP_2) | instskip(NEXT) | instid1(VALU_DEP_3)
	v_cndmask_b32_e32 v13, v13, v29, vcc_lo
	v_cndmask_b32_e32 v3, v14, v30, vcc_lo
	s_and_b32 vcc_lo, s8, s9
	s_delay_alu instid0(VALU_DEP_1) | instskip(NEXT) | instid1(VALU_DEP_1)
	v_cndmask_b32_e64 v2, v3, v2, s5
	v_cndmask_b32_e32 v32, v2, v1, vcc_lo
	v_cndmask_b32_e64 v9, v13, v15, s5
                                        ; implicit-def: $vgpr13_vgpr14
	s_delay_alu instid0(VALU_DEP_1) | instskip(SKIP_1) | instid1(VALU_DEP_1)
	v_cndmask_b32_e32 v31, v9, v7, vcc_lo
	v_mul_f64 v[5:6], v[5:6], 0.5
	v_cndmask_b32_e64 v30, 0xfff00000, v6, s6
	s_delay_alu instid0(VALU_DEP_2)
	v_cndmask_b32_e64 v29, 0, v5, s6
                                        ; implicit-def: $vgpr5_vgpr6
.LBB168_269:                            ;   in Loop: Header=BB168_145 Depth=1
	s_and_not1_saveexec_b32 s22, s7
	s_cbranch_execz .LBB168_273
; %bb.270:                              ;   in Loop: Header=BB168_145 Depth=1
	v_dual_mov_b32 v29, v33 :: v_dual_and_b32 v34, 0x7ffffff8, v14
	v_dual_mov_b32 v31, v33 :: v_dual_and_b32 v30, 0x7ffffff8, v6
	s_mov_b32 s23, 0
	s_delay_alu instid0(VALU_DEP_2) | instskip(SKIP_1) | instid1(VALU_DEP_3)
	v_add_f64 v[1:2], v[13:14], -v[33:34]
	v_mov_b32_e32 v43, v33
	v_add_f64 v[5:6], v[5:6], -v[29:30]
	v_add_f64 v[45:46], v[33:34], v[33:34]
	v_add_f64 v[53:54], v[29:30], v[29:30]
	v_mul_f64 v[29:30], v[29:30], v[29:30]
	v_and_b32_e32 v32, -8, v2
	v_and_b32_e32 v44, -8, v6
	s_delay_alu instid0(VALU_DEP_2) | instskip(SKIP_1) | instid1(VALU_DEP_3)
	v_add_f64 v[55:56], v[1:2], -v[31:32]
	v_add_f64 v[61:62], v[31:32], v[31:32]
	v_add_f64 v[57:58], v[5:6], -v[43:44]
	v_add_f64 v[63:64], v[43:44], v[43:44]
	v_mul_f64 v[1:2], v[33:34], v[33:34]
	v_mul_f64 v[51:52], v[45:46], v[31:32]
	;; [unrolled: 1-line block ×11, first 2 shown]
.LBB168_271:                            ;   Parent Loop BB168_145 Depth=1
                                        ; =>  This Inner Loop Header: Depth=2
	v_cmp_nlt_f64_e32 vcc_lo, v[1:2], v[29:30]
	v_dual_cndmask_b32 v58, v2, v30 :: v_dual_cndmask_b32 v57, v1, v29
	v_dual_cndmask_b32 v2, v30, v2 :: v_dual_cndmask_b32 v1, v29, v1
	s_delay_alu instid0(VALU_DEP_2) | instskip(NEXT) | instid1(VALU_DEP_1)
	v_cmp_nlt_f64_e64 s5, v[57:58], v[51:52]
	v_cndmask_b32_e64 v62, v58, v52, s5
	v_cndmask_b32_e64 v61, v57, v51, s5
	v_cndmask_b32_e64 v30, v52, v58, s5
	v_cndmask_b32_e64 v29, v51, v57, s5
	s_and_b32 s5, vcc_lo, s5
	s_delay_alu instid0(VALU_DEP_3) | instskip(NEXT) | instid1(VALU_DEP_1)
	v_cmp_nlt_f64_e64 s6, v[61:62], v[13:14]
	v_cndmask_b32_e64 v58, v62, v14, s6
	v_cndmask_b32_e64 v57, v61, v13, s6
	;; [unrolled: 1-line block ×4, first 2 shown]
	s_delay_alu instid0(VALU_DEP_3) | instskip(NEXT) | instid1(VALU_DEP_1)
	v_cmp_nlt_f64_e64 s7, v[57:58], v[49:50]
	v_cndmask_b32_e64 v62, v58, v50, s7
	v_cndmask_b32_e64 v61, v57, v49, s7
	;; [unrolled: 1-line block ×4, first 2 shown]
	s_and_b32 s6, s6, s7
	s_delay_alu instid0(VALU_DEP_3) | instskip(NEXT) | instid1(VALU_DEP_1)
	v_cmp_nlt_f64_e64 s8, v[61:62], v[5:6]
	v_cndmask_b32_e64 v58, v62, v6, s8
	v_cndmask_b32_e64 v57, v61, v5, s8
	;; [unrolled: 1-line block ×4, first 2 shown]
	s_delay_alu instid0(VALU_DEP_3) | instskip(NEXT) | instid1(VALU_DEP_1)
	v_cmp_nlt_f64_e64 s9, v[57:58], v[47:48]
	v_cndmask_b32_e64 v62, v58, v48, s9
	v_cndmask_b32_e64 v61, v57, v47, s9
	v_cndmask_b32_e64 v6, v48, v58, s9
	v_cndmask_b32_e64 v5, v47, v57, s9
	s_and_b32 s7, s8, s9
	s_delay_alu instid0(VALU_DEP_3) | instskip(NEXT) | instid1(VALU_DEP_1)
	v_cmp_nlt_f64_e64 s10, v[61:62], v[45:46]
	v_cndmask_b32_e64 v58, v62, v46, s10
	v_cndmask_b32_e64 v57, v61, v45, s10
	v_cndmask_b32_e64 v48, v46, v62, s10
	v_cndmask_b32_e64 v47, v45, v61, s10
	s_and_b32 s7, s7, s10
	s_delay_alu instid0(VALU_DEP_3) | instskip(NEXT) | instid1(VALU_DEP_1)
	v_cmp_nlt_f64_e64 s11, v[57:58], v[43:44]
	v_cndmask_b32_e64 v62, v58, v44, s11
	v_cndmask_b32_e64 v61, v57, v43, s11
	v_cndmask_b32_e64 v46, v44, v58, s11
	v_cndmask_b32_e64 v45, v43, v57, s11
	s_and_b32 s7, s7, s11
	s_delay_alu instid0(VALU_DEP_3) | instskip(NEXT) | instid1(VALU_DEP_1)
	v_cmp_nlt_f64_e64 s12, v[61:62], v[31:32]
	v_cndmask_b32_e64 v58, v62, v32, s12
	v_cndmask_b32_e64 v57, v61, v31, s12
	v_cndmask_b32_e64 v44, v32, v62, s12
	v_cndmask_b32_e64 v43, v31, v61, s12
	s_and_b32 s7, s7, s12
	s_delay_alu instid0(VALU_DEP_3) | instskip(NEXT) | instid1(VALU_DEP_1)
	v_cmp_nlt_f64_e64 s13, v[57:58], v[53:54]
	v_cndmask_b32_e64 v62, v58, v54, s13
	v_cndmask_b32_e64 v61, v57, v53, s13
	s_and_b32 s7, s7, s13
	v_cndmask_b32_e64 v32, v54, v58, s13
	v_cndmask_b32_e64 v31, v53, v57, s13
	s_delay_alu instid0(VALU_DEP_3) | instskip(NEXT) | instid1(VALU_DEP_1)
	v_cmp_nlt_f64_e64 s14, v[61:62], v[55:56]
	v_cndmask_b32_e64 v58, v62, v56, s14
	v_cndmask_b32_e64 v57, v61, v55, s14
	s_and_b32 s7, s7, s14
	v_cndmask_b32_e64 v54, v56, v62, s14
	s_and_b32 s6, s7, s6
	;; [unrolled: 2-line block ×3, first 2 shown]
	v_dual_mov_b32 v55, v57 :: v_dual_mov_b32 v56, v58
	s_and_b32 s5, exec_lo, s5
	s_delay_alu instid0(SALU_CYCLE_1) | instskip(NEXT) | instid1(SALU_CYCLE_1)
	s_or_b32 s23, s5, s23
	s_and_not1_b32 exec_lo, exec_lo, s23
	s_cbranch_execnz .LBB168_271
; %bb.272:                              ;   in Loop: Header=BB168_145 Depth=1
	s_or_b32 exec_lo, exec_lo, s23
	v_add_f64 v[1:2], v[1:2], -1.0
	s_mov_b32 s97, s25
	s_mov_b32 s14, s86
	v_cmp_gt_i32_e64 s5, 0, v10
	v_cmp_class_f64_e64 s7, v[9:10], 0x204
	v_cmp_class_f64_e64 s6, v[11:12], 0x204
	s_mov_b32 s12, 0x4ad4b81f
	s_mov_b32 s13, 0x358dee7a
	s_delay_alu instid0(VALU_DEP_4) | instskip(NEXT) | instid1(VALU_DEP_1)
	v_add_f64 v[1:2], v[1:2], v[29:30]
	v_add_f64 v[1:2], v[1:2], v[51:52]
	s_delay_alu instid0(VALU_DEP_1) | instskip(NEXT) | instid1(VALU_DEP_1)
	v_add_f64 v[1:2], v[1:2], v[13:14]
	v_add_f64 v[1:2], v[1:2], v[49:50]
	s_delay_alu instid0(VALU_DEP_1) | instskip(NEXT) | instid1(VALU_DEP_1)
	;; [unrolled: 3-line block ×5, first 2 shown]
	v_add_f64 v[1:2], v[57:58], v[1:2]
	v_add_f64 v[5:6], v[1:2], 1.0
	s_delay_alu instid0(VALU_DEP_1) | instskip(SKIP_2) | instid1(VALU_DEP_3)
	v_frexp_mant_f64_e32 v[13:14], v[5:6]
	v_frexp_exp_i32_f64_e32 v3, v[5:6]
	v_add_f64 v[29:30], v[5:6], -1.0
	v_cmp_gt_f64_e32 vcc_lo, s[24:25], v[13:14]
	s_delay_alu instid0(VALU_DEP_2) | instskip(SKIP_2) | instid1(VALU_DEP_3)
	v_add_f64 v[13:14], v[29:30], -v[5:6]
	v_add_f64 v[29:30], v[1:2], -v[29:30]
	v_subrev_co_ci_u32_e32 v3, vcc_lo, 0, v3, vcc_lo
	v_add_f64 v[13:14], v[13:14], 1.0
	s_delay_alu instid0(VALU_DEP_2) | instskip(NEXT) | instid1(VALU_DEP_1)
	v_sub_nc_u32_e32 v7, 0, v3
	v_ldexp_f64 v[5:6], v[5:6], v7
	s_delay_alu instid0(VALU_DEP_3) | instskip(NEXT) | instid1(VALU_DEP_2)
	v_add_f64 v[13:14], v[29:30], v[13:14]
	v_add_f64 v[31:32], v[5:6], 1.0
	v_add_f64 v[47:48], v[5:6], -1.0
	s_delay_alu instid0(VALU_DEP_3) | instskip(SKIP_1) | instid1(VALU_DEP_4)
	v_ldexp_f64 v[13:14], v[13:14], v7
	v_cndmask_b32_e64 v7, 0x54442d18, v59, s5
	v_add_f64 v[29:30], v[31:32], -1.0
	s_delay_alu instid0(VALU_DEP_4) | instskip(NEXT) | instid1(VALU_DEP_2)
	v_add_f64 v[49:50], v[47:48], 1.0
	v_add_f64 v[29:30], v[5:6], -v[29:30]
	s_delay_alu instid0(VALU_DEP_2) | instskip(NEXT) | instid1(VALU_DEP_2)
	v_add_f64 v[5:6], v[5:6], -v[49:50]
	v_add_f64 v[29:30], v[13:14], v[29:30]
	s_delay_alu instid0(VALU_DEP_2) | instskip(NEXT) | instid1(VALU_DEP_2)
	v_add_f64 v[5:6], v[13:14], v[5:6]
	v_add_f64 v[43:44], v[31:32], v[29:30]
	s_delay_alu instid0(VALU_DEP_2) | instskip(NEXT) | instid1(VALU_DEP_2)
	v_add_f64 v[49:50], v[47:48], v[5:6]
	v_rcp_f64_e32 v[45:46], v[43:44]
	v_add_f64 v[31:32], v[43:44], -v[31:32]
	s_delay_alu instid0(VALU_DEP_2) | instskip(NEXT) | instid1(VALU_DEP_2)
	v_add_f64 v[47:48], v[49:50], -v[47:48]
	v_add_f64 v[29:30], v[29:30], -v[31:32]
	s_waitcnt_depctr 0xfff
	v_fma_f64 v[51:52], -v[43:44], v[45:46], 1.0
	v_add_f64 v[5:6], v[5:6], -v[47:48]
	s_delay_alu instid0(VALU_DEP_2) | instskip(NEXT) | instid1(VALU_DEP_1)
	v_fma_f64 v[45:46], v[51:52], v[45:46], v[45:46]
	v_fma_f64 v[13:14], -v[43:44], v[45:46], 1.0
	s_delay_alu instid0(VALU_DEP_1) | instskip(NEXT) | instid1(VALU_DEP_1)
	v_fma_f64 v[13:14], v[13:14], v[45:46], v[45:46]
	v_mul_f64 v[45:46], v[49:50], v[13:14]
	s_delay_alu instid0(VALU_DEP_1) | instskip(NEXT) | instid1(VALU_DEP_1)
	v_mul_f64 v[51:52], v[43:44], v[45:46]
	v_fma_f64 v[31:32], v[45:46], v[43:44], -v[51:52]
	s_delay_alu instid0(VALU_DEP_1) | instskip(NEXT) | instid1(VALU_DEP_1)
	v_fma_f64 v[31:32], v[45:46], v[29:30], v[31:32]
	v_add_f64 v[53:54], v[51:52], v[31:32]
	s_delay_alu instid0(VALU_DEP_1) | instskip(SKIP_2) | instid1(VALU_DEP_3)
	v_add_f64 v[55:56], v[49:50], -v[53:54]
	v_add_f64 v[47:48], v[53:54], -v[51:52]
	v_max_f64 v[51:52], |v[11:12]|, |v[11:12]|
	v_add_f64 v[49:50], v[49:50], -v[55:56]
	s_delay_alu instid0(VALU_DEP_3) | instskip(NEXT) | instid1(VALU_DEP_2)
	v_add_f64 v[31:32], v[47:48], -v[31:32]
	v_add_f64 v[49:50], v[49:50], -v[53:54]
	v_max_f64 v[53:54], |v[9:10]|, |v[9:10]|
	v_cndmask_b32_e64 v9, 0x3fe921fb, v60, s5
	s_delay_alu instid0(VALU_DEP_1) | instskip(NEXT) | instid1(VALU_DEP_4)
	v_bfi_b32 v9, 0x7fffffff, v9, v12
	v_add_f64 v[5:6], v[5:6], v[49:50]
	s_delay_alu instid0(VALU_DEP_4) | instskip(SKIP_1) | instid1(VALU_DEP_3)
	v_max_f64 v[57:58], v[53:54], v[51:52]
	v_min_f64 v[51:52], v[53:54], v[51:52]
	v_add_f64 v[5:6], v[31:32], v[5:6]
	s_delay_alu instid0(VALU_DEP_1) | instskip(NEXT) | instid1(VALU_DEP_1)
	v_add_f64 v[31:32], v[55:56], v[5:6]
	v_mul_f64 v[47:48], v[13:14], v[31:32]
	v_add_f64 v[55:56], v[55:56], -v[31:32]
	s_delay_alu instid0(VALU_DEP_2) | instskip(NEXT) | instid1(VALU_DEP_2)
	v_mul_f64 v[49:50], v[43:44], v[47:48]
	v_add_f64 v[5:6], v[5:6], v[55:56]
	s_delay_alu instid0(VALU_DEP_2) | instskip(NEXT) | instid1(VALU_DEP_1)
	v_fma_f64 v[43:44], v[47:48], v[43:44], -v[49:50]
	v_fma_f64 v[29:30], v[47:48], v[29:30], v[43:44]
	v_div_scale_f64 v[43:44], null, v[57:58], v[57:58], v[51:52]
	s_delay_alu instid0(VALU_DEP_2) | instskip(NEXT) | instid1(VALU_DEP_2)
	v_add_f64 v[53:54], v[49:50], v[29:30]
	v_rcp_f64_e32 v[61:62], v[43:44]
	s_delay_alu instid0(VALU_DEP_1)
	v_add_f64 v[63:64], v[31:32], -v[53:54]
	v_add_f64 v[49:50], v[53:54], -v[49:50]
	s_waitcnt_depctr 0xfff
	v_fma_f64 v[65:66], -v[43:44], v[61:62], 1.0
	v_add_f64 v[31:32], v[31:32], -v[63:64]
	v_add_f64 v[29:30], v[49:50], -v[29:30]
	s_delay_alu instid0(VALU_DEP_3) | instskip(NEXT) | instid1(VALU_DEP_3)
	v_fma_f64 v[61:62], v[61:62], v[65:66], v[61:62]
	v_add_f64 v[31:32], v[31:32], -v[53:54]
	s_delay_alu instid0(VALU_DEP_2) | instskip(NEXT) | instid1(VALU_DEP_2)
	v_fma_f64 v[53:54], -v[43:44], v[61:62], 1.0
	v_add_f64 v[5:6], v[5:6], v[31:32]
	v_div_scale_f64 v[31:32], vcc_lo, v[51:52], v[57:58], v[51:52]
	s_delay_alu instid0(VALU_DEP_3) | instskip(SKIP_1) | instid1(VALU_DEP_4)
	v_fma_f64 v[49:50], v[61:62], v[53:54], v[61:62]
	v_add_f64 v[53:54], v[45:46], v[47:48]
	v_add_f64 v[5:6], v[29:30], v[5:6]
	s_delay_alu instid0(VALU_DEP_3) | instskip(NEXT) | instid1(VALU_DEP_3)
	v_mul_f64 v[29:30], v[31:32], v[49:50]
	v_add_f64 v[45:46], v[53:54], -v[45:46]
	s_delay_alu instid0(VALU_DEP_3) | instskip(NEXT) | instid1(VALU_DEP_3)
	v_add_f64 v[5:6], v[63:64], v[5:6]
	v_fma_f64 v[31:32], -v[43:44], v[29:30], v[31:32]
	s_delay_alu instid0(VALU_DEP_3) | instskip(NEXT) | instid1(VALU_DEP_3)
	v_add_f64 v[43:44], v[47:48], -v[45:46]
	v_mul_f64 v[5:6], v[13:14], v[5:6]
	s_delay_alu instid0(VALU_DEP_3) | instskip(SKIP_1) | instid1(VALU_DEP_3)
	v_div_fmas_f64 v[13:14], v[31:32], v[49:50], v[29:30]
	v_cmp_eq_f64_e32 vcc_lo, 0x7ff00000, v[1:2]
	v_add_f64 v[5:6], v[43:44], v[5:6]
	s_delay_alu instid0(VALU_DEP_3) | instskip(NEXT) | instid1(VALU_DEP_2)
	v_div_fixup_f64 v[13:14], v[13:14], v[57:58], v[51:52]
	v_add_f64 v[29:30], v[53:54], v[5:6]
	s_delay_alu instid0(VALU_DEP_2) | instskip(NEXT) | instid1(VALU_DEP_2)
	v_mul_f64 v[31:32], v[13:14], v[13:14]
	v_mul_f64 v[43:44], v[29:30], v[29:30]
	s_delay_alu instid0(VALU_DEP_2) | instskip(NEXT) | instid1(VALU_DEP_2)
	v_fma_f64 v[45:46], v[31:32], s[48:49], s[46:47]
	v_fma_f64 v[47:48], v[43:44], s[28:29], s[26:27]
	v_mul_f64 v[49:50], v[29:30], v[43:44]
	s_delay_alu instid0(VALU_DEP_3) | instskip(NEXT) | instid1(VALU_DEP_3)
	v_fma_f64 v[45:46], v[31:32], v[45:46], s[50:51]
	v_fma_f64 v[47:48], v[43:44], v[47:48], s[34:35]
	s_delay_alu instid0(VALU_DEP_2) | instskip(NEXT) | instid1(VALU_DEP_2)
	v_fma_f64 v[45:46], v[31:32], v[45:46], s[52:53]
	v_fma_f64 v[47:48], v[43:44], v[47:48], s[36:37]
	s_delay_alu instid0(VALU_DEP_2) | instskip(NEXT) | instid1(VALU_DEP_2)
	;; [unrolled: 3-line block ×4, first 2 shown]
	v_fma_f64 v[45:46], v[31:32], v[45:46], s[58:59]
	v_fma_f64 v[43:44], v[43:44], v[47:48], s[96:97]
	v_ldexp_f64 v[47:48], v[29:30], 1
	v_add_f64 v[29:30], v[29:30], -v[53:54]
	s_delay_alu instid0(VALU_DEP_4) | instskip(NEXT) | instid1(VALU_DEP_4)
	v_fma_f64 v[45:46], v[31:32], v[45:46], s[60:61]
	v_mul_f64 v[43:44], v[49:50], v[43:44]
	v_cvt_f64_i32_e32 v[49:50], v3
	s_delay_alu instid0(VALU_DEP_4) | instskip(NEXT) | instid1(VALU_DEP_4)
	v_add_f64 v[5:6], v[5:6], -v[29:30]
	v_fma_f64 v[45:46], v[31:32], v[45:46], s[62:63]
	v_ashrrev_i32_e32 v3, 31, v10
	v_add_f64 v[51:52], v[47:48], v[43:44]
	v_mul_f64 v[53:54], v[49:50], s[42:43]
	v_ldexp_f64 v[5:6], v[5:6], 1
	v_fma_f64 v[45:46], v[31:32], v[45:46], s[64:65]
	s_delay_alu instid0(VALU_DEP_4) | instskip(NEXT) | instid1(VALU_DEP_4)
	v_add_f64 v[29:30], v[51:52], -v[47:48]
	v_fma_f64 v[47:48], v[49:50], s[42:43], -v[53:54]
	s_delay_alu instid0(VALU_DEP_3) | instskip(NEXT) | instid1(VALU_DEP_3)
	v_fma_f64 v[45:46], v[31:32], v[45:46], s[66:67]
	v_add_f64 v[29:30], v[43:44], -v[29:30]
	s_delay_alu instid0(VALU_DEP_2) | instskip(NEXT) | instid1(VALU_DEP_4)
	v_fma_f64 v[43:44], v[31:32], v[45:46], s[68:69]
	v_fma_f64 v[45:46], v[49:50], s[44:45], v[47:48]
	s_delay_alu instid0(VALU_DEP_3) | instskip(NEXT) | instid1(VALU_DEP_3)
	v_add_f64 v[5:6], v[5:6], v[29:30]
	v_fma_f64 v[29:30], v[31:32], v[43:44], s[70:71]
	s_delay_alu instid0(VALU_DEP_3) | instskip(NEXT) | instid1(VALU_DEP_3)
	v_add_f64 v[43:44], v[53:54], v[45:46]
	v_add_f64 v[47:48], v[51:52], v[5:6]
	s_delay_alu instid0(VALU_DEP_3) | instskip(NEXT) | instid1(VALU_DEP_3)
	v_fma_f64 v[29:30], v[31:32], v[29:30], s[72:73]
	v_add_f64 v[53:54], v[43:44], -v[53:54]
	s_delay_alu instid0(VALU_DEP_3) | instskip(SKIP_1) | instid1(VALU_DEP_4)
	v_add_f64 v[49:50], v[43:44], v[47:48]
	v_add_f64 v[51:52], v[47:48], -v[51:52]
	v_fma_f64 v[29:30], v[31:32], v[29:30], s[74:75]
	s_delay_alu instid0(VALU_DEP_4) | instskip(NEXT) | instid1(VALU_DEP_4)
	v_add_f64 v[45:46], v[45:46], -v[53:54]
	v_add_f64 v[55:56], v[49:50], -v[43:44]
	s_delay_alu instid0(VALU_DEP_4) | instskip(NEXT) | instid1(VALU_DEP_4)
	v_add_f64 v[5:6], v[5:6], -v[51:52]
	v_fma_f64 v[29:30], v[31:32], v[29:30], s[76:77]
	s_delay_alu instid0(VALU_DEP_3) | instskip(SKIP_1) | instid1(VALU_DEP_4)
	v_add_f64 v[57:58], v[49:50], -v[55:56]
	v_add_f64 v[47:48], v[47:48], -v[55:56]
	v_add_f64 v[51:52], v[45:46], v[5:6]
	s_delay_alu instid0(VALU_DEP_4) | instskip(NEXT) | instid1(VALU_DEP_4)
	v_fma_f64 v[29:30], v[31:32], v[29:30], s[78:79]
	v_add_f64 v[43:44], v[43:44], -v[57:58]
	s_delay_alu instid0(VALU_DEP_2) | instskip(NEXT) | instid1(VALU_DEP_2)
	v_fma_f64 v[29:30], v[31:32], v[29:30], s[80:81]
	v_add_f64 v[43:44], v[47:48], v[43:44]
	v_add_f64 v[47:48], v[51:52], -v[45:46]
	s_delay_alu instid0(VALU_DEP_3) | instskip(NEXT) | instid1(VALU_DEP_3)
	v_fma_f64 v[29:30], v[31:32], v[29:30], s[82:83]
	v_add_f64 v[43:44], v[51:52], v[43:44]
	s_delay_alu instid0(VALU_DEP_3) | instskip(SKIP_1) | instid1(VALU_DEP_4)
	v_add_f64 v[51:52], v[51:52], -v[47:48]
	v_add_f64 v[5:6], v[5:6], -v[47:48]
	v_fma_f64 v[29:30], v[31:32], v[29:30], s[84:85]
	s_delay_alu instid0(VALU_DEP_4) | instskip(NEXT) | instid1(VALU_DEP_2)
	v_add_f64 v[53:54], v[49:50], v[43:44]
	v_mul_f64 v[29:30], v[31:32], v[29:30]
	v_add_f64 v[31:32], v[45:46], -v[51:52]
	s_delay_alu instid0(VALU_DEP_3) | instskip(NEXT) | instid1(VALU_DEP_3)
	v_add_f64 v[45:46], v[53:54], -v[49:50]
	v_fma_f64 v[13:14], v[13:14], v[29:30], v[13:14]
	s_delay_alu instid0(VALU_DEP_3) | instskip(NEXT) | instid1(VALU_DEP_3)
	v_add_f64 v[5:6], v[5:6], v[31:32]
	v_add_f64 v[29:30], v[43:44], -v[45:46]
	s_delay_alu instid0(VALU_DEP_3) | instskip(NEXT) | instid1(VALU_DEP_2)
	v_add_f64 v[31:32], -v[13:14], s[86:87]
	v_add_f64 v[5:6], v[5:6], v[29:30]
	s_delay_alu instid0(VALU_DEP_2) | instskip(NEXT) | instid1(VALU_DEP_3)
	v_cndmask_b32_e64 v14, v14, v32, s4
	v_cndmask_b32_e64 v13, v13, v31, s4
	s_delay_alu instid0(VALU_DEP_1) | instskip(NEXT) | instid1(VALU_DEP_4)
	v_add_f64 v[29:30], -v[13:14], s[14:15]
	v_add_f64 v[5:6], v[53:54], v[5:6]
	v_and_b32_e32 v15, 0x54442d18, v3
	v_and_b32_e32 v3, 0x400921fb, v3
	s_delay_alu instid0(VALU_DEP_4) | instskip(SKIP_4) | instid1(VALU_DEP_2)
	v_cndmask_b32_e64 v13, v13, v29, s5
	v_cndmask_b32_e64 v10, v14, v30, s5
	v_cmp_nge_f64_e64 s5, -1.0, v[1:2]
	v_dual_cndmask_b32 v6, v6, v2 :: v_dual_cndmask_b32 v5, v5, v1
	v_cmp_eq_f64_e32 vcc_lo, 0, v[11:12]
	v_mul_f64 v[5:6], v[5:6], 0.5
	v_cndmask_b32_e32 v3, v10, v3, vcc_lo
	v_cndmask_b32_e32 v13, v13, v15, vcc_lo
	v_cmp_ngt_f64_e32 vcc_lo, -1.0, v[1:2]
	s_delay_alu instid0(VALU_DEP_4) | instskip(SKIP_4) | instid1(VALU_DEP_2)
	v_cndmask_b32_e64 v29, 0, v5, s5
	v_cmp_neq_f64_e64 s5, -1.0, v[1:2]
	v_cndmask_b32_e32 v6, 0x7ff80000, v6, vcc_lo
	s_and_b32 vcc_lo, s6, s7
	v_dual_cndmask_b32 v32, v3, v9 :: v_dual_cndmask_b32 v31, v13, v7
	v_cndmask_b32_e64 v30, 0xfff00000, v6, s5
.LBB168_273:                            ;   in Loop: Header=BB168_145 Depth=1
	s_or_b32 exec_lo, exec_lo, s22
.LBB168_274:                            ;   in Loop: Header=BB168_145 Depth=1
	s_delay_alu instid0(SALU_CYCLE_1)
	s_or_b32 exec_lo, exec_lo, s21
.LBB168_275:                            ;   in Loop: Header=BB168_145 Depth=1
	s_and_not1_saveexec_b32 s7, s20
	s_cbranch_execz .LBB168_277
; %bb.276:                              ;   in Loop: Header=BB168_145 Depth=1
	v_max_f64 v[1:2], |v[11:12]|, |v[11:12]|
	v_max_f64 v[5:6], |v[9:10]|, |v[9:10]|
	v_cmp_class_f64_e64 s8, v[9:10], 0x204
	v_cmp_class_f64_e64 s9, v[11:12], 0x204
	s_mov_b32 s97, s25
	s_mov_b32 s14, s86
	v_cmp_eq_f64_e64 s6, 0, v[11:12]
	s_delay_alu instid0(VALU_DEP_4) | instskip(SKIP_1) | instid1(VALU_DEP_4)
	v_max_f64 v[13:14], v[5:6], v[1:2]
	v_min_f64 v[1:2], v[5:6], v[1:2]
	s_or_b32 s10, s9, s8
	s_delay_alu instid0(VALU_DEP_2) | instskip(NEXT) | instid1(VALU_DEP_1)
	v_frexp_exp_i32_f64_e32 v3, v[13:14]
	v_sub_nc_u32_e32 v7, 0, v3
	s_delay_alu instid0(VALU_DEP_1) | instskip(SKIP_1) | instid1(VALU_DEP_2)
	v_ldexp_f64 v[29:30], |v[11:12]|, v7
	v_ldexp_f64 v[31:32], |v[9:10]|, v7
	v_mul_f64 v[29:30], v[29:30], v[29:30]
	s_delay_alu instid0(VALU_DEP_1) | instskip(NEXT) | instid1(VALU_DEP_1)
	v_fma_f64 v[29:30], v[31:32], v[31:32], v[29:30]
	v_rsq_f64_e32 v[31:32], v[29:30]
	v_cmp_eq_f64_e32 vcc_lo, 0, v[29:30]
	s_waitcnt_depctr 0xfff
	v_mul_f64 v[43:44], v[29:30], v[31:32]
	v_mul_f64 v[31:32], v[31:32], 0.5
	s_delay_alu instid0(VALU_DEP_1) | instskip(NEXT) | instid1(VALU_DEP_1)
	v_fma_f64 v[45:46], -v[31:32], v[43:44], 0.5
	v_fma_f64 v[43:44], v[43:44], v[45:46], v[43:44]
	v_fma_f64 v[31:32], v[31:32], v[45:46], v[31:32]
	s_delay_alu instid0(VALU_DEP_2) | instskip(NEXT) | instid1(VALU_DEP_1)
	v_fma_f64 v[45:46], -v[43:44], v[43:44], v[29:30]
	v_fma_f64 v[31:32], v[45:46], v[31:32], v[43:44]
	s_delay_alu instid0(VALU_DEP_1) | instskip(SKIP_1) | instid1(VALU_DEP_2)
	v_dual_cndmask_b32 v30, v32, v30 :: v_dual_cndmask_b32 v29, v31, v29
	v_div_scale_f64 v[63:64], vcc_lo, v[1:2], v[13:14], v[1:2]
	v_ldexp_f64 v[29:30], v[29:30], v3
	s_delay_alu instid0(VALU_DEP_1) | instskip(NEXT) | instid1(VALU_DEP_2)
	v_cndmask_b32_e64 v44, v30, 0x7ff00000, s10
	v_cndmask_b32_e64 v43, v29, 0, s10
	s_delay_alu instid0(VALU_DEP_1) | instskip(SKIP_1) | instid1(VALU_DEP_2)
	v_frexp_mant_f64_e32 v[31:32], v[43:44]
	v_frexp_exp_i32_f64_e32 v3, v[43:44]
	v_cmp_gt_f64_e64 s5, s[24:25], v[31:32]
	s_delay_alu instid0(VALU_DEP_1) | instskip(NEXT) | instid1(VALU_DEP_1)
	v_cndmask_b32_e64 v34, 0x3ff00000, 2.0, s5
	v_mul_f64 v[31:32], v[31:32], v[33:34]
	s_delay_alu instid0(VALU_DEP_1) | instskip(SKIP_1) | instid1(VALU_DEP_2)
	v_add_f64 v[45:46], v[31:32], 1.0
	v_add_f64 v[51:52], v[31:32], -1.0
	v_rcp_f64_e32 v[47:48], v[45:46]
	v_add_f64 v[53:54], v[45:46], -1.0
	s_delay_alu instid0(VALU_DEP_1) | instskip(SKIP_2) | instid1(VALU_DEP_1)
	v_add_f64 v[31:32], v[31:32], -v[53:54]
	s_waitcnt_depctr 0xfff
	v_fma_f64 v[49:50], -v[45:46], v[47:48], 1.0
	v_fma_f64 v[47:48], v[49:50], v[47:48], v[47:48]
	s_delay_alu instid0(VALU_DEP_1) | instskip(NEXT) | instid1(VALU_DEP_1)
	v_fma_f64 v[49:50], -v[45:46], v[47:48], 1.0
	v_fma_f64 v[47:48], v[49:50], v[47:48], v[47:48]
	v_div_scale_f64 v[49:50], null, v[13:14], v[13:14], v[1:2]
	s_delay_alu instid0(VALU_DEP_2) | instskip(NEXT) | instid1(VALU_DEP_2)
	v_mul_f64 v[5:6], v[51:52], v[47:48]
	v_rcp_f64_e32 v[57:58], v[49:50]
	s_delay_alu instid0(VALU_DEP_1) | instskip(SKIP_3) | instid1(VALU_DEP_1)
	v_mul_f64 v[55:56], v[45:46], v[5:6]
	s_waitcnt_depctr 0xfff
	v_fma_f64 v[53:54], -v[49:50], v[57:58], 1.0
	v_fma_f64 v[45:46], v[5:6], v[45:46], -v[55:56]
	v_fma_f64 v[31:32], v[5:6], v[31:32], v[45:46]
	s_delay_alu instid0(VALU_DEP_3) | instskip(NEXT) | instid1(VALU_DEP_2)
	v_fma_f64 v[45:46], v[57:58], v[53:54], v[57:58]
	v_add_f64 v[53:54], v[55:56], v[31:32]
	s_delay_alu instid0(VALU_DEP_2) | instskip(NEXT) | instid1(VALU_DEP_2)
	v_fma_f64 v[57:58], -v[49:50], v[45:46], 1.0
	v_add_f64 v[61:62], v[51:52], -v[53:54]
	s_delay_alu instid0(VALU_DEP_2) | instskip(SKIP_1) | instid1(VALU_DEP_3)
	v_fma_f64 v[45:46], v[45:46], v[57:58], v[45:46]
	v_add_f64 v[55:56], v[53:54], -v[55:56]
	v_add_f64 v[51:52], v[51:52], -v[61:62]
	s_delay_alu instid0(VALU_DEP_3) | instskip(NEXT) | instid1(VALU_DEP_3)
	v_mul_f64 v[57:58], v[63:64], v[45:46]
	v_add_f64 v[31:32], v[55:56], -v[31:32]
	s_delay_alu instid0(VALU_DEP_3) | instskip(NEXT) | instid1(VALU_DEP_3)
	v_add_f64 v[51:52], v[51:52], -v[53:54]
	v_fma_f64 v[49:50], -v[49:50], v[57:58], v[63:64]
	s_delay_alu instid0(VALU_DEP_2) | instskip(NEXT) | instid1(VALU_DEP_2)
	v_add_f64 v[31:32], v[31:32], v[51:52]
	v_div_fmas_f64 v[45:46], v[49:50], v[45:46], v[57:58]
	v_subrev_co_ci_u32_e64 v3, vcc_lo, 0, v3, s5
	v_cmp_class_f64_e64 s5, v[29:30], 0x204
	v_cmp_gt_i32_e32 vcc_lo, 0, v10
	v_cndmask_b32_e32 v7, 0x54442d18, v59, vcc_lo
	v_add_f64 v[31:32], v[61:62], v[31:32]
	v_div_fixup_f64 v[1:2], v[45:46], v[13:14], v[1:2]
	s_delay_alu instid0(VALU_DEP_2) | instskip(NEXT) | instid1(VALU_DEP_2)
	v_mul_f64 v[13:14], v[47:48], v[31:32]
	v_mul_f64 v[31:32], v[1:2], v[1:2]
	s_delay_alu instid0(VALU_DEP_2) | instskip(NEXT) | instid1(VALU_DEP_2)
	v_add_f64 v[45:46], v[5:6], v[13:14]
	v_fma_f64 v[47:48], v[31:32], s[48:49], s[46:47]
	s_delay_alu instid0(VALU_DEP_2) | instskip(NEXT) | instid1(VALU_DEP_2)
	v_mul_f64 v[49:50], v[45:46], v[45:46]
	v_fma_f64 v[47:48], v[31:32], v[47:48], s[50:51]
	v_add_f64 v[5:6], v[45:46], -v[5:6]
	s_delay_alu instid0(VALU_DEP_3) | instskip(NEXT) | instid1(VALU_DEP_3)
	v_fma_f64 v[51:52], v[49:50], s[28:29], s[26:27]
	v_fma_f64 v[47:48], v[31:32], v[47:48], s[52:53]
	v_mul_f64 v[53:54], v[45:46], v[49:50]
	s_delay_alu instid0(VALU_DEP_4) | instskip(NEXT) | instid1(VALU_DEP_4)
	v_add_f64 v[5:6], v[13:14], -v[5:6]
	v_fma_f64 v[51:52], v[49:50], v[51:52], s[34:35]
	s_delay_alu instid0(VALU_DEP_4) | instskip(NEXT) | instid1(VALU_DEP_3)
	v_fma_f64 v[47:48], v[31:32], v[47:48], s[54:55]
	v_ldexp_f64 v[5:6], v[5:6], 1
	s_delay_alu instid0(VALU_DEP_3) | instskip(NEXT) | instid1(VALU_DEP_3)
	v_fma_f64 v[51:52], v[49:50], v[51:52], s[36:37]
	v_fma_f64 v[47:48], v[31:32], v[47:48], s[56:57]
	s_delay_alu instid0(VALU_DEP_2) | instskip(NEXT) | instid1(VALU_DEP_2)
	v_fma_f64 v[51:52], v[49:50], v[51:52], s[38:39]
	v_fma_f64 v[47:48], v[31:32], v[47:48], s[58:59]
	s_delay_alu instid0(VALU_DEP_2) | instskip(NEXT) | instid1(VALU_DEP_2)
	;; [unrolled: 3-line block ×3, first 2 shown]
	v_fma_f64 v[49:50], v[49:50], v[51:52], s[96:97]
	v_fma_f64 v[47:48], v[31:32], v[47:48], s[62:63]
	v_ldexp_f64 v[51:52], v[45:46], 1
	s_delay_alu instid0(VALU_DEP_3) | instskip(NEXT) | instid1(VALU_DEP_3)
	v_mul_f64 v[49:50], v[53:54], v[49:50]
	v_fma_f64 v[47:48], v[31:32], v[47:48], s[64:65]
	v_cvt_f64_i32_e32 v[53:54], v3
	v_ashrrev_i32_e32 v3, 31, v10
	v_cndmask_b32_e32 v10, 0x3fe921fb, v60, vcc_lo
	s_delay_alu instid0(VALU_DEP_1) | instskip(SKIP_3) | instid1(VALU_DEP_3)
	v_bfi_b32 v10, 0x7fffffff, v10, v12
	v_add_f64 v[45:46], v[51:52], v[49:50]
	v_fma_f64 v[47:48], v[31:32], v[47:48], s[66:67]
	v_mul_f64 v[55:56], v[53:54], s[42:43]
	v_add_f64 v[13:14], v[45:46], -v[51:52]
	s_delay_alu instid0(VALU_DEP_3) | instskip(NEXT) | instid1(VALU_DEP_3)
	v_fma_f64 v[47:48], v[31:32], v[47:48], s[68:69]
	v_fma_f64 v[51:52], v[53:54], s[42:43], -v[55:56]
	s_delay_alu instid0(VALU_DEP_3) | instskip(NEXT) | instid1(VALU_DEP_3)
	v_add_f64 v[13:14], v[49:50], -v[13:14]
	v_fma_f64 v[47:48], v[31:32], v[47:48], s[70:71]
	s_delay_alu instid0(VALU_DEP_3) | instskip(NEXT) | instid1(VALU_DEP_3)
	v_fma_f64 v[49:50], v[53:54], s[44:45], v[51:52]
	v_add_f64 v[5:6], v[5:6], v[13:14]
	s_delay_alu instid0(VALU_DEP_3) | instskip(NEXT) | instid1(VALU_DEP_3)
	v_fma_f64 v[13:14], v[31:32], v[47:48], s[72:73]
	v_add_f64 v[47:48], v[55:56], v[49:50]
	s_delay_alu instid0(VALU_DEP_3) | instskip(NEXT) | instid1(VALU_DEP_3)
	v_add_f64 v[51:52], v[45:46], v[5:6]
	v_fma_f64 v[13:14], v[31:32], v[13:14], s[74:75]
	s_delay_alu instid0(VALU_DEP_3) | instskip(NEXT) | instid1(VALU_DEP_3)
	v_add_f64 v[55:56], v[47:48], -v[55:56]
	v_add_f64 v[53:54], v[47:48], v[51:52]
	s_delay_alu instid0(VALU_DEP_3) | instskip(SKIP_1) | instid1(VALU_DEP_4)
	v_fma_f64 v[13:14], v[31:32], v[13:14], s[76:77]
	v_add_f64 v[45:46], v[51:52], -v[45:46]
	v_add_f64 v[49:50], v[49:50], -v[55:56]
	s_delay_alu instid0(VALU_DEP_4) | instskip(NEXT) | instid1(VALU_DEP_4)
	v_add_f64 v[57:58], v[53:54], -v[47:48]
	v_fma_f64 v[13:14], v[31:32], v[13:14], s[78:79]
	s_delay_alu instid0(VALU_DEP_4) | instskip(NEXT) | instid1(VALU_DEP_3)
	v_add_f64 v[5:6], v[5:6], -v[45:46]
	v_add_f64 v[61:62], v[53:54], -v[57:58]
	s_delay_alu instid0(VALU_DEP_3) | instskip(SKIP_1) | instid1(VALU_DEP_4)
	v_fma_f64 v[13:14], v[31:32], v[13:14], s[80:81]
	v_add_f64 v[45:46], v[51:52], -v[57:58]
	v_add_f64 v[51:52], v[49:50], v[5:6]
	s_delay_alu instid0(VALU_DEP_4) | instskip(NEXT) | instid1(VALU_DEP_4)
	v_add_f64 v[47:48], v[47:48], -v[61:62]
	v_fma_f64 v[13:14], v[31:32], v[13:14], s[82:83]
	s_delay_alu instid0(VALU_DEP_2) | instskip(NEXT) | instid1(VALU_DEP_2)
	v_add_f64 v[45:46], v[45:46], v[47:48]
	v_fma_f64 v[13:14], v[31:32], v[13:14], s[84:85]
	v_add_f64 v[47:48], v[51:52], -v[49:50]
	s_delay_alu instid0(VALU_DEP_3) | instskip(NEXT) | instid1(VALU_DEP_3)
	v_add_f64 v[45:46], v[51:52], v[45:46]
	v_mul_f64 v[13:14], v[31:32], v[13:14]
	s_delay_alu instid0(VALU_DEP_3) | instskip(SKIP_1) | instid1(VALU_DEP_4)
	v_add_f64 v[31:32], v[51:52], -v[47:48]
	v_add_f64 v[5:6], v[5:6], -v[47:48]
	v_add_f64 v[51:52], v[53:54], v[45:46]
	s_delay_alu instid0(VALU_DEP_4) | instskip(NEXT) | instid1(VALU_DEP_4)
	v_fma_f64 v[1:2], v[1:2], v[13:14], v[1:2]
	v_add_f64 v[13:14], v[49:50], -v[31:32]
	s_delay_alu instid0(VALU_DEP_3) | instskip(NEXT) | instid1(VALU_DEP_3)
	v_add_f64 v[31:32], v[51:52], -v[53:54]
	v_add_f64 v[47:48], -v[1:2], s[86:87]
	s_delay_alu instid0(VALU_DEP_3) | instskip(NEXT) | instid1(VALU_DEP_3)
	v_add_f64 v[5:6], v[5:6], v[13:14]
	v_add_f64 v[13:14], v[45:46], -v[31:32]
	s_delay_alu instid0(VALU_DEP_3) | instskip(NEXT) | instid1(VALU_DEP_4)
	v_cndmask_b32_e64 v2, v2, v48, s4
	v_cndmask_b32_e64 v1, v1, v47, s4
	s_delay_alu instid0(VALU_DEP_3) | instskip(NEXT) | instid1(VALU_DEP_2)
	v_add_f64 v[5:6], v[5:6], v[13:14]
	v_add_f64 v[13:14], -v[1:2], s[14:15]
	v_and_b32_e32 v9, 0x54442d18, v3
	v_and_b32_e32 v3, 0x400921fb, v3
	s_delay_alu instid0(VALU_DEP_4) | instskip(NEXT) | instid1(VALU_DEP_4)
	v_add_f64 v[5:6], v[51:52], v[5:6]
	v_cndmask_b32_e32 v2, v2, v14, vcc_lo
	s_delay_alu instid0(VALU_DEP_1)
	v_cndmask_b32_e64 v2, v2, v3, s6
	v_cndmask_b32_e32 v1, v1, v13, vcc_lo
	v_cmp_ngt_f64_e32 vcc_lo, 0, v[43:44]
	v_cndmask_b32_e64 v6, v6, v30, s5
	v_cndmask_b32_e64 v5, v5, v29, s5
	v_cmp_nge_f64_e64 s5, 0, v[43:44]
	s_delay_alu instid0(VALU_DEP_3) | instskip(NEXT) | instid1(VALU_DEP_3)
	v_cndmask_b32_e64 v6, v6, 0x7ff00000, s10
	v_cndmask_b32_e64 v3, v5, 0, s10
	s_delay_alu instid0(VALU_DEP_2) | instskip(SKIP_3) | instid1(VALU_DEP_1)
	v_cndmask_b32_e32 v5, 0x7ff80000, v6, vcc_lo
	s_and_b32 vcc_lo, s9, s8
	v_cndmask_b32_e32 v32, v2, v10, vcc_lo
	v_cndmask_b32_e64 v1, v1, v9, s6
	v_cndmask_b32_e32 v31, v1, v7, vcc_lo
	v_cndmask_b32_e64 v29, 0, v3, s5
	v_cmp_neq_f64_e64 s5, 0, v[43:44]
	s_delay_alu instid0(VALU_DEP_1)
	v_cndmask_b32_e64 v30, 0xfff00000, v5, s5
.LBB168_277:                            ;   in Loop: Header=BB168_145 Depth=1
	s_or_b32 exec_lo, exec_lo, s7
                                        ; implicit-def: $vgpr5_vgpr6
.LBB168_278:                            ;   in Loop: Header=BB168_145 Depth=1
	s_and_not1_saveexec_b32 s7, s89
	s_cbranch_execz .LBB168_284
; %bb.279:                              ;   in Loop: Header=BB168_145 Depth=1
                                        ; implicit-def: $vgpr29_vgpr30
	s_mov_b32 s5, exec_lo
	v_cmpx_ngt_f64_e32 s[90:91], v[5:6]
	s_xor_b32 s8, exec_lo, s5
	s_cbranch_execz .LBB168_281
; %bb.280:                              ;   in Loop: Header=BB168_145 Depth=1
	v_mul_f64 v[1:2], v[5:6], v[5:6]
	s_mov_b32 s97, s25
	s_mov_b32 s14, s86
	v_cmp_eq_f64_e64 s6, 0, v[11:12]
	v_cmp_class_f64_e64 s9, v[11:12], 0x204
	v_cmp_class_f64_e64 s10, v[9:10], 0x204
	v_cmp_gt_i32_e64 s5, 0, v10
	v_add_f64 v[5:6], v[1:2], 1.0
	s_delay_alu instid0(VALU_DEP_1) | instskip(SKIP_2) | instid1(VALU_DEP_3)
	v_frexp_mant_f64_e32 v[13:14], v[5:6]
	v_frexp_exp_i32_f64_e32 v3, v[5:6]
	v_add_f64 v[29:30], v[5:6], -1.0
	v_cmp_gt_f64_e32 vcc_lo, s[24:25], v[13:14]
	s_delay_alu instid0(VALU_DEP_2) | instskip(SKIP_2) | instid1(VALU_DEP_3)
	v_add_f64 v[13:14], v[29:30], -v[5:6]
	v_add_f64 v[29:30], v[1:2], -v[29:30]
	v_subrev_co_ci_u32_e32 v3, vcc_lo, 0, v3, vcc_lo
	v_add_f64 v[13:14], v[13:14], 1.0
	s_delay_alu instid0(VALU_DEP_2) | instskip(NEXT) | instid1(VALU_DEP_1)
	v_sub_nc_u32_e32 v7, 0, v3
	v_ldexp_f64 v[5:6], v[5:6], v7
	s_delay_alu instid0(VALU_DEP_3) | instskip(NEXT) | instid1(VALU_DEP_2)
	v_add_f64 v[13:14], v[29:30], v[13:14]
	v_add_f64 v[31:32], v[5:6], 1.0
	v_add_f64 v[47:48], v[5:6], -1.0
	s_delay_alu instid0(VALU_DEP_3) | instskip(SKIP_1) | instid1(VALU_DEP_4)
	v_ldexp_f64 v[13:14], v[13:14], v7
	v_cndmask_b32_e64 v7, 0x54442d18, v59, s5
	v_add_f64 v[29:30], v[31:32], -1.0
	s_delay_alu instid0(VALU_DEP_4) | instskip(NEXT) | instid1(VALU_DEP_2)
	v_add_f64 v[49:50], v[47:48], 1.0
	v_add_f64 v[29:30], v[5:6], -v[29:30]
	s_delay_alu instid0(VALU_DEP_2) | instskip(NEXT) | instid1(VALU_DEP_2)
	v_add_f64 v[5:6], v[5:6], -v[49:50]
	v_add_f64 v[29:30], v[13:14], v[29:30]
	s_delay_alu instid0(VALU_DEP_2) | instskip(NEXT) | instid1(VALU_DEP_2)
	v_add_f64 v[5:6], v[13:14], v[5:6]
	v_add_f64 v[43:44], v[31:32], v[29:30]
	s_delay_alu instid0(VALU_DEP_2) | instskip(NEXT) | instid1(VALU_DEP_2)
	v_add_f64 v[49:50], v[47:48], v[5:6]
	v_rcp_f64_e32 v[45:46], v[43:44]
	v_add_f64 v[31:32], v[31:32], -v[43:44]
	s_delay_alu instid0(VALU_DEP_2) | instskip(NEXT) | instid1(VALU_DEP_2)
	v_add_f64 v[47:48], v[47:48], -v[49:50]
	v_add_f64 v[29:30], v[29:30], v[31:32]
	s_waitcnt_depctr 0xfff
	v_fma_f64 v[51:52], -v[43:44], v[45:46], 1.0
	v_add_f64 v[5:6], v[5:6], v[47:48]
	s_delay_alu instid0(VALU_DEP_2) | instskip(NEXT) | instid1(VALU_DEP_1)
	v_fma_f64 v[45:46], v[51:52], v[45:46], v[45:46]
	v_fma_f64 v[13:14], -v[43:44], v[45:46], 1.0
	s_delay_alu instid0(VALU_DEP_1) | instskip(NEXT) | instid1(VALU_DEP_1)
	v_fma_f64 v[13:14], v[13:14], v[45:46], v[45:46]
	v_mul_f64 v[45:46], v[49:50], v[13:14]
	s_delay_alu instid0(VALU_DEP_1) | instskip(NEXT) | instid1(VALU_DEP_1)
	v_mul_f64 v[51:52], v[43:44], v[45:46]
	v_fma_f64 v[31:32], v[45:46], v[43:44], -v[51:52]
	s_delay_alu instid0(VALU_DEP_1) | instskip(NEXT) | instid1(VALU_DEP_1)
	v_fma_f64 v[31:32], v[45:46], v[29:30], v[31:32]
	v_add_f64 v[53:54], v[51:52], v[31:32]
	s_delay_alu instid0(VALU_DEP_1) | instskip(SKIP_2) | instid1(VALU_DEP_3)
	v_add_f64 v[55:56], v[49:50], -v[53:54]
	v_add_f64 v[47:48], v[53:54], -v[51:52]
	v_max_f64 v[51:52], |v[11:12]|, |v[11:12]|
	v_add_f64 v[49:50], v[49:50], -v[55:56]
	s_delay_alu instid0(VALU_DEP_3) | instskip(NEXT) | instid1(VALU_DEP_2)
	v_add_f64 v[31:32], v[47:48], -v[31:32]
	v_add_f64 v[49:50], v[49:50], -v[53:54]
	v_max_f64 v[53:54], |v[9:10]|, |v[9:10]|
	s_delay_alu instid0(VALU_DEP_2) | instskip(NEXT) | instid1(VALU_DEP_2)
	v_add_f64 v[5:6], v[5:6], v[49:50]
	v_max_f64 v[57:58], v[53:54], v[51:52]
	v_min_f64 v[51:52], v[53:54], v[51:52]
	s_delay_alu instid0(VALU_DEP_3) | instskip(NEXT) | instid1(VALU_DEP_1)
	v_add_f64 v[5:6], v[31:32], v[5:6]
	v_add_f64 v[31:32], v[55:56], v[5:6]
	s_delay_alu instid0(VALU_DEP_1) | instskip(SKIP_1) | instid1(VALU_DEP_2)
	v_mul_f64 v[47:48], v[13:14], v[31:32]
	v_add_f64 v[55:56], v[55:56], -v[31:32]
	v_mul_f64 v[49:50], v[43:44], v[47:48]
	s_delay_alu instid0(VALU_DEP_2) | instskip(NEXT) | instid1(VALU_DEP_2)
	v_add_f64 v[5:6], v[5:6], v[55:56]
	v_fma_f64 v[43:44], v[47:48], v[43:44], -v[49:50]
	s_delay_alu instid0(VALU_DEP_1) | instskip(SKIP_1) | instid1(VALU_DEP_2)
	v_fma_f64 v[29:30], v[47:48], v[29:30], v[43:44]
	v_div_scale_f64 v[43:44], null, v[57:58], v[57:58], v[51:52]
	v_add_f64 v[53:54], v[49:50], v[29:30]
	s_delay_alu instid0(VALU_DEP_2) | instskip(NEXT) | instid1(VALU_DEP_1)
	v_rcp_f64_e32 v[61:62], v[43:44]
	v_add_f64 v[63:64], v[31:32], -v[53:54]
	v_add_f64 v[49:50], v[53:54], -v[49:50]
	s_waitcnt_depctr 0xfff
	v_fma_f64 v[65:66], -v[43:44], v[61:62], 1.0
	v_add_f64 v[31:32], v[31:32], -v[63:64]
	v_add_f64 v[29:30], v[49:50], -v[29:30]
	s_delay_alu instid0(VALU_DEP_3) | instskip(NEXT) | instid1(VALU_DEP_3)
	v_fma_f64 v[61:62], v[61:62], v[65:66], v[61:62]
	v_add_f64 v[31:32], v[31:32], -v[53:54]
	s_delay_alu instid0(VALU_DEP_2) | instskip(NEXT) | instid1(VALU_DEP_2)
	v_fma_f64 v[53:54], -v[43:44], v[61:62], 1.0
	v_add_f64 v[5:6], v[5:6], v[31:32]
	v_div_scale_f64 v[31:32], vcc_lo, v[51:52], v[57:58], v[51:52]
	s_delay_alu instid0(VALU_DEP_3) | instskip(SKIP_1) | instid1(VALU_DEP_4)
	v_fma_f64 v[49:50], v[61:62], v[53:54], v[61:62]
	v_add_f64 v[53:54], v[45:46], v[47:48]
	v_add_f64 v[5:6], v[29:30], v[5:6]
	s_delay_alu instid0(VALU_DEP_3) | instskip(NEXT) | instid1(VALU_DEP_3)
	v_mul_f64 v[29:30], v[31:32], v[49:50]
	v_add_f64 v[45:46], v[53:54], -v[45:46]
	s_delay_alu instid0(VALU_DEP_3) | instskip(NEXT) | instid1(VALU_DEP_3)
	v_add_f64 v[5:6], v[63:64], v[5:6]
	v_fma_f64 v[31:32], -v[43:44], v[29:30], v[31:32]
	s_delay_alu instid0(VALU_DEP_3) | instskip(NEXT) | instid1(VALU_DEP_3)
	v_add_f64 v[43:44], v[47:48], -v[45:46]
	v_mul_f64 v[5:6], v[13:14], v[5:6]
	s_delay_alu instid0(VALU_DEP_3) | instskip(SKIP_1) | instid1(VALU_DEP_3)
	v_div_fmas_f64 v[13:14], v[31:32], v[49:50], v[29:30]
	v_cmp_eq_f64_e32 vcc_lo, 0x7ff00000, v[1:2]
	v_add_f64 v[5:6], v[43:44], v[5:6]
	s_delay_alu instid0(VALU_DEP_3) | instskip(NEXT) | instid1(VALU_DEP_2)
	v_div_fixup_f64 v[13:14], v[13:14], v[57:58], v[51:52]
	v_add_f64 v[29:30], v[53:54], v[5:6]
	s_delay_alu instid0(VALU_DEP_2) | instskip(NEXT) | instid1(VALU_DEP_2)
	v_mul_f64 v[31:32], v[13:14], v[13:14]
	v_mul_f64 v[43:44], v[29:30], v[29:30]
	s_delay_alu instid0(VALU_DEP_2) | instskip(NEXT) | instid1(VALU_DEP_2)
	v_fma_f64 v[45:46], v[31:32], s[48:49], s[46:47]
	v_fma_f64 v[47:48], v[43:44], s[28:29], s[26:27]
	v_mul_f64 v[49:50], v[29:30], v[43:44]
	s_delay_alu instid0(VALU_DEP_3) | instskip(NEXT) | instid1(VALU_DEP_3)
	v_fma_f64 v[45:46], v[31:32], v[45:46], s[50:51]
	v_fma_f64 v[47:48], v[43:44], v[47:48], s[34:35]
	s_delay_alu instid0(VALU_DEP_2) | instskip(NEXT) | instid1(VALU_DEP_2)
	v_fma_f64 v[45:46], v[31:32], v[45:46], s[52:53]
	v_fma_f64 v[47:48], v[43:44], v[47:48], s[36:37]
	s_delay_alu instid0(VALU_DEP_2) | instskip(NEXT) | instid1(VALU_DEP_2)
	;; [unrolled: 3-line block ×4, first 2 shown]
	v_fma_f64 v[45:46], v[31:32], v[45:46], s[58:59]
	v_fma_f64 v[43:44], v[43:44], v[47:48], s[96:97]
	v_ldexp_f64 v[47:48], v[29:30], 1
	v_add_f64 v[29:30], v[29:30], -v[53:54]
	s_delay_alu instid0(VALU_DEP_4) | instskip(NEXT) | instid1(VALU_DEP_4)
	v_fma_f64 v[45:46], v[31:32], v[45:46], s[60:61]
	v_mul_f64 v[43:44], v[49:50], v[43:44]
	v_cvt_f64_i32_e32 v[49:50], v3
	s_delay_alu instid0(VALU_DEP_4) | instskip(NEXT) | instid1(VALU_DEP_4)
	v_add_f64 v[5:6], v[5:6], -v[29:30]
	v_fma_f64 v[45:46], v[31:32], v[45:46], s[62:63]
	v_ashrrev_i32_e32 v3, 31, v10
	v_add_f64 v[51:52], v[47:48], v[43:44]
	v_mul_f64 v[53:54], v[49:50], s[42:43]
	v_ldexp_f64 v[5:6], v[5:6], 1
	v_fma_f64 v[45:46], v[31:32], v[45:46], s[64:65]
	s_delay_alu instid0(VALU_DEP_4) | instskip(NEXT) | instid1(VALU_DEP_4)
	v_add_f64 v[29:30], v[51:52], -v[47:48]
	v_fma_f64 v[47:48], v[49:50], s[42:43], -v[53:54]
	s_delay_alu instid0(VALU_DEP_3) | instskip(NEXT) | instid1(VALU_DEP_3)
	v_fma_f64 v[45:46], v[31:32], v[45:46], s[66:67]
	v_add_f64 v[29:30], v[43:44], -v[29:30]
	s_delay_alu instid0(VALU_DEP_2) | instskip(NEXT) | instid1(VALU_DEP_4)
	v_fma_f64 v[43:44], v[31:32], v[45:46], s[68:69]
	v_fma_f64 v[45:46], v[49:50], s[44:45], v[47:48]
	s_delay_alu instid0(VALU_DEP_3) | instskip(NEXT) | instid1(VALU_DEP_3)
	v_add_f64 v[5:6], v[5:6], v[29:30]
	v_fma_f64 v[29:30], v[31:32], v[43:44], s[70:71]
	s_delay_alu instid0(VALU_DEP_3) | instskip(NEXT) | instid1(VALU_DEP_3)
	v_add_f64 v[43:44], v[53:54], v[45:46]
	v_add_f64 v[47:48], v[51:52], v[5:6]
	s_delay_alu instid0(VALU_DEP_3) | instskip(NEXT) | instid1(VALU_DEP_3)
	v_fma_f64 v[29:30], v[31:32], v[29:30], s[72:73]
	v_add_f64 v[53:54], v[43:44], -v[53:54]
	s_delay_alu instid0(VALU_DEP_3) | instskip(SKIP_1) | instid1(VALU_DEP_4)
	v_add_f64 v[49:50], v[43:44], v[47:48]
	v_add_f64 v[51:52], v[47:48], -v[51:52]
	v_fma_f64 v[29:30], v[31:32], v[29:30], s[74:75]
	s_delay_alu instid0(VALU_DEP_4) | instskip(NEXT) | instid1(VALU_DEP_4)
	v_add_f64 v[45:46], v[45:46], -v[53:54]
	v_add_f64 v[55:56], v[49:50], -v[43:44]
	s_delay_alu instid0(VALU_DEP_4) | instskip(NEXT) | instid1(VALU_DEP_4)
	v_add_f64 v[5:6], v[5:6], -v[51:52]
	v_fma_f64 v[29:30], v[31:32], v[29:30], s[76:77]
	s_delay_alu instid0(VALU_DEP_3) | instskip(SKIP_1) | instid1(VALU_DEP_4)
	v_add_f64 v[57:58], v[49:50], -v[55:56]
	v_add_f64 v[47:48], v[47:48], -v[55:56]
	v_add_f64 v[51:52], v[45:46], v[5:6]
	s_delay_alu instid0(VALU_DEP_4) | instskip(NEXT) | instid1(VALU_DEP_4)
	v_fma_f64 v[29:30], v[31:32], v[29:30], s[78:79]
	v_add_f64 v[43:44], v[43:44], -v[57:58]
	s_delay_alu instid0(VALU_DEP_2) | instskip(NEXT) | instid1(VALU_DEP_2)
	v_fma_f64 v[29:30], v[31:32], v[29:30], s[80:81]
	v_add_f64 v[43:44], v[47:48], v[43:44]
	v_add_f64 v[47:48], v[51:52], -v[45:46]
	s_delay_alu instid0(VALU_DEP_3) | instskip(NEXT) | instid1(VALU_DEP_3)
	v_fma_f64 v[29:30], v[31:32], v[29:30], s[82:83]
	v_add_f64 v[43:44], v[51:52], v[43:44]
	s_delay_alu instid0(VALU_DEP_3) | instskip(SKIP_1) | instid1(VALU_DEP_4)
	v_add_f64 v[51:52], v[51:52], -v[47:48]
	v_add_f64 v[5:6], v[5:6], -v[47:48]
	v_fma_f64 v[29:30], v[31:32], v[29:30], s[84:85]
	s_delay_alu instid0(VALU_DEP_4) | instskip(NEXT) | instid1(VALU_DEP_2)
	v_add_f64 v[53:54], v[49:50], v[43:44]
	v_mul_f64 v[29:30], v[31:32], v[29:30]
	v_add_f64 v[31:32], v[45:46], -v[51:52]
	s_delay_alu instid0(VALU_DEP_3) | instskip(NEXT) | instid1(VALU_DEP_3)
	v_add_f64 v[45:46], v[53:54], -v[49:50]
	v_fma_f64 v[13:14], v[13:14], v[29:30], v[13:14]
	s_delay_alu instid0(VALU_DEP_3) | instskip(NEXT) | instid1(VALU_DEP_3)
	v_add_f64 v[5:6], v[5:6], v[31:32]
	v_add_f64 v[29:30], v[43:44], -v[45:46]
	s_delay_alu instid0(VALU_DEP_3) | instskip(NEXT) | instid1(VALU_DEP_2)
	v_add_f64 v[31:32], -v[13:14], s[86:87]
	v_add_f64 v[5:6], v[5:6], v[29:30]
	s_delay_alu instid0(VALU_DEP_2) | instskip(NEXT) | instid1(VALU_DEP_3)
	v_cndmask_b32_e64 v14, v14, v32, s4
	v_cndmask_b32_e64 v13, v13, v31, s4
	s_delay_alu instid0(VALU_DEP_1) | instskip(NEXT) | instid1(VALU_DEP_4)
	v_add_f64 v[30:31], -v[13:14], s[14:15]
	v_add_f64 v[5:6], v[53:54], v[5:6]
	v_and_b32_e32 v15, 0x54442d18, v3
	s_delay_alu instid0(VALU_DEP_3) | instskip(NEXT) | instid1(VALU_DEP_3)
	v_cndmask_b32_e64 v13, v13, v30, s5
	v_dual_cndmask_b32 v2, v6, v2 :: v_dual_cndmask_b32 v1, v5, v1
	s_delay_alu instid0(VALU_DEP_2) | instskip(SKIP_1) | instid1(VALU_DEP_2)
	v_cndmask_b32_e64 v5, v13, v15, s6
	s_and_b32 vcc_lo, s9, s10
	v_mul_f64 v[29:30], v[1:2], 0.5
	v_and_b32_e32 v2, 0x400921fb, v3
	v_cndmask_b32_e64 v1, 0x3fe921fb, v60, s5
	v_cndmask_b32_e64 v3, v14, v31, s5
	v_cndmask_b32_e32 v31, v5, v7, vcc_lo
                                        ; implicit-def: $vgpr5_vgpr6
	s_delay_alu instid0(VALU_DEP_3) | instskip(NEXT) | instid1(VALU_DEP_3)
	v_bfi_b32 v1, 0x7fffffff, v1, v12
	v_cndmask_b32_e64 v2, v3, v2, s6
	s_delay_alu instid0(VALU_DEP_1)
	v_cndmask_b32_e32 v32, v2, v1, vcc_lo
.LBB168_281:                            ;   in Loop: Header=BB168_145 Depth=1
	s_and_not1_saveexec_b32 s6, s8
	s_cbranch_execz .LBB168_283
; %bb.282:                              ;   in Loop: Header=BB168_145 Depth=1
	v_max_f64 v[1:2], |v[11:12]|, |v[11:12]|
	v_max_f64 v[13:14], |v[9:10]|, |v[9:10]|
	s_mov_b32 s14, s86
	v_cmp_class_f64_e64 s8, v[11:12], 0x204
	v_cmp_class_f64_e64 s9, v[9:10], 0x204
	v_cmp_eq_f64_e64 s5, 0, v[11:12]
	v_ashrrev_i32_e32 v3, 31, v10
	v_max_f64 v[29:30], v[13:14], v[1:2]
	v_min_f64 v[1:2], v[13:14], v[1:2]
	s_delay_alu instid0(VALU_DEP_1) | instskip(SKIP_1) | instid1(VALU_DEP_2)
	v_div_scale_f64 v[13:14], null, v[29:30], v[29:30], v[1:2]
	v_div_scale_f64 v[45:46], vcc_lo, v[1:2], v[29:30], v[1:2]
	v_rcp_f64_e32 v[31:32], v[13:14]
	s_waitcnt_depctr 0xfff
	v_fma_f64 v[43:44], -v[13:14], v[31:32], 1.0
	s_delay_alu instid0(VALU_DEP_1) | instskip(NEXT) | instid1(VALU_DEP_1)
	v_fma_f64 v[31:32], v[31:32], v[43:44], v[31:32]
	v_fma_f64 v[43:44], -v[13:14], v[31:32], 1.0
	s_delay_alu instid0(VALU_DEP_1) | instskip(NEXT) | instid1(VALU_DEP_1)
	v_fma_f64 v[31:32], v[31:32], v[43:44], v[31:32]
	v_mul_f64 v[43:44], v[45:46], v[31:32]
	s_delay_alu instid0(VALU_DEP_1) | instskip(NEXT) | instid1(VALU_DEP_1)
	v_fma_f64 v[13:14], -v[13:14], v[43:44], v[45:46]
	v_div_fmas_f64 v[13:14], v[13:14], v[31:32], v[43:44]
	v_cmp_gt_i32_e32 vcc_lo, 0, v10
	v_cndmask_b32_e32 v7, 0x54442d18, v59, vcc_lo
	s_delay_alu instid0(VALU_DEP_3) | instskip(NEXT) | instid1(VALU_DEP_1)
	v_div_fixup_f64 v[1:2], v[13:14], v[29:30], v[1:2]
	v_mul_f64 v[13:14], v[1:2], v[1:2]
	s_delay_alu instid0(VALU_DEP_1) | instskip(NEXT) | instid1(VALU_DEP_1)
	v_fma_f64 v[29:30], v[13:14], s[48:49], s[46:47]
	v_fma_f64 v[29:30], v[13:14], v[29:30], s[50:51]
	s_delay_alu instid0(VALU_DEP_1) | instskip(NEXT) | instid1(VALU_DEP_1)
	v_fma_f64 v[29:30], v[13:14], v[29:30], s[52:53]
	v_fma_f64 v[29:30], v[13:14], v[29:30], s[54:55]
	s_delay_alu instid0(VALU_DEP_1) | instskip(NEXT) | instid1(VALU_DEP_1)
	v_fma_f64 v[29:30], v[13:14], v[29:30], s[56:57]
	v_fma_f64 v[29:30], v[13:14], v[29:30], s[58:59]
	s_delay_alu instid0(VALU_DEP_1) | instskip(NEXT) | instid1(VALU_DEP_1)
	v_fma_f64 v[29:30], v[13:14], v[29:30], s[60:61]
	v_fma_f64 v[29:30], v[13:14], v[29:30], s[62:63]
	s_delay_alu instid0(VALU_DEP_1) | instskip(NEXT) | instid1(VALU_DEP_1)
	v_fma_f64 v[29:30], v[13:14], v[29:30], s[64:65]
	v_fma_f64 v[29:30], v[13:14], v[29:30], s[66:67]
	s_delay_alu instid0(VALU_DEP_1) | instskip(NEXT) | instid1(VALU_DEP_1)
	v_fma_f64 v[29:30], v[13:14], v[29:30], s[68:69]
	v_fma_f64 v[29:30], v[13:14], v[29:30], s[70:71]
	s_delay_alu instid0(VALU_DEP_1) | instskip(NEXT) | instid1(VALU_DEP_1)
	v_fma_f64 v[29:30], v[13:14], v[29:30], s[72:73]
	v_fma_f64 v[29:30], v[13:14], v[29:30], s[74:75]
	s_delay_alu instid0(VALU_DEP_1) | instskip(NEXT) | instid1(VALU_DEP_1)
	v_fma_f64 v[29:30], v[13:14], v[29:30], s[76:77]
	v_fma_f64 v[29:30], v[13:14], v[29:30], s[78:79]
	s_delay_alu instid0(VALU_DEP_1) | instskip(NEXT) | instid1(VALU_DEP_1)
	v_fma_f64 v[29:30], v[13:14], v[29:30], s[80:81]
	v_fma_f64 v[29:30], v[13:14], v[29:30], s[82:83]
	s_delay_alu instid0(VALU_DEP_1) | instskip(NEXT) | instid1(VALU_DEP_1)
	v_fma_f64 v[29:30], v[13:14], v[29:30], s[84:85]
	v_mul_f64 v[13:14], v[13:14], v[29:30]
	v_mul_f64 v[29:30], v[5:6], 0.5
	s_delay_alu instid0(VALU_DEP_2) | instskip(NEXT) | instid1(VALU_DEP_2)
	v_fma_f64 v[1:2], v[1:2], v[13:14], v[1:2]
	v_mul_f64 v[29:30], v[5:6], v[29:30]
	v_cndmask_b32_e32 v5, 0x3fe921fb, v60, vcc_lo
	s_delay_alu instid0(VALU_DEP_1) | instskip(NEXT) | instid1(VALU_DEP_4)
	v_bfi_b32 v5, 0x7fffffff, v5, v12
	v_add_f64 v[13:14], -v[1:2], s[86:87]
	s_delay_alu instid0(VALU_DEP_1) | instskip(NEXT) | instid1(VALU_DEP_2)
	v_cndmask_b32_e64 v2, v2, v14, s4
	v_cndmask_b32_e64 v1, v1, v13, s4
	s_delay_alu instid0(VALU_DEP_1) | instskip(NEXT) | instid1(VALU_DEP_1)
	v_add_f64 v[13:14], -v[1:2], s[14:15]
	v_dual_cndmask_b32 v2, v2, v14 :: v_dual_and_b32 v15, 0x54442d18, v3
	s_delay_alu instid0(VALU_DEP_2) | instskip(SKIP_2) | instid1(VALU_DEP_2)
	v_cndmask_b32_e32 v1, v1, v13, vcc_lo
	s_and_b32 vcc_lo, s8, s9
	v_and_b32_e32 v3, 0x400921fb, v3
	v_cndmask_b32_e64 v1, v1, v15, s5
	s_delay_alu instid0(VALU_DEP_2) | instskip(NEXT) | instid1(VALU_DEP_1)
	v_cndmask_b32_e64 v2, v2, v3, s5
	v_dual_cndmask_b32 v31, v1, v7 :: v_dual_cndmask_b32 v32, v2, v5
.LBB168_283:                            ;   in Loop: Header=BB168_145 Depth=1
	s_or_b32 exec_lo, exec_lo, s6
.LBB168_284:                            ;   in Loop: Header=BB168_145 Depth=1
	s_delay_alu instid0(SALU_CYCLE_1)
	s_or_b32 exec_lo, exec_lo, s7
.LBB168_285:                            ;   in Loop: Header=BB168_145 Depth=1
	s_and_not1_saveexec_b32 s7, s88
	s_cbranch_execz .LBB168_287
; %bb.286:                              ;   in Loop: Header=BB168_145 Depth=1
	v_div_scale_f64 v[1:2], null, s[92:93], s[92:93], v[9:10]
	v_div_scale_f64 v[5:6], null, s[92:93], s[92:93], v[11:12]
	v_div_scale_f64 v[45:46], vcc_lo, v[9:10], s[92:93], v[9:10]
	v_max_f64 v[49:50], |v[9:10]|, |v[9:10]|
	s_mov_b32 s97, s25
	s_mov_b32 s14, s86
	s_delay_alu instid0(VALU_DEP_4) | instskip(NEXT) | instid1(VALU_DEP_3)
	v_rcp_f64_e32 v[13:14], v[1:2]
	v_rcp_f64_e32 v[29:30], v[5:6]
	s_waitcnt_depctr 0xfff
	v_fma_f64 v[31:32], -v[1:2], v[13:14], 1.0
	v_fma_f64 v[43:44], -v[5:6], v[29:30], 1.0
	s_delay_alu instid0(VALU_DEP_2) | instskip(NEXT) | instid1(VALU_DEP_2)
	v_fma_f64 v[13:14], v[13:14], v[31:32], v[13:14]
	v_fma_f64 v[29:30], v[29:30], v[43:44], v[29:30]
	s_delay_alu instid0(VALU_DEP_2) | instskip(NEXT) | instid1(VALU_DEP_2)
	v_fma_f64 v[31:32], -v[1:2], v[13:14], 1.0
	v_fma_f64 v[43:44], -v[5:6], v[29:30], 1.0
	s_delay_alu instid0(VALU_DEP_2) | instskip(SKIP_1) | instid1(VALU_DEP_3)
	v_fma_f64 v[13:14], v[13:14], v[31:32], v[13:14]
	v_div_scale_f64 v[31:32], s5, v[11:12], s[92:93], v[11:12]
	v_fma_f64 v[29:30], v[29:30], v[43:44], v[29:30]
	s_delay_alu instid0(VALU_DEP_3) | instskip(NEXT) | instid1(VALU_DEP_2)
	v_mul_f64 v[43:44], v[45:46], v[13:14]
	v_mul_f64 v[47:48], v[31:32], v[29:30]
	s_delay_alu instid0(VALU_DEP_2) | instskip(NEXT) | instid1(VALU_DEP_2)
	v_fma_f64 v[1:2], -v[1:2], v[43:44], v[45:46]
	v_fma_f64 v[5:6], -v[5:6], v[47:48], v[31:32]
	s_delay_alu instid0(VALU_DEP_2) | instskip(SKIP_1) | instid1(VALU_DEP_2)
	v_div_fmas_f64 v[1:2], v[1:2], v[13:14], v[43:44]
	s_mov_b32 vcc_lo, s5
	v_div_fmas_f64 v[5:6], v[5:6], v[29:30], v[47:48]
	s_delay_alu instid0(VALU_DEP_2) | instskip(NEXT) | instid1(VALU_DEP_2)
	v_div_fixup_f64 v[1:2], v[1:2], s[92:93], v[9:10]
	v_div_fixup_f64 v[5:6], v[5:6], s[92:93], v[11:12]
	s_delay_alu instid0(VALU_DEP_2) | instskip(NEXT) | instid1(VALU_DEP_2)
	v_cmp_class_f64_e64 s6, v[1:2], 0x204
	v_max_f64 v[13:14], |v[1:2]|, |v[5:6]|
	v_cmp_o_f64_e64 s5, v[1:2], v[5:6]
	v_cmp_class_f64_e64 s8, v[5:6], 0x204
	s_delay_alu instid0(VALU_DEP_3) | instskip(NEXT) | instid1(VALU_DEP_2)
	v_frexp_exp_i32_f64_e32 v3, v[13:14]
	s_or_b32 s8, s8, s6
	s_delay_alu instid0(VALU_DEP_1) | instskip(NEXT) | instid1(VALU_DEP_1)
	v_sub_nc_u32_e32 v7, 0, v3
	v_ldexp_f64 v[13:14], |v[5:6]|, v7
	v_ldexp_f64 v[29:30], |v[1:2]|, v7
	s_delay_alu instid0(VALU_DEP_2) | instskip(NEXT) | instid1(VALU_DEP_1)
	v_mul_f64 v[13:14], v[13:14], v[13:14]
	v_fma_f64 v[13:14], v[29:30], v[29:30], v[13:14]
	s_delay_alu instid0(VALU_DEP_1) | instskip(SKIP_4) | instid1(VALU_DEP_1)
	v_rsq_f64_e32 v[29:30], v[13:14]
	v_cmp_eq_f64_e32 vcc_lo, 0, v[13:14]
	s_waitcnt_depctr 0xfff
	v_mul_f64 v[31:32], v[13:14], v[29:30]
	v_mul_f64 v[29:30], v[29:30], 0.5
	v_fma_f64 v[43:44], -v[29:30], v[31:32], 0.5
	s_delay_alu instid0(VALU_DEP_1) | instskip(SKIP_1) | instid1(VALU_DEP_2)
	v_fma_f64 v[31:32], v[31:32], v[43:44], v[31:32]
	v_fma_f64 v[29:30], v[29:30], v[43:44], v[29:30]
	v_fma_f64 v[43:44], -v[31:32], v[31:32], v[13:14]
	s_delay_alu instid0(VALU_DEP_1) | instskip(NEXT) | instid1(VALU_DEP_1)
	v_fma_f64 v[29:30], v[43:44], v[29:30], v[31:32]
	v_dual_cndmask_b32 v14, v30, v14 :: v_dual_cndmask_b32 v13, v29, v13
	s_delay_alu instid0(VALU_DEP_1) | instskip(NEXT) | instid1(VALU_DEP_1)
	v_ldexp_f64 v[13:14], v[13:14], v3
	v_cndmask_b32_e64 v3, 0, v13, s5
	s_delay_alu instid0(VALU_DEP_2) | instskip(NEXT) | instid1(VALU_DEP_2)
	v_cndmask_b32_e64 v7, 0x7ff80000, v14, s5
	v_cndmask_b32_e64 v1, v3, 0, s8
	s_delay_alu instid0(VALU_DEP_2) | instskip(NEXT) | instid1(VALU_DEP_1)
	v_cndmask_b32_e64 v2, v7, 0x7ff00000, s8
	v_frexp_mant_f64_e32 v[5:6], v[1:2]
	v_frexp_exp_i32_f64_e32 v15, v[1:2]
	s_delay_alu instid0(VALU_DEP_2) | instskip(NEXT) | instid1(VALU_DEP_1)
	v_cmp_gt_f64_e64 s6, s[24:25], v[5:6]
	v_cndmask_b32_e64 v34, 0x3ff00000, 2.0, s6
	s_delay_alu instid0(VALU_DEP_1) | instskip(NEXT) | instid1(VALU_DEP_1)
	v_mul_f64 v[5:6], v[5:6], v[33:34]
	v_add_f64 v[29:30], v[5:6], 1.0
	v_add_f64 v[45:46], v[5:6], -1.0
	s_delay_alu instid0(VALU_DEP_2) | instskip(SKIP_1) | instid1(VALU_DEP_1)
	v_rcp_f64_e32 v[31:32], v[29:30]
	v_add_f64 v[51:52], v[29:30], -1.0
	v_add_f64 v[5:6], v[5:6], -v[51:52]
	s_waitcnt_depctr 0xfff
	v_fma_f64 v[43:44], -v[29:30], v[31:32], 1.0
	s_delay_alu instid0(VALU_DEP_1) | instskip(NEXT) | instid1(VALU_DEP_1)
	v_fma_f64 v[31:32], v[43:44], v[31:32], v[31:32]
	v_fma_f64 v[43:44], -v[29:30], v[31:32], 1.0
	s_delay_alu instid0(VALU_DEP_1) | instskip(SKIP_1) | instid1(VALU_DEP_2)
	v_fma_f64 v[31:32], v[43:44], v[31:32], v[31:32]
	v_max_f64 v[43:44], |v[11:12]|, |v[11:12]|
	v_mul_f64 v[47:48], v[45:46], v[31:32]
	s_delay_alu instid0(VALU_DEP_2) | instskip(SKIP_1) | instid1(VALU_DEP_3)
	v_max_f64 v[55:56], v[49:50], v[43:44]
	v_min_f64 v[43:44], v[49:50], v[43:44]
	v_mul_f64 v[53:54], v[29:30], v[47:48]
	s_delay_alu instid0(VALU_DEP_2) | instskip(NEXT) | instid1(VALU_DEP_2)
	v_div_scale_f64 v[49:50], null, v[55:56], v[55:56], v[43:44]
	v_fma_f64 v[29:30], v[47:48], v[29:30], -v[53:54]
	s_delay_alu instid0(VALU_DEP_1) | instskip(NEXT) | instid1(VALU_DEP_3)
	v_fma_f64 v[5:6], v[47:48], v[5:6], v[29:30]
	v_rcp_f64_e32 v[29:30], v[49:50]
	s_delay_alu instid0(VALU_DEP_1) | instskip(SKIP_4) | instid1(VALU_DEP_3)
	v_add_f64 v[51:52], v[53:54], v[5:6]
	s_waitcnt_depctr 0xfff
	v_fma_f64 v[57:58], -v[49:50], v[29:30], 1.0
	v_add_f64 v[61:62], v[45:46], -v[51:52]
	v_add_f64 v[53:54], v[51:52], -v[53:54]
	v_fma_f64 v[29:30], v[29:30], v[57:58], v[29:30]
	s_delay_alu instid0(VALU_DEP_3) | instskip(NEXT) | instid1(VALU_DEP_3)
	v_add_f64 v[45:46], v[45:46], -v[61:62]
	v_add_f64 v[5:6], v[53:54], -v[5:6]
	s_delay_alu instid0(VALU_DEP_3) | instskip(NEXT) | instid1(VALU_DEP_3)
	v_fma_f64 v[57:58], -v[49:50], v[29:30], 1.0
	v_add_f64 v[45:46], v[45:46], -v[51:52]
	v_div_scale_f64 v[51:52], vcc_lo, v[43:44], v[55:56], v[43:44]
	s_delay_alu instid0(VALU_DEP_3) | instskip(NEXT) | instid1(VALU_DEP_3)
	v_fma_f64 v[29:30], v[29:30], v[57:58], v[29:30]
	v_add_f64 v[5:6], v[5:6], v[45:46]
	s_delay_alu instid0(VALU_DEP_2) | instskip(NEXT) | instid1(VALU_DEP_2)
	v_mul_f64 v[45:46], v[51:52], v[29:30]
	v_add_f64 v[5:6], v[61:62], v[5:6]
	s_delay_alu instid0(VALU_DEP_2) | instskip(NEXT) | instid1(VALU_DEP_2)
	v_fma_f64 v[49:50], -v[49:50], v[45:46], v[51:52]
	v_mul_f64 v[5:6], v[31:32], v[5:6]
	s_delay_alu instid0(VALU_DEP_2) | instskip(SKIP_2) | instid1(VALU_DEP_4)
	v_div_fmas_f64 v[29:30], v[49:50], v[29:30], v[45:46]
	v_subrev_co_ci_u32_e64 v15, vcc_lo, 0, v15, s6
	v_cmp_class_f64_e64 s6, v[9:10], 0x204
	v_add_f64 v[31:32], v[47:48], v[5:6]
	s_delay_alu instid0(VALU_DEP_4) | instskip(NEXT) | instid1(VALU_DEP_2)
	v_div_fixup_f64 v[29:30], v[29:30], v[55:56], v[43:44]
	v_mul_f64 v[43:44], v[31:32], v[31:32]
	s_delay_alu instid0(VALU_DEP_2) | instskip(NEXT) | instid1(VALU_DEP_2)
	v_mul_f64 v[45:46], v[29:30], v[29:30]
	v_fma_f64 v[49:50], v[43:44], s[28:29], s[26:27]
	v_mul_f64 v[53:54], v[31:32], v[43:44]
	s_delay_alu instid0(VALU_DEP_3) | instskip(NEXT) | instid1(VALU_DEP_3)
	v_fma_f64 v[51:52], v[45:46], s[48:49], s[46:47]
	v_fma_f64 v[49:50], v[43:44], v[49:50], s[34:35]
	s_delay_alu instid0(VALU_DEP_2) | instskip(NEXT) | instid1(VALU_DEP_2)
	v_fma_f64 v[51:52], v[45:46], v[51:52], s[50:51]
	v_fma_f64 v[49:50], v[43:44], v[49:50], s[36:37]
	s_delay_alu instid0(VALU_DEP_2) | instskip(NEXT) | instid1(VALU_DEP_2)
	;; [unrolled: 3-line block ×4, first 2 shown]
	v_fma_f64 v[51:52], v[45:46], v[51:52], s[56:57]
	v_fma_f64 v[43:44], v[43:44], v[49:50], s[96:97]
	s_delay_alu instid0(VALU_DEP_2) | instskip(SKIP_2) | instid1(VALU_DEP_4)
	v_fma_f64 v[49:50], v[45:46], v[51:52], s[58:59]
	v_ldexp_f64 v[51:52], v[31:32], 1
	v_add_f64 v[31:32], v[31:32], -v[47:48]
	v_mul_f64 v[43:44], v[53:54], v[43:44]
	v_cvt_f64_i32_e32 v[53:54], v15
	v_ashrrev_i32_e32 v15, 31, v10
	v_fma_f64 v[49:50], v[45:46], v[49:50], s[60:61]
	v_add_f64 v[5:6], v[5:6], -v[31:32]
	v_add_f64 v[47:48], v[51:52], v[43:44]
	v_mul_f64 v[55:56], v[53:54], s[42:43]
	s_delay_alu instid0(VALU_DEP_4) | instskip(NEXT) | instid1(VALU_DEP_4)
	v_fma_f64 v[49:50], v[45:46], v[49:50], s[62:63]
	v_ldexp_f64 v[5:6], v[5:6], 1
	s_delay_alu instid0(VALU_DEP_4) | instskip(NEXT) | instid1(VALU_DEP_4)
	v_add_f64 v[31:32], v[47:48], -v[51:52]
	v_fma_f64 v[51:52], v[53:54], s[42:43], -v[55:56]
	s_delay_alu instid0(VALU_DEP_4) | instskip(NEXT) | instid1(VALU_DEP_3)
	v_fma_f64 v[49:50], v[45:46], v[49:50], s[64:65]
	v_add_f64 v[31:32], v[43:44], -v[31:32]
	s_delay_alu instid0(VALU_DEP_2) | instskip(NEXT) | instid1(VALU_DEP_4)
	v_fma_f64 v[43:44], v[45:46], v[49:50], s[66:67]
	v_fma_f64 v[49:50], v[53:54], s[44:45], v[51:52]
	s_delay_alu instid0(VALU_DEP_3) | instskip(NEXT) | instid1(VALU_DEP_3)
	v_add_f64 v[5:6], v[5:6], v[31:32]
	v_fma_f64 v[31:32], v[45:46], v[43:44], s[68:69]
	s_delay_alu instid0(VALU_DEP_3) | instskip(NEXT) | instid1(VALU_DEP_3)
	v_add_f64 v[43:44], v[55:56], v[49:50]
	v_add_f64 v[51:52], v[47:48], v[5:6]
	s_delay_alu instid0(VALU_DEP_3) | instskip(NEXT) | instid1(VALU_DEP_3)
	v_fma_f64 v[31:32], v[45:46], v[31:32], s[70:71]
	v_add_f64 v[55:56], v[43:44], -v[55:56]
	s_delay_alu instid0(VALU_DEP_3) | instskip(SKIP_1) | instid1(VALU_DEP_4)
	v_add_f64 v[53:54], v[43:44], v[51:52]
	v_add_f64 v[47:48], v[51:52], -v[47:48]
	v_fma_f64 v[31:32], v[45:46], v[31:32], s[72:73]
	s_delay_alu instid0(VALU_DEP_4) | instskip(NEXT) | instid1(VALU_DEP_4)
	v_add_f64 v[49:50], v[49:50], -v[55:56]
	v_add_f64 v[57:58], v[53:54], -v[43:44]
	s_delay_alu instid0(VALU_DEP_4) | instskip(NEXT) | instid1(VALU_DEP_4)
	v_add_f64 v[5:6], v[5:6], -v[47:48]
	v_fma_f64 v[31:32], v[45:46], v[31:32], s[74:75]
	s_delay_alu instid0(VALU_DEP_3) | instskip(SKIP_1) | instid1(VALU_DEP_4)
	v_add_f64 v[61:62], v[53:54], -v[57:58]
	v_add_f64 v[47:48], v[51:52], -v[57:58]
	v_add_f64 v[51:52], v[49:50], v[5:6]
	s_delay_alu instid0(VALU_DEP_4) | instskip(NEXT) | instid1(VALU_DEP_4)
	v_fma_f64 v[31:32], v[45:46], v[31:32], s[76:77]
	v_add_f64 v[43:44], v[43:44], -v[61:62]
	s_delay_alu instid0(VALU_DEP_2) | instskip(NEXT) | instid1(VALU_DEP_2)
	v_fma_f64 v[31:32], v[45:46], v[31:32], s[78:79]
	v_add_f64 v[43:44], v[47:48], v[43:44]
	v_add_f64 v[47:48], v[51:52], -v[49:50]
	s_delay_alu instid0(VALU_DEP_3) | instskip(NEXT) | instid1(VALU_DEP_3)
	v_fma_f64 v[31:32], v[45:46], v[31:32], s[80:81]
	v_add_f64 v[43:44], v[51:52], v[43:44]
	s_delay_alu instid0(VALU_DEP_3) | instskip(SKIP_1) | instid1(VALU_DEP_4)
	v_add_f64 v[51:52], v[51:52], -v[47:48]
	v_add_f64 v[5:6], v[5:6], -v[47:48]
	v_fma_f64 v[31:32], v[45:46], v[31:32], s[82:83]
	s_delay_alu instid0(VALU_DEP_4) | instskip(NEXT) | instid1(VALU_DEP_4)
	v_add_f64 v[55:56], v[53:54], v[43:44]
	v_add_f64 v[47:48], v[49:50], -v[51:52]
	s_delay_alu instid0(VALU_DEP_3) | instskip(NEXT) | instid1(VALU_DEP_3)
	v_fma_f64 v[31:32], v[45:46], v[31:32], s[84:85]
	v_add_f64 v[49:50], v[55:56], -v[53:54]
	s_delay_alu instid0(VALU_DEP_3) | instskip(NEXT) | instid1(VALU_DEP_3)
	v_add_f64 v[5:6], v[5:6], v[47:48]
	v_mul_f64 v[31:32], v[45:46], v[31:32]
	s_delay_alu instid0(VALU_DEP_3) | instskip(NEXT) | instid1(VALU_DEP_2)
	v_add_f64 v[43:44], v[43:44], -v[49:50]
	v_fma_f64 v[29:30], v[29:30], v[31:32], v[29:30]
	s_delay_alu instid0(VALU_DEP_2) | instskip(NEXT) | instid1(VALU_DEP_2)
	v_add_f64 v[5:6], v[5:6], v[43:44]
	v_add_f64 v[31:32], -v[29:30], s[86:87]
	s_delay_alu instid0(VALU_DEP_2) | instskip(SKIP_1) | instid1(VALU_DEP_1)
	v_add_f64 v[5:6], v[55:56], v[5:6]
	v_and_b32_e32 v14, 0x7fffffff, v14
	v_cmp_eq_f64_e32 vcc_lo, 0x7ff00000, v[13:14]
	s_delay_alu instid0(VALU_DEP_4) | instskip(SKIP_2) | instid1(VALU_DEP_2)
	v_cndmask_b32_e64 v14, v30, v32, s4
	v_cndmask_b32_e64 v13, v29, v31, s4
	v_cmp_eq_f64_e64 s4, 0, v[11:12]
	v_add_f64 v[29:30], -v[13:14], s[14:15]
	s_and_b32 vcc_lo, s5, vcc_lo
	v_cmp_class_f64_e64 s5, v[11:12], 0x204
	v_cndmask_b32_e32 v5, v5, v3, vcc_lo
	v_cndmask_b32_e32 v6, v6, v7, vcc_lo
	v_cmp_gt_i32_e32 vcc_lo, 0, v10
	v_and_b32_e32 v7, 0x54442d18, v15
	v_and_b32_e32 v10, 0x400921fb, v15
	v_dual_cndmask_b32 v14, v14, v30 :: v_dual_cndmask_b32 v13, v13, v29
	v_add_f64 v[5:6], v[5:6], 1.0
	v_cndmask_b32_e32 v3, 0x54442d18, v59, vcc_lo
	v_cndmask_b32_e32 v9, 0x3fe921fb, v60, vcc_lo
	s_delay_alu instid0(VALU_DEP_4)
	v_cndmask_b32_e64 v10, v14, v10, s4
	v_cndmask_b32_e64 v7, v13, v7, s4
	v_cmp_nge_f64_e64 s4, 0, v[1:2]
	v_cmp_ngt_f64_e32 vcc_lo, 0, v[1:2]
	v_bfi_b32 v9, 0x7fffffff, v9, v12
	v_cndmask_b32_e64 v5, v5, 0, s8
	v_cndmask_b32_e64 v6, v6, 0x7ff00000, s8
	s_delay_alu instid0(VALU_DEP_2) | instskip(SKIP_1) | instid1(VALU_DEP_3)
	v_cndmask_b32_e64 v29, 0, v5, s4
	v_cmp_neq_f64_e64 s4, 0, v[1:2]
	v_cndmask_b32_e32 v6, 0x7ff80000, v6, vcc_lo
	s_and_b32 vcc_lo, s5, s6
	v_dual_cndmask_b32 v32, v10, v9 :: v_dual_cndmask_b32 v31, v7, v3
	s_delay_alu instid0(VALU_DEP_2)
	v_cndmask_b32_e64 v30, 0xfff00000, v6, s4
.LBB168_287:                            ;   in Loop: Header=BB168_145 Depth=1
	s_or_b32 exec_lo, exec_lo, s7
	s_and_not1_saveexec_b32 s4, vcc_hi
	s_cbranch_execz .LBB168_257
.LBB168_288:                            ;   in Loop: Header=BB168_145 Depth=1
	v_cmp_ngt_f64_e64 s5, 0x20000000, |v[9:10]|
	v_cmp_ngt_f64_e64 s6, 0x20000000, |v[11:12]|
                                        ; implicit-def: $vgpr1_vgpr2
	s_delay_alu instid0(VALU_DEP_1) | instskip(NEXT) | instid1(SALU_CYCLE_1)
	s_or_b32 s5, s6, s5
	s_and_saveexec_b32 s6, s5
	s_delay_alu instid0(SALU_CYCLE_1)
	s_xor_b32 s5, exec_lo, s6
; %bb.289:                              ;   in Loop: Header=BB168_145 Depth=1
	v_mul_f64 v[1:2], v[9:10], v[9:10]
	s_delay_alu instid0(VALU_DEP_1)
	v_fma_f64 v[1:2], v[11:12], v[11:12], v[1:2]
; %bb.290:                              ;   in Loop: Header=BB168_145 Depth=1
	s_and_not1_saveexec_b32 s5, s5
; %bb.291:                              ;   in Loop: Header=BB168_145 Depth=1
	v_mul_f64 v[1:2], v[9:10], 4.0
	v_mul_f64 v[5:6], v[11:12], 4.0
	s_delay_alu instid0(VALU_DEP_2) | instskip(NEXT) | instid1(VALU_DEP_1)
	v_mul_f64 v[1:2], v[1:2], v[1:2]
	v_fma_f64 v[1:2], v[5:6], v[5:6], v[1:2]
	s_delay_alu instid0(VALU_DEP_1)
	v_ldexp_f64 v[1:2], v[1:2], -4
; %bb.292:                              ;   in Loop: Header=BB168_145 Depth=1
	s_or_b32 exec_lo, exec_lo, s5
	s_delay_alu instid0(VALU_DEP_1) | instskip(SKIP_2) | instid1(VALU_DEP_2)
	v_frexp_mant_f64_e32 v[5:6], v[1:2]
	s_mov_b32 s97, s25
	v_frexp_exp_i32_f64_e32 v3, v[1:2]
	v_cmp_gt_f64_e32 vcc_lo, s[24:25], v[5:6]
	v_cndmask_b32_e64 v34, 0x3ff00000, 2.0, vcc_lo
	s_delay_alu instid0(VALU_DEP_3) | instskip(SKIP_1) | instid1(VALU_DEP_3)
	v_subrev_co_ci_u32_e32 v3, vcc_lo, 0, v3, vcc_lo
	v_cmp_class_f64_e64 vcc_lo, v[1:2], 0x204
	v_mul_f64 v[5:6], v[5:6], v[33:34]
	s_delay_alu instid0(VALU_DEP_1) | instskip(SKIP_1) | instid1(VALU_DEP_2)
	v_add_f64 v[9:10], v[5:6], 1.0
	v_add_f64 v[31:32], v[5:6], -1.0
	v_rcp_f64_e32 v[13:14], v[9:10]
	v_add_f64 v[43:44], v[9:10], -1.0
	s_delay_alu instid0(VALU_DEP_1) | instskip(SKIP_2) | instid1(VALU_DEP_1)
	v_add_f64 v[5:6], v[5:6], -v[43:44]
	s_waitcnt_depctr 0xfff
	v_fma_f64 v[29:30], -v[9:10], v[13:14], 1.0
	v_fma_f64 v[13:14], v[29:30], v[13:14], v[13:14]
	s_delay_alu instid0(VALU_DEP_1) | instskip(NEXT) | instid1(VALU_DEP_1)
	v_fma_f64 v[29:30], -v[9:10], v[13:14], 1.0
	v_fma_f64 v[13:14], v[29:30], v[13:14], v[13:14]
	s_delay_alu instid0(VALU_DEP_1) | instskip(NEXT) | instid1(VALU_DEP_1)
	v_mul_f64 v[29:30], v[31:32], v[13:14]
	v_mul_f64 v[45:46], v[9:10], v[29:30]
	s_delay_alu instid0(VALU_DEP_1) | instskip(NEXT) | instid1(VALU_DEP_1)
	v_fma_f64 v[9:10], v[29:30], v[9:10], -v[45:46]
	v_fma_f64 v[5:6], v[29:30], v[5:6], v[9:10]
	s_delay_alu instid0(VALU_DEP_1) | instskip(NEXT) | instid1(VALU_DEP_1)
	v_add_f64 v[9:10], v[45:46], v[5:6]
	v_add_f64 v[43:44], v[31:32], -v[9:10]
	v_add_f64 v[45:46], v[9:10], -v[45:46]
	s_delay_alu instid0(VALU_DEP_2) | instskip(NEXT) | instid1(VALU_DEP_2)
	v_add_f64 v[31:32], v[31:32], -v[43:44]
	v_add_f64 v[5:6], v[45:46], -v[5:6]
	s_delay_alu instid0(VALU_DEP_2) | instskip(NEXT) | instid1(VALU_DEP_1)
	v_add_f64 v[9:10], v[31:32], -v[9:10]
	v_add_f64 v[5:6], v[5:6], v[9:10]
	s_delay_alu instid0(VALU_DEP_1) | instskip(NEXT) | instid1(VALU_DEP_1)
	v_add_f64 v[5:6], v[43:44], v[5:6]
	v_mul_f64 v[5:6], v[13:14], v[5:6]
	s_delay_alu instid0(VALU_DEP_1) | instskip(NEXT) | instid1(VALU_DEP_1)
	v_add_f64 v[9:10], v[29:30], v[5:6]
	v_mul_f64 v[13:14], v[9:10], v[9:10]
	s_delay_alu instid0(VALU_DEP_1) | instskip(SKIP_1) | instid1(VALU_DEP_2)
	v_fma_f64 v[31:32], v[13:14], s[28:29], s[26:27]
	v_mul_f64 v[43:44], v[9:10], v[13:14]
	v_fma_f64 v[31:32], v[13:14], v[31:32], s[34:35]
	s_delay_alu instid0(VALU_DEP_1) | instskip(NEXT) | instid1(VALU_DEP_1)
	v_fma_f64 v[31:32], v[13:14], v[31:32], s[36:37]
	v_fma_f64 v[31:32], v[13:14], v[31:32], s[38:39]
	s_delay_alu instid0(VALU_DEP_1) | instskip(NEXT) | instid1(VALU_DEP_1)
	v_fma_f64 v[31:32], v[13:14], v[31:32], s[40:41]
	v_fma_f64 v[13:14], v[13:14], v[31:32], s[96:97]
	v_ldexp_f64 v[31:32], v[9:10], 1
	v_add_f64 v[9:10], v[9:10], -v[29:30]
	s_delay_alu instid0(VALU_DEP_3) | instskip(SKIP_1) | instid1(VALU_DEP_3)
	v_mul_f64 v[13:14], v[43:44], v[13:14]
	v_cvt_f64_i32_e32 v[43:44], v3
	v_add_f64 v[5:6], v[5:6], -v[9:10]
	s_delay_alu instid0(VALU_DEP_3) | instskip(NEXT) | instid1(VALU_DEP_3)
	v_add_f64 v[29:30], v[31:32], v[13:14]
	v_mul_f64 v[45:46], v[43:44], s[42:43]
	s_delay_alu instid0(VALU_DEP_3) | instskip(NEXT) | instid1(VALU_DEP_3)
	v_ldexp_f64 v[5:6], v[5:6], 1
	v_add_f64 v[9:10], v[29:30], -v[31:32]
	s_delay_alu instid0(VALU_DEP_3) | instskip(NEXT) | instid1(VALU_DEP_2)
	v_fma_f64 v[31:32], v[43:44], s[42:43], -v[45:46]
	v_add_f64 v[9:10], v[13:14], -v[9:10]
	s_delay_alu instid0(VALU_DEP_2) | instskip(NEXT) | instid1(VALU_DEP_2)
	v_fma_f64 v[13:14], v[43:44], s[44:45], v[31:32]
	v_add_f64 v[5:6], v[5:6], v[9:10]
	s_delay_alu instid0(VALU_DEP_2) | instskip(NEXT) | instid1(VALU_DEP_2)
	v_add_f64 v[9:10], v[45:46], v[13:14]
	v_add_f64 v[31:32], v[29:30], v[5:6]
	s_delay_alu instid0(VALU_DEP_2) | instskip(NEXT) | instid1(VALU_DEP_2)
	v_add_f64 v[45:46], v[9:10], -v[45:46]
	v_add_f64 v[43:44], v[9:10], v[31:32]
	v_add_f64 v[29:30], v[31:32], -v[29:30]
	s_delay_alu instid0(VALU_DEP_3) | instskip(NEXT) | instid1(VALU_DEP_3)
	v_add_f64 v[13:14], v[13:14], -v[45:46]
	v_add_f64 v[47:48], v[43:44], -v[9:10]
	s_delay_alu instid0(VALU_DEP_3) | instskip(NEXT) | instid1(VALU_DEP_2)
	v_add_f64 v[5:6], v[5:6], -v[29:30]
	v_add_f64 v[49:50], v[43:44], -v[47:48]
	;; [unrolled: 1-line block ×3, first 2 shown]
	s_delay_alu instid0(VALU_DEP_3) | instskip(NEXT) | instid1(VALU_DEP_3)
	v_add_f64 v[31:32], v[13:14], v[5:6]
	v_add_f64 v[9:10], v[9:10], -v[49:50]
	s_delay_alu instid0(VALU_DEP_1) | instskip(NEXT) | instid1(VALU_DEP_3)
	v_add_f64 v[9:10], v[29:30], v[9:10]
	v_add_f64 v[29:30], v[31:32], -v[13:14]
	s_delay_alu instid0(VALU_DEP_2) | instskip(NEXT) | instid1(VALU_DEP_2)
	v_add_f64 v[9:10], v[31:32], v[9:10]
	v_add_f64 v[31:32], v[31:32], -v[29:30]
	v_add_f64 v[5:6], v[5:6], -v[29:30]
	s_delay_alu instid0(VALU_DEP_3) | instskip(NEXT) | instid1(VALU_DEP_3)
	v_add_f64 v[45:46], v[43:44], v[9:10]
	v_add_f64 v[13:14], v[13:14], -v[31:32]
	s_delay_alu instid0(VALU_DEP_2) | instskip(NEXT) | instid1(VALU_DEP_2)
	v_add_f64 v[29:30], v[45:46], -v[43:44]
	v_add_f64 v[5:6], v[5:6], v[13:14]
	s_delay_alu instid0(VALU_DEP_2) | instskip(NEXT) | instid1(VALU_DEP_1)
	v_add_f64 v[9:10], v[9:10], -v[29:30]
	v_add_f64 v[5:6], v[5:6], v[9:10]
	s_delay_alu instid0(VALU_DEP_1) | instskip(NEXT) | instid1(VALU_DEP_1)
	v_add_f64 v[5:6], v[45:46], v[5:6]
	v_cndmask_b32_e32 v3, v5, v1, vcc_lo
	s_delay_alu instid0(VALU_DEP_2) | instskip(SKIP_1) | instid1(VALU_DEP_2)
	v_cndmask_b32_e32 v5, v6, v2, vcc_lo
	v_cmp_ngt_f64_e32 vcc_lo, 0, v[1:2]
	v_cndmask_b32_e32 v5, 0x7ff80000, v5, vcc_lo
	v_cmp_nge_f64_e32 vcc_lo, 0, v[1:2]
	v_mov_b32_e32 v31, 0
	v_dual_mov_b32 v32, 0x7ff80000 :: v_dual_cndmask_b32 v29, 0, v3
	v_cmp_neq_f64_e32 vcc_lo, 0, v[1:2]
	v_cndmask_b32_e32 v30, 0xfff00000, v5, vcc_lo
	s_or_b32 exec_lo, exec_lo, s4
	s_and_saveexec_b32 s4, s0
	s_delay_alu instid0(SALU_CYCLE_1)
	s_xor_b32 s0, exec_lo, s4
	s_cbranch_execz .LBB168_258
.LBB168_293:                            ;   in Loop: Header=BB168_145 Depth=1
	v_lshlrev_b64 v[1:2], 4, v[35:36]
	v_bfi_b32 v20, 0x7fffffff, v20, v8
	s_delay_alu instid0(VALU_DEP_2) | instskip(NEXT) | instid1(VALU_DEP_3)
	v_add_co_u32 v1, vcc_lo, s99, v1
	v_add_co_ci_u32_e32 v2, vcc_lo, s100, v2, vcc_lo
	global_store_b128 v[1:2], v[17:20], off
	s_or_b32 exec_lo, exec_lo, s0
	s_and_saveexec_b32 s0, s1
	s_cbranch_execz .LBB168_259
.LBB168_294:                            ;   in Loop: Header=BB168_145 Depth=1
	v_lshlrev_b64 v[1:2], 4, v[37:38]
	v_bfi_b32 v24, 0x7fffffff, v24, v4
	s_delay_alu instid0(VALU_DEP_2) | instskip(NEXT) | instid1(VALU_DEP_3)
	v_add_co_u32 v1, vcc_lo, s99, v1
	v_add_co_ci_u32_e32 v2, vcc_lo, s100, v2, vcc_lo
	global_store_b128 v[1:2], v[21:24], off
	s_or_b32 exec_lo, exec_lo, s0
	s_and_saveexec_b32 s0, s2
	s_cbranch_execz .LBB168_260
.LBB168_295:                            ;   in Loop: Header=BB168_145 Depth=1
	v_lshlrev_b64 v[1:2], 4, v[39:40]
	v_bfi_b32 v28, 0x7fffffff, v28, v16
	s_delay_alu instid0(VALU_DEP_2) | instskip(NEXT) | instid1(VALU_DEP_3)
	v_add_co_u32 v1, vcc_lo, s99, v1
	v_add_co_ci_u32_e32 v2, vcc_lo, s100, v2, vcc_lo
	global_store_b128 v[1:2], v[25:28], off
	s_or_b32 exec_lo, exec_lo, s0
	s_and_saveexec_b32 s0, s3
	s_cbranch_execz .LBB168_144
.LBB168_296:                            ;   in Loop: Header=BB168_145 Depth=1
	v_lshlrev_b64 v[1:2], 4, v[41:42]
	v_bfi_b32 v32, 0x7fffffff, v32, v12
	s_delay_alu instid0(VALU_DEP_2) | instskip(NEXT) | instid1(VALU_DEP_3)
	v_add_co_u32 v1, vcc_lo, s99, v1
	v_add_co_ci_u32_e32 v2, vcc_lo, s100, v2, vcc_lo
	global_store_b128 v[1:2], v[29:32], off
	s_branch .LBB168_144
.LBB168_297:
	s_nop 0
	s_sendmsg sendmsg(MSG_DEALLOC_VGPRS)
	s_endpgm
	.section	.rodata,"a",@progbits
	.p2align	6, 0x0
	.amdhsa_kernel _ZN2at6native12_GLOBAL__N_125multi_tensor_apply_kernelINS1_18TensorListMetadataILi2EEENS1_14UnaryOpFunctorIN3c107complexIdEELi2ELi1ELi1EEEJNS0_3LogIS8_EEEEEvT_T0_DpT1_
		.amdhsa_group_segment_fixed_size 0
		.amdhsa_private_segment_fixed_size 0
		.amdhsa_kernarg_size 3408
		.amdhsa_user_sgpr_count 15
		.amdhsa_user_sgpr_dispatch_ptr 0
		.amdhsa_user_sgpr_queue_ptr 0
		.amdhsa_user_sgpr_kernarg_segment_ptr 1
		.amdhsa_user_sgpr_dispatch_id 0
		.amdhsa_user_sgpr_private_segment_size 0
		.amdhsa_wavefront_size32 1
		.amdhsa_uses_dynamic_stack 0
		.amdhsa_enable_private_segment 0
		.amdhsa_system_sgpr_workgroup_id_x 1
		.amdhsa_system_sgpr_workgroup_id_y 0
		.amdhsa_system_sgpr_workgroup_id_z 0
		.amdhsa_system_sgpr_workgroup_info 0
		.amdhsa_system_vgpr_workitem_id 0
		.amdhsa_next_free_vgpr 75
		.amdhsa_next_free_sgpr 105
		.amdhsa_reserve_vcc 1
		.amdhsa_float_round_mode_32 0
		.amdhsa_float_round_mode_16_64 0
		.amdhsa_float_denorm_mode_32 3
		.amdhsa_float_denorm_mode_16_64 3
		.amdhsa_dx10_clamp 1
		.amdhsa_ieee_mode 1
		.amdhsa_fp16_overflow 0
		.amdhsa_workgroup_processor_mode 1
		.amdhsa_memory_ordered 1
		.amdhsa_forward_progress 0
		.amdhsa_shared_vgpr_count 0
		.amdhsa_exception_fp_ieee_invalid_op 0
		.amdhsa_exception_fp_denorm_src 0
		.amdhsa_exception_fp_ieee_div_zero 0
		.amdhsa_exception_fp_ieee_overflow 0
		.amdhsa_exception_fp_ieee_underflow 0
		.amdhsa_exception_fp_ieee_inexact 0
		.amdhsa_exception_int_div_zero 0
	.end_amdhsa_kernel
	.section	.text._ZN2at6native12_GLOBAL__N_125multi_tensor_apply_kernelINS1_18TensorListMetadataILi2EEENS1_14UnaryOpFunctorIN3c107complexIdEELi2ELi1ELi1EEEJNS0_3LogIS8_EEEEEvT_T0_DpT1_,"axG",@progbits,_ZN2at6native12_GLOBAL__N_125multi_tensor_apply_kernelINS1_18TensorListMetadataILi2EEENS1_14UnaryOpFunctorIN3c107complexIdEELi2ELi1ELi1EEEJNS0_3LogIS8_EEEEEvT_T0_DpT1_,comdat
.Lfunc_end168:
	.size	_ZN2at6native12_GLOBAL__N_125multi_tensor_apply_kernelINS1_18TensorListMetadataILi2EEENS1_14UnaryOpFunctorIN3c107complexIdEELi2ELi1ELi1EEEJNS0_3LogIS8_EEEEEvT_T0_DpT1_, .Lfunc_end168-_ZN2at6native12_GLOBAL__N_125multi_tensor_apply_kernelINS1_18TensorListMetadataILi2EEENS1_14UnaryOpFunctorIN3c107complexIdEELi2ELi1ELi1EEEJNS0_3LogIS8_EEEEEvT_T0_DpT1_
                                        ; -- End function
	.section	.AMDGPU.csdata,"",@progbits
; Kernel info:
; codeLenInByte = 100328
; NumSgprs: 107
; NumVgprs: 75
; ScratchSize: 0
; MemoryBound: 1
; FloatMode: 240
; IeeeMode: 1
; LDSByteSize: 0 bytes/workgroup (compile time only)
; SGPRBlocks: 13
; VGPRBlocks: 9
; NumSGPRsForWavesPerEU: 107
; NumVGPRsForWavesPerEU: 75
; Occupancy: 16
; WaveLimiterHint : 0
; COMPUTE_PGM_RSRC2:SCRATCH_EN: 0
; COMPUTE_PGM_RSRC2:USER_SGPR: 15
; COMPUTE_PGM_RSRC2:TRAP_HANDLER: 0
; COMPUTE_PGM_RSRC2:TGID_X_EN: 1
; COMPUTE_PGM_RSRC2:TGID_Y_EN: 0
; COMPUTE_PGM_RSRC2:TGID_Z_EN: 0
; COMPUTE_PGM_RSRC2:TIDIG_COMP_CNT: 0
	.section	.text._ZN2at6native12_GLOBAL__N_125multi_tensor_apply_kernelINS1_18TensorListMetadataILi2EEENS1_14UnaryOpFunctorIN3c107complexIfEELi2ELi1ELi1EEEJNS0_3LogIS8_EEEEEvT_T0_DpT1_,"axG",@progbits,_ZN2at6native12_GLOBAL__N_125multi_tensor_apply_kernelINS1_18TensorListMetadataILi2EEENS1_14UnaryOpFunctorIN3c107complexIfEELi2ELi1ELi1EEEJNS0_3LogIS8_EEEEEvT_T0_DpT1_,comdat
	.globl	_ZN2at6native12_GLOBAL__N_125multi_tensor_apply_kernelINS1_18TensorListMetadataILi2EEENS1_14UnaryOpFunctorIN3c107complexIfEELi2ELi1ELi1EEEJNS0_3LogIS8_EEEEEvT_T0_DpT1_ ; -- Begin function _ZN2at6native12_GLOBAL__N_125multi_tensor_apply_kernelINS1_18TensorListMetadataILi2EEENS1_14UnaryOpFunctorIN3c107complexIfEELi2ELi1ELi1EEEJNS0_3LogIS8_EEEEEvT_T0_DpT1_
	.p2align	8
	.type	_ZN2at6native12_GLOBAL__N_125multi_tensor_apply_kernelINS1_18TensorListMetadataILi2EEENS1_14UnaryOpFunctorIN3c107complexIfEELi2ELi1ELi1EEEJNS0_3LogIS8_EEEEEvT_T0_DpT1_,@function
_ZN2at6native12_GLOBAL__N_125multi_tensor_apply_kernelINS1_18TensorListMetadataILi2EEENS1_14UnaryOpFunctorIN3c107complexIfEELi2ELi1ELi1EEEJNS0_3LogIS8_EEEEEvT_T0_DpT1_: ; @_ZN2at6native12_GLOBAL__N_125multi_tensor_apply_kernelINS1_18TensorListMetadataILi2EEENS1_14UnaryOpFunctorIN3c107complexIfEELi2ELi1ELi1EEEJNS0_3LogIS8_EEEEEvT_T0_DpT1_
; %bb.0:
	v_mov_b32_e32 v1, s15
	s_add_u32 s2, s0, s15
	s_mul_hi_u32 s3, s15, 3
	s_mul_i32 s15, s15, 3
	s_addc_u32 s4, s1, 0
	global_load_u8 v1, v1, s[0:1] offset:1536
	s_add_u32 s2, s2, s15
	s_addc_u32 s3, s4, s3
	s_mov_b32 s13, 0
	s_load_b32 s2, s[2:3], 0x740
	s_mov_b32 s17, s13
	s_waitcnt vmcnt(0)
	v_readfirstlane_b32 s5, v1
	s_delay_alu instid0(VALU_DEP_1)
	s_lshl_b32 s3, s5, 3
	s_clause 0x2
	s_load_b64 s[4:5], s[0:1], s3 offset:0x0
	s_load_b64 s[6:7], s[0:1], s3 offset:0x200
	;; [unrolled: 1-line block ×3, first 2 shown]
	s_waitcnt lgkmcnt(0)
	s_ashr_i32 s3, s2, 31
	s_delay_alu instid0(SALU_CYCLE_1) | instskip(NEXT) | instid1(SALU_CYCLE_1)
	s_lshl_b64 s[14:15], s[2:3], 19
	s_add_u32 s11, s4, s14
	s_addc_u32 s18, s5, s15
	s_add_u32 s19, s6, s14
	s_addc_u32 s20, s7, s15
	s_and_b32 s16, s11, 31
	s_and_b32 s4, s8, 3
	s_mov_b32 s5, s13
	s_and_b32 s12, s19, 31
	s_or_b64 s[4:5], s[16:17], s[4:5]
	s_lshl_b64 s[2:3], s[2:3], 16
	s_or_b64 s[4:5], s[12:13], s[4:5]
	s_sub_u32 s12, s8, s2
	s_subb_u32 s13, s9, s3
	s_cmp_eq_u64 s[4:5], 0
	s_mov_b32 s2, -1
	s_cbranch_scc0 .LBB169_141
; %bb.1:
	v_dual_mov_b32 v2, 0 :: v_dual_lshlrev_b32 v1, 2, v0
	s_mov_b32 s9, exec_lo
	s_delay_alu instid0(VALU_DEP_1)
	v_cmpx_gt_i64_e64 s[12:13], v[1:2]
	s_cbranch_execz .LBB169_140
; %bb.2:
	s_load_b32 s2, s[0:1], 0xc5c
	v_mov_b32_e32 v1, v2
	v_mov_b32_e32 v21, 0x4016cbe4
	s_mov_b32 s10, 0
	s_mov_b32 s14, 0x3e9b6dac
	;; [unrolled: 1-line block ×3, first 2 shown]
	v_dual_mov_b32 v18, v1 :: v_dual_mov_b32 v17, v0
	s_waitcnt lgkmcnt(0)
	s_and_b32 s15, s2, 0xffff
	s_branch .LBB169_5
.LBB169_3:                              ;   in Loop: Header=BB169_5 Depth=1
	s_or_b32 exec_lo, exec_lo, s3
	s_delay_alu instid0(VALU_DEP_1) | instskip(SKIP_1) | instid1(VALU_DEP_1)
	v_cmp_gt_f32_e32 vcc_lo, 0x800000, v1
	v_cndmask_b32_e64 v3, 1.0, 0x4f800000, vcc_lo
	v_mul_f32_e32 v1, v1, v3
	s_delay_alu instid0(VALU_DEP_1) | instskip(SKIP_2) | instid1(VALU_DEP_1)
	v_log_f32_e32 v1, v1
	s_waitcnt_depctr 0xfff
	v_mul_f32_e32 v3, 0x3f317217, v1
	v_fma_f32 v12, 0x3f317217, v1, -v3
	s_delay_alu instid0(VALU_DEP_1) | instskip(NEXT) | instid1(VALU_DEP_1)
	v_fmac_f32_e32 v12, 0x3377d1cf, v1
	v_add_f32_e32 v3, v3, v12
	v_cndmask_b32_e64 v12, 0, 0x41b17218, vcc_lo
	v_cmp_gt_f32_e64 vcc_lo, 0x7f800000, |v1|
	s_delay_alu instid0(VALU_DEP_3) | instskip(NEXT) | instid1(VALU_DEP_1)
	v_cndmask_b32_e32 v1, v1, v3, vcc_lo
	v_sub_f32_e32 v15, v1, v12
	v_mov_b32_e32 v1, 0x7fc00000
.LBB169_4:                              ;   in Loop: Header=BB169_5 Depth=1
	s_or_b32 exec_lo, exec_lo, s2
	v_add_co_u32 v17, vcc_lo, v17, s15
	v_add_co_ci_u32_e32 v18, vcc_lo, 0, v18, vcc_lo
	v_bfi_b32 v14, 0x7fffffff, v7, v2
	v_add_co_u32 v2, s3, s19, v19
	s_delay_alu instid0(VALU_DEP_3)
	v_lshlrev_b64 v[22:23], 2, v[17:18]
	v_bfi_b32 v12, 0x7fffffff, v5, v8
	v_bfi_b32 v10, 0x7fffffff, v10, v6
	v_add_co_ci_u32_e64 v3, s3, s20, v20, s3
	v_bfi_b32 v16, 0x7fffffff, v1, v4
	v_cmp_le_i64_e32 vcc_lo, s[12:13], v[22:23]
	v_cmp_lt_u64_e64 s2, 0xffff, v[22:23]
	s_clause 0x1
	global_store_b128 v[2:3], v[9:12], off
	global_store_b128 v[2:3], v[13:16], off offset:16
	s_or_b32 s2, vcc_lo, s2
	s_delay_alu instid0(SALU_CYCLE_1) | instskip(NEXT) | instid1(SALU_CYCLE_1)
	s_and_b32 s2, exec_lo, s2
	s_or_b32 s10, s2, s10
	s_delay_alu instid0(SALU_CYCLE_1)
	s_and_not1_b32 exec_lo, exec_lo, s10
	s_cbranch_execz .LBB169_140
.LBB169_5:                              ; =>This Loop Header: Depth=1
                                        ;     Child Loop BB169_16 Depth 2
                                        ;     Child Loop BB169_50 Depth 2
	;; [unrolled: 1-line block ×4, first 2 shown]
	s_delay_alu instid0(VALU_DEP_1) | instskip(SKIP_1) | instid1(VALU_DEP_1)
	v_lshlrev_b64 v[19:20], 5, v[17:18]
                                        ; implicit-def: $vgpr9
                                        ; implicit-def: $vgpr10
	s_mov_b32 s2, exec_lo
	v_add_co_u32 v1, vcc_lo, s11, v19
	s_delay_alu instid0(VALU_DEP_2)
	v_add_co_ci_u32_e32 v2, vcc_lo, s18, v20, vcc_lo
	s_clause 0x1
	global_load_b128 v[5:8], v[1:2], off
	global_load_b128 v[1:4], v[1:2], off offset:16
	s_waitcnt vmcnt(1)
	v_cmpx_o_f32_e32 v6, v5
	s_xor_b32 s17, exec_lo, s2
	s_cbranch_execz .LBB169_33
; %bb.6:                                ;   in Loop: Header=BB169_5 Depth=1
	v_cmp_lt_f32_e64 s2, |v5|, |v6|
                                        ; implicit-def: $vgpr9
                                        ; implicit-def: $vgpr10
	s_mov_b32 s3, exec_lo
	s_delay_alu instid0(VALU_DEP_1) | instskip(NEXT) | instid1(VALU_DEP_1)
	v_cndmask_b32_e64 v11, |v6|, |v5|, s2
	v_cmpx_nlt_f32_e32 0x77f684df, v11
	s_xor_b32 s21, exec_lo, s3
	s_cbranch_execz .LBB169_30
; %bb.7:                                ;   in Loop: Header=BB169_5 Depth=1
	v_and_b32_e32 v9, 0x7fffffff, v6
                                        ; implicit-def: $vgpr10
	s_mov_b32 s3, exec_lo
	s_delay_alu instid0(VALU_DEP_1) | instskip(NEXT) | instid1(VALU_DEP_1)
	v_cndmask_b32_e64 v12, |v5|, v9, s2
                                        ; implicit-def: $vgpr9
	v_cmpx_neq_f32_e32 1.0, v12
	s_xor_b32 s22, exec_lo, s3
	s_cbranch_execz .LBB169_23
; %bb.8:                                ;   in Loop: Header=BB169_5 Depth=1
	v_dual_max_f32 v9, v11, v11 :: v_dual_max_f32 v10, v12, v12
	s_delay_alu instid0(VALU_DEP_1) | instskip(SKIP_1) | instid1(VALU_DEP_2)
	v_min_f32_e32 v13, v10, v9
	v_max_f32_e32 v9, v10, v9
                                        ; implicit-def: $vgpr10
	v_cmp_ngt_f32_e32 vcc_lo, 0x358637bd, v13
	s_delay_alu instid0(VALU_DEP_2) | instskip(NEXT) | instid1(VALU_DEP_1)
	v_cmp_nlt_f32_e64 s3, 0x49742400, v9
                                        ; implicit-def: $vgpr9
	s_and_b32 s3, s3, vcc_lo
	s_delay_alu instid0(SALU_CYCLE_1) | instskip(NEXT) | instid1(SALU_CYCLE_1)
	s_and_saveexec_b32 s4, s3
	s_xor_b32 s23, exec_lo, s4
	s_cbranch_execz .LBB169_20
; %bb.9:                                ;   in Loop: Header=BB169_5 Depth=1
                                        ; implicit-def: $vgpr9
                                        ; implicit-def: $vgpr10
	s_mov_b32 s3, exec_lo
	v_cmpx_le_f32_e32 1.0, v12
	s_xor_b32 s4, exec_lo, s3
	s_cbranch_execz .LBB169_11
; %bb.10:                               ;   in Loop: Header=BB169_5 Depth=1
	v_add_f32_e32 v9, -1.0, v12
	v_add_f32_e32 v10, 1.0, v12
	v_cmp_class_f32_e64 s5, v5, 0x204
	s_delay_alu instid0(VALU_DEP_2) | instskip(NEXT) | instid1(VALU_DEP_1)
	v_mul_f32_e32 v12, v9, v10
	v_fmac_f32_e32 v12, v11, v11
	s_delay_alu instid0(VALU_DEP_1) | instskip(SKIP_1) | instid1(VALU_DEP_2)
	v_add_f32_e32 v11, 1.0, v12
	v_cmp_neq_f32_e64 s3, -1.0, v12
	v_cvt_f64_f32_e32 v[9:10], v11
	s_delay_alu instid0(VALU_DEP_1) | instskip(SKIP_1) | instid1(VALU_DEP_1)
	v_frexp_exp_i32_f64_e32 v9, v[9:10]
	v_frexp_mant_f32_e32 v10, v11
	v_cmp_gt_f32_e32 vcc_lo, 0x3f2aaaab, v10
	v_add_f32_e32 v10, -1.0, v11
	s_delay_alu instid0(VALU_DEP_1) | instskip(SKIP_1) | instid1(VALU_DEP_2)
	v_sub_f32_e32 v14, v10, v11
	v_sub_f32_e32 v10, v12, v10
	v_add_f32_e32 v14, 1.0, v14
	v_subrev_co_ci_u32_e32 v9, vcc_lo, 0, v9, vcc_lo
	v_cmp_eq_f32_e32 vcc_lo, 0x7f800000, v12
	s_delay_alu instid0(VALU_DEP_2) | instskip(SKIP_1) | instid1(VALU_DEP_2)
	v_sub_nc_u32_e32 v13, 0, v9
	v_cvt_f32_i32_e32 v9, v9
	v_ldexp_f32 v11, v11, v13
	s_delay_alu instid0(VALU_DEP_1) | instskip(NEXT) | instid1(VALU_DEP_1)
	v_dual_add_f32 v15, 1.0, v11 :: v_dual_add_f32 v10, v10, v14
	v_ldexp_f32 v10, v10, v13
	v_add_f32_e32 v13, -1.0, v11
	s_delay_alu instid0(VALU_DEP_3) | instskip(NEXT) | instid1(VALU_DEP_2)
	v_add_f32_e32 v14, -1.0, v15
	v_add_f32_e32 v16, 1.0, v13
	s_delay_alu instid0(VALU_DEP_2) | instskip(NEXT) | instid1(VALU_DEP_1)
	v_sub_f32_e32 v14, v11, v14
	v_dual_sub_f32 v11, v11, v16 :: v_dual_add_f32 v14, v10, v14
	s_delay_alu instid0(VALU_DEP_1) | instskip(NEXT) | instid1(VALU_DEP_2)
	v_add_f32_e32 v10, v10, v11
	v_add_f32_e32 v16, v15, v14
	s_delay_alu instid0(VALU_DEP_2) | instskip(NEXT) | instid1(VALU_DEP_2)
	v_add_f32_e32 v22, v13, v10
	v_rcp_f32_e32 v11, v16
	v_sub_f32_e32 v15, v16, v15
	s_delay_alu instid0(VALU_DEP_2) | instskip(NEXT) | instid1(VALU_DEP_2)
	v_sub_f32_e32 v13, v22, v13
	v_sub_f32_e32 v14, v14, v15
	s_delay_alu instid0(VALU_DEP_2) | instskip(SKIP_2) | instid1(VALU_DEP_1)
	v_sub_f32_e32 v10, v10, v13
	s_waitcnt_depctr 0xfff
	v_mul_f32_e32 v23, v22, v11
	v_mul_f32_e32 v24, v16, v23
	s_delay_alu instid0(VALU_DEP_1) | instskip(NEXT) | instid1(VALU_DEP_1)
	v_fma_f32 v15, v23, v16, -v24
	v_fmac_f32_e32 v15, v23, v14
	s_delay_alu instid0(VALU_DEP_1) | instskip(NEXT) | instid1(VALU_DEP_1)
	v_add_f32_e32 v25, v24, v15
	v_dual_sub_f32 v26, v22, v25 :: v_dual_sub_f32 v13, v25, v24
	s_delay_alu instid0(VALU_DEP_1) | instskip(NEXT) | instid1(VALU_DEP_1)
	v_dual_sub_f32 v22, v22, v26 :: v_dual_sub_f32 v13, v13, v15
	v_sub_f32_e32 v22, v22, v25
	s_delay_alu instid0(VALU_DEP_1) | instskip(NEXT) | instid1(VALU_DEP_1)
	v_add_f32_e32 v10, v10, v22
	v_add_f32_e32 v10, v13, v10
	s_delay_alu instid0(VALU_DEP_1) | instskip(NEXT) | instid1(VALU_DEP_1)
	v_add_f32_e32 v13, v26, v10
	v_mul_f32_e32 v15, v11, v13
	s_delay_alu instid0(VALU_DEP_1) | instskip(NEXT) | instid1(VALU_DEP_1)
	v_dual_sub_f32 v25, v26, v13 :: v_dual_mul_f32 v22, v16, v15
	v_add_f32_e32 v10, v10, v25
	s_delay_alu instid0(VALU_DEP_2) | instskip(NEXT) | instid1(VALU_DEP_1)
	v_fma_f32 v16, v15, v16, -v22
	v_fmac_f32_e32 v16, v15, v14
	s_delay_alu instid0(VALU_DEP_1) | instskip(NEXT) | instid1(VALU_DEP_1)
	v_add_f32_e32 v14, v22, v16
	v_sub_f32_e32 v24, v13, v14
	s_delay_alu instid0(VALU_DEP_1) | instskip(NEXT) | instid1(VALU_DEP_1)
	v_dual_sub_f32 v22, v14, v22 :: v_dual_sub_f32 v13, v13, v24
	v_dual_sub_f32 v13, v13, v14 :: v_dual_sub_f32 v14, v22, v16
	v_max_f32_e64 v16, |v6|, |v6|
	s_delay_alu instid0(VALU_DEP_2) | instskip(NEXT) | instid1(VALU_DEP_1)
	v_dual_add_f32 v10, v10, v13 :: v_dual_add_f32 v13, v23, v15
	v_add_f32_e32 v10, v14, v10
	s_delay_alu instid0(VALU_DEP_2) | instskip(NEXT) | instid1(VALU_DEP_2)
	v_sub_f32_e32 v14, v13, v23
	v_add_f32_e32 v10, v24, v10
	s_delay_alu instid0(VALU_DEP_2) | instskip(SKIP_1) | instid1(VALU_DEP_3)
	v_sub_f32_e32 v14, v15, v14
	v_mul_f32_e32 v24, 0x3f317218, v9
	v_mul_f32_e32 v10, v11, v10
	s_delay_alu instid0(VALU_DEP_2) | instskip(NEXT) | instid1(VALU_DEP_1)
	v_fma_f32 v25, 0x3f317218, v9, -v24
	v_dual_add_f32 v10, v14, v10 :: v_dual_fmac_f32 v25, 0xb102e308, v9
	s_delay_alu instid0(VALU_DEP_1) | instskip(NEXT) | instid1(VALU_DEP_1)
	v_add_f32_e32 v11, v13, v10
	v_mul_f32_e32 v14, v11, v11
	v_ldexp_f32 v23, v11, 1
	s_delay_alu instid0(VALU_DEP_2) | instskip(SKIP_1) | instid1(VALU_DEP_2)
	v_fmaak_f32 v15, s14, v14, 0x3ecc95a3
	v_mul_f32_e32 v22, v11, v14
	v_dual_sub_f32 v11, v11, v13 :: v_dual_fmaak_f32 v14, v14, v15, 0x3f2aaada
	v_max_f32_e64 v15, |v5|, |v5|
	s_delay_alu instid0(VALU_DEP_2) | instskip(NEXT) | instid1(VALU_DEP_3)
	v_sub_f32_e32 v10, v10, v11
	v_mul_f32_e32 v14, v22, v14
	s_delay_alu instid0(VALU_DEP_3) | instskip(SKIP_1) | instid1(VALU_DEP_4)
	v_max_f32_e32 v22, v15, v16
	v_min_f32_e32 v15, v15, v16
	v_ldexp_f32 v10, v10, 1
	s_delay_alu instid0(VALU_DEP_4) | instskip(NEXT) | instid1(VALU_DEP_4)
	v_add_f32_e32 v13, v23, v14
	v_frexp_mant_f32_e32 v16, v22
	v_frexp_exp_i32_f32_e32 v22, v22
	s_delay_alu instid0(VALU_DEP_3) | instskip(NEXT) | instid1(VALU_DEP_3)
	v_sub_f32_e32 v11, v13, v23
	v_rcp_f32_e32 v16, v16
	v_frexp_exp_i32_f32_e32 v23, v15
	s_delay_alu instid0(VALU_DEP_2) | instskip(SKIP_1) | instid1(VALU_DEP_3)
	v_sub_f32_e32 v11, v14, v11
	v_frexp_mant_f32_e32 v14, v15
	v_sub_nc_u32_e32 v15, v23, v22
	s_delay_alu instid0(VALU_DEP_3) | instskip(SKIP_3) | instid1(VALU_DEP_2)
	v_add_f32_e32 v9, v10, v11
	s_waitcnt_depctr 0xfff
	v_dual_mul_f32 v10, v14, v16 :: v_dual_add_f32 v11, v24, v25
	v_add_f32_e32 v14, v13, v9
	v_ldexp_f32 v10, v10, v15
	s_delay_alu instid0(VALU_DEP_2) | instskip(NEXT) | instid1(VALU_DEP_2)
	v_add_f32_e32 v15, v11, v14
	v_mul_f32_e32 v16, v10, v10
	s_delay_alu instid0(VALU_DEP_2) | instskip(NEXT) | instid1(VALU_DEP_2)
	v_dual_sub_f32 v13, v14, v13 :: v_dual_sub_f32 v22, v15, v11
	v_fmaak_f32 v23, s16, v16, 0xbc7a590c
	s_delay_alu instid0(VALU_DEP_2) | instskip(SKIP_1) | instid1(VALU_DEP_3)
	v_dual_sub_f32 v9, v9, v13 :: v_dual_sub_f32 v26, v15, v22
	v_dual_sub_f32 v13, v14, v22 :: v_dual_sub_f32 v24, v11, v24
	v_fmaak_f32 v23, v16, v23, 0x3d29fb3f
	s_delay_alu instid0(VALU_DEP_2) | instskip(NEXT) | instid1(VALU_DEP_2)
	v_dual_sub_f32 v11, v11, v26 :: v_dual_sub_f32 v24, v25, v24
	v_fmaak_f32 v14, v16, v23, 0xbd97d4d7
	s_delay_alu instid0(VALU_DEP_2) | instskip(NEXT) | instid1(VALU_DEP_1)
	v_dual_add_f32 v11, v13, v11 :: v_dual_add_f32 v22, v24, v9
	v_dual_fmaak_f32 v13, v16, v14, 0x3dd931b2 :: v_dual_sub_f32 v14, v22, v24
	s_delay_alu instid0(VALU_DEP_2) | instskip(NEXT) | instid1(VALU_DEP_1)
	v_add_f32_e32 v11, v22, v11
	v_dual_sub_f32 v22, v22, v14 :: v_dual_add_f32 v23, v15, v11
	v_sub_f32_e32 v9, v9, v14
	s_delay_alu instid0(VALU_DEP_2) | instskip(NEXT) | instid1(VALU_DEP_1)
	v_dual_sub_f32 v14, v24, v22 :: v_dual_sub_f32 v15, v23, v15
	v_add_f32_e32 v9, v9, v14
	s_delay_alu instid0(VALU_DEP_2) | instskip(NEXT) | instid1(VALU_DEP_1)
	v_sub_f32_e32 v11, v11, v15
	v_add_f32_e32 v9, v9, v11
	v_fmaak_f32 v13, v16, v13, 0xbe1160e6
	s_delay_alu instid0(VALU_DEP_2) | instskip(NEXT) | instid1(VALU_DEP_2)
	v_add_f32_e32 v9, v23, v9
	v_fmaak_f32 v13, v16, v13, 0x3e4cb8bf
	s_delay_alu instid0(VALU_DEP_2) | instskip(NEXT) | instid1(VALU_DEP_2)
	v_cndmask_b32_e32 v9, v9, v12, vcc_lo
	v_fmaak_f32 v13, v16, v13, 0xbeaaaa62
	v_cmp_gt_i32_e32 vcc_lo, 0, v5
	s_delay_alu instid0(VALU_DEP_2) | instskip(NEXT) | instid1(VALU_DEP_1)
	v_mul_f32_e32 v13, v16, v13
	v_fmac_f32_e32 v10, v10, v13
	s_delay_alu instid0(VALU_DEP_1) | instskip(NEXT) | instid1(VALU_DEP_1)
	v_sub_f32_e32 v11, 0x3fc90fdb, v10
	v_cndmask_b32_e64 v10, v10, v11, s2
	v_cndmask_b32_e64 v11, 0, 0x40490fdb, vcc_lo
	v_cmp_ngt_f32_e32 vcc_lo, -1.0, v12
	s_delay_alu instid0(VALU_DEP_3) | instskip(SKIP_2) | instid1(VALU_DEP_2)
	v_sub_f32_e32 v13, 0x40490fdb, v10
	v_cndmask_b32_e32 v9, 0x7fc00000, v9, vcc_lo
	v_cmp_gt_f32_e32 vcc_lo, 0, v5
	v_cndmask_b32_e64 v9, 0xff800000, v9, s3
	s_delay_alu instid0(VALU_DEP_4)
	v_cndmask_b32_e32 v10, v10, v13, vcc_lo
	v_cndmask_b32_e32 v13, 0x3f490fdb, v21, vcc_lo
	v_cmp_gt_f32_e64 vcc_lo, 0x33800000, |v12|
	v_cmp_class_f32_e64 s3, v6, 0x204
	v_cndmask_b32_e32 v9, v9, v12, vcc_lo
	v_cmp_eq_f32_e32 vcc_lo, 0, v6
                                        ; implicit-def: $vgpr12
	s_delay_alu instid0(VALU_DEP_2) | instskip(NEXT) | instid1(VALU_DEP_4)
	v_dual_mul_f32 v9, 0.5, v9 :: v_dual_cndmask_b32 v10, v10, v11
	s_and_b32 vcc_lo, s5, s3
                                        ; implicit-def: $vgpr11
	s_delay_alu instid0(VALU_DEP_1)
	v_cndmask_b32_e32 v10, v10, v13, vcc_lo
.LBB169_11:                             ;   in Loop: Header=BB169_5 Depth=1
	s_and_not1_saveexec_b32 s24, s4
	s_cbranch_execz .LBB169_19
; %bb.12:                               ;   in Loop: Header=BB169_5 Depth=1
	v_mul_f32_e32 v13, v11, v11
                                        ; implicit-def: $vgpr9
                                        ; implicit-def: $vgpr10
	s_mov_b32 s3, exec_lo
	s_delay_alu instid0(VALU_DEP_1) | instskip(NEXT) | instid1(VALU_DEP_1)
	v_fmac_f32_e32 v13, v12, v12
	v_cmpx_ge_f32_e32 0x3f333333, v13
	s_xor_b32 s4, exec_lo, s3
	s_cbranch_execz .LBB169_14
; %bb.13:                               ;   in Loop: Header=BB169_5 Depth=1
	v_max_f32_e64 v9, |v6|, |v6|
	v_max_f32_e64 v10, |v5|, |v5|
	v_cmp_gt_f32_e32 vcc_lo, 0x800000, v13
	v_cmp_gt_i32_e64 s3, 0, v5
	v_cmp_class_f32_e64 s5, v5, 0x204
	v_cmp_class_f32_e64 s6, v6, 0x204
	v_max_f32_e32 v11, v10, v9
	v_min_f32_e32 v9, v10, v9
	v_cndmask_b32_e64 v14, 0, 0x41b17218, vcc_lo
	s_delay_alu instid0(VALU_DEP_3) | instskip(SKIP_1) | instid1(VALU_DEP_2)
	v_frexp_mant_f32_e32 v12, v11
	v_frexp_exp_i32_f32_e32 v11, v11
	v_rcp_f32_e32 v10, v12
	v_frexp_exp_i32_f32_e32 v12, v9
	v_frexp_mant_f32_e32 v9, v9
	s_delay_alu instid0(VALU_DEP_2) | instskip(SKIP_4) | instid1(VALU_DEP_2)
	v_sub_nc_u32_e32 v11, v12, v11
	v_cndmask_b32_e64 v12, 1.0, 0x4f800000, vcc_lo
	s_waitcnt_depctr 0xfff
	v_mul_f32_e32 v9, v9, v10
	v_mul_f32_e32 v12, v13, v12
	v_ldexp_f32 v9, v9, v11
	s_delay_alu instid0(VALU_DEP_2) | instskip(NEXT) | instid1(VALU_DEP_1)
	v_log_f32_e32 v12, v12
	v_mul_f32_e32 v10, v9, v9
	s_delay_alu instid0(VALU_DEP_1) | instskip(SKIP_3) | instid1(VALU_DEP_1)
	v_fmaak_f32 v11, s16, v10, 0xbc7a590c
	s_waitcnt_depctr 0xfff
	v_cmp_gt_f32_e64 vcc_lo, 0x7f800000, |v12|
	v_fmaak_f32 v11, v10, v11, 0x3d29fb3f
	v_fmaak_f32 v11, v10, v11, 0xbd97d4d7
	s_delay_alu instid0(VALU_DEP_1) | instskip(NEXT) | instid1(VALU_DEP_1)
	v_fmaak_f32 v11, v10, v11, 0x3dd931b2
	v_fmaak_f32 v11, v10, v11, 0xbe1160e6
	s_delay_alu instid0(VALU_DEP_1) | instskip(NEXT) | instid1(VALU_DEP_1)
	;; [unrolled: 3-line block ×3, first 2 shown]
	v_dual_mul_f32 v10, v10, v11 :: v_dual_mul_f32 v11, 0x3f317217, v12
	v_fmac_f32_e32 v9, v9, v10
	s_delay_alu instid0(VALU_DEP_2) | instskip(NEXT) | instid1(VALU_DEP_1)
	v_fma_f32 v10, 0x3f317217, v12, -v11
	v_fmac_f32_e32 v10, 0x3377d1cf, v12
	s_delay_alu instid0(VALU_DEP_1) | instskip(SKIP_2) | instid1(VALU_DEP_3)
	v_add_f32_e32 v10, v11, v10
	v_cndmask_b32_e64 v11, 0, 0x40490fdb, s3
	v_cmp_eq_f32_e64 s3, 0, v6
	v_cndmask_b32_e32 v10, v12, v10, vcc_lo
	v_cmp_gt_f32_e32 vcc_lo, 0, v5
	s_delay_alu instid0(VALU_DEP_2) | instskip(SKIP_2) | instid1(VALU_DEP_1)
	v_sub_f32_e32 v10, v10, v14
	v_cndmask_b32_e32 v12, 0x3f490fdb, v21, vcc_lo
	v_sub_f32_e32 v13, 0x3fc90fdb, v9
	v_cndmask_b32_e64 v9, v9, v13, s2
	s_delay_alu instid0(VALU_DEP_1) | instskip(NEXT) | instid1(VALU_DEP_1)
	v_sub_f32_e32 v13, 0x40490fdb, v9
	v_cndmask_b32_e32 v9, v9, v13, vcc_lo
	s_and_b32 vcc_lo, s5, s6
	s_delay_alu instid0(VALU_DEP_1) | instskip(NEXT) | instid1(VALU_DEP_1)
	v_cndmask_b32_e64 v11, v9, v11, s3
	v_dual_mul_f32 v9, 0.5, v10 :: v_dual_cndmask_b32 v10, v11, v12
                                        ; implicit-def: $vgpr12
                                        ; implicit-def: $vgpr11
.LBB169_14:                             ;   in Loop: Header=BB169_5 Depth=1
	s_and_not1_saveexec_b32 s25, s4
	s_cbranch_execz .LBB169_18
; %bb.15:                               ;   in Loop: Header=BB169_5 Depth=1
	v_and_b32_e32 v13, 0x7fff0000, v11
	v_and_b32_e32 v10, 0x7fff0000, v12
	s_mov_b32 s26, 0
	s_delay_alu instid0(VALU_DEP_1) | instskip(SKIP_2) | instid1(VALU_DEP_3)
	v_dual_add_f32 v25, v13, v13 :: v_dual_sub_f32 v12, v12, v10
	v_dual_sub_f32 v14, v11, v13 :: v_dual_mul_f32 v9, v10, v10
	v_dual_add_f32 v22, v10, v10 :: v_dual_mul_f32 v11, v13, v13
	v_and_b32_e32 v15, 0xffff0000, v12
	s_delay_alu instid0(VALU_DEP_1) | instskip(NEXT) | instid1(VALU_DEP_1)
	v_dual_sub_f32 v13, v12, v15 :: v_dual_and_b32 v16, 0xffff0000, v14
	v_sub_f32_e32 v26, v14, v16
	s_delay_alu instid0(VALU_DEP_4) | instskip(SKIP_4) | instid1(VALU_DEP_4)
	v_dual_mul_f32 v24, v22, v15 :: v_dual_add_f32 v27, v16, v16
	v_add_f32_e32 v14, v15, v15
	v_mul_f32_e32 v10, v25, v16
	v_dual_mul_f32 v12, v15, v15 :: v_dual_mul_f32 v23, v16, v16
	v_dual_mul_f32 v15, v22, v13 :: v_dual_mul_f32 v22, v25, v26
	v_mul_f32_e32 v16, v14, v13
	v_dual_mul_f32 v14, v27, v26 :: v_dual_mul_f32 v13, v13, v13
	v_mul_f32_e32 v25, v26, v26
.LBB169_16:                             ;   Parent Loop BB169_5 Depth=1
                                        ; =>  This Inner Loop Header: Depth=2
	v_cmp_nlt_f32_e32 vcc_lo, v9, v11
	s_delay_alu instid0(VALU_DEP_2) | instskip(SKIP_1) | instid1(VALU_DEP_1)
	v_mov_b32_e32 v27, v25
	v_dual_cndmask_b32 v26, v9, v11 :: v_dual_cndmask_b32 v9, v11, v9
	v_cmp_nlt_f32_e64 s3, v26, v24
	s_delay_alu instid0(VALU_DEP_1) | instskip(SKIP_2) | instid1(VALU_DEP_2)
	v_cndmask_b32_e64 v25, v26, v24, s3
	v_cndmask_b32_e64 v11, v24, v26, s3
	s_and_b32 s27, vcc_lo, s3
	v_cmp_nlt_f32_e64 s4, v25, v10
	s_delay_alu instid0(VALU_DEP_1) | instskip(SKIP_1) | instid1(VALU_DEP_2)
	v_cndmask_b32_e64 v28, v25, v10, s4
	v_cndmask_b32_e64 v24, v10, v25, s4
	v_cmp_nlt_f32_e64 s5, v28, v12
	s_delay_alu instid0(VALU_DEP_1) | instskip(SKIP_2) | instid1(VALU_DEP_2)
	v_cndmask_b32_e64 v26, v28, v12, s5
	v_cndmask_b32_e64 v10, v12, v28, s5
	s_and_b32 s28, s4, s5
	v_cmp_nlt_f32_e64 s6, v26, v23
	s_delay_alu instid0(VALU_DEP_1) | instskip(SKIP_1) | instid1(VALU_DEP_2)
	v_cndmask_b32_e64 v29, v26, v23, s6
	v_cndmask_b32_e64 v12, v23, v26, s6
	v_cmp_nlt_f32_e64 s7, v29, v15
	s_delay_alu instid0(VALU_DEP_1) | instskip(SKIP_2) | instid1(VALU_DEP_2)
	v_cndmask_b32_e64 v30, v29, v15, s7
	s_and_b32 s5, s6, s7
	v_cndmask_b32_e64 v23, v15, v29, s7
	v_cmp_nlt_f32_e64 s8, v30, v22
	s_delay_alu instid0(VALU_DEP_1) | instskip(SKIP_2) | instid1(VALU_DEP_2)
	v_cndmask_b32_e64 v31, v30, v22, s8
	s_and_b32 s5, s5, s8
	v_cndmask_b32_e64 v15, v22, v30, s8
	v_cmp_nlt_f32_e32 vcc_lo, v31, v16
	v_cndmask_b32_e32 v32, v31, v16, vcc_lo
	s_and_b32 s6, s5, vcc_lo
	v_cndmask_b32_e32 v22, v16, v31, vcc_lo
	s_delay_alu instid0(VALU_DEP_2) | instskip(NEXT) | instid1(VALU_DEP_1)
	v_cmp_nlt_f32_e64 s3, v32, v14
	v_cndmask_b32_e64 v28, v32, v14, s3
	s_and_b32 s6, s6, s3
	v_cndmask_b32_e64 v16, v14, v32, s3
	s_delay_alu instid0(VALU_DEP_2) | instskip(NEXT) | instid1(VALU_DEP_1)
	v_cmp_nlt_f32_e64 s4, v28, v13
	v_cndmask_b32_e64 v26, v28, v13, s4
	s_and_b32 s6, s6, s4
	v_cndmask_b32_e64 v14, v13, v28, s4
	s_delay_alu instid0(VALU_DEP_2) | instskip(NEXT) | instid1(VALU_DEP_1)
	v_cmp_nlt_f32_e64 s5, v26, v27
	s_and_b32 s6, s6, s5
	v_cndmask_b32_e64 v25, v26, v27, s5
	s_and_b32 s3, s6, s28
	v_cndmask_b32_e64 v13, v27, v26, s5
	s_and_b32 s3, s3, s27
	s_delay_alu instid0(SALU_CYCLE_1) | instskip(NEXT) | instid1(SALU_CYCLE_1)
	s_and_b32 s3, exec_lo, s3
	s_or_b32 s26, s3, s26
	s_delay_alu instid0(SALU_CYCLE_1)
	s_and_not1_b32 exec_lo, exec_lo, s26
	s_cbranch_execnz .LBB169_16
; %bb.17:                               ;   in Loop: Header=BB169_5 Depth=1
	s_or_b32 exec_lo, exec_lo, s26
	v_add_f32_e32 v9, -1.0, v9
	v_cmp_class_f32_e64 s4, v5, 0x204
	s_delay_alu instid0(VALU_DEP_2) | instskip(NEXT) | instid1(VALU_DEP_1)
	v_add_f32_e32 v9, v9, v11
	v_add_f32_e32 v9, v9, v24
	s_delay_alu instid0(VALU_DEP_1) | instskip(NEXT) | instid1(VALU_DEP_1)
	v_add_f32_e32 v9, v9, v10
	v_add_f32_e32 v9, v9, v12
	s_delay_alu instid0(VALU_DEP_1) | instskip(NEXT) | instid1(VALU_DEP_1)
	;; [unrolled: 3-line block ×5, first 2 shown]
	v_add_f32_e32 v11, v25, v9
	v_add_f32_e32 v12, 1.0, v11
	s_delay_alu instid0(VALU_DEP_1) | instskip(NEXT) | instid1(VALU_DEP_1)
	v_cvt_f64_f32_e32 v[9:10], v12
	v_frexp_exp_i32_f64_e32 v9, v[9:10]
	v_frexp_mant_f32_e32 v10, v12
	s_delay_alu instid0(VALU_DEP_1) | instskip(SKIP_1) | instid1(VALU_DEP_1)
	v_cmp_gt_f32_e32 vcc_lo, 0x3f2aaaab, v10
	v_add_f32_e32 v10, -1.0, v12
	v_sub_f32_e32 v14, v10, v12
	v_sub_f32_e32 v10, v11, v10
	s_delay_alu instid0(VALU_DEP_2) | instskip(NEXT) | instid1(VALU_DEP_1)
	v_add_f32_e32 v14, 1.0, v14
	v_add_f32_e32 v10, v10, v14
	v_subrev_co_ci_u32_e32 v9, vcc_lo, 0, v9, vcc_lo
	s_delay_alu instid0(VALU_DEP_1) | instskip(SKIP_1) | instid1(VALU_DEP_2)
	v_sub_nc_u32_e32 v13, 0, v9
	v_cvt_f32_i32_e32 v9, v9
	v_ldexp_f32 v12, v12, v13
	v_ldexp_f32 v10, v10, v13
	s_delay_alu instid0(VALU_DEP_2) | instskip(NEXT) | instid1(VALU_DEP_1)
	v_add_f32_e32 v13, -1.0, v12
	v_dual_add_f32 v15, 1.0, v12 :: v_dual_add_f32 v16, 1.0, v13
	s_delay_alu instid0(VALU_DEP_1) | instskip(NEXT) | instid1(VALU_DEP_1)
	v_add_f32_e32 v14, -1.0, v15
	v_sub_f32_e32 v14, v12, v14
	s_delay_alu instid0(VALU_DEP_3) | instskip(NEXT) | instid1(VALU_DEP_2)
	v_sub_f32_e32 v12, v12, v16
	v_add_f32_e32 v14, v10, v14
	s_delay_alu instid0(VALU_DEP_2) | instskip(NEXT) | instid1(VALU_DEP_1)
	v_add_f32_e32 v10, v10, v12
	v_add_f32_e32 v22, v13, v10
	s_delay_alu instid0(VALU_DEP_3) | instskip(SKIP_2) | instid1(VALU_DEP_3)
	v_add_f32_e32 v16, v15, v14
	v_cmp_eq_f32_e32 vcc_lo, 0x7f800000, v11
	v_cmp_neq_f32_e64 s3, -1.0, v11
	v_sub_f32_e32 v15, v16, v15
	v_rcp_f32_e32 v12, v16
	s_waitcnt_depctr 0xfff
	v_mul_f32_e32 v23, v22, v12
	s_delay_alu instid0(VALU_DEP_1) | instskip(SKIP_2) | instid1(VALU_DEP_3)
	v_mul_f32_e32 v24, v16, v23
	v_sub_f32_e32 v14, v14, v15
	v_sub_f32_e32 v13, v22, v13
	v_fma_f32 v15, v23, v16, -v24
	s_delay_alu instid0(VALU_DEP_1) | instskip(NEXT) | instid1(VALU_DEP_1)
	v_fmac_f32_e32 v15, v23, v14
	v_add_f32_e32 v25, v24, v15
	s_delay_alu instid0(VALU_DEP_1) | instskip(SKIP_1) | instid1(VALU_DEP_2)
	v_sub_f32_e32 v26, v22, v25
	v_sub_f32_e32 v10, v10, v13
	v_dual_sub_f32 v22, v22, v26 :: v_dual_sub_f32 v13, v25, v24
	s_delay_alu instid0(VALU_DEP_1) | instskip(NEXT) | instid1(VALU_DEP_1)
	v_dual_sub_f32 v22, v22, v25 :: v_dual_sub_f32 v13, v13, v15
	v_add_f32_e32 v10, v10, v22
	s_delay_alu instid0(VALU_DEP_1) | instskip(NEXT) | instid1(VALU_DEP_1)
	v_add_f32_e32 v10, v13, v10
	v_add_f32_e32 v13, v26, v10
	s_delay_alu instid0(VALU_DEP_1) | instskip(NEXT) | instid1(VALU_DEP_1)
	v_mul_f32_e32 v15, v12, v13
	v_dual_sub_f32 v25, v26, v13 :: v_dual_mul_f32 v22, v16, v15
	s_delay_alu instid0(VALU_DEP_1) | instskip(NEXT) | instid1(VALU_DEP_1)
	v_fma_f32 v16, v15, v16, -v22
	v_fmac_f32_e32 v16, v15, v14
	s_delay_alu instid0(VALU_DEP_1) | instskip(NEXT) | instid1(VALU_DEP_1)
	v_add_f32_e32 v14, v22, v16
	v_sub_f32_e32 v24, v13, v14
	s_delay_alu instid0(VALU_DEP_1) | instskip(NEXT) | instid1(VALU_DEP_1)
	v_dual_sub_f32 v13, v13, v24 :: v_dual_add_f32 v10, v10, v25
	v_sub_f32_e32 v13, v13, v14
	s_delay_alu instid0(VALU_DEP_1) | instskip(SKIP_1) | instid1(VALU_DEP_1)
	v_dual_add_f32 v10, v10, v13 :: v_dual_add_f32 v13, v23, v15
	v_sub_f32_e32 v22, v14, v22
	v_sub_f32_e32 v14, v22, v16
	v_max_f32_e64 v16, |v6|, |v6|
	s_delay_alu instid0(VALU_DEP_2) | instskip(SKIP_1) | instid1(VALU_DEP_2)
	v_add_f32_e32 v10, v14, v10
	v_sub_f32_e32 v14, v13, v23
	v_add_f32_e32 v10, v24, v10
	s_delay_alu instid0(VALU_DEP_2) | instskip(SKIP_1) | instid1(VALU_DEP_3)
	v_sub_f32_e32 v14, v15, v14
	v_mul_f32_e32 v24, 0x3f317218, v9
	v_mul_f32_e32 v10, v12, v10
	s_delay_alu instid0(VALU_DEP_2) | instskip(NEXT) | instid1(VALU_DEP_1)
	v_fma_f32 v25, 0x3f317218, v9, -v24
	v_dual_add_f32 v10, v14, v10 :: v_dual_fmac_f32 v25, 0xb102e308, v9
	s_delay_alu instid0(VALU_DEP_1) | instskip(NEXT) | instid1(VALU_DEP_1)
	v_add_f32_e32 v12, v13, v10
	v_mul_f32_e32 v14, v12, v12
	v_ldexp_f32 v23, v12, 1
	s_delay_alu instid0(VALU_DEP_2) | instskip(SKIP_1) | instid1(VALU_DEP_2)
	v_fmaak_f32 v15, s14, v14, 0x3ecc95a3
	v_mul_f32_e32 v22, v12, v14
	v_fmaak_f32 v14, v14, v15, 0x3f2aaada
	v_max_f32_e64 v15, |v5|, |v5|
	s_delay_alu instid0(VALU_DEP_2) | instskip(NEXT) | instid1(VALU_DEP_1)
	v_mul_f32_e32 v14, v22, v14
	v_dual_sub_f32 v12, v12, v13 :: v_dual_add_f32 v13, v23, v14
	s_delay_alu instid0(VALU_DEP_1) | instskip(NEXT) | instid1(VALU_DEP_2)
	v_sub_f32_e32 v10, v10, v12
	v_sub_f32_e32 v12, v13, v23
	s_delay_alu instid0(VALU_DEP_2) | instskip(NEXT) | instid1(VALU_DEP_2)
	v_ldexp_f32 v10, v10, 1
	v_sub_f32_e32 v12, v14, v12
	s_delay_alu instid0(VALU_DEP_1) | instskip(SKIP_2) | instid1(VALU_DEP_2)
	v_dual_add_f32 v9, v10, v12 :: v_dual_add_f32 v12, v24, v25
	v_max_f32_e32 v22, v15, v16
	v_min_f32_e32 v15, v15, v16
	v_frexp_mant_f32_e32 v16, v22
	v_frexp_exp_i32_f32_e32 v22, v22
	s_delay_alu instid0(VALU_DEP_3) | instskip(SKIP_1) | instid1(VALU_DEP_4)
	v_frexp_exp_i32_f32_e32 v23, v15
	v_frexp_mant_f32_e32 v14, v15
	v_rcp_f32_e32 v16, v16
	s_delay_alu instid0(VALU_DEP_2) | instskip(SKIP_3) | instid1(VALU_DEP_2)
	v_sub_nc_u32_e32 v15, v23, v22
	s_waitcnt_depctr 0xfff
	v_mul_f32_e32 v10, v14, v16
	v_add_f32_e32 v14, v13, v9
	v_ldexp_f32 v10, v10, v15
	s_delay_alu instid0(VALU_DEP_2) | instskip(SKIP_1) | instid1(VALU_DEP_3)
	v_add_f32_e32 v15, v12, v14
	v_sub_f32_e32 v13, v14, v13
	v_mul_f32_e32 v16, v10, v10
	s_delay_alu instid0(VALU_DEP_2) | instskip(NEXT) | instid1(VALU_DEP_1)
	v_dual_sub_f32 v22, v15, v12 :: v_dual_sub_f32 v9, v9, v13
	v_dual_fmaak_f32 v23, s16, v16, 0xbc7a590c :: v_dual_sub_f32 v26, v15, v22
	v_dual_sub_f32 v13, v14, v22 :: v_dual_sub_f32 v24, v12, v24
	s_delay_alu instid0(VALU_DEP_2) | instskip(NEXT) | instid1(VALU_DEP_3)
	v_fmaak_f32 v23, v16, v23, 0x3d29fb3f
	v_sub_f32_e32 v12, v12, v26
	s_delay_alu instid0(VALU_DEP_3) | instskip(NEXT) | instid1(VALU_DEP_3)
	v_sub_f32_e32 v24, v25, v24
	v_fmaak_f32 v14, v16, v23, 0xbd97d4d7
	s_delay_alu instid0(VALU_DEP_3) | instskip(NEXT) | instid1(VALU_DEP_3)
	v_add_f32_e32 v12, v13, v12
	v_add_f32_e32 v22, v24, v9
	s_delay_alu instid0(VALU_DEP_1) | instskip(NEXT) | instid1(VALU_DEP_3)
	v_dual_fmaak_f32 v13, v16, v14, 0x3dd931b2 :: v_dual_sub_f32 v14, v22, v24
	v_add_f32_e32 v12, v22, v12
	s_delay_alu instid0(VALU_DEP_1) | instskip(SKIP_1) | instid1(VALU_DEP_2)
	v_dual_sub_f32 v22, v22, v14 :: v_dual_add_f32 v23, v15, v12
	v_sub_f32_e32 v9, v9, v14
	v_dual_sub_f32 v14, v24, v22 :: v_dual_sub_f32 v15, v23, v15
	s_delay_alu instid0(VALU_DEP_1) | instskip(NEXT) | instid1(VALU_DEP_1)
	v_dual_add_f32 v9, v9, v14 :: v_dual_sub_f32 v12, v12, v15
	v_add_f32_e32 v9, v9, v12
	v_fmaak_f32 v13, v16, v13, 0xbe1160e6
	s_delay_alu instid0(VALU_DEP_2) | instskip(NEXT) | instid1(VALU_DEP_2)
	v_add_f32_e32 v9, v23, v9
	v_fmaak_f32 v13, v16, v13, 0x3e4cb8bf
	s_delay_alu instid0(VALU_DEP_2) | instskip(NEXT) | instid1(VALU_DEP_2)
	v_cndmask_b32_e32 v9, v9, v11, vcc_lo
	v_fmaak_f32 v13, v16, v13, 0xbeaaaa62
	v_cmp_gt_i32_e32 vcc_lo, 0, v5
	s_delay_alu instid0(VALU_DEP_2) | instskip(NEXT) | instid1(VALU_DEP_1)
	v_mul_f32_e32 v13, v16, v13
	v_fmac_f32_e32 v10, v10, v13
	s_delay_alu instid0(VALU_DEP_1) | instskip(NEXT) | instid1(VALU_DEP_1)
	v_sub_f32_e32 v12, 0x3fc90fdb, v10
	v_cndmask_b32_e64 v10, v10, v12, s2
	v_cndmask_b32_e64 v12, 0, 0x40490fdb, vcc_lo
	v_cmp_ngt_f32_e32 vcc_lo, -1.0, v11
	s_delay_alu instid0(VALU_DEP_3) | instskip(SKIP_2) | instid1(VALU_DEP_2)
	v_sub_f32_e32 v13, 0x40490fdb, v10
	v_cndmask_b32_e32 v9, 0x7fc00000, v9, vcc_lo
	v_cmp_gt_f32_e32 vcc_lo, 0, v5
	v_cndmask_b32_e64 v9, 0xff800000, v9, s3
	s_delay_alu instid0(VALU_DEP_4)
	v_cndmask_b32_e32 v10, v10, v13, vcc_lo
	v_cndmask_b32_e32 v13, 0x3f490fdb, v21, vcc_lo
	v_cmp_gt_f32_e64 vcc_lo, 0x33800000, |v11|
	v_cmp_class_f32_e64 s3, v6, 0x204
	v_cndmask_b32_e32 v9, v9, v11, vcc_lo
	v_cmp_eq_f32_e32 vcc_lo, 0, v6
	s_delay_alu instid0(VALU_DEP_2) | instskip(NEXT) | instid1(VALU_DEP_4)
	v_dual_mul_f32 v9, 0.5, v9 :: v_dual_cndmask_b32 v10, v10, v12
	s_and_b32 vcc_lo, s4, s3
	s_delay_alu instid0(VALU_DEP_1)
	v_cndmask_b32_e32 v10, v10, v13, vcc_lo
.LBB169_18:                             ;   in Loop: Header=BB169_5 Depth=1
	s_or_b32 exec_lo, exec_lo, s25
.LBB169_19:                             ;   in Loop: Header=BB169_5 Depth=1
	s_delay_alu instid0(SALU_CYCLE_1)
	s_or_b32 exec_lo, exec_lo, s24
.LBB169_20:                             ;   in Loop: Header=BB169_5 Depth=1
	s_and_not1_saveexec_b32 s4, s23
	s_cbranch_execz .LBB169_22
; %bb.21:                               ;   in Loop: Header=BB169_5 Depth=1
	v_max_f32_e64 v11, |v6|, |v6|
	v_max_f32_e64 v12, |v5|, |v5|
	v_cmp_gt_i32_e64 s3, 0, v5
	v_cmp_class_f32_e64 s5, v5, 0x204
	v_cmp_class_f32_e64 s6, v6, 0x204
	s_delay_alu instid0(VALU_DEP_4) | instskip(SKIP_1) | instid1(VALU_DEP_2)
	v_max_f32_e32 v13, v12, v11
	v_min_f32_e32 v11, v12, v11
	v_cvt_f64_f32_e32 v[9:10], v13
	s_delay_alu instid0(VALU_DEP_2) | instskip(SKIP_1) | instid1(VALU_DEP_3)
	v_frexp_exp_i32_f32_e32 v14, v11
	v_frexp_mant_f32_e32 v11, v11
	v_frexp_exp_i32_f64_e32 v9, v[9:10]
	v_frexp_mant_f32_e32 v10, v13
	s_delay_alu instid0(VALU_DEP_1) | instskip(SKIP_4) | instid1(VALU_DEP_2)
	v_rcp_f32_e32 v10, v10
	s_waitcnt_depctr 0xfff
	v_mul_f32_e32 v10, v11, v10
	v_frexp_exp_i32_f32_e32 v12, v13
	v_cmp_neq_f32_e32 vcc_lo, 0x7f800000, v13
	v_sub_nc_u32_e32 v12, v14, v12
	s_delay_alu instid0(VALU_DEP_1) | instskip(NEXT) | instid1(VALU_DEP_1)
	v_ldexp_f32 v10, v10, v12
	v_mul_f32_e32 v14, v10, v10
	v_sub_nc_u32_e32 v15, 0, v9
	s_delay_alu instid0(VALU_DEP_1) | instskip(SKIP_1) | instid1(VALU_DEP_2)
	v_ldexp_f32 v11, |v6|, v15
	v_ldexp_f32 v12, |v5|, v15
	v_mul_f32_e32 v11, v11, v11
	s_delay_alu instid0(VALU_DEP_1) | instskip(NEXT) | instid1(VALU_DEP_1)
	v_dual_fmac_f32 v11, v12, v12 :: v_dual_fmaak_f32 v12, s16, v14, 0xbc7a590c
	v_sqrt_f32_e32 v11, v11
	s_delay_alu instid0(VALU_DEP_1) | instskip(NEXT) | instid1(VALU_DEP_1)
	v_fmaak_f32 v12, v14, v12, 0x3d29fb3f
	v_fmaak_f32 v12, v14, v12, 0xbd97d4d7
	s_waitcnt_depctr 0xfff
	v_ldexp_f32 v9, v11, v9
	v_fmaak_f32 v11, v14, v12, 0x3dd931b2
	s_delay_alu instid0(VALU_DEP_1) | instskip(NEXT) | instid1(VALU_DEP_1)
	v_fmaak_f32 v11, v14, v11, 0xbe1160e6
	v_fmaak_f32 v11, v14, v11, 0x3e4cb8bf
	s_delay_alu instid0(VALU_DEP_1) | instskip(NEXT) | instid1(VALU_DEP_1)
	v_fmaak_f32 v11, v14, v11, 0xbeaaaa62
	v_mul_f32_e32 v11, v14, v11
	s_delay_alu instid0(VALU_DEP_1) | instskip(NEXT) | instid1(VALU_DEP_1)
	v_dual_cndmask_b32 v9, 0x7f800000, v9 :: v_dual_fmac_f32 v10, v10, v11
	v_cmp_gt_f32_e32 vcc_lo, 0x800000, v9
	v_cndmask_b32_e64 v12, 1.0, 0x4f800000, vcc_lo
	s_delay_alu instid0(VALU_DEP_1) | instskip(NEXT) | instid1(VALU_DEP_1)
	v_dual_mul_f32 v9, v9, v12 :: v_dual_sub_f32 v12, 0x3fc90fdb, v10
	v_cndmask_b32_e64 v10, v10, v12, s2
	v_cndmask_b32_e64 v12, 0, 0x40490fdb, s3
	v_cmp_gt_f32_e64 s3, 0, v5
	s_delay_alu instid0(VALU_DEP_3) | instskip(SKIP_1) | instid1(VALU_DEP_1)
	v_sub_f32_e32 v14, 0x40490fdb, v10
	v_log_f32_e32 v9, v9
	v_cndmask_b32_e64 v10, v10, v14, s3
	v_cndmask_b32_e64 v14, 0, 0x41b17218, vcc_lo
	s_waitcnt_depctr 0xfff
	v_mul_f32_e32 v11, 0x3f317217, v9
	v_cmp_gt_f32_e64 vcc_lo, 0x7f800000, |v9|
	s_delay_alu instid0(VALU_DEP_2) | instskip(NEXT) | instid1(VALU_DEP_1)
	v_fma_f32 v13, 0x3f317217, v9, -v11
	v_fmac_f32_e32 v13, 0x3377d1cf, v9
	s_delay_alu instid0(VALU_DEP_1) | instskip(SKIP_1) | instid1(VALU_DEP_2)
	v_add_f32_e32 v11, v11, v13
	v_cndmask_b32_e64 v13, 0x3f490fdb, v21, s3
	v_cndmask_b32_e32 v9, v9, v11, vcc_lo
	v_cmp_eq_f32_e32 vcc_lo, 0, v6
	v_cndmask_b32_e32 v10, v10, v12, vcc_lo
	s_and_b32 vcc_lo, s5, s6
	s_delay_alu instid0(VALU_DEP_1)
	v_dual_sub_f32 v9, v9, v14 :: v_dual_cndmask_b32 v10, v10, v13
.LBB169_22:                             ;   in Loop: Header=BB169_5 Depth=1
	s_or_b32 exec_lo, exec_lo, s4
                                        ; implicit-def: $vgpr11
.LBB169_23:                             ;   in Loop: Header=BB169_5 Depth=1
	s_and_not1_saveexec_b32 s4, s22
	s_cbranch_execz .LBB169_29
; %bb.24:                               ;   in Loop: Header=BB169_5 Depth=1
                                        ; implicit-def: $vgpr9
                                        ; implicit-def: $vgpr10
	s_mov_b32 s3, exec_lo
	v_cmpx_ngt_f32_e32 0x1fec1e4a, v11
	s_xor_b32 s5, exec_lo, s3
	s_cbranch_execz .LBB169_26
; %bb.25:                               ;   in Loop: Header=BB169_5 Depth=1
	v_mul_f32_e32 v11, v11, v11
	v_cmp_gt_f32_e64 s3, 0, v5
	v_cmp_class_f32_e64 s6, v5, 0x204
	v_cmp_class_f32_e64 s8, v6, 0x204
	s_delay_alu instid0(VALU_DEP_4) | instskip(NEXT) | instid1(VALU_DEP_1)
	v_add_f32_e32 v12, 1.0, v11
	v_cvt_f64_f32_e32 v[9:10], v12
	s_delay_alu instid0(VALU_DEP_1) | instskip(SKIP_1) | instid1(VALU_DEP_1)
	v_frexp_exp_i32_f64_e32 v9, v[9:10]
	v_frexp_mant_f32_e32 v10, v12
	v_cmp_gt_f32_e32 vcc_lo, 0x3f2aaaab, v10
	v_add_f32_e32 v10, -1.0, v12
	v_cmp_gt_f32_e64 s7, 0x33800000, |v11|
	s_delay_alu instid0(VALU_DEP_2) | instskip(SKIP_2) | instid1(VALU_DEP_2)
	v_sub_f32_e32 v14, v10, v12
	v_subrev_co_ci_u32_e32 v9, vcc_lo, 0, v9, vcc_lo
	v_cmp_gt_i32_e32 vcc_lo, 0, v5
	v_sub_nc_u32_e32 v13, 0, v9
	v_cvt_f32_i32_e32 v9, v9
	s_delay_alu instid0(VALU_DEP_2) | instskip(SKIP_1) | instid1(VALU_DEP_2)
	v_ldexp_f32 v12, v12, v13
	v_sub_f32_e32 v10, v11, v10
	v_dual_add_f32 v14, 1.0, v14 :: v_dual_add_f32 v15, 1.0, v12
	s_delay_alu instid0(VALU_DEP_1) | instskip(NEXT) | instid1(VALU_DEP_2)
	v_add_f32_e32 v10, v10, v14
	v_add_f32_e32 v14, -1.0, v15
	s_delay_alu instid0(VALU_DEP_2) | instskip(NEXT) | instid1(VALU_DEP_2)
	v_ldexp_f32 v10, v10, v13
	v_dual_add_f32 v13, -1.0, v12 :: v_dual_sub_f32 v14, v12, v14
	s_delay_alu instid0(VALU_DEP_1) | instskip(NEXT) | instid1(VALU_DEP_2)
	v_add_f32_e32 v16, 1.0, v13
	v_add_f32_e32 v14, v10, v14
	s_delay_alu instid0(VALU_DEP_2) | instskip(NEXT) | instid1(VALU_DEP_2)
	v_sub_f32_e32 v12, v12, v16
	v_add_f32_e32 v16, v15, v14
	s_delay_alu instid0(VALU_DEP_2) | instskip(NEXT) | instid1(VALU_DEP_2)
	v_add_f32_e32 v10, v10, v12
	v_rcp_f32_e32 v12, v16
	s_delay_alu instid0(VALU_DEP_1) | instskip(NEXT) | instid1(VALU_DEP_1)
	v_dual_sub_f32 v15, v15, v16 :: v_dual_add_f32 v22, v13, v10
	v_dual_add_f32 v14, v14, v15 :: v_dual_sub_f32 v13, v13, v22
	s_waitcnt_depctr 0xfff
	v_mul_f32_e32 v23, v22, v12
	v_add_f32_e32 v10, v10, v13
	s_delay_alu instid0(VALU_DEP_2) | instskip(NEXT) | instid1(VALU_DEP_1)
	v_mul_f32_e32 v24, v16, v23
	v_fma_f32 v15, v23, v16, -v24
	s_delay_alu instid0(VALU_DEP_1) | instskip(NEXT) | instid1(VALU_DEP_1)
	v_fmac_f32_e32 v15, v23, v14
	v_add_f32_e32 v25, v24, v15
	s_delay_alu instid0(VALU_DEP_1) | instskip(NEXT) | instid1(VALU_DEP_1)
	v_dual_sub_f32 v26, v22, v25 :: v_dual_sub_f32 v13, v25, v24
	v_dual_sub_f32 v22, v22, v26 :: v_dual_sub_f32 v13, v13, v15
	s_delay_alu instid0(VALU_DEP_1) | instskip(NEXT) | instid1(VALU_DEP_1)
	v_sub_f32_e32 v22, v22, v25
	v_add_f32_e32 v10, v10, v22
	s_delay_alu instid0(VALU_DEP_1) | instskip(NEXT) | instid1(VALU_DEP_1)
	v_add_f32_e32 v10, v13, v10
	v_add_f32_e32 v13, v26, v10
	s_delay_alu instid0(VALU_DEP_1) | instskip(NEXT) | instid1(VALU_DEP_1)
	v_mul_f32_e32 v15, v12, v13
	v_dual_sub_f32 v25, v26, v13 :: v_dual_mul_f32 v22, v16, v15
	s_delay_alu instid0(VALU_DEP_1) | instskip(NEXT) | instid1(VALU_DEP_2)
	v_add_f32_e32 v10, v10, v25
	v_fma_f32 v16, v15, v16, -v22
	s_delay_alu instid0(VALU_DEP_1) | instskip(NEXT) | instid1(VALU_DEP_1)
	v_fmac_f32_e32 v16, v15, v14
	v_add_f32_e32 v14, v22, v16
	s_delay_alu instid0(VALU_DEP_1) | instskip(NEXT) | instid1(VALU_DEP_1)
	v_sub_f32_e32 v24, v13, v14
	v_dual_sub_f32 v22, v14, v22 :: v_dual_sub_f32 v13, v13, v24
	s_delay_alu instid0(VALU_DEP_1) | instskip(NEXT) | instid1(VALU_DEP_1)
	v_dual_sub_f32 v13, v13, v14 :: v_dual_sub_f32 v14, v22, v16
	v_dual_add_f32 v10, v10, v13 :: v_dual_add_f32 v13, v23, v15
	s_delay_alu instid0(VALU_DEP_1) | instskip(NEXT) | instid1(VALU_DEP_2)
	v_add_f32_e32 v10, v14, v10
	v_sub_f32_e32 v14, v13, v23
	s_delay_alu instid0(VALU_DEP_2) | instskip(NEXT) | instid1(VALU_DEP_2)
	v_add_f32_e32 v10, v24, v10
	v_sub_f32_e32 v14, v15, v14
	v_max_f32_e64 v15, |v5|, |v5|
	s_delay_alu instid0(VALU_DEP_3) | instskip(SKIP_1) | instid1(VALU_DEP_2)
	v_mul_f32_e32 v10, v12, v10
	v_max_f32_e64 v12, |v6|, |v6|
	v_add_f32_e32 v10, v14, v10
	s_delay_alu instid0(VALU_DEP_2) | instskip(SKIP_1) | instid1(VALU_DEP_3)
	v_max_f32_e32 v22, v15, v12
	v_min_f32_e32 v12, v15, v12
	v_add_f32_e32 v14, v13, v10
	s_delay_alu instid0(VALU_DEP_3) | instskip(SKIP_1) | instid1(VALU_DEP_3)
	v_frexp_mant_f32_e32 v24, v22
	v_frexp_exp_i32_f32_e32 v15, v22
	v_mul_f32_e32 v16, v14, v14
	v_ldexp_f32 v25, v14, 1
	v_sub_f32_e32 v13, v14, v13
	s_delay_alu instid0(VALU_DEP_3) | instskip(SKIP_1) | instid1(VALU_DEP_3)
	v_fmaak_f32 v23, s14, v16, 0x3ecc95a3
	v_mul_f32_e32 v22, v14, v16
	v_sub_f32_e32 v10, v10, v13
	s_delay_alu instid0(VALU_DEP_3)
	v_fmaak_f32 v16, v16, v23, 0x3f2aaada
	v_rcp_f32_e32 v23, v24
	v_frexp_exp_i32_f32_e32 v24, v12
	v_frexp_mant_f32_e32 v12, v12
	v_ldexp_f32 v10, v10, 1
	v_mul_f32_e32 v16, v22, v16
	v_mul_f32_e32 v22, 0x3f317218, v9
	v_sub_nc_u32_e32 v15, v24, v15
	s_delay_alu instid0(VALU_DEP_3)
	v_add_f32_e32 v14, v25, v16
	s_delay_alu instid0(TRANS32_DEP_1) | instid1(VALU_DEP_1)
	v_dual_mul_f32 v12, v12, v23 :: v_dual_sub_f32 v13, v14, v25
	s_delay_alu instid0(VALU_DEP_1) | instskip(SKIP_1) | instid1(VALU_DEP_3)
	v_ldexp_f32 v12, v12, v15
	v_fma_f32 v15, 0x3f317218, v9, -v22
	v_sub_f32_e32 v13, v16, v13
	s_delay_alu instid0(VALU_DEP_2) | instskip(NEXT) | instid1(VALU_DEP_1)
	v_dual_mul_f32 v16, v12, v12 :: v_dual_fmac_f32 v15, 0xb102e308, v9
	v_dual_add_f32 v9, v10, v13 :: v_dual_fmaak_f32 v10, s16, v16, 0xbc7a590c
	s_delay_alu instid0(VALU_DEP_2) | instskip(NEXT) | instid1(VALU_DEP_2)
	v_add_f32_e32 v13, v22, v15
	v_dual_add_f32 v23, v14, v9 :: v_dual_fmaak_f32 v10, v16, v10, 0x3d29fb3f
	s_delay_alu instid0(VALU_DEP_2) | instskip(NEXT) | instid1(VALU_DEP_2)
	v_sub_f32_e32 v22, v13, v22
	v_add_f32_e32 v24, v13, v23
	s_delay_alu instid0(VALU_DEP_3) | instskip(SKIP_1) | instid1(VALU_DEP_4)
	v_fmaak_f32 v10, v16, v10, 0xbd97d4d7
	v_sub_f32_e32 v14, v23, v14
	v_sub_f32_e32 v15, v15, v22
	s_delay_alu instid0(VALU_DEP_4) | instskip(NEXT) | instid1(VALU_DEP_4)
	v_sub_f32_e32 v25, v24, v13
	v_fmaak_f32 v10, v16, v10, 0x3dd931b2
	s_delay_alu instid0(VALU_DEP_2) | instskip(NEXT) | instid1(VALU_DEP_2)
	v_dual_sub_f32 v9, v9, v14 :: v_dual_sub_f32 v26, v24, v25
	v_fmaak_f32 v10, v16, v10, 0xbe1160e6
	v_sub_f32_e32 v14, v23, v25
	s_delay_alu instid0(VALU_DEP_3) | instskip(NEXT) | instid1(VALU_DEP_1)
	v_dual_add_f32 v22, v15, v9 :: v_dual_sub_f32 v13, v13, v26
	v_dual_fmaak_f32 v10, v16, v10, 0x3e4cb8bf :: v_dual_add_f32 v13, v14, v13
	s_delay_alu instid0(VALU_DEP_1) | instskip(NEXT) | instid1(VALU_DEP_3)
	v_fmaak_f32 v10, v16, v10, 0xbeaaaa62
	v_sub_f32_e32 v14, v22, v15
	s_delay_alu instid0(VALU_DEP_2) | instskip(NEXT) | instid1(VALU_DEP_2)
	v_dual_add_f32 v13, v22, v13 :: v_dual_mul_f32 v10, v16, v10
	v_sub_f32_e32 v16, v22, v14
	s_delay_alu instid0(VALU_DEP_2) | instskip(NEXT) | instid1(VALU_DEP_3)
	v_dual_sub_f32 v9, v9, v14 :: v_dual_add_f32 v22, v24, v13
	v_fmac_f32_e32 v12, v12, v10
	s_delay_alu instid0(VALU_DEP_3) | instskip(NEXT) | instid1(VALU_DEP_3)
	v_sub_f32_e32 v10, v15, v16
	v_sub_f32_e32 v14, v22, v24
	s_delay_alu instid0(VALU_DEP_3) | instskip(NEXT) | instid1(VALU_DEP_3)
	v_sub_f32_e32 v15, 0x3fc90fdb, v12
	v_add_f32_e32 v9, v9, v10
	s_delay_alu instid0(VALU_DEP_3) | instskip(NEXT) | instid1(VALU_DEP_3)
	v_sub_f32_e32 v10, v13, v14
	v_cndmask_b32_e64 v12, v12, v15, s2
	v_cndmask_b32_e64 v13, 0, 0x40490fdb, vcc_lo
	v_cmp_eq_f32_e32 vcc_lo, 0x7f800000, v11
	s_delay_alu instid0(VALU_DEP_3) | instskip(SKIP_1) | instid1(VALU_DEP_1)
	v_dual_add_f32 v9, v9, v10 :: v_dual_sub_f32 v10, 0x40490fdb, v12
	s_or_b32 vcc_lo, vcc_lo, s7
	v_add_f32_e32 v9, v22, v9
	s_delay_alu instid0(VALU_DEP_2) | instskip(SKIP_1) | instid1(VALU_DEP_3)
	v_cndmask_b32_e64 v10, v12, v10, s3
	v_cndmask_b32_e64 v12, 0x3f490fdb, v21, s3
	v_cndmask_b32_e32 v9, v9, v11, vcc_lo
	v_cmp_eq_f32_e32 vcc_lo, 0, v6
                                        ; implicit-def: $vgpr11
	s_delay_alu instid0(VALU_DEP_2) | instskip(SKIP_2) | instid1(VALU_DEP_1)
	v_mul_f32_e32 v9, 0.5, v9
	v_cndmask_b32_e32 v10, v10, v13, vcc_lo
	s_and_b32 vcc_lo, s6, s8
	v_cndmask_b32_e32 v10, v10, v12, vcc_lo
.LBB169_26:                             ;   in Loop: Header=BB169_5 Depth=1
	s_and_not1_saveexec_b32 s5, s5
	s_cbranch_execz .LBB169_28
; %bb.27:                               ;   in Loop: Header=BB169_5 Depth=1
	v_max_f32_e64 v9, |v6|, |v6|
	v_max_f32_e64 v10, |v5|, |v5|
	v_cmp_gt_i32_e32 vcc_lo, 0, v5
	v_cmp_eq_f32_e64 s3, 0, v6
	v_cmp_class_f32_e64 s6, v5, 0x204
	v_cmp_class_f32_e64 s7, v6, 0x204
	v_max_f32_e32 v12, v10, v9
	v_min_f32_e32 v9, v10, v9
	s_delay_alu instid0(VALU_DEP_2) | instskip(NEXT) | instid1(VALU_DEP_1)
	v_frexp_mant_f32_e32 v13, v12
	v_rcp_f32_e32 v10, v13
	s_delay_alu instid0(VALU_DEP_2) | instskip(SKIP_4) | instid1(VALU_DEP_1)
	v_frexp_exp_i32_f32_e32 v13, v9
	v_frexp_mant_f32_e32 v9, v9
	s_waitcnt_depctr 0xfff
	v_mul_f32_e32 v9, v9, v10
	v_frexp_exp_i32_f32_e32 v12, v12
	v_sub_nc_u32_e32 v12, v13, v12
	s_delay_alu instid0(VALU_DEP_1) | instskip(NEXT) | instid1(VALU_DEP_1)
	v_ldexp_f32 v9, v9, v12
	v_mul_f32_e32 v10, v9, v9
	s_delay_alu instid0(VALU_DEP_1) | instskip(NEXT) | instid1(VALU_DEP_1)
	v_fmaak_f32 v12, s16, v10, 0xbc7a590c
	v_fmaak_f32 v12, v10, v12, 0x3d29fb3f
	s_delay_alu instid0(VALU_DEP_1) | instskip(NEXT) | instid1(VALU_DEP_1)
	v_fmaak_f32 v12, v10, v12, 0xbd97d4d7
	v_fmaak_f32 v12, v10, v12, 0x3dd931b2
	;; [unrolled: 3-line block ×3, first 2 shown]
	s_delay_alu instid0(VALU_DEP_1) | instskip(NEXT) | instid1(VALU_DEP_1)
	v_fmaak_f32 v12, v10, v12, 0xbeaaaa62
	v_mul_f32_e32 v10, v10, v12
	v_cndmask_b32_e64 v12, 0, 0x40490fdb, vcc_lo
	v_cmp_gt_f32_e32 vcc_lo, 0, v5
	v_cndmask_b32_e32 v13, 0x3f490fdb, v21, vcc_lo
	s_delay_alu instid0(VALU_DEP_4) | instskip(NEXT) | instid1(VALU_DEP_1)
	v_fmac_f32_e32 v9, v9, v10
	v_sub_f32_e32 v10, 0x3fc90fdb, v9
	s_delay_alu instid0(VALU_DEP_1) | instskip(NEXT) | instid1(VALU_DEP_1)
	v_cndmask_b32_e64 v9, v9, v10, s2
	v_sub_f32_e32 v10, 0x40490fdb, v9
	s_delay_alu instid0(VALU_DEP_1) | instskip(SKIP_1) | instid1(VALU_DEP_1)
	v_dual_cndmask_b32 v9, v9, v10 :: v_dual_mul_f32 v10, 0.5, v11
	s_and_b32 vcc_lo, s6, s7
	v_cndmask_b32_e64 v12, v9, v12, s3
	s_delay_alu instid0(VALU_DEP_1)
	v_dual_mul_f32 v9, v11, v10 :: v_dual_cndmask_b32 v10, v12, v13
.LBB169_28:                             ;   in Loop: Header=BB169_5 Depth=1
	s_or_b32 exec_lo, exec_lo, s5
.LBB169_29:                             ;   in Loop: Header=BB169_5 Depth=1
	s_delay_alu instid0(SALU_CYCLE_1)
	s_or_b32 exec_lo, exec_lo, s4
.LBB169_30:                             ;   in Loop: Header=BB169_5 Depth=1
	s_and_not1_saveexec_b32 s4, s21
	s_cbranch_execz .LBB169_32
; %bb.31:                               ;   in Loop: Header=BB169_5 Depth=1
	v_div_scale_f32 v9, null, 0x402df854, 0x402df854, v5
	v_div_scale_f32 v10, null, 0x402df854, 0x402df854, v6
	v_div_scale_f32 v15, vcc_lo, v5, 0x402df854, v5
	s_delay_alu instid0(VALU_DEP_3) | instskip(NEXT) | instid1(VALU_DEP_2)
	v_rcp_f32_e32 v11, v9
	v_rcp_f32_e32 v12, v10
	v_cmp_class_f32_e64 s5, v6, 0x204
	s_waitcnt_depctr 0xfff
	v_fma_f32 v13, -v9, v11, 1.0
	v_fma_f32 v14, -v10, v12, 1.0
	s_delay_alu instid0(VALU_DEP_1) | instskip(SKIP_1) | instid1(VALU_DEP_2)
	v_dual_fmac_f32 v11, v13, v11 :: v_dual_fmac_f32 v12, v14, v12
	v_div_scale_f32 v13, s3, v6, 0x402df854, v6
	v_mul_f32_e32 v14, v15, v11
	s_delay_alu instid0(VALU_DEP_1) | instskip(NEXT) | instid1(VALU_DEP_1)
	v_fma_f32 v22, -v9, v14, v15
	v_fmac_f32_e32 v14, v22, v11
	s_delay_alu instid0(VALU_DEP_1) | instskip(NEXT) | instid1(VALU_DEP_1)
	v_fma_f32 v9, -v9, v14, v15
	v_div_fmas_f32 v9, v9, v11, v14
	v_max_f32_e64 v14, |v5|, |v5|
	v_mul_f32_e32 v16, v13, v12
	s_mov_b32 vcc_lo, s3
	v_cmp_class_f32_e64 s3, v5, 0x204
	v_div_fixup_f32 v11, v9, 0x402df854, v5
	s_delay_alu instid0(VALU_DEP_3) | instskip(NEXT) | instid1(VALU_DEP_1)
	v_fma_f32 v23, -v10, v16, v13
	v_fmac_f32_e32 v16, v23, v12
	s_delay_alu instid0(VALU_DEP_1) | instskip(NEXT) | instid1(VALU_DEP_1)
	v_fma_f32 v10, -v10, v16, v13
	v_div_fmas_f32 v10, v10, v12, v16
	s_delay_alu instid0(VALU_DEP_1) | instskip(NEXT) | instid1(VALU_DEP_1)
	v_div_fixup_f32 v12, v10, 0x402df854, v6
	v_max_f32_e64 v13, |v11|, |v12|
	s_delay_alu instid0(VALU_DEP_1) | instskip(SKIP_1) | instid1(VALU_DEP_2)
	v_cvt_f64_f32_e32 v[9:10], v13
	v_cmp_neq_f32_e32 vcc_lo, 0x7f800000, v13
	v_frexp_exp_i32_f64_e32 v9, v[9:10]
	v_max_f32_e64 v10, |v6|, |v6|
	s_delay_alu instid0(VALU_DEP_1) | instskip(SKIP_1) | instid1(VALU_DEP_2)
	v_max_f32_e32 v15, v14, v10
	v_min_f32_e32 v10, v14, v10
	v_frexp_mant_f32_e32 v16, v15
	v_frexp_exp_i32_f32_e32 v15, v15
	s_delay_alu instid0(VALU_DEP_3) | instskip(SKIP_1) | instid1(VALU_DEP_4)
	v_frexp_exp_i32_f32_e32 v22, v10
	v_frexp_mant_f32_e32 v10, v10
	v_rcp_f32_e32 v14, v16
	s_delay_alu instid0(VALU_DEP_2) | instskip(SKIP_1) | instid1(VALU_DEP_1)
	v_sub_nc_u32_e32 v15, v22, v15
	v_sub_nc_u32_e32 v16, 0, v9
	v_ldexp_f32 v12, |v12|, v16
	v_ldexp_f32 v11, |v11|, v16
	s_delay_alu instid0(VALU_DEP_2) | instskip(NEXT) | instid1(VALU_DEP_1)
	v_mul_f32_e32 v12, v12, v12
	v_fmac_f32_e32 v12, v11, v11
	s_delay_alu instid0(VALU_DEP_1) | instskip(SKIP_2) | instid1(VALU_DEP_1)
	v_sqrt_f32_e32 v12, v12
	s_waitcnt_depctr 0xfff
	v_ldexp_f32 v9, v12, v9
	v_cndmask_b32_e32 v9, 0x7f800000, v9, vcc_lo
	s_delay_alu instid0(VALU_DEP_1) | instskip(SKIP_1) | instid1(VALU_DEP_1)
	v_cmp_gt_f32_e32 vcc_lo, 0x800000, v9
	v_cndmask_b32_e64 v13, 1.0, 0x4f800000, vcc_lo
	v_mul_f32_e32 v9, v9, v13
	s_delay_alu instid0(VALU_DEP_1) | instskip(SKIP_1) | instid1(VALU_DEP_1)
	v_log_f32_e32 v9, v9
	v_mul_f32_e32 v10, v10, v14
	v_ldexp_f32 v10, v10, v15
	s_delay_alu instid0(VALU_DEP_1) | instskip(NEXT) | instid1(VALU_DEP_1)
	v_mul_f32_e32 v11, v10, v10
	v_fmaak_f32 v14, s16, v11, 0xbc7a590c
	s_delay_alu instid0(VALU_DEP_1) | instskip(NEXT) | instid1(VALU_DEP_1)
	v_fmaak_f32 v14, v11, v14, 0x3d29fb3f
	v_fmaak_f32 v12, v11, v14, 0xbd97d4d7
	v_cndmask_b32_e64 v14, 0, 0x41b17218, vcc_lo
	s_delay_alu instid0(TRANS32_DEP_1) | instskip(NEXT) | instid1(VALU_DEP_3)
	v_cmp_gt_f32_e64 vcc_lo, 0x7f800000, |v9|
	v_fmaak_f32 v12, v11, v12, 0x3dd931b2
	s_delay_alu instid0(VALU_DEP_1) | instskip(NEXT) | instid1(VALU_DEP_1)
	v_fmaak_f32 v12, v11, v12, 0xbe1160e6
	v_fmaak_f32 v12, v11, v12, 0x3e4cb8bf
	s_delay_alu instid0(VALU_DEP_1) | instskip(NEXT) | instid1(VALU_DEP_1)
	v_fmaak_f32 v12, v11, v12, 0xbeaaaa62
	v_dual_mul_f32 v11, v11, v12 :: v_dual_mul_f32 v12, 0x3f317217, v9
	s_delay_alu instid0(VALU_DEP_1) | instskip(NEXT) | instid1(VALU_DEP_2)
	v_fmac_f32_e32 v10, v10, v11
	v_fma_f32 v11, 0x3f317217, v9, -v12
	s_delay_alu instid0(VALU_DEP_2) | instskip(NEXT) | instid1(VALU_DEP_2)
	v_sub_f32_e32 v13, 0x3fc90fdb, v10
	v_fmac_f32_e32 v11, 0x3377d1cf, v9
	s_delay_alu instid0(VALU_DEP_2) | instskip(SKIP_1) | instid1(VALU_DEP_2)
	v_cndmask_b32_e64 v10, v10, v13, s2
	v_cmp_gt_i32_e64 s2, 0, v5
	v_dual_add_f32 v11, v12, v11 :: v_dual_sub_f32 v12, 0x40490fdb, v10
	s_delay_alu instid0(VALU_DEP_2) | instskip(NEXT) | instid1(VALU_DEP_2)
	v_cndmask_b32_e64 v13, 0, 0x40490fdb, s2
	v_cndmask_b32_e32 v9, v9, v11, vcc_lo
	v_cmp_gt_f32_e64 s2, 0, v5
	v_cmp_eq_f32_e32 vcc_lo, 0, v6
	s_delay_alu instid0(VALU_DEP_3) | instskip(NEXT) | instid1(VALU_DEP_3)
	v_sub_f32_e32 v9, v9, v14
	v_cndmask_b32_e64 v10, v10, v12, s2
	v_cndmask_b32_e64 v11, 0x3f490fdb, v21, s2
	s_delay_alu instid0(VALU_DEP_3) | instskip(NEXT) | instid1(VALU_DEP_3)
	v_add_f32_e32 v9, 1.0, v9
	v_cndmask_b32_e32 v10, v10, v13, vcc_lo
	s_and_b32 vcc_lo, s3, s5
	s_delay_alu instid0(VALU_DEP_1)
	v_cndmask_b32_e32 v10, v10, v11, vcc_lo
.LBB169_32:                             ;   in Loop: Header=BB169_5 Depth=1
	s_or_b32 exec_lo, exec_lo, s4
.LBB169_33:                             ;   in Loop: Header=BB169_5 Depth=1
	s_and_not1_saveexec_b32 s2, s17
	s_cbranch_execz .LBB169_39
; %bb.34:                               ;   in Loop: Header=BB169_5 Depth=1
	v_cmp_ngt_f32_e64 s3, 0x20000000, |v5|
	v_cmp_ngt_f32_e64 s4, 0x20000000, |v6|
                                        ; implicit-def: $vgpr9
	s_delay_alu instid0(VALU_DEP_1) | instskip(NEXT) | instid1(SALU_CYCLE_1)
	s_or_b32 s3, s3, s4
	s_and_saveexec_b32 s4, s3
	s_delay_alu instid0(SALU_CYCLE_1)
	s_xor_b32 s3, exec_lo, s4
; %bb.35:                               ;   in Loop: Header=BB169_5 Depth=1
	v_mul_f32_e32 v9, v6, v6
	s_delay_alu instid0(VALU_DEP_1)
	v_fmac_f32_e32 v9, v5, v5
; %bb.36:                               ;   in Loop: Header=BB169_5 Depth=1
	s_and_not1_saveexec_b32 s3, s3
; %bb.37:                               ;   in Loop: Header=BB169_5 Depth=1
	v_mul_f32_e32 v9, 4.0, v6
	v_mul_f32_e32 v5, 4.0, v5
	s_delay_alu instid0(VALU_DEP_2) | instskip(NEXT) | instid1(VALU_DEP_1)
	v_mul_f32_e32 v9, v9, v9
	v_fmac_f32_e32 v9, v5, v5
	s_delay_alu instid0(VALU_DEP_1)
	v_mul_f32_e32 v9, 0x3d800000, v9
; %bb.38:                               ;   in Loop: Header=BB169_5 Depth=1
	s_or_b32 exec_lo, exec_lo, s3
	s_delay_alu instid0(VALU_DEP_1) | instskip(SKIP_1) | instid1(VALU_DEP_1)
	v_cmp_gt_f32_e32 vcc_lo, 0x800000, v9
	v_cndmask_b32_e64 v5, 1.0, 0x4f800000, vcc_lo
	v_mul_f32_e32 v5, v9, v5
	s_delay_alu instid0(VALU_DEP_1) | instskip(SKIP_2) | instid1(VALU_DEP_1)
	v_log_f32_e32 v5, v5
	s_waitcnt_depctr 0xfff
	v_mul_f32_e32 v9, 0x3f317217, v5
	v_fma_f32 v10, 0x3f317217, v5, -v9
	s_delay_alu instid0(VALU_DEP_1) | instskip(NEXT) | instid1(VALU_DEP_1)
	v_fmac_f32_e32 v10, 0x3377d1cf, v5
	v_add_f32_e32 v9, v9, v10
	v_cndmask_b32_e64 v10, 0, 0x41b17218, vcc_lo
	v_cmp_gt_f32_e64 vcc_lo, 0x7f800000, |v5|
	s_delay_alu instid0(VALU_DEP_3) | instskip(NEXT) | instid1(VALU_DEP_1)
	v_cndmask_b32_e32 v5, v5, v9, vcc_lo
	v_dual_sub_f32 v9, v5, v10 :: v_dual_mov_b32 v10, 0x7fc00000
.LBB169_39:                             ;   in Loop: Header=BB169_5 Depth=1
	s_or_b32 exec_lo, exec_lo, s2
                                        ; implicit-def: $vgpr5
	s_delay_alu instid0(SALU_CYCLE_1)
	s_mov_b32 s2, exec_lo
	v_cmpx_o_f32_e32 v8, v7
	s_xor_b32 s17, exec_lo, s2
	s_cbranch_execz .LBB169_67
; %bb.40:                               ;   in Loop: Header=BB169_5 Depth=1
	v_cmp_lt_f32_e64 s2, |v7|, |v8|
                                        ; implicit-def: $vgpr5
	s_mov_b32 s3, exec_lo
	s_delay_alu instid0(VALU_DEP_1) | instskip(NEXT) | instid1(VALU_DEP_1)
	v_cndmask_b32_e64 v12, |v8|, |v7|, s2
	v_cmpx_nlt_f32_e32 0x77f684df, v12
	s_xor_b32 s21, exec_lo, s3
	s_cbranch_execz .LBB169_64
; %bb.41:                               ;   in Loop: Header=BB169_5 Depth=1
	v_and_b32_e32 v5, 0x7fffffff, v8
	s_mov_b32 s3, exec_lo
	s_delay_alu instid0(VALU_DEP_1) | instskip(NEXT) | instid1(VALU_DEP_1)
	v_cndmask_b32_e64 v13, |v7|, v5, s2
                                        ; implicit-def: $vgpr5
	v_cmpx_neq_f32_e32 1.0, v13
	s_xor_b32 s22, exec_lo, s3
	s_cbranch_execz .LBB169_57
; %bb.42:                               ;   in Loop: Header=BB169_5 Depth=1
	v_max_f32_e32 v5, v12, v12
	v_max_f32_e32 v11, v13, v13
	s_delay_alu instid0(VALU_DEP_1) | instskip(SKIP_1) | instid1(VALU_DEP_2)
	v_min_f32_e32 v14, v11, v5
	v_max_f32_e32 v5, v11, v5
	v_cmp_ngt_f32_e32 vcc_lo, 0x358637bd, v14
	s_delay_alu instid0(VALU_DEP_2) | instskip(NEXT) | instid1(VALU_DEP_1)
	v_cmp_nlt_f32_e64 s3, 0x49742400, v5
                                        ; implicit-def: $vgpr5
	s_and_b32 s3, s3, vcc_lo
	s_delay_alu instid0(SALU_CYCLE_1) | instskip(NEXT) | instid1(SALU_CYCLE_1)
	s_and_saveexec_b32 s4, s3
	s_xor_b32 s23, exec_lo, s4
	s_cbranch_execz .LBB169_54
; %bb.43:                               ;   in Loop: Header=BB169_5 Depth=1
                                        ; implicit-def: $vgpr5
	s_mov_b32 s3, exec_lo
	v_cmpx_le_f32_e32 1.0, v13
	s_xor_b32 s4, exec_lo, s3
	s_cbranch_execz .LBB169_45
; %bb.44:                               ;   in Loop: Header=BB169_5 Depth=1
	v_add_f32_e32 v5, -1.0, v13
	v_add_f32_e32 v11, 1.0, v13
	v_cmp_class_f32_e64 s5, v7, 0x204
	s_delay_alu instid0(VALU_DEP_2) | instskip(NEXT) | instid1(VALU_DEP_1)
	v_mul_f32_e32 v5, v5, v11
	v_fmac_f32_e32 v5, v12, v12
	s_delay_alu instid0(VALU_DEP_1) | instskip(NEXT) | instid1(VALU_DEP_1)
	v_add_f32_e32 v13, 1.0, v5
	v_cvt_f64_f32_e32 v[11:12], v13
	s_delay_alu instid0(VALU_DEP_1) | instskip(SKIP_1) | instid1(VALU_DEP_1)
	v_frexp_exp_i32_f64_e32 v11, v[11:12]
	v_frexp_mant_f32_e32 v12, v13
	v_cmp_gt_f32_e32 vcc_lo, 0x3f2aaaab, v12
	v_add_f32_e32 v12, -1.0, v13
	s_delay_alu instid0(VALU_DEP_1) | instskip(SKIP_1) | instid1(VALU_DEP_1)
	v_sub_f32_e32 v15, v12, v13
	v_subrev_co_ci_u32_e32 v11, vcc_lo, 0, v11, vcc_lo
	v_sub_nc_u32_e32 v14, 0, v11
	v_cvt_f32_i32_e32 v11, v11
	s_delay_alu instid0(VALU_DEP_2) | instskip(NEXT) | instid1(VALU_DEP_1)
	v_ldexp_f32 v13, v13, v14
	v_dual_add_f32 v15, 1.0, v15 :: v_dual_add_f32 v16, 1.0, v13
	v_sub_f32_e32 v12, v5, v12
	v_cmp_eq_f32_e32 vcc_lo, 0x7f800000, v5
	v_cmp_neq_f32_e64 s3, -1.0, v5
	s_delay_alu instid0(VALU_DEP_3) | instskip(NEXT) | instid1(VALU_DEP_1)
	v_add_f32_e32 v12, v12, v15
	v_ldexp_f32 v12, v12, v14
	v_dual_add_f32 v14, -1.0, v13 :: v_dual_add_f32 v15, -1.0, v16
	s_delay_alu instid0(VALU_DEP_1) | instskip(NEXT) | instid1(VALU_DEP_1)
	v_dual_add_f32 v22, 1.0, v14 :: v_dual_sub_f32 v15, v13, v15
	v_add_f32_e32 v15, v12, v15
	s_delay_alu instid0(VALU_DEP_1) | instskip(NEXT) | instid1(VALU_DEP_1)
	v_dual_sub_f32 v13, v13, v22 :: v_dual_add_f32 v22, v16, v15
	v_add_f32_e32 v12, v12, v13
	s_delay_alu instid0(VALU_DEP_2) | instskip(SKIP_1) | instid1(VALU_DEP_1)
	v_rcp_f32_e32 v13, v22
	v_sub_f32_e32 v16, v22, v16
	v_sub_f32_e32 v15, v15, v16
	s_delay_alu instid0(VALU_DEP_3) | instskip(SKIP_2) | instid1(VALU_DEP_1)
	v_add_f32_e32 v23, v14, v12
	s_waitcnt_depctr 0xfff
	v_mul_f32_e32 v24, v23, v13
	v_mul_f32_e32 v25, v22, v24
	s_delay_alu instid0(VALU_DEP_1) | instskip(NEXT) | instid1(VALU_DEP_1)
	v_fma_f32 v16, v24, v22, -v25
	v_fmac_f32_e32 v16, v24, v15
	v_sub_f32_e32 v14, v23, v14
	s_delay_alu instid0(VALU_DEP_2) | instskip(NEXT) | instid1(VALU_DEP_2)
	v_add_f32_e32 v26, v25, v16
	v_sub_f32_e32 v12, v12, v14
	s_delay_alu instid0(VALU_DEP_2) | instskip(NEXT) | instid1(VALU_DEP_1)
	v_dual_sub_f32 v27, v23, v26 :: v_dual_sub_f32 v14, v26, v25
	v_dual_sub_f32 v23, v23, v27 :: v_dual_sub_f32 v14, v14, v16
	s_delay_alu instid0(VALU_DEP_1) | instskip(NEXT) | instid1(VALU_DEP_1)
	v_sub_f32_e32 v23, v23, v26
	v_add_f32_e32 v12, v12, v23
	s_delay_alu instid0(VALU_DEP_1) | instskip(NEXT) | instid1(VALU_DEP_1)
	v_add_f32_e32 v12, v14, v12
	v_add_f32_e32 v14, v27, v12
	s_delay_alu instid0(VALU_DEP_1) | instskip(NEXT) | instid1(VALU_DEP_1)
	v_mul_f32_e32 v16, v13, v14
	v_dual_sub_f32 v26, v27, v14 :: v_dual_mul_f32 v23, v22, v16
	s_delay_alu instid0(VALU_DEP_1) | instskip(NEXT) | instid1(VALU_DEP_1)
	v_fma_f32 v22, v16, v22, -v23
	v_fmac_f32_e32 v22, v16, v15
	s_delay_alu instid0(VALU_DEP_1) | instskip(NEXT) | instid1(VALU_DEP_1)
	v_add_f32_e32 v15, v23, v22
	v_sub_f32_e32 v25, v14, v15
	s_delay_alu instid0(VALU_DEP_1) | instskip(SKIP_1) | instid1(VALU_DEP_1)
	v_sub_f32_e32 v14, v14, v25
	v_dual_add_f32 v12, v12, v26 :: v_dual_sub_f32 v23, v15, v23
	v_dual_sub_f32 v14, v14, v15 :: v_dual_sub_f32 v15, v23, v22
	v_max_f32_e64 v22, |v8|, |v8|
	s_delay_alu instid0(VALU_DEP_2) | instskip(SKIP_1) | instid1(VALU_DEP_2)
	v_add_f32_e32 v12, v12, v14
	v_add_f32_e32 v14, v24, v16
	;; [unrolled: 1-line block ×3, first 2 shown]
	s_delay_alu instid0(VALU_DEP_2) | instskip(NEXT) | instid1(VALU_DEP_1)
	v_sub_f32_e32 v15, v14, v24
	v_dual_add_f32 v12, v25, v12 :: v_dual_sub_f32 v15, v16, v15
	s_delay_alu instid0(VALU_DEP_1) | instskip(NEXT) | instid1(VALU_DEP_1)
	v_dual_mul_f32 v25, 0x3f317218, v11 :: v_dual_mul_f32 v12, v13, v12
	v_fma_f32 v26, 0x3f317218, v11, -v25
	s_delay_alu instid0(VALU_DEP_2) | instskip(NEXT) | instid1(VALU_DEP_1)
	v_add_f32_e32 v12, v15, v12
	v_dual_fmac_f32 v26, 0xb102e308, v11 :: v_dual_add_f32 v13, v14, v12
	s_delay_alu instid0(VALU_DEP_1) | instskip(SKIP_1) | instid1(VALU_DEP_2)
	v_mul_f32_e32 v15, v13, v13
	v_ldexp_f32 v24, v13, 1
	v_fmaak_f32 v16, s14, v15, 0x3ecc95a3
	v_mul_f32_e32 v23, v13, v15
	v_sub_f32_e32 v13, v13, v14
	s_delay_alu instid0(VALU_DEP_3) | instskip(SKIP_1) | instid1(VALU_DEP_2)
	v_fmaak_f32 v15, v15, v16, 0x3f2aaada
	v_max_f32_e64 v16, |v7|, |v7|
	v_dual_sub_f32 v12, v12, v13 :: v_dual_mul_f32 v15, v23, v15
	s_delay_alu instid0(VALU_DEP_2) | instskip(SKIP_1) | instid1(VALU_DEP_3)
	v_max_f32_e32 v23, v16, v22
	v_min_f32_e32 v16, v16, v22
	v_ldexp_f32 v12, v12, 1
	s_delay_alu instid0(VALU_DEP_4) | instskip(NEXT) | instid1(VALU_DEP_4)
	v_add_f32_e32 v14, v24, v15
	v_frexp_mant_f32_e32 v22, v23
	v_frexp_exp_i32_f32_e32 v23, v23
	s_delay_alu instid0(VALU_DEP_3) | instskip(NEXT) | instid1(VALU_DEP_3)
	v_sub_f32_e32 v13, v14, v24
	v_rcp_f32_e32 v22, v22
	v_frexp_exp_i32_f32_e32 v24, v16
	s_delay_alu instid0(VALU_DEP_2) | instskip(SKIP_1) | instid1(VALU_DEP_3)
	v_sub_f32_e32 v13, v15, v13
	v_frexp_mant_f32_e32 v15, v16
	v_sub_nc_u32_e32 v16, v24, v23
	s_waitcnt_depctr 0xfff
	v_dual_add_f32 v11, v12, v13 :: v_dual_mul_f32 v12, v15, v22
	v_add_f32_e32 v13, v25, v26
	s_delay_alu instid0(VALU_DEP_2) | instskip(NEXT) | instid1(VALU_DEP_3)
	v_add_f32_e32 v15, v14, v11
	v_ldexp_f32 v12, v12, v16
	s_delay_alu instid0(VALU_DEP_3) | instskip(NEXT) | instid1(VALU_DEP_3)
	v_sub_f32_e32 v25, v13, v25
	v_add_f32_e32 v16, v13, v15
	s_delay_alu instid0(VALU_DEP_2) | instskip(NEXT) | instid1(VALU_DEP_1)
	v_dual_mul_f32 v22, v12, v12 :: v_dual_sub_f32 v25, v26, v25
	v_dual_sub_f32 v23, v16, v13 :: v_dual_fmaak_f32 v24, s16, v22, 0xbc7a590c
	s_delay_alu instid0(VALU_DEP_1) | instskip(NEXT) | instid1(VALU_DEP_1)
	v_dual_sub_f32 v14, v15, v14 :: v_dual_sub_f32 v27, v16, v23
	v_dual_fmaak_f32 v24, v22, v24, 0x3d29fb3f :: v_dual_sub_f32 v11, v11, v14
	v_sub_f32_e32 v14, v15, v23
	s_delay_alu instid0(VALU_DEP_3) | instskip(NEXT) | instid1(VALU_DEP_3)
	v_sub_f32_e32 v13, v13, v27
	v_fmaak_f32 v15, v22, v24, 0xbd97d4d7
	s_delay_alu instid0(VALU_DEP_4) | instskip(NEXT) | instid1(VALU_DEP_3)
	v_add_f32_e32 v23, v25, v11
	v_add_f32_e32 v13, v14, v13
	s_delay_alu instid0(VALU_DEP_1) | instskip(NEXT) | instid1(VALU_DEP_1)
	v_add_f32_e32 v13, v23, v13
	v_add_f32_e32 v24, v16, v13
	v_dual_fmaak_f32 v14, v22, v15, 0x3dd931b2 :: v_dual_sub_f32 v15, v23, v25
	s_delay_alu instid0(VALU_DEP_2) | instskip(NEXT) | instid1(VALU_DEP_2)
	v_sub_f32_e32 v16, v24, v16
	v_fmaak_f32 v14, v22, v14, 0xbe1160e6
	s_delay_alu instid0(VALU_DEP_1) | instskip(NEXT) | instid1(VALU_DEP_1)
	v_dual_fmaak_f32 v14, v22, v14, 0x3e4cb8bf :: v_dual_sub_f32 v23, v23, v15
	v_dual_sub_f32 v13, v13, v16 :: v_dual_fmaak_f32 v14, v22, v14, 0xbeaaaa62
	s_delay_alu instid0(VALU_DEP_1) | instskip(NEXT) | instid1(VALU_DEP_1)
	v_dual_sub_f32 v11, v11, v15 :: v_dual_mul_f32 v14, v22, v14
	v_dual_sub_f32 v15, v25, v23 :: v_dual_fmac_f32 v12, v12, v14
	s_delay_alu instid0(VALU_DEP_1) | instskip(NEXT) | instid1(VALU_DEP_1)
	v_add_f32_e32 v11, v11, v15
	v_add_f32_e32 v11, v11, v13
	s_delay_alu instid0(VALU_DEP_3) | instskip(NEXT) | instid1(VALU_DEP_2)
	v_sub_f32_e32 v13, 0x3fc90fdb, v12
	v_add_f32_e32 v11, v24, v11
	s_delay_alu instid0(VALU_DEP_2) | instskip(NEXT) | instid1(VALU_DEP_2)
	v_cndmask_b32_e64 v12, v12, v13, s2
	v_cndmask_b32_e32 v11, v11, v5, vcc_lo
	v_cmp_gt_i32_e32 vcc_lo, 0, v7
	s_delay_alu instid0(VALU_DEP_3) | instskip(SKIP_4) | instid1(VALU_DEP_2)
	v_sub_f32_e32 v14, 0x40490fdb, v12
	v_cndmask_b32_e64 v13, 0, 0x40490fdb, vcc_lo
	v_cmp_ngt_f32_e32 vcc_lo, -1.0, v5
	v_cndmask_b32_e32 v11, 0x7fc00000, v11, vcc_lo
	v_cmp_gt_f32_e32 vcc_lo, 0, v7
	v_cndmask_b32_e64 v11, 0xff800000, v11, s3
	v_cndmask_b32_e32 v12, v12, v14, vcc_lo
	v_cndmask_b32_e32 v14, 0x3f490fdb, v21, vcc_lo
	v_cmp_gt_f32_e64 vcc_lo, 0x33800000, |v5|
	v_cmp_class_f32_e64 s3, v8, 0x204
	v_cndmask_b32_e32 v5, v11, v5, vcc_lo
	v_cmp_eq_f32_e32 vcc_lo, 0, v8
	s_delay_alu instid0(VALU_DEP_2) | instskip(SKIP_2) | instid1(VALU_DEP_1)
	v_mul_f32_e32 v11, 0.5, v5
	v_cndmask_b32_e32 v12, v12, v13, vcc_lo
	s_and_b32 vcc_lo, s5, s3
                                        ; implicit-def: $vgpr13
	v_cndmask_b32_e32 v5, v12, v14, vcc_lo
                                        ; implicit-def: $vgpr12
.LBB169_45:                             ;   in Loop: Header=BB169_5 Depth=1
	s_and_not1_saveexec_b32 s24, s4
	s_cbranch_execz .LBB169_53
; %bb.46:                               ;   in Loop: Header=BB169_5 Depth=1
	v_mul_f32_e32 v11, v12, v12
                                        ; implicit-def: $vgpr5
	s_mov_b32 s3, exec_lo
	s_delay_alu instid0(VALU_DEP_1) | instskip(NEXT) | instid1(VALU_DEP_1)
	v_fmac_f32_e32 v11, v13, v13
	v_cmpx_ge_f32_e32 0x3f333333, v11
	s_xor_b32 s4, exec_lo, s3
	s_cbranch_execz .LBB169_48
; %bb.47:                               ;   in Loop: Header=BB169_5 Depth=1
	v_max_f32_e64 v5, |v8|, |v8|
	v_max_f32_e64 v12, |v7|, |v7|
	v_cmp_gt_f32_e32 vcc_lo, 0x800000, v11
	v_cmp_gt_i32_e64 s3, 0, v7
	v_cmp_class_f32_e64 s5, v7, 0x204
	v_cmp_class_f32_e64 s6, v8, 0x204
	v_max_f32_e32 v13, v12, v5
	v_min_f32_e32 v5, v12, v5
	v_cndmask_b32_e64 v15, 0, 0x41b17218, vcc_lo
	s_delay_alu instid0(VALU_DEP_3) | instskip(SKIP_1) | instid1(VALU_DEP_2)
	v_frexp_mant_f32_e32 v14, v13
	v_frexp_exp_i32_f32_e32 v13, v13
	v_rcp_f32_e32 v12, v14
	v_frexp_exp_i32_f32_e32 v14, v5
	v_frexp_mant_f32_e32 v5, v5
	s_delay_alu instid0(VALU_DEP_2) | instskip(SKIP_4) | instid1(VALU_DEP_2)
	v_sub_nc_u32_e32 v13, v14, v13
	v_cndmask_b32_e64 v14, 1.0, 0x4f800000, vcc_lo
	s_waitcnt_depctr 0xfff
	v_mul_f32_e32 v5, v5, v12
	v_mul_f32_e32 v11, v11, v14
	v_ldexp_f32 v5, v5, v13
	s_delay_alu instid0(VALU_DEP_2) | instskip(NEXT) | instid1(VALU_DEP_1)
	v_log_f32_e32 v11, v11
	v_mul_f32_e32 v12, v5, v5
	s_delay_alu instid0(VALU_DEP_1) | instskip(SKIP_3) | instid1(VALU_DEP_1)
	v_fmaak_f32 v13, s16, v12, 0xbc7a590c
	s_waitcnt_depctr 0xfff
	v_cmp_gt_f32_e64 vcc_lo, 0x7f800000, |v11|
	v_fmaak_f32 v13, v12, v13, 0x3d29fb3f
	v_fmaak_f32 v13, v12, v13, 0xbd97d4d7
	s_delay_alu instid0(VALU_DEP_1) | instskip(NEXT) | instid1(VALU_DEP_1)
	v_fmaak_f32 v13, v12, v13, 0x3dd931b2
	v_fmaak_f32 v13, v12, v13, 0xbe1160e6
	s_delay_alu instid0(VALU_DEP_1) | instskip(NEXT) | instid1(VALU_DEP_1)
	;; [unrolled: 3-line block ×3, first 2 shown]
	v_dual_mul_f32 v12, v12, v13 :: v_dual_mul_f32 v13, 0x3f317217, v11
	v_fmac_f32_e32 v5, v5, v12
	s_delay_alu instid0(VALU_DEP_2) | instskip(NEXT) | instid1(VALU_DEP_1)
	v_fma_f32 v12, 0x3f317217, v11, -v13
	v_fmac_f32_e32 v12, 0x3377d1cf, v11
	s_delay_alu instid0(VALU_DEP_1) | instskip(SKIP_2) | instid1(VALU_DEP_3)
	v_add_f32_e32 v12, v13, v12
	v_cndmask_b32_e64 v13, 0, 0x40490fdb, s3
	v_cmp_eq_f32_e64 s3, 0, v8
	v_cndmask_b32_e32 v11, v11, v12, vcc_lo
	v_cmp_gt_f32_e32 vcc_lo, 0, v7
	s_delay_alu instid0(VALU_DEP_2) | instskip(NEXT) | instid1(VALU_DEP_1)
	v_dual_sub_f32 v11, v11, v15 :: v_dual_cndmask_b32 v12, 0x3f490fdb, v21
	v_dual_sub_f32 v14, 0x3fc90fdb, v5 :: v_dual_mul_f32 v11, 0.5, v11
	s_delay_alu instid0(VALU_DEP_1) | instskip(NEXT) | instid1(VALU_DEP_1)
	v_cndmask_b32_e64 v5, v5, v14, s2
	v_sub_f32_e32 v14, 0x40490fdb, v5
	s_delay_alu instid0(VALU_DEP_1) | instskip(SKIP_1) | instid1(VALU_DEP_1)
	v_cndmask_b32_e32 v5, v5, v14, vcc_lo
	s_and_b32 vcc_lo, s5, s6
	v_cndmask_b32_e64 v5, v5, v13, s3
                                        ; implicit-def: $vgpr13
	s_delay_alu instid0(VALU_DEP_1)
	v_cndmask_b32_e32 v5, v5, v12, vcc_lo
                                        ; implicit-def: $vgpr12
.LBB169_48:                             ;   in Loop: Header=BB169_5 Depth=1
	s_and_not1_saveexec_b32 s25, s4
	s_cbranch_execz .LBB169_52
; %bb.49:                               ;   in Loop: Header=BB169_5 Depth=1
	v_and_b32_e32 v14, 0x7fff0000, v12
	v_and_b32_e32 v11, 0x7fff0000, v13
	s_mov_b32 s26, 0
	s_delay_alu instid0(VALU_DEP_1) | instskip(SKIP_2) | instid1(VALU_DEP_3)
	v_dual_add_f32 v26, v14, v14 :: v_dual_sub_f32 v13, v13, v11
	v_sub_f32_e32 v15, v12, v14
	v_dual_mul_f32 v5, v11, v11 :: v_dual_mul_f32 v12, v14, v14
	v_dual_add_f32 v23, v11, v11 :: v_dual_and_b32 v16, 0xffff0000, v13
	s_delay_alu instid0(VALU_DEP_1) | instskip(NEXT) | instid1(VALU_DEP_2)
	v_sub_f32_e32 v14, v13, v16
	v_dual_mul_f32 v25, v23, v16 :: v_dual_and_b32 v22, 0xffff0000, v15
	s_delay_alu instid0(VALU_DEP_1) | instskip(SKIP_3) | instid1(VALU_DEP_3)
	v_dual_mul_f32 v13, v16, v16 :: v_dual_add_f32 v28, v22, v22
	v_sub_f32_e32 v27, v15, v22
	v_dual_add_f32 v15, v16, v16 :: v_dual_mul_f32 v24, v22, v22
	v_mul_f32_e32 v11, v26, v22
	v_dual_mul_f32 v16, v23, v14 :: v_dual_mul_f32 v23, v26, v27
	s_delay_alu instid0(VALU_DEP_3)
	v_dual_mul_f32 v22, v15, v14 :: v_dual_mul_f32 v15, v28, v27
	v_mul_f32_e32 v14, v14, v14
	v_mul_f32_e32 v26, v27, v27
.LBB169_50:                             ;   Parent Loop BB169_5 Depth=1
                                        ; =>  This Inner Loop Header: Depth=2
	v_cmp_nlt_f32_e32 vcc_lo, v5, v12
	s_delay_alu instid0(VALU_DEP_2) | instskip(SKIP_1) | instid1(VALU_DEP_2)
	v_dual_mov_b32 v28, v26 :: v_dual_cndmask_b32 v27, v5, v12
	v_cndmask_b32_e32 v5, v12, v5, vcc_lo
	v_cmp_nlt_f32_e64 s3, v27, v25
	s_delay_alu instid0(VALU_DEP_1) | instskip(SKIP_2) | instid1(VALU_DEP_2)
	v_cndmask_b32_e64 v26, v27, v25, s3
	v_cndmask_b32_e64 v12, v25, v27, s3
	s_and_b32 s27, vcc_lo, s3
	v_cmp_nlt_f32_e64 s4, v26, v11
	s_delay_alu instid0(VALU_DEP_1) | instskip(SKIP_1) | instid1(VALU_DEP_2)
	v_cndmask_b32_e64 v29, v26, v11, s4
	v_cndmask_b32_e64 v25, v11, v26, s4
	v_cmp_nlt_f32_e64 s5, v29, v13
	s_delay_alu instid0(VALU_DEP_1) | instskip(SKIP_2) | instid1(VALU_DEP_2)
	v_cndmask_b32_e64 v27, v29, v13, s5
	v_cndmask_b32_e64 v11, v13, v29, s5
	s_and_b32 s28, s4, s5
	v_cmp_nlt_f32_e64 s6, v27, v24
	s_delay_alu instid0(VALU_DEP_1) | instskip(SKIP_1) | instid1(VALU_DEP_2)
	v_cndmask_b32_e64 v30, v27, v24, s6
	v_cndmask_b32_e64 v13, v24, v27, s6
	v_cmp_nlt_f32_e64 s7, v30, v16
	s_delay_alu instid0(VALU_DEP_1) | instskip(SKIP_2) | instid1(VALU_DEP_2)
	v_cndmask_b32_e64 v31, v30, v16, s7
	s_and_b32 s5, s6, s7
	v_cndmask_b32_e64 v24, v16, v30, s7
	v_cmp_nlt_f32_e64 s8, v31, v23
	s_delay_alu instid0(VALU_DEP_1) | instskip(SKIP_2) | instid1(VALU_DEP_2)
	v_cndmask_b32_e64 v32, v31, v23, s8
	s_and_b32 s5, s5, s8
	v_cndmask_b32_e64 v16, v23, v31, s8
	v_cmp_nlt_f32_e32 vcc_lo, v32, v22
	v_cndmask_b32_e32 v33, v32, v22, vcc_lo
	s_and_b32 s6, s5, vcc_lo
	v_cndmask_b32_e32 v23, v22, v32, vcc_lo
	s_delay_alu instid0(VALU_DEP_2) | instskip(NEXT) | instid1(VALU_DEP_1)
	v_cmp_nlt_f32_e64 s3, v33, v15
	v_cndmask_b32_e64 v29, v33, v15, s3
	s_and_b32 s6, s6, s3
	v_cndmask_b32_e64 v22, v15, v33, s3
	s_delay_alu instid0(VALU_DEP_2) | instskip(NEXT) | instid1(VALU_DEP_1)
	v_cmp_nlt_f32_e64 s4, v29, v14
	v_cndmask_b32_e64 v27, v29, v14, s4
	s_and_b32 s6, s6, s4
	v_cndmask_b32_e64 v15, v14, v29, s4
	s_delay_alu instid0(VALU_DEP_2) | instskip(NEXT) | instid1(VALU_DEP_1)
	v_cmp_nlt_f32_e64 s5, v27, v28
	s_and_b32 s6, s6, s5
	v_cndmask_b32_e64 v26, v27, v28, s5
	s_and_b32 s3, s6, s28
	v_cndmask_b32_e64 v14, v28, v27, s5
	s_and_b32 s3, s3, s27
	s_delay_alu instid0(SALU_CYCLE_1) | instskip(NEXT) | instid1(SALU_CYCLE_1)
	s_and_b32 s3, exec_lo, s3
	s_or_b32 s26, s3, s26
	s_delay_alu instid0(SALU_CYCLE_1)
	s_and_not1_b32 exec_lo, exec_lo, s26
	s_cbranch_execnz .LBB169_50
; %bb.51:                               ;   in Loop: Header=BB169_5 Depth=1
	s_or_b32 exec_lo, exec_lo, s26
	v_add_f32_e32 v5, -1.0, v5
	v_cmp_class_f32_e64 s4, v7, 0x204
	s_delay_alu instid0(VALU_DEP_2) | instskip(NEXT) | instid1(VALU_DEP_1)
	v_add_f32_e32 v5, v5, v12
	v_add_f32_e32 v5, v5, v25
	s_delay_alu instid0(VALU_DEP_1) | instskip(NEXT) | instid1(VALU_DEP_1)
	v_add_f32_e32 v5, v5, v11
	v_add_f32_e32 v5, v5, v13
	s_delay_alu instid0(VALU_DEP_1) | instskip(NEXT) | instid1(VALU_DEP_1)
	v_add_f32_e32 v5, v5, v24
	v_add_f32_e32 v5, v5, v16
	s_delay_alu instid0(VALU_DEP_1) | instskip(NEXT) | instid1(VALU_DEP_1)
	v_add_f32_e32 v5, v5, v23
	v_add_f32_e32 v5, v5, v22
	s_delay_alu instid0(VALU_DEP_1) | instskip(NEXT) | instid1(VALU_DEP_1)
	v_add_f32_e32 v5, v5, v15
	v_add_f32_e32 v5, v5, v14
	s_delay_alu instid0(VALU_DEP_1) | instskip(NEXT) | instid1(VALU_DEP_1)
	v_add_f32_e32 v5, v26, v5
	v_add_f32_e32 v13, 1.0, v5
	s_delay_alu instid0(VALU_DEP_1) | instskip(NEXT) | instid1(VALU_DEP_1)
	v_cvt_f64_f32_e32 v[11:12], v13
	v_frexp_exp_i32_f64_e32 v11, v[11:12]
	v_frexp_mant_f32_e32 v12, v13
	s_delay_alu instid0(VALU_DEP_1) | instskip(SKIP_1) | instid1(VALU_DEP_1)
	v_cmp_gt_f32_e32 vcc_lo, 0x3f2aaaab, v12
	v_add_f32_e32 v12, -1.0, v13
	v_dual_sub_f32 v15, v12, v13 :: v_dual_sub_f32 v12, v5, v12
	s_delay_alu instid0(VALU_DEP_1) | instskip(NEXT) | instid1(VALU_DEP_1)
	v_add_f32_e32 v15, 1.0, v15
	v_add_f32_e32 v12, v12, v15
	v_subrev_co_ci_u32_e32 v11, vcc_lo, 0, v11, vcc_lo
	s_delay_alu instid0(VALU_DEP_1) | instskip(SKIP_1) | instid1(VALU_DEP_2)
	v_sub_nc_u32_e32 v14, 0, v11
	v_cvt_f32_i32_e32 v11, v11
	v_ldexp_f32 v13, v13, v14
	v_ldexp_f32 v12, v12, v14
	s_delay_alu instid0(VALU_DEP_2) | instskip(NEXT) | instid1(VALU_DEP_1)
	v_add_f32_e32 v16, 1.0, v13
	v_dual_add_f32 v14, -1.0, v13 :: v_dual_add_f32 v15, -1.0, v16
	s_delay_alu instid0(VALU_DEP_1) | instskip(NEXT) | instid1(VALU_DEP_1)
	v_dual_add_f32 v22, 1.0, v14 :: v_dual_sub_f32 v15, v13, v15
	v_sub_f32_e32 v13, v13, v22
	s_delay_alu instid0(VALU_DEP_2) | instskip(NEXT) | instid1(VALU_DEP_2)
	v_add_f32_e32 v15, v12, v15
	v_add_f32_e32 v12, v12, v13
	s_delay_alu instid0(VALU_DEP_2) | instskip(NEXT) | instid1(VALU_DEP_1)
	v_add_f32_e32 v22, v16, v15
	v_rcp_f32_e32 v13, v22
	s_delay_alu instid0(VALU_DEP_2) | instskip(SKIP_1) | instid1(VALU_DEP_2)
	v_add_f32_e32 v23, v14, v12
	v_sub_f32_e32 v16, v22, v16
	v_sub_f32_e32 v14, v23, v14
	s_delay_alu instid0(VALU_DEP_2) | instskip(SKIP_2) | instid1(VALU_DEP_1)
	v_sub_f32_e32 v15, v15, v16
	s_waitcnt_depctr 0xfff
	v_mul_f32_e32 v24, v23, v13
	v_dual_sub_f32 v12, v12, v14 :: v_dual_mul_f32 v25, v22, v24
	s_delay_alu instid0(VALU_DEP_1) | instskip(NEXT) | instid1(VALU_DEP_1)
	v_fma_f32 v16, v24, v22, -v25
	v_fmac_f32_e32 v16, v24, v15
	s_delay_alu instid0(VALU_DEP_1) | instskip(SKIP_2) | instid1(VALU_DEP_3)
	v_add_f32_e32 v26, v25, v16
	v_cmp_eq_f32_e32 vcc_lo, 0x7f800000, v5
	v_cmp_neq_f32_e64 s3, -1.0, v5
	v_dual_sub_f32 v27, v23, v26 :: v_dual_sub_f32 v14, v26, v25
	s_delay_alu instid0(VALU_DEP_1) | instskip(NEXT) | instid1(VALU_DEP_1)
	v_dual_sub_f32 v23, v23, v27 :: v_dual_sub_f32 v14, v14, v16
	v_sub_f32_e32 v23, v23, v26
	s_delay_alu instid0(VALU_DEP_1) | instskip(NEXT) | instid1(VALU_DEP_1)
	v_add_f32_e32 v12, v12, v23
	v_add_f32_e32 v12, v14, v12
	s_delay_alu instid0(VALU_DEP_1) | instskip(NEXT) | instid1(VALU_DEP_1)
	v_add_f32_e32 v14, v27, v12
	v_mul_f32_e32 v16, v13, v14
	s_delay_alu instid0(VALU_DEP_1) | instskip(NEXT) | instid1(VALU_DEP_1)
	v_dual_sub_f32 v26, v27, v14 :: v_dual_mul_f32 v23, v22, v16
	v_add_f32_e32 v12, v12, v26
	s_delay_alu instid0(VALU_DEP_2) | instskip(NEXT) | instid1(VALU_DEP_1)
	v_fma_f32 v22, v16, v22, -v23
	v_fmac_f32_e32 v22, v16, v15
	s_delay_alu instid0(VALU_DEP_1) | instskip(NEXT) | instid1(VALU_DEP_1)
	v_add_f32_e32 v15, v23, v22
	v_sub_f32_e32 v25, v14, v15
	s_delay_alu instid0(VALU_DEP_1) | instskip(NEXT) | instid1(VALU_DEP_1)
	v_dual_sub_f32 v23, v15, v23 :: v_dual_sub_f32 v14, v14, v25
	v_dual_sub_f32 v14, v14, v15 :: v_dual_sub_f32 v15, v23, v22
	v_max_f32_e64 v22, |v8|, |v8|
	s_delay_alu instid0(VALU_DEP_2) | instskip(SKIP_1) | instid1(VALU_DEP_2)
	v_add_f32_e32 v12, v12, v14
	v_add_f32_e32 v14, v24, v16
	;; [unrolled: 1-line block ×3, first 2 shown]
	s_delay_alu instid0(VALU_DEP_2) | instskip(NEXT) | instid1(VALU_DEP_1)
	v_sub_f32_e32 v15, v14, v24
	v_dual_sub_f32 v15, v16, v15 :: v_dual_add_f32 v12, v25, v12
	s_delay_alu instid0(VALU_DEP_1) | instskip(NEXT) | instid1(VALU_DEP_1)
	v_mul_f32_e32 v12, v13, v12
	v_add_f32_e32 v12, v15, v12
	s_delay_alu instid0(VALU_DEP_1) | instskip(NEXT) | instid1(VALU_DEP_1)
	v_add_f32_e32 v13, v14, v12
	v_mul_f32_e32 v15, v13, v13
	s_delay_alu instid0(VALU_DEP_1) | instskip(SKIP_2) | instid1(VALU_DEP_3)
	v_fmaak_f32 v16, s14, v15, 0x3ecc95a3
	v_mul_f32_e32 v23, v13, v15
	v_ldexp_f32 v24, v13, 1
	v_fmaak_f32 v15, v15, v16, 0x3f2aaada
	v_max_f32_e64 v16, |v7|, |v7|
	s_delay_alu instid0(VALU_DEP_2) | instskip(NEXT) | instid1(VALU_DEP_1)
	v_mul_f32_e32 v15, v23, v15
	v_dual_sub_f32 v13, v13, v14 :: v_dual_add_f32 v14, v24, v15
	s_delay_alu instid0(VALU_DEP_1) | instskip(NEXT) | instid1(VALU_DEP_2)
	v_dual_mul_f32 v25, 0x3f317218, v11 :: v_dual_sub_f32 v12, v12, v13
	v_sub_f32_e32 v13, v14, v24
	s_delay_alu instid0(VALU_DEP_2) | instskip(SKIP_3) | instid1(VALU_DEP_4)
	v_fma_f32 v26, 0x3f317218, v11, -v25
	v_max_f32_e32 v23, v16, v22
	v_min_f32_e32 v16, v16, v22
	v_ldexp_f32 v12, v12, 1
	v_dual_sub_f32 v13, v15, v13 :: v_dual_fmac_f32 v26, 0xb102e308, v11
	s_delay_alu instid0(VALU_DEP_4)
	v_frexp_mant_f32_e32 v22, v23
	v_frexp_exp_i32_f32_e32 v23, v23
	v_frexp_exp_i32_f32_e32 v24, v16
	v_frexp_mant_f32_e32 v15, v16
	v_add_f32_e32 v11, v12, v13
	v_rcp_f32_e32 v22, v22
	s_delay_alu instid0(VALU_DEP_3) | instskip(SKIP_2) | instid1(VALU_DEP_1)
	v_sub_nc_u32_e32 v16, v24, v23
	s_waitcnt_depctr 0xfff
	v_dual_mul_f32 v12, v15, v22 :: v_dual_add_f32 v15, v14, v11
	v_ldexp_f32 v12, v12, v16
	s_delay_alu instid0(VALU_DEP_2) | instskip(NEXT) | instid1(VALU_DEP_2)
	v_sub_f32_e32 v14, v15, v14
	v_dual_add_f32 v13, v25, v26 :: v_dual_mul_f32 v22, v12, v12
	s_delay_alu instid0(VALU_DEP_1) | instskip(NEXT) | instid1(VALU_DEP_1)
	v_dual_add_f32 v16, v13, v15 :: v_dual_sub_f32 v11, v11, v14
	v_dual_fmaak_f32 v24, s16, v22, 0xbc7a590c :: v_dual_sub_f32 v23, v16, v13
	s_delay_alu instid0(VALU_DEP_1) | instskip(SKIP_1) | instid1(VALU_DEP_2)
	v_dual_fmaak_f32 v24, v22, v24, 0x3d29fb3f :: v_dual_sub_f32 v27, v16, v23
	v_dual_sub_f32 v14, v15, v23 :: v_dual_sub_f32 v25, v13, v25
	v_fmaak_f32 v15, v22, v24, 0xbd97d4d7
	s_delay_alu instid0(VALU_DEP_3) | instskip(NEXT) | instid1(VALU_DEP_1)
	v_sub_f32_e32 v13, v13, v27
	v_add_f32_e32 v13, v14, v13
	s_delay_alu instid0(VALU_DEP_3) | instskip(NEXT) | instid1(VALU_DEP_1)
	v_fmaak_f32 v14, v22, v15, 0x3dd931b2
	v_fmaak_f32 v14, v22, v14, 0xbe1160e6
	s_delay_alu instid0(VALU_DEP_1) | instskip(NEXT) | instid1(VALU_DEP_1)
	v_fmaak_f32 v14, v22, v14, 0x3e4cb8bf
	v_fmaak_f32 v14, v22, v14, 0xbeaaaa62
	s_delay_alu instid0(VALU_DEP_1) | instskip(NEXT) | instid1(VALU_DEP_1)
	v_mul_f32_e32 v14, v22, v14
	v_dual_sub_f32 v25, v26, v25 :: v_dual_fmac_f32 v12, v12, v14
	s_delay_alu instid0(VALU_DEP_1) | instskip(NEXT) | instid1(VALU_DEP_1)
	v_add_f32_e32 v23, v25, v11
	v_sub_f32_e32 v15, v23, v25
	v_add_f32_e32 v13, v23, v13
	s_delay_alu instid0(VALU_DEP_1) | instskip(SKIP_1) | instid1(VALU_DEP_2)
	v_dual_sub_f32 v23, v23, v15 :: v_dual_add_f32 v24, v16, v13
	v_sub_f32_e32 v11, v11, v15
	v_dual_sub_f32 v15, v25, v23 :: v_dual_sub_f32 v16, v24, v16
	s_delay_alu instid0(VALU_DEP_1) | instskip(NEXT) | instid1(VALU_DEP_2)
	v_add_f32_e32 v11, v11, v15
	v_sub_f32_e32 v13, v13, v16
	s_delay_alu instid0(VALU_DEP_1) | instskip(SKIP_1) | instid1(VALU_DEP_2)
	v_add_f32_e32 v11, v11, v13
	v_sub_f32_e32 v13, 0x3fc90fdb, v12
	v_add_f32_e32 v11, v24, v11
	s_delay_alu instid0(VALU_DEP_2) | instskip(NEXT) | instid1(VALU_DEP_2)
	v_cndmask_b32_e64 v12, v12, v13, s2
	v_cndmask_b32_e32 v11, v11, v5, vcc_lo
	v_cmp_gt_i32_e32 vcc_lo, 0, v7
	s_delay_alu instid0(VALU_DEP_3) | instskip(SKIP_4) | instid1(VALU_DEP_2)
	v_sub_f32_e32 v14, 0x40490fdb, v12
	v_cndmask_b32_e64 v13, 0, 0x40490fdb, vcc_lo
	v_cmp_ngt_f32_e32 vcc_lo, -1.0, v5
	v_cndmask_b32_e32 v11, 0x7fc00000, v11, vcc_lo
	v_cmp_gt_f32_e32 vcc_lo, 0, v7
	v_cndmask_b32_e64 v11, 0xff800000, v11, s3
	v_cndmask_b32_e32 v12, v12, v14, vcc_lo
	v_cndmask_b32_e32 v14, 0x3f490fdb, v21, vcc_lo
	v_cmp_gt_f32_e64 vcc_lo, 0x33800000, |v5|
	v_cmp_class_f32_e64 s3, v8, 0x204
	v_cndmask_b32_e32 v5, v11, v5, vcc_lo
	v_cmp_eq_f32_e32 vcc_lo, 0, v8
	s_delay_alu instid0(VALU_DEP_2) | instskip(SKIP_2) | instid1(VALU_DEP_1)
	v_mul_f32_e32 v11, 0.5, v5
	v_cndmask_b32_e32 v12, v12, v13, vcc_lo
	s_and_b32 vcc_lo, s4, s3
	v_cndmask_b32_e32 v5, v12, v14, vcc_lo
.LBB169_52:                             ;   in Loop: Header=BB169_5 Depth=1
	s_or_b32 exec_lo, exec_lo, s25
.LBB169_53:                             ;   in Loop: Header=BB169_5 Depth=1
	s_delay_alu instid0(SALU_CYCLE_1)
	s_or_b32 exec_lo, exec_lo, s24
.LBB169_54:                             ;   in Loop: Header=BB169_5 Depth=1
	s_and_not1_saveexec_b32 s4, s23
	s_cbranch_execz .LBB169_56
; %bb.55:                               ;   in Loop: Header=BB169_5 Depth=1
	v_max_f32_e64 v5, |v8|, |v8|
	v_max_f32_e64 v13, |v7|, |v7|
	v_cmp_gt_i32_e64 s3, 0, v7
	v_cmp_class_f32_e64 s5, v7, 0x204
	v_cmp_class_f32_e64 s6, v8, 0x204
	s_delay_alu instid0(VALU_DEP_4) | instskip(SKIP_1) | instid1(VALU_DEP_2)
	v_max_f32_e32 v14, v13, v5
	v_min_f32_e32 v5, v13, v5
	v_cvt_f64_f32_e32 v[11:12], v14
	v_frexp_exp_i32_f32_e32 v13, v14
	s_delay_alu instid0(VALU_DEP_3) | instskip(SKIP_1) | instid1(VALU_DEP_2)
	v_frexp_exp_i32_f32_e32 v15, v5
	v_frexp_mant_f32_e32 v5, v5
	v_sub_nc_u32_e32 v13, v15, v13
	v_frexp_exp_i32_f64_e32 v11, v[11:12]
	v_frexp_mant_f32_e32 v12, v14
	s_delay_alu instid0(VALU_DEP_1) | instskip(SKIP_2) | instid1(VALU_DEP_1)
	v_rcp_f32_e32 v12, v12
	s_waitcnt_depctr 0xfff
	v_mul_f32_e32 v5, v5, v12
	v_ldexp_f32 v5, v5, v13
	s_delay_alu instid0(VALU_DEP_1) | instskip(SKIP_1) | instid1(VALU_DEP_1)
	v_mul_f32_e32 v15, v5, v5
	v_sub_nc_u32_e32 v16, 0, v11
	v_ldexp_f32 v12, |v8|, v16
	v_ldexp_f32 v13, |v7|, v16
	s_delay_alu instid0(VALU_DEP_2) | instskip(NEXT) | instid1(VALU_DEP_1)
	v_mul_f32_e32 v12, v12, v12
	v_dual_fmac_f32 v12, v13, v13 :: v_dual_fmaak_f32 v13, s16, v15, 0xbc7a590c
	v_cmp_neq_f32_e32 vcc_lo, 0x7f800000, v14
	s_delay_alu instid0(VALU_DEP_2) | instskip(NEXT) | instid1(VALU_DEP_2)
	v_sqrt_f32_e32 v12, v12
	v_fmaak_f32 v13, v15, v13, 0x3d29fb3f
	s_delay_alu instid0(VALU_DEP_1) | instskip(SKIP_3) | instid1(VALU_DEP_2)
	v_fmaak_f32 v13, v15, v13, 0xbd97d4d7
	s_waitcnt_depctr 0xfff
	v_ldexp_f32 v11, v12, v11
	v_fmaak_f32 v12, v15, v13, 0x3dd931b2
	v_cndmask_b32_e32 v11, 0x7f800000, v11, vcc_lo
	s_delay_alu instid0(VALU_DEP_2) | instskip(NEXT) | instid1(VALU_DEP_2)
	v_fmaak_f32 v12, v15, v12, 0xbe1160e6
	v_cmp_gt_f32_e32 vcc_lo, 0x800000, v11
	s_delay_alu instid0(VALU_DEP_2) | instskip(SKIP_1) | instid1(VALU_DEP_2)
	v_fmaak_f32 v12, v15, v12, 0x3e4cb8bf
	v_cndmask_b32_e64 v13, 1.0, 0x4f800000, vcc_lo
	v_fmaak_f32 v12, v15, v12, 0xbeaaaa62
	s_delay_alu instid0(VALU_DEP_2) | instskip(NEXT) | instid1(VALU_DEP_2)
	v_mul_f32_e32 v11, v11, v13
	v_mul_f32_e32 v12, v15, v12
	s_delay_alu instid0(VALU_DEP_2) | instskip(SKIP_2) | instid1(VALU_DEP_1)
	v_log_f32_e32 v11, v11
	s_waitcnt_depctr 0xfff
	v_dual_fmac_f32 v5, v5, v12 :: v_dual_mul_f32 v12, 0x3f317217, v11
	v_fma_f32 v14, 0x3f317217, v11, -v12
	s_delay_alu instid0(VALU_DEP_1) | instskip(NEXT) | instid1(VALU_DEP_1)
	v_fmac_f32_e32 v14, 0x3377d1cf, v11
	v_dual_sub_f32 v13, 0x3fc90fdb, v5 :: v_dual_add_f32 v12, v12, v14
	s_delay_alu instid0(VALU_DEP_1) | instskip(SKIP_2) | instid1(VALU_DEP_3)
	v_cndmask_b32_e64 v5, v5, v13, s2
	v_cndmask_b32_e64 v13, 0, 0x40490fdb, s3
	v_cmp_gt_f32_e64 s3, 0, v7
	v_sub_f32_e32 v15, 0x40490fdb, v5
	s_delay_alu instid0(VALU_DEP_2) | instskip(NEXT) | instid1(VALU_DEP_2)
	v_cndmask_b32_e64 v14, 0x3f490fdb, v21, s3
	v_cndmask_b32_e64 v5, v5, v15, s3
	v_cndmask_b32_e64 v15, 0, 0x41b17218, vcc_lo
	v_cmp_gt_f32_e64 vcc_lo, 0x7f800000, |v11|
	v_cndmask_b32_e32 v11, v11, v12, vcc_lo
	v_cmp_eq_f32_e32 vcc_lo, 0, v8
	s_delay_alu instid0(VALU_DEP_2) | instskip(SKIP_2) | instid1(VALU_DEP_1)
	v_sub_f32_e32 v11, v11, v15
	v_cndmask_b32_e32 v5, v5, v13, vcc_lo
	s_and_b32 vcc_lo, s5, s6
	v_cndmask_b32_e32 v5, v5, v14, vcc_lo
.LBB169_56:                             ;   in Loop: Header=BB169_5 Depth=1
	s_or_b32 exec_lo, exec_lo, s4
                                        ; implicit-def: $vgpr12
.LBB169_57:                             ;   in Loop: Header=BB169_5 Depth=1
	s_and_not1_saveexec_b32 s4, s22
	s_cbranch_execz .LBB169_63
; %bb.58:                               ;   in Loop: Header=BB169_5 Depth=1
                                        ; implicit-def: $vgpr5
	s_mov_b32 s3, exec_lo
	v_cmpx_ngt_f32_e32 0x1fec1e4a, v12
	s_xor_b32 s5, exec_lo, s3
	s_cbranch_execz .LBB169_60
; %bb.59:                               ;   in Loop: Header=BB169_5 Depth=1
	v_mul_f32_e32 v5, v12, v12
	v_cmp_gt_f32_e64 s3, 0, v7
	v_cmp_class_f32_e64 s6, v7, 0x204
	v_cmp_class_f32_e64 s8, v8, 0x204
	s_delay_alu instid0(VALU_DEP_4) | instskip(NEXT) | instid1(VALU_DEP_1)
	v_add_f32_e32 v13, 1.0, v5
	v_cvt_f64_f32_e32 v[11:12], v13
	s_delay_alu instid0(VALU_DEP_1) | instskip(SKIP_1) | instid1(VALU_DEP_1)
	v_frexp_exp_i32_f64_e32 v11, v[11:12]
	v_frexp_mant_f32_e32 v12, v13
	v_cmp_gt_f32_e32 vcc_lo, 0x3f2aaaab, v12
	v_add_f32_e32 v12, -1.0, v13
	v_cmp_gt_f32_e64 s7, 0x33800000, |v5|
	s_delay_alu instid0(VALU_DEP_2) | instskip(SKIP_2) | instid1(VALU_DEP_2)
	v_dual_sub_f32 v15, v12, v13 :: v_dual_sub_f32 v12, v5, v12
	v_subrev_co_ci_u32_e32 v11, vcc_lo, 0, v11, vcc_lo
	v_cmp_gt_i32_e32 vcc_lo, 0, v7
	v_sub_nc_u32_e32 v14, 0, v11
	v_cvt_f32_i32_e32 v11, v11
	s_delay_alu instid0(VALU_DEP_2) | instskip(NEXT) | instid1(VALU_DEP_1)
	v_ldexp_f32 v13, v13, v14
	v_dual_add_f32 v15, 1.0, v15 :: v_dual_add_f32 v16, 1.0, v13
	s_delay_alu instid0(VALU_DEP_1) | instskip(NEXT) | instid1(VALU_DEP_1)
	v_dual_add_f32 v12, v12, v15 :: v_dual_add_f32 v15, -1.0, v16
	v_ldexp_f32 v12, v12, v14
	s_delay_alu instid0(VALU_DEP_2) | instskip(NEXT) | instid1(VALU_DEP_1)
	v_dual_add_f32 v14, -1.0, v13 :: v_dual_sub_f32 v15, v13, v15
	v_dual_add_f32 v22, 1.0, v14 :: v_dual_add_f32 v15, v12, v15
	s_delay_alu instid0(VALU_DEP_1) | instskip(NEXT) | instid1(VALU_DEP_1)
	v_dual_sub_f32 v13, v13, v22 :: v_dual_add_f32 v22, v16, v15
	v_add_f32_e32 v12, v12, v13
	s_delay_alu instid0(VALU_DEP_2) | instskip(NEXT) | instid1(VALU_DEP_1)
	v_rcp_f32_e32 v13, v22
	v_dual_sub_f32 v16, v16, v22 :: v_dual_add_f32 v23, v14, v12
	s_delay_alu instid0(VALU_DEP_1) | instskip(SKIP_3) | instid1(VALU_DEP_2)
	v_sub_f32_e32 v14, v14, v23
	s_waitcnt_depctr 0xfff
	v_mul_f32_e32 v24, v23, v13
	v_add_f32_e32 v15, v15, v16
	v_dual_mul_f32 v25, v22, v24 :: v_dual_add_f32 v12, v12, v14
	s_delay_alu instid0(VALU_DEP_1) | instskip(NEXT) | instid1(VALU_DEP_1)
	v_fma_f32 v16, v24, v22, -v25
	v_fmac_f32_e32 v16, v24, v15
	s_delay_alu instid0(VALU_DEP_1) | instskip(NEXT) | instid1(VALU_DEP_1)
	v_add_f32_e32 v26, v25, v16
	v_sub_f32_e32 v27, v23, v26
	s_delay_alu instid0(VALU_DEP_1) | instskip(NEXT) | instid1(VALU_DEP_1)
	v_dual_sub_f32 v23, v23, v27 :: v_dual_sub_f32 v14, v26, v25
	v_dual_sub_f32 v23, v23, v26 :: v_dual_sub_f32 v14, v14, v16
	s_delay_alu instid0(VALU_DEP_1) | instskip(NEXT) | instid1(VALU_DEP_1)
	v_add_f32_e32 v12, v12, v23
	v_add_f32_e32 v12, v14, v12
	s_delay_alu instid0(VALU_DEP_1) | instskip(NEXT) | instid1(VALU_DEP_1)
	v_add_f32_e32 v14, v27, v12
	v_mul_f32_e32 v16, v13, v14
	s_delay_alu instid0(VALU_DEP_1) | instskip(NEXT) | instid1(VALU_DEP_1)
	v_dual_sub_f32 v26, v27, v14 :: v_dual_mul_f32 v23, v22, v16
	v_fma_f32 v22, v16, v22, -v23
	s_delay_alu instid0(VALU_DEP_1) | instskip(NEXT) | instid1(VALU_DEP_1)
	v_fmac_f32_e32 v22, v16, v15
	v_add_f32_e32 v15, v23, v22
	s_delay_alu instid0(VALU_DEP_1) | instskip(SKIP_1) | instid1(VALU_DEP_2)
	v_sub_f32_e32 v25, v14, v15
	v_dual_sub_f32 v23, v15, v23 :: v_dual_add_f32 v12, v12, v26
	v_sub_f32_e32 v14, v14, v25
	s_delay_alu instid0(VALU_DEP_1) | instskip(NEXT) | instid1(VALU_DEP_1)
	v_dual_sub_f32 v14, v14, v15 :: v_dual_sub_f32 v15, v23, v22
	v_add_f32_e32 v12, v12, v14
	v_add_f32_e32 v14, v24, v16
	s_delay_alu instid0(VALU_DEP_2) | instskip(NEXT) | instid1(VALU_DEP_2)
	v_add_f32_e32 v12, v15, v12
	v_sub_f32_e32 v15, v14, v24
	s_delay_alu instid0(VALU_DEP_1) | instskip(SKIP_1) | instid1(VALU_DEP_2)
	v_dual_add_f32 v12, v25, v12 :: v_dual_sub_f32 v15, v16, v15
	v_max_f32_e64 v16, |v7|, |v7|
	v_mul_f32_e32 v12, v13, v12
	v_max_f32_e64 v13, |v8|, |v8|
	s_delay_alu instid0(VALU_DEP_1) | instskip(SKIP_1) | instid1(VALU_DEP_2)
	v_dual_add_f32 v12, v15, v12 :: v_dual_max_f32 v23, v16, v13
	v_min_f32_e32 v13, v16, v13
	v_add_f32_e32 v15, v14, v12
	s_delay_alu instid0(VALU_DEP_3) | instskip(SKIP_1) | instid1(VALU_DEP_3)
	v_frexp_mant_f32_e32 v25, v23
	v_frexp_exp_i32_f32_e32 v16, v23
	v_sub_f32_e32 v14, v15, v14
	v_ldexp_f32 v26, v15, 1
	s_delay_alu instid0(VALU_DEP_2) | instskip(NEXT) | instid1(VALU_DEP_1)
	v_sub_f32_e32 v12, v12, v14
	v_ldexp_f32 v12, v12, 1
	v_mul_f32_e32 v22, v15, v15
	s_delay_alu instid0(VALU_DEP_1) | instskip(NEXT) | instid1(VALU_DEP_1)
	v_fmaak_f32 v24, s14, v22, 0x3ecc95a3
	v_dual_mul_f32 v23, v15, v22 :: v_dual_fmaak_f32 v22, v22, v24, 0x3f2aaada
	v_rcp_f32_e32 v24, v25
	v_frexp_exp_i32_f32_e32 v25, v13
	v_frexp_mant_f32_e32 v13, v13
	s_delay_alu instid0(VALU_DEP_3) | instskip(NEXT) | instid1(VALU_DEP_3)
	v_dual_mul_f32 v22, v23, v22 :: v_dual_mul_f32 v23, 0x3f317218, v11
	v_sub_nc_u32_e32 v16, v25, v16
	s_delay_alu instid0(VALU_DEP_2) | instskip(SKIP_2) | instid1(VALU_DEP_1)
	v_add_f32_e32 v15, v26, v22
	s_waitcnt_depctr 0xfff
	v_mul_f32_e32 v13, v13, v24
	v_ldexp_f32 v13, v13, v16
	v_sub_f32_e32 v14, v15, v26
	v_fma_f32 v16, 0x3f317218, v11, -v23
	s_delay_alu instid0(VALU_DEP_2) | instskip(NEXT) | instid1(VALU_DEP_1)
	v_sub_f32_e32 v14, v22, v14
	v_dual_fmac_f32 v16, 0xb102e308, v11 :: v_dual_add_f32 v11, v12, v14
	s_delay_alu instid0(VALU_DEP_1) | instskip(NEXT) | instid1(VALU_DEP_2)
	v_add_f32_e32 v14, v23, v16
	v_add_f32_e32 v24, v15, v11
	s_delay_alu instid0(VALU_DEP_2) | instskip(NEXT) | instid1(VALU_DEP_2)
	v_sub_f32_e32 v23, v14, v23
	v_add_f32_e32 v25, v14, v24
	v_sub_f32_e32 v15, v24, v15
	s_delay_alu instid0(VALU_DEP_3) | instskip(NEXT) | instid1(VALU_DEP_2)
	v_sub_f32_e32 v16, v16, v23
	v_dual_sub_f32 v26, v25, v14 :: v_dual_sub_f32 v11, v11, v15
	s_delay_alu instid0(VALU_DEP_1) | instskip(SKIP_1) | instid1(VALU_DEP_3)
	v_sub_f32_e32 v27, v25, v26
	v_sub_f32_e32 v15, v24, v26
	v_add_f32_e32 v23, v16, v11
	s_delay_alu instid0(VALU_DEP_3) | instskip(NEXT) | instid1(VALU_DEP_1)
	v_sub_f32_e32 v14, v14, v27
	v_add_f32_e32 v14, v15, v14
	s_delay_alu instid0(VALU_DEP_3) | instskip(NEXT) | instid1(VALU_DEP_2)
	v_sub_f32_e32 v15, v23, v16
	v_add_f32_e32 v14, v23, v14
	s_delay_alu instid0(VALU_DEP_2) | instskip(NEXT) | instid1(VALU_DEP_1)
	v_dual_sub_f32 v11, v11, v15 :: v_dual_mul_f32 v22, v13, v13
	v_fmaak_f32 v12, s16, v22, 0xbc7a590c
	s_delay_alu instid0(VALU_DEP_1) | instskip(NEXT) | instid1(VALU_DEP_1)
	v_fmaak_f32 v12, v22, v12, 0x3d29fb3f
	v_fmaak_f32 v12, v22, v12, 0xbd97d4d7
	s_delay_alu instid0(VALU_DEP_1) | instskip(NEXT) | instid1(VALU_DEP_1)
	v_fmaak_f32 v12, v22, v12, 0x3dd931b2
	;; [unrolled: 3-line block ×3, first 2 shown]
	v_fmaak_f32 v12, v22, v12, 0xbeaaaa62
	s_delay_alu instid0(VALU_DEP_1) | instskip(SKIP_1) | instid1(VALU_DEP_1)
	v_mul_f32_e32 v12, v22, v12
	v_dual_sub_f32 v22, v23, v15 :: v_dual_add_f32 v23, v25, v14
	v_dual_fmac_f32 v13, v13, v12 :: v_dual_sub_f32 v12, v16, v22
	s_delay_alu instid0(VALU_DEP_2) | instskip(NEXT) | instid1(VALU_DEP_2)
	v_sub_f32_e32 v15, v23, v25
	v_dual_sub_f32 v16, 0x3fc90fdb, v13 :: v_dual_add_f32 v11, v11, v12
	s_delay_alu instid0(VALU_DEP_2) | instskip(SKIP_2) | instid1(VALU_DEP_4)
	v_sub_f32_e32 v12, v14, v15
	v_cndmask_b32_e64 v14, 0, 0x40490fdb, vcc_lo
	v_cmp_eq_f32_e32 vcc_lo, 0x7f800000, v5
	v_cndmask_b32_e64 v13, v13, v16, s2
	s_delay_alu instid0(VALU_DEP_4) | instskip(SKIP_1) | instid1(VALU_DEP_1)
	v_add_f32_e32 v11, v11, v12
	s_or_b32 vcc_lo, vcc_lo, s7
	v_dual_sub_f32 v12, 0x40490fdb, v13 :: v_dual_add_f32 v11, v23, v11
	s_delay_alu instid0(VALU_DEP_1) | instskip(SKIP_1) | instid1(VALU_DEP_3)
	v_cndmask_b32_e64 v12, v13, v12, s3
	v_cndmask_b32_e64 v13, 0x3f490fdb, v21, s3
	v_cndmask_b32_e32 v5, v11, v5, vcc_lo
	v_cmp_eq_f32_e32 vcc_lo, 0, v8
	s_delay_alu instid0(VALU_DEP_2) | instskip(SKIP_1) | instid1(VALU_DEP_1)
	v_dual_mul_f32 v11, 0.5, v5 :: v_dual_cndmask_b32 v12, v12, v14
	s_and_b32 vcc_lo, s6, s8
	v_cndmask_b32_e32 v5, v12, v13, vcc_lo
                                        ; implicit-def: $vgpr12
.LBB169_60:                             ;   in Loop: Header=BB169_5 Depth=1
	s_and_not1_saveexec_b32 s5, s5
	s_cbranch_execz .LBB169_62
; %bb.61:                               ;   in Loop: Header=BB169_5 Depth=1
	v_max_f32_e64 v5, |v8|, |v8|
	v_max_f32_e64 v11, |v7|, |v7|
	v_cmp_gt_i32_e32 vcc_lo, 0, v7
	v_cmp_eq_f32_e64 s3, 0, v8
	v_cmp_class_f32_e64 s6, v7, 0x204
	v_cmp_class_f32_e64 s7, v8, 0x204
	v_max_f32_e32 v13, v11, v5
	v_min_f32_e32 v5, v11, v5
	s_delay_alu instid0(VALU_DEP_2) | instskip(SKIP_1) | instid1(VALU_DEP_2)
	v_frexp_mant_f32_e32 v14, v13
	v_frexp_exp_i32_f32_e32 v13, v13
	v_rcp_f32_e32 v11, v14
	s_delay_alu instid0(VALU_DEP_3) | instskip(SKIP_1) | instid1(VALU_DEP_2)
	v_frexp_exp_i32_f32_e32 v14, v5
	v_frexp_mant_f32_e32 v5, v5
	v_sub_nc_u32_e32 v13, v14, v13
	s_waitcnt_depctr 0xfff
	v_mul_f32_e32 v5, v5, v11
	s_delay_alu instid0(VALU_DEP_1) | instskip(NEXT) | instid1(VALU_DEP_1)
	v_ldexp_f32 v5, v5, v13
	v_mul_f32_e32 v11, v5, v5
	s_delay_alu instid0(VALU_DEP_1) | instskip(NEXT) | instid1(VALU_DEP_1)
	v_fmaak_f32 v13, s16, v11, 0xbc7a590c
	v_fmaak_f32 v13, v11, v13, 0x3d29fb3f
	s_delay_alu instid0(VALU_DEP_1) | instskip(NEXT) | instid1(VALU_DEP_1)
	v_fmaak_f32 v13, v11, v13, 0xbd97d4d7
	v_fmaak_f32 v13, v11, v13, 0x3dd931b2
	;; [unrolled: 3-line block ×3, first 2 shown]
	s_delay_alu instid0(VALU_DEP_1) | instskip(NEXT) | instid1(VALU_DEP_1)
	v_fmaak_f32 v13, v11, v13, 0xbeaaaa62
	v_mul_f32_e32 v11, v11, v13
	v_cndmask_b32_e64 v13, 0, 0x40490fdb, vcc_lo
	v_cmp_gt_f32_e32 vcc_lo, 0, v7
	s_delay_alu instid0(VALU_DEP_3) | instskip(NEXT) | instid1(VALU_DEP_1)
	v_fmac_f32_e32 v5, v5, v11
	v_sub_f32_e32 v11, 0x3fc90fdb, v5
	s_delay_alu instid0(VALU_DEP_1) | instskip(NEXT) | instid1(VALU_DEP_1)
	v_cndmask_b32_e64 v5, v5, v11, s2
	v_sub_f32_e32 v11, 0x40490fdb, v5
	s_delay_alu instid0(VALU_DEP_1) | instskip(SKIP_1) | instid1(VALU_DEP_2)
	v_cndmask_b32_e32 v5, v5, v11, vcc_lo
	v_mul_f32_e32 v11, 0.5, v12
	v_cndmask_b32_e64 v5, v5, v13, s3
	v_cndmask_b32_e32 v13, 0x3f490fdb, v21, vcc_lo
	s_and_b32 vcc_lo, s6, s7
	s_delay_alu instid0(VALU_DEP_3) | instskip(NEXT) | instid1(VALU_DEP_2)
	v_mul_f32_e32 v11, v12, v11
	v_cndmask_b32_e32 v5, v5, v13, vcc_lo
.LBB169_62:                             ;   in Loop: Header=BB169_5 Depth=1
	s_or_b32 exec_lo, exec_lo, s5
.LBB169_63:                             ;   in Loop: Header=BB169_5 Depth=1
	s_delay_alu instid0(SALU_CYCLE_1)
	s_or_b32 exec_lo, exec_lo, s4
.LBB169_64:                             ;   in Loop: Header=BB169_5 Depth=1
	s_and_not1_saveexec_b32 s4, s21
	s_cbranch_execz .LBB169_66
; %bb.65:                               ;   in Loop: Header=BB169_5 Depth=1
	v_div_scale_f32 v5, null, 0x402df854, 0x402df854, v7
	v_div_scale_f32 v11, null, 0x402df854, 0x402df854, v8
	v_div_scale_f32 v16, vcc_lo, v7, 0x402df854, v7
	s_delay_alu instid0(VALU_DEP_3) | instskip(NEXT) | instid1(VALU_DEP_2)
	v_rcp_f32_e32 v12, v5
	v_rcp_f32_e32 v13, v11
	v_cmp_class_f32_e64 s5, v8, 0x204
	s_waitcnt_depctr 0xfff
	v_fma_f32 v14, -v5, v12, 1.0
	v_fma_f32 v15, -v11, v13, 1.0
	s_delay_alu instid0(VALU_DEP_1) | instskip(SKIP_1) | instid1(VALU_DEP_1)
	v_dual_fmac_f32 v12, v14, v12 :: v_dual_fmac_f32 v13, v15, v13
	v_div_scale_f32 v14, s3, v8, 0x402df854, v8
	v_dual_mul_f32 v15, v16, v12 :: v_dual_mul_f32 v22, v14, v13
	s_delay_alu instid0(VALU_DEP_1) | instskip(NEXT) | instid1(VALU_DEP_2)
	v_fma_f32 v23, -v5, v15, v16
	v_fma_f32 v24, -v11, v22, v14
	s_delay_alu instid0(VALU_DEP_1) | instskip(NEXT) | instid1(VALU_DEP_1)
	v_dual_fmac_f32 v15, v23, v12 :: v_dual_fmac_f32 v22, v24, v13
	v_fma_f32 v5, -v5, v15, v16
	s_delay_alu instid0(VALU_DEP_2) | instskip(NEXT) | instid1(VALU_DEP_2)
	v_fma_f32 v11, -v11, v22, v14
	v_div_fmas_f32 v5, v5, v12, v15
	s_mov_b32 vcc_lo, s3
	v_max_f32_e64 v15, |v7|, |v7|
	s_delay_alu instid0(VALU_DEP_3) | instskip(SKIP_2) | instid1(VALU_DEP_3)
	v_div_fmas_f32 v11, v11, v13, v22
	v_cmp_class_f32_e64 s3, v7, 0x204
	v_div_fixup_f32 v5, v5, 0x402df854, v7
	v_div_fixup_f32 v13, v11, 0x402df854, v8
	s_delay_alu instid0(VALU_DEP_1) | instskip(NEXT) | instid1(VALU_DEP_1)
	v_max_f32_e64 v14, |v5|, |v13|
	v_cvt_f64_f32_e32 v[11:12], v14
	v_cmp_neq_f32_e32 vcc_lo, 0x7f800000, v14
	s_delay_alu instid0(VALU_DEP_2) | instskip(SKIP_1) | instid1(VALU_DEP_1)
	v_frexp_exp_i32_f64_e32 v11, v[11:12]
	v_max_f32_e64 v12, |v8|, |v8|
	v_max_f32_e32 v16, v15, v12
	v_min_f32_e32 v12, v15, v12
	s_delay_alu instid0(VALU_DEP_2) | instskip(NEXT) | instid1(VALU_DEP_1)
	v_frexp_mant_f32_e32 v22, v16
	v_rcp_f32_e32 v15, v22
	v_sub_nc_u32_e32 v22, 0, v11
	s_delay_alu instid0(VALU_DEP_1) | instskip(SKIP_1) | instid1(VALU_DEP_2)
	v_ldexp_f32 v13, |v13|, v22
	v_ldexp_f32 v5, |v5|, v22
	v_mul_f32_e32 v13, v13, v13
	v_frexp_exp_i32_f32_e32 v16, v16
	s_delay_alu instid0(VALU_DEP_2) | instskip(SKIP_2) | instid1(VALU_DEP_3)
	v_fmac_f32_e32 v13, v5, v5
	v_frexp_exp_i32_f32_e32 v23, v12
	v_frexp_mant_f32_e32 v12, v12
	v_sqrt_f32_e32 v13, v13
	s_delay_alu instid0(VALU_DEP_2) | instskip(NEXT) | instid1(VALU_DEP_2)
	v_sub_nc_u32_e32 v16, v23, v16
	v_mul_f32_e32 v12, v12, v15
	s_delay_alu instid0(VALU_DEP_1) | instskip(SKIP_3) | instid1(VALU_DEP_2)
	v_ldexp_f32 v12, v12, v16
	s_waitcnt_depctr 0xfff
	v_ldexp_f32 v11, v13, v11
	v_mul_f32_e32 v5, v12, v12
	v_cndmask_b32_e32 v11, 0x7f800000, v11, vcc_lo
	s_delay_alu instid0(VALU_DEP_2) | instskip(NEXT) | instid1(VALU_DEP_2)
	v_fmaak_f32 v15, s16, v5, 0xbc7a590c
	v_cmp_gt_f32_e32 vcc_lo, 0x800000, v11
	s_delay_alu instid0(VALU_DEP_2) | instskip(SKIP_1) | instid1(VALU_DEP_2)
	v_fmaak_f32 v15, v5, v15, 0x3d29fb3f
	v_cndmask_b32_e64 v14, 1.0, 0x4f800000, vcc_lo
	v_fmaak_f32 v13, v5, v15, 0xbd97d4d7
	v_cndmask_b32_e64 v15, 0, 0x41b17218, vcc_lo
	s_delay_alu instid0(VALU_DEP_2) | instskip(NEXT) | instid1(VALU_DEP_1)
	v_fmaak_f32 v13, v5, v13, 0x3dd931b2
	v_fmaak_f32 v13, v5, v13, 0xbe1160e6
	s_delay_alu instid0(VALU_DEP_1) | instskip(NEXT) | instid1(VALU_DEP_1)
	v_fmaak_f32 v13, v5, v13, 0x3e4cb8bf
	v_fmaak_f32 v13, v5, v13, 0xbeaaaa62
	s_delay_alu instid0(VALU_DEP_1) | instskip(NEXT) | instid1(VALU_DEP_1)
	v_mul_f32_e32 v5, v5, v13
	v_dual_fmac_f32 v12, v12, v5 :: v_dual_mul_f32 v11, v11, v14
	s_delay_alu instid0(VALU_DEP_1) | instskip(NEXT) | instid1(VALU_DEP_2)
	v_sub_f32_e32 v14, 0x3fc90fdb, v12
	v_log_f32_e32 v11, v11
	s_delay_alu instid0(VALU_DEP_1)
	v_cndmask_b32_e64 v12, v12, v14, s2
	v_cmp_gt_i32_e64 s2, 0, v7
	s_waitcnt_depctr 0xfff
	v_mul_f32_e32 v13, 0x3f317217, v11
	v_cndmask_b32_e64 v14, 0, 0x40490fdb, s2
	v_cmp_gt_f32_e64 s2, 0, v7
	v_cmp_gt_f32_e64 vcc_lo, 0x7f800000, |v11|
	s_delay_alu instid0(VALU_DEP_4) | instskip(NEXT) | instid1(VALU_DEP_1)
	v_fma_f32 v5, 0x3f317217, v11, -v13
	v_fmac_f32_e32 v5, 0x3377d1cf, v11
	s_delay_alu instid0(VALU_DEP_1) | instskip(SKIP_1) | instid1(VALU_DEP_2)
	v_add_f32_e32 v5, v13, v5
	v_sub_f32_e32 v13, 0x40490fdb, v12
	v_cndmask_b32_e32 v5, v11, v5, vcc_lo
	s_delay_alu instid0(VALU_DEP_2) | instskip(SKIP_2) | instid1(VALU_DEP_4)
	v_cndmask_b32_e64 v11, v12, v13, s2
	v_cmp_eq_f32_e32 vcc_lo, 0, v8
	v_cndmask_b32_e64 v12, 0x3f490fdb, v21, s2
	v_sub_f32_e32 v5, v5, v15
	s_delay_alu instid0(VALU_DEP_4) | instskip(SKIP_1) | instid1(VALU_DEP_2)
	v_cndmask_b32_e32 v13, v11, v14, vcc_lo
	s_and_b32 vcc_lo, s3, s5
	v_add_f32_e32 v11, 1.0, v5
	s_delay_alu instid0(VALU_DEP_2)
	v_cndmask_b32_e32 v5, v13, v12, vcc_lo
.LBB169_66:                             ;   in Loop: Header=BB169_5 Depth=1
	s_or_b32 exec_lo, exec_lo, s4
.LBB169_67:                             ;   in Loop: Header=BB169_5 Depth=1
	s_and_not1_saveexec_b32 s2, s17
	s_cbranch_execz .LBB169_73
; %bb.68:                               ;   in Loop: Header=BB169_5 Depth=1
	v_cmp_ngt_f32_e64 s3, 0x20000000, |v7|
	v_cmp_ngt_f32_e64 s4, 0x20000000, |v8|
                                        ; implicit-def: $vgpr5
	s_delay_alu instid0(VALU_DEP_1) | instskip(NEXT) | instid1(SALU_CYCLE_1)
	s_or_b32 s3, s3, s4
	s_and_saveexec_b32 s4, s3
	s_delay_alu instid0(SALU_CYCLE_1)
	s_xor_b32 s3, exec_lo, s4
; %bb.69:                               ;   in Loop: Header=BB169_5 Depth=1
	v_mul_f32_e32 v5, v8, v8
	s_delay_alu instid0(VALU_DEP_1)
	v_fmac_f32_e32 v5, v7, v7
; %bb.70:                               ;   in Loop: Header=BB169_5 Depth=1
	s_and_not1_saveexec_b32 s3, s3
; %bb.71:                               ;   in Loop: Header=BB169_5 Depth=1
	v_mul_f32_e32 v5, 4.0, v8
	v_mul_f32_e32 v7, 4.0, v7
	s_delay_alu instid0(VALU_DEP_2) | instskip(NEXT) | instid1(VALU_DEP_1)
	v_mul_f32_e32 v5, v5, v5
	v_fmac_f32_e32 v5, v7, v7
	s_delay_alu instid0(VALU_DEP_1)
	v_mul_f32_e32 v5, 0x3d800000, v5
; %bb.72:                               ;   in Loop: Header=BB169_5 Depth=1
	s_or_b32 exec_lo, exec_lo, s3
	s_delay_alu instid0(VALU_DEP_1) | instskip(SKIP_1) | instid1(VALU_DEP_1)
	v_cmp_gt_f32_e32 vcc_lo, 0x800000, v5
	v_cndmask_b32_e64 v7, 1.0, 0x4f800000, vcc_lo
	v_mul_f32_e32 v5, v5, v7
	s_delay_alu instid0(VALU_DEP_1) | instskip(SKIP_2) | instid1(VALU_DEP_1)
	v_log_f32_e32 v5, v5
	s_waitcnt_depctr 0xfff
	v_mul_f32_e32 v7, 0x3f317217, v5
	v_fma_f32 v11, 0x3f317217, v5, -v7
	s_delay_alu instid0(VALU_DEP_1) | instskip(NEXT) | instid1(VALU_DEP_1)
	v_fmac_f32_e32 v11, 0x3377d1cf, v5
	v_add_f32_e32 v7, v7, v11
	v_cndmask_b32_e64 v11, 0, 0x41b17218, vcc_lo
	v_cmp_gt_f32_e64 vcc_lo, 0x7f800000, |v5|
	s_delay_alu instid0(VALU_DEP_3) | instskip(NEXT) | instid1(VALU_DEP_1)
	v_cndmask_b32_e32 v5, v5, v7, vcc_lo
	v_sub_f32_e32 v11, v5, v11
	v_mov_b32_e32 v5, 0x7fc00000
.LBB169_73:                             ;   in Loop: Header=BB169_5 Depth=1
	s_or_b32 exec_lo, exec_lo, s2
                                        ; implicit-def: $vgpr13
                                        ; implicit-def: $vgpr7
	s_delay_alu instid0(SALU_CYCLE_1)
	s_mov_b32 s2, exec_lo
	s_waitcnt vmcnt(0)
	v_cmpx_o_f32_e32 v2, v1
	s_xor_b32 s17, exec_lo, s2
	s_cbranch_execz .LBB169_101
; %bb.74:                               ;   in Loop: Header=BB169_5 Depth=1
	v_cmp_lt_f32_e64 s2, |v1|, |v2|
                                        ; implicit-def: $vgpr13
                                        ; implicit-def: $vgpr7
	s_mov_b32 s3, exec_lo
	s_delay_alu instid0(VALU_DEP_1) | instskip(NEXT) | instid1(VALU_DEP_1)
	v_cndmask_b32_e64 v12, |v2|, |v1|, s2
	v_cmpx_nlt_f32_e32 0x77f684df, v12
	s_xor_b32 s21, exec_lo, s3
	s_cbranch_execz .LBB169_98
; %bb.75:                               ;   in Loop: Header=BB169_5 Depth=1
	v_and_b32_e32 v7, 0x7fffffff, v2
                                        ; implicit-def: $vgpr13
	s_mov_b32 s3, exec_lo
	s_delay_alu instid0(VALU_DEP_1) | instskip(NEXT) | instid1(VALU_DEP_1)
	v_cndmask_b32_e64 v14, |v1|, v7, s2
                                        ; implicit-def: $vgpr7
	v_cmpx_neq_f32_e32 1.0, v14
	s_xor_b32 s22, exec_lo, s3
	s_cbranch_execz .LBB169_91
; %bb.76:                               ;   in Loop: Header=BB169_5 Depth=1
	v_max_f32_e32 v7, v12, v12
	v_max_f32_e32 v13, v14, v14
	s_delay_alu instid0(VALU_DEP_1) | instskip(SKIP_1) | instid1(VALU_DEP_2)
	v_min_f32_e32 v15, v13, v7
	v_max_f32_e32 v7, v13, v7
                                        ; implicit-def: $vgpr13
	v_cmp_ngt_f32_e32 vcc_lo, 0x358637bd, v15
	s_delay_alu instid0(VALU_DEP_2) | instskip(NEXT) | instid1(VALU_DEP_1)
	v_cmp_nlt_f32_e64 s3, 0x49742400, v7
                                        ; implicit-def: $vgpr7
	s_and_b32 s3, s3, vcc_lo
	s_delay_alu instid0(SALU_CYCLE_1) | instskip(NEXT) | instid1(SALU_CYCLE_1)
	s_and_saveexec_b32 s4, s3
	s_xor_b32 s23, exec_lo, s4
	s_cbranch_execz .LBB169_88
; %bb.77:                               ;   in Loop: Header=BB169_5 Depth=1
                                        ; implicit-def: $vgpr13
                                        ; implicit-def: $vgpr7
	s_mov_b32 s3, exec_lo
	v_cmpx_le_f32_e32 1.0, v14
	s_xor_b32 s4, exec_lo, s3
	s_cbranch_execz .LBB169_79
; %bb.78:                               ;   in Loop: Header=BB169_5 Depth=1
	v_add_f32_e32 v7, -1.0, v14
	v_add_f32_e32 v13, 1.0, v14
	v_cmp_class_f32_e64 s5, v1, 0x204
	s_delay_alu instid0(VALU_DEP_2) | instskip(NEXT) | instid1(VALU_DEP_1)
	v_mul_f32_e32 v7, v7, v13
	v_fmac_f32_e32 v7, v12, v12
	s_delay_alu instid0(VALU_DEP_1) | instskip(NEXT) | instid1(VALU_DEP_1)
	v_add_f32_e32 v14, 1.0, v7
	v_cvt_f64_f32_e32 v[12:13], v14
	s_delay_alu instid0(VALU_DEP_1) | instskip(SKIP_1) | instid1(VALU_DEP_1)
	v_frexp_exp_i32_f64_e32 v12, v[12:13]
	v_frexp_mant_f32_e32 v13, v14
	v_cmp_gt_f32_e32 vcc_lo, 0x3f2aaaab, v13
	v_add_f32_e32 v13, -1.0, v14
	s_delay_alu instid0(VALU_DEP_1) | instskip(NEXT) | instid1(VALU_DEP_1)
	v_sub_f32_e32 v16, v13, v14
	v_add_f32_e32 v16, 1.0, v16
	v_subrev_co_ci_u32_e32 v12, vcc_lo, 0, v12, vcc_lo
	s_delay_alu instid0(VALU_DEP_1) | instskip(SKIP_1) | instid1(VALU_DEP_2)
	v_sub_nc_u32_e32 v15, 0, v12
	v_cvt_f32_i32_e32 v12, v12
	v_ldexp_f32 v14, v14, v15
	s_delay_alu instid0(VALU_DEP_1) | instskip(SKIP_2) | instid1(VALU_DEP_3)
	v_dual_add_f32 v22, 1.0, v14 :: v_dual_sub_f32 v13, v7, v13
	v_cmp_eq_f32_e32 vcc_lo, 0x7f800000, v7
	v_cmp_neq_f32_e64 s3, -1.0, v7
	v_dual_add_f32 v13, v13, v16 :: v_dual_add_f32 v16, -1.0, v22
	s_delay_alu instid0(VALU_DEP_1) | instskip(NEXT) | instid1(VALU_DEP_2)
	v_ldexp_f32 v13, v13, v15
	v_dual_sub_f32 v16, v14, v16 :: v_dual_add_f32 v15, -1.0, v14
	s_delay_alu instid0(VALU_DEP_1) | instskip(NEXT) | instid1(VALU_DEP_1)
	v_dual_add_f32 v16, v13, v16 :: v_dual_add_f32 v23, 1.0, v15
	v_sub_f32_e32 v14, v14, v23
	s_delay_alu instid0(VALU_DEP_2) | instskip(NEXT) | instid1(VALU_DEP_1)
	v_add_f32_e32 v23, v22, v16
	v_sub_f32_e32 v22, v23, v22
	s_delay_alu instid0(VALU_DEP_1) | instskip(NEXT) | instid1(VALU_DEP_4)
	v_sub_f32_e32 v16, v16, v22
	v_add_f32_e32 v13, v13, v14
	v_rcp_f32_e32 v14, v23
	s_delay_alu instid0(VALU_DEP_1) | instskip(NEXT) | instid1(VALU_DEP_1)
	v_add_f32_e32 v24, v15, v13
	v_sub_f32_e32 v15, v24, v15
	s_waitcnt_depctr 0xfff
	v_mul_f32_e32 v25, v24, v14
	s_delay_alu instid0(VALU_DEP_1) | instskip(NEXT) | instid1(VALU_DEP_1)
	v_dual_mul_f32 v26, v23, v25 :: v_dual_sub_f32 v13, v13, v15
	v_fma_f32 v22, v25, v23, -v26
	s_delay_alu instid0(VALU_DEP_1) | instskip(NEXT) | instid1(VALU_DEP_1)
	v_fmac_f32_e32 v22, v25, v16
	v_add_f32_e32 v27, v26, v22
	s_delay_alu instid0(VALU_DEP_1) | instskip(NEXT) | instid1(VALU_DEP_1)
	v_sub_f32_e32 v28, v24, v27
	v_dual_sub_f32 v24, v24, v28 :: v_dual_sub_f32 v15, v27, v26
	s_delay_alu instid0(VALU_DEP_1) | instskip(NEXT) | instid1(VALU_DEP_1)
	v_dual_sub_f32 v15, v15, v22 :: v_dual_sub_f32 v24, v24, v27
	v_add_f32_e32 v13, v13, v24
	s_delay_alu instid0(VALU_DEP_1) | instskip(NEXT) | instid1(VALU_DEP_1)
	v_add_f32_e32 v13, v15, v13
	v_add_f32_e32 v15, v28, v13
	s_delay_alu instid0(VALU_DEP_1) | instskip(NEXT) | instid1(VALU_DEP_1)
	v_mul_f32_e32 v22, v14, v15
	v_dual_sub_f32 v27, v28, v15 :: v_dual_mul_f32 v24, v23, v22
	s_delay_alu instid0(VALU_DEP_1) | instskip(NEXT) | instid1(VALU_DEP_2)
	v_add_f32_e32 v13, v13, v27
	v_fma_f32 v23, v22, v23, -v24
	s_delay_alu instid0(VALU_DEP_1) | instskip(NEXT) | instid1(VALU_DEP_1)
	v_fmac_f32_e32 v23, v22, v16
	v_add_f32_e32 v16, v24, v23
	s_delay_alu instid0(VALU_DEP_1) | instskip(NEXT) | instid1(VALU_DEP_1)
	v_sub_f32_e32 v26, v15, v16
	v_dual_sub_f32 v24, v16, v24 :: v_dual_sub_f32 v15, v15, v26
	s_delay_alu instid0(VALU_DEP_1) | instskip(SKIP_1) | instid1(VALU_DEP_2)
	v_dual_sub_f32 v15, v15, v16 :: v_dual_sub_f32 v16, v24, v23
	v_max_f32_e64 v23, |v2|, |v2|
	v_add_f32_e32 v13, v13, v15
	v_add_f32_e32 v15, v25, v22
	s_delay_alu instid0(VALU_DEP_2) | instskip(NEXT) | instid1(VALU_DEP_2)
	v_add_f32_e32 v13, v16, v13
	v_sub_f32_e32 v16, v15, v25
	s_delay_alu instid0(VALU_DEP_2) | instskip(NEXT) | instid1(VALU_DEP_2)
	v_add_f32_e32 v13, v26, v13
	v_sub_f32_e32 v16, v22, v16
	s_delay_alu instid0(VALU_DEP_2) | instskip(NEXT) | instid1(VALU_DEP_1)
	v_mul_f32_e32 v13, v14, v13
	v_add_f32_e32 v13, v16, v13
	s_delay_alu instid0(VALU_DEP_1) | instskip(NEXT) | instid1(VALU_DEP_1)
	v_add_f32_e32 v14, v15, v13
	v_mul_f32_e32 v16, v14, v14
	v_ldexp_f32 v25, v14, 1
	s_delay_alu instid0(VALU_DEP_2) | instskip(SKIP_1) | instid1(VALU_DEP_2)
	v_fmaak_f32 v22, s14, v16, 0x3ecc95a3
	v_mul_f32_e32 v24, v14, v16
	v_fmaak_f32 v16, v16, v22, 0x3f2aaada
	v_max_f32_e64 v22, |v1|, |v1|
	s_delay_alu instid0(VALU_DEP_2) | instskip(NEXT) | instid1(VALU_DEP_2)
	v_mul_f32_e32 v16, v24, v16
	v_max_f32_e32 v24, v22, v23
	v_min_f32_e32 v22, v22, v23
	v_mul_f32_e32 v26, 0x3f317218, v12
	s_delay_alu instid0(VALU_DEP_3) | instskip(SKIP_1) | instid1(VALU_DEP_3)
	v_frexp_mant_f32_e32 v23, v24
	v_frexp_exp_i32_f32_e32 v24, v24
	v_fma_f32 v27, 0x3f317218, v12, -v26
	v_dual_sub_f32 v14, v14, v15 :: v_dual_add_f32 v15, v25, v16
	s_delay_alu instid0(VALU_DEP_4) | instskip(NEXT) | instid1(VALU_DEP_2)
	v_rcp_f32_e32 v23, v23
	v_fmac_f32_e32 v27, 0xb102e308, v12
	s_delay_alu instid0(VALU_DEP_2) | instskip(SKIP_1) | instid1(VALU_DEP_2)
	v_dual_sub_f32 v13, v13, v14 :: v_dual_sub_f32 v14, v15, v25
	v_frexp_exp_i32_f32_e32 v25, v22
	v_ldexp_f32 v13, v13, 1
	s_delay_alu instid0(VALU_DEP_3) | instskip(SKIP_1) | instid1(VALU_DEP_4)
	v_sub_f32_e32 v14, v16, v14
	v_frexp_mant_f32_e32 v16, v22
	v_sub_nc_u32_e32 v22, v25, v24
	s_delay_alu instid0(TRANS32_DEP_1) | instid1(VALU_DEP_2)
	v_dual_add_f32 v12, v13, v14 :: v_dual_mul_f32 v13, v16, v23
	s_delay_alu instid0(VALU_DEP_1) | instskip(NEXT) | instid1(VALU_DEP_1)
	v_ldexp_f32 v13, v13, v22
	v_mul_f32_e32 v23, v13, v13
	s_delay_alu instid0(VALU_DEP_1) | instskip(SKIP_2) | instid1(VALU_DEP_1)
	v_fmaak_f32 v25, s16, v23, 0xbc7a590c
	v_add_f32_e32 v14, v26, v27
	v_add_f32_e32 v16, v15, v12
	v_dual_fmaak_f32 v25, v23, v25, 0x3d29fb3f :: v_dual_add_f32 v22, v14, v16
	s_delay_alu instid0(VALU_DEP_1) | instskip(SKIP_1) | instid1(VALU_DEP_2)
	v_dual_sub_f32 v15, v16, v15 :: v_dual_sub_f32 v24, v22, v14
	v_sub_f32_e32 v26, v14, v26
	v_sub_f32_e32 v12, v12, v15
	s_delay_alu instid0(VALU_DEP_3) | instskip(SKIP_1) | instid1(VALU_DEP_2)
	v_sub_f32_e32 v28, v22, v24
	v_dual_sub_f32 v15, v16, v24 :: v_dual_fmaak_f32 v16, v23, v25, 0xbd97d4d7
	v_sub_f32_e32 v14, v14, v28
	s_delay_alu instid0(VALU_DEP_1) | instskip(NEXT) | instid1(VALU_DEP_3)
	v_add_f32_e32 v14, v15, v14
	v_fmaak_f32 v15, v23, v16, 0x3dd931b2
	s_delay_alu instid0(VALU_DEP_1) | instskip(NEXT) | instid1(VALU_DEP_1)
	v_fmaak_f32 v15, v23, v15, 0xbe1160e6
	v_fmaak_f32 v15, v23, v15, 0x3e4cb8bf
	s_delay_alu instid0(VALU_DEP_1) | instskip(NEXT) | instid1(VALU_DEP_1)
	v_fmaak_f32 v15, v23, v15, 0xbeaaaa62
	v_mul_f32_e32 v15, v23, v15
	s_delay_alu instid0(VALU_DEP_1) | instskip(NEXT) | instid1(VALU_DEP_1)
	v_dual_sub_f32 v26, v27, v26 :: v_dual_fmac_f32 v13, v13, v15
	v_add_f32_e32 v24, v26, v12
	s_delay_alu instid0(VALU_DEP_1) | instskip(SKIP_1) | instid1(VALU_DEP_1)
	v_sub_f32_e32 v16, v24, v26
	v_add_f32_e32 v14, v24, v14
	v_dual_sub_f32 v24, v24, v16 :: v_dual_add_f32 v25, v22, v14
	v_sub_f32_e32 v12, v12, v16
	s_delay_alu instid0(VALU_DEP_2) | instskip(NEXT) | instid1(VALU_DEP_3)
	v_sub_f32_e32 v16, v26, v24
	v_sub_f32_e32 v22, v25, v22
	s_delay_alu instid0(VALU_DEP_2) | instskip(NEXT) | instid1(VALU_DEP_2)
	v_add_f32_e32 v12, v12, v16
	v_sub_f32_e32 v14, v14, v22
	s_delay_alu instid0(VALU_DEP_1) | instskip(SKIP_1) | instid1(VALU_DEP_2)
	v_add_f32_e32 v12, v12, v14
	v_sub_f32_e32 v14, 0x3fc90fdb, v13
	v_add_f32_e32 v12, v25, v12
	s_delay_alu instid0(VALU_DEP_2) | instskip(NEXT) | instid1(VALU_DEP_2)
	v_cndmask_b32_e64 v13, v13, v14, s2
	v_cndmask_b32_e32 v12, v12, v7, vcc_lo
	v_cmp_gt_i32_e32 vcc_lo, 0, v1
	s_delay_alu instid0(VALU_DEP_3) | instskip(SKIP_4) | instid1(VALU_DEP_2)
	v_sub_f32_e32 v15, 0x40490fdb, v13
	v_cndmask_b32_e64 v14, 0, 0x40490fdb, vcc_lo
	v_cmp_ngt_f32_e32 vcc_lo, -1.0, v7
	v_cndmask_b32_e32 v12, 0x7fc00000, v12, vcc_lo
	v_cmp_gt_f32_e32 vcc_lo, 0, v1
	v_cndmask_b32_e64 v12, 0xff800000, v12, s3
	v_cndmask_b32_e32 v13, v13, v15, vcc_lo
	v_cndmask_b32_e32 v15, 0x3f490fdb, v21, vcc_lo
	v_cmp_gt_f32_e64 vcc_lo, 0x33800000, |v7|
	v_cmp_class_f32_e64 s3, v2, 0x204
	v_cndmask_b32_e32 v7, v12, v7, vcc_lo
	v_cmp_eq_f32_e32 vcc_lo, 0, v2
	v_cndmask_b32_e32 v12, v13, v14, vcc_lo
	s_delay_alu instid0(VALU_DEP_4) | instskip(NEXT) | instid1(VALU_DEP_3)
	s_and_b32 vcc_lo, s5, s3
	v_mul_f32_e32 v13, 0.5, v7
                                        ; implicit-def: $vgpr14
	s_delay_alu instid0(VALU_DEP_2)
	v_cndmask_b32_e32 v7, v12, v15, vcc_lo
                                        ; implicit-def: $vgpr12
.LBB169_79:                             ;   in Loop: Header=BB169_5 Depth=1
	s_and_not1_saveexec_b32 s24, s4
	s_cbranch_execz .LBB169_87
; %bb.80:                               ;   in Loop: Header=BB169_5 Depth=1
	v_mul_f32_e32 v15, v12, v12
                                        ; implicit-def: $vgpr13
                                        ; implicit-def: $vgpr7
	s_mov_b32 s3, exec_lo
	s_delay_alu instid0(VALU_DEP_1) | instskip(NEXT) | instid1(VALU_DEP_1)
	v_fmac_f32_e32 v15, v14, v14
	v_cmpx_ge_f32_e32 0x3f333333, v15
	s_xor_b32 s4, exec_lo, s3
	s_cbranch_execz .LBB169_82
; %bb.81:                               ;   in Loop: Header=BB169_5 Depth=1
	v_max_f32_e64 v7, |v2|, |v2|
	v_max_f32_e64 v12, |v1|, |v1|
	v_cmp_gt_f32_e32 vcc_lo, 0x800000, v15
	v_cmp_gt_i32_e64 s3, 0, v1
	v_cmp_class_f32_e64 s5, v1, 0x204
	v_cmp_class_f32_e64 s6, v2, 0x204
	v_max_f32_e32 v13, v12, v7
	v_min_f32_e32 v7, v12, v7
	v_cndmask_b32_e64 v16, 0, 0x41b17218, vcc_lo
	s_delay_alu instid0(VALU_DEP_3) | instskip(SKIP_1) | instid1(VALU_DEP_2)
	v_frexp_mant_f32_e32 v14, v13
	v_frexp_exp_i32_f32_e32 v13, v13
	v_rcp_f32_e32 v12, v14
	v_frexp_exp_i32_f32_e32 v14, v7
	v_frexp_mant_f32_e32 v7, v7
	s_delay_alu instid0(VALU_DEP_2) | instskip(SKIP_4) | instid1(VALU_DEP_2)
	v_sub_nc_u32_e32 v13, v14, v13
	v_cndmask_b32_e64 v14, 1.0, 0x4f800000, vcc_lo
	s_waitcnt_depctr 0xfff
	v_mul_f32_e32 v7, v7, v12
	v_mul_f32_e32 v14, v15, v14
	v_ldexp_f32 v7, v7, v13
	s_delay_alu instid0(VALU_DEP_2) | instskip(NEXT) | instid1(VALU_DEP_1)
	v_log_f32_e32 v14, v14
	v_mul_f32_e32 v12, v7, v7
	s_delay_alu instid0(VALU_DEP_1) | instskip(SKIP_3) | instid1(VALU_DEP_1)
	v_fmaak_f32 v13, s16, v12, 0xbc7a590c
	s_waitcnt_depctr 0xfff
	v_cmp_gt_f32_e64 vcc_lo, 0x7f800000, |v14|
	v_fmaak_f32 v13, v12, v13, 0x3d29fb3f
	v_fmaak_f32 v13, v12, v13, 0xbd97d4d7
	s_delay_alu instid0(VALU_DEP_1) | instskip(NEXT) | instid1(VALU_DEP_1)
	v_fmaak_f32 v13, v12, v13, 0x3dd931b2
	v_fmaak_f32 v13, v12, v13, 0xbe1160e6
	s_delay_alu instid0(VALU_DEP_1) | instskip(NEXT) | instid1(VALU_DEP_1)
	v_fmaak_f32 v13, v12, v13, 0x3e4cb8bf
	v_fmaak_f32 v13, v12, v13, 0xbeaaaa62
	s_delay_alu instid0(VALU_DEP_1) | instskip(NEXT) | instid1(VALU_DEP_1)
	v_dual_mul_f32 v12, v12, v13 :: v_dual_mul_f32 v13, 0x3f317217, v14
	v_fmac_f32_e32 v7, v7, v12
	s_delay_alu instid0(VALU_DEP_2) | instskip(NEXT) | instid1(VALU_DEP_1)
	v_fma_f32 v12, 0x3f317217, v14, -v13
	v_fmac_f32_e32 v12, 0x3377d1cf, v14
	s_delay_alu instid0(VALU_DEP_1) | instskip(SKIP_2) | instid1(VALU_DEP_3)
	v_add_f32_e32 v12, v13, v12
	v_cndmask_b32_e64 v13, 0, 0x40490fdb, s3
	v_cmp_eq_f32_e64 s3, 0, v2
	v_cndmask_b32_e32 v12, v14, v12, vcc_lo
	v_cmp_gt_f32_e32 vcc_lo, 0, v1
	s_delay_alu instid0(VALU_DEP_2) | instskip(SKIP_2) | instid1(VALU_DEP_1)
	v_sub_f32_e32 v12, v12, v16
	v_cndmask_b32_e32 v14, 0x3f490fdb, v21, vcc_lo
	v_sub_f32_e32 v15, 0x3fc90fdb, v7
	v_cndmask_b32_e64 v7, v7, v15, s2
	s_delay_alu instid0(VALU_DEP_1) | instskip(NEXT) | instid1(VALU_DEP_1)
	v_sub_f32_e32 v15, 0x40490fdb, v7
	v_cndmask_b32_e32 v7, v7, v15, vcc_lo
	s_and_b32 vcc_lo, s5, s6
	s_delay_alu instid0(VALU_DEP_1) | instskip(SKIP_1) | instid1(VALU_DEP_2)
	v_cndmask_b32_e64 v7, v7, v13, s3
	v_mul_f32_e32 v13, 0.5, v12
                                        ; implicit-def: $vgpr12
	v_cndmask_b32_e32 v7, v7, v14, vcc_lo
                                        ; implicit-def: $vgpr14
.LBB169_82:                             ;   in Loop: Header=BB169_5 Depth=1
	s_and_not1_saveexec_b32 s25, s4
	s_cbranch_execz .LBB169_86
; %bb.83:                               ;   in Loop: Header=BB169_5 Depth=1
	v_and_b32_e32 v15, 0x7fff0000, v12
	v_and_b32_e32 v13, 0x7fff0000, v14
	s_mov_b32 s26, 0
	s_delay_alu instid0(VALU_DEP_2) | instskip(NEXT) | instid1(VALU_DEP_2)
	v_sub_f32_e32 v12, v12, v15
	v_sub_f32_e32 v14, v14, v13
	v_mul_f32_e32 v7, v13, v13
	s_delay_alu instid0(VALU_DEP_3) | instskip(NEXT) | instid1(VALU_DEP_3)
	v_dual_add_f32 v23, v13, v13 :: v_dual_and_b32 v22, 0xffff0000, v12
	v_and_b32_e32 v16, 0xffff0000, v14
	v_add_f32_e32 v24, v15, v15
	v_mul_f32_e32 v13, v15, v15
	s_delay_alu instid0(VALU_DEP_3)
	v_dual_sub_f32 v27, v12, v22 :: v_dual_mul_f32 v26, v23, v16
	v_sub_f32_e32 v15, v14, v16
	v_dual_mul_f32 v14, v16, v16 :: v_dual_mul_f32 v25, v22, v22
	v_add_f32_e32 v16, v16, v16
	v_add_f32_e32 v28, v22, v22
	v_mul_f32_e32 v12, v24, v22
	v_mul_f32_e32 v22, v23, v15
	;; [unrolled: 1-line block ×7, first 2 shown]
.LBB169_84:                             ;   Parent Loop BB169_5 Depth=1
                                        ; =>  This Inner Loop Header: Depth=2
	v_cmp_nlt_f32_e32 vcc_lo, v7, v13
	s_delay_alu instid0(VALU_DEP_2) | instskip(SKIP_1) | instid1(VALU_DEP_1)
	v_mov_b32_e32 v29, v27
	v_dual_cndmask_b32 v28, v7, v13 :: v_dual_cndmask_b32 v7, v13, v7
	v_cmp_nlt_f32_e64 s3, v28, v26
	s_delay_alu instid0(VALU_DEP_1) | instskip(SKIP_2) | instid1(VALU_DEP_2)
	v_cndmask_b32_e64 v27, v28, v26, s3
	v_cndmask_b32_e64 v13, v26, v28, s3
	s_and_b32 s27, vcc_lo, s3
	v_cmp_nlt_f32_e64 s4, v27, v12
	s_delay_alu instid0(VALU_DEP_1) | instskip(SKIP_1) | instid1(VALU_DEP_2)
	v_cndmask_b32_e64 v30, v27, v12, s4
	v_cndmask_b32_e64 v26, v12, v27, s4
	v_cmp_nlt_f32_e64 s5, v30, v14
	s_delay_alu instid0(VALU_DEP_1) | instskip(SKIP_2) | instid1(VALU_DEP_2)
	v_cndmask_b32_e64 v28, v30, v14, s5
	v_cndmask_b32_e64 v12, v14, v30, s5
	s_and_b32 s28, s4, s5
	v_cmp_nlt_f32_e64 s6, v28, v25
	s_delay_alu instid0(VALU_DEP_1) | instskip(SKIP_1) | instid1(VALU_DEP_2)
	v_cndmask_b32_e64 v31, v28, v25, s6
	v_cndmask_b32_e64 v14, v25, v28, s6
	v_cmp_nlt_f32_e64 s7, v31, v22
	s_delay_alu instid0(VALU_DEP_1) | instskip(SKIP_2) | instid1(VALU_DEP_2)
	v_cndmask_b32_e64 v32, v31, v22, s7
	s_and_b32 s5, s6, s7
	v_cndmask_b32_e64 v25, v22, v31, s7
	v_cmp_nlt_f32_e64 s8, v32, v24
	s_delay_alu instid0(VALU_DEP_1) | instskip(SKIP_2) | instid1(VALU_DEP_2)
	v_cndmask_b32_e64 v33, v32, v24, s8
	s_and_b32 s5, s5, s8
	v_cndmask_b32_e64 v22, v24, v32, s8
	v_cmp_nlt_f32_e32 vcc_lo, v33, v23
	v_cndmask_b32_e32 v34, v33, v23, vcc_lo
	s_and_b32 s6, s5, vcc_lo
	v_cndmask_b32_e32 v24, v23, v33, vcc_lo
	s_delay_alu instid0(VALU_DEP_2) | instskip(NEXT) | instid1(VALU_DEP_1)
	v_cmp_nlt_f32_e64 s3, v34, v16
	v_cndmask_b32_e64 v30, v34, v16, s3
	s_and_b32 s6, s6, s3
	v_cndmask_b32_e64 v23, v16, v34, s3
	s_delay_alu instid0(VALU_DEP_2) | instskip(NEXT) | instid1(VALU_DEP_1)
	v_cmp_nlt_f32_e64 s4, v30, v15
	v_cndmask_b32_e64 v28, v30, v15, s4
	s_and_b32 s6, s6, s4
	v_cndmask_b32_e64 v16, v15, v30, s4
	s_delay_alu instid0(VALU_DEP_2) | instskip(NEXT) | instid1(VALU_DEP_1)
	v_cmp_nlt_f32_e64 s5, v28, v29
	s_and_b32 s6, s6, s5
	v_cndmask_b32_e64 v27, v28, v29, s5
	s_and_b32 s3, s6, s28
	v_cndmask_b32_e64 v15, v29, v28, s5
	s_and_b32 s3, s3, s27
	s_delay_alu instid0(SALU_CYCLE_1) | instskip(NEXT) | instid1(SALU_CYCLE_1)
	s_and_b32 s3, exec_lo, s3
	s_or_b32 s26, s3, s26
	s_delay_alu instid0(SALU_CYCLE_1)
	s_and_not1_b32 exec_lo, exec_lo, s26
	s_cbranch_execnz .LBB169_84
; %bb.85:                               ;   in Loop: Header=BB169_5 Depth=1
	s_or_b32 exec_lo, exec_lo, s26
	v_add_f32_e32 v7, -1.0, v7
	v_cmp_class_f32_e64 s4, v1, 0x204
	s_delay_alu instid0(VALU_DEP_2) | instskip(NEXT) | instid1(VALU_DEP_1)
	v_add_f32_e32 v7, v7, v13
	v_add_f32_e32 v7, v7, v26
	s_delay_alu instid0(VALU_DEP_1) | instskip(NEXT) | instid1(VALU_DEP_1)
	v_add_f32_e32 v7, v7, v12
	v_add_f32_e32 v7, v7, v14
	s_delay_alu instid0(VALU_DEP_1) | instskip(NEXT) | instid1(VALU_DEP_1)
	;; [unrolled: 3-line block ×5, first 2 shown]
	v_add_f32_e32 v7, v27, v7
	v_add_f32_e32 v14, 1.0, v7
	s_delay_alu instid0(VALU_DEP_1) | instskip(NEXT) | instid1(VALU_DEP_1)
	v_cvt_f64_f32_e32 v[12:13], v14
	v_frexp_exp_i32_f64_e32 v12, v[12:13]
	v_frexp_mant_f32_e32 v13, v14
	s_delay_alu instid0(VALU_DEP_1) | instskip(SKIP_1) | instid1(VALU_DEP_1)
	v_cmp_gt_f32_e32 vcc_lo, 0x3f2aaaab, v13
	v_add_f32_e32 v13, -1.0, v14
	v_dual_sub_f32 v16, v13, v14 :: v_dual_sub_f32 v13, v7, v13
	s_delay_alu instid0(VALU_DEP_1) | instskip(SKIP_1) | instid1(VALU_DEP_1)
	v_add_f32_e32 v16, 1.0, v16
	v_subrev_co_ci_u32_e32 v12, vcc_lo, 0, v12, vcc_lo
	v_sub_nc_u32_e32 v15, 0, v12
	v_cvt_f32_i32_e32 v12, v12
	s_delay_alu instid0(VALU_DEP_2) | instskip(NEXT) | instid1(VALU_DEP_1)
	v_ldexp_f32 v14, v14, v15
	v_dual_add_f32 v22, 1.0, v14 :: v_dual_add_f32 v13, v13, v16
	s_delay_alu instid0(VALU_DEP_1) | instskip(NEXT) | instid1(VALU_DEP_2)
	v_add_f32_e32 v16, -1.0, v22
	v_ldexp_f32 v13, v13, v15
	s_delay_alu instid0(VALU_DEP_2) | instskip(NEXT) | instid1(VALU_DEP_1)
	v_dual_add_f32 v15, -1.0, v14 :: v_dual_sub_f32 v16, v14, v16
	v_dual_add_f32 v23, 1.0, v15 :: v_dual_add_f32 v16, v13, v16
	s_delay_alu instid0(VALU_DEP_1) | instskip(NEXT) | instid1(VALU_DEP_2)
	v_sub_f32_e32 v14, v14, v23
	v_add_f32_e32 v23, v22, v16
	s_delay_alu instid0(VALU_DEP_2) | instskip(NEXT) | instid1(VALU_DEP_2)
	v_add_f32_e32 v13, v13, v14
	v_rcp_f32_e32 v14, v23
	v_sub_f32_e32 v22, v23, v22
	s_delay_alu instid0(VALU_DEP_2) | instskip(NEXT) | instid1(VALU_DEP_2)
	v_add_f32_e32 v24, v15, v13
	v_sub_f32_e32 v16, v16, v22
	s_delay_alu instid0(VALU_DEP_2) | instskip(SKIP_2) | instid1(VALU_DEP_1)
	v_sub_f32_e32 v15, v24, v15
	s_waitcnt_depctr 0xfff
	v_mul_f32_e32 v25, v24, v14
	v_dual_sub_f32 v13, v13, v15 :: v_dual_mul_f32 v26, v23, v25
	s_delay_alu instid0(VALU_DEP_1) | instskip(NEXT) | instid1(VALU_DEP_1)
	v_fma_f32 v22, v25, v23, -v26
	v_fmac_f32_e32 v22, v25, v16
	s_delay_alu instid0(VALU_DEP_1) | instskip(NEXT) | instid1(VALU_DEP_1)
	v_add_f32_e32 v27, v26, v22
	v_dual_sub_f32 v28, v24, v27 :: v_dual_sub_f32 v15, v27, v26
	s_delay_alu instid0(VALU_DEP_1) | instskip(NEXT) | instid1(VALU_DEP_1)
	v_dual_sub_f32 v24, v24, v28 :: v_dual_sub_f32 v15, v15, v22
	v_sub_f32_e32 v24, v24, v27
	s_delay_alu instid0(VALU_DEP_1) | instskip(NEXT) | instid1(VALU_DEP_1)
	v_add_f32_e32 v13, v13, v24
	v_add_f32_e32 v13, v15, v13
	s_delay_alu instid0(VALU_DEP_1) | instskip(NEXT) | instid1(VALU_DEP_1)
	v_add_f32_e32 v15, v28, v13
	v_mul_f32_e32 v22, v14, v15
	s_delay_alu instid0(VALU_DEP_1) | instskip(NEXT) | instid1(VALU_DEP_1)
	v_dual_sub_f32 v27, v28, v15 :: v_dual_mul_f32 v24, v23, v22
	v_add_f32_e32 v13, v13, v27
	s_delay_alu instid0(VALU_DEP_2) | instskip(NEXT) | instid1(VALU_DEP_1)
	v_fma_f32 v23, v22, v23, -v24
	v_fmac_f32_e32 v23, v22, v16
	s_delay_alu instid0(VALU_DEP_1) | instskip(NEXT) | instid1(VALU_DEP_1)
	v_add_f32_e32 v16, v24, v23
	v_sub_f32_e32 v26, v15, v16
	v_sub_f32_e32 v24, v16, v24
	v_cmp_eq_f32_e32 vcc_lo, 0x7f800000, v7
	v_cmp_neq_f32_e64 s3, -1.0, v7
	s_delay_alu instid0(VALU_DEP_4) | instskip(NEXT) | instid1(VALU_DEP_1)
	v_sub_f32_e32 v15, v15, v26
	v_dual_sub_f32 v15, v15, v16 :: v_dual_sub_f32 v16, v24, v23
	v_max_f32_e64 v23, |v2|, |v2|
	s_delay_alu instid0(VALU_DEP_2) | instskip(NEXT) | instid1(VALU_DEP_1)
	v_add_f32_e32 v13, v13, v15
	v_add_f32_e32 v13, v16, v13
	s_delay_alu instid0(VALU_DEP_1) | instskip(NEXT) | instid1(VALU_DEP_1)
	v_dual_add_f32 v13, v26, v13 :: v_dual_mul_f32 v26, 0x3f317218, v12
	v_mul_f32_e32 v13, v14, v13
	s_delay_alu instid0(VALU_DEP_2) | instskip(NEXT) | instid1(VALU_DEP_1)
	v_fma_f32 v27, 0x3f317218, v12, -v26
	v_fmac_f32_e32 v27, 0xb102e308, v12
	v_add_f32_e32 v15, v25, v22
	s_delay_alu instid0(VALU_DEP_1) | instskip(NEXT) | instid1(VALU_DEP_1)
	v_sub_f32_e32 v16, v15, v25
	v_sub_f32_e32 v16, v22, v16
	s_delay_alu instid0(VALU_DEP_1) | instskip(NEXT) | instid1(VALU_DEP_1)
	v_add_f32_e32 v13, v16, v13
	v_add_f32_e32 v14, v15, v13
	s_delay_alu instid0(VALU_DEP_1) | instskip(SKIP_1) | instid1(VALU_DEP_2)
	v_mul_f32_e32 v16, v14, v14
	v_ldexp_f32 v25, v14, 1
	v_fmaak_f32 v22, s14, v16, 0x3ecc95a3
	v_mul_f32_e32 v24, v14, v16
	v_sub_f32_e32 v14, v14, v15
	s_delay_alu instid0(VALU_DEP_3) | instskip(SKIP_1) | instid1(VALU_DEP_2)
	v_fmaak_f32 v16, v16, v22, 0x3f2aaada
	v_max_f32_e64 v22, |v1|, |v1|
	v_dual_sub_f32 v13, v13, v14 :: v_dual_mul_f32 v16, v24, v16
	s_delay_alu instid0(VALU_DEP_2) | instskip(SKIP_1) | instid1(VALU_DEP_3)
	v_max_f32_e32 v24, v22, v23
	v_min_f32_e32 v22, v22, v23
	v_ldexp_f32 v13, v13, 1
	s_delay_alu instid0(VALU_DEP_4) | instskip(NEXT) | instid1(VALU_DEP_4)
	v_add_f32_e32 v15, v25, v16
	v_frexp_mant_f32_e32 v23, v24
	v_frexp_exp_i32_f32_e32 v24, v24
	s_delay_alu instid0(VALU_DEP_3) | instskip(NEXT) | instid1(VALU_DEP_3)
	v_sub_f32_e32 v14, v15, v25
	v_rcp_f32_e32 v23, v23
	v_frexp_exp_i32_f32_e32 v25, v22
	s_delay_alu instid0(VALU_DEP_2) | instskip(SKIP_1) | instid1(VALU_DEP_3)
	v_sub_f32_e32 v14, v16, v14
	v_frexp_mant_f32_e32 v16, v22
	v_sub_nc_u32_e32 v22, v25, v24
	s_delay_alu instid0(VALU_DEP_3)
	v_add_f32_e32 v12, v13, v14
	v_add_f32_e32 v14, v26, v27
	s_delay_alu instid0(TRANS32_DEP_1) | instid1(VALU_DEP_2)
	v_dual_mul_f32 v13, v16, v23 :: v_dual_add_f32 v16, v15, v12
	s_delay_alu instid0(VALU_DEP_2) | instskip(NEXT) | instid1(VALU_DEP_2)
	v_sub_f32_e32 v26, v14, v26
	v_ldexp_f32 v13, v13, v22
	s_delay_alu instid0(VALU_DEP_3) | instskip(NEXT) | instid1(VALU_DEP_2)
	v_add_f32_e32 v22, v14, v16
	v_dual_sub_f32 v26, v27, v26 :: v_dual_mul_f32 v23, v13, v13
	s_delay_alu instid0(VALU_DEP_2) | instskip(NEXT) | instid1(VALU_DEP_1)
	v_sub_f32_e32 v24, v22, v14
	v_dual_sub_f32 v28, v22, v24 :: v_dual_fmaak_f32 v25, s16, v23, 0xbc7a590c
	s_delay_alu instid0(VALU_DEP_1) | instskip(SKIP_1) | instid1(VALU_DEP_1)
	v_dual_sub_f32 v14, v14, v28 :: v_dual_fmaak_f32 v25, v23, v25, 0x3d29fb3f
	v_sub_f32_e32 v15, v16, v15
	v_sub_f32_e32 v12, v12, v15
	s_delay_alu instid0(VALU_DEP_3) | instskip(NEXT) | instid1(VALU_DEP_1)
	v_dual_sub_f32 v15, v16, v24 :: v_dual_fmaak_f32 v16, v23, v25, 0xbd97d4d7
	v_add_f32_e32 v14, v15, v14
	s_delay_alu instid0(VALU_DEP_2) | instskip(NEXT) | instid1(VALU_DEP_1)
	v_fmaak_f32 v15, v23, v16, 0x3dd931b2
	v_dual_add_f32 v24, v26, v12 :: v_dual_fmaak_f32 v15, v23, v15, 0xbe1160e6
	s_delay_alu instid0(VALU_DEP_1) | instskip(NEXT) | instid1(VALU_DEP_1)
	v_dual_sub_f32 v16, v24, v26 :: v_dual_fmaak_f32 v15, v23, v15, 0x3e4cb8bf
	v_dual_sub_f32 v12, v12, v16 :: v_dual_fmaak_f32 v15, v23, v15, 0xbeaaaa62
	s_delay_alu instid0(VALU_DEP_1) | instskip(NEXT) | instid1(VALU_DEP_1)
	v_mul_f32_e32 v15, v23, v15
	v_dual_fmac_f32 v13, v13, v15 :: v_dual_add_f32 v14, v24, v14
	s_delay_alu instid0(VALU_DEP_1) | instskip(NEXT) | instid1(VALU_DEP_1)
	v_dual_sub_f32 v24, v24, v16 :: v_dual_add_f32 v25, v22, v14
	v_sub_f32_e32 v16, v26, v24
	s_delay_alu instid0(VALU_DEP_2) | instskip(NEXT) | instid1(VALU_DEP_2)
	v_sub_f32_e32 v22, v25, v22
	v_add_f32_e32 v12, v12, v16
	s_delay_alu instid0(VALU_DEP_2) | instskip(NEXT) | instid1(VALU_DEP_1)
	v_sub_f32_e32 v14, v14, v22
	v_add_f32_e32 v12, v12, v14
	v_sub_f32_e32 v14, 0x3fc90fdb, v13
	s_delay_alu instid0(VALU_DEP_2) | instskip(NEXT) | instid1(VALU_DEP_2)
	v_add_f32_e32 v12, v25, v12
	v_cndmask_b32_e64 v13, v13, v14, s2
	s_delay_alu instid0(VALU_DEP_2) | instskip(SKIP_1) | instid1(VALU_DEP_3)
	v_cndmask_b32_e32 v12, v12, v7, vcc_lo
	v_cmp_gt_i32_e32 vcc_lo, 0, v1
	v_sub_f32_e32 v15, 0x40490fdb, v13
	v_cndmask_b32_e64 v14, 0, 0x40490fdb, vcc_lo
	v_cmp_ngt_f32_e32 vcc_lo, -1.0, v7
	v_cndmask_b32_e32 v12, 0x7fc00000, v12, vcc_lo
	v_cmp_gt_f32_e32 vcc_lo, 0, v1
	s_delay_alu instid0(VALU_DEP_2)
	v_cndmask_b32_e64 v12, 0xff800000, v12, s3
	v_cndmask_b32_e32 v13, v13, v15, vcc_lo
	v_cndmask_b32_e32 v15, 0x3f490fdb, v21, vcc_lo
	v_cmp_gt_f32_e64 vcc_lo, 0x33800000, |v7|
	v_cmp_class_f32_e64 s3, v2, 0x204
	v_cndmask_b32_e32 v7, v12, v7, vcc_lo
	v_cmp_eq_f32_e32 vcc_lo, 0, v2
	s_delay_alu instid0(VALU_DEP_2) | instskip(NEXT) | instid1(VALU_DEP_4)
	v_dual_cndmask_b32 v12, v13, v14 :: v_dual_mul_f32 v13, 0.5, v7
	s_and_b32 vcc_lo, s4, s3
	s_delay_alu instid0(VALU_DEP_1)
	v_cndmask_b32_e32 v7, v12, v15, vcc_lo
.LBB169_86:                             ;   in Loop: Header=BB169_5 Depth=1
	s_or_b32 exec_lo, exec_lo, s25
.LBB169_87:                             ;   in Loop: Header=BB169_5 Depth=1
	s_delay_alu instid0(SALU_CYCLE_1)
	s_or_b32 exec_lo, exec_lo, s24
.LBB169_88:                             ;   in Loop: Header=BB169_5 Depth=1
	s_and_not1_saveexec_b32 s4, s23
	s_cbranch_execz .LBB169_90
; %bb.89:                               ;   in Loop: Header=BB169_5 Depth=1
	v_max_f32_e64 v7, |v2|, |v2|
	v_max_f32_e64 v14, |v1|, |v1|
	v_cmp_gt_i32_e64 s3, 0, v1
	v_cmp_class_f32_e64 s5, v1, 0x204
	v_cmp_class_f32_e64 s6, v2, 0x204
	s_delay_alu instid0(VALU_DEP_4) | instskip(SKIP_1) | instid1(VALU_DEP_2)
	v_max_f32_e32 v15, v14, v7
	v_min_f32_e32 v7, v14, v7
	v_cvt_f64_f32_e32 v[12:13], v15
	v_frexp_exp_i32_f32_e32 v14, v15
	s_delay_alu instid0(VALU_DEP_3) | instskip(SKIP_1) | instid1(VALU_DEP_2)
	v_frexp_exp_i32_f32_e32 v16, v7
	v_frexp_mant_f32_e32 v7, v7
	v_sub_nc_u32_e32 v14, v16, v14
	v_frexp_exp_i32_f64_e32 v12, v[12:13]
	v_frexp_mant_f32_e32 v13, v15
	s_delay_alu instid0(VALU_DEP_1) | instskip(SKIP_2) | instid1(VALU_DEP_1)
	v_rcp_f32_e32 v13, v13
	s_waitcnt_depctr 0xfff
	v_mul_f32_e32 v7, v7, v13
	v_ldexp_f32 v7, v7, v14
	s_delay_alu instid0(VALU_DEP_1) | instskip(SKIP_1) | instid1(VALU_DEP_1)
	v_mul_f32_e32 v16, v7, v7
	v_sub_nc_u32_e32 v22, 0, v12
	v_ldexp_f32 v13, |v2|, v22
	v_ldexp_f32 v14, |v1|, v22
	s_delay_alu instid0(VALU_DEP_2) | instskip(NEXT) | instid1(VALU_DEP_1)
	v_mul_f32_e32 v13, v13, v13
	v_dual_fmac_f32 v13, v14, v14 :: v_dual_fmaak_f32 v14, s16, v16, 0xbc7a590c
	v_cmp_neq_f32_e32 vcc_lo, 0x7f800000, v15
	s_delay_alu instid0(VALU_DEP_2) | instskip(NEXT) | instid1(VALU_DEP_2)
	v_sqrt_f32_e32 v13, v13
	v_fmaak_f32 v14, v16, v14, 0x3d29fb3f
	s_delay_alu instid0(VALU_DEP_1) | instskip(SKIP_3) | instid1(VALU_DEP_2)
	v_fmaak_f32 v14, v16, v14, 0xbd97d4d7
	s_waitcnt_depctr 0xfff
	v_ldexp_f32 v12, v13, v12
	v_fmaak_f32 v13, v16, v14, 0x3dd931b2
	v_cndmask_b32_e32 v12, 0x7f800000, v12, vcc_lo
	s_delay_alu instid0(VALU_DEP_2) | instskip(NEXT) | instid1(VALU_DEP_2)
	v_fmaak_f32 v13, v16, v13, 0xbe1160e6
	v_cmp_gt_f32_e32 vcc_lo, 0x800000, v12
	s_delay_alu instid0(VALU_DEP_2) | instskip(SKIP_1) | instid1(VALU_DEP_2)
	v_fmaak_f32 v13, v16, v13, 0x3e4cb8bf
	v_cndmask_b32_e64 v14, 1.0, 0x4f800000, vcc_lo
	v_fmaak_f32 v13, v16, v13, 0xbeaaaa62
	s_delay_alu instid0(VALU_DEP_1) | instskip(NEXT) | instid1(VALU_DEP_1)
	v_mul_f32_e32 v13, v16, v13
	v_dual_mul_f32 v12, v12, v14 :: v_dual_fmac_f32 v7, v7, v13
	s_delay_alu instid0(VALU_DEP_1) | instskip(NEXT) | instid1(VALU_DEP_1)
	v_log_f32_e32 v12, v12
	v_sub_f32_e32 v14, 0x3fc90fdb, v7
	s_delay_alu instid0(VALU_DEP_1)
	v_cndmask_b32_e64 v7, v7, v14, s2
	s_waitcnt_depctr 0xfff
	v_mul_f32_e32 v13, 0x3f317217, v12
	v_cndmask_b32_e64 v14, 0, 0x40490fdb, s3
	v_cmp_gt_f32_e64 s3, 0, v1
	v_sub_f32_e32 v16, 0x40490fdb, v7
	s_delay_alu instid0(VALU_DEP_4) | instskip(NEXT) | instid1(VALU_DEP_2)
	v_fma_f32 v15, 0x3f317217, v12, -v13
	v_cndmask_b32_e64 v7, v7, v16, s3
	v_cndmask_b32_e64 v16, 0, 0x41b17218, vcc_lo
	v_cmp_gt_f32_e64 vcc_lo, 0x7f800000, |v12|
	s_delay_alu instid0(VALU_DEP_4) | instskip(NEXT) | instid1(VALU_DEP_1)
	v_fmac_f32_e32 v15, 0x3377d1cf, v12
	v_add_f32_e32 v13, v13, v15
	v_cndmask_b32_e64 v15, 0x3f490fdb, v21, s3
	s_delay_alu instid0(VALU_DEP_2) | instskip(SKIP_1) | instid1(VALU_DEP_2)
	v_cndmask_b32_e32 v12, v12, v13, vcc_lo
	v_cmp_eq_f32_e32 vcc_lo, 0, v2
	v_sub_f32_e32 v13, v12, v16
	v_cndmask_b32_e32 v7, v7, v14, vcc_lo
	s_and_b32 vcc_lo, s5, s6
	s_delay_alu instid0(VALU_DEP_1)
	v_cndmask_b32_e32 v7, v7, v15, vcc_lo
.LBB169_90:                             ;   in Loop: Header=BB169_5 Depth=1
	s_or_b32 exec_lo, exec_lo, s4
                                        ; implicit-def: $vgpr12
.LBB169_91:                             ;   in Loop: Header=BB169_5 Depth=1
	s_and_not1_saveexec_b32 s4, s22
	s_cbranch_execz .LBB169_97
; %bb.92:                               ;   in Loop: Header=BB169_5 Depth=1
                                        ; implicit-def: $vgpr13
                                        ; implicit-def: $vgpr7
	s_mov_b32 s3, exec_lo
	v_cmpx_ngt_f32_e32 0x1fec1e4a, v12
	s_xor_b32 s5, exec_lo, s3
	s_cbranch_execz .LBB169_94
; %bb.93:                               ;   in Loop: Header=BB169_5 Depth=1
	v_mul_f32_e32 v7, v12, v12
	v_cmp_gt_f32_e64 s3, 0, v1
	v_cmp_class_f32_e64 s6, v1, 0x204
	v_cmp_class_f32_e64 s8, v2, 0x204
	s_delay_alu instid0(VALU_DEP_4) | instskip(NEXT) | instid1(VALU_DEP_1)
	v_add_f32_e32 v14, 1.0, v7
	v_cvt_f64_f32_e32 v[12:13], v14
	s_delay_alu instid0(VALU_DEP_1) | instskip(SKIP_1) | instid1(VALU_DEP_1)
	v_frexp_exp_i32_f64_e32 v12, v[12:13]
	v_frexp_mant_f32_e32 v13, v14
	v_cmp_gt_f32_e32 vcc_lo, 0x3f2aaaab, v13
	v_add_f32_e32 v13, -1.0, v14
	s_delay_alu instid0(VALU_DEP_1) | instskip(SKIP_1) | instid1(VALU_DEP_2)
	v_sub_f32_e32 v16, v13, v14
	v_cmp_gt_f32_e64 s7, 0x33800000, |v7|
	v_dual_add_f32 v16, 1.0, v16 :: v_dual_sub_f32 v13, v7, v13
	s_delay_alu instid0(VALU_DEP_1) | instskip(SKIP_2) | instid1(VALU_DEP_2)
	v_add_f32_e32 v13, v13, v16
	v_subrev_co_ci_u32_e32 v12, vcc_lo, 0, v12, vcc_lo
	v_cmp_gt_i32_e32 vcc_lo, 0, v1
	v_sub_nc_u32_e32 v15, 0, v12
	v_cvt_f32_i32_e32 v12, v12
	s_delay_alu instid0(VALU_DEP_2) | instskip(SKIP_1) | instid1(VALU_DEP_2)
	v_ldexp_f32 v14, v14, v15
	v_ldexp_f32 v13, v13, v15
	v_add_f32_e32 v22, 1.0, v14
	v_add_f32_e32 v15, -1.0, v14
	s_delay_alu instid0(VALU_DEP_1) | instskip(NEXT) | instid1(VALU_DEP_1)
	v_dual_add_f32 v16, -1.0, v22 :: v_dual_add_f32 v23, 1.0, v15
	v_sub_f32_e32 v16, v14, v16
	s_delay_alu instid0(VALU_DEP_2) | instskip(NEXT) | instid1(VALU_DEP_2)
	v_sub_f32_e32 v14, v14, v23
	v_add_f32_e32 v16, v13, v16
	s_delay_alu instid0(VALU_DEP_2) | instskip(NEXT) | instid1(VALU_DEP_1)
	v_add_f32_e32 v13, v13, v14
	v_dual_add_f32 v23, v22, v16 :: v_dual_add_f32 v24, v15, v13
	s_delay_alu instid0(VALU_DEP_1) | instskip(NEXT) | instid1(VALU_DEP_1)
	v_rcp_f32_e32 v14, v23
	v_dual_sub_f32 v22, v22, v23 :: v_dual_sub_f32 v15, v15, v24
	s_delay_alu instid0(VALU_DEP_1) | instskip(SKIP_3) | instid1(VALU_DEP_2)
	v_add_f32_e32 v13, v13, v15
	s_waitcnt_depctr 0xfff
	v_mul_f32_e32 v25, v24, v14
	v_add_f32_e32 v16, v16, v22
	v_mul_f32_e32 v26, v23, v25
	s_delay_alu instid0(VALU_DEP_1) | instskip(NEXT) | instid1(VALU_DEP_1)
	v_fma_f32 v22, v25, v23, -v26
	v_fmac_f32_e32 v22, v25, v16
	s_delay_alu instid0(VALU_DEP_1) | instskip(NEXT) | instid1(VALU_DEP_1)
	v_add_f32_e32 v27, v26, v22
	v_sub_f32_e32 v28, v24, v27
	s_delay_alu instid0(VALU_DEP_1) | instskip(NEXT) | instid1(VALU_DEP_1)
	v_dual_sub_f32 v24, v24, v28 :: v_dual_sub_f32 v15, v27, v26
	v_dual_sub_f32 v15, v15, v22 :: v_dual_sub_f32 v24, v24, v27
	s_delay_alu instid0(VALU_DEP_1) | instskip(NEXT) | instid1(VALU_DEP_1)
	v_add_f32_e32 v13, v13, v24
	v_add_f32_e32 v13, v15, v13
	s_delay_alu instid0(VALU_DEP_1) | instskip(NEXT) | instid1(VALU_DEP_1)
	v_add_f32_e32 v15, v28, v13
	v_mul_f32_e32 v22, v14, v15
	s_delay_alu instid0(VALU_DEP_1) | instskip(NEXT) | instid1(VALU_DEP_1)
	v_dual_mul_f32 v24, v23, v22 :: v_dual_sub_f32 v27, v28, v15
	v_fma_f32 v23, v22, v23, -v24
	s_delay_alu instid0(VALU_DEP_1) | instskip(NEXT) | instid1(VALU_DEP_1)
	v_fmac_f32_e32 v23, v22, v16
	v_add_f32_e32 v16, v24, v23
	s_delay_alu instid0(VALU_DEP_1) | instskip(NEXT) | instid1(VALU_DEP_1)
	v_dual_add_f32 v13, v13, v27 :: v_dual_sub_f32 v26, v15, v16
	v_sub_f32_e32 v15, v15, v26
	s_delay_alu instid0(VALU_DEP_1) | instskip(NEXT) | instid1(VALU_DEP_1)
	v_sub_f32_e32 v15, v15, v16
	v_add_f32_e32 v13, v13, v15
	v_dual_add_f32 v15, v25, v22 :: v_dual_sub_f32 v24, v16, v24
	s_delay_alu instid0(VALU_DEP_1) | instskip(NEXT) | instid1(VALU_DEP_1)
	v_sub_f32_e32 v16, v24, v23
	v_add_f32_e32 v13, v16, v13
	s_delay_alu instid0(VALU_DEP_3) | instskip(NEXT) | instid1(VALU_DEP_2)
	v_sub_f32_e32 v16, v15, v25
	v_add_f32_e32 v13, v26, v13
	s_delay_alu instid0(VALU_DEP_2) | instskip(SKIP_1) | instid1(VALU_DEP_3)
	v_sub_f32_e32 v16, v22, v16
	v_max_f32_e64 v22, |v1|, |v1|
	v_mul_f32_e32 v13, v14, v13
	v_max_f32_e64 v14, |v2|, |v2|
	s_delay_alu instid0(VALU_DEP_1) | instskip(SKIP_1) | instid1(VALU_DEP_2)
	v_dual_add_f32 v13, v16, v13 :: v_dual_max_f32 v24, v22, v14
	v_min_f32_e32 v14, v22, v14
	v_add_f32_e32 v16, v15, v13
	s_delay_alu instid0(VALU_DEP_3) | instskip(SKIP_1) | instid1(VALU_DEP_3)
	v_frexp_mant_f32_e32 v26, v24
	v_frexp_exp_i32_f32_e32 v22, v24
	v_mul_f32_e32 v23, v16, v16
	s_delay_alu instid0(VALU_DEP_1) | instskip(SKIP_3) | instid1(VALU_DEP_3)
	v_fmaak_f32 v25, s14, v23, 0x3ecc95a3
	v_sub_f32_e32 v15, v16, v15
	v_mul_f32_e32 v24, v16, v23
	v_ldexp_f32 v27, v16, 1
	v_sub_f32_e32 v13, v13, v15
	s_delay_alu instid0(VALU_DEP_1) | instskip(SKIP_4) | instid1(VALU_DEP_3)
	v_ldexp_f32 v13, v13, 1
	v_fmaak_f32 v23, v23, v25, 0x3f2aaada
	v_rcp_f32_e32 v25, v26
	v_frexp_exp_i32_f32_e32 v26, v14
	v_frexp_mant_f32_e32 v14, v14
	v_dual_mul_f32 v23, v24, v23 :: v_dual_mul_f32 v24, 0x3f317218, v12
	s_delay_alu instid0(VALU_DEP_3) | instskip(NEXT) | instid1(VALU_DEP_2)
	v_sub_nc_u32_e32 v22, v26, v22
	v_add_f32_e32 v16, v27, v23
	s_waitcnt_depctr 0xfff
	v_dual_mul_f32 v14, v14, v25 :: v_dual_sub_f32 v15, v16, v27
	s_delay_alu instid0(VALU_DEP_1) | instskip(SKIP_1) | instid1(VALU_DEP_1)
	v_ldexp_f32 v14, v14, v22
	v_fma_f32 v22, 0x3f317218, v12, -v24
	v_dual_fmac_f32 v22, 0xb102e308, v12 :: v_dual_sub_f32 v15, v23, v15
	s_delay_alu instid0(VALU_DEP_1) | instskip(NEXT) | instid1(VALU_DEP_1)
	v_dual_add_f32 v12, v13, v15 :: v_dual_add_f32 v15, v24, v22
	v_add_f32_e32 v25, v16, v12
	s_delay_alu instid0(VALU_DEP_1) | instskip(NEXT) | instid1(VALU_DEP_1)
	v_add_f32_e32 v26, v15, v25
	v_dual_sub_f32 v16, v25, v16 :: v_dual_sub_f32 v27, v26, v15
	s_delay_alu instid0(VALU_DEP_1) | instskip(NEXT) | instid1(VALU_DEP_2)
	v_sub_f32_e32 v12, v12, v16
	v_sub_f32_e32 v28, v26, v27
	v_dual_mul_f32 v23, v14, v14 :: v_dual_sub_f32 v24, v15, v24
	s_delay_alu instid0(VALU_DEP_2) | instskip(NEXT) | instid1(VALU_DEP_2)
	v_dual_sub_f32 v16, v25, v27 :: v_dual_sub_f32 v15, v15, v28
	v_dual_fmaak_f32 v13, s16, v23, 0xbc7a590c :: v_dual_sub_f32 v22, v22, v24
	s_delay_alu instid0(VALU_DEP_2) | instskip(NEXT) | instid1(VALU_DEP_2)
	v_add_f32_e32 v15, v16, v15
	v_dual_fmaak_f32 v13, v23, v13, 0x3d29fb3f :: v_dual_add_f32 v24, v22, v12
	s_delay_alu instid0(VALU_DEP_1) | instskip(NEXT) | instid1(VALU_DEP_1)
	v_dual_fmaak_f32 v13, v23, v13, 0xbd97d4d7 :: v_dual_sub_f32 v16, v24, v22
	v_dual_fmaak_f32 v13, v23, v13, 0x3dd931b2 :: v_dual_sub_f32 v12, v12, v16
	s_delay_alu instid0(VALU_DEP_1) | instskip(NEXT) | instid1(VALU_DEP_1)
	v_fmaak_f32 v13, v23, v13, 0xbe1160e6
	v_fmaak_f32 v13, v23, v13, 0x3e4cb8bf
	s_delay_alu instid0(VALU_DEP_1) | instskip(NEXT) | instid1(VALU_DEP_1)
	v_fmaak_f32 v13, v23, v13, 0xbeaaaa62
	v_mul_f32_e32 v13, v23, v13
	s_delay_alu instid0(VALU_DEP_1) | instskip(NEXT) | instid1(VALU_DEP_1)
	v_dual_sub_f32 v23, v24, v16 :: v_dual_fmac_f32 v14, v14, v13
	v_dual_sub_f32 v13, v22, v23 :: v_dual_sub_f32 v22, 0x3fc90fdb, v14
	v_add_f32_e32 v15, v24, v15
	s_delay_alu instid0(VALU_DEP_2) | instskip(NEXT) | instid1(VALU_DEP_2)
	v_cndmask_b32_e64 v14, v14, v22, s2
	v_add_f32_e32 v24, v26, v15
	s_delay_alu instid0(VALU_DEP_1) | instskip(NEXT) | instid1(VALU_DEP_1)
	v_sub_f32_e32 v16, v24, v26
	v_dual_add_f32 v12, v12, v13 :: v_dual_sub_f32 v13, v15, v16
	v_cndmask_b32_e64 v15, 0, 0x40490fdb, vcc_lo
	v_cmp_eq_f32_e32 vcc_lo, 0x7f800000, v7
	s_delay_alu instid0(VALU_DEP_3) | instskip(SKIP_1) | instid1(VALU_DEP_1)
	v_dual_add_f32 v12, v12, v13 :: v_dual_sub_f32 v13, 0x40490fdb, v14
	s_or_b32 vcc_lo, vcc_lo, s7
	v_add_f32_e32 v12, v24, v12
	s_delay_alu instid0(VALU_DEP_2) | instskip(SKIP_1) | instid1(VALU_DEP_3)
	v_cndmask_b32_e64 v13, v14, v13, s3
	v_cndmask_b32_e64 v14, 0x3f490fdb, v21, s3
	v_cndmask_b32_e32 v7, v12, v7, vcc_lo
	v_cmp_eq_f32_e32 vcc_lo, 0, v2
	s_delay_alu instid0(VALU_DEP_4) | instskip(SKIP_1) | instid1(VALU_DEP_3)
	v_cndmask_b32_e32 v12, v13, v15, vcc_lo
	s_and_b32 vcc_lo, s6, s8
	v_mul_f32_e32 v13, 0.5, v7
	s_delay_alu instid0(VALU_DEP_2)
	v_cndmask_b32_e32 v7, v12, v14, vcc_lo
                                        ; implicit-def: $vgpr12
.LBB169_94:                             ;   in Loop: Header=BB169_5 Depth=1
	s_and_not1_saveexec_b32 s5, s5
	s_cbranch_execz .LBB169_96
; %bb.95:                               ;   in Loop: Header=BB169_5 Depth=1
	v_max_f32_e64 v7, |v2|, |v2|
	v_max_f32_e64 v13, |v1|, |v1|
	v_cmp_gt_i32_e32 vcc_lo, 0, v1
	v_cmp_eq_f32_e64 s3, 0, v2
	v_cmp_class_f32_e64 s6, v1, 0x204
	v_cmp_class_f32_e64 s7, v2, 0x204
	v_max_f32_e32 v14, v13, v7
	v_min_f32_e32 v7, v13, v7
	s_delay_alu instid0(VALU_DEP_2) | instskip(NEXT) | instid1(VALU_DEP_1)
	v_frexp_mant_f32_e32 v15, v14
	v_rcp_f32_e32 v13, v15
	s_delay_alu instid0(VALU_DEP_2) | instskip(SKIP_4) | instid1(VALU_DEP_1)
	v_frexp_exp_i32_f32_e32 v15, v7
	v_frexp_mant_f32_e32 v7, v7
	s_waitcnt_depctr 0xfff
	v_mul_f32_e32 v7, v7, v13
	v_frexp_exp_i32_f32_e32 v14, v14
	v_sub_nc_u32_e32 v14, v15, v14
	s_delay_alu instid0(VALU_DEP_1) | instskip(NEXT) | instid1(VALU_DEP_1)
	v_ldexp_f32 v7, v7, v14
	v_mul_f32_e32 v13, v7, v7
	s_delay_alu instid0(VALU_DEP_1) | instskip(NEXT) | instid1(VALU_DEP_1)
	v_fmaak_f32 v14, s16, v13, 0xbc7a590c
	v_fmaak_f32 v14, v13, v14, 0x3d29fb3f
	s_delay_alu instid0(VALU_DEP_1) | instskip(NEXT) | instid1(VALU_DEP_1)
	v_fmaak_f32 v14, v13, v14, 0xbd97d4d7
	v_fmaak_f32 v14, v13, v14, 0x3dd931b2
	;; [unrolled: 3-line block ×3, first 2 shown]
	s_delay_alu instid0(VALU_DEP_1) | instskip(NEXT) | instid1(VALU_DEP_1)
	v_fmaak_f32 v14, v13, v14, 0xbeaaaa62
	v_mul_f32_e32 v13, v13, v14
	v_cndmask_b32_e64 v14, 0, 0x40490fdb, vcc_lo
	v_cmp_gt_f32_e32 vcc_lo, 0, v1
	s_delay_alu instid0(VALU_DEP_3) | instskip(NEXT) | instid1(VALU_DEP_1)
	v_fmac_f32_e32 v7, v7, v13
	v_sub_f32_e32 v13, 0x3fc90fdb, v7
	s_delay_alu instid0(VALU_DEP_1) | instskip(NEXT) | instid1(VALU_DEP_1)
	v_cndmask_b32_e64 v7, v7, v13, s2
	v_sub_f32_e32 v13, 0x40490fdb, v7
	s_delay_alu instid0(VALU_DEP_1) | instskip(SKIP_1) | instid1(VALU_DEP_2)
	v_cndmask_b32_e32 v7, v7, v13, vcc_lo
	v_mul_f32_e32 v13, 0.5, v12
	v_cndmask_b32_e64 v7, v7, v14, s3
	s_delay_alu instid0(VALU_DEP_2) | instskip(SKIP_2) | instid1(VALU_DEP_1)
	v_mul_f32_e32 v13, v12, v13
	v_cndmask_b32_e32 v14, 0x3f490fdb, v21, vcc_lo
	s_and_b32 vcc_lo, s6, s7
	v_cndmask_b32_e32 v7, v7, v14, vcc_lo
.LBB169_96:                             ;   in Loop: Header=BB169_5 Depth=1
	s_or_b32 exec_lo, exec_lo, s5
.LBB169_97:                             ;   in Loop: Header=BB169_5 Depth=1
	s_delay_alu instid0(SALU_CYCLE_1)
	s_or_b32 exec_lo, exec_lo, s4
.LBB169_98:                             ;   in Loop: Header=BB169_5 Depth=1
	s_and_not1_saveexec_b32 s4, s21
	s_cbranch_execz .LBB169_100
; %bb.99:                               ;   in Loop: Header=BB169_5 Depth=1
	v_div_scale_f32 v7, null, 0x402df854, 0x402df854, v1
	v_div_scale_f32 v12, null, 0x402df854, 0x402df854, v2
	v_div_scale_f32 v22, vcc_lo, v1, 0x402df854, v1
	s_delay_alu instid0(VALU_DEP_3) | instskip(NEXT) | instid1(VALU_DEP_2)
	v_rcp_f32_e32 v13, v7
	v_rcp_f32_e32 v14, v12
	v_cmp_class_f32_e64 s5, v2, 0x204
	s_waitcnt_depctr 0xfff
	v_fma_f32 v15, -v7, v13, 1.0
	v_fma_f32 v16, -v12, v14, 1.0
	s_delay_alu instid0(VALU_DEP_1) | instskip(SKIP_1) | instid1(VALU_DEP_1)
	v_dual_fmac_f32 v13, v15, v13 :: v_dual_fmac_f32 v14, v16, v14
	v_div_scale_f32 v15, s3, v2, 0x402df854, v2
	v_dual_mul_f32 v16, v22, v13 :: v_dual_mul_f32 v23, v15, v14
	s_delay_alu instid0(VALU_DEP_1) | instskip(NEXT) | instid1(VALU_DEP_2)
	v_fma_f32 v24, -v7, v16, v22
	v_fma_f32 v25, -v12, v23, v15
	s_delay_alu instid0(VALU_DEP_1) | instskip(NEXT) | instid1(VALU_DEP_1)
	v_dual_fmac_f32 v16, v24, v13 :: v_dual_fmac_f32 v23, v25, v14
	v_fma_f32 v7, -v7, v16, v22
	s_delay_alu instid0(VALU_DEP_2) | instskip(NEXT) | instid1(VALU_DEP_2)
	v_fma_f32 v12, -v12, v23, v15
	v_div_fmas_f32 v7, v7, v13, v16
	s_mov_b32 vcc_lo, s3
	v_max_f32_e64 v16, |v1|, |v1|
	s_delay_alu instid0(VALU_DEP_3) | instskip(SKIP_2) | instid1(VALU_DEP_3)
	v_div_fmas_f32 v12, v12, v14, v23
	v_cmp_class_f32_e64 s3, v1, 0x204
	v_div_fixup_f32 v7, v7, 0x402df854, v1
	v_div_fixup_f32 v14, v12, 0x402df854, v2
	s_delay_alu instid0(VALU_DEP_1) | instskip(NEXT) | instid1(VALU_DEP_1)
	v_max_f32_e64 v15, |v7|, |v14|
	v_cvt_f64_f32_e32 v[12:13], v15
	v_cmp_neq_f32_e32 vcc_lo, 0x7f800000, v15
	s_delay_alu instid0(VALU_DEP_2) | instskip(SKIP_1) | instid1(VALU_DEP_1)
	v_frexp_exp_i32_f64_e32 v12, v[12:13]
	v_max_f32_e64 v13, |v2|, |v2|
	v_max_f32_e32 v22, v16, v13
	v_min_f32_e32 v13, v16, v13
	s_delay_alu instid0(VALU_DEP_2) | instskip(NEXT) | instid1(VALU_DEP_1)
	v_frexp_mant_f32_e32 v23, v22
	v_rcp_f32_e32 v16, v23
	v_sub_nc_u32_e32 v23, 0, v12
	s_delay_alu instid0(VALU_DEP_1) | instskip(SKIP_1) | instid1(VALU_DEP_2)
	v_ldexp_f32 v14, |v14|, v23
	v_ldexp_f32 v7, |v7|, v23
	v_mul_f32_e32 v14, v14, v14
	v_frexp_exp_i32_f32_e32 v24, v13
	v_frexp_mant_f32_e32 v13, v13
	s_delay_alu instid0(TRANS32_DEP_1) | instid1(VALU_DEP_1)
	v_mul_f32_e32 v13, v13, v16
	v_frexp_exp_i32_f32_e32 v22, v22
	s_delay_alu instid0(VALU_DEP_1) | instskip(NEXT) | instid1(VALU_DEP_1)
	v_sub_nc_u32_e32 v22, v24, v22
	v_ldexp_f32 v13, v13, v22
	s_delay_alu instid0(VALU_DEP_1) | instskip(NEXT) | instid1(VALU_DEP_1)
	v_dual_fmac_f32 v14, v7, v7 :: v_dual_mul_f32 v7, v13, v13
	v_sqrt_f32_e32 v14, v14
	s_delay_alu instid0(VALU_DEP_1) | instskip(NEXT) | instid1(VALU_DEP_1)
	v_fmaak_f32 v16, s16, v7, 0xbc7a590c
	v_fmaak_f32 v16, v7, v16, 0x3d29fb3f
	s_waitcnt_depctr 0xfff
	v_ldexp_f32 v12, v14, v12
	s_delay_alu instid0(VALU_DEP_1) | instskip(NEXT) | instid1(VALU_DEP_1)
	v_cndmask_b32_e32 v12, 0x7f800000, v12, vcc_lo
	v_cmp_gt_f32_e32 vcc_lo, 0x800000, v12
	v_cndmask_b32_e64 v15, 1.0, 0x4f800000, vcc_lo
	s_delay_alu instid0(VALU_DEP_1) | instskip(NEXT) | instid1(VALU_DEP_1)
	v_mul_f32_e32 v12, v12, v15
	v_log_f32_e32 v12, v12
	v_fmaak_f32 v14, v7, v16, 0xbd97d4d7
	v_cndmask_b32_e64 v16, 0, 0x41b17218, vcc_lo
	s_delay_alu instid0(VALU_DEP_2) | instskip(SKIP_3) | instid1(VALU_DEP_1)
	v_fmaak_f32 v14, v7, v14, 0x3dd931b2
	s_waitcnt_depctr 0xfff
	v_cmp_gt_f32_e64 vcc_lo, 0x7f800000, |v12|
	v_fmaak_f32 v14, v7, v14, 0xbe1160e6
	v_fmaak_f32 v14, v7, v14, 0x3e4cb8bf
	s_delay_alu instid0(VALU_DEP_1) | instskip(NEXT) | instid1(VALU_DEP_1)
	v_fmaak_f32 v14, v7, v14, 0xbeaaaa62
	v_dual_mul_f32 v7, v7, v14 :: v_dual_mul_f32 v14, 0x3f317217, v12
	s_delay_alu instid0(VALU_DEP_1) | instskip(NEXT) | instid1(VALU_DEP_2)
	v_fmac_f32_e32 v13, v13, v7
	v_fma_f32 v7, 0x3f317217, v12, -v14
	s_delay_alu instid0(VALU_DEP_2) | instskip(NEXT) | instid1(VALU_DEP_1)
	v_sub_f32_e32 v15, 0x3fc90fdb, v13
	v_cndmask_b32_e64 v13, v13, v15, s2
	v_cmp_gt_i32_e64 s2, 0, v1
	s_delay_alu instid0(VALU_DEP_1) | instskip(SKIP_2) | instid1(VALU_DEP_2)
	v_cndmask_b32_e64 v15, 0, 0x40490fdb, s2
	v_fmac_f32_e32 v7, 0x3377d1cf, v12
	v_cmp_gt_f32_e64 s2, 0, v1
	v_add_f32_e32 v7, v14, v7
	s_delay_alu instid0(VALU_DEP_1) | instskip(SKIP_1) | instid1(VALU_DEP_2)
	v_dual_cndmask_b32 v7, v12, v7 :: v_dual_sub_f32 v14, 0x40490fdb, v13
	v_cmp_eq_f32_e32 vcc_lo, 0, v2
	v_sub_f32_e32 v7, v7, v16
	s_delay_alu instid0(VALU_DEP_3) | instskip(SKIP_1) | instid1(VALU_DEP_3)
	v_cndmask_b32_e64 v12, v13, v14, s2
	v_cndmask_b32_e64 v14, 0x3f490fdb, v21, s2
	v_add_f32_e32 v13, 1.0, v7
	s_delay_alu instid0(VALU_DEP_3) | instskip(SKIP_1) | instid1(VALU_DEP_1)
	v_cndmask_b32_e32 v12, v12, v15, vcc_lo
	s_and_b32 vcc_lo, s3, s5
	v_cndmask_b32_e32 v7, v12, v14, vcc_lo
.LBB169_100:                            ;   in Loop: Header=BB169_5 Depth=1
	s_or_b32 exec_lo, exec_lo, s4
.LBB169_101:                            ;   in Loop: Header=BB169_5 Depth=1
	s_and_not1_saveexec_b32 s2, s17
	s_cbranch_execz .LBB169_107
; %bb.102:                              ;   in Loop: Header=BB169_5 Depth=1
	v_cmp_ngt_f32_e64 s3, 0x20000000, |v1|
	v_cmp_ngt_f32_e64 s4, 0x20000000, |v2|
                                        ; implicit-def: $vgpr7
	s_delay_alu instid0(VALU_DEP_1) | instskip(NEXT) | instid1(SALU_CYCLE_1)
	s_or_b32 s3, s3, s4
	s_and_saveexec_b32 s4, s3
	s_delay_alu instid0(SALU_CYCLE_1)
	s_xor_b32 s3, exec_lo, s4
; %bb.103:                              ;   in Loop: Header=BB169_5 Depth=1
	v_mul_f32_e32 v7, v2, v2
	s_delay_alu instid0(VALU_DEP_1)
	v_fmac_f32_e32 v7, v1, v1
; %bb.104:                              ;   in Loop: Header=BB169_5 Depth=1
	s_and_not1_saveexec_b32 s3, s3
; %bb.105:                              ;   in Loop: Header=BB169_5 Depth=1
	v_mul_f32_e32 v7, 4.0, v2
	v_mul_f32_e32 v1, 4.0, v1
	s_delay_alu instid0(VALU_DEP_2) | instskip(NEXT) | instid1(VALU_DEP_1)
	v_mul_f32_e32 v7, v7, v7
	v_fmac_f32_e32 v7, v1, v1
	s_delay_alu instid0(VALU_DEP_1)
	v_mul_f32_e32 v7, 0x3d800000, v7
; %bb.106:                              ;   in Loop: Header=BB169_5 Depth=1
	s_or_b32 exec_lo, exec_lo, s3
	s_delay_alu instid0(VALU_DEP_1) | instskip(SKIP_1) | instid1(VALU_DEP_1)
	v_cmp_gt_f32_e32 vcc_lo, 0x800000, v7
	v_cndmask_b32_e64 v1, 1.0, 0x4f800000, vcc_lo
	v_mul_f32_e32 v1, v7, v1
	s_delay_alu instid0(VALU_DEP_1) | instskip(SKIP_2) | instid1(VALU_DEP_1)
	v_log_f32_e32 v1, v1
	s_waitcnt_depctr 0xfff
	v_mul_f32_e32 v7, 0x3f317217, v1
	v_fma_f32 v12, 0x3f317217, v1, -v7
	s_delay_alu instid0(VALU_DEP_1) | instskip(NEXT) | instid1(VALU_DEP_1)
	v_fmac_f32_e32 v12, 0x3377d1cf, v1
	v_add_f32_e32 v7, v7, v12
	v_cndmask_b32_e64 v12, 0, 0x41b17218, vcc_lo
	v_cmp_gt_f32_e64 vcc_lo, 0x7f800000, |v1|
	s_delay_alu instid0(VALU_DEP_3) | instskip(SKIP_1) | instid1(VALU_DEP_2)
	v_cndmask_b32_e32 v1, v1, v7, vcc_lo
	v_mov_b32_e32 v7, 0x7fc00000
	v_sub_f32_e32 v13, v1, v12
.LBB169_107:                            ;   in Loop: Header=BB169_5 Depth=1
	s_or_b32 exec_lo, exec_lo, s2
                                        ; implicit-def: $vgpr1
	s_delay_alu instid0(SALU_CYCLE_1)
	s_mov_b32 s2, exec_lo
	v_cmpx_o_f32_e32 v4, v3
	s_xor_b32 s17, exec_lo, s2
	s_cbranch_execz .LBB169_135
; %bb.108:                              ;   in Loop: Header=BB169_5 Depth=1
	v_cmp_lt_f32_e64 s2, |v3|, |v4|
                                        ; implicit-def: $vgpr1
	s_mov_b32 s3, exec_lo
	s_delay_alu instid0(VALU_DEP_1) | instskip(NEXT) | instid1(VALU_DEP_1)
	v_cndmask_b32_e64 v12, |v4|, |v3|, s2
	v_cmpx_nlt_f32_e32 0x77f684df, v12
	s_xor_b32 s21, exec_lo, s3
	s_cbranch_execz .LBB169_132
; %bb.109:                              ;   in Loop: Header=BB169_5 Depth=1
	v_and_b32_e32 v1, 0x7fffffff, v4
	s_mov_b32 s3, exec_lo
	s_delay_alu instid0(VALU_DEP_1) | instskip(NEXT) | instid1(VALU_DEP_1)
	v_cndmask_b32_e64 v14, |v3|, v1, s2
                                        ; implicit-def: $vgpr1
	v_cmpx_neq_f32_e32 1.0, v14
	s_xor_b32 s22, exec_lo, s3
	s_cbranch_execz .LBB169_125
; %bb.110:                              ;   in Loop: Header=BB169_5 Depth=1
	v_max_f32_e32 v1, v12, v12
	v_max_f32_e32 v15, v14, v14
	s_delay_alu instid0(VALU_DEP_1) | instskip(SKIP_1) | instid1(VALU_DEP_2)
	v_min_f32_e32 v16, v15, v1
	v_max_f32_e32 v1, v15, v1
	v_cmp_ngt_f32_e32 vcc_lo, 0x358637bd, v16
	s_delay_alu instid0(VALU_DEP_2) | instskip(NEXT) | instid1(VALU_DEP_1)
	v_cmp_nlt_f32_e64 s3, 0x49742400, v1
                                        ; implicit-def: $vgpr1
	s_and_b32 s3, s3, vcc_lo
	s_delay_alu instid0(SALU_CYCLE_1) | instskip(NEXT) | instid1(SALU_CYCLE_1)
	s_and_saveexec_b32 s4, s3
	s_xor_b32 s23, exec_lo, s4
	s_cbranch_execz .LBB169_122
; %bb.111:                              ;   in Loop: Header=BB169_5 Depth=1
                                        ; implicit-def: $vgpr1
	s_mov_b32 s3, exec_lo
	v_cmpx_le_f32_e32 1.0, v14
	s_xor_b32 s4, exec_lo, s3
	s_cbranch_execz .LBB169_113
; %bb.112:                              ;   in Loop: Header=BB169_5 Depth=1
	v_add_f32_e32 v1, -1.0, v14
	v_add_f32_e32 v14, 1.0, v14
	v_cmp_class_f32_e64 s5, v3, 0x204
	s_delay_alu instid0(VALU_DEP_2) | instskip(NEXT) | instid1(VALU_DEP_1)
	v_mul_f32_e32 v1, v1, v14
	v_fmac_f32_e32 v1, v12, v12
	s_delay_alu instid0(VALU_DEP_1) | instskip(SKIP_1) | instid1(VALU_DEP_2)
	v_add_f32_e32 v12, 1.0, v1
	v_cmp_neq_f32_e64 s3, -1.0, v1
	v_cvt_f64_f32_e32 v[14:15], v12
	s_delay_alu instid0(VALU_DEP_1) | instskip(SKIP_1) | instid1(VALU_DEP_1)
	v_frexp_exp_i32_f64_e32 v14, v[14:15]
	v_frexp_mant_f32_e32 v15, v12
	v_cmp_gt_f32_e32 vcc_lo, 0x3f2aaaab, v15
	v_add_f32_e32 v15, -1.0, v12
	s_delay_alu instid0(VALU_DEP_1) | instskip(NEXT) | instid1(VALU_DEP_1)
	v_sub_f32_e32 v22, v15, v12
	v_dual_add_f32 v22, 1.0, v22 :: v_dual_sub_f32 v15, v1, v15
	v_subrev_co_ci_u32_e32 v14, vcc_lo, 0, v14, vcc_lo
	v_cmp_eq_f32_e32 vcc_lo, 0x7f800000, v1
	s_delay_alu instid0(VALU_DEP_2) | instskip(SKIP_1) | instid1(VALU_DEP_2)
	v_sub_nc_u32_e32 v16, 0, v14
	v_cvt_f32_i32_e32 v14, v14
	v_ldexp_f32 v12, v12, v16
	v_add_f32_e32 v15, v15, v22
	s_delay_alu instid0(VALU_DEP_2) | instskip(NEXT) | instid1(VALU_DEP_2)
	v_add_f32_e32 v23, 1.0, v12
	v_ldexp_f32 v15, v15, v16
	v_add_f32_e32 v16, -1.0, v12
	s_delay_alu instid0(VALU_DEP_3) | instskip(NEXT) | instid1(VALU_DEP_2)
	v_add_f32_e32 v22, -1.0, v23
	v_add_f32_e32 v24, 1.0, v16
	s_delay_alu instid0(VALU_DEP_2) | instskip(NEXT) | instid1(VALU_DEP_2)
	v_sub_f32_e32 v22, v12, v22
	v_sub_f32_e32 v12, v12, v24
	s_delay_alu instid0(VALU_DEP_1) | instskip(NEXT) | instid1(VALU_DEP_1)
	v_add_f32_e32 v12, v15, v12
	v_dual_add_f32 v22, v15, v22 :: v_dual_add_f32 v25, v16, v12
	s_delay_alu instid0(VALU_DEP_1) | instskip(NEXT) | instid1(VALU_DEP_1)
	v_add_f32_e32 v24, v23, v22
	v_rcp_f32_e32 v15, v24
	v_sub_f32_e32 v23, v24, v23
	s_delay_alu instid0(VALU_DEP_1) | instskip(SKIP_2) | instid1(VALU_DEP_1)
	v_sub_f32_e32 v22, v22, v23
	s_waitcnt_depctr 0xfff
	v_mul_f32_e32 v26, v25, v15
	v_mul_f32_e32 v27, v24, v26
	s_delay_alu instid0(VALU_DEP_1) | instskip(NEXT) | instid1(VALU_DEP_1)
	v_fma_f32 v23, v26, v24, -v27
	v_fmac_f32_e32 v23, v26, v22
	s_delay_alu instid0(VALU_DEP_1) | instskip(NEXT) | instid1(VALU_DEP_1)
	v_add_f32_e32 v28, v27, v23
	v_sub_f32_e32 v29, v25, v28
	v_sub_f32_e32 v16, v25, v16
	s_delay_alu instid0(VALU_DEP_1) | instskip(NEXT) | instid1(VALU_DEP_1)
	v_dual_sub_f32 v25, v25, v29 :: v_dual_sub_f32 v12, v12, v16
	v_dual_sub_f32 v16, v28, v27 :: v_dual_sub_f32 v25, v25, v28
	s_delay_alu instid0(VALU_DEP_1) | instskip(NEXT) | instid1(VALU_DEP_2)
	v_sub_f32_e32 v16, v16, v23
	v_add_f32_e32 v12, v12, v25
	s_delay_alu instid0(VALU_DEP_1) | instskip(NEXT) | instid1(VALU_DEP_1)
	v_add_f32_e32 v12, v16, v12
	v_add_f32_e32 v16, v29, v12
	s_delay_alu instid0(VALU_DEP_1) | instskip(NEXT) | instid1(VALU_DEP_1)
	v_mul_f32_e32 v23, v15, v16
	v_dual_sub_f32 v28, v29, v16 :: v_dual_mul_f32 v25, v24, v23
	s_delay_alu instid0(VALU_DEP_1) | instskip(NEXT) | instid1(VALU_DEP_2)
	v_add_f32_e32 v12, v12, v28
	v_fma_f32 v24, v23, v24, -v25
	s_delay_alu instid0(VALU_DEP_1) | instskip(NEXT) | instid1(VALU_DEP_1)
	v_fmac_f32_e32 v24, v23, v22
	v_add_f32_e32 v22, v25, v24
	s_delay_alu instid0(VALU_DEP_1) | instskip(NEXT) | instid1(VALU_DEP_1)
	v_sub_f32_e32 v27, v16, v22
	v_dual_sub_f32 v25, v22, v25 :: v_dual_sub_f32 v16, v16, v27
	s_delay_alu instid0(VALU_DEP_1) | instskip(NEXT) | instid1(VALU_DEP_2)
	v_sub_f32_e32 v16, v16, v22
	v_sub_f32_e32 v22, v25, v24
	v_max_f32_e64 v24, |v4|, |v4|
	s_delay_alu instid0(VALU_DEP_3) | instskip(NEXT) | instid1(VALU_DEP_1)
	v_add_f32_e32 v12, v12, v16
	v_add_f32_e32 v12, v22, v12
	s_delay_alu instid0(VALU_DEP_1) | instskip(NEXT) | instid1(VALU_DEP_1)
	v_dual_add_f32 v12, v27, v12 :: v_dual_mul_f32 v27, 0x3f317218, v14
	v_mul_f32_e32 v12, v15, v12
	s_delay_alu instid0(VALU_DEP_2) | instskip(NEXT) | instid1(VALU_DEP_1)
	v_fma_f32 v28, 0x3f317218, v14, -v27
	v_fmac_f32_e32 v28, 0xb102e308, v14
	v_add_f32_e32 v16, v26, v23
	s_delay_alu instid0(VALU_DEP_1) | instskip(NEXT) | instid1(VALU_DEP_1)
	v_sub_f32_e32 v22, v16, v26
	v_sub_f32_e32 v22, v23, v22
	s_delay_alu instid0(VALU_DEP_1) | instskip(NEXT) | instid1(VALU_DEP_1)
	v_add_f32_e32 v12, v22, v12
	v_add_f32_e32 v15, v16, v12
	s_delay_alu instid0(VALU_DEP_1) | instskip(SKIP_1) | instid1(VALU_DEP_2)
	v_mul_f32_e32 v22, v15, v15
	v_ldexp_f32 v26, v15, 1
	v_fmaak_f32 v23, s14, v22, 0x3ecc95a3
	v_mul_f32_e32 v25, v15, v22
	s_delay_alu instid0(VALU_DEP_2) | instskip(SKIP_1) | instid1(VALU_DEP_2)
	v_dual_sub_f32 v15, v15, v16 :: v_dual_fmaak_f32 v22, v22, v23, 0x3f2aaada
	v_max_f32_e64 v23, |v3|, |v3|
	v_sub_f32_e32 v12, v12, v15
	s_delay_alu instid0(VALU_DEP_2) | instskip(SKIP_1) | instid1(VALU_DEP_3)
	v_dual_mul_f32 v22, v25, v22 :: v_dual_max_f32 v25, v23, v24
	v_min_f32_e32 v23, v23, v24
	v_ldexp_f32 v12, v12, 1
	s_delay_alu instid0(VALU_DEP_3) | instskip(NEXT) | instid1(VALU_DEP_4)
	v_add_f32_e32 v16, v26, v22
	v_frexp_mant_f32_e32 v24, v25
	v_frexp_exp_i32_f32_e32 v25, v25
	s_delay_alu instid0(VALU_DEP_3) | instskip(NEXT) | instid1(VALU_DEP_3)
	v_sub_f32_e32 v15, v16, v26
	v_rcp_f32_e32 v24, v24
	v_frexp_exp_i32_f32_e32 v26, v23
	s_delay_alu instid0(VALU_DEP_2) | instskip(SKIP_1) | instid1(VALU_DEP_3)
	v_sub_f32_e32 v15, v22, v15
	v_frexp_mant_f32_e32 v22, v23
	v_sub_nc_u32_e32 v23, v26, v25
	s_delay_alu instid0(VALU_DEP_3) | instskip(SKIP_4) | instid1(VALU_DEP_3)
	v_add_f32_e32 v12, v12, v15
	s_waitcnt_depctr 0xfff
	v_mul_f32_e32 v14, v22, v24
	v_add_f32_e32 v15, v27, v28
	v_add_f32_e32 v22, v16, v12
	v_ldexp_f32 v14, v14, v23
	s_delay_alu instid0(VALU_DEP_3) | instskip(NEXT) | instid1(VALU_DEP_3)
	v_sub_f32_e32 v27, v15, v27
	v_add_f32_e32 v23, v15, v22
	s_delay_alu instid0(VALU_DEP_3) | instskip(NEXT) | instid1(VALU_DEP_3)
	v_mul_f32_e32 v24, v14, v14
	v_dual_sub_f32 v16, v22, v16 :: v_dual_sub_f32 v27, v28, v27
	s_delay_alu instid0(VALU_DEP_2) | instskip(NEXT) | instid1(VALU_DEP_1)
	v_dual_sub_f32 v25, v23, v15 :: v_dual_fmaak_f32 v26, s16, v24, 0xbc7a590c
	v_dual_sub_f32 v12, v12, v16 :: v_dual_sub_f32 v29, v23, v25
	s_delay_alu instid0(VALU_DEP_2) | instskip(NEXT) | instid1(VALU_DEP_2)
	v_fmaak_f32 v26, v24, v26, 0x3d29fb3f
	v_dual_sub_f32 v16, v22, v25 :: v_dual_add_f32 v25, v27, v12
	s_delay_alu instid0(VALU_DEP_2) | instskip(NEXT) | instid1(VALU_DEP_1)
	v_dual_sub_f32 v15, v15, v29 :: v_dual_fmaak_f32 v22, v24, v26, 0xbd97d4d7
	v_add_f32_e32 v15, v16, v15
	s_delay_alu instid0(VALU_DEP_2) | instskip(NEXT) | instid1(VALU_DEP_4)
	v_fmaak_f32 v16, v24, v22, 0x3dd931b2
	v_sub_f32_e32 v22, v25, v27
	s_delay_alu instid0(VALU_DEP_2) | instskip(NEXT) | instid1(VALU_DEP_2)
	v_dual_add_f32 v15, v25, v15 :: v_dual_fmaak_f32 v16, v24, v16, 0xbe1160e6
	v_sub_f32_e32 v25, v25, v22
	v_sub_f32_e32 v12, v12, v22
	s_delay_alu instid0(VALU_DEP_3) | instskip(NEXT) | instid1(VALU_DEP_4)
	v_add_f32_e32 v26, v23, v15
	v_fmaak_f32 v16, v24, v16, 0x3e4cb8bf
	s_delay_alu instid0(VALU_DEP_2) | instskip(NEXT) | instid1(VALU_DEP_2)
	v_dual_sub_f32 v22, v27, v25 :: v_dual_sub_f32 v23, v26, v23
	v_fmaak_f32 v16, v24, v16, 0xbeaaaa62
	s_delay_alu instid0(VALU_DEP_2) | instskip(NEXT) | instid1(VALU_DEP_2)
	v_dual_add_f32 v12, v12, v22 :: v_dual_sub_f32 v15, v15, v23
	v_mul_f32_e32 v16, v24, v16
	s_delay_alu instid0(VALU_DEP_2) | instskip(NEXT) | instid1(VALU_DEP_2)
	v_add_f32_e32 v12, v12, v15
	v_fmac_f32_e32 v14, v14, v16
	s_delay_alu instid0(VALU_DEP_1) | instskip(NEXT) | instid1(VALU_DEP_1)
	v_dual_add_f32 v12, v26, v12 :: v_dual_sub_f32 v15, 0x3fc90fdb, v14
	v_cndmask_b32_e32 v12, v12, v1, vcc_lo
	v_cmp_gt_i32_e32 vcc_lo, 0, v3
	s_delay_alu instid0(VALU_DEP_3) | instskip(SKIP_2) | instid1(VALU_DEP_3)
	v_cndmask_b32_e64 v14, v14, v15, s2
	v_cndmask_b32_e64 v15, 0, 0x40490fdb, vcc_lo
	v_cmp_ngt_f32_e32 vcc_lo, -1.0, v1
	v_sub_f32_e32 v16, 0x40490fdb, v14
	v_cndmask_b32_e32 v12, 0x7fc00000, v12, vcc_lo
	v_cmp_gt_f32_e32 vcc_lo, 0, v3
	s_delay_alu instid0(VALU_DEP_2) | instskip(NEXT) | instid1(VALU_DEP_4)
	v_cndmask_b32_e64 v12, 0xff800000, v12, s3
	v_cndmask_b32_e32 v14, v14, v16, vcc_lo
	v_cndmask_b32_e32 v16, 0x3f490fdb, v21, vcc_lo
	v_cmp_gt_f32_e64 vcc_lo, 0x33800000, |v1|
	v_cmp_class_f32_e64 s3, v4, 0x204
	v_cndmask_b32_e32 v1, v12, v1, vcc_lo
	v_cmp_eq_f32_e32 vcc_lo, 0, v4
	v_cndmask_b32_e32 v12, v14, v15, vcc_lo
	s_delay_alu instid0(VALU_DEP_4) | instskip(NEXT) | instid1(VALU_DEP_3)
	s_and_b32 vcc_lo, s5, s3
	v_mul_f32_e32 v15, 0.5, v1
                                        ; implicit-def: $vgpr14
	s_delay_alu instid0(VALU_DEP_2)
	v_cndmask_b32_e32 v1, v12, v16, vcc_lo
                                        ; implicit-def: $vgpr12
.LBB169_113:                            ;   in Loop: Header=BB169_5 Depth=1
	s_and_not1_saveexec_b32 s24, s4
	s_cbranch_execz .LBB169_121
; %bb.114:                              ;   in Loop: Header=BB169_5 Depth=1
	v_mul_f32_e32 v15, v12, v12
                                        ; implicit-def: $vgpr1
	s_mov_b32 s3, exec_lo
	s_delay_alu instid0(VALU_DEP_1) | instskip(NEXT) | instid1(VALU_DEP_1)
	v_fmac_f32_e32 v15, v14, v14
	v_cmpx_ge_f32_e32 0x3f333333, v15
	s_xor_b32 s4, exec_lo, s3
	s_cbranch_execz .LBB169_116
; %bb.115:                              ;   in Loop: Header=BB169_5 Depth=1
	v_max_f32_e64 v1, |v4|, |v4|
	v_max_f32_e64 v12, |v3|, |v3|
	v_cmp_gt_f32_e32 vcc_lo, 0x800000, v15
	v_cmp_gt_i32_e64 s3, 0, v3
	v_cmp_class_f32_e64 s5, v3, 0x204
	v_cmp_class_f32_e64 s6, v4, 0x204
	v_max_f32_e32 v14, v12, v1
	v_min_f32_e32 v1, v12, v1
	v_cndmask_b32_e64 v22, 0, 0x41b17218, vcc_lo
	s_delay_alu instid0(VALU_DEP_3) | instskip(NEXT) | instid1(VALU_DEP_1)
	v_frexp_mant_f32_e32 v16, v14
	v_rcp_f32_e32 v12, v16
	s_delay_alu instid0(VALU_DEP_3) | instskip(SKIP_4) | instid1(VALU_DEP_1)
	v_frexp_exp_i32_f32_e32 v16, v1
	v_frexp_mant_f32_e32 v1, v1
	s_waitcnt_depctr 0xfff
	v_mul_f32_e32 v1, v1, v12
	v_frexp_exp_i32_f32_e32 v14, v14
	v_sub_nc_u32_e32 v14, v16, v14
	v_cndmask_b32_e64 v16, 1.0, 0x4f800000, vcc_lo
	s_delay_alu instid0(VALU_DEP_2) | instskip(NEXT) | instid1(VALU_DEP_1)
	v_ldexp_f32 v1, v1, v14
	v_dual_mul_f32 v15, v15, v16 :: v_dual_mul_f32 v12, v1, v1
	s_delay_alu instid0(VALU_DEP_1) | instskip(NEXT) | instid1(VALU_DEP_1)
	v_log_f32_e32 v15, v15
	v_fmaak_f32 v14, s16, v12, 0xbc7a590c
	s_delay_alu instid0(VALU_DEP_1) | instskip(SKIP_3) | instid1(VALU_DEP_1)
	v_fmaak_f32 v14, v12, v14, 0x3d29fb3f
	s_waitcnt_depctr 0xfff
	v_cmp_gt_f32_e64 vcc_lo, 0x7f800000, |v15|
	v_fmaak_f32 v14, v12, v14, 0xbd97d4d7
	v_fmaak_f32 v14, v12, v14, 0x3dd931b2
	s_delay_alu instid0(VALU_DEP_1) | instskip(NEXT) | instid1(VALU_DEP_1)
	v_fmaak_f32 v14, v12, v14, 0xbe1160e6
	v_fmaak_f32 v14, v12, v14, 0x3e4cb8bf
	s_delay_alu instid0(VALU_DEP_1) | instskip(NEXT) | instid1(VALU_DEP_1)
	v_fmaak_f32 v14, v12, v14, 0xbeaaaa62
	v_mul_f32_e32 v12, v12, v14
	s_delay_alu instid0(VALU_DEP_1) | instskip(NEXT) | instid1(VALU_DEP_1)
	v_dual_mul_f32 v14, 0x3f317217, v15 :: v_dual_fmac_f32 v1, v1, v12
	v_fma_f32 v12, 0x3f317217, v15, -v14
	s_delay_alu instid0(VALU_DEP_2) | instskip(NEXT) | instid1(VALU_DEP_2)
	v_sub_f32_e32 v16, 0x3fc90fdb, v1
	v_fmac_f32_e32 v12, 0x3377d1cf, v15
	s_delay_alu instid0(VALU_DEP_2) | instskip(NEXT) | instid1(VALU_DEP_2)
	v_cndmask_b32_e64 v1, v1, v16, s2
	v_add_f32_e32 v12, v14, v12
	v_cndmask_b32_e64 v14, 0, 0x40490fdb, s3
	v_cmp_eq_f32_e64 s3, 0, v4
	s_delay_alu instid0(VALU_DEP_4) | instskip(NEXT) | instid1(VALU_DEP_4)
	v_sub_f32_e32 v16, 0x40490fdb, v1
	v_cndmask_b32_e32 v12, v15, v12, vcc_lo
	v_cmp_gt_f32_e32 vcc_lo, 0, v3
	s_delay_alu instid0(VALU_DEP_2) | instskip(NEXT) | instid1(VALU_DEP_1)
	v_dual_sub_f32 v12, v12, v22 :: v_dual_cndmask_b32 v1, v1, v16
	v_mul_f32_e32 v15, 0.5, v12
	s_delay_alu instid0(VALU_DEP_2) | instskip(SKIP_2) | instid1(VALU_DEP_1)
	v_cndmask_b32_e64 v1, v1, v14, s3
	v_cndmask_b32_e32 v14, 0x3f490fdb, v21, vcc_lo
	s_and_b32 vcc_lo, s5, s6
                                        ; implicit-def: $vgpr12
	v_cndmask_b32_e32 v1, v1, v14, vcc_lo
                                        ; implicit-def: $vgpr14
.LBB169_116:                            ;   in Loop: Header=BB169_5 Depth=1
	s_and_not1_saveexec_b32 s25, s4
	s_cbranch_execz .LBB169_120
; %bb.117:                              ;   in Loop: Header=BB169_5 Depth=1
	v_and_b32_e32 v16, 0x7fff0000, v12
	v_and_b32_e32 v15, 0x7fff0000, v14
	s_mov_b32 s26, 0
	s_delay_alu instid0(VALU_DEP_1) | instskip(SKIP_1) | instid1(VALU_DEP_2)
	v_dual_sub_f32 v12, v12, v16 :: v_dual_mul_f32 v1, v15, v15
	v_dual_add_f32 v25, v15, v15 :: v_dual_add_f32 v28, v16, v16
	v_and_b32_e32 v24, 0xffff0000, v12
	s_delay_alu instid0(VALU_DEP_1) | instskip(NEXT) | instid1(VALU_DEP_1)
	v_dual_sub_f32 v22, v14, v15 :: v_dual_sub_f32 v29, v12, v24
	v_dual_mul_f32 v14, v16, v16 :: v_dual_and_b32 v23, 0xffff0000, v22
	v_add_f32_e32 v30, v24, v24
	v_mul_f32_e32 v26, v24, v24
	s_delay_alu instid0(VALU_DEP_3) | instskip(SKIP_3) | instid1(VALU_DEP_3)
	v_dual_mul_f32 v12, v28, v24 :: v_dual_mul_f32 v15, v23, v23
	v_sub_f32_e32 v16, v22, v23
	v_add_f32_e32 v22, v23, v23
	v_mul_f32_e32 v27, v25, v23
	v_mul_f32_e32 v23, v25, v16
	s_delay_alu instid0(VALU_DEP_3)
	v_dual_mul_f32 v25, v28, v29 :: v_dual_mul_f32 v24, v22, v16
	v_mul_f32_e32 v22, v30, v29
	v_mul_f32_e32 v16, v16, v16
	;; [unrolled: 1-line block ×3, first 2 shown]
.LBB169_118:                            ;   Parent Loop BB169_5 Depth=1
                                        ; =>  This Inner Loop Header: Depth=2
	v_cmp_nlt_f32_e32 vcc_lo, v1, v14
	s_delay_alu instid0(VALU_DEP_2) | instskip(SKIP_1) | instid1(VALU_DEP_2)
	v_dual_mov_b32 v30, v28 :: v_dual_cndmask_b32 v29, v1, v14
	v_cndmask_b32_e32 v1, v14, v1, vcc_lo
	v_cmp_nlt_f32_e64 s3, v29, v27
	s_delay_alu instid0(VALU_DEP_1) | instskip(SKIP_2) | instid1(VALU_DEP_2)
	v_cndmask_b32_e64 v28, v29, v27, s3
	v_cndmask_b32_e64 v14, v27, v29, s3
	s_and_b32 s27, vcc_lo, s3
	v_cmp_nlt_f32_e64 s4, v28, v12
	s_delay_alu instid0(VALU_DEP_1) | instskip(SKIP_1) | instid1(VALU_DEP_2)
	v_cndmask_b32_e64 v31, v28, v12, s4
	v_cndmask_b32_e64 v27, v12, v28, s4
	v_cmp_nlt_f32_e64 s5, v31, v15
	s_delay_alu instid0(VALU_DEP_1) | instskip(SKIP_2) | instid1(VALU_DEP_2)
	v_cndmask_b32_e64 v29, v31, v15, s5
	v_cndmask_b32_e64 v12, v15, v31, s5
	s_and_b32 s28, s4, s5
	v_cmp_nlt_f32_e64 s6, v29, v26
	s_delay_alu instid0(VALU_DEP_1) | instskip(SKIP_1) | instid1(VALU_DEP_2)
	v_cndmask_b32_e64 v32, v29, v26, s6
	v_cndmask_b32_e64 v15, v26, v29, s6
	v_cmp_nlt_f32_e64 s7, v32, v23
	s_delay_alu instid0(VALU_DEP_1) | instskip(SKIP_2) | instid1(VALU_DEP_2)
	v_cndmask_b32_e64 v33, v32, v23, s7
	s_and_b32 s5, s6, s7
	v_cndmask_b32_e64 v26, v23, v32, s7
	v_cmp_nlt_f32_e64 s8, v33, v25
	s_delay_alu instid0(VALU_DEP_1) | instskip(SKIP_2) | instid1(VALU_DEP_2)
	v_cndmask_b32_e64 v34, v33, v25, s8
	s_and_b32 s5, s5, s8
	v_cndmask_b32_e64 v23, v25, v33, s8
	v_cmp_nlt_f32_e32 vcc_lo, v34, v24
	v_cndmask_b32_e32 v35, v34, v24, vcc_lo
	s_and_b32 s6, s5, vcc_lo
	v_cndmask_b32_e32 v25, v24, v34, vcc_lo
	s_delay_alu instid0(VALU_DEP_2) | instskip(NEXT) | instid1(VALU_DEP_1)
	v_cmp_nlt_f32_e64 s3, v35, v22
	v_cndmask_b32_e64 v31, v35, v22, s3
	s_and_b32 s6, s6, s3
	v_cndmask_b32_e64 v24, v22, v35, s3
	s_delay_alu instid0(VALU_DEP_2) | instskip(NEXT) | instid1(VALU_DEP_1)
	v_cmp_nlt_f32_e64 s4, v31, v16
	v_cndmask_b32_e64 v29, v31, v16, s4
	s_and_b32 s6, s6, s4
	v_cndmask_b32_e64 v22, v16, v31, s4
	s_delay_alu instid0(VALU_DEP_2) | instskip(NEXT) | instid1(VALU_DEP_1)
	v_cmp_nlt_f32_e64 s5, v29, v30
	s_and_b32 s6, s6, s5
	v_cndmask_b32_e64 v28, v29, v30, s5
	s_and_b32 s3, s6, s28
	v_cndmask_b32_e64 v16, v30, v29, s5
	s_and_b32 s3, s3, s27
	s_delay_alu instid0(SALU_CYCLE_1) | instskip(NEXT) | instid1(SALU_CYCLE_1)
	s_and_b32 s3, exec_lo, s3
	s_or_b32 s26, s3, s26
	s_delay_alu instid0(SALU_CYCLE_1)
	s_and_not1_b32 exec_lo, exec_lo, s26
	s_cbranch_execnz .LBB169_118
; %bb.119:                              ;   in Loop: Header=BB169_5 Depth=1
	s_or_b32 exec_lo, exec_lo, s26
	v_add_f32_e32 v1, -1.0, v1
	v_cmp_class_f32_e64 s4, v3, 0x204
	s_delay_alu instid0(VALU_DEP_2) | instskip(NEXT) | instid1(VALU_DEP_1)
	v_add_f32_e32 v1, v1, v14
	v_add_f32_e32 v1, v1, v27
	s_delay_alu instid0(VALU_DEP_1) | instskip(NEXT) | instid1(VALU_DEP_1)
	v_add_f32_e32 v1, v1, v12
	v_add_f32_e32 v1, v1, v15
	s_delay_alu instid0(VALU_DEP_1) | instskip(NEXT) | instid1(VALU_DEP_1)
	;; [unrolled: 3-line block ×5, first 2 shown]
	v_add_f32_e32 v1, v28, v1
	v_add_f32_e32 v12, 1.0, v1
	s_delay_alu instid0(VALU_DEP_1) | instskip(NEXT) | instid1(VALU_DEP_1)
	v_cvt_f64_f32_e32 v[14:15], v12
	v_frexp_exp_i32_f64_e32 v14, v[14:15]
	v_frexp_mant_f32_e32 v15, v12
	s_delay_alu instid0(VALU_DEP_1) | instskip(SKIP_1) | instid1(VALU_DEP_1)
	v_cmp_gt_f32_e32 vcc_lo, 0x3f2aaaab, v15
	v_add_f32_e32 v15, -1.0, v12
	v_dual_sub_f32 v22, v15, v12 :: v_dual_sub_f32 v15, v1, v15
	s_delay_alu instid0(VALU_DEP_1) | instskip(NEXT) | instid1(VALU_DEP_1)
	v_add_f32_e32 v22, 1.0, v22
	v_add_f32_e32 v15, v15, v22
	v_subrev_co_ci_u32_e32 v14, vcc_lo, 0, v14, vcc_lo
	s_delay_alu instid0(VALU_DEP_1) | instskip(SKIP_1) | instid1(VALU_DEP_2)
	v_sub_nc_u32_e32 v16, 0, v14
	v_cvt_f32_i32_e32 v14, v14
	v_ldexp_f32 v12, v12, v16
	v_ldexp_f32 v15, v15, v16
	s_delay_alu instid0(VALU_DEP_2) | instskip(SKIP_1) | instid1(VALU_DEP_2)
	v_add_f32_e32 v23, 1.0, v12
	v_add_f32_e32 v16, -1.0, v12
	v_add_f32_e32 v22, -1.0, v23
	s_delay_alu instid0(VALU_DEP_2) | instskip(NEXT) | instid1(VALU_DEP_2)
	v_add_f32_e32 v24, 1.0, v16
	v_sub_f32_e32 v22, v12, v22
	s_delay_alu instid0(VALU_DEP_2) | instskip(NEXT) | instid1(VALU_DEP_2)
	v_sub_f32_e32 v12, v12, v24
	v_add_f32_e32 v22, v15, v22
	s_delay_alu instid0(VALU_DEP_2) | instskip(NEXT) | instid1(VALU_DEP_2)
	v_add_f32_e32 v12, v15, v12
	v_add_f32_e32 v24, v23, v22
	s_delay_alu instid0(VALU_DEP_1) | instskip(SKIP_1) | instid1(VALU_DEP_1)
	v_rcp_f32_e32 v15, v24
	v_sub_f32_e32 v23, v24, v23
	v_dual_sub_f32 v22, v22, v23 :: v_dual_add_f32 v25, v16, v12
	s_waitcnt_depctr 0xfff
	v_mul_f32_e32 v26, v25, v15
	v_sub_f32_e32 v16, v25, v16
	v_cmp_eq_f32_e32 vcc_lo, 0x7f800000, v1
	v_cmp_neq_f32_e64 s3, -1.0, v1
	s_delay_alu instid0(VALU_DEP_4) | instskip(NEXT) | instid1(VALU_DEP_4)
	v_mul_f32_e32 v27, v24, v26
	v_sub_f32_e32 v12, v12, v16
	s_delay_alu instid0(VALU_DEP_2) | instskip(NEXT) | instid1(VALU_DEP_1)
	v_fma_f32 v23, v26, v24, -v27
	v_fmac_f32_e32 v23, v26, v22
	s_delay_alu instid0(VALU_DEP_1) | instskip(NEXT) | instid1(VALU_DEP_1)
	v_add_f32_e32 v28, v27, v23
	v_dual_sub_f32 v16, v28, v27 :: v_dual_sub_f32 v29, v25, v28
	s_delay_alu instid0(VALU_DEP_1) | instskip(NEXT) | instid1(VALU_DEP_1)
	v_dual_sub_f32 v16, v16, v23 :: v_dual_sub_f32 v25, v25, v29
	v_sub_f32_e32 v25, v25, v28
	s_delay_alu instid0(VALU_DEP_1) | instskip(NEXT) | instid1(VALU_DEP_1)
	v_add_f32_e32 v12, v12, v25
	v_add_f32_e32 v12, v16, v12
	s_delay_alu instid0(VALU_DEP_1) | instskip(NEXT) | instid1(VALU_DEP_1)
	v_add_f32_e32 v16, v29, v12
	v_mul_f32_e32 v23, v15, v16
	s_delay_alu instid0(VALU_DEP_1) | instskip(NEXT) | instid1(VALU_DEP_1)
	v_dual_sub_f32 v28, v29, v16 :: v_dual_mul_f32 v25, v24, v23
	v_fma_f32 v24, v23, v24, -v25
	s_delay_alu instid0(VALU_DEP_1) | instskip(NEXT) | instid1(VALU_DEP_1)
	v_fmac_f32_e32 v24, v23, v22
	v_add_f32_e32 v22, v25, v24
	s_delay_alu instid0(VALU_DEP_1) | instskip(SKIP_1) | instid1(VALU_DEP_1)
	v_dual_add_f32 v12, v12, v28 :: v_dual_sub_f32 v25, v22, v25
	v_sub_f32_e32 v27, v16, v22
	v_sub_f32_e32 v16, v16, v27
	s_delay_alu instid0(VALU_DEP_1) | instskip(NEXT) | instid1(VALU_DEP_4)
	v_sub_f32_e32 v16, v16, v22
	v_sub_f32_e32 v22, v25, v24
	v_max_f32_e64 v24, |v4|, |v4|
	s_delay_alu instid0(VALU_DEP_3) | instskip(SKIP_1) | instid1(VALU_DEP_2)
	v_add_f32_e32 v12, v12, v16
	v_add_f32_e32 v16, v26, v23
	;; [unrolled: 1-line block ×3, first 2 shown]
	s_delay_alu instid0(VALU_DEP_2) | instskip(NEXT) | instid1(VALU_DEP_2)
	v_sub_f32_e32 v22, v16, v26
	v_add_f32_e32 v12, v27, v12
	s_delay_alu instid0(VALU_DEP_2) | instskip(NEXT) | instid1(VALU_DEP_2)
	v_sub_f32_e32 v22, v23, v22
	v_dual_mul_f32 v27, 0x3f317218, v14 :: v_dual_mul_f32 v12, v15, v12
	s_delay_alu instid0(VALU_DEP_1) | instskip(NEXT) | instid1(VALU_DEP_2)
	v_fma_f32 v28, 0x3f317218, v14, -v27
	v_add_f32_e32 v12, v22, v12
	s_delay_alu instid0(VALU_DEP_1) | instskip(NEXT) | instid1(VALU_DEP_1)
	v_dual_fmac_f32 v28, 0xb102e308, v14 :: v_dual_add_f32 v15, v16, v12
	v_mul_f32_e32 v22, v15, v15
	v_ldexp_f32 v26, v15, 1
	s_delay_alu instid0(VALU_DEP_2) | instskip(SKIP_1) | instid1(VALU_DEP_2)
	v_fmaak_f32 v23, s14, v22, 0x3ecc95a3
	v_mul_f32_e32 v25, v15, v22
	v_dual_sub_f32 v15, v15, v16 :: v_dual_fmaak_f32 v22, v22, v23, 0x3f2aaada
	v_max_f32_e64 v23, |v3|, |v3|
	s_delay_alu instid0(VALU_DEP_2) | instskip(NEXT) | instid1(VALU_DEP_2)
	v_sub_f32_e32 v12, v12, v15
	v_dual_mul_f32 v22, v25, v22 :: v_dual_max_f32 v25, v23, v24
	v_min_f32_e32 v23, v23, v24
	s_delay_alu instid0(VALU_DEP_3) | instskip(NEXT) | instid1(VALU_DEP_3)
	v_ldexp_f32 v12, v12, 1
	v_add_f32_e32 v16, v26, v22
	s_delay_alu instid0(VALU_DEP_4) | instskip(SKIP_1) | instid1(VALU_DEP_3)
	v_frexp_mant_f32_e32 v24, v25
	v_frexp_exp_i32_f32_e32 v25, v25
	v_sub_f32_e32 v15, v16, v26
	s_delay_alu instid0(VALU_DEP_3) | instskip(SKIP_1) | instid1(VALU_DEP_2)
	v_rcp_f32_e32 v24, v24
	v_frexp_exp_i32_f32_e32 v26, v23
	v_sub_f32_e32 v15, v22, v15
	v_frexp_mant_f32_e32 v22, v23
	s_delay_alu instid0(VALU_DEP_3) | instskip(NEXT) | instid1(VALU_DEP_3)
	v_sub_nc_u32_e32 v23, v26, v25
	v_dual_add_f32 v12, v12, v15 :: v_dual_add_f32 v15, v27, v28
	s_waitcnt_depctr 0xfff
	v_dual_sub_f32 v27, v15, v27 :: v_dual_mul_f32 v14, v22, v24
	v_add_f32_e32 v22, v16, v12
	s_delay_alu instid0(VALU_DEP_2) | instskip(NEXT) | instid1(VALU_DEP_3)
	v_sub_f32_e32 v27, v28, v27
	v_ldexp_f32 v14, v14, v23
	s_delay_alu instid0(VALU_DEP_3) | instskip(NEXT) | instid1(VALU_DEP_1)
	v_add_f32_e32 v23, v15, v22
	v_dual_sub_f32 v25, v23, v15 :: v_dual_sub_f32 v16, v22, v16
	s_delay_alu instid0(VALU_DEP_1) | instskip(NEXT) | instid1(VALU_DEP_1)
	v_sub_f32_e32 v29, v23, v25
	v_dual_sub_f32 v15, v15, v29 :: v_dual_sub_f32 v12, v12, v16
	v_mul_f32_e32 v24, v14, v14
	s_delay_alu instid0(VALU_DEP_2) | instskip(NEXT) | instid1(VALU_DEP_1)
	v_dual_sub_f32 v16, v22, v25 :: v_dual_add_f32 v25, v27, v12
	v_dual_fmaak_f32 v26, s16, v24, 0xbc7a590c :: v_dual_add_f32 v15, v16, v15
	s_delay_alu instid0(VALU_DEP_1) | instskip(NEXT) | instid1(VALU_DEP_1)
	v_dual_add_f32 v15, v25, v15 :: v_dual_fmaak_f32 v26, v24, v26, 0x3d29fb3f
	v_fmaak_f32 v22, v24, v26, 0xbd97d4d7
	s_delay_alu instid0(VALU_DEP_2) | instskip(NEXT) | instid1(VALU_DEP_2)
	v_add_f32_e32 v26, v23, v15
	v_fmaak_f32 v16, v24, v22, 0x3dd931b2
	v_sub_f32_e32 v22, v25, v27
	s_delay_alu instid0(VALU_DEP_2) | instskip(NEXT) | instid1(VALU_DEP_2)
	v_dual_sub_f32 v23, v26, v23 :: v_dual_fmaak_f32 v16, v24, v16, 0xbe1160e6
	v_sub_f32_e32 v25, v25, v22
	s_delay_alu instid0(VALU_DEP_2) | instskip(NEXT) | instid1(VALU_DEP_3)
	v_dual_sub_f32 v12, v12, v22 :: v_dual_sub_f32 v15, v15, v23
	v_fmaak_f32 v16, v24, v16, 0x3e4cb8bf
	s_delay_alu instid0(VALU_DEP_3) | instskip(NEXT) | instid1(VALU_DEP_2)
	v_sub_f32_e32 v22, v27, v25
	v_fmaak_f32 v16, v24, v16, 0xbeaaaa62
	s_delay_alu instid0(VALU_DEP_2) | instskip(NEXT) | instid1(VALU_DEP_2)
	v_add_f32_e32 v12, v12, v22
	v_mul_f32_e32 v16, v24, v16
	s_delay_alu instid0(VALU_DEP_2) | instskip(NEXT) | instid1(VALU_DEP_2)
	v_add_f32_e32 v12, v12, v15
	v_fmac_f32_e32 v14, v14, v16
	s_delay_alu instid0(VALU_DEP_1) | instskip(NEXT) | instid1(VALU_DEP_1)
	v_dual_add_f32 v12, v26, v12 :: v_dual_sub_f32 v15, 0x3fc90fdb, v14
	v_cndmask_b32_e32 v12, v12, v1, vcc_lo
	v_cmp_gt_i32_e32 vcc_lo, 0, v3
	s_delay_alu instid0(VALU_DEP_3) | instskip(SKIP_2) | instid1(VALU_DEP_3)
	v_cndmask_b32_e64 v14, v14, v15, s2
	v_cndmask_b32_e64 v15, 0, 0x40490fdb, vcc_lo
	v_cmp_ngt_f32_e32 vcc_lo, -1.0, v1
	v_sub_f32_e32 v16, 0x40490fdb, v14
	v_cndmask_b32_e32 v12, 0x7fc00000, v12, vcc_lo
	v_cmp_gt_f32_e32 vcc_lo, 0, v3
	s_delay_alu instid0(VALU_DEP_2) | instskip(NEXT) | instid1(VALU_DEP_4)
	v_cndmask_b32_e64 v12, 0xff800000, v12, s3
	v_cndmask_b32_e32 v14, v14, v16, vcc_lo
	v_cndmask_b32_e32 v16, 0x3f490fdb, v21, vcc_lo
	v_cmp_gt_f32_e64 vcc_lo, 0x33800000, |v1|
	v_cmp_class_f32_e64 s3, v4, 0x204
	v_cndmask_b32_e32 v1, v12, v1, vcc_lo
	v_cmp_eq_f32_e32 vcc_lo, 0, v4
	v_cndmask_b32_e32 v12, v14, v15, vcc_lo
	s_delay_alu instid0(VALU_DEP_4) | instskip(NEXT) | instid1(VALU_DEP_3)
	s_and_b32 vcc_lo, s4, s3
	v_mul_f32_e32 v15, 0.5, v1
	s_delay_alu instid0(VALU_DEP_2)
	v_cndmask_b32_e32 v1, v12, v16, vcc_lo
.LBB169_120:                            ;   in Loop: Header=BB169_5 Depth=1
	s_or_b32 exec_lo, exec_lo, s25
.LBB169_121:                            ;   in Loop: Header=BB169_5 Depth=1
	s_delay_alu instid0(SALU_CYCLE_1)
	s_or_b32 exec_lo, exec_lo, s24
.LBB169_122:                            ;   in Loop: Header=BB169_5 Depth=1
	s_and_not1_saveexec_b32 s4, s23
	s_cbranch_execz .LBB169_124
; %bb.123:                              ;   in Loop: Header=BB169_5 Depth=1
	v_max_f32_e64 v1, |v4|, |v4|
	v_max_f32_e64 v12, |v3|, |v3|
	v_cmp_gt_i32_e64 s3, 0, v3
	v_cmp_class_f32_e64 s5, v3, 0x204
	v_cmp_class_f32_e64 s6, v4, 0x204
	s_delay_alu instid0(VALU_DEP_4) | instskip(SKIP_1) | instid1(VALU_DEP_2)
	v_max_f32_e32 v16, v12, v1
	v_min_f32_e32 v1, v12, v1
	v_cvt_f64_f32_e32 v[14:15], v16
	s_delay_alu instid0(VALU_DEP_2) | instskip(SKIP_1) | instid1(VALU_DEP_3)
	v_frexp_exp_i32_f32_e32 v22, v1
	v_frexp_mant_f32_e32 v1, v1
	v_frexp_exp_i32_f64_e32 v14, v[14:15]
	v_frexp_mant_f32_e32 v15, v16
	s_delay_alu instid0(VALU_DEP_1) | instskip(SKIP_4) | instid1(VALU_DEP_2)
	v_rcp_f32_e32 v12, v15
	s_waitcnt_depctr 0xfff
	v_mul_f32_e32 v1, v1, v12
	v_frexp_exp_i32_f32_e32 v15, v16
	v_cmp_neq_f32_e32 vcc_lo, 0x7f800000, v16
	v_sub_nc_u32_e32 v15, v22, v15
	s_delay_alu instid0(VALU_DEP_1) | instskip(NEXT) | instid1(VALU_DEP_1)
	v_ldexp_f32 v1, v1, v15
	v_mul_f32_e32 v22, v1, v1
	v_sub_nc_u32_e32 v23, 0, v14
	s_delay_alu instid0(VALU_DEP_1) | instskip(SKIP_1) | instid1(VALU_DEP_2)
	v_ldexp_f32 v12, |v4|, v23
	v_ldexp_f32 v15, |v3|, v23
	v_mul_f32_e32 v12, v12, v12
	s_delay_alu instid0(VALU_DEP_1) | instskip(NEXT) | instid1(VALU_DEP_1)
	v_dual_fmac_f32 v12, v15, v15 :: v_dual_fmaak_f32 v15, s16, v22, 0xbc7a590c
	v_sqrt_f32_e32 v12, v12
	s_delay_alu instid0(VALU_DEP_1) | instskip(NEXT) | instid1(VALU_DEP_1)
	v_fmaak_f32 v15, v22, v15, 0x3d29fb3f
	v_fmaak_f32 v15, v22, v15, 0xbd97d4d7
	s_waitcnt_depctr 0xfff
	v_ldexp_f32 v12, v12, v14
	v_fmaak_f32 v14, v22, v15, 0x3dd931b2
	s_delay_alu instid0(VALU_DEP_1) | instskip(NEXT) | instid1(VALU_DEP_1)
	v_fmaak_f32 v14, v22, v14, 0xbe1160e6
	v_fmaak_f32 v14, v22, v14, 0x3e4cb8bf
	s_delay_alu instid0(VALU_DEP_1) | instskip(NEXT) | instid1(VALU_DEP_1)
	v_fmaak_f32 v14, v22, v14, 0xbeaaaa62
	v_mul_f32_e32 v14, v22, v14
	s_delay_alu instid0(VALU_DEP_1) | instskip(NEXT) | instid1(VALU_DEP_1)
	v_dual_cndmask_b32 v12, 0x7f800000, v12 :: v_dual_fmac_f32 v1, v1, v14
	v_cmp_gt_f32_e32 vcc_lo, 0x800000, v12
	v_cndmask_b32_e64 v15, 1.0, 0x4f800000, vcc_lo
	s_delay_alu instid0(VALU_DEP_1) | instskip(NEXT) | instid1(VALU_DEP_1)
	v_dual_mul_f32 v12, v12, v15 :: v_dual_sub_f32 v15, 0x3fc90fdb, v1
	v_log_f32_e32 v12, v12
	s_delay_alu instid0(VALU_DEP_1) | instskip(SKIP_2) | instid1(VALU_DEP_3)
	v_cndmask_b32_e64 v1, v1, v15, s2
	v_cndmask_b32_e64 v15, 0, 0x40490fdb, s3
	v_cmp_gt_f32_e64 s3, 0, v3
	v_sub_f32_e32 v22, 0x40490fdb, v1
	s_waitcnt_depctr 0xfff
	v_mul_f32_e32 v14, 0x3f317217, v12
	v_cndmask_b32_e64 v1, v1, v22, s3
	v_cndmask_b32_e64 v22, 0, 0x41b17218, vcc_lo
	v_cmp_gt_f32_e64 vcc_lo, 0x7f800000, |v12|
	s_delay_alu instid0(VALU_DEP_4) | instskip(NEXT) | instid1(VALU_DEP_1)
	v_fma_f32 v16, 0x3f317217, v12, -v14
	v_fmac_f32_e32 v16, 0x3377d1cf, v12
	s_delay_alu instid0(VALU_DEP_1) | instskip(SKIP_1) | instid1(VALU_DEP_2)
	v_add_f32_e32 v14, v14, v16
	v_cndmask_b32_e64 v16, 0x3f490fdb, v21, s3
	v_cndmask_b32_e32 v12, v12, v14, vcc_lo
	v_cmp_eq_f32_e32 vcc_lo, 0, v4
	v_cndmask_b32_e32 v1, v1, v15, vcc_lo
	s_and_b32 vcc_lo, s5, s6
	s_delay_alu instid0(VALU_DEP_3) | instskip(NEXT) | instid1(VALU_DEP_2)
	v_sub_f32_e32 v15, v12, v22
	v_cndmask_b32_e32 v1, v1, v16, vcc_lo
.LBB169_124:                            ;   in Loop: Header=BB169_5 Depth=1
	s_or_b32 exec_lo, exec_lo, s4
                                        ; implicit-def: $vgpr12
.LBB169_125:                            ;   in Loop: Header=BB169_5 Depth=1
	s_and_not1_saveexec_b32 s4, s22
	s_cbranch_execz .LBB169_131
; %bb.126:                              ;   in Loop: Header=BB169_5 Depth=1
                                        ; implicit-def: $vgpr1
	s_mov_b32 s3, exec_lo
	v_cmpx_ngt_f32_e32 0x1fec1e4a, v12
	s_xor_b32 s5, exec_lo, s3
	s_cbranch_execz .LBB169_128
; %bb.127:                              ;   in Loop: Header=BB169_5 Depth=1
	v_mul_f32_e32 v1, v12, v12
	v_cmp_gt_f32_e64 s3, 0, v3
	v_cmp_class_f32_e64 s6, v3, 0x204
	v_cmp_class_f32_e64 s8, v4, 0x204
	s_delay_alu instid0(VALU_DEP_4) | instskip(NEXT) | instid1(VALU_DEP_1)
	v_add_f32_e32 v12, 1.0, v1
	v_cvt_f64_f32_e32 v[14:15], v12
	s_delay_alu instid0(VALU_DEP_1) | instskip(SKIP_1) | instid1(VALU_DEP_1)
	v_frexp_exp_i32_f64_e32 v14, v[14:15]
	v_frexp_mant_f32_e32 v15, v12
	v_cmp_gt_f32_e32 vcc_lo, 0x3f2aaaab, v15
	v_add_f32_e32 v15, -1.0, v12
	s_delay_alu instid0(VALU_DEP_1) | instskip(NEXT) | instid1(VALU_DEP_1)
	v_sub_f32_e32 v22, v15, v12
	v_dual_add_f32 v22, 1.0, v22 :: v_dual_sub_f32 v15, v1, v15
	v_cmp_gt_f32_e64 s7, 0x33800000, |v1|
	v_subrev_co_ci_u32_e32 v14, vcc_lo, 0, v14, vcc_lo
	v_cmp_gt_i32_e32 vcc_lo, 0, v3
	s_delay_alu instid0(VALU_DEP_2) | instskip(SKIP_1) | instid1(VALU_DEP_2)
	v_sub_nc_u32_e32 v16, 0, v14
	v_cvt_f32_i32_e32 v14, v14
	v_ldexp_f32 v12, v12, v16
	v_add_f32_e32 v15, v15, v22
	s_delay_alu instid0(VALU_DEP_2) | instskip(NEXT) | instid1(VALU_DEP_2)
	v_add_f32_e32 v23, 1.0, v12
	v_ldexp_f32 v15, v15, v16
	v_add_f32_e32 v16, -1.0, v12
	s_delay_alu instid0(VALU_DEP_3) | instskip(NEXT) | instid1(VALU_DEP_2)
	v_add_f32_e32 v22, -1.0, v23
	v_add_f32_e32 v24, 1.0, v16
	s_delay_alu instid0(VALU_DEP_2) | instskip(NEXT) | instid1(VALU_DEP_2)
	v_sub_f32_e32 v22, v12, v22
	v_sub_f32_e32 v12, v12, v24
	s_delay_alu instid0(VALU_DEP_1) | instskip(NEXT) | instid1(VALU_DEP_1)
	v_add_f32_e32 v12, v15, v12
	v_dual_add_f32 v22, v15, v22 :: v_dual_add_f32 v25, v16, v12
	s_delay_alu instid0(VALU_DEP_1) | instskip(NEXT) | instid1(VALU_DEP_2)
	v_add_f32_e32 v24, v23, v22
	v_sub_f32_e32 v16, v16, v25
	s_delay_alu instid0(VALU_DEP_2) | instskip(SKIP_1) | instid1(VALU_DEP_2)
	v_rcp_f32_e32 v15, v24
	v_sub_f32_e32 v23, v23, v24
	v_add_f32_e32 v12, v12, v16
	s_delay_alu instid0(VALU_DEP_2) | instskip(SKIP_2) | instid1(VALU_DEP_1)
	v_add_f32_e32 v22, v22, v23
	s_waitcnt_depctr 0xfff
	v_mul_f32_e32 v26, v25, v15
	v_mul_f32_e32 v27, v24, v26
	s_delay_alu instid0(VALU_DEP_1) | instskip(NEXT) | instid1(VALU_DEP_1)
	v_fma_f32 v23, v26, v24, -v27
	v_fmac_f32_e32 v23, v26, v22
	s_delay_alu instid0(VALU_DEP_1) | instskip(NEXT) | instid1(VALU_DEP_1)
	v_add_f32_e32 v28, v27, v23
	v_dual_sub_f32 v29, v25, v28 :: v_dual_sub_f32 v16, v28, v27
	s_delay_alu instid0(VALU_DEP_1) | instskip(NEXT) | instid1(VALU_DEP_1)
	v_dual_sub_f32 v25, v25, v29 :: v_dual_sub_f32 v16, v16, v23
	v_sub_f32_e32 v25, v25, v28
	s_delay_alu instid0(VALU_DEP_1) | instskip(NEXT) | instid1(VALU_DEP_1)
	v_add_f32_e32 v12, v12, v25
	v_add_f32_e32 v12, v16, v12
	s_delay_alu instid0(VALU_DEP_1) | instskip(NEXT) | instid1(VALU_DEP_1)
	v_add_f32_e32 v16, v29, v12
	v_mul_f32_e32 v23, v15, v16
	s_delay_alu instid0(VALU_DEP_1) | instskip(NEXT) | instid1(VALU_DEP_1)
	v_dual_sub_f32 v28, v29, v16 :: v_dual_mul_f32 v25, v24, v23
	v_add_f32_e32 v12, v12, v28
	s_delay_alu instid0(VALU_DEP_2) | instskip(NEXT) | instid1(VALU_DEP_1)
	v_fma_f32 v24, v23, v24, -v25
	v_fmac_f32_e32 v24, v23, v22
	s_delay_alu instid0(VALU_DEP_1) | instskip(NEXT) | instid1(VALU_DEP_1)
	v_add_f32_e32 v22, v25, v24
	v_sub_f32_e32 v27, v16, v22
	s_delay_alu instid0(VALU_DEP_1) | instskip(NEXT) | instid1(VALU_DEP_1)
	v_dual_sub_f32 v25, v22, v25 :: v_dual_sub_f32 v16, v16, v27
	v_sub_f32_e32 v16, v16, v22
	s_delay_alu instid0(VALU_DEP_2) | instskip(NEXT) | instid1(VALU_DEP_2)
	v_sub_f32_e32 v22, v25, v24
	v_add_f32_e32 v12, v12, v16
	v_add_f32_e32 v16, v26, v23
	s_delay_alu instid0(VALU_DEP_2) | instskip(NEXT) | instid1(VALU_DEP_2)
	v_add_f32_e32 v12, v22, v12
	v_sub_f32_e32 v22, v16, v26
	s_delay_alu instid0(VALU_DEP_2) | instskip(NEXT) | instid1(VALU_DEP_2)
	v_add_f32_e32 v12, v27, v12
	v_sub_f32_e32 v22, v23, v22
	v_max_f32_e64 v23, |v3|, |v3|
	s_delay_alu instid0(VALU_DEP_3) | instskip(SKIP_1) | instid1(VALU_DEP_1)
	v_mul_f32_e32 v12, v15, v12
	v_max_f32_e64 v15, |v4|, |v4|
	v_dual_add_f32 v12, v22, v12 :: v_dual_max_f32 v25, v23, v15
	s_delay_alu instid0(VALU_DEP_1) | instskip(NEXT) | instid1(VALU_DEP_2)
	v_dual_min_f32 v15, v23, v15 :: v_dual_add_f32 v22, v16, v12
	v_frexp_mant_f32_e32 v27, v25
	v_frexp_exp_i32_f32_e32 v23, v25
	s_delay_alu instid0(VALU_DEP_3) | instskip(SKIP_2) | instid1(VALU_DEP_3)
	v_mul_f32_e32 v24, v22, v22
	v_ldexp_f32 v28, v22, 1
	v_sub_f32_e32 v16, v22, v16
	v_fmaak_f32 v26, s14, v24, 0x3ecc95a3
	v_mul_f32_e32 v25, v22, v24
	s_delay_alu instid0(VALU_DEP_3) | instskip(NEXT) | instid1(VALU_DEP_3)
	v_sub_f32_e32 v12, v12, v16
	v_fmaak_f32 v24, v24, v26, 0x3f2aaada
	v_rcp_f32_e32 v26, v27
	v_frexp_exp_i32_f32_e32 v27, v15
	v_frexp_mant_f32_e32 v15, v15
	v_ldexp_f32 v12, v12, 1
	v_dual_mul_f32 v24, v25, v24 :: v_dual_mul_f32 v25, 0x3f317218, v14
	s_delay_alu instid0(VALU_DEP_4) | instskip(SKIP_2) | instid1(VALU_DEP_1)
	v_sub_nc_u32_e32 v23, v27, v23
	s_waitcnt_depctr 0xfff
	v_dual_add_f32 v22, v28, v24 :: v_dual_mul_f32 v15, v15, v26
	v_sub_f32_e32 v16, v22, v28
	s_delay_alu instid0(VALU_DEP_2) | instskip(SKIP_1) | instid1(VALU_DEP_3)
	v_ldexp_f32 v15, v15, v23
	v_fma_f32 v23, 0x3f317218, v14, -v25
	v_sub_f32_e32 v16, v24, v16
	s_delay_alu instid0(VALU_DEP_2) | instskip(NEXT) | instid1(VALU_DEP_2)
	v_dual_mul_f32 v24, v15, v15 :: v_dual_fmac_f32 v23, 0xb102e308, v14
	v_add_f32_e32 v12, v12, v16
	s_delay_alu instid0(VALU_DEP_2) | instskip(NEXT) | instid1(VALU_DEP_3)
	v_fmaak_f32 v14, s16, v24, 0xbc7a590c
	v_add_f32_e32 v16, v25, v23
	s_delay_alu instid0(VALU_DEP_3) | instskip(NEXT) | instid1(VALU_DEP_3)
	v_add_f32_e32 v26, v22, v12
	v_fmaak_f32 v14, v24, v14, 0x3d29fb3f
	s_delay_alu instid0(VALU_DEP_3) | instskip(NEXT) | instid1(VALU_DEP_3)
	v_sub_f32_e32 v25, v16, v25
	v_add_f32_e32 v27, v16, v26
	s_delay_alu instid0(VALU_DEP_3) | instskip(NEXT) | instid1(VALU_DEP_3)
	v_fmaak_f32 v14, v24, v14, 0xbd97d4d7
	v_dual_sub_f32 v22, v26, v22 :: v_dual_sub_f32 v23, v23, v25
	s_delay_alu instid0(VALU_DEP_3) | instskip(NEXT) | instid1(VALU_DEP_3)
	v_sub_f32_e32 v28, v27, v16
	v_fmaak_f32 v14, v24, v14, 0x3dd931b2
	s_delay_alu instid0(VALU_DEP_2) | instskip(NEXT) | instid1(VALU_DEP_2)
	v_dual_sub_f32 v12, v12, v22 :: v_dual_sub_f32 v29, v27, v28
	v_fmaak_f32 v14, v24, v14, 0xbe1160e6
	v_sub_f32_e32 v22, v26, v28
	s_delay_alu instid0(VALU_DEP_3) | instskip(NEXT) | instid1(VALU_DEP_3)
	v_dual_add_f32 v25, v23, v12 :: v_dual_sub_f32 v16, v16, v29
	v_fmaak_f32 v14, v24, v14, 0x3e4cb8bf
	s_delay_alu instid0(VALU_DEP_2) | instskip(NEXT) | instid1(VALU_DEP_2)
	v_add_f32_e32 v16, v22, v16
	v_fmaak_f32 v14, v24, v14, 0xbeaaaa62
	s_delay_alu instid0(VALU_DEP_4) | instskip(NEXT) | instid1(VALU_DEP_3)
	v_sub_f32_e32 v22, v25, v23
	v_add_f32_e32 v16, v25, v16
	s_delay_alu instid0(VALU_DEP_3) | instskip(NEXT) | instid1(VALU_DEP_3)
	v_mul_f32_e32 v14, v24, v14
	v_sub_f32_e32 v24, v25, v22
	s_delay_alu instid0(VALU_DEP_3) | instskip(NEXT) | instid1(VALU_DEP_3)
	v_dual_sub_f32 v12, v12, v22 :: v_dual_add_f32 v25, v27, v16
	v_fmac_f32_e32 v15, v15, v14
	s_delay_alu instid0(VALU_DEP_3) | instskip(NEXT) | instid1(VALU_DEP_3)
	v_sub_f32_e32 v14, v23, v24
	v_sub_f32_e32 v22, v25, v27
	s_delay_alu instid0(VALU_DEP_2) | instskip(NEXT) | instid1(VALU_DEP_2)
	v_dual_sub_f32 v23, 0x3fc90fdb, v15 :: v_dual_add_f32 v12, v12, v14
	v_sub_f32_e32 v14, v16, v22
	s_delay_alu instid0(VALU_DEP_2)
	v_cndmask_b32_e64 v15, v15, v23, s2
	v_cndmask_b32_e64 v16, 0, 0x40490fdb, vcc_lo
	v_cmp_eq_f32_e32 vcc_lo, 0x7f800000, v1
	v_cndmask_b32_e64 v22, 0x3f490fdb, v21, s3
	v_add_f32_e32 v12, v12, v14
	v_sub_f32_e32 v14, 0x40490fdb, v15
	s_or_b32 vcc_lo, vcc_lo, s7
	s_delay_alu instid0(VALU_DEP_2) | instskip(NEXT) | instid1(VALU_DEP_2)
	v_add_f32_e32 v12, v25, v12
	v_cndmask_b32_e64 v14, v15, v14, s3
	s_delay_alu instid0(VALU_DEP_2) | instskip(SKIP_1) | instid1(VALU_DEP_2)
	v_cndmask_b32_e32 v1, v12, v1, vcc_lo
	v_cmp_eq_f32_e32 vcc_lo, 0, v4
	v_dual_mul_f32 v15, 0.5, v1 :: v_dual_cndmask_b32 v12, v14, v16
	s_and_b32 vcc_lo, s6, s8
	s_delay_alu instid0(VALU_DEP_1)
	v_cndmask_b32_e32 v1, v12, v22, vcc_lo
                                        ; implicit-def: $vgpr12
.LBB169_128:                            ;   in Loop: Header=BB169_5 Depth=1
	s_and_not1_saveexec_b32 s5, s5
	s_cbranch_execz .LBB169_130
; %bb.129:                              ;   in Loop: Header=BB169_5 Depth=1
	v_max_f32_e64 v1, |v4|, |v4|
	v_max_f32_e64 v14, |v3|, |v3|
	v_cmp_gt_i32_e32 vcc_lo, 0, v3
	v_cmp_eq_f32_e64 s3, 0, v4
	v_cmp_class_f32_e64 s6, v3, 0x204
	v_cmp_class_f32_e64 s7, v4, 0x204
	v_max_f32_e32 v15, v14, v1
	v_min_f32_e32 v1, v14, v1
	s_delay_alu instid0(VALU_DEP_2) | instskip(SKIP_1) | instid1(VALU_DEP_2)
	v_frexp_mant_f32_e32 v16, v15
	v_frexp_exp_i32_f32_e32 v15, v15
	v_rcp_f32_e32 v14, v16
	s_delay_alu instid0(VALU_DEP_3) | instskip(SKIP_1) | instid1(VALU_DEP_2)
	v_frexp_exp_i32_f32_e32 v16, v1
	v_frexp_mant_f32_e32 v1, v1
	v_sub_nc_u32_e32 v15, v16, v15
	s_waitcnt_depctr 0xfff
	v_mul_f32_e32 v1, v1, v14
	s_delay_alu instid0(VALU_DEP_1) | instskip(NEXT) | instid1(VALU_DEP_1)
	v_ldexp_f32 v1, v1, v15
	v_mul_f32_e32 v14, v1, v1
	s_delay_alu instid0(VALU_DEP_1) | instskip(NEXT) | instid1(VALU_DEP_1)
	v_fmaak_f32 v15, s16, v14, 0xbc7a590c
	v_fmaak_f32 v15, v14, v15, 0x3d29fb3f
	s_delay_alu instid0(VALU_DEP_1) | instskip(NEXT) | instid1(VALU_DEP_1)
	v_fmaak_f32 v15, v14, v15, 0xbd97d4d7
	v_fmaak_f32 v15, v14, v15, 0x3dd931b2
	;; [unrolled: 3-line block ×3, first 2 shown]
	s_delay_alu instid0(VALU_DEP_1) | instskip(NEXT) | instid1(VALU_DEP_1)
	v_fmaak_f32 v15, v14, v15, 0xbeaaaa62
	v_mul_f32_e32 v14, v14, v15
	v_cndmask_b32_e64 v15, 0, 0x40490fdb, vcc_lo
	v_cmp_gt_f32_e32 vcc_lo, 0, v3
	s_delay_alu instid0(VALU_DEP_3) | instskip(NEXT) | instid1(VALU_DEP_1)
	v_dual_fmac_f32 v1, v1, v14 :: v_dual_cndmask_b32 v16, 0x3f490fdb, v21
	v_sub_f32_e32 v14, 0x3fc90fdb, v1
	s_delay_alu instid0(VALU_DEP_1) | instskip(NEXT) | instid1(VALU_DEP_1)
	v_cndmask_b32_e64 v1, v1, v14, s2
	v_sub_f32_e32 v14, 0x40490fdb, v1
	s_delay_alu instid0(VALU_DEP_1) | instskip(SKIP_1) | instid1(VALU_DEP_1)
	v_dual_cndmask_b32 v1, v1, v14 :: v_dual_mul_f32 v14, 0.5, v12
	s_and_b32 vcc_lo, s6, s7
	v_cndmask_b32_e64 v1, v1, v15, s3
	s_delay_alu instid0(VALU_DEP_2) | instskip(NEXT) | instid1(VALU_DEP_2)
	v_mul_f32_e32 v15, v12, v14
	v_cndmask_b32_e32 v1, v1, v16, vcc_lo
.LBB169_130:                            ;   in Loop: Header=BB169_5 Depth=1
	s_or_b32 exec_lo, exec_lo, s5
.LBB169_131:                            ;   in Loop: Header=BB169_5 Depth=1
	s_delay_alu instid0(SALU_CYCLE_1)
	s_or_b32 exec_lo, exec_lo, s4
.LBB169_132:                            ;   in Loop: Header=BB169_5 Depth=1
	s_and_not1_saveexec_b32 s4, s21
	s_cbranch_execz .LBB169_134
; %bb.133:                              ;   in Loop: Header=BB169_5 Depth=1
	v_div_scale_f32 v1, null, 0x402df854, 0x402df854, v3
	v_div_scale_f32 v12, null, 0x402df854, 0x402df854, v4
	v_div_scale_f32 v23, vcc_lo, v3, 0x402df854, v3
	s_delay_alu instid0(VALU_DEP_3) | instskip(NEXT) | instid1(VALU_DEP_2)
	v_rcp_f32_e32 v14, v1
	v_rcp_f32_e32 v15, v12
	v_cmp_class_f32_e64 s5, v4, 0x204
	s_waitcnt_depctr 0xfff
	v_fma_f32 v16, -v1, v14, 1.0
	v_fma_f32 v22, -v12, v15, 1.0
	s_delay_alu instid0(VALU_DEP_1) | instskip(SKIP_1) | instid1(VALU_DEP_2)
	v_dual_fmac_f32 v14, v16, v14 :: v_dual_fmac_f32 v15, v22, v15
	v_div_scale_f32 v16, s3, v4, 0x402df854, v4
	v_mul_f32_e32 v22, v23, v14
	s_delay_alu instid0(VALU_DEP_2) | instskip(NEXT) | instid1(VALU_DEP_2)
	v_mul_f32_e32 v24, v16, v15
	v_fma_f32 v25, -v1, v22, v23
	s_delay_alu instid0(VALU_DEP_2) | instskip(NEXT) | instid1(VALU_DEP_2)
	v_fma_f32 v26, -v12, v24, v16
	v_fmac_f32_e32 v22, v25, v14
	s_delay_alu instid0(VALU_DEP_2) | instskip(NEXT) | instid1(VALU_DEP_2)
	v_fmac_f32_e32 v24, v26, v15
	v_fma_f32 v1, -v1, v22, v23
	s_delay_alu instid0(VALU_DEP_2) | instskip(NEXT) | instid1(VALU_DEP_2)
	v_fma_f32 v12, -v12, v24, v16
	v_div_fmas_f32 v1, v1, v14, v22
	s_mov_b32 vcc_lo, s3
	v_max_f32_e64 v22, |v3|, |v3|
	s_delay_alu instid0(VALU_DEP_3) | instskip(SKIP_2) | instid1(VALU_DEP_3)
	v_div_fmas_f32 v12, v12, v15, v24
	v_cmp_class_f32_e64 s3, v3, 0x204
	v_div_fixup_f32 v1, v1, 0x402df854, v3
	v_div_fixup_f32 v12, v12, 0x402df854, v4
	s_delay_alu instid0(VALU_DEP_1) | instskip(NEXT) | instid1(VALU_DEP_1)
	v_max_f32_e64 v16, |v1|, |v12|
	v_cvt_f64_f32_e32 v[14:15], v16
	v_cmp_neq_f32_e32 vcc_lo, 0x7f800000, v16
	s_delay_alu instid0(VALU_DEP_2) | instskip(SKIP_1) | instid1(VALU_DEP_1)
	v_frexp_exp_i32_f64_e32 v14, v[14:15]
	v_max_f32_e64 v15, |v4|, |v4|
	v_max_f32_e32 v23, v22, v15
	v_min_f32_e32 v15, v22, v15
	s_delay_alu instid0(VALU_DEP_2) | instskip(NEXT) | instid1(VALU_DEP_1)
	v_frexp_mant_f32_e32 v24, v23
	v_rcp_f32_e32 v22, v24
	v_sub_nc_u32_e32 v24, 0, v14
	s_delay_alu instid0(VALU_DEP_1) | instskip(SKIP_1) | instid1(VALU_DEP_2)
	v_ldexp_f32 v12, |v12|, v24
	v_ldexp_f32 v1, |v1|, v24
	v_mul_f32_e32 v12, v12, v12
	v_frexp_exp_i32_f32_e32 v23, v23
	s_delay_alu instid0(VALU_DEP_2) | instskip(SKIP_2) | instid1(VALU_DEP_3)
	v_fmac_f32_e32 v12, v1, v1
	v_frexp_exp_i32_f32_e32 v25, v15
	v_frexp_mant_f32_e32 v15, v15
	v_sqrt_f32_e32 v12, v12
	s_delay_alu instid0(VALU_DEP_2) | instskip(NEXT) | instid1(VALU_DEP_2)
	v_sub_nc_u32_e32 v23, v25, v23
	v_mul_f32_e32 v15, v15, v22
	s_delay_alu instid0(VALU_DEP_1) | instskip(SKIP_2) | instid1(VALU_DEP_1)
	v_ldexp_f32 v15, v15, v23
	s_waitcnt_depctr 0xfff
	v_ldexp_f32 v12, v12, v14
	v_dual_mul_f32 v1, v15, v15 :: v_dual_cndmask_b32 v12, 0x7f800000, v12
	s_delay_alu instid0(VALU_DEP_1) | instskip(NEXT) | instid1(VALU_DEP_2)
	v_fmaak_f32 v22, s16, v1, 0xbc7a590c
	v_cmp_gt_f32_e32 vcc_lo, 0x800000, v12
	s_delay_alu instid0(VALU_DEP_2) | instskip(SKIP_1) | instid1(VALU_DEP_1)
	v_fmaak_f32 v22, v1, v22, 0x3d29fb3f
	v_cndmask_b32_e64 v16, 1.0, 0x4f800000, vcc_lo
	v_mul_f32_e32 v12, v12, v16
	s_delay_alu instid0(VALU_DEP_1) | instskip(NEXT) | instid1(VALU_DEP_3)
	v_log_f32_e32 v12, v12
	v_fmaak_f32 v14, v1, v22, 0xbd97d4d7
	v_cndmask_b32_e64 v22, 0, 0x41b17218, vcc_lo
	s_delay_alu instid0(VALU_DEP_2) | instskip(SKIP_3) | instid1(VALU_DEP_1)
	v_fmaak_f32 v14, v1, v14, 0x3dd931b2
	s_waitcnt_depctr 0xfff
	v_cmp_gt_f32_e64 vcc_lo, 0x7f800000, |v12|
	v_fmaak_f32 v14, v1, v14, 0xbe1160e6
	v_fmaak_f32 v14, v1, v14, 0x3e4cb8bf
	s_delay_alu instid0(VALU_DEP_1) | instskip(NEXT) | instid1(VALU_DEP_1)
	v_fmaak_f32 v14, v1, v14, 0xbeaaaa62
	v_dual_mul_f32 v1, v1, v14 :: v_dual_mul_f32 v14, 0x3f317217, v12
	s_delay_alu instid0(VALU_DEP_1) | instskip(NEXT) | instid1(VALU_DEP_2)
	v_fmac_f32_e32 v15, v15, v1
	v_fma_f32 v1, 0x3f317217, v12, -v14
	s_delay_alu instid0(VALU_DEP_2) | instskip(NEXT) | instid1(VALU_DEP_2)
	v_sub_f32_e32 v16, 0x3fc90fdb, v15
	v_fmac_f32_e32 v1, 0x3377d1cf, v12
	s_delay_alu instid0(VALU_DEP_2) | instskip(SKIP_1) | instid1(VALU_DEP_2)
	v_cndmask_b32_e64 v15, v15, v16, s2
	v_cmp_gt_i32_e64 s2, 0, v3
	v_dual_add_f32 v1, v14, v1 :: v_dual_sub_f32 v14, 0x40490fdb, v15
	s_delay_alu instid0(VALU_DEP_2) | instskip(SKIP_1) | instid1(VALU_DEP_3)
	v_cndmask_b32_e64 v16, 0, 0x40490fdb, s2
	v_cmp_gt_f32_e64 s2, 0, v3
	v_cndmask_b32_e32 v1, v12, v1, vcc_lo
	v_cmp_eq_f32_e32 vcc_lo, 0, v4
	s_delay_alu instid0(VALU_DEP_3) | instskip(SKIP_1) | instid1(VALU_DEP_2)
	v_cndmask_b32_e64 v12, v15, v14, s2
	v_cndmask_b32_e64 v14, 0x3f490fdb, v21, s2
	v_dual_sub_f32 v1, v1, v22 :: v_dual_cndmask_b32 v12, v12, v16
	s_and_b32 vcc_lo, s3, s5
	s_delay_alu instid0(VALU_DEP_1) | instskip(NEXT) | instid1(VALU_DEP_2)
	v_add_f32_e32 v15, 1.0, v1
	v_cndmask_b32_e32 v1, v12, v14, vcc_lo
.LBB169_134:                            ;   in Loop: Header=BB169_5 Depth=1
	s_or_b32 exec_lo, exec_lo, s4
.LBB169_135:                            ;   in Loop: Header=BB169_5 Depth=1
	s_and_not1_saveexec_b32 s2, s17
	s_cbranch_execz .LBB169_4
; %bb.136:                              ;   in Loop: Header=BB169_5 Depth=1
	v_cmp_ngt_f32_e64 s3, 0x20000000, |v3|
	v_cmp_ngt_f32_e64 s4, 0x20000000, |v4|
                                        ; implicit-def: $vgpr1
	s_delay_alu instid0(VALU_DEP_1) | instskip(NEXT) | instid1(SALU_CYCLE_1)
	s_or_b32 s3, s3, s4
	s_and_saveexec_b32 s4, s3
	s_delay_alu instid0(SALU_CYCLE_1)
	s_xor_b32 s3, exec_lo, s4
; %bb.137:                              ;   in Loop: Header=BB169_5 Depth=1
	v_mul_f32_e32 v1, v4, v4
	s_delay_alu instid0(VALU_DEP_1)
	v_fmac_f32_e32 v1, v3, v3
; %bb.138:                              ;   in Loop: Header=BB169_5 Depth=1
	s_and_not1_saveexec_b32 s3, s3
	s_cbranch_execz .LBB169_3
; %bb.139:                              ;   in Loop: Header=BB169_5 Depth=1
	v_mul_f32_e32 v1, 4.0, v4
	v_mul_f32_e32 v3, 4.0, v3
	s_delay_alu instid0(VALU_DEP_2) | instskip(NEXT) | instid1(VALU_DEP_1)
	v_mul_f32_e32 v1, v1, v1
	v_fmac_f32_e32 v1, v3, v3
	s_delay_alu instid0(VALU_DEP_1)
	v_mul_f32_e32 v1, 0x3d800000, v1
	s_branch .LBB169_3
.LBB169_140:
	s_or_b32 exec_lo, exec_lo, s9
	s_mov_b32 s2, 0
.LBB169_141:
	s_delay_alu instid0(SALU_CYCLE_1)
	s_and_not1_b32 vcc_lo, exec_lo, s2
	s_cbranch_vccnz .LBB169_297
; %bb.142:
	v_cmp_lt_i64_e64 s2, s[12:13], 1
	s_delay_alu instid0(VALU_DEP_1)
	s_and_b32 vcc_lo, exec_lo, s2
	s_cbranch_vccnz .LBB169_297
; %bb.143:
	s_load_b32 s0, s[0:1], 0xc5c
	v_cmp_gt_u64_e64 s1, 0x10000, s[12:13]
	v_mov_b32_e32 v19, 0x4016cbe4
	s_mov_b64 s[14:15], 0
	s_mov_b32 s21, 0x3e9b6dac
	s_mov_b32 s26, 0x3b2d2a58
	s_waitcnt lgkmcnt(0)
	s_and_b32 s22, s0, 0xffff
	s_and_b32 s0, s1, exec_lo
	s_cselect_b32 s17, s13, 0
	s_cselect_b32 s16, s12, 0x10000
	s_lshl_b32 s23, s22, 1
	s_mul_i32 s24, s22, 3
	s_lshl_b32 s25, s22, 2
	s_branch .LBB169_145
.LBB169_144:                            ;   in Loop: Header=BB169_145 Depth=1
	s_or_b32 exec_lo, exec_lo, s0
	s_add_u32 s14, s14, s25
	s_addc_u32 s15, s15, 0
	s_delay_alu instid0(SALU_CYCLE_1) | instskip(SKIP_1) | instid1(VALU_DEP_1)
	v_cmp_ge_i64_e64 s0, s[14:15], s[12:13]
	v_cmp_lt_u64_e64 s1, 0xffff, s[14:15]
	s_or_b32 s0, s0, s1
	s_delay_alu instid0(SALU_CYCLE_1)
	s_and_b32 vcc_lo, exec_lo, s0
	s_cbranch_vccnz .LBB169_297
.LBB169_145:                            ; =>This Loop Header: Depth=1
                                        ;     Child Loop BB169_164 Depth 2
                                        ;     Child Loop BB169_198 Depth 2
	;; [unrolled: 1-line block ×4, first 2 shown]
	v_add_co_u32 v1, s0, s14, v0
	s_delay_alu instid0(VALU_DEP_1) | instskip(SKIP_1) | instid1(VALU_DEP_2)
	v_add_co_ci_u32_e64 v2, null, s15, 0, s0
	v_dual_mov_b32 v8, 0 :: v_dual_mov_b32 v7, 0
	v_cmp_gt_u64_e64 s0, s[16:17], v[1:2]
	s_delay_alu instid0(VALU_DEP_1)
	s_and_saveexec_b32 s1, s0
	s_cbranch_execz .LBB169_147
; %bb.146:                              ;   in Loop: Header=BB169_145 Depth=1
	v_lshlrev_b64 v[3:4], 3, v[1:2]
	s_delay_alu instid0(VALU_DEP_1) | instskip(NEXT) | instid1(VALU_DEP_2)
	v_add_co_u32 v3, vcc_lo, s11, v3
	v_add_co_ci_u32_e32 v4, vcc_lo, s18, v4, vcc_lo
	global_load_b64 v[7:8], v[3:4], off
.LBB169_147:                            ;   in Loop: Header=BB169_145 Depth=1
	s_or_b32 exec_lo, exec_lo, s1
	v_add_co_u32 v5, vcc_lo, v1, s22
	v_add_co_ci_u32_e32 v6, vcc_lo, 0, v2, vcc_lo
	v_dual_mov_b32 v4, 0 :: v_dual_mov_b32 v11, 0
	v_mov_b32_e32 v12, 0
	s_delay_alu instid0(VALU_DEP_3) | instskip(NEXT) | instid1(VALU_DEP_1)
	v_cmp_gt_u64_e64 s1, s[16:17], v[5:6]
	s_and_saveexec_b32 s2, s1
	s_cbranch_execz .LBB169_149
; %bb.148:                              ;   in Loop: Header=BB169_145 Depth=1
	v_lshlrev_b64 v[9:10], 3, v[5:6]
	s_delay_alu instid0(VALU_DEP_1) | instskip(NEXT) | instid1(VALU_DEP_2)
	v_add_co_u32 v9, vcc_lo, s11, v9
	v_add_co_ci_u32_e32 v10, vcc_lo, s18, v10, vcc_lo
	global_load_b64 v[11:12], v[9:10], off
.LBB169_149:                            ;   in Loop: Header=BB169_145 Depth=1
	s_or_b32 exec_lo, exec_lo, s2
	v_add_co_u32 v9, vcc_lo, v1, s23
	v_add_co_ci_u32_e32 v10, vcc_lo, 0, v2, vcc_lo
	v_mov_b32_e32 v3, 0
	s_delay_alu instid0(VALU_DEP_2) | instskip(NEXT) | instid1(VALU_DEP_1)
	v_cmp_gt_u64_e64 s2, s[16:17], v[9:10]
	s_and_saveexec_b32 s3, s2
	s_cbranch_execz .LBB169_151
; %bb.150:                              ;   in Loop: Header=BB169_145 Depth=1
	v_lshlrev_b64 v[3:4], 3, v[9:10]
	s_delay_alu instid0(VALU_DEP_1) | instskip(NEXT) | instid1(VALU_DEP_2)
	v_add_co_u32 v3, vcc_lo, s11, v3
	v_add_co_ci_u32_e32 v4, vcc_lo, s18, v4, vcc_lo
	global_load_b64 v[3:4], v[3:4], off
.LBB169_151:                            ;   in Loop: Header=BB169_145 Depth=1
	s_or_b32 exec_lo, exec_lo, s3
	v_add_co_u32 v13, vcc_lo, v1, s24
	v_add_co_ci_u32_e32 v14, vcc_lo, 0, v2, vcc_lo
	v_dual_mov_b32 v16, 0 :: v_dual_mov_b32 v15, 0
	s_delay_alu instid0(VALU_DEP_2) | instskip(NEXT) | instid1(VALU_DEP_1)
	v_cmp_gt_u64_e64 s3, s[16:17], v[13:14]
	s_and_saveexec_b32 s4, s3
	s_cbranch_execz .LBB169_153
; %bb.152:                              ;   in Loop: Header=BB169_145 Depth=1
	v_lshlrev_b64 v[15:16], 3, v[13:14]
	s_delay_alu instid0(VALU_DEP_1) | instskip(NEXT) | instid1(VALU_DEP_2)
	v_add_co_u32 v15, vcc_lo, s11, v15
	v_add_co_ci_u32_e32 v16, vcc_lo, s18, v16, vcc_lo
	global_load_b64 v[15:16], v[15:16], off
.LBB169_153:                            ;   in Loop: Header=BB169_145 Depth=1
	s_or_b32 exec_lo, exec_lo, s4
                                        ; implicit-def: $vgpr17
                                        ; implicit-def: $vgpr18
	s_delay_alu instid0(SALU_CYCLE_1)
	s_mov_b32 s4, exec_lo
	s_waitcnt vmcnt(0)
	v_cmpx_o_f32_e32 v8, v7
	s_xor_b32 s27, exec_lo, s4
	s_cbranch_execz .LBB169_181
; %bb.154:                              ;   in Loop: Header=BB169_145 Depth=1
	v_cmp_lt_f32_e64 s4, |v7|, |v8|
                                        ; implicit-def: $vgpr17
                                        ; implicit-def: $vgpr18
	s_mov_b32 s5, exec_lo
	s_delay_alu instid0(VALU_DEP_1) | instskip(NEXT) | instid1(VALU_DEP_1)
	v_cndmask_b32_e64 v20, |v8|, |v7|, s4
	v_cmpx_nlt_f32_e32 0x77f684df, v20
	s_xor_b32 s28, exec_lo, s5
	s_cbranch_execz .LBB169_178
; %bb.155:                              ;   in Loop: Header=BB169_145 Depth=1
	v_and_b32_e32 v17, 0x7fffffff, v8
                                        ; implicit-def: $vgpr18
	s_mov_b32 s5, exec_lo
	s_delay_alu instid0(VALU_DEP_1) | instskip(NEXT) | instid1(VALU_DEP_1)
	v_cndmask_b32_e64 v21, |v7|, v17, s4
                                        ; implicit-def: $vgpr17
	v_cmpx_neq_f32_e32 1.0, v21
	s_xor_b32 s29, exec_lo, s5
	s_cbranch_execz .LBB169_171
; %bb.156:                              ;   in Loop: Header=BB169_145 Depth=1
	v_dual_max_f32 v17, v20, v20 :: v_dual_max_f32 v18, v21, v21
	s_delay_alu instid0(VALU_DEP_1) | instskip(SKIP_1) | instid1(VALU_DEP_2)
	v_min_f32_e32 v22, v18, v17
	v_max_f32_e32 v17, v18, v17
                                        ; implicit-def: $vgpr18
	v_cmp_ngt_f32_e32 vcc_lo, 0x358637bd, v22
	s_delay_alu instid0(VALU_DEP_2) | instskip(NEXT) | instid1(VALU_DEP_1)
	v_cmp_nlt_f32_e64 s5, 0x49742400, v17
                                        ; implicit-def: $vgpr17
	s_and_b32 s5, s5, vcc_lo
	s_delay_alu instid0(SALU_CYCLE_1) | instskip(NEXT) | instid1(SALU_CYCLE_1)
	s_and_saveexec_b32 s6, s5
	s_xor_b32 s30, exec_lo, s6
	s_cbranch_execz .LBB169_168
; %bb.157:                              ;   in Loop: Header=BB169_145 Depth=1
                                        ; implicit-def: $vgpr17
                                        ; implicit-def: $vgpr18
	s_mov_b32 s5, exec_lo
	v_cmpx_le_f32_e32 1.0, v21
	s_xor_b32 s6, exec_lo, s5
	s_cbranch_execz .LBB169_159
; %bb.158:                              ;   in Loop: Header=BB169_145 Depth=1
	v_add_f32_e32 v17, -1.0, v21
	v_add_f32_e32 v18, 1.0, v21
	v_cmp_class_f32_e64 s7, v7, 0x204
	s_delay_alu instid0(VALU_DEP_2) | instskip(NEXT) | instid1(VALU_DEP_1)
	v_mul_f32_e32 v21, v17, v18
	v_fmac_f32_e32 v21, v20, v20
	s_delay_alu instid0(VALU_DEP_1) | instskip(SKIP_1) | instid1(VALU_DEP_2)
	v_add_f32_e32 v20, 1.0, v21
	v_cmp_neq_f32_e64 s5, -1.0, v21
	v_cvt_f64_f32_e32 v[17:18], v20
	s_delay_alu instid0(VALU_DEP_1) | instskip(SKIP_1) | instid1(VALU_DEP_1)
	v_frexp_exp_i32_f64_e32 v17, v[17:18]
	v_frexp_mant_f32_e32 v18, v20
	v_cmp_gt_f32_e32 vcc_lo, 0x3f2aaaab, v18
	v_add_f32_e32 v18, -1.0, v20
	s_delay_alu instid0(VALU_DEP_1) | instskip(NEXT) | instid1(VALU_DEP_1)
	v_dual_sub_f32 v23, v18, v20 :: v_dual_sub_f32 v18, v21, v18
	v_add_f32_e32 v23, 1.0, v23
	v_subrev_co_ci_u32_e32 v17, vcc_lo, 0, v17, vcc_lo
	v_cmp_eq_f32_e32 vcc_lo, 0x7f800000, v21
	s_delay_alu instid0(VALU_DEP_2) | instskip(SKIP_1) | instid1(VALU_DEP_2)
	v_sub_nc_u32_e32 v22, 0, v17
	v_cvt_f32_i32_e32 v17, v17
	v_ldexp_f32 v20, v20, v22
	s_delay_alu instid0(VALU_DEP_1) | instskip(NEXT) | instid1(VALU_DEP_1)
	v_add_f32_e32 v24, 1.0, v20
	v_dual_add_f32 v18, v18, v23 :: v_dual_add_f32 v23, -1.0, v24
	s_delay_alu instid0(VALU_DEP_1) | instskip(NEXT) | instid1(VALU_DEP_2)
	v_ldexp_f32 v18, v18, v22
	v_dual_add_f32 v22, -1.0, v20 :: v_dual_sub_f32 v23, v20, v23
	s_delay_alu instid0(VALU_DEP_1) | instskip(NEXT) | instid1(VALU_DEP_1)
	v_add_f32_e32 v25, 1.0, v22
	v_dual_add_f32 v23, v18, v23 :: v_dual_sub_f32 v20, v20, v25
	s_delay_alu instid0(VALU_DEP_1) | instskip(NEXT) | instid1(VALU_DEP_1)
	v_dual_add_f32 v18, v18, v20 :: v_dual_add_f32 v25, v24, v23
	v_add_f32_e32 v26, v22, v18
	s_delay_alu instid0(VALU_DEP_2) | instskip(SKIP_1) | instid1(VALU_DEP_1)
	v_rcp_f32_e32 v20, v25
	v_sub_f32_e32 v24, v25, v24
	v_dual_sub_f32 v22, v26, v22 :: v_dual_sub_f32 v23, v23, v24
	s_delay_alu instid0(VALU_DEP_1) | instskip(SKIP_2) | instid1(VALU_DEP_1)
	v_sub_f32_e32 v18, v18, v22
	s_waitcnt_depctr 0xfff
	v_mul_f32_e32 v27, v26, v20
	v_mul_f32_e32 v28, v25, v27
	s_delay_alu instid0(VALU_DEP_1) | instskip(NEXT) | instid1(VALU_DEP_1)
	v_fma_f32 v24, v27, v25, -v28
	v_fmac_f32_e32 v24, v27, v23
	s_delay_alu instid0(VALU_DEP_1) | instskip(NEXT) | instid1(VALU_DEP_1)
	v_add_f32_e32 v29, v28, v24
	v_sub_f32_e32 v30, v26, v29
	v_sub_f32_e32 v22, v29, v28
	s_delay_alu instid0(VALU_DEP_2) | instskip(NEXT) | instid1(VALU_DEP_2)
	v_sub_f32_e32 v26, v26, v30
	v_sub_f32_e32 v22, v22, v24
	s_delay_alu instid0(VALU_DEP_2) | instskip(NEXT) | instid1(VALU_DEP_1)
	v_sub_f32_e32 v26, v26, v29
	v_add_f32_e32 v18, v18, v26
	s_delay_alu instid0(VALU_DEP_1) | instskip(NEXT) | instid1(VALU_DEP_1)
	v_add_f32_e32 v18, v22, v18
	v_add_f32_e32 v22, v30, v18
	s_delay_alu instid0(VALU_DEP_1) | instskip(NEXT) | instid1(VALU_DEP_1)
	v_mul_f32_e32 v24, v20, v22
	v_mul_f32_e32 v26, v25, v24
	s_delay_alu instid0(VALU_DEP_1) | instskip(NEXT) | instid1(VALU_DEP_1)
	v_fma_f32 v25, v24, v25, -v26
	v_fmac_f32_e32 v25, v24, v23
	v_sub_f32_e32 v29, v30, v22
	s_delay_alu instid0(VALU_DEP_2) | instskip(NEXT) | instid1(VALU_DEP_2)
	v_add_f32_e32 v23, v26, v25
	v_add_f32_e32 v18, v18, v29
	s_delay_alu instid0(VALU_DEP_2) | instskip(SKIP_1) | instid1(VALU_DEP_2)
	v_sub_f32_e32 v28, v22, v23
	v_sub_f32_e32 v26, v23, v26
	v_sub_f32_e32 v22, v22, v28
	s_delay_alu instid0(VALU_DEP_1) | instskip(NEXT) | instid1(VALU_DEP_3)
	v_sub_f32_e32 v22, v22, v23
	v_sub_f32_e32 v23, v26, v25
	v_max_f32_e64 v25, |v8|, |v8|
	s_delay_alu instid0(VALU_DEP_3) | instskip(SKIP_1) | instid1(VALU_DEP_1)
	v_add_f32_e32 v18, v18, v22
	v_add_f32_e32 v22, v27, v24
	v_dual_add_f32 v18, v23, v18 :: v_dual_sub_f32 v23, v22, v27
	s_delay_alu instid0(VALU_DEP_1) | instskip(NEXT) | instid1(VALU_DEP_2)
	v_add_f32_e32 v18, v28, v18
	v_dual_sub_f32 v23, v24, v23 :: v_dual_mul_f32 v28, 0x3f317218, v17
	s_delay_alu instid0(VALU_DEP_2) | instskip(NEXT) | instid1(VALU_DEP_2)
	v_mul_f32_e32 v18, v20, v18
	v_fma_f32 v29, 0x3f317218, v17, -v28
	s_delay_alu instid0(VALU_DEP_1) | instskip(NEXT) | instid1(VALU_DEP_1)
	v_dual_add_f32 v18, v23, v18 :: v_dual_fmac_f32 v29, 0xb102e308, v17
	v_add_f32_e32 v20, v22, v18
	s_delay_alu instid0(VALU_DEP_1) | instskip(SKIP_1) | instid1(VALU_DEP_2)
	v_mul_f32_e32 v23, v20, v20
	v_ldexp_f32 v27, v20, 1
	v_fmaak_f32 v24, s21, v23, 0x3ecc95a3
	s_delay_alu instid0(VALU_DEP_1) | instskip(SKIP_1) | instid1(VALU_DEP_1)
	v_dual_mul_f32 v26, v20, v23 :: v_dual_fmaak_f32 v23, v23, v24, 0x3f2aaada
	v_max_f32_e64 v24, |v7|, |v7|
	v_dual_mul_f32 v23, v26, v23 :: v_dual_max_f32 v26, v24, v25
	v_sub_f32_e32 v20, v20, v22
	v_min_f32_e32 v24, v24, v25
	s_delay_alu instid0(VALU_DEP_3) | instskip(NEXT) | instid1(VALU_DEP_4)
	v_add_f32_e32 v22, v27, v23
	v_frexp_mant_f32_e32 v25, v26
	s_delay_alu instid0(VALU_DEP_4) | instskip(SKIP_1) | instid1(VALU_DEP_4)
	v_sub_f32_e32 v18, v18, v20
	v_frexp_exp_i32_f32_e32 v26, v26
	v_sub_f32_e32 v20, v22, v27
	s_delay_alu instid0(VALU_DEP_4) | instskip(NEXT) | instid1(VALU_DEP_3)
	v_rcp_f32_e32 v25, v25
	v_ldexp_f32 v18, v18, 1
	v_frexp_exp_i32_f32_e32 v27, v24
	s_delay_alu instid0(VALU_DEP_3) | instskip(SKIP_1) | instid1(VALU_DEP_3)
	v_sub_f32_e32 v20, v23, v20
	v_frexp_mant_f32_e32 v23, v24
	v_sub_nc_u32_e32 v24, v27, v26
	s_waitcnt_depctr 0xfff
	v_dual_add_f32 v17, v18, v20 :: v_dual_mul_f32 v18, v23, v25
	v_add_f32_e32 v20, v28, v29
	s_delay_alu instid0(VALU_DEP_2) | instskip(NEXT) | instid1(VALU_DEP_3)
	v_add_f32_e32 v23, v22, v17
	v_ldexp_f32 v18, v18, v24
	s_delay_alu instid0(VALU_DEP_3) | instskip(NEXT) | instid1(VALU_DEP_2)
	v_sub_f32_e32 v28, v20, v28
	v_dual_add_f32 v24, v20, v23 :: v_dual_mul_f32 v25, v18, v18
	v_sub_f32_e32 v22, v23, v22
	s_delay_alu instid0(VALU_DEP_3) | instskip(NEXT) | instid1(VALU_DEP_3)
	v_sub_f32_e32 v28, v29, v28
	v_dual_sub_f32 v26, v24, v20 :: v_dual_fmaak_f32 v27, s26, v25, 0xbc7a590c
	s_delay_alu instid0(VALU_DEP_3) | instskip(NEXT) | instid1(VALU_DEP_2)
	v_sub_f32_e32 v17, v17, v22
	v_dual_sub_f32 v30, v24, v26 :: v_dual_fmaak_f32 v27, v25, v27, 0x3d29fb3f
	v_sub_f32_e32 v22, v23, v26
	s_delay_alu instid0(VALU_DEP_3) | instskip(NEXT) | instid1(VALU_DEP_3)
	v_add_f32_e32 v26, v28, v17
	v_dual_sub_f32 v20, v20, v30 :: v_dual_fmaak_f32 v23, v25, v27, 0xbd97d4d7
	s_delay_alu instid0(VALU_DEP_1) | instskip(NEXT) | instid1(VALU_DEP_2)
	v_add_f32_e32 v20, v22, v20
	v_dual_fmaak_f32 v22, v25, v23, 0x3dd931b2 :: v_dual_sub_f32 v23, v26, v28
	s_delay_alu instid0(VALU_DEP_2) | instskip(NEXT) | instid1(VALU_DEP_2)
	v_add_f32_e32 v20, v26, v20
	v_fmaak_f32 v22, v25, v22, 0xbe1160e6
	s_delay_alu instid0(VALU_DEP_3) | instskip(SKIP_1) | instid1(VALU_DEP_3)
	v_sub_f32_e32 v26, v26, v23
	v_sub_f32_e32 v17, v17, v23
	v_dual_add_f32 v27, v24, v20 :: v_dual_fmaak_f32 v22, v25, v22, 0x3e4cb8bf
	s_delay_alu instid0(VALU_DEP_1) | instskip(NEXT) | instid1(VALU_DEP_2)
	v_dual_sub_f32 v23, v28, v26 :: v_dual_sub_f32 v24, v27, v24
	v_fmaak_f32 v22, v25, v22, 0xbeaaaa62
	s_delay_alu instid0(VALU_DEP_2) | instskip(NEXT) | instid1(VALU_DEP_2)
	v_dual_add_f32 v17, v17, v23 :: v_dual_sub_f32 v20, v20, v24
	v_mul_f32_e32 v22, v25, v22
	s_delay_alu instid0(VALU_DEP_1) | instskip(NEXT) | instid1(VALU_DEP_1)
	v_dual_add_f32 v17, v17, v20 :: v_dual_fmac_f32 v18, v18, v22
	v_dual_add_f32 v17, v27, v17 :: v_dual_sub_f32 v20, 0x3fc90fdb, v18
	s_delay_alu instid0(VALU_DEP_1) | instskip(SKIP_1) | instid1(VALU_DEP_3)
	v_cndmask_b32_e32 v17, v17, v21, vcc_lo
	v_cmp_gt_i32_e32 vcc_lo, 0, v7
	v_cndmask_b32_e64 v18, v18, v20, s4
	v_cndmask_b32_e64 v20, 0, 0x40490fdb, vcc_lo
	v_cmp_ngt_f32_e32 vcc_lo, -1.0, v21
	s_delay_alu instid0(VALU_DEP_3) | instskip(SKIP_2) | instid1(VALU_DEP_2)
	v_sub_f32_e32 v22, 0x40490fdb, v18
	v_cndmask_b32_e32 v17, 0x7fc00000, v17, vcc_lo
	v_cmp_gt_f32_e32 vcc_lo, 0, v7
	v_cndmask_b32_e64 v7, 0xff800000, v17, s5
	s_delay_alu instid0(VALU_DEP_4)
	v_cndmask_b32_e32 v17, v18, v22, vcc_lo
	v_cndmask_b32_e32 v18, 0x3f490fdb, v19, vcc_lo
	v_cmp_gt_f32_e64 vcc_lo, 0x33800000, |v21|
	v_cmp_class_f32_e64 s5, v8, 0x204
	v_cndmask_b32_e32 v7, v7, v21, vcc_lo
	v_cmp_eq_f32_e32 vcc_lo, 0, v8
                                        ; implicit-def: $vgpr21
	s_delay_alu instid0(VALU_DEP_2) | instskip(NEXT) | instid1(VALU_DEP_4)
	v_dual_cndmask_b32 v20, v17, v20 :: v_dual_mul_f32 v17, 0.5, v7
	s_and_b32 vcc_lo, s5, s7
	s_delay_alu instid0(VALU_DEP_1)
	v_cndmask_b32_e32 v18, v20, v18, vcc_lo
                                        ; implicit-def: $vgpr20
.LBB169_159:                            ;   in Loop: Header=BB169_145 Depth=1
	s_and_not1_saveexec_b32 s31, s6
	s_cbranch_execz .LBB169_167
; %bb.160:                              ;   in Loop: Header=BB169_145 Depth=1
	v_mul_f32_e32 v22, v20, v20
                                        ; implicit-def: $vgpr17
                                        ; implicit-def: $vgpr18
	s_mov_b32 s5, exec_lo
	s_delay_alu instid0(VALU_DEP_1) | instskip(NEXT) | instid1(VALU_DEP_1)
	v_fmac_f32_e32 v22, v21, v21
	v_cmpx_ge_f32_e32 0x3f333333, v22
	s_xor_b32 s6, exec_lo, s5
	s_cbranch_execz .LBB169_162
; %bb.161:                              ;   in Loop: Header=BB169_145 Depth=1
	v_max_f32_e64 v17, |v8|, |v8|
	v_max_f32_e64 v18, |v7|, |v7|
	v_cmp_gt_f32_e32 vcc_lo, 0x800000, v22
	v_cmp_gt_i32_e64 s5, 0, v7
	v_cmp_class_f32_e64 s7, v7, 0x204
	v_cmp_class_f32_e64 s8, v8, 0x204
	v_max_f32_e32 v20, v18, v17
	v_min_f32_e32 v17, v18, v17
	v_cndmask_b32_e64 v23, 0, 0x41b17218, vcc_lo
	s_delay_alu instid0(VALU_DEP_3) | instskip(NEXT) | instid1(VALU_DEP_1)
	v_frexp_mant_f32_e32 v21, v20
	v_rcp_f32_e32 v18, v21
	s_delay_alu instid0(VALU_DEP_3) | instskip(SKIP_4) | instid1(VALU_DEP_1)
	v_frexp_exp_i32_f32_e32 v21, v17
	v_frexp_mant_f32_e32 v17, v17
	s_waitcnt_depctr 0xfff
	v_mul_f32_e32 v17, v17, v18
	v_frexp_exp_i32_f32_e32 v20, v20
	v_sub_nc_u32_e32 v20, v21, v20
	v_cndmask_b32_e64 v21, 1.0, 0x4f800000, vcc_lo
	s_delay_alu instid0(VALU_DEP_2) | instskip(NEXT) | instid1(VALU_DEP_2)
	v_ldexp_f32 v17, v17, v20
	v_mul_f32_e32 v21, v22, v21
	s_delay_alu instid0(VALU_DEP_2) | instskip(NEXT) | instid1(VALU_DEP_2)
	v_mul_f32_e32 v18, v17, v17
	v_log_f32_e32 v21, v21
	s_delay_alu instid0(VALU_DEP_1) | instskip(NEXT) | instid1(VALU_DEP_1)
	v_fmaak_f32 v20, s26, v18, 0xbc7a590c
	v_fmaak_f32 v20, v18, v20, 0x3d29fb3f
	s_waitcnt_depctr 0xfff
	v_cmp_gt_f32_e64 vcc_lo, 0x7f800000, |v21|
	v_fmaak_f32 v20, v18, v20, 0xbd97d4d7
	s_delay_alu instid0(VALU_DEP_1) | instskip(NEXT) | instid1(VALU_DEP_1)
	v_fmaak_f32 v20, v18, v20, 0x3dd931b2
	v_fmaak_f32 v20, v18, v20, 0xbe1160e6
	s_delay_alu instid0(VALU_DEP_1) | instskip(NEXT) | instid1(VALU_DEP_1)
	v_fmaak_f32 v20, v18, v20, 0x3e4cb8bf
	v_fmaak_f32 v20, v18, v20, 0xbeaaaa62
	s_delay_alu instid0(VALU_DEP_1) | instskip(NEXT) | instid1(VALU_DEP_1)
	v_mul_f32_e32 v18, v18, v20
	v_dual_mul_f32 v20, 0x3f317217, v21 :: v_dual_fmac_f32 v17, v17, v18
	s_delay_alu instid0(VALU_DEP_1) | instskip(NEXT) | instid1(VALU_DEP_2)
	v_fma_f32 v18, 0x3f317217, v21, -v20
	v_sub_f32_e32 v22, 0x3fc90fdb, v17
	s_delay_alu instid0(VALU_DEP_2) | instskip(NEXT) | instid1(VALU_DEP_2)
	v_fmac_f32_e32 v18, 0x3377d1cf, v21
	v_cndmask_b32_e64 v17, v17, v22, s4
	s_delay_alu instid0(VALU_DEP_2) | instskip(SKIP_2) | instid1(VALU_DEP_4)
	v_add_f32_e32 v18, v20, v18
	v_cndmask_b32_e64 v20, 0, 0x40490fdb, s5
	v_cmp_eq_f32_e64 s5, 0, v8
	v_sub_f32_e32 v22, 0x40490fdb, v17
	s_delay_alu instid0(VALU_DEP_4) | instskip(SKIP_1) | instid1(VALU_DEP_2)
	v_cndmask_b32_e32 v18, v21, v18, vcc_lo
	v_cmp_gt_f32_e32 vcc_lo, 0, v7
                                        ; implicit-def: $vgpr21
	v_sub_f32_e32 v7, v18, v23
	s_delay_alu instid0(VALU_DEP_4) | instskip(NEXT) | instid1(VALU_DEP_1)
	v_cndmask_b32_e32 v17, v17, v22, vcc_lo
	v_cndmask_b32_e64 v18, v17, v20, s5
	v_cndmask_b32_e32 v20, 0x3f490fdb, v19, vcc_lo
	s_and_b32 vcc_lo, s8, s7
	s_delay_alu instid0(VALU_DEP_1)
	v_dual_mul_f32 v17, 0.5, v7 :: v_dual_cndmask_b32 v18, v18, v20
                                        ; implicit-def: $vgpr20
.LBB169_162:                            ;   in Loop: Header=BB169_145 Depth=1
	s_and_not1_saveexec_b32 s33, s6
	s_cbranch_execz .LBB169_166
; %bb.163:                              ;   in Loop: Header=BB169_145 Depth=1
	v_and_b32_e32 v22, 0x7fff0000, v20
	v_and_b32_e32 v18, 0x7fff0000, v21
	s_mov_b32 s34, 0
	s_delay_alu instid0(VALU_DEP_2) | instskip(NEXT) | instid1(VALU_DEP_2)
	v_sub_f32_e32 v23, v20, v22
	v_sub_f32_e32 v21, v21, v18
	v_mul_f32_e32 v17, v18, v18
	s_delay_alu instid0(VALU_DEP_3) | instskip(NEXT) | instid1(VALU_DEP_3)
	v_dual_add_f32 v26, v18, v18 :: v_dual_and_b32 v25, 0xffff0000, v23
	v_dual_add_f32 v29, v22, v22 :: v_dual_and_b32 v24, 0xffff0000, v21
	v_mul_f32_e32 v20, v22, v22
	s_delay_alu instid0(VALU_DEP_2) | instskip(SKIP_3) | instid1(VALU_DEP_3)
	v_dual_sub_f32 v30, v23, v25 :: v_dual_add_f32 v23, v24, v24
	v_sub_f32_e32 v22, v21, v24
	v_dual_mul_f32 v28, v26, v24 :: v_dual_add_f32 v31, v25, v25
	v_dual_mul_f32 v18, v29, v25 :: v_dual_mul_f32 v21, v24, v24
	v_dual_mul_f32 v27, v25, v25 :: v_dual_mul_f32 v24, v26, v22
	v_mul_f32_e32 v26, v29, v30
	v_mul_f32_e32 v25, v23, v22
	;; [unrolled: 1-line block ×5, first 2 shown]
.LBB169_164:                            ;   Parent Loop BB169_145 Depth=1
                                        ; =>  This Inner Loop Header: Depth=2
	v_cmp_nlt_f32_e32 vcc_lo, v17, v20
	s_delay_alu instid0(VALU_DEP_2) | instskip(SKIP_1) | instid1(VALU_DEP_1)
	v_mov_b32_e32 v31, v29
	v_dual_cndmask_b32 v30, v17, v20 :: v_dual_cndmask_b32 v17, v20, v17
	v_cmp_nlt_f32_e64 s5, v30, v28
	s_delay_alu instid0(VALU_DEP_1) | instskip(SKIP_2) | instid1(VALU_DEP_2)
	v_cndmask_b32_e64 v29, v30, v28, s5
	v_cndmask_b32_e64 v20, v28, v30, s5
	s_and_b32 s35, vcc_lo, s5
	v_cmp_nlt_f32_e64 s6, v29, v18
	s_delay_alu instid0(VALU_DEP_1) | instskip(SKIP_1) | instid1(VALU_DEP_2)
	v_cndmask_b32_e64 v32, v29, v18, s6
	v_cndmask_b32_e64 v28, v18, v29, s6
	v_cmp_nlt_f32_e64 s7, v32, v21
	s_delay_alu instid0(VALU_DEP_1) | instskip(SKIP_2) | instid1(VALU_DEP_2)
	v_cndmask_b32_e64 v30, v32, v21, s7
	v_cndmask_b32_e64 v18, v21, v32, s7
	s_and_b32 s36, s6, s7
	v_cmp_nlt_f32_e64 s8, v30, v27
	s_delay_alu instid0(VALU_DEP_1) | instskip(SKIP_1) | instid1(VALU_DEP_2)
	v_cndmask_b32_e64 v33, v30, v27, s8
	v_cndmask_b32_e64 v21, v27, v30, s8
	v_cmp_nlt_f32_e64 s9, v33, v24
	s_delay_alu instid0(VALU_DEP_1) | instskip(SKIP_2) | instid1(VALU_DEP_2)
	v_cndmask_b32_e64 v34, v33, v24, s9
	s_and_b32 s7, s8, s9
	v_cndmask_b32_e64 v27, v24, v33, s9
	v_cmp_nlt_f32_e64 s10, v34, v26
	s_delay_alu instid0(VALU_DEP_1) | instskip(SKIP_2) | instid1(VALU_DEP_2)
	v_cndmask_b32_e64 v35, v34, v26, s10
	s_and_b32 s7, s7, s10
	v_cndmask_b32_e64 v24, v26, v34, s10
	v_cmp_nlt_f32_e32 vcc_lo, v35, v25
	v_cndmask_b32_e32 v36, v35, v25, vcc_lo
	s_and_b32 s8, s7, vcc_lo
	v_cndmask_b32_e32 v26, v25, v35, vcc_lo
	s_delay_alu instid0(VALU_DEP_2) | instskip(NEXT) | instid1(VALU_DEP_1)
	v_cmp_nlt_f32_e64 s5, v36, v23
	v_cndmask_b32_e64 v32, v36, v23, s5
	s_and_b32 s8, s8, s5
	v_cndmask_b32_e64 v25, v23, v36, s5
	s_delay_alu instid0(VALU_DEP_2) | instskip(NEXT) | instid1(VALU_DEP_1)
	v_cmp_nlt_f32_e64 s6, v32, v22
	v_cndmask_b32_e64 v30, v32, v22, s6
	s_and_b32 s8, s8, s6
	v_cndmask_b32_e64 v23, v22, v32, s6
	s_delay_alu instid0(VALU_DEP_2) | instskip(NEXT) | instid1(VALU_DEP_1)
	v_cmp_nlt_f32_e64 s7, v30, v31
	s_and_b32 s8, s8, s7
	v_cndmask_b32_e64 v29, v30, v31, s7
	s_and_b32 s5, s8, s36
	v_cndmask_b32_e64 v22, v31, v30, s7
	s_and_b32 s5, s5, s35
	s_delay_alu instid0(SALU_CYCLE_1) | instskip(NEXT) | instid1(SALU_CYCLE_1)
	s_and_b32 s5, exec_lo, s5
	s_or_b32 s34, s5, s34
	s_delay_alu instid0(SALU_CYCLE_1)
	s_and_not1_b32 exec_lo, exec_lo, s34
	s_cbranch_execnz .LBB169_164
; %bb.165:                              ;   in Loop: Header=BB169_145 Depth=1
	s_or_b32 exec_lo, exec_lo, s34
	v_add_f32_e32 v17, -1.0, v17
	v_cmp_class_f32_e64 s6, v7, 0x204
	s_delay_alu instid0(VALU_DEP_2) | instskip(NEXT) | instid1(VALU_DEP_1)
	v_add_f32_e32 v17, v17, v20
	v_add_f32_e32 v17, v17, v28
	s_delay_alu instid0(VALU_DEP_1) | instskip(NEXT) | instid1(VALU_DEP_1)
	v_add_f32_e32 v17, v17, v18
	v_add_f32_e32 v17, v17, v21
	s_delay_alu instid0(VALU_DEP_1) | instskip(NEXT) | instid1(VALU_DEP_1)
	;; [unrolled: 3-line block ×5, first 2 shown]
	v_add_f32_e32 v20, v29, v17
	v_add_f32_e32 v21, 1.0, v20
	s_delay_alu instid0(VALU_DEP_1) | instskip(NEXT) | instid1(VALU_DEP_1)
	v_cvt_f64_f32_e32 v[17:18], v21
	v_frexp_exp_i32_f64_e32 v17, v[17:18]
	v_frexp_mant_f32_e32 v18, v21
	s_delay_alu instid0(VALU_DEP_1) | instskip(SKIP_1) | instid1(VALU_DEP_1)
	v_cmp_gt_f32_e32 vcc_lo, 0x3f2aaaab, v18
	v_add_f32_e32 v18, -1.0, v21
	v_sub_f32_e32 v23, v18, v21
	s_delay_alu instid0(VALU_DEP_1) | instskip(SKIP_1) | instid1(VALU_DEP_2)
	v_dual_add_f32 v23, 1.0, v23 :: v_dual_sub_f32 v18, v20, v18
	v_cmp_neq_f32_e64 s5, -1.0, v20
	v_add_f32_e32 v18, v18, v23
	v_subrev_co_ci_u32_e32 v17, vcc_lo, 0, v17, vcc_lo
	v_cmp_eq_f32_e32 vcc_lo, 0x7f800000, v20
	s_delay_alu instid0(VALU_DEP_2) | instskip(SKIP_1) | instid1(VALU_DEP_2)
	v_sub_nc_u32_e32 v22, 0, v17
	v_cvt_f32_i32_e32 v17, v17
	v_ldexp_f32 v21, v21, v22
	v_ldexp_f32 v18, v18, v22
	s_delay_alu instid0(VALU_DEP_2) | instskip(NEXT) | instid1(VALU_DEP_1)
	v_add_f32_e32 v24, 1.0, v21
	v_dual_add_f32 v22, -1.0, v21 :: v_dual_add_f32 v23, -1.0, v24
	s_delay_alu instid0(VALU_DEP_1) | instskip(NEXT) | instid1(VALU_DEP_2)
	v_add_f32_e32 v25, 1.0, v22
	v_sub_f32_e32 v23, v21, v23
	s_delay_alu instid0(VALU_DEP_2) | instskip(NEXT) | instid1(VALU_DEP_2)
	v_sub_f32_e32 v21, v21, v25
	v_add_f32_e32 v23, v18, v23
	s_delay_alu instid0(VALU_DEP_2) | instskip(NEXT) | instid1(VALU_DEP_1)
	v_add_f32_e32 v18, v18, v21
	v_add_f32_e32 v26, v22, v18
	s_delay_alu instid0(VALU_DEP_1) | instskip(NEXT) | instid1(VALU_DEP_1)
	v_sub_f32_e32 v22, v26, v22
	v_dual_sub_f32 v18, v18, v22 :: v_dual_add_f32 v25, v24, v23
	s_delay_alu instid0(VALU_DEP_1) | instskip(SKIP_1) | instid1(VALU_DEP_1)
	v_rcp_f32_e32 v21, v25
	v_sub_f32_e32 v24, v25, v24
	v_sub_f32_e32 v23, v23, v24
	s_waitcnt_depctr 0xfff
	v_mul_f32_e32 v27, v26, v21
	s_delay_alu instid0(VALU_DEP_1) | instskip(NEXT) | instid1(VALU_DEP_1)
	v_mul_f32_e32 v28, v25, v27
	v_fma_f32 v24, v27, v25, -v28
	s_delay_alu instid0(VALU_DEP_1) | instskip(NEXT) | instid1(VALU_DEP_1)
	v_fmac_f32_e32 v24, v27, v23
	v_add_f32_e32 v29, v28, v24
	s_delay_alu instid0(VALU_DEP_1) | instskip(SKIP_1) | instid1(VALU_DEP_2)
	v_sub_f32_e32 v30, v26, v29
	v_sub_f32_e32 v22, v29, v28
	;; [unrolled: 1-line block ×3, first 2 shown]
	s_delay_alu instid0(VALU_DEP_2) | instskip(NEXT) | instid1(VALU_DEP_2)
	v_sub_f32_e32 v22, v22, v24
	v_sub_f32_e32 v26, v26, v29
	s_delay_alu instid0(VALU_DEP_1) | instskip(NEXT) | instid1(VALU_DEP_1)
	v_add_f32_e32 v18, v18, v26
	v_add_f32_e32 v18, v22, v18
	s_delay_alu instid0(VALU_DEP_1) | instskip(NEXT) | instid1(VALU_DEP_1)
	v_add_f32_e32 v22, v30, v18
	v_mul_f32_e32 v24, v21, v22
	s_delay_alu instid0(VALU_DEP_1) | instskip(NEXT) | instid1(VALU_DEP_1)
	v_dual_sub_f32 v29, v30, v22 :: v_dual_mul_f32 v26, v25, v24
	v_add_f32_e32 v18, v18, v29
	s_delay_alu instid0(VALU_DEP_2) | instskip(NEXT) | instid1(VALU_DEP_1)
	v_fma_f32 v25, v24, v25, -v26
	v_fmac_f32_e32 v25, v24, v23
	s_delay_alu instid0(VALU_DEP_1) | instskip(NEXT) | instid1(VALU_DEP_1)
	v_add_f32_e32 v23, v26, v25
	v_sub_f32_e32 v28, v22, v23
	s_delay_alu instid0(VALU_DEP_1) | instskip(NEXT) | instid1(VALU_DEP_1)
	v_sub_f32_e32 v22, v22, v28
	v_sub_f32_e32 v22, v22, v23
	s_delay_alu instid0(VALU_DEP_1) | instskip(SKIP_2) | instid1(VALU_DEP_1)
	v_add_f32_e32 v18, v18, v22
	v_add_f32_e32 v22, v27, v24
	v_sub_f32_e32 v26, v23, v26
	v_sub_f32_e32 v23, v26, v25
	v_max_f32_e64 v25, |v8|, |v8|
	s_delay_alu instid0(VALU_DEP_2) | instskip(NEXT) | instid1(VALU_DEP_1)
	v_dual_add_f32 v18, v23, v18 :: v_dual_sub_f32 v23, v22, v27
	v_add_f32_e32 v18, v28, v18
	s_delay_alu instid0(VALU_DEP_2) | instskip(NEXT) | instid1(VALU_DEP_2)
	v_dual_sub_f32 v23, v24, v23 :: v_dual_mul_f32 v28, 0x3f317218, v17
	v_mul_f32_e32 v18, v21, v18
	s_delay_alu instid0(VALU_DEP_2) | instskip(NEXT) | instid1(VALU_DEP_1)
	v_fma_f32 v29, 0x3f317218, v17, -v28
	v_dual_add_f32 v18, v23, v18 :: v_dual_fmac_f32 v29, 0xb102e308, v17
	s_delay_alu instid0(VALU_DEP_1) | instskip(NEXT) | instid1(VALU_DEP_1)
	v_add_f32_e32 v21, v22, v18
	v_mul_f32_e32 v23, v21, v21
	s_delay_alu instid0(VALU_DEP_1) | instskip(NEXT) | instid1(VALU_DEP_1)
	v_fmaak_f32 v24, s21, v23, 0x3ecc95a3
	v_dual_mul_f32 v26, v21, v23 :: v_dual_fmaak_f32 v23, v23, v24, 0x3f2aaada
	v_max_f32_e64 v24, |v7|, |v7|
	s_delay_alu instid0(VALU_DEP_1) | instskip(SKIP_2) | instid1(VALU_DEP_3)
	v_dual_mul_f32 v23, v26, v23 :: v_dual_max_f32 v26, v24, v25
	v_ldexp_f32 v27, v21, 1
	v_dual_min_f32 v24, v24, v25 :: v_dual_sub_f32 v21, v21, v22
	v_frexp_mant_f32_e32 v25, v26
	s_delay_alu instid0(VALU_DEP_3) | instskip(SKIP_1) | instid1(VALU_DEP_4)
	v_add_f32_e32 v22, v27, v23
	v_frexp_exp_i32_f32_e32 v26, v26
	v_sub_f32_e32 v18, v18, v21
	s_delay_alu instid0(VALU_DEP_4) | instskip(NEXT) | instid1(VALU_DEP_3)
	v_rcp_f32_e32 v25, v25
	v_sub_f32_e32 v21, v22, v27
	v_frexp_exp_i32_f32_e32 v27, v24
	s_delay_alu instid0(VALU_DEP_3) | instskip(NEXT) | instid1(VALU_DEP_3)
	v_ldexp_f32 v18, v18, 1
	v_sub_f32_e32 v21, v23, v21
	v_frexp_mant_f32_e32 v23, v24
	s_delay_alu instid0(VALU_DEP_4) | instskip(NEXT) | instid1(VALU_DEP_3)
	v_sub_nc_u32_e32 v24, v27, v26
	v_add_f32_e32 v17, v18, v21
	s_delay_alu instid0(TRANS32_DEP_1) | instid1(VALU_DEP_3)
	v_mul_f32_e32 v18, v23, v25
	s_delay_alu instid0(VALU_DEP_1) | instskip(NEXT) | instid1(VALU_DEP_1)
	v_ldexp_f32 v18, v18, v24
	v_mul_f32_e32 v25, v18, v18
	v_add_f32_e32 v21, v28, v29
	v_add_f32_e32 v23, v22, v17
	s_delay_alu instid0(VALU_DEP_2) | instskip(NEXT) | instid1(VALU_DEP_2)
	v_dual_fmaak_f32 v27, s26, v25, 0xbc7a590c :: v_dual_sub_f32 v28, v21, v28
	v_add_f32_e32 v24, v21, v23
	s_delay_alu instid0(VALU_DEP_2) | instskip(NEXT) | instid1(VALU_DEP_1)
	v_dual_fmaak_f32 v27, v25, v27, 0x3d29fb3f :: v_dual_sub_f32 v22, v23, v22
	v_dual_sub_f32 v26, v24, v21 :: v_dual_sub_f32 v17, v17, v22
	s_delay_alu instid0(VALU_DEP_1) | instskip(NEXT) | instid1(VALU_DEP_1)
	v_sub_f32_e32 v30, v24, v26
	v_sub_f32_e32 v21, v21, v30
	s_delay_alu instid0(VALU_DEP_4) | instskip(NEXT) | instid1(VALU_DEP_1)
	v_dual_sub_f32 v22, v23, v26 :: v_dual_fmaak_f32 v23, v25, v27, 0xbd97d4d7
	v_dual_add_f32 v21, v22, v21 :: v_dual_sub_f32 v28, v29, v28
	s_delay_alu instid0(VALU_DEP_1) | instskip(NEXT) | instid1(VALU_DEP_1)
	v_add_f32_e32 v26, v28, v17
	v_dual_add_f32 v21, v26, v21 :: v_dual_fmaak_f32 v22, v25, v23, 0x3dd931b2
	v_sub_f32_e32 v23, v26, v28
	s_delay_alu instid0(VALU_DEP_2) | instskip(NEXT) | instid1(VALU_DEP_1)
	v_add_f32_e32 v27, v24, v21
	v_dual_sub_f32 v17, v17, v23 :: v_dual_sub_f32 v24, v27, v24
	s_delay_alu instid0(VALU_DEP_1) | instskip(NEXT) | instid1(VALU_DEP_1)
	v_dual_sub_f32 v26, v26, v23 :: v_dual_sub_f32 v21, v21, v24
	v_sub_f32_e32 v23, v28, v26
	s_delay_alu instid0(VALU_DEP_1) | instskip(NEXT) | instid1(VALU_DEP_1)
	v_add_f32_e32 v17, v17, v23
	v_add_f32_e32 v17, v17, v21
	s_delay_alu instid0(VALU_DEP_1) | instskip(NEXT) | instid1(VALU_DEP_1)
	v_dual_fmaak_f32 v22, v25, v22, 0xbe1160e6 :: v_dual_add_f32 v17, v27, v17
	v_fmaak_f32 v22, v25, v22, 0x3e4cb8bf
	s_delay_alu instid0(VALU_DEP_2) | instskip(NEXT) | instid1(VALU_DEP_2)
	v_cndmask_b32_e32 v17, v17, v20, vcc_lo
	v_fmaak_f32 v22, v25, v22, 0xbeaaaa62
	v_cmp_gt_i32_e32 vcc_lo, 0, v7
	s_delay_alu instid0(VALU_DEP_2) | instskip(NEXT) | instid1(VALU_DEP_1)
	v_mul_f32_e32 v22, v25, v22
	v_fmac_f32_e32 v18, v18, v22
	s_delay_alu instid0(VALU_DEP_1) | instskip(NEXT) | instid1(VALU_DEP_1)
	v_sub_f32_e32 v21, 0x3fc90fdb, v18
	v_cndmask_b32_e64 v18, v18, v21, s4
	v_cndmask_b32_e64 v21, 0, 0x40490fdb, vcc_lo
	v_cmp_ngt_f32_e32 vcc_lo, -1.0, v20
	s_delay_alu instid0(VALU_DEP_3) | instskip(SKIP_2) | instid1(VALU_DEP_2)
	v_sub_f32_e32 v22, 0x40490fdb, v18
	v_cndmask_b32_e32 v17, 0x7fc00000, v17, vcc_lo
	v_cmp_gt_f32_e32 vcc_lo, 0, v7
	v_cndmask_b32_e64 v7, 0xff800000, v17, s5
	s_delay_alu instid0(VALU_DEP_4)
	v_cndmask_b32_e32 v17, v18, v22, vcc_lo
	v_cndmask_b32_e32 v18, 0x3f490fdb, v19, vcc_lo
	v_cmp_gt_f32_e64 vcc_lo, 0x33800000, |v20|
	v_cmp_class_f32_e64 s5, v8, 0x204
	v_cndmask_b32_e32 v7, v7, v20, vcc_lo
	v_cmp_eq_f32_e32 vcc_lo, 0, v8
	v_cndmask_b32_e32 v20, v17, v21, vcc_lo
	s_delay_alu instid0(VALU_DEP_4) | instskip(NEXT) | instid1(VALU_DEP_1)
	s_and_b32 vcc_lo, s5, s6
	v_dual_mul_f32 v17, 0.5, v7 :: v_dual_cndmask_b32 v18, v20, v18
.LBB169_166:                            ;   in Loop: Header=BB169_145 Depth=1
	s_or_b32 exec_lo, exec_lo, s33
.LBB169_167:                            ;   in Loop: Header=BB169_145 Depth=1
	s_delay_alu instid0(SALU_CYCLE_1)
	s_or_b32 exec_lo, exec_lo, s31
.LBB169_168:                            ;   in Loop: Header=BB169_145 Depth=1
	s_and_not1_saveexec_b32 s6, s30
	s_cbranch_execz .LBB169_170
; %bb.169:                              ;   in Loop: Header=BB169_145 Depth=1
	v_max_f32_e64 v20, |v8|, |v8|
	v_max_f32_e64 v21, |v7|, |v7|
	v_cmp_gt_i32_e64 s5, 0, v7
	v_cmp_class_f32_e64 s7, v7, 0x204
	v_cmp_class_f32_e64 s8, v8, 0x204
	s_delay_alu instid0(VALU_DEP_4) | instskip(SKIP_1) | instid1(VALU_DEP_2)
	v_max_f32_e32 v22, v21, v20
	v_min_f32_e32 v20, v21, v20
	v_cvt_f64_f32_e32 v[17:18], v22
	v_frexp_exp_i32_f32_e32 v21, v22
	s_delay_alu instid0(VALU_DEP_3) | instskip(SKIP_1) | instid1(VALU_DEP_2)
	v_frexp_exp_i32_f32_e32 v23, v20
	v_frexp_mant_f32_e32 v20, v20
	v_sub_nc_u32_e32 v21, v23, v21
	v_frexp_exp_i32_f64_e32 v17, v[17:18]
	v_frexp_mant_f32_e32 v18, v22
	s_delay_alu instid0(VALU_DEP_1) | instskip(SKIP_2) | instid1(VALU_DEP_1)
	v_rcp_f32_e32 v18, v18
	s_waitcnt_depctr 0xfff
	v_mul_f32_e32 v18, v20, v18
	v_ldexp_f32 v18, v18, v21
	s_delay_alu instid0(VALU_DEP_1) | instskip(SKIP_2) | instid1(VALU_DEP_1)
	v_mul_f32_e32 v23, v18, v18
	v_cmp_neq_f32_e32 vcc_lo, 0x7f800000, v22
	v_sub_nc_u32_e32 v24, 0, v17
	v_ldexp_f32 v20, |v8|, v24
	v_ldexp_f32 v21, |v7|, v24
	s_delay_alu instid0(VALU_DEP_2) | instskip(NEXT) | instid1(VALU_DEP_1)
	v_mul_f32_e32 v20, v20, v20
	v_dual_fmac_f32 v20, v21, v21 :: v_dual_fmaak_f32 v21, s26, v23, 0xbc7a590c
	s_delay_alu instid0(VALU_DEP_1) | instskip(NEXT) | instid1(VALU_DEP_1)
	v_sqrt_f32_e32 v20, v20
	v_fmaak_f32 v21, v23, v21, 0x3d29fb3f
	s_delay_alu instid0(VALU_DEP_1) | instskip(SKIP_3) | instid1(VALU_DEP_1)
	v_fmaak_f32 v21, v23, v21, 0xbd97d4d7
	s_waitcnt_depctr 0xfff
	v_ldexp_f32 v17, v20, v17
	v_fmaak_f32 v20, v23, v21, 0x3dd931b2
	v_fmaak_f32 v20, v23, v20, 0xbe1160e6
	s_delay_alu instid0(VALU_DEP_1) | instskip(NEXT) | instid1(VALU_DEP_1)
	v_fmaak_f32 v20, v23, v20, 0x3e4cb8bf
	v_fmaak_f32 v20, v23, v20, 0xbeaaaa62
	s_delay_alu instid0(VALU_DEP_1) | instskip(NEXT) | instid1(VALU_DEP_1)
	v_dual_cndmask_b32 v17, 0x7f800000, v17 :: v_dual_mul_f32 v20, v23, v20
	v_cmp_gt_f32_e32 vcc_lo, 0x800000, v17
	s_delay_alu instid0(VALU_DEP_2) | instskip(SKIP_1) | instid1(VALU_DEP_1)
	v_fmac_f32_e32 v18, v18, v20
	v_cndmask_b32_e64 v21, 1.0, 0x4f800000, vcc_lo
	v_mul_f32_e32 v17, v17, v21
	s_delay_alu instid0(VALU_DEP_3) | instskip(NEXT) | instid1(VALU_DEP_2)
	v_sub_f32_e32 v21, 0x3fc90fdb, v18
	v_log_f32_e32 v17, v17
	s_delay_alu instid0(VALU_DEP_1) | instskip(SKIP_4) | instid1(VALU_DEP_1)
	v_cndmask_b32_e64 v18, v18, v21, s4
	v_cndmask_b32_e64 v21, 0, 0x40490fdb, s5
	v_cmp_gt_f32_e64 s5, 0, v7
	s_waitcnt_depctr 0xfff
	v_mul_f32_e32 v20, 0x3f317217, v17
	v_fma_f32 v22, 0x3f317217, v17, -v20
	s_delay_alu instid0(VALU_DEP_1) | instskip(NEXT) | instid1(VALU_DEP_1)
	v_fmac_f32_e32 v22, 0x3377d1cf, v17
	v_add_f32_e32 v7, v20, v22
	v_cndmask_b32_e64 v22, 0, 0x41b17218, vcc_lo
	v_cmp_gt_f32_e64 vcc_lo, 0x7f800000, |v17|
	v_cndmask_b32_e64 v20, 0x3f490fdb, v19, s5
	s_delay_alu instid0(VALU_DEP_4) | instskip(SKIP_2) | instid1(VALU_DEP_3)
	v_cndmask_b32_e32 v7, v17, v7, vcc_lo
	v_cmp_eq_f32_e32 vcc_lo, 0, v8
	v_sub_f32_e32 v23, 0x40490fdb, v18
	v_sub_f32_e32 v17, v7, v22
	s_delay_alu instid0(VALU_DEP_2) | instskip(NEXT) | instid1(VALU_DEP_1)
	v_cndmask_b32_e64 v18, v18, v23, s5
	v_cndmask_b32_e32 v18, v18, v21, vcc_lo
	s_and_b32 vcc_lo, s8, s7
	s_delay_alu instid0(VALU_DEP_1)
	v_cndmask_b32_e32 v18, v18, v20, vcc_lo
.LBB169_170:                            ;   in Loop: Header=BB169_145 Depth=1
	s_or_b32 exec_lo, exec_lo, s6
                                        ; implicit-def: $vgpr20
.LBB169_171:                            ;   in Loop: Header=BB169_145 Depth=1
	s_and_not1_saveexec_b32 s6, s29
	s_cbranch_execz .LBB169_177
; %bb.172:                              ;   in Loop: Header=BB169_145 Depth=1
                                        ; implicit-def: $vgpr17
                                        ; implicit-def: $vgpr18
	s_mov_b32 s5, exec_lo
	v_cmpx_ngt_f32_e32 0x1fec1e4a, v20
	s_xor_b32 s7, exec_lo, s5
	s_cbranch_execz .LBB169_174
; %bb.173:                              ;   in Loop: Header=BB169_145 Depth=1
	v_mul_f32_e32 v20, v20, v20
	v_cmp_class_f32_e64 s8, v7, 0x204
	v_cmp_gt_f32_e64 s5, 0, v7
	v_cmp_class_f32_e64 s10, v8, 0x204
	s_delay_alu instid0(VALU_DEP_4) | instskip(NEXT) | instid1(VALU_DEP_1)
	v_add_f32_e32 v21, 1.0, v20
	v_cvt_f64_f32_e32 v[17:18], v21
	s_delay_alu instid0(VALU_DEP_1) | instskip(SKIP_1) | instid1(VALU_DEP_1)
	v_frexp_exp_i32_f64_e32 v17, v[17:18]
	v_frexp_mant_f32_e32 v18, v21
	v_cmp_gt_f32_e32 vcc_lo, 0x3f2aaaab, v18
	v_add_f32_e32 v18, -1.0, v21
	s_delay_alu instid0(VALU_DEP_1) | instskip(SKIP_1) | instid1(VALU_DEP_2)
	v_sub_f32_e32 v23, v18, v21
	v_cmp_gt_f32_e64 s9, 0x33800000, |v20|
	v_dual_add_f32 v23, 1.0, v23 :: v_dual_sub_f32 v18, v20, v18
	v_subrev_co_ci_u32_e32 v17, vcc_lo, 0, v17, vcc_lo
	v_cmp_gt_i32_e32 vcc_lo, 0, v7
	s_delay_alu instid0(VALU_DEP_2) | instskip(SKIP_1) | instid1(VALU_DEP_2)
	v_sub_nc_u32_e32 v22, 0, v17
	v_cvt_f32_i32_e32 v17, v17
	v_ldexp_f32 v21, v21, v22
	s_delay_alu instid0(VALU_DEP_1) | instskip(NEXT) | instid1(VALU_DEP_1)
	v_add_f32_e32 v24, 1.0, v21
	v_dual_add_f32 v18, v18, v23 :: v_dual_add_f32 v23, -1.0, v24
	s_delay_alu instid0(VALU_DEP_1) | instskip(NEXT) | instid1(VALU_DEP_2)
	v_ldexp_f32 v18, v18, v22
	v_dual_sub_f32 v23, v21, v23 :: v_dual_add_f32 v22, -1.0, v21
	s_delay_alu instid0(VALU_DEP_1) | instskip(NEXT) | instid1(VALU_DEP_2)
	v_add_f32_e32 v23, v18, v23
	v_add_f32_e32 v25, 1.0, v22
	s_delay_alu instid0(VALU_DEP_1) | instskip(NEXT) | instid1(VALU_DEP_1)
	v_sub_f32_e32 v21, v21, v25
	v_add_f32_e32 v18, v18, v21
	s_delay_alu instid0(VALU_DEP_1) | instskip(NEXT) | instid1(VALU_DEP_1)
	v_dual_add_f32 v26, v22, v18 :: v_dual_add_f32 v25, v24, v23
	v_sub_f32_e32 v22, v22, v26
	s_delay_alu instid0(VALU_DEP_2) | instskip(SKIP_1) | instid1(VALU_DEP_1)
	v_rcp_f32_e32 v21, v25
	v_sub_f32_e32 v24, v24, v25
	v_dual_add_f32 v18, v18, v22 :: v_dual_add_f32 v23, v23, v24
	s_waitcnt_depctr 0xfff
	v_mul_f32_e32 v27, v26, v21
	s_delay_alu instid0(VALU_DEP_1) | instskip(NEXT) | instid1(VALU_DEP_1)
	v_mul_f32_e32 v28, v25, v27
	v_fma_f32 v24, v27, v25, -v28
	s_delay_alu instid0(VALU_DEP_1) | instskip(NEXT) | instid1(VALU_DEP_1)
	v_fmac_f32_e32 v24, v27, v23
	v_add_f32_e32 v29, v28, v24
	s_delay_alu instid0(VALU_DEP_1) | instskip(SKIP_1) | instid1(VALU_DEP_2)
	v_sub_f32_e32 v30, v26, v29
	v_sub_f32_e32 v22, v29, v28
	;; [unrolled: 1-line block ×3, first 2 shown]
	s_delay_alu instid0(VALU_DEP_2) | instskip(NEXT) | instid1(VALU_DEP_2)
	v_sub_f32_e32 v22, v22, v24
	v_sub_f32_e32 v26, v26, v29
	s_delay_alu instid0(VALU_DEP_1) | instskip(NEXT) | instid1(VALU_DEP_1)
	v_add_f32_e32 v18, v18, v26
	v_add_f32_e32 v18, v22, v18
	s_delay_alu instid0(VALU_DEP_1) | instskip(NEXT) | instid1(VALU_DEP_1)
	v_add_f32_e32 v22, v30, v18
	v_mul_f32_e32 v24, v21, v22
	s_delay_alu instid0(VALU_DEP_1) | instskip(NEXT) | instid1(VALU_DEP_1)
	v_dual_sub_f32 v29, v30, v22 :: v_dual_mul_f32 v26, v25, v24
	v_add_f32_e32 v18, v18, v29
	s_delay_alu instid0(VALU_DEP_2) | instskip(NEXT) | instid1(VALU_DEP_1)
	v_fma_f32 v25, v24, v25, -v26
	v_fmac_f32_e32 v25, v24, v23
	s_delay_alu instid0(VALU_DEP_1) | instskip(NEXT) | instid1(VALU_DEP_1)
	v_add_f32_e32 v23, v26, v25
	v_sub_f32_e32 v28, v22, v23
	v_sub_f32_e32 v26, v23, v26
	s_delay_alu instid0(VALU_DEP_2) | instskip(NEXT) | instid1(VALU_DEP_1)
	v_sub_f32_e32 v22, v22, v28
	v_sub_f32_e32 v22, v22, v23
	s_delay_alu instid0(VALU_DEP_3) | instskip(NEXT) | instid1(VALU_DEP_2)
	v_sub_f32_e32 v23, v26, v25
	v_add_f32_e32 v18, v18, v22
	v_add_f32_e32 v22, v27, v24
	s_delay_alu instid0(VALU_DEP_1) | instskip(NEXT) | instid1(VALU_DEP_1)
	v_dual_add_f32 v18, v23, v18 :: v_dual_sub_f32 v23, v22, v27
	v_add_f32_e32 v18, v28, v18
	s_delay_alu instid0(VALU_DEP_2) | instskip(SKIP_1) | instid1(VALU_DEP_3)
	v_sub_f32_e32 v23, v24, v23
	v_max_f32_e64 v24, |v7|, |v7|
	v_mul_f32_e32 v18, v21, v18
	v_max_f32_e64 v21, |v8|, |v8|
	s_delay_alu instid0(VALU_DEP_2) | instskip(NEXT) | instid1(VALU_DEP_2)
	v_add_f32_e32 v18, v23, v18
	v_max_f32_e32 v26, v24, v21
	v_min_f32_e32 v21, v24, v21
	s_delay_alu instid0(VALU_DEP_3) | instskip(NEXT) | instid1(VALU_DEP_3)
	v_add_f32_e32 v23, v22, v18
	v_frexp_mant_f32_e32 v28, v26
	v_frexp_exp_i32_f32_e32 v24, v26
	s_delay_alu instid0(VALU_DEP_3) | instskip(SKIP_1) | instid1(VALU_DEP_2)
	v_mul_f32_e32 v25, v23, v23
	v_ldexp_f32 v29, v23, 1
	v_fmaak_f32 v27, s21, v25, 0x3ecc95a3
	s_delay_alu instid0(VALU_DEP_1) | instskip(SKIP_3) | instid1(VALU_DEP_3)
	v_dual_mul_f32 v26, v23, v25 :: v_dual_fmaak_f32 v25, v25, v27, 0x3f2aaada
	v_rcp_f32_e32 v27, v28
	v_frexp_exp_i32_f32_e32 v28, v21
	v_frexp_mant_f32_e32 v21, v21
	v_dual_mul_f32 v25, v26, v25 :: v_dual_sub_f32 v22, v23, v22
	s_delay_alu instid0(VALU_DEP_3) | instskip(NEXT) | instid1(VALU_DEP_2)
	v_sub_nc_u32_e32 v24, v28, v24
	v_add_f32_e32 v23, v29, v25
	s_waitcnt_depctr 0xfff
	v_dual_mul_f32 v21, v21, v27 :: v_dual_sub_f32 v18, v18, v22
	v_sub_f32_e32 v22, v23, v29
	s_delay_alu instid0(VALU_DEP_2) | instskip(SKIP_1) | instid1(VALU_DEP_4)
	v_ldexp_f32 v21, v21, v24
	v_mul_f32_e32 v26, 0x3f317218, v17
	v_ldexp_f32 v18, v18, 1
	s_delay_alu instid0(VALU_DEP_4) | instskip(NEXT) | instid1(VALU_DEP_4)
	v_sub_f32_e32 v22, v25, v22
	v_mul_f32_e32 v25, v21, v21
	s_delay_alu instid0(VALU_DEP_4) | instskip(NEXT) | instid1(VALU_DEP_1)
	v_fma_f32 v24, 0x3f317218, v17, -v26
	v_dual_fmac_f32 v24, 0xb102e308, v17 :: v_dual_add_f32 v17, v18, v22
	s_delay_alu instid0(VALU_DEP_3) | instskip(NEXT) | instid1(VALU_DEP_1)
	v_fmaak_f32 v18, s26, v25, 0xbc7a590c
	v_dual_add_f32 v27, v23, v17 :: v_dual_fmaak_f32 v18, v25, v18, 0x3d29fb3f
	s_delay_alu instid0(VALU_DEP_1) | instskip(NEXT) | instid1(VALU_DEP_1)
	v_dual_sub_f32 v23, v27, v23 :: v_dual_fmaak_f32 v18, v25, v18, 0xbd97d4d7
	v_sub_f32_e32 v17, v17, v23
	s_delay_alu instid0(VALU_DEP_2) | instskip(NEXT) | instid1(VALU_DEP_1)
	v_fmaak_f32 v18, v25, v18, 0x3dd931b2
	v_fmaak_f32 v18, v25, v18, 0xbe1160e6
	s_delay_alu instid0(VALU_DEP_1) | instskip(NEXT) | instid1(VALU_DEP_1)
	v_fmaak_f32 v18, v25, v18, 0x3e4cb8bf
	v_fmaak_f32 v18, v25, v18, 0xbeaaaa62
	s_delay_alu instid0(VALU_DEP_1) | instskip(NEXT) | instid1(VALU_DEP_1)
	v_mul_f32_e32 v18, v25, v18
	v_dual_fmac_f32 v21, v21, v18 :: v_dual_add_f32 v22, v26, v24
	s_delay_alu instid0(VALU_DEP_1) | instskip(SKIP_1) | instid1(VALU_DEP_2)
	v_add_f32_e32 v28, v22, v27
	v_sub_f32_e32 v26, v22, v26
	v_sub_f32_e32 v29, v28, v22
	s_delay_alu instid0(VALU_DEP_2) | instskip(NEXT) | instid1(VALU_DEP_2)
	v_sub_f32_e32 v24, v24, v26
	v_sub_f32_e32 v30, v28, v29
	;; [unrolled: 1-line block ×3, first 2 shown]
	s_delay_alu instid0(VALU_DEP_3) | instskip(NEXT) | instid1(VALU_DEP_3)
	v_add_f32_e32 v26, v24, v17
	v_sub_f32_e32 v22, v22, v30
	s_delay_alu instid0(VALU_DEP_1) | instskip(NEXT) | instid1(VALU_DEP_1)
	v_dual_add_f32 v22, v23, v22 :: v_dual_sub_f32 v23, v26, v24
	v_add_f32_e32 v22, v26, v22
	s_delay_alu instid0(VALU_DEP_2) | instskip(NEXT) | instid1(VALU_DEP_2)
	v_sub_f32_e32 v25, v26, v23
	v_dual_sub_f32 v17, v17, v23 :: v_dual_add_f32 v26, v28, v22
	s_delay_alu instid0(VALU_DEP_2) | instskip(NEXT) | instid1(VALU_DEP_2)
	v_sub_f32_e32 v18, v24, v25
	v_dual_sub_f32 v24, 0x3fc90fdb, v21 :: v_dual_sub_f32 v23, v26, v28
	s_delay_alu instid0(VALU_DEP_2) | instskip(NEXT) | instid1(VALU_DEP_2)
	v_add_f32_e32 v17, v17, v18
	v_cndmask_b32_e64 v21, v21, v24, s4
	s_delay_alu instid0(VALU_DEP_3) | instskip(SKIP_2) | instid1(VALU_DEP_3)
	v_sub_f32_e32 v18, v22, v23
	v_cndmask_b32_e64 v22, 0, 0x40490fdb, vcc_lo
	v_cmp_eq_f32_e32 vcc_lo, 0x7f800000, v20
	v_dual_add_f32 v17, v17, v18 :: v_dual_sub_f32 v18, 0x40490fdb, v21
	s_or_b32 vcc_lo, vcc_lo, s9
	s_delay_alu instid0(VALU_DEP_1) | instskip(NEXT) | instid1(VALU_DEP_2)
	v_add_f32_e32 v7, v26, v17
	v_cndmask_b32_e64 v17, v21, v18, s5
	v_cndmask_b32_e64 v18, 0x3f490fdb, v19, s5
	s_delay_alu instid0(VALU_DEP_3) | instskip(SKIP_1) | instid1(VALU_DEP_2)
	v_cndmask_b32_e32 v7, v7, v20, vcc_lo
	v_cmp_eq_f32_e32 vcc_lo, 0, v8
	v_dual_cndmask_b32 v20, v17, v22 :: v_dual_mul_f32 v17, 0.5, v7
	s_and_b32 vcc_lo, s10, s8
	s_delay_alu instid0(VALU_DEP_1)
	v_cndmask_b32_e32 v18, v20, v18, vcc_lo
                                        ; implicit-def: $vgpr20
.LBB169_174:                            ;   in Loop: Header=BB169_145 Depth=1
	s_and_not1_saveexec_b32 s7, s7
	s_cbranch_execz .LBB169_176
; %bb.175:                              ;   in Loop: Header=BB169_145 Depth=1
	v_max_f32_e64 v17, |v8|, |v8|
	v_max_f32_e64 v18, |v7|, |v7|
	v_cmp_gt_i32_e32 vcc_lo, 0, v7
	v_cmp_eq_f32_e64 s5, 0, v8
	v_cmp_class_f32_e64 s8, v7, 0x204
	v_cmp_class_f32_e64 s9, v8, 0x204
	v_max_f32_e32 v21, v18, v17
	v_min_f32_e32 v17, v18, v17
	s_delay_alu instid0(VALU_DEP_2) | instskip(SKIP_1) | instid1(VALU_DEP_2)
	v_frexp_mant_f32_e32 v22, v21
	v_frexp_exp_i32_f32_e32 v21, v21
	v_rcp_f32_e32 v18, v22
	s_delay_alu instid0(VALU_DEP_3) | instskip(SKIP_1) | instid1(VALU_DEP_2)
	v_frexp_exp_i32_f32_e32 v22, v17
	v_frexp_mant_f32_e32 v17, v17
	v_sub_nc_u32_e32 v21, v22, v21
	s_waitcnt_depctr 0xfff
	v_mul_f32_e32 v17, v17, v18
	s_delay_alu instid0(VALU_DEP_1) | instskip(NEXT) | instid1(VALU_DEP_1)
	v_ldexp_f32 v17, v17, v21
	v_mul_f32_e32 v18, v17, v17
	s_delay_alu instid0(VALU_DEP_1) | instskip(NEXT) | instid1(VALU_DEP_1)
	v_fmaak_f32 v21, s26, v18, 0xbc7a590c
	v_fmaak_f32 v21, v18, v21, 0x3d29fb3f
	s_delay_alu instid0(VALU_DEP_1) | instskip(NEXT) | instid1(VALU_DEP_1)
	v_fmaak_f32 v21, v18, v21, 0xbd97d4d7
	v_fmaak_f32 v21, v18, v21, 0x3dd931b2
	;; [unrolled: 3-line block ×3, first 2 shown]
	s_delay_alu instid0(VALU_DEP_1) | instskip(NEXT) | instid1(VALU_DEP_1)
	v_fmaak_f32 v21, v18, v21, 0xbeaaaa62
	v_mul_f32_e32 v18, v18, v21
	v_cndmask_b32_e64 v21, 0, 0x40490fdb, vcc_lo
	v_cmp_gt_f32_e32 vcc_lo, 0, v7
	s_delay_alu instid0(VALU_DEP_3) | instskip(NEXT) | instid1(VALU_DEP_1)
	v_fmac_f32_e32 v17, v17, v18
	v_sub_f32_e32 v18, 0x3fc90fdb, v17
	s_delay_alu instid0(VALU_DEP_1) | instskip(NEXT) | instid1(VALU_DEP_1)
	v_cndmask_b32_e64 v17, v17, v18, s4
	v_sub_f32_e32 v18, 0x40490fdb, v17
	s_delay_alu instid0(VALU_DEP_1) | instskip(NEXT) | instid1(VALU_DEP_1)
	v_dual_cndmask_b32 v17, v17, v18 :: v_dual_mul_f32 v18, 0.5, v20
	v_cndmask_b32_e64 v7, v17, v21, s5
	v_cndmask_b32_e32 v21, 0x3f490fdb, v19, vcc_lo
	s_and_b32 vcc_lo, s9, s8
	s_delay_alu instid0(VALU_DEP_1)
	v_dual_mul_f32 v17, v20, v18 :: v_dual_cndmask_b32 v18, v7, v21
.LBB169_176:                            ;   in Loop: Header=BB169_145 Depth=1
	s_or_b32 exec_lo, exec_lo, s7
.LBB169_177:                            ;   in Loop: Header=BB169_145 Depth=1
	s_delay_alu instid0(SALU_CYCLE_1)
	s_or_b32 exec_lo, exec_lo, s6
.LBB169_178:                            ;   in Loop: Header=BB169_145 Depth=1
	s_and_not1_saveexec_b32 s6, s28
	s_cbranch_execz .LBB169_180
; %bb.179:                              ;   in Loop: Header=BB169_145 Depth=1
	v_div_scale_f32 v17, null, 0x402df854, 0x402df854, v7
	v_div_scale_f32 v18, null, 0x402df854, 0x402df854, v8
	v_div_scale_f32 v24, vcc_lo, v7, 0x402df854, v7
	s_delay_alu instid0(VALU_DEP_3) | instskip(NEXT) | instid1(VALU_DEP_2)
	v_rcp_f32_e32 v20, v17
	v_rcp_f32_e32 v21, v18
	v_cmp_class_f32_e64 s7, v8, 0x204
	s_waitcnt_depctr 0xfff
	v_fma_f32 v22, -v17, v20, 1.0
	v_fma_f32 v23, -v18, v21, 1.0
	s_delay_alu instid0(VALU_DEP_1) | instskip(SKIP_1) | instid1(VALU_DEP_2)
	v_dual_fmac_f32 v20, v22, v20 :: v_dual_fmac_f32 v21, v23, v21
	v_div_scale_f32 v22, s5, v8, 0x402df854, v8
	v_mul_f32_e32 v23, v24, v20
	s_delay_alu instid0(VALU_DEP_1) | instskip(NEXT) | instid1(VALU_DEP_1)
	v_fma_f32 v26, -v17, v23, v24
	v_fmac_f32_e32 v23, v26, v20
	s_delay_alu instid0(VALU_DEP_1) | instskip(NEXT) | instid1(VALU_DEP_1)
	v_fma_f32 v17, -v17, v23, v24
	v_div_fmas_f32 v17, v17, v20, v23
	v_max_f32_e64 v23, |v7|, |v7|
	v_mul_f32_e32 v25, v22, v21
	s_mov_b32 vcc_lo, s5
	v_cmp_class_f32_e64 s5, v7, 0x204
	v_div_fixup_f32 v20, v17, 0x402df854, v7
	s_delay_alu instid0(VALU_DEP_3) | instskip(NEXT) | instid1(VALU_DEP_1)
	v_fma_f32 v27, -v18, v25, v22
	v_fmac_f32_e32 v25, v27, v21
	s_delay_alu instid0(VALU_DEP_1) | instskip(NEXT) | instid1(VALU_DEP_1)
	v_fma_f32 v18, -v18, v25, v22
	v_div_fmas_f32 v18, v18, v21, v25
	s_delay_alu instid0(VALU_DEP_1) | instskip(NEXT) | instid1(VALU_DEP_1)
	v_div_fixup_f32 v21, v18, 0x402df854, v8
	v_max_f32_e64 v22, |v20|, |v21|
	s_delay_alu instid0(VALU_DEP_1) | instskip(SKIP_1) | instid1(VALU_DEP_2)
	v_cvt_f64_f32_e32 v[17:18], v22
	v_cmp_neq_f32_e32 vcc_lo, 0x7f800000, v22
	v_frexp_exp_i32_f64_e32 v17, v[17:18]
	v_max_f32_e64 v18, |v8|, |v8|
	s_delay_alu instid0(VALU_DEP_1) | instskip(SKIP_1) | instid1(VALU_DEP_2)
	v_max_f32_e32 v24, v23, v18
	v_min_f32_e32 v18, v23, v18
	v_frexp_mant_f32_e32 v25, v24
	v_frexp_exp_i32_f32_e32 v24, v24
	s_delay_alu instid0(VALU_DEP_2) | instskip(SKIP_1) | instid1(VALU_DEP_1)
	v_rcp_f32_e32 v23, v25
	v_sub_nc_u32_e32 v25, 0, v17
	v_ldexp_f32 v21, |v21|, v25
	v_ldexp_f32 v20, |v20|, v25
	s_delay_alu instid0(VALU_DEP_2) | instskip(SKIP_2) | instid1(VALU_DEP_3)
	v_mul_f32_e32 v21, v21, v21
	v_frexp_exp_i32_f32_e32 v26, v18
	v_frexp_mant_f32_e32 v18, v18
	v_fmac_f32_e32 v21, v20, v20
	s_delay_alu instid0(VALU_DEP_3)
	v_sub_nc_u32_e32 v24, v26, v24
	s_delay_alu instid0(TRANS32_DEP_1) | instid1(VALU_DEP_3)
	v_mul_f32_e32 v18, v18, v23
	s_delay_alu instid0(VALU_DEP_3) | instskip(NEXT) | instid1(VALU_DEP_1)
	v_sqrt_f32_e32 v21, v21
	v_ldexp_f32 v18, v18, v24
	s_delay_alu instid0(VALU_DEP_1) | instskip(SKIP_3) | instid1(VALU_DEP_2)
	v_mul_f32_e32 v20, v18, v18
	s_waitcnt_depctr 0xfff
	v_ldexp_f32 v17, v21, v17
	v_fmaak_f32 v23, s26, v20, 0xbc7a590c
	v_cndmask_b32_e32 v17, 0x7f800000, v17, vcc_lo
	s_delay_alu instid0(VALU_DEP_2) | instskip(NEXT) | instid1(VALU_DEP_2)
	v_fmaak_f32 v23, v20, v23, 0x3d29fb3f
	v_cmp_gt_f32_e32 vcc_lo, 0x800000, v17
	s_delay_alu instid0(VALU_DEP_2) | instskip(SKIP_2) | instid1(VALU_DEP_3)
	v_fmaak_f32 v21, v20, v23, 0xbd97d4d7
	v_cndmask_b32_e64 v22, 1.0, 0x4f800000, vcc_lo
	v_cndmask_b32_e64 v23, 0, 0x41b17218, vcc_lo
	v_fmaak_f32 v21, v20, v21, 0x3dd931b2
	s_delay_alu instid0(VALU_DEP_3) | instskip(NEXT) | instid1(VALU_DEP_2)
	v_mul_f32_e32 v17, v17, v22
	v_fmaak_f32 v21, v20, v21, 0xbe1160e6
	s_delay_alu instid0(VALU_DEP_2) | instskip(NEXT) | instid1(VALU_DEP_1)
	v_log_f32_e32 v17, v17
	v_fmaak_f32 v21, v20, v21, 0x3e4cb8bf
	s_delay_alu instid0(VALU_DEP_1) | instskip(SKIP_3) | instid1(VALU_DEP_1)
	v_fmaak_f32 v21, v20, v21, 0xbeaaaa62
	s_waitcnt_depctr 0xfff
	v_cmp_gt_f32_e64 vcc_lo, 0x7f800000, |v17|
	v_mul_f32_e32 v20, v20, v21
	v_dual_mul_f32 v21, 0x3f317217, v17 :: v_dual_fmac_f32 v18, v18, v20
	s_delay_alu instid0(VALU_DEP_1) | instskip(NEXT) | instid1(VALU_DEP_2)
	v_fma_f32 v20, 0x3f317217, v17, -v21
	v_sub_f32_e32 v22, 0x3fc90fdb, v18
	s_delay_alu instid0(VALU_DEP_2) | instskip(NEXT) | instid1(VALU_DEP_2)
	v_fmac_f32_e32 v20, 0x3377d1cf, v17
	v_cndmask_b32_e64 v18, v18, v22, s4
	v_cmp_gt_i32_e64 s4, 0, v7
	s_delay_alu instid0(VALU_DEP_2) | instskip(NEXT) | instid1(VALU_DEP_2)
	v_dual_add_f32 v20, v21, v20 :: v_dual_sub_f32 v21, 0x40490fdb, v18
	v_cndmask_b32_e64 v22, 0, 0x40490fdb, s4
	v_cmp_gt_f32_e64 s4, 0, v7
	s_delay_alu instid0(VALU_DEP_3) | instskip(SKIP_1) | instid1(VALU_DEP_3)
	v_cndmask_b32_e32 v17, v17, v20, vcc_lo
	v_cmp_eq_f32_e32 vcc_lo, 0, v8
	v_cndmask_b32_e64 v7, v18, v21, s4
	s_delay_alu instid0(VALU_DEP_3) | instskip(SKIP_1) | instid1(VALU_DEP_3)
	v_sub_f32_e32 v17, v17, v23
	v_cndmask_b32_e64 v18, 0x3f490fdb, v19, s4
	v_cndmask_b32_e32 v7, v7, v22, vcc_lo
	s_and_b32 vcc_lo, s7, s5
	s_delay_alu instid0(VALU_DEP_1)
	v_dual_add_f32 v17, 1.0, v17 :: v_dual_cndmask_b32 v18, v7, v18
.LBB169_180:                            ;   in Loop: Header=BB169_145 Depth=1
	s_or_b32 exec_lo, exec_lo, s6
.LBB169_181:                            ;   in Loop: Header=BB169_145 Depth=1
	s_and_not1_saveexec_b32 s4, s27
	s_cbranch_execz .LBB169_187
; %bb.182:                              ;   in Loop: Header=BB169_145 Depth=1
	v_cmp_ngt_f32_e64 s5, 0x20000000, |v7|
	v_cmp_ngt_f32_e64 s6, 0x20000000, |v8|
                                        ; implicit-def: $vgpr17
	s_delay_alu instid0(VALU_DEP_1) | instskip(NEXT) | instid1(SALU_CYCLE_1)
	s_or_b32 s5, s6, s5
	s_and_saveexec_b32 s6, s5
	s_delay_alu instid0(SALU_CYCLE_1)
	s_xor_b32 s5, exec_lo, s6
; %bb.183:                              ;   in Loop: Header=BB169_145 Depth=1
	v_mul_f32_e32 v17, v7, v7
	s_delay_alu instid0(VALU_DEP_1)
	v_fmac_f32_e32 v17, v8, v8
; %bb.184:                              ;   in Loop: Header=BB169_145 Depth=1
	s_and_not1_saveexec_b32 s5, s5
; %bb.185:                              ;   in Loop: Header=BB169_145 Depth=1
	v_mul_f32_e32 v7, 4.0, v7
	v_mul_f32_e32 v17, 4.0, v8
	s_delay_alu instid0(VALU_DEP_2) | instskip(NEXT) | instid1(VALU_DEP_1)
	v_mul_f32_e32 v7, v7, v7
	v_fmac_f32_e32 v7, v17, v17
	s_delay_alu instid0(VALU_DEP_1)
	v_mul_f32_e32 v17, 0x3d800000, v7
; %bb.186:                              ;   in Loop: Header=BB169_145 Depth=1
	s_or_b32 exec_lo, exec_lo, s5
	s_delay_alu instid0(VALU_DEP_1) | instskip(SKIP_1) | instid1(VALU_DEP_1)
	v_cmp_gt_f32_e32 vcc_lo, 0x800000, v17
	v_cndmask_b32_e64 v7, 1.0, 0x4f800000, vcc_lo
	v_mul_f32_e32 v7, v17, v7
	s_delay_alu instid0(VALU_DEP_1) | instskip(SKIP_2) | instid1(VALU_DEP_1)
	v_log_f32_e32 v7, v7
	s_waitcnt_depctr 0xfff
	v_mul_f32_e32 v17, 0x3f317217, v7
	v_fma_f32 v18, 0x3f317217, v7, -v17
	s_delay_alu instid0(VALU_DEP_1) | instskip(NEXT) | instid1(VALU_DEP_1)
	v_fmac_f32_e32 v18, 0x3377d1cf, v7
	v_add_f32_e32 v17, v17, v18
	v_cndmask_b32_e64 v18, 0, 0x41b17218, vcc_lo
	v_cmp_gt_f32_e64 vcc_lo, 0x7f800000, |v7|
	s_delay_alu instid0(VALU_DEP_3) | instskip(NEXT) | instid1(VALU_DEP_1)
	v_cndmask_b32_e32 v7, v7, v17, vcc_lo
	v_dual_sub_f32 v17, v7, v18 :: v_dual_mov_b32 v18, 0x7fc00000
.LBB169_187:                            ;   in Loop: Header=BB169_145 Depth=1
	s_or_b32 exec_lo, exec_lo, s4
                                        ; implicit-def: $vgpr7
                                        ; implicit-def: $vgpr20
	s_delay_alu instid0(SALU_CYCLE_1)
	s_mov_b32 s4, exec_lo
	v_cmpx_o_f32_e32 v12, v11
	s_xor_b32 s27, exec_lo, s4
	s_cbranch_execz .LBB169_215
; %bb.188:                              ;   in Loop: Header=BB169_145 Depth=1
	v_cmp_lt_f32_e64 s4, |v11|, |v12|
                                        ; implicit-def: $vgpr7
                                        ; implicit-def: $vgpr20
	s_mov_b32 s5, exec_lo
	s_delay_alu instid0(VALU_DEP_1) | instskip(NEXT) | instid1(VALU_DEP_1)
	v_cndmask_b32_e64 v21, |v12|, |v11|, s4
	v_cmpx_nlt_f32_e32 0x77f684df, v21
	s_xor_b32 s28, exec_lo, s5
	s_cbranch_execz .LBB169_212
; %bb.189:                              ;   in Loop: Header=BB169_145 Depth=1
	v_and_b32_e32 v7, 0x7fffffff, v12
                                        ; implicit-def: $vgpr20
	s_mov_b32 s5, exec_lo
	s_delay_alu instid0(VALU_DEP_1) | instskip(NEXT) | instid1(VALU_DEP_1)
	v_cndmask_b32_e64 v22, |v11|, v7, s4
                                        ; implicit-def: $vgpr7
	v_cmpx_neq_f32_e32 1.0, v22
	s_xor_b32 s29, exec_lo, s5
	s_cbranch_execz .LBB169_205
; %bb.190:                              ;   in Loop: Header=BB169_145 Depth=1
	v_dual_max_f32 v7, v21, v21 :: v_dual_max_f32 v20, v22, v22
	s_delay_alu instid0(VALU_DEP_1) | instskip(SKIP_1) | instid1(VALU_DEP_2)
	v_min_f32_e32 v23, v20, v7
	v_max_f32_e32 v7, v20, v7
                                        ; implicit-def: $vgpr20
	v_cmp_ngt_f32_e32 vcc_lo, 0x358637bd, v23
	s_delay_alu instid0(VALU_DEP_2) | instskip(NEXT) | instid1(VALU_DEP_1)
	v_cmp_nlt_f32_e64 s5, 0x49742400, v7
                                        ; implicit-def: $vgpr7
	s_and_b32 s5, s5, vcc_lo
	s_delay_alu instid0(SALU_CYCLE_1) | instskip(NEXT) | instid1(SALU_CYCLE_1)
	s_and_saveexec_b32 s6, s5
	s_xor_b32 s30, exec_lo, s6
	s_cbranch_execz .LBB169_202
; %bb.191:                              ;   in Loop: Header=BB169_145 Depth=1
                                        ; implicit-def: $vgpr7
                                        ; implicit-def: $vgpr20
	s_mov_b32 s5, exec_lo
	v_cmpx_le_f32_e32 1.0, v22
	s_xor_b32 s6, exec_lo, s5
	s_cbranch_execz .LBB169_193
; %bb.192:                              ;   in Loop: Header=BB169_145 Depth=1
	v_add_f32_e32 v7, -1.0, v22
	v_add_f32_e32 v20, 1.0, v22
	v_cmp_class_f32_e64 s7, v11, 0x204
	s_delay_alu instid0(VALU_DEP_2) | instskip(NEXT) | instid1(VALU_DEP_1)
	v_mul_f32_e32 v7, v7, v20
	v_fmac_f32_e32 v7, v21, v21
	s_delay_alu instid0(VALU_DEP_1) | instskip(SKIP_1) | instid1(VALU_DEP_2)
	v_add_f32_e32 v22, 1.0, v7
	v_cmp_neq_f32_e64 s5, -1.0, v7
	v_cvt_f64_f32_e32 v[20:21], v22
	s_delay_alu instid0(VALU_DEP_1) | instskip(SKIP_1) | instid1(VALU_DEP_1)
	v_frexp_exp_i32_f64_e32 v20, v[20:21]
	v_frexp_mant_f32_e32 v21, v22
	v_cmp_gt_f32_e32 vcc_lo, 0x3f2aaaab, v21
	v_add_f32_e32 v21, -1.0, v22
	s_delay_alu instid0(VALU_DEP_1) | instskip(NEXT) | instid1(VALU_DEP_1)
	v_dual_sub_f32 v24, v21, v22 :: v_dual_sub_f32 v21, v7, v21
	v_add_f32_e32 v24, 1.0, v24
	s_delay_alu instid0(VALU_DEP_1) | instskip(SKIP_2) | instid1(VALU_DEP_2)
	v_add_f32_e32 v21, v21, v24
	v_subrev_co_ci_u32_e32 v20, vcc_lo, 0, v20, vcc_lo
	v_cmp_eq_f32_e32 vcc_lo, 0x7f800000, v7
	v_sub_nc_u32_e32 v23, 0, v20
	v_cvt_f32_i32_e32 v20, v20
	s_delay_alu instid0(VALU_DEP_2) | instskip(SKIP_1) | instid1(VALU_DEP_2)
	v_ldexp_f32 v22, v22, v23
	v_ldexp_f32 v21, v21, v23
	v_add_f32_e32 v25, 1.0, v22
	s_delay_alu instid0(VALU_DEP_1) | instskip(NEXT) | instid1(VALU_DEP_1)
	v_add_f32_e32 v24, -1.0, v25
	v_dual_sub_f32 v24, v22, v24 :: v_dual_add_f32 v23, -1.0, v22
	s_delay_alu instid0(VALU_DEP_1) | instskip(NEXT) | instid1(VALU_DEP_2)
	v_add_f32_e32 v24, v21, v24
	v_add_f32_e32 v26, 1.0, v23
	s_delay_alu instid0(VALU_DEP_1) | instskip(NEXT) | instid1(VALU_DEP_1)
	v_sub_f32_e32 v22, v22, v26
	v_add_f32_e32 v21, v21, v22
	s_delay_alu instid0(VALU_DEP_1) | instskip(NEXT) | instid1(VALU_DEP_1)
	v_dual_add_f32 v27, v23, v21 :: v_dual_add_f32 v26, v25, v24
	v_sub_f32_e32 v23, v27, v23
	s_delay_alu instid0(VALU_DEP_2) | instskip(SKIP_1) | instid1(VALU_DEP_1)
	v_rcp_f32_e32 v22, v26
	v_sub_f32_e32 v25, v26, v25
	v_dual_sub_f32 v24, v24, v25 :: v_dual_sub_f32 v21, v21, v23
	s_waitcnt_depctr 0xfff
	v_mul_f32_e32 v28, v27, v22
	s_delay_alu instid0(VALU_DEP_1) | instskip(NEXT) | instid1(VALU_DEP_1)
	v_mul_f32_e32 v29, v26, v28
	v_fma_f32 v25, v28, v26, -v29
	s_delay_alu instid0(VALU_DEP_1) | instskip(NEXT) | instid1(VALU_DEP_1)
	v_fmac_f32_e32 v25, v28, v24
	v_add_f32_e32 v30, v29, v25
	s_delay_alu instid0(VALU_DEP_1) | instskip(SKIP_1) | instid1(VALU_DEP_2)
	v_sub_f32_e32 v31, v27, v30
	v_sub_f32_e32 v23, v30, v29
	;; [unrolled: 1-line block ×3, first 2 shown]
	s_delay_alu instid0(VALU_DEP_2) | instskip(NEXT) | instid1(VALU_DEP_2)
	v_sub_f32_e32 v23, v23, v25
	v_sub_f32_e32 v27, v27, v30
	s_delay_alu instid0(VALU_DEP_1) | instskip(NEXT) | instid1(VALU_DEP_1)
	v_add_f32_e32 v21, v21, v27
	v_add_f32_e32 v21, v23, v21
	s_delay_alu instid0(VALU_DEP_1) | instskip(NEXT) | instid1(VALU_DEP_1)
	v_add_f32_e32 v23, v31, v21
	v_mul_f32_e32 v25, v22, v23
	s_delay_alu instid0(VALU_DEP_1) | instskip(NEXT) | instid1(VALU_DEP_1)
	v_dual_sub_f32 v30, v31, v23 :: v_dual_mul_f32 v27, v26, v25
	v_add_f32_e32 v21, v21, v30
	s_delay_alu instid0(VALU_DEP_2) | instskip(NEXT) | instid1(VALU_DEP_1)
	v_fma_f32 v26, v25, v26, -v27
	v_fmac_f32_e32 v26, v25, v24
	s_delay_alu instid0(VALU_DEP_1) | instskip(NEXT) | instid1(VALU_DEP_1)
	v_add_f32_e32 v24, v27, v26
	v_sub_f32_e32 v29, v23, v24
	v_sub_f32_e32 v27, v24, v27
	s_delay_alu instid0(VALU_DEP_2) | instskip(NEXT) | instid1(VALU_DEP_1)
	v_sub_f32_e32 v23, v23, v29
	v_sub_f32_e32 v23, v23, v24
	s_delay_alu instid0(VALU_DEP_3) | instskip(SKIP_1) | instid1(VALU_DEP_3)
	v_sub_f32_e32 v24, v27, v26
	v_max_f32_e64 v26, |v12|, |v12|
	v_add_f32_e32 v21, v21, v23
	v_add_f32_e32 v23, v28, v25
	s_delay_alu instid0(VALU_DEP_1) | instskip(NEXT) | instid1(VALU_DEP_1)
	v_dual_add_f32 v21, v24, v21 :: v_dual_sub_f32 v24, v23, v28
	v_add_f32_e32 v21, v29, v21
	s_delay_alu instid0(VALU_DEP_2) | instskip(SKIP_1) | instid1(VALU_DEP_3)
	v_sub_f32_e32 v24, v25, v24
	v_mul_f32_e32 v29, 0x3f317218, v20
	v_mul_f32_e32 v21, v22, v21
	s_delay_alu instid0(VALU_DEP_2) | instskip(NEXT) | instid1(VALU_DEP_1)
	v_fma_f32 v30, 0x3f317218, v20, -v29
	v_dual_add_f32 v21, v24, v21 :: v_dual_fmac_f32 v30, 0xb102e308, v20
	s_delay_alu instid0(VALU_DEP_1) | instskip(NEXT) | instid1(VALU_DEP_1)
	v_add_f32_e32 v22, v23, v21
	v_mul_f32_e32 v24, v22, v22
	v_ldexp_f32 v28, v22, 1
	s_delay_alu instid0(VALU_DEP_2) | instskip(SKIP_2) | instid1(VALU_DEP_3)
	v_fmaak_f32 v25, s21, v24, 0x3ecc95a3
	v_mul_f32_e32 v27, v22, v24
	v_sub_f32_e32 v22, v22, v23
	v_fmaak_f32 v24, v24, v25, 0x3f2aaada
	v_max_f32_e64 v25, |v11|, |v11|
	s_delay_alu instid0(VALU_DEP_2) | instskip(NEXT) | instid1(VALU_DEP_2)
	v_dual_sub_f32 v21, v21, v22 :: v_dual_mul_f32 v24, v27, v24
	v_max_f32_e32 v27, v25, v26
	v_min_f32_e32 v25, v25, v26
	s_delay_alu instid0(VALU_DEP_3) | instskip(NEXT) | instid1(VALU_DEP_4)
	v_ldexp_f32 v21, v21, 1
	v_add_f32_e32 v23, v28, v24
	s_delay_alu instid0(VALU_DEP_4) | instskip(SKIP_1) | instid1(VALU_DEP_3)
	v_frexp_mant_f32_e32 v26, v27
	v_frexp_exp_i32_f32_e32 v27, v27
	v_sub_f32_e32 v22, v23, v28
	s_delay_alu instid0(VALU_DEP_3) | instskip(SKIP_1) | instid1(VALU_DEP_2)
	v_rcp_f32_e32 v26, v26
	v_frexp_exp_i32_f32_e32 v28, v25
	v_sub_f32_e32 v22, v24, v22
	v_frexp_mant_f32_e32 v24, v25
	s_delay_alu instid0(VALU_DEP_3) | instskip(NEXT) | instid1(VALU_DEP_3)
	v_sub_nc_u32_e32 v25, v28, v27
	v_add_f32_e32 v20, v21, v22
	v_add_f32_e32 v22, v29, v30
	s_delay_alu instid0(VALU_DEP_1) | instskip(NEXT) | instid1(VALU_DEP_1)
	v_sub_f32_e32 v29, v22, v29
	v_sub_f32_e32 v29, v30, v29
	s_delay_alu instid0(TRANS32_DEP_1) | instid1(VALU_DEP_4)
	v_dual_mul_f32 v21, v24, v26 :: v_dual_add_f32 v24, v23, v20
	s_delay_alu instid0(VALU_DEP_1) | instskip(NEXT) | instid1(VALU_DEP_2)
	v_ldexp_f32 v21, v21, v25
	v_add_f32_e32 v25, v22, v24
	s_delay_alu instid0(VALU_DEP_2) | instskip(NEXT) | instid1(VALU_DEP_1)
	v_dual_sub_f32 v23, v24, v23 :: v_dual_mul_f32 v26, v21, v21
	v_dual_sub_f32 v27, v25, v22 :: v_dual_sub_f32 v20, v20, v23
	s_delay_alu instid0(VALU_DEP_1) | instskip(SKIP_1) | instid1(VALU_DEP_3)
	v_dual_fmaak_f32 v28, s26, v26, 0xbc7a590c :: v_dual_sub_f32 v31, v25, v27
	v_sub_f32_e32 v23, v24, v27
	v_add_f32_e32 v27, v29, v20
	s_delay_alu instid0(VALU_DEP_3) | instskip(NEXT) | instid1(VALU_DEP_4)
	v_fmaak_f32 v28, v26, v28, 0x3d29fb3f
	v_sub_f32_e32 v22, v22, v31
	s_delay_alu instid0(VALU_DEP_2) | instskip(NEXT) | instid1(VALU_DEP_1)
	v_fmaak_f32 v24, v26, v28, 0xbd97d4d7
	v_dual_add_f32 v22, v23, v22 :: v_dual_fmaak_f32 v23, v26, v24, 0x3dd931b2
	v_sub_f32_e32 v24, v27, v29
	s_delay_alu instid0(VALU_DEP_2) | instskip(NEXT) | instid1(VALU_DEP_1)
	v_dual_add_f32 v22, v27, v22 :: v_dual_fmaak_f32 v23, v26, v23, 0xbe1160e6
	v_dual_sub_f32 v27, v27, v24 :: v_dual_add_f32 v28, v25, v22
	s_delay_alu instid0(VALU_DEP_2) | instskip(NEXT) | instid1(VALU_DEP_2)
	v_dual_sub_f32 v20, v20, v24 :: v_dual_fmaak_f32 v23, v26, v23, 0x3e4cb8bf
	v_dual_sub_f32 v24, v29, v27 :: v_dual_sub_f32 v25, v28, v25
	s_delay_alu instid0(VALU_DEP_1) | instskip(NEXT) | instid1(VALU_DEP_2)
	v_dual_fmaak_f32 v23, v26, v23, 0xbeaaaa62 :: v_dual_add_f32 v20, v20, v24
	v_sub_f32_e32 v22, v22, v25
	s_delay_alu instid0(VALU_DEP_1) | instskip(NEXT) | instid1(VALU_DEP_1)
	v_dual_mul_f32 v23, v26, v23 :: v_dual_add_f32 v20, v20, v22
	v_dual_fmac_f32 v21, v21, v23 :: v_dual_add_f32 v20, v28, v20
	s_delay_alu instid0(VALU_DEP_1) | instskip(NEXT) | instid1(VALU_DEP_2)
	v_sub_f32_e32 v22, 0x3fc90fdb, v21
	v_cndmask_b32_e32 v20, v20, v7, vcc_lo
	v_cmp_gt_i32_e32 vcc_lo, 0, v11
	s_delay_alu instid0(VALU_DEP_3) | instskip(SKIP_2) | instid1(VALU_DEP_3)
	v_cndmask_b32_e64 v21, v21, v22, s4
	v_cndmask_b32_e64 v22, 0, 0x40490fdb, vcc_lo
	v_cmp_ngt_f32_e32 vcc_lo, -1.0, v7
	v_sub_f32_e32 v23, 0x40490fdb, v21
	v_cndmask_b32_e32 v20, 0x7fc00000, v20, vcc_lo
	v_cmp_gt_f32_e32 vcc_lo, 0, v11
	s_delay_alu instid0(VALU_DEP_2) | instskip(NEXT) | instid1(VALU_DEP_4)
	v_cndmask_b32_e64 v11, 0xff800000, v20, s5
	v_cndmask_b32_e32 v20, v21, v23, vcc_lo
	v_cndmask_b32_e32 v21, 0x3f490fdb, v19, vcc_lo
	v_cmp_gt_f32_e64 vcc_lo, 0x33800000, |v7|
	v_cmp_class_f32_e64 s5, v12, 0x204
	v_cndmask_b32_e32 v7, v11, v7, vcc_lo
	v_cmp_eq_f32_e32 vcc_lo, 0, v12
	s_delay_alu instid0(VALU_DEP_2) | instskip(SKIP_2) | instid1(VALU_DEP_1)
	v_mul_f32_e32 v7, 0.5, v7
	v_cndmask_b32_e32 v11, v20, v22, vcc_lo
	s_and_b32 vcc_lo, s5, s7
                                        ; implicit-def: $vgpr22
	v_cndmask_b32_e32 v20, v11, v21, vcc_lo
                                        ; implicit-def: $vgpr21
.LBB169_193:                            ;   in Loop: Header=BB169_145 Depth=1
	s_and_not1_saveexec_b32 s31, s6
	s_cbranch_execz .LBB169_201
; %bb.194:                              ;   in Loop: Header=BB169_145 Depth=1
	v_mul_f32_e32 v23, v21, v21
                                        ; implicit-def: $vgpr7
                                        ; implicit-def: $vgpr20
	s_mov_b32 s5, exec_lo
	s_delay_alu instid0(VALU_DEP_1) | instskip(NEXT) | instid1(VALU_DEP_1)
	v_fmac_f32_e32 v23, v22, v22
	v_cmpx_ge_f32_e32 0x3f333333, v23
	s_xor_b32 s6, exec_lo, s5
	s_cbranch_execz .LBB169_196
; %bb.195:                              ;   in Loop: Header=BB169_145 Depth=1
	v_max_f32_e64 v7, |v12|, |v12|
	v_max_f32_e64 v20, |v11|, |v11|
	v_cmp_gt_f32_e32 vcc_lo, 0x800000, v23
	v_cmp_gt_i32_e64 s5, 0, v11
	v_cmp_class_f32_e64 s7, v11, 0x204
	v_cmp_class_f32_e64 s8, v12, 0x204
	v_max_f32_e32 v21, v20, v7
	v_min_f32_e32 v7, v20, v7
	v_cndmask_b32_e64 v24, 0, 0x41b17218, vcc_lo
	s_delay_alu instid0(VALU_DEP_3) | instskip(SKIP_1) | instid1(VALU_DEP_2)
	v_frexp_mant_f32_e32 v22, v21
	v_frexp_exp_i32_f32_e32 v21, v21
	v_rcp_f32_e32 v20, v22
	v_frexp_exp_i32_f32_e32 v22, v7
	v_frexp_mant_f32_e32 v7, v7
	s_delay_alu instid0(VALU_DEP_2) | instskip(SKIP_4) | instid1(VALU_DEP_2)
	v_sub_nc_u32_e32 v21, v22, v21
	v_cndmask_b32_e64 v22, 1.0, 0x4f800000, vcc_lo
	s_waitcnt_depctr 0xfff
	v_mul_f32_e32 v7, v7, v20
	v_mul_f32_e32 v22, v23, v22
	v_ldexp_f32 v7, v7, v21
	s_delay_alu instid0(VALU_DEP_2) | instskip(NEXT) | instid1(VALU_DEP_1)
	v_log_f32_e32 v22, v22
	v_mul_f32_e32 v20, v7, v7
	s_delay_alu instid0(VALU_DEP_1) | instskip(SKIP_3) | instid1(VALU_DEP_1)
	v_fmaak_f32 v21, s26, v20, 0xbc7a590c
	s_waitcnt_depctr 0xfff
	v_cmp_gt_f32_e64 vcc_lo, 0x7f800000, |v22|
	v_fmaak_f32 v21, v20, v21, 0x3d29fb3f
	v_fmaak_f32 v21, v20, v21, 0xbd97d4d7
	s_delay_alu instid0(VALU_DEP_1) | instskip(NEXT) | instid1(VALU_DEP_1)
	v_fmaak_f32 v21, v20, v21, 0x3dd931b2
	v_fmaak_f32 v21, v20, v21, 0xbe1160e6
	s_delay_alu instid0(VALU_DEP_1) | instskip(NEXT) | instid1(VALU_DEP_1)
	;; [unrolled: 3-line block ×3, first 2 shown]
	v_dual_mul_f32 v20, v20, v21 :: v_dual_mul_f32 v21, 0x3f317217, v22
	v_fmac_f32_e32 v7, v7, v20
	s_delay_alu instid0(VALU_DEP_2) | instskip(NEXT) | instid1(VALU_DEP_1)
	v_fma_f32 v20, 0x3f317217, v22, -v21
	v_fmac_f32_e32 v20, 0x3377d1cf, v22
	s_delay_alu instid0(VALU_DEP_1) | instskip(NEXT) | instid1(VALU_DEP_1)
	v_dual_sub_f32 v23, 0x3fc90fdb, v7 :: v_dual_add_f32 v20, v21, v20
	v_cndmask_b32_e64 v7, v7, v23, s4
	v_cndmask_b32_e64 v21, 0, 0x40490fdb, s5
	v_cmp_eq_f32_e64 s5, 0, v12
	s_delay_alu instid0(VALU_DEP_3) | instskip(SKIP_1) | instid1(VALU_DEP_2)
	v_dual_cndmask_b32 v20, v22, v20 :: v_dual_sub_f32 v23, 0x40490fdb, v7
	v_cmp_gt_f32_e32 vcc_lo, 0, v11
                                        ; implicit-def: $vgpr22
	v_sub_f32_e32 v11, v20, v24
	s_delay_alu instid0(VALU_DEP_3) | instskip(NEXT) | instid1(VALU_DEP_1)
	v_cndmask_b32_e32 v7, v7, v23, vcc_lo
	v_cndmask_b32_e64 v20, v7, v21, s5
	v_cndmask_b32_e32 v21, 0x3f490fdb, v19, vcc_lo
	s_and_b32 vcc_lo, s8, s7
	s_delay_alu instid0(VALU_DEP_1)
	v_dual_mul_f32 v7, 0.5, v11 :: v_dual_cndmask_b32 v20, v20, v21
                                        ; implicit-def: $vgpr21
.LBB169_196:                            ;   in Loop: Header=BB169_145 Depth=1
	s_and_not1_saveexec_b32 s33, s6
	s_cbranch_execz .LBB169_200
; %bb.197:                              ;   in Loop: Header=BB169_145 Depth=1
	v_and_b32_e32 v23, 0x7fff0000, v21
	v_and_b32_e32 v20, 0x7fff0000, v22
	s_mov_b32 s34, 0
	s_delay_alu instid0(VALU_DEP_2) | instskip(SKIP_1) | instid1(VALU_DEP_3)
	v_sub_f32_e32 v24, v21, v23
	v_mul_f32_e32 v21, v23, v23
	v_mul_f32_e32 v7, v20, v20
	v_sub_f32_e32 v22, v22, v20
	s_delay_alu instid0(VALU_DEP_1) | instskip(NEXT) | instid1(VALU_DEP_1)
	v_dual_add_f32 v30, v23, v23 :: v_dual_and_b32 v25, 0xffff0000, v22
	v_dual_sub_f32 v23, v22, v25 :: v_dual_and_b32 v26, 0xffff0000, v24
	s_delay_alu instid0(VALU_DEP_1) | instskip(SKIP_2) | instid1(VALU_DEP_3)
	v_dual_add_f32 v27, v20, v20 :: v_dual_mul_f32 v20, v30, v26
	v_dual_sub_f32 v31, v24, v26 :: v_dual_mul_f32 v22, v25, v25
	v_add_f32_e32 v24, v25, v25
	v_dual_mul_f32 v29, v27, v25 :: v_dual_add_f32 v32, v26, v26
	v_dual_mul_f32 v28, v26, v26 :: v_dual_mul_f32 v25, v27, v23
	s_delay_alu instid0(VALU_DEP_4) | instskip(NEXT) | instid1(VALU_DEP_4)
	v_mul_f32_e32 v27, v30, v31
	v_mul_f32_e32 v26, v24, v23
	;; [unrolled: 1-line block ×5, first 2 shown]
.LBB169_198:                            ;   Parent Loop BB169_145 Depth=1
                                        ; =>  This Inner Loop Header: Depth=2
	v_cmp_nlt_f32_e32 vcc_lo, v7, v21
	s_delay_alu instid0(VALU_DEP_2) | instskip(SKIP_1) | instid1(VALU_DEP_2)
	v_dual_mov_b32 v32, v30 :: v_dual_cndmask_b32 v31, v7, v21
	v_cndmask_b32_e32 v7, v21, v7, vcc_lo
	v_cmp_nlt_f32_e64 s5, v31, v29
	s_delay_alu instid0(VALU_DEP_1) | instskip(SKIP_2) | instid1(VALU_DEP_2)
	v_cndmask_b32_e64 v30, v31, v29, s5
	v_cndmask_b32_e64 v21, v29, v31, s5
	s_and_b32 s35, vcc_lo, s5
	v_cmp_nlt_f32_e64 s6, v30, v20
	s_delay_alu instid0(VALU_DEP_1) | instskip(SKIP_1) | instid1(VALU_DEP_2)
	v_cndmask_b32_e64 v33, v30, v20, s6
	v_cndmask_b32_e64 v29, v20, v30, s6
	v_cmp_nlt_f32_e64 s7, v33, v22
	s_delay_alu instid0(VALU_DEP_1) | instskip(SKIP_2) | instid1(VALU_DEP_2)
	v_cndmask_b32_e64 v31, v33, v22, s7
	v_cndmask_b32_e64 v20, v22, v33, s7
	s_and_b32 s36, s6, s7
	v_cmp_nlt_f32_e64 s8, v31, v28
	s_delay_alu instid0(VALU_DEP_1) | instskip(SKIP_1) | instid1(VALU_DEP_2)
	v_cndmask_b32_e64 v34, v31, v28, s8
	v_cndmask_b32_e64 v22, v28, v31, s8
	v_cmp_nlt_f32_e64 s9, v34, v25
	s_delay_alu instid0(VALU_DEP_1) | instskip(SKIP_2) | instid1(VALU_DEP_2)
	v_cndmask_b32_e64 v35, v34, v25, s9
	s_and_b32 s7, s8, s9
	v_cndmask_b32_e64 v28, v25, v34, s9
	v_cmp_nlt_f32_e64 s10, v35, v27
	s_delay_alu instid0(VALU_DEP_1) | instskip(SKIP_2) | instid1(VALU_DEP_2)
	v_cndmask_b32_e64 v36, v35, v27, s10
	s_and_b32 s7, s7, s10
	v_cndmask_b32_e64 v25, v27, v35, s10
	v_cmp_nlt_f32_e32 vcc_lo, v36, v26
	v_cndmask_b32_e32 v37, v36, v26, vcc_lo
	s_and_b32 s8, s7, vcc_lo
	v_cndmask_b32_e32 v27, v26, v36, vcc_lo
	s_delay_alu instid0(VALU_DEP_2) | instskip(NEXT) | instid1(VALU_DEP_1)
	v_cmp_nlt_f32_e64 s5, v37, v24
	v_cndmask_b32_e64 v33, v37, v24, s5
	s_and_b32 s8, s8, s5
	v_cndmask_b32_e64 v26, v24, v37, s5
	s_delay_alu instid0(VALU_DEP_2) | instskip(NEXT) | instid1(VALU_DEP_1)
	v_cmp_nlt_f32_e64 s6, v33, v23
	v_cndmask_b32_e64 v31, v33, v23, s6
	s_and_b32 s8, s8, s6
	v_cndmask_b32_e64 v24, v23, v33, s6
	s_delay_alu instid0(VALU_DEP_2) | instskip(NEXT) | instid1(VALU_DEP_1)
	v_cmp_nlt_f32_e64 s7, v31, v32
	s_and_b32 s8, s8, s7
	v_cndmask_b32_e64 v30, v31, v32, s7
	s_and_b32 s5, s8, s36
	v_cndmask_b32_e64 v23, v32, v31, s7
	s_and_b32 s5, s5, s35
	s_delay_alu instid0(SALU_CYCLE_1) | instskip(NEXT) | instid1(SALU_CYCLE_1)
	s_and_b32 s5, exec_lo, s5
	s_or_b32 s34, s5, s34
	s_delay_alu instid0(SALU_CYCLE_1)
	s_and_not1_b32 exec_lo, exec_lo, s34
	s_cbranch_execnz .LBB169_198
; %bb.199:                              ;   in Loop: Header=BB169_145 Depth=1
	s_or_b32 exec_lo, exec_lo, s34
	v_add_f32_e32 v7, -1.0, v7
	v_cmp_class_f32_e64 s6, v11, 0x204
	s_delay_alu instid0(VALU_DEP_2) | instskip(NEXT) | instid1(VALU_DEP_1)
	v_add_f32_e32 v7, v7, v21
	v_add_f32_e32 v7, v7, v29
	s_delay_alu instid0(VALU_DEP_1) | instskip(NEXT) | instid1(VALU_DEP_1)
	v_add_f32_e32 v7, v7, v20
	v_add_f32_e32 v7, v7, v22
	s_delay_alu instid0(VALU_DEP_1) | instskip(NEXT) | instid1(VALU_DEP_1)
	;; [unrolled: 3-line block ×5, first 2 shown]
	v_add_f32_e32 v7, v30, v7
	v_add_f32_e32 v22, 1.0, v7
	s_delay_alu instid0(VALU_DEP_1) | instskip(NEXT) | instid1(VALU_DEP_1)
	v_cvt_f64_f32_e32 v[20:21], v22
	v_frexp_exp_i32_f64_e32 v20, v[20:21]
	v_frexp_mant_f32_e32 v21, v22
	s_delay_alu instid0(VALU_DEP_1) | instskip(SKIP_1) | instid1(VALU_DEP_1)
	v_cmp_gt_f32_e32 vcc_lo, 0x3f2aaaab, v21
	v_add_f32_e32 v21, -1.0, v22
	v_dual_sub_f32 v24, v21, v22 :: v_dual_sub_f32 v21, v7, v21
	s_delay_alu instid0(VALU_DEP_1) | instskip(NEXT) | instid1(VALU_DEP_1)
	v_add_f32_e32 v24, 1.0, v24
	v_add_f32_e32 v21, v21, v24
	v_subrev_co_ci_u32_e32 v20, vcc_lo, 0, v20, vcc_lo
	s_delay_alu instid0(VALU_DEP_1) | instskip(SKIP_1) | instid1(VALU_DEP_2)
	v_sub_nc_u32_e32 v23, 0, v20
	v_cvt_f32_i32_e32 v20, v20
	v_ldexp_f32 v22, v22, v23
	v_ldexp_f32 v21, v21, v23
	s_delay_alu instid0(VALU_DEP_2) | instskip(NEXT) | instid1(VALU_DEP_1)
	v_add_f32_e32 v25, 1.0, v22
	v_dual_add_f32 v23, -1.0, v22 :: v_dual_add_f32 v24, -1.0, v25
	s_delay_alu instid0(VALU_DEP_1) | instskip(NEXT) | instid1(VALU_DEP_2)
	v_add_f32_e32 v26, 1.0, v23
	v_sub_f32_e32 v24, v22, v24
	s_delay_alu instid0(VALU_DEP_2) | instskip(NEXT) | instid1(VALU_DEP_2)
	v_sub_f32_e32 v22, v22, v26
	v_add_f32_e32 v24, v21, v24
	s_delay_alu instid0(VALU_DEP_2) | instskip(NEXT) | instid1(VALU_DEP_1)
	v_add_f32_e32 v21, v21, v22
	v_dual_add_f32 v26, v25, v24 :: v_dual_add_f32 v27, v23, v21
	s_delay_alu instid0(VALU_DEP_1) | instskip(SKIP_1) | instid1(VALU_DEP_1)
	v_rcp_f32_e32 v22, v26
	v_sub_f32_e32 v25, v26, v25
	v_dual_sub_f32 v23, v27, v23 :: v_dual_sub_f32 v24, v24, v25
	s_waitcnt_depctr 0xfff
	v_dual_sub_f32 v21, v21, v23 :: v_dual_mul_f32 v28, v27, v22
	v_cmp_eq_f32_e32 vcc_lo, 0x7f800000, v7
	v_cmp_neq_f32_e64 s5, -1.0, v7
	s_delay_alu instid0(VALU_DEP_3) | instskip(NEXT) | instid1(VALU_DEP_1)
	v_mul_f32_e32 v29, v26, v28
	v_fma_f32 v25, v28, v26, -v29
	s_delay_alu instid0(VALU_DEP_1) | instskip(NEXT) | instid1(VALU_DEP_1)
	v_fmac_f32_e32 v25, v28, v24
	v_add_f32_e32 v30, v29, v25
	s_delay_alu instid0(VALU_DEP_1) | instskip(SKIP_1) | instid1(VALU_DEP_2)
	v_sub_f32_e32 v31, v27, v30
	v_sub_f32_e32 v23, v30, v29
	;; [unrolled: 1-line block ×3, first 2 shown]
	s_delay_alu instid0(VALU_DEP_2) | instskip(NEXT) | instid1(VALU_DEP_2)
	v_sub_f32_e32 v23, v23, v25
	v_sub_f32_e32 v27, v27, v30
	s_delay_alu instid0(VALU_DEP_1) | instskip(NEXT) | instid1(VALU_DEP_1)
	v_add_f32_e32 v21, v21, v27
	v_add_f32_e32 v21, v23, v21
	s_delay_alu instid0(VALU_DEP_1) | instskip(NEXT) | instid1(VALU_DEP_1)
	v_add_f32_e32 v23, v31, v21
	v_mul_f32_e32 v25, v22, v23
	s_delay_alu instid0(VALU_DEP_1) | instskip(NEXT) | instid1(VALU_DEP_1)
	v_dual_sub_f32 v30, v31, v23 :: v_dual_mul_f32 v27, v26, v25
	v_add_f32_e32 v21, v21, v30
	s_delay_alu instid0(VALU_DEP_2) | instskip(NEXT) | instid1(VALU_DEP_1)
	v_fma_f32 v26, v25, v26, -v27
	v_fmac_f32_e32 v26, v25, v24
	s_delay_alu instid0(VALU_DEP_1) | instskip(NEXT) | instid1(VALU_DEP_1)
	v_add_f32_e32 v24, v27, v26
	v_sub_f32_e32 v29, v23, v24
	v_sub_f32_e32 v27, v24, v27
	s_delay_alu instid0(VALU_DEP_2) | instskip(NEXT) | instid1(VALU_DEP_1)
	v_sub_f32_e32 v23, v23, v29
	v_sub_f32_e32 v23, v23, v24
	s_delay_alu instid0(VALU_DEP_3) | instskip(SKIP_1) | instid1(VALU_DEP_3)
	v_sub_f32_e32 v24, v27, v26
	v_max_f32_e64 v26, |v12|, |v12|
	v_add_f32_e32 v21, v21, v23
	v_add_f32_e32 v23, v28, v25
	s_delay_alu instid0(VALU_DEP_1) | instskip(NEXT) | instid1(VALU_DEP_1)
	v_dual_add_f32 v21, v24, v21 :: v_dual_sub_f32 v24, v23, v28
	v_add_f32_e32 v21, v29, v21
	s_delay_alu instid0(VALU_DEP_2) | instskip(SKIP_1) | instid1(VALU_DEP_3)
	v_sub_f32_e32 v24, v25, v24
	v_mul_f32_e32 v29, 0x3f317218, v20
	v_mul_f32_e32 v21, v22, v21
	s_delay_alu instid0(VALU_DEP_2) | instskip(NEXT) | instid1(VALU_DEP_1)
	v_fma_f32 v30, 0x3f317218, v20, -v29
	v_dual_add_f32 v21, v24, v21 :: v_dual_fmac_f32 v30, 0xb102e308, v20
	s_delay_alu instid0(VALU_DEP_1) | instskip(NEXT) | instid1(VALU_DEP_1)
	v_add_f32_e32 v22, v23, v21
	v_mul_f32_e32 v24, v22, v22
	v_ldexp_f32 v28, v22, 1
	s_delay_alu instid0(VALU_DEP_2) | instskip(SKIP_2) | instid1(VALU_DEP_3)
	v_fmaak_f32 v25, s21, v24, 0x3ecc95a3
	v_mul_f32_e32 v27, v22, v24
	v_sub_f32_e32 v22, v22, v23
	v_fmaak_f32 v24, v24, v25, 0x3f2aaada
	v_max_f32_e64 v25, |v11|, |v11|
	s_delay_alu instid0(VALU_DEP_2) | instskip(NEXT) | instid1(VALU_DEP_2)
	v_dual_sub_f32 v21, v21, v22 :: v_dual_mul_f32 v24, v27, v24
	v_max_f32_e32 v27, v25, v26
	v_min_f32_e32 v25, v25, v26
	s_delay_alu instid0(VALU_DEP_3) | instskip(NEXT) | instid1(VALU_DEP_4)
	v_ldexp_f32 v21, v21, 1
	v_add_f32_e32 v23, v28, v24
	s_delay_alu instid0(VALU_DEP_4) | instskip(SKIP_1) | instid1(VALU_DEP_3)
	v_frexp_mant_f32_e32 v26, v27
	v_frexp_exp_i32_f32_e32 v27, v27
	v_sub_f32_e32 v22, v23, v28
	s_delay_alu instid0(VALU_DEP_3) | instskip(SKIP_1) | instid1(VALU_DEP_2)
	v_rcp_f32_e32 v26, v26
	v_frexp_exp_i32_f32_e32 v28, v25
	v_sub_f32_e32 v22, v24, v22
	v_frexp_mant_f32_e32 v24, v25
	s_delay_alu instid0(VALU_DEP_3) | instskip(NEXT) | instid1(VALU_DEP_3)
	v_sub_nc_u32_e32 v25, v28, v27
	v_add_f32_e32 v20, v21, v22
	s_waitcnt_depctr 0xfff
	v_mul_f32_e32 v21, v24, v26
	v_add_f32_e32 v22, v29, v30
	v_add_f32_e32 v24, v23, v20
	s_delay_alu instid0(VALU_DEP_3) | instskip(NEXT) | instid1(VALU_DEP_3)
	v_ldexp_f32 v21, v21, v25
	v_sub_f32_e32 v29, v22, v29
	s_delay_alu instid0(VALU_DEP_2) | instskip(SKIP_1) | instid1(VALU_DEP_3)
	v_dual_add_f32 v25, v22, v24 :: v_dual_mul_f32 v26, v21, v21
	v_sub_f32_e32 v23, v24, v23
	v_sub_f32_e32 v29, v30, v29
	s_delay_alu instid0(VALU_DEP_3) | instskip(NEXT) | instid1(VALU_DEP_4)
	v_sub_f32_e32 v27, v25, v22
	v_fmaak_f32 v28, s26, v26, 0xbc7a590c
	s_delay_alu instid0(VALU_DEP_4) | instskip(NEXT) | instid1(VALU_DEP_2)
	v_sub_f32_e32 v20, v20, v23
	v_dual_sub_f32 v31, v25, v27 :: v_dual_fmaak_f32 v28, v26, v28, 0x3d29fb3f
	v_sub_f32_e32 v23, v24, v27
	s_delay_alu instid0(VALU_DEP_2) | instskip(NEXT) | instid1(VALU_DEP_3)
	v_dual_add_f32 v27, v29, v20 :: v_dual_sub_f32 v22, v22, v31
	v_fmaak_f32 v24, v26, v28, 0xbd97d4d7
	s_delay_alu instid0(VALU_DEP_1) | instskip(NEXT) | instid1(VALU_DEP_3)
	v_dual_add_f32 v22, v23, v22 :: v_dual_fmaak_f32 v23, v26, v24, 0x3dd931b2
	v_sub_f32_e32 v24, v27, v29
	s_delay_alu instid0(VALU_DEP_2) | instskip(NEXT) | instid1(VALU_DEP_2)
	v_dual_add_f32 v22, v27, v22 :: v_dual_fmaak_f32 v23, v26, v23, 0xbe1160e6
	v_sub_f32_e32 v27, v27, v24
	v_sub_f32_e32 v20, v20, v24
	s_delay_alu instid0(VALU_DEP_3) | instskip(NEXT) | instid1(VALU_DEP_1)
	v_dual_add_f32 v28, v25, v22 :: v_dual_fmaak_f32 v23, v26, v23, 0x3e4cb8bf
	v_dual_sub_f32 v24, v29, v27 :: v_dual_sub_f32 v25, v28, v25
	s_delay_alu instid0(VALU_DEP_1) | instskip(NEXT) | instid1(VALU_DEP_2)
	v_dual_fmaak_f32 v23, v26, v23, 0xbeaaaa62 :: v_dual_add_f32 v20, v20, v24
	v_sub_f32_e32 v22, v22, v25
	s_delay_alu instid0(VALU_DEP_1) | instskip(NEXT) | instid1(VALU_DEP_1)
	v_dual_mul_f32 v23, v26, v23 :: v_dual_add_f32 v20, v20, v22
	v_dual_fmac_f32 v21, v21, v23 :: v_dual_add_f32 v20, v28, v20
	s_delay_alu instid0(VALU_DEP_1) | instskip(NEXT) | instid1(VALU_DEP_2)
	v_sub_f32_e32 v22, 0x3fc90fdb, v21
	v_cndmask_b32_e32 v20, v20, v7, vcc_lo
	v_cmp_gt_i32_e32 vcc_lo, 0, v11
	s_delay_alu instid0(VALU_DEP_3) | instskip(SKIP_2) | instid1(VALU_DEP_3)
	v_cndmask_b32_e64 v21, v21, v22, s4
	v_cndmask_b32_e64 v22, 0, 0x40490fdb, vcc_lo
	v_cmp_ngt_f32_e32 vcc_lo, -1.0, v7
	v_sub_f32_e32 v23, 0x40490fdb, v21
	v_cndmask_b32_e32 v20, 0x7fc00000, v20, vcc_lo
	v_cmp_gt_f32_e32 vcc_lo, 0, v11
	s_delay_alu instid0(VALU_DEP_2) | instskip(NEXT) | instid1(VALU_DEP_4)
	v_cndmask_b32_e64 v11, 0xff800000, v20, s5
	v_cndmask_b32_e32 v20, v21, v23, vcc_lo
	v_cndmask_b32_e32 v21, 0x3f490fdb, v19, vcc_lo
	v_cmp_gt_f32_e64 vcc_lo, 0x33800000, |v7|
	v_cmp_class_f32_e64 s5, v12, 0x204
	v_cndmask_b32_e32 v7, v11, v7, vcc_lo
	v_cmp_eq_f32_e32 vcc_lo, 0, v12
	s_delay_alu instid0(VALU_DEP_2) | instskip(SKIP_2) | instid1(VALU_DEP_1)
	v_mul_f32_e32 v7, 0.5, v7
	v_cndmask_b32_e32 v11, v20, v22, vcc_lo
	s_and_b32 vcc_lo, s5, s6
	v_cndmask_b32_e32 v20, v11, v21, vcc_lo
.LBB169_200:                            ;   in Loop: Header=BB169_145 Depth=1
	s_or_b32 exec_lo, exec_lo, s33
.LBB169_201:                            ;   in Loop: Header=BB169_145 Depth=1
	s_delay_alu instid0(SALU_CYCLE_1)
	s_or_b32 exec_lo, exec_lo, s31
.LBB169_202:                            ;   in Loop: Header=BB169_145 Depth=1
	s_and_not1_saveexec_b32 s6, s30
	s_cbranch_execz .LBB169_204
; %bb.203:                              ;   in Loop: Header=BB169_145 Depth=1
	v_max_f32_e64 v7, |v12|, |v12|
	v_max_f32_e64 v22, |v11|, |v11|
	v_cmp_gt_i32_e64 s5, 0, v11
	v_cmp_class_f32_e64 s7, v11, 0x204
	v_cmp_class_f32_e64 s8, v12, 0x204
	s_delay_alu instid0(VALU_DEP_4) | instskip(SKIP_1) | instid1(VALU_DEP_2)
	v_max_f32_e32 v23, v22, v7
	v_min_f32_e32 v7, v22, v7
	v_cvt_f64_f32_e32 v[20:21], v23
	v_frexp_exp_i32_f32_e32 v22, v23
	s_delay_alu instid0(VALU_DEP_3) | instskip(SKIP_1) | instid1(VALU_DEP_2)
	v_frexp_exp_i32_f32_e32 v24, v7
	v_frexp_mant_f32_e32 v7, v7
	v_sub_nc_u32_e32 v22, v24, v22
	v_frexp_exp_i32_f64_e32 v20, v[20:21]
	v_frexp_mant_f32_e32 v21, v23
	s_delay_alu instid0(VALU_DEP_1) | instskip(SKIP_2) | instid1(VALU_DEP_1)
	v_rcp_f32_e32 v21, v21
	s_waitcnt_depctr 0xfff
	v_mul_f32_e32 v7, v7, v21
	v_ldexp_f32 v7, v7, v22
	s_delay_alu instid0(VALU_DEP_1) | instskip(SKIP_1) | instid1(VALU_DEP_1)
	v_mul_f32_e32 v24, v7, v7
	v_sub_nc_u32_e32 v25, 0, v20
	v_ldexp_f32 v21, |v12|, v25
	v_ldexp_f32 v22, |v11|, v25
	s_delay_alu instid0(VALU_DEP_2) | instskip(NEXT) | instid1(VALU_DEP_1)
	v_mul_f32_e32 v21, v21, v21
	v_dual_fmac_f32 v21, v22, v22 :: v_dual_fmaak_f32 v22, s26, v24, 0xbc7a590c
	v_cmp_neq_f32_e32 vcc_lo, 0x7f800000, v23
	s_delay_alu instid0(VALU_DEP_2) | instskip(NEXT) | instid1(VALU_DEP_2)
	v_sqrt_f32_e32 v21, v21
	v_fmaak_f32 v22, v24, v22, 0x3d29fb3f
	s_delay_alu instid0(VALU_DEP_1) | instskip(SKIP_3) | instid1(VALU_DEP_2)
	v_fmaak_f32 v22, v24, v22, 0xbd97d4d7
	s_waitcnt_depctr 0xfff
	v_ldexp_f32 v20, v21, v20
	v_fmaak_f32 v21, v24, v22, 0x3dd931b2
	v_cndmask_b32_e32 v20, 0x7f800000, v20, vcc_lo
	s_delay_alu instid0(VALU_DEP_2) | instskip(NEXT) | instid1(VALU_DEP_2)
	v_fmaak_f32 v21, v24, v21, 0xbe1160e6
	v_cmp_gt_f32_e32 vcc_lo, 0x800000, v20
	s_delay_alu instid0(VALU_DEP_2) | instskip(SKIP_1) | instid1(VALU_DEP_2)
	v_fmaak_f32 v21, v24, v21, 0x3e4cb8bf
	v_cndmask_b32_e64 v22, 1.0, 0x4f800000, vcc_lo
	v_fmaak_f32 v21, v24, v21, 0xbeaaaa62
	s_delay_alu instid0(VALU_DEP_1) | instskip(NEXT) | instid1(VALU_DEP_1)
	v_mul_f32_e32 v21, v24, v21
	v_dual_mul_f32 v20, v20, v22 :: v_dual_fmac_f32 v7, v7, v21
	s_delay_alu instid0(VALU_DEP_1) | instskip(NEXT) | instid1(VALU_DEP_1)
	v_log_f32_e32 v20, v20
	v_sub_f32_e32 v22, 0x3fc90fdb, v7
	s_delay_alu instid0(VALU_DEP_1)
	v_cndmask_b32_e64 v7, v7, v22, s4
	s_waitcnt_depctr 0xfff
	v_mul_f32_e32 v21, 0x3f317217, v20
	v_cndmask_b32_e64 v22, 0, 0x40490fdb, s5
	v_cmp_gt_f32_e64 s5, 0, v11
	v_sub_f32_e32 v24, 0x40490fdb, v7
	s_delay_alu instid0(VALU_DEP_4) | instskip(NEXT) | instid1(VALU_DEP_2)
	v_fma_f32 v23, 0x3f317217, v20, -v21
	v_cndmask_b32_e64 v7, v7, v24, s5
	s_delay_alu instid0(VALU_DEP_2) | instskip(NEXT) | instid1(VALU_DEP_1)
	v_fmac_f32_e32 v23, 0x3377d1cf, v20
	v_add_f32_e32 v11, v21, v23
	v_cndmask_b32_e64 v23, 0, 0x41b17218, vcc_lo
	v_cmp_gt_f32_e64 vcc_lo, 0x7f800000, |v20|
	v_cndmask_b32_e64 v21, 0x3f490fdb, v19, s5
	s_delay_alu instid0(VALU_DEP_4) | instskip(SKIP_3) | instid1(VALU_DEP_1)
	v_cndmask_b32_e32 v11, v20, v11, vcc_lo
	v_cmp_eq_f32_e32 vcc_lo, 0, v12
	v_cndmask_b32_e32 v20, v7, v22, vcc_lo
	s_and_b32 vcc_lo, s8, s7
	v_dual_sub_f32 v7, v11, v23 :: v_dual_cndmask_b32 v20, v20, v21
.LBB169_204:                            ;   in Loop: Header=BB169_145 Depth=1
	s_or_b32 exec_lo, exec_lo, s6
                                        ; implicit-def: $vgpr21
.LBB169_205:                            ;   in Loop: Header=BB169_145 Depth=1
	s_and_not1_saveexec_b32 s6, s29
	s_cbranch_execz .LBB169_211
; %bb.206:                              ;   in Loop: Header=BB169_145 Depth=1
                                        ; implicit-def: $vgpr7
                                        ; implicit-def: $vgpr20
	s_mov_b32 s5, exec_lo
	v_cmpx_ngt_f32_e32 0x1fec1e4a, v21
	s_xor_b32 s7, exec_lo, s5
	s_cbranch_execz .LBB169_208
; %bb.207:                              ;   in Loop: Header=BB169_145 Depth=1
	v_mul_f32_e32 v7, v21, v21
	v_cmp_class_f32_e64 s8, v11, 0x204
	v_cmp_gt_f32_e64 s5, 0, v11
	v_cmp_class_f32_e64 s10, v12, 0x204
	s_delay_alu instid0(VALU_DEP_4) | instskip(NEXT) | instid1(VALU_DEP_1)
	v_add_f32_e32 v22, 1.0, v7
	v_cvt_f64_f32_e32 v[20:21], v22
	s_delay_alu instid0(VALU_DEP_1) | instskip(SKIP_1) | instid1(VALU_DEP_1)
	v_frexp_exp_i32_f64_e32 v20, v[20:21]
	v_frexp_mant_f32_e32 v21, v22
	v_cmp_gt_f32_e32 vcc_lo, 0x3f2aaaab, v21
	v_add_f32_e32 v21, -1.0, v22
	s_delay_alu instid0(VALU_DEP_1) | instskip(NEXT) | instid1(VALU_DEP_1)
	v_sub_f32_e32 v24, v21, v22
	v_dual_add_f32 v24, 1.0, v24 :: v_dual_sub_f32 v21, v7, v21
	v_cmp_gt_f32_e64 s9, 0x33800000, |v7|
	s_delay_alu instid0(VALU_DEP_2) | instskip(SKIP_2) | instid1(VALU_DEP_2)
	v_add_f32_e32 v21, v21, v24
	v_subrev_co_ci_u32_e32 v20, vcc_lo, 0, v20, vcc_lo
	v_cmp_gt_i32_e32 vcc_lo, 0, v11
	v_sub_nc_u32_e32 v23, 0, v20
	v_cvt_f32_i32_e32 v20, v20
	s_delay_alu instid0(VALU_DEP_2) | instskip(SKIP_1) | instid1(VALU_DEP_2)
	v_ldexp_f32 v22, v22, v23
	v_ldexp_f32 v21, v21, v23
	v_add_f32_e32 v25, 1.0, v22
	s_delay_alu instid0(VALU_DEP_1) | instskip(NEXT) | instid1(VALU_DEP_1)
	v_add_f32_e32 v24, -1.0, v25
	v_dual_sub_f32 v24, v22, v24 :: v_dual_add_f32 v23, -1.0, v22
	s_delay_alu instid0(VALU_DEP_1) | instskip(NEXT) | instid1(VALU_DEP_2)
	v_add_f32_e32 v24, v21, v24
	v_add_f32_e32 v26, 1.0, v23
	s_delay_alu instid0(VALU_DEP_1) | instskip(NEXT) | instid1(VALU_DEP_1)
	v_sub_f32_e32 v22, v22, v26
	v_add_f32_e32 v21, v21, v22
	s_delay_alu instid0(VALU_DEP_1) | instskip(NEXT) | instid1(VALU_DEP_1)
	v_dual_add_f32 v27, v23, v21 :: v_dual_add_f32 v26, v25, v24
	v_rcp_f32_e32 v22, v26
	v_sub_f32_e32 v25, v25, v26
	s_delay_alu instid0(VALU_DEP_1) | instskip(SKIP_2) | instid1(VALU_DEP_1)
	v_dual_add_f32 v24, v24, v25 :: v_dual_sub_f32 v23, v23, v27
	s_waitcnt_depctr 0xfff
	v_dual_mul_f32 v28, v27, v22 :: v_dual_add_f32 v21, v21, v23
	v_mul_f32_e32 v29, v26, v28
	s_delay_alu instid0(VALU_DEP_1) | instskip(NEXT) | instid1(VALU_DEP_1)
	v_fma_f32 v25, v28, v26, -v29
	v_fmac_f32_e32 v25, v28, v24
	s_delay_alu instid0(VALU_DEP_1) | instskip(NEXT) | instid1(VALU_DEP_1)
	v_add_f32_e32 v30, v29, v25
	v_sub_f32_e32 v31, v27, v30
	s_delay_alu instid0(VALU_DEP_1) | instskip(SKIP_1) | instid1(VALU_DEP_2)
	v_sub_f32_e32 v27, v27, v31
	v_sub_f32_e32 v23, v30, v29
	;; [unrolled: 1-line block ×3, first 2 shown]
	s_delay_alu instid0(VALU_DEP_2) | instskip(NEXT) | instid1(VALU_DEP_2)
	v_sub_f32_e32 v23, v23, v25
	v_add_f32_e32 v21, v21, v27
	s_delay_alu instid0(VALU_DEP_1) | instskip(NEXT) | instid1(VALU_DEP_1)
	v_add_f32_e32 v21, v23, v21
	v_add_f32_e32 v23, v31, v21
	s_delay_alu instid0(VALU_DEP_1) | instskip(NEXT) | instid1(VALU_DEP_1)
	v_mul_f32_e32 v25, v22, v23
	v_dual_sub_f32 v30, v31, v23 :: v_dual_mul_f32 v27, v26, v25
	s_delay_alu instid0(VALU_DEP_1) | instskip(NEXT) | instid1(VALU_DEP_2)
	v_add_f32_e32 v21, v21, v30
	v_fma_f32 v26, v25, v26, -v27
	s_delay_alu instid0(VALU_DEP_1) | instskip(NEXT) | instid1(VALU_DEP_1)
	v_fmac_f32_e32 v26, v25, v24
	v_add_f32_e32 v24, v27, v26
	s_delay_alu instid0(VALU_DEP_1) | instskip(SKIP_1) | instid1(VALU_DEP_2)
	v_sub_f32_e32 v29, v23, v24
	v_sub_f32_e32 v27, v24, v27
	;; [unrolled: 1-line block ×3, first 2 shown]
	s_delay_alu instid0(VALU_DEP_1) | instskip(NEXT) | instid1(VALU_DEP_1)
	v_sub_f32_e32 v23, v23, v24
	v_dual_sub_f32 v24, v27, v26 :: v_dual_add_f32 v21, v21, v23
	v_add_f32_e32 v23, v28, v25
	s_delay_alu instid0(VALU_DEP_1) | instskip(NEXT) | instid1(VALU_DEP_1)
	v_dual_add_f32 v21, v24, v21 :: v_dual_sub_f32 v24, v23, v28
	v_add_f32_e32 v21, v29, v21
	s_delay_alu instid0(VALU_DEP_2) | instskip(SKIP_1) | instid1(VALU_DEP_3)
	v_sub_f32_e32 v24, v25, v24
	v_max_f32_e64 v25, |v11|, |v11|
	v_mul_f32_e32 v21, v22, v21
	v_max_f32_e64 v22, |v12|, |v12|
	s_delay_alu instid0(VALU_DEP_2) | instskip(NEXT) | instid1(VALU_DEP_2)
	v_add_f32_e32 v21, v24, v21
	v_max_f32_e32 v27, v25, v22
	v_min_f32_e32 v22, v25, v22
	s_delay_alu instid0(VALU_DEP_3) | instskip(NEXT) | instid1(VALU_DEP_3)
	v_add_f32_e32 v24, v23, v21
	v_frexp_mant_f32_e32 v29, v27
	v_frexp_exp_i32_f32_e32 v25, v27
	s_delay_alu instid0(VALU_DEP_3) | instskip(SKIP_1) | instid1(VALU_DEP_2)
	v_mul_f32_e32 v26, v24, v24
	v_ldexp_f32 v30, v24, 1
	v_dual_sub_f32 v23, v24, v23 :: v_dual_fmaak_f32 v28, s21, v26, 0x3ecc95a3
	v_mul_f32_e32 v27, v24, v26
	s_delay_alu instid0(VALU_DEP_2) | instskip(SKIP_3) | instid1(VALU_DEP_3)
	v_dual_sub_f32 v21, v21, v23 :: v_dual_fmaak_f32 v26, v26, v28, 0x3f2aaada
	v_rcp_f32_e32 v28, v29
	v_frexp_exp_i32_f32_e32 v29, v22
	v_frexp_mant_f32_e32 v22, v22
	v_ldexp_f32 v21, v21, 1
	v_dual_mul_f32 v26, v27, v26 :: v_dual_mul_f32 v27, 0x3f317218, v20
	s_delay_alu instid0(VALU_DEP_4) | instskip(NEXT) | instid1(VALU_DEP_2)
	v_sub_nc_u32_e32 v25, v29, v25
	v_add_f32_e32 v24, v30, v26
	s_delay_alu instid0(TRANS32_DEP_1) | instid1(VALU_DEP_1)
	v_dual_mul_f32 v22, v22, v28 :: v_dual_sub_f32 v23, v24, v30
	s_delay_alu instid0(VALU_DEP_1) | instskip(SKIP_1) | instid1(VALU_DEP_3)
	v_ldexp_f32 v22, v22, v25
	v_fma_f32 v25, 0x3f317218, v20, -v27
	v_sub_f32_e32 v23, v26, v23
	s_delay_alu instid0(VALU_DEP_2) | instskip(NEXT) | instid1(VALU_DEP_1)
	v_dual_mul_f32 v26, v22, v22 :: v_dual_fmac_f32 v25, 0xb102e308, v20
	v_dual_add_f32 v20, v21, v23 :: v_dual_fmaak_f32 v21, s26, v26, 0xbc7a590c
	s_delay_alu instid0(VALU_DEP_1) | instskip(NEXT) | instid1(VALU_DEP_2)
	v_dual_add_f32 v23, v27, v25 :: v_dual_add_f32 v28, v24, v20
	v_fmaak_f32 v21, v26, v21, 0x3d29fb3f
	s_delay_alu instid0(VALU_DEP_2) | instskip(NEXT) | instid1(VALU_DEP_3)
	v_sub_f32_e32 v27, v23, v27
	v_add_f32_e32 v29, v23, v28
	s_delay_alu instid0(VALU_DEP_3) | instskip(NEXT) | instid1(VALU_DEP_3)
	v_dual_fmaak_f32 v21, v26, v21, 0xbd97d4d7 :: v_dual_sub_f32 v24, v28, v24
	v_sub_f32_e32 v25, v25, v27
	s_delay_alu instid0(VALU_DEP_2) | instskip(NEXT) | instid1(VALU_DEP_1)
	v_dual_sub_f32 v30, v29, v23 :: v_dual_fmaak_f32 v21, v26, v21, 0x3dd931b2
	v_dual_sub_f32 v20, v20, v24 :: v_dual_sub_f32 v31, v29, v30
	s_delay_alu instid0(VALU_DEP_2) | instskip(NEXT) | instid1(VALU_DEP_2)
	v_dual_fmaak_f32 v21, v26, v21, 0xbe1160e6 :: v_dual_sub_f32 v24, v28, v30
	v_add_f32_e32 v27, v25, v20
	s_delay_alu instid0(VALU_DEP_3) | instskip(NEXT) | instid1(VALU_DEP_3)
	v_sub_f32_e32 v23, v23, v31
	v_fmaak_f32 v21, v26, v21, 0x3e4cb8bf
	s_delay_alu instid0(VALU_DEP_2) | instskip(NEXT) | instid1(VALU_DEP_2)
	v_add_f32_e32 v23, v24, v23
	v_fmaak_f32 v21, v26, v21, 0xbeaaaa62
	v_sub_f32_e32 v24, v27, v25
	s_delay_alu instid0(VALU_DEP_3) | instskip(NEXT) | instid1(VALU_DEP_2)
	v_add_f32_e32 v23, v27, v23
	v_dual_mul_f32 v21, v26, v21 :: v_dual_sub_f32 v26, v27, v24
	s_delay_alu instid0(VALU_DEP_2) | instskip(NEXT) | instid1(VALU_DEP_2)
	v_dual_sub_f32 v20, v20, v24 :: v_dual_add_f32 v27, v29, v23
	v_dual_fmac_f32 v22, v22, v21 :: v_dual_sub_f32 v21, v25, v26
	s_delay_alu instid0(VALU_DEP_1) | instskip(NEXT) | instid1(VALU_DEP_1)
	v_dual_sub_f32 v24, v27, v29 :: v_dual_sub_f32 v25, 0x3fc90fdb, v22
	v_dual_add_f32 v20, v20, v21 :: v_dual_sub_f32 v21, v23, v24
	s_delay_alu instid0(VALU_DEP_2) | instskip(SKIP_2) | instid1(VALU_DEP_3)
	v_cndmask_b32_e64 v22, v22, v25, s4
	v_cndmask_b32_e64 v23, 0, 0x40490fdb, vcc_lo
	v_cmp_eq_f32_e32 vcc_lo, 0x7f800000, v7
	v_dual_add_f32 v20, v20, v21 :: v_dual_sub_f32 v21, 0x40490fdb, v22
	s_or_b32 vcc_lo, vcc_lo, s9
	s_delay_alu instid0(VALU_DEP_1) | instskip(NEXT) | instid1(VALU_DEP_2)
	v_add_f32_e32 v11, v27, v20
	v_cndmask_b32_e64 v20, v22, v21, s5
	v_cndmask_b32_e64 v21, 0x3f490fdb, v19, s5
	s_delay_alu instid0(VALU_DEP_3) | instskip(SKIP_1) | instid1(VALU_DEP_2)
	v_cndmask_b32_e32 v7, v11, v7, vcc_lo
	v_cmp_eq_f32_e32 vcc_lo, 0, v12
	v_mul_f32_e32 v7, 0.5, v7
	v_cndmask_b32_e32 v11, v20, v23, vcc_lo
	s_and_b32 vcc_lo, s10, s8
	s_delay_alu instid0(VALU_DEP_1)
	v_cndmask_b32_e32 v20, v11, v21, vcc_lo
                                        ; implicit-def: $vgpr21
.LBB169_208:                            ;   in Loop: Header=BB169_145 Depth=1
	s_and_not1_saveexec_b32 s7, s7
	s_cbranch_execz .LBB169_210
; %bb.209:                              ;   in Loop: Header=BB169_145 Depth=1
	v_max_f32_e64 v7, |v12|, |v12|
	v_max_f32_e64 v20, |v11|, |v11|
	v_cmp_gt_i32_e32 vcc_lo, 0, v11
	v_cmp_eq_f32_e64 s5, 0, v12
	v_cmp_class_f32_e64 s8, v11, 0x204
	v_cmp_class_f32_e64 s9, v12, 0x204
	v_max_f32_e32 v22, v20, v7
	v_min_f32_e32 v7, v20, v7
	s_delay_alu instid0(VALU_DEP_2) | instskip(NEXT) | instid1(VALU_DEP_1)
	v_frexp_mant_f32_e32 v23, v22
	v_rcp_f32_e32 v20, v23
	s_delay_alu instid0(VALU_DEP_2) | instskip(SKIP_4) | instid1(VALU_DEP_1)
	v_frexp_exp_i32_f32_e32 v23, v7
	v_frexp_mant_f32_e32 v7, v7
	s_waitcnt_depctr 0xfff
	v_mul_f32_e32 v7, v7, v20
	v_frexp_exp_i32_f32_e32 v22, v22
	v_sub_nc_u32_e32 v22, v23, v22
	s_delay_alu instid0(VALU_DEP_1) | instskip(NEXT) | instid1(VALU_DEP_1)
	v_ldexp_f32 v7, v7, v22
	v_mul_f32_e32 v20, v7, v7
	s_delay_alu instid0(VALU_DEP_1) | instskip(NEXT) | instid1(VALU_DEP_1)
	v_fmaak_f32 v22, s26, v20, 0xbc7a590c
	v_fmaak_f32 v22, v20, v22, 0x3d29fb3f
	s_delay_alu instid0(VALU_DEP_1) | instskip(NEXT) | instid1(VALU_DEP_1)
	v_fmaak_f32 v22, v20, v22, 0xbd97d4d7
	v_fmaak_f32 v22, v20, v22, 0x3dd931b2
	;; [unrolled: 3-line block ×3, first 2 shown]
	s_delay_alu instid0(VALU_DEP_1) | instskip(NEXT) | instid1(VALU_DEP_1)
	v_fmaak_f32 v22, v20, v22, 0xbeaaaa62
	v_mul_f32_e32 v20, v20, v22
	v_cndmask_b32_e64 v22, 0, 0x40490fdb, vcc_lo
	v_cmp_gt_f32_e32 vcc_lo, 0, v11
	s_delay_alu instid0(VALU_DEP_3) | instskip(NEXT) | instid1(VALU_DEP_1)
	v_fmac_f32_e32 v7, v7, v20
	v_sub_f32_e32 v20, 0x3fc90fdb, v7
	s_delay_alu instid0(VALU_DEP_1) | instskip(NEXT) | instid1(VALU_DEP_1)
	v_cndmask_b32_e64 v7, v7, v20, s4
	v_sub_f32_e32 v20, 0x40490fdb, v7
	s_delay_alu instid0(VALU_DEP_1) | instskip(NEXT) | instid1(VALU_DEP_1)
	v_dual_cndmask_b32 v7, v7, v20 :: v_dual_mul_f32 v20, 0.5, v21
	v_cndmask_b32_e64 v11, v7, v22, s5
	s_delay_alu instid0(VALU_DEP_2) | instskip(SKIP_1) | instid1(VALU_DEP_1)
	v_dual_mul_f32 v7, v21, v20 :: v_dual_cndmask_b32 v22, 0x3f490fdb, v19
	s_and_b32 vcc_lo, s9, s8
	v_cndmask_b32_e32 v20, v11, v22, vcc_lo
.LBB169_210:                            ;   in Loop: Header=BB169_145 Depth=1
	s_or_b32 exec_lo, exec_lo, s7
.LBB169_211:                            ;   in Loop: Header=BB169_145 Depth=1
	s_delay_alu instid0(SALU_CYCLE_1)
	s_or_b32 exec_lo, exec_lo, s6
.LBB169_212:                            ;   in Loop: Header=BB169_145 Depth=1
	s_and_not1_saveexec_b32 s6, s28
	s_cbranch_execz .LBB169_214
; %bb.213:                              ;   in Loop: Header=BB169_145 Depth=1
	v_div_scale_f32 v7, null, 0x402df854, 0x402df854, v11
	v_div_scale_f32 v20, null, 0x402df854, 0x402df854, v12
	v_div_scale_f32 v25, vcc_lo, v11, 0x402df854, v11
	s_delay_alu instid0(VALU_DEP_3) | instskip(NEXT) | instid1(VALU_DEP_2)
	v_rcp_f32_e32 v21, v7
	v_rcp_f32_e32 v22, v20
	v_cmp_class_f32_e64 s7, v12, 0x204
	s_waitcnt_depctr 0xfff
	v_fma_f32 v23, -v7, v21, 1.0
	v_fma_f32 v24, -v20, v22, 1.0
	s_delay_alu instid0(VALU_DEP_1) | instskip(SKIP_1) | instid1(VALU_DEP_2)
	v_dual_fmac_f32 v21, v23, v21 :: v_dual_fmac_f32 v22, v24, v22
	v_div_scale_f32 v23, s5, v12, 0x402df854, v12
	v_mul_f32_e32 v24, v25, v21
	s_delay_alu instid0(VALU_DEP_1) | instskip(NEXT) | instid1(VALU_DEP_1)
	v_fma_f32 v27, -v7, v24, v25
	v_fmac_f32_e32 v24, v27, v21
	s_delay_alu instid0(VALU_DEP_1) | instskip(NEXT) | instid1(VALU_DEP_1)
	v_fma_f32 v7, -v7, v24, v25
	v_div_fmas_f32 v7, v7, v21, v24
	v_max_f32_e64 v24, |v11|, |v11|
	v_mul_f32_e32 v26, v23, v22
	s_mov_b32 vcc_lo, s5
	v_cmp_class_f32_e64 s5, v11, 0x204
	v_div_fixup_f32 v7, v7, 0x402df854, v11
	s_delay_alu instid0(VALU_DEP_3) | instskip(NEXT) | instid1(VALU_DEP_1)
	v_fma_f32 v28, -v20, v26, v23
	v_fmac_f32_e32 v26, v28, v22
	s_delay_alu instid0(VALU_DEP_1) | instskip(NEXT) | instid1(VALU_DEP_1)
	v_fma_f32 v20, -v20, v26, v23
	v_div_fmas_f32 v20, v20, v22, v26
	s_delay_alu instid0(VALU_DEP_1) | instskip(NEXT) | instid1(VALU_DEP_1)
	v_div_fixup_f32 v22, v20, 0x402df854, v12
	v_max_f32_e64 v23, |v7|, |v22|
	s_delay_alu instid0(VALU_DEP_1) | instskip(SKIP_1) | instid1(VALU_DEP_2)
	v_cvt_f64_f32_e32 v[20:21], v23
	v_cmp_neq_f32_e32 vcc_lo, 0x7f800000, v23
	v_frexp_exp_i32_f64_e32 v20, v[20:21]
	v_max_f32_e64 v21, |v12|, |v12|
	s_delay_alu instid0(VALU_DEP_1) | instskip(SKIP_1) | instid1(VALU_DEP_2)
	v_max_f32_e32 v25, v24, v21
	v_min_f32_e32 v21, v24, v21
	v_frexp_mant_f32_e32 v26, v25
	v_frexp_exp_i32_f32_e32 v25, v25
	s_delay_alu instid0(VALU_DEP_2) | instskip(SKIP_1) | instid1(VALU_DEP_1)
	v_rcp_f32_e32 v24, v26
	v_sub_nc_u32_e32 v26, 0, v20
	v_ldexp_f32 v22, |v22|, v26
	v_ldexp_f32 v7, |v7|, v26
	s_delay_alu instid0(VALU_DEP_2) | instskip(SKIP_2) | instid1(VALU_DEP_2)
	v_mul_f32_e32 v22, v22, v22
	v_frexp_exp_i32_f32_e32 v27, v21
	v_frexp_mant_f32_e32 v21, v21
	v_sub_nc_u32_e32 v25, v27, v25
	s_delay_alu instid0(TRANS32_DEP_1) | instid1(VALU_DEP_2)
	v_mul_f32_e32 v21, v21, v24
	s_delay_alu instid0(VALU_DEP_1) | instskip(NEXT) | instid1(VALU_DEP_1)
	v_ldexp_f32 v21, v21, v25
	v_dual_fmac_f32 v22, v7, v7 :: v_dual_mul_f32 v7, v21, v21
	s_delay_alu instid0(VALU_DEP_1) | instskip(NEXT) | instid1(VALU_DEP_1)
	v_sqrt_f32_e32 v22, v22
	v_fmaak_f32 v24, s26, v7, 0xbc7a590c
	s_delay_alu instid0(VALU_DEP_1) | instskip(SKIP_2) | instid1(VALU_DEP_1)
	v_fmaak_f32 v24, v7, v24, 0x3d29fb3f
	s_waitcnt_depctr 0xfff
	v_ldexp_f32 v20, v22, v20
	v_cndmask_b32_e32 v20, 0x7f800000, v20, vcc_lo
	s_delay_alu instid0(VALU_DEP_1) | instskip(SKIP_1) | instid1(VALU_DEP_1)
	v_cmp_gt_f32_e32 vcc_lo, 0x800000, v20
	v_cndmask_b32_e64 v23, 1.0, 0x4f800000, vcc_lo
	v_mul_f32_e32 v20, v20, v23
	s_delay_alu instid0(VALU_DEP_1) | instskip(SKIP_2) | instid1(VALU_DEP_2)
	v_log_f32_e32 v20, v20
	v_fmaak_f32 v22, v7, v24, 0xbd97d4d7
	v_cndmask_b32_e64 v24, 0, 0x41b17218, vcc_lo
	v_fmaak_f32 v22, v7, v22, 0x3dd931b2
	s_waitcnt_depctr 0xfff
	v_cmp_gt_f32_e64 vcc_lo, 0x7f800000, |v20|
	v_fmaak_f32 v22, v7, v22, 0xbe1160e6
	s_delay_alu instid0(VALU_DEP_1) | instskip(NEXT) | instid1(VALU_DEP_1)
	v_fmaak_f32 v22, v7, v22, 0x3e4cb8bf
	v_fmaak_f32 v22, v7, v22, 0xbeaaaa62
	s_delay_alu instid0(VALU_DEP_1) | instskip(NEXT) | instid1(VALU_DEP_1)
	v_mul_f32_e32 v7, v7, v22
	v_fmac_f32_e32 v21, v21, v7
	s_delay_alu instid0(VALU_DEP_1) | instskip(NEXT) | instid1(VALU_DEP_1)
	v_sub_f32_e32 v23, 0x3fc90fdb, v21
	v_cndmask_b32_e64 v21, v21, v23, s4
	v_cmp_gt_i32_e64 s4, 0, v11
	s_delay_alu instid0(VALU_DEP_1) | instskip(SKIP_2) | instid1(VALU_DEP_2)
	v_cndmask_b32_e64 v23, 0, 0x40490fdb, s4
	v_mul_f32_e32 v22, 0x3f317217, v20
	v_cmp_gt_f32_e64 s4, 0, v11
	v_fma_f32 v7, 0x3f317217, v20, -v22
	s_delay_alu instid0(VALU_DEP_1) | instskip(NEXT) | instid1(VALU_DEP_1)
	v_fmac_f32_e32 v7, 0x3377d1cf, v20
	v_add_f32_e32 v7, v22, v7
	s_delay_alu instid0(VALU_DEP_1) | instskip(SKIP_2) | instid1(VALU_DEP_3)
	v_dual_cndmask_b32 v7, v20, v7 :: v_dual_sub_f32 v22, 0x40490fdb, v21
	v_cmp_eq_f32_e32 vcc_lo, 0, v12
	v_cndmask_b32_e64 v20, 0x3f490fdb, v19, s4
	v_sub_f32_e32 v7, v7, v24
	s_delay_alu instid0(VALU_DEP_4) | instskip(NEXT) | instid1(VALU_DEP_2)
	v_cndmask_b32_e64 v11, v21, v22, s4
	v_add_f32_e32 v7, 1.0, v7
	s_delay_alu instid0(VALU_DEP_2) | instskip(SKIP_1) | instid1(VALU_DEP_1)
	v_cndmask_b32_e32 v11, v11, v23, vcc_lo
	s_and_b32 vcc_lo, s7, s5
	v_cndmask_b32_e32 v20, v11, v20, vcc_lo
.LBB169_214:                            ;   in Loop: Header=BB169_145 Depth=1
	s_or_b32 exec_lo, exec_lo, s6
.LBB169_215:                            ;   in Loop: Header=BB169_145 Depth=1
	s_and_not1_saveexec_b32 s4, s27
	s_cbranch_execz .LBB169_221
; %bb.216:                              ;   in Loop: Header=BB169_145 Depth=1
	v_cmp_ngt_f32_e64 s5, 0x20000000, |v11|
	v_cmp_ngt_f32_e64 s6, 0x20000000, |v12|
                                        ; implicit-def: $vgpr7
	s_delay_alu instid0(VALU_DEP_1) | instskip(NEXT) | instid1(SALU_CYCLE_1)
	s_or_b32 s5, s6, s5
	s_and_saveexec_b32 s6, s5
	s_delay_alu instid0(SALU_CYCLE_1)
	s_xor_b32 s5, exec_lo, s6
; %bb.217:                              ;   in Loop: Header=BB169_145 Depth=1
	v_mul_f32_e32 v7, v11, v11
	s_delay_alu instid0(VALU_DEP_1)
	v_fmac_f32_e32 v7, v12, v12
; %bb.218:                              ;   in Loop: Header=BB169_145 Depth=1
	s_and_not1_saveexec_b32 s5, s5
; %bb.219:                              ;   in Loop: Header=BB169_145 Depth=1
	v_mul_f32_e32 v7, 4.0, v11
	v_mul_f32_e32 v11, 4.0, v12
	s_delay_alu instid0(VALU_DEP_2) | instskip(NEXT) | instid1(VALU_DEP_1)
	v_mul_f32_e32 v7, v7, v7
	v_fmac_f32_e32 v7, v11, v11
	s_delay_alu instid0(VALU_DEP_1)
	v_mul_f32_e32 v7, 0x3d800000, v7
; %bb.220:                              ;   in Loop: Header=BB169_145 Depth=1
	s_or_b32 exec_lo, exec_lo, s5
	s_delay_alu instid0(VALU_DEP_1) | instskip(SKIP_1) | instid1(VALU_DEP_1)
	v_cmp_gt_f32_e32 vcc_lo, 0x800000, v7
	v_cndmask_b32_e64 v11, 1.0, 0x4f800000, vcc_lo
	v_mul_f32_e32 v7, v7, v11
	s_delay_alu instid0(VALU_DEP_1) | instskip(SKIP_2) | instid1(VALU_DEP_1)
	v_log_f32_e32 v7, v7
	s_waitcnt_depctr 0xfff
	v_mul_f32_e32 v11, 0x3f317217, v7
	v_fma_f32 v20, 0x3f317217, v7, -v11
	s_delay_alu instid0(VALU_DEP_1) | instskip(NEXT) | instid1(VALU_DEP_1)
	v_fmac_f32_e32 v20, 0x3377d1cf, v7
	v_add_f32_e32 v11, v11, v20
	v_cndmask_b32_e64 v20, 0, 0x41b17218, vcc_lo
	v_cmp_gt_f32_e64 vcc_lo, 0x7f800000, |v7|
	s_delay_alu instid0(VALU_DEP_3) | instskip(NEXT) | instid1(VALU_DEP_1)
	v_cndmask_b32_e32 v7, v7, v11, vcc_lo
	v_dual_sub_f32 v7, v7, v20 :: v_dual_mov_b32 v20, 0x7fc00000
.LBB169_221:                            ;   in Loop: Header=BB169_145 Depth=1
	s_or_b32 exec_lo, exec_lo, s4
                                        ; implicit-def: $vgpr11
                                        ; implicit-def: $vgpr21
	s_delay_alu instid0(SALU_CYCLE_1)
	s_mov_b32 s4, exec_lo
	v_cmpx_o_f32_e32 v4, v3
	s_xor_b32 s27, exec_lo, s4
	s_cbranch_execz .LBB169_249
; %bb.222:                              ;   in Loop: Header=BB169_145 Depth=1
	v_cmp_lt_f32_e64 s4, |v3|, |v4|
                                        ; implicit-def: $vgpr11
                                        ; implicit-def: $vgpr21
	s_mov_b32 s5, exec_lo
	s_delay_alu instid0(VALU_DEP_1) | instskip(NEXT) | instid1(VALU_DEP_1)
	v_cndmask_b32_e64 v22, |v4|, |v3|, s4
	v_cmpx_nlt_f32_e32 0x77f684df, v22
	s_xor_b32 s28, exec_lo, s5
	s_cbranch_execz .LBB169_246
; %bb.223:                              ;   in Loop: Header=BB169_145 Depth=1
	v_and_b32_e32 v11, 0x7fffffff, v4
                                        ; implicit-def: $vgpr21
	s_mov_b32 s5, exec_lo
	s_delay_alu instid0(VALU_DEP_1) | instskip(NEXT) | instid1(VALU_DEP_1)
	v_cndmask_b32_e64 v23, |v3|, v11, s4
                                        ; implicit-def: $vgpr11
	v_cmpx_neq_f32_e32 1.0, v23
	s_xor_b32 s29, exec_lo, s5
	s_cbranch_execz .LBB169_239
; %bb.224:                              ;   in Loop: Header=BB169_145 Depth=1
	v_max_f32_e32 v11, v22, v22
	v_max_f32_e32 v21, v23, v23
	s_delay_alu instid0(VALU_DEP_1) | instskip(SKIP_1) | instid1(VALU_DEP_2)
	v_min_f32_e32 v24, v21, v11
	v_max_f32_e32 v11, v21, v11
                                        ; implicit-def: $vgpr21
	v_cmp_ngt_f32_e32 vcc_lo, 0x358637bd, v24
	s_delay_alu instid0(VALU_DEP_2) | instskip(NEXT) | instid1(VALU_DEP_1)
	v_cmp_nlt_f32_e64 s5, 0x49742400, v11
                                        ; implicit-def: $vgpr11
	s_and_b32 s5, s5, vcc_lo
	s_delay_alu instid0(SALU_CYCLE_1) | instskip(NEXT) | instid1(SALU_CYCLE_1)
	s_and_saveexec_b32 s6, s5
	s_xor_b32 s30, exec_lo, s6
	s_cbranch_execz .LBB169_236
; %bb.225:                              ;   in Loop: Header=BB169_145 Depth=1
                                        ; implicit-def: $vgpr11
                                        ; implicit-def: $vgpr21
	s_mov_b32 s5, exec_lo
	v_cmpx_le_f32_e32 1.0, v23
	s_xor_b32 s6, exec_lo, s5
	s_cbranch_execz .LBB169_227
; %bb.226:                              ;   in Loop: Header=BB169_145 Depth=1
	v_add_f32_e32 v11, -1.0, v23
	v_add_f32_e32 v21, 1.0, v23
	v_cmp_class_f32_e64 s7, v3, 0x204
	s_delay_alu instid0(VALU_DEP_2) | instskip(NEXT) | instid1(VALU_DEP_1)
	v_mul_f32_e32 v11, v11, v21
	v_fmac_f32_e32 v11, v22, v22
	s_delay_alu instid0(VALU_DEP_1) | instskip(NEXT) | instid1(VALU_DEP_1)
	v_add_f32_e32 v23, 1.0, v11
	v_cvt_f64_f32_e32 v[21:22], v23
	s_delay_alu instid0(VALU_DEP_1) | instskip(SKIP_1) | instid1(VALU_DEP_1)
	v_frexp_exp_i32_f64_e32 v21, v[21:22]
	v_frexp_mant_f32_e32 v22, v23
	v_cmp_gt_f32_e32 vcc_lo, 0x3f2aaaab, v22
	v_add_f32_e32 v22, -1.0, v23
	s_delay_alu instid0(VALU_DEP_1) | instskip(SKIP_1) | instid1(VALU_DEP_1)
	v_sub_f32_e32 v25, v22, v23
	v_subrev_co_ci_u32_e32 v21, vcc_lo, 0, v21, vcc_lo
	v_sub_nc_u32_e32 v24, 0, v21
	v_cvt_f32_i32_e32 v21, v21
	s_delay_alu instid0(VALU_DEP_2) | instskip(NEXT) | instid1(VALU_DEP_1)
	v_ldexp_f32 v23, v23, v24
	v_dual_add_f32 v25, 1.0, v25 :: v_dual_add_f32 v26, 1.0, v23
	v_sub_f32_e32 v22, v11, v22
	v_cmp_eq_f32_e32 vcc_lo, 0x7f800000, v11
	v_cmp_neq_f32_e64 s5, -1.0, v11
	s_delay_alu instid0(VALU_DEP_3) | instskip(NEXT) | instid1(VALU_DEP_1)
	v_add_f32_e32 v22, v22, v25
	v_ldexp_f32 v22, v22, v24
	v_dual_add_f32 v24, -1.0, v23 :: v_dual_add_f32 v25, -1.0, v26
	s_delay_alu instid0(VALU_DEP_1) | instskip(NEXT) | instid1(VALU_DEP_2)
	v_add_f32_e32 v27, 1.0, v24
	v_sub_f32_e32 v25, v23, v25
	s_delay_alu instid0(VALU_DEP_2) | instskip(NEXT) | instid1(VALU_DEP_2)
	v_sub_f32_e32 v23, v23, v27
	v_add_f32_e32 v25, v22, v25
	s_delay_alu instid0(VALU_DEP_2) | instskip(NEXT) | instid1(VALU_DEP_1)
	v_add_f32_e32 v22, v22, v23
	v_add_f32_e32 v28, v24, v22
	s_delay_alu instid0(VALU_DEP_1) | instskip(NEXT) | instid1(VALU_DEP_1)
	v_dual_sub_f32 v24, v28, v24 :: v_dual_add_f32 v27, v26, v25
	v_sub_f32_e32 v22, v22, v24
	s_delay_alu instid0(VALU_DEP_2) | instskip(SKIP_1) | instid1(VALU_DEP_1)
	v_rcp_f32_e32 v23, v27
	v_sub_f32_e32 v26, v27, v26
	v_sub_f32_e32 v25, v25, v26
	s_waitcnt_depctr 0xfff
	v_mul_f32_e32 v29, v28, v23
	s_delay_alu instid0(VALU_DEP_1) | instskip(NEXT) | instid1(VALU_DEP_1)
	v_mul_f32_e32 v30, v27, v29
	v_fma_f32 v26, v29, v27, -v30
	s_delay_alu instid0(VALU_DEP_1) | instskip(NEXT) | instid1(VALU_DEP_1)
	v_fmac_f32_e32 v26, v29, v25
	v_add_f32_e32 v31, v30, v26
	s_delay_alu instid0(VALU_DEP_1) | instskip(SKIP_1) | instid1(VALU_DEP_2)
	v_sub_f32_e32 v32, v28, v31
	v_sub_f32_e32 v24, v31, v30
	;; [unrolled: 1-line block ×3, first 2 shown]
	s_delay_alu instid0(VALU_DEP_2) | instskip(NEXT) | instid1(VALU_DEP_2)
	v_sub_f32_e32 v24, v24, v26
	v_sub_f32_e32 v28, v28, v31
	s_delay_alu instid0(VALU_DEP_1) | instskip(NEXT) | instid1(VALU_DEP_1)
	v_add_f32_e32 v22, v22, v28
	v_add_f32_e32 v22, v24, v22
	s_delay_alu instid0(VALU_DEP_1) | instskip(NEXT) | instid1(VALU_DEP_1)
	v_add_f32_e32 v24, v32, v22
	v_mul_f32_e32 v26, v23, v24
	s_delay_alu instid0(VALU_DEP_1) | instskip(NEXT) | instid1(VALU_DEP_1)
	v_dual_sub_f32 v31, v32, v24 :: v_dual_mul_f32 v28, v27, v26
	v_add_f32_e32 v22, v22, v31
	s_delay_alu instid0(VALU_DEP_2) | instskip(NEXT) | instid1(VALU_DEP_1)
	v_fma_f32 v27, v26, v27, -v28
	v_fmac_f32_e32 v27, v26, v25
	s_delay_alu instid0(VALU_DEP_1) | instskip(NEXT) | instid1(VALU_DEP_1)
	v_add_f32_e32 v25, v28, v27
	v_sub_f32_e32 v30, v24, v25
	s_delay_alu instid0(VALU_DEP_1) | instskip(NEXT) | instid1(VALU_DEP_1)
	v_sub_f32_e32 v24, v24, v30
	v_sub_f32_e32 v24, v24, v25
	s_delay_alu instid0(VALU_DEP_1) | instskip(SKIP_2) | instid1(VALU_DEP_1)
	v_add_f32_e32 v22, v22, v24
	v_add_f32_e32 v24, v29, v26
	v_sub_f32_e32 v28, v25, v28
	v_sub_f32_e32 v25, v28, v27
	v_max_f32_e64 v27, |v4|, |v4|
	s_delay_alu instid0(VALU_DEP_2) | instskip(NEXT) | instid1(VALU_DEP_1)
	v_dual_add_f32 v22, v25, v22 :: v_dual_sub_f32 v25, v24, v29
	v_add_f32_e32 v22, v30, v22
	s_delay_alu instid0(VALU_DEP_2) | instskip(SKIP_1) | instid1(VALU_DEP_3)
	v_sub_f32_e32 v25, v26, v25
	v_mul_f32_e32 v30, 0x3f317218, v21
	v_mul_f32_e32 v22, v23, v22
	s_delay_alu instid0(VALU_DEP_2) | instskip(NEXT) | instid1(VALU_DEP_1)
	v_fma_f32 v31, 0x3f317218, v21, -v30
	v_dual_add_f32 v22, v25, v22 :: v_dual_fmac_f32 v31, 0xb102e308, v21
	s_delay_alu instid0(VALU_DEP_1) | instskip(NEXT) | instid1(VALU_DEP_1)
	v_add_f32_e32 v23, v24, v22
	v_mul_f32_e32 v25, v23, v23
	v_ldexp_f32 v29, v23, 1
	s_delay_alu instid0(VALU_DEP_2) | instskip(SKIP_2) | instid1(VALU_DEP_3)
	v_fmaak_f32 v26, s21, v25, 0x3ecc95a3
	v_mul_f32_e32 v28, v23, v25
	v_sub_f32_e32 v23, v23, v24
	v_fmaak_f32 v25, v25, v26, 0x3f2aaada
	v_max_f32_e64 v26, |v3|, |v3|
	s_delay_alu instid0(VALU_DEP_2) | instskip(NEXT) | instid1(VALU_DEP_2)
	v_dual_sub_f32 v22, v22, v23 :: v_dual_mul_f32 v25, v28, v25
	v_max_f32_e32 v28, v26, v27
	s_delay_alu instid0(VALU_DEP_2) | instskip(NEXT) | instid1(VALU_DEP_3)
	v_ldexp_f32 v22, v22, 1
	v_add_f32_e32 v24, v29, v25
	s_delay_alu instid0(VALU_DEP_1) | instskip(NEXT) | instid1(VALU_DEP_1)
	v_sub_f32_e32 v23, v24, v29
	v_sub_f32_e32 v23, v25, v23
	s_delay_alu instid0(VALU_DEP_1) | instskip(SKIP_4) | instid1(VALU_DEP_4)
	v_add_f32_e32 v21, v22, v23
	v_min_f32_e32 v26, v26, v27
	v_frexp_mant_f32_e32 v27, v28
	v_add_f32_e32 v23, v30, v31
	v_frexp_exp_i32_f32_e32 v28, v28
	v_frexp_mant_f32_e32 v25, v26
	s_delay_alu instid0(VALU_DEP_4) | instskip(NEXT) | instid1(VALU_DEP_3)
	v_rcp_f32_e32 v27, v27
	v_sub_f32_e32 v30, v23, v30
	s_delay_alu instid0(VALU_DEP_1) | instskip(SKIP_2) | instid1(VALU_DEP_1)
	v_sub_f32_e32 v30, v31, v30
	s_waitcnt_depctr 0xfff
	v_dual_mul_f32 v22, v25, v27 :: v_dual_add_f32 v25, v24, v21
	v_sub_f32_e32 v24, v25, v24
	s_delay_alu instid0(VALU_DEP_1) | instskip(SKIP_1) | instid1(VALU_DEP_1)
	v_sub_f32_e32 v21, v21, v24
	v_frexp_exp_i32_f32_e32 v29, v26
	v_sub_nc_u32_e32 v26, v29, v28
	s_delay_alu instid0(VALU_DEP_1) | instskip(NEXT) | instid1(VALU_DEP_1)
	v_ldexp_f32 v22, v22, v26
	v_dual_add_f32 v26, v23, v25 :: v_dual_mul_f32 v27, v22, v22
	s_delay_alu instid0(VALU_DEP_1) | instskip(NEXT) | instid1(VALU_DEP_1)
	v_sub_f32_e32 v28, v26, v23
	v_dual_fmaak_f32 v29, s26, v27, 0xbc7a590c :: v_dual_sub_f32 v32, v26, v28
	v_sub_f32_e32 v24, v25, v28
	v_add_f32_e32 v28, v30, v21
	s_delay_alu instid0(VALU_DEP_3) | instskip(NEXT) | instid1(VALU_DEP_4)
	v_fmaak_f32 v29, v27, v29, 0x3d29fb3f
	v_sub_f32_e32 v23, v23, v32
	s_delay_alu instid0(VALU_DEP_2) | instskip(NEXT) | instid1(VALU_DEP_1)
	v_fmaak_f32 v25, v27, v29, 0xbd97d4d7
	v_dual_add_f32 v23, v24, v23 :: v_dual_fmaak_f32 v24, v27, v25, 0x3dd931b2
	v_sub_f32_e32 v25, v28, v30
	s_delay_alu instid0(VALU_DEP_2) | instskip(NEXT) | instid1(VALU_DEP_1)
	v_add_f32_e32 v23, v28, v23
	v_dual_sub_f32 v28, v28, v25 :: v_dual_add_f32 v29, v26, v23
	v_sub_f32_e32 v21, v21, v25
	s_delay_alu instid0(VALU_DEP_2) | instskip(NEXT) | instid1(VALU_DEP_1)
	v_dual_sub_f32 v25, v30, v28 :: v_dual_sub_f32 v26, v29, v26
	v_add_f32_e32 v21, v21, v25
	s_delay_alu instid0(VALU_DEP_2) | instskip(NEXT) | instid1(VALU_DEP_1)
	v_sub_f32_e32 v23, v23, v26
	v_dual_add_f32 v21, v21, v23 :: v_dual_fmaak_f32 v24, v27, v24, 0xbe1160e6
	s_delay_alu instid0(VALU_DEP_1) | instskip(NEXT) | instid1(VALU_DEP_1)
	v_dual_add_f32 v21, v29, v21 :: v_dual_fmaak_f32 v24, v27, v24, 0x3e4cb8bf
	v_dual_cndmask_b32 v21, v21, v11 :: v_dual_fmaak_f32 v24, v27, v24, 0xbeaaaa62
	v_cmp_gt_i32_e32 vcc_lo, 0, v3
	s_delay_alu instid0(VALU_DEP_2) | instskip(NEXT) | instid1(VALU_DEP_1)
	v_mul_f32_e32 v24, v27, v24
	v_fmac_f32_e32 v22, v22, v24
	s_delay_alu instid0(VALU_DEP_1) | instskip(NEXT) | instid1(VALU_DEP_1)
	v_sub_f32_e32 v23, 0x3fc90fdb, v22
	v_cndmask_b32_e64 v22, v22, v23, s4
	v_cndmask_b32_e64 v23, 0, 0x40490fdb, vcc_lo
	v_cmp_ngt_f32_e32 vcc_lo, -1.0, v11
	s_delay_alu instid0(VALU_DEP_3) | instskip(SKIP_2) | instid1(VALU_DEP_2)
	v_sub_f32_e32 v24, 0x40490fdb, v22
	v_cndmask_b32_e32 v21, 0x7fc00000, v21, vcc_lo
	v_cmp_gt_f32_e32 vcc_lo, 0, v3
	v_cndmask_b32_e64 v3, 0xff800000, v21, s5
	s_delay_alu instid0(VALU_DEP_4)
	v_cndmask_b32_e32 v21, v22, v24, vcc_lo
	v_cndmask_b32_e32 v22, 0x3f490fdb, v19, vcc_lo
	v_cmp_gt_f32_e64 vcc_lo, 0x33800000, |v11|
	v_cmp_class_f32_e64 s5, v4, 0x204
	v_cndmask_b32_e32 v3, v3, v11, vcc_lo
	v_cmp_eq_f32_e32 vcc_lo, 0, v4
	s_delay_alu instid0(VALU_DEP_2) | instskip(SKIP_2) | instid1(VALU_DEP_1)
	v_mul_f32_e32 v11, 0.5, v3
	v_cndmask_b32_e32 v21, v21, v23, vcc_lo
	s_and_b32 vcc_lo, s5, s7
                                        ; implicit-def: $vgpr23
	v_cndmask_b32_e32 v21, v21, v22, vcc_lo
                                        ; implicit-def: $vgpr22
.LBB169_227:                            ;   in Loop: Header=BB169_145 Depth=1
	s_and_not1_saveexec_b32 s31, s6
	s_cbranch_execz .LBB169_235
; %bb.228:                              ;   in Loop: Header=BB169_145 Depth=1
	v_mul_f32_e32 v24, v22, v22
                                        ; implicit-def: $vgpr11
                                        ; implicit-def: $vgpr21
	s_mov_b32 s5, exec_lo
	s_delay_alu instid0(VALU_DEP_1) | instskip(NEXT) | instid1(VALU_DEP_1)
	v_fmac_f32_e32 v24, v23, v23
	v_cmpx_ge_f32_e32 0x3f333333, v24
	s_xor_b32 s6, exec_lo, s5
	s_cbranch_execz .LBB169_230
; %bb.229:                              ;   in Loop: Header=BB169_145 Depth=1
	v_max_f32_e64 v11, |v4|, |v4|
	v_max_f32_e64 v21, |v3|, |v3|
	v_cmp_gt_f32_e32 vcc_lo, 0x800000, v24
	v_cmp_gt_i32_e64 s5, 0, v3
	v_cmp_class_f32_e64 s7, v3, 0x204
	v_cmp_class_f32_e64 s8, v4, 0x204
	v_max_f32_e32 v22, v21, v11
	v_min_f32_e32 v11, v21, v11
	v_cndmask_b32_e64 v25, 0, 0x41b17218, vcc_lo
	s_delay_alu instid0(VALU_DEP_3) | instskip(NEXT) | instid1(VALU_DEP_1)
	v_frexp_mant_f32_e32 v23, v22
	v_rcp_f32_e32 v21, v23
	s_delay_alu instid0(VALU_DEP_3) | instskip(SKIP_4) | instid1(VALU_DEP_1)
	v_frexp_exp_i32_f32_e32 v23, v11
	v_frexp_mant_f32_e32 v11, v11
	s_waitcnt_depctr 0xfff
	v_mul_f32_e32 v11, v11, v21
	v_frexp_exp_i32_f32_e32 v22, v22
	v_sub_nc_u32_e32 v22, v23, v22
	v_cndmask_b32_e64 v23, 1.0, 0x4f800000, vcc_lo
	s_delay_alu instid0(VALU_DEP_2) | instskip(NEXT) | instid1(VALU_DEP_2)
	v_ldexp_f32 v11, v11, v22
	v_mul_f32_e32 v23, v24, v23
	s_delay_alu instid0(VALU_DEP_2) | instskip(NEXT) | instid1(VALU_DEP_2)
	v_mul_f32_e32 v21, v11, v11
	v_log_f32_e32 v23, v23
	s_delay_alu instid0(VALU_DEP_1) | instskip(NEXT) | instid1(VALU_DEP_1)
	v_fmaak_f32 v22, s26, v21, 0xbc7a590c
	v_fmaak_f32 v22, v21, v22, 0x3d29fb3f
	s_waitcnt_depctr 0xfff
	v_cmp_gt_f32_e64 vcc_lo, 0x7f800000, |v23|
	v_fmaak_f32 v22, v21, v22, 0xbd97d4d7
	s_delay_alu instid0(VALU_DEP_1) | instskip(NEXT) | instid1(VALU_DEP_1)
	v_fmaak_f32 v22, v21, v22, 0x3dd931b2
	v_fmaak_f32 v22, v21, v22, 0xbe1160e6
	s_delay_alu instid0(VALU_DEP_1) | instskip(NEXT) | instid1(VALU_DEP_1)
	v_fmaak_f32 v22, v21, v22, 0x3e4cb8bf
	v_fmaak_f32 v22, v21, v22, 0xbeaaaa62
	s_delay_alu instid0(VALU_DEP_1) | instskip(NEXT) | instid1(VALU_DEP_1)
	v_dual_mul_f32 v21, v21, v22 :: v_dual_mul_f32 v22, 0x3f317217, v23
	v_fmac_f32_e32 v11, v11, v21
	s_delay_alu instid0(VALU_DEP_2) | instskip(NEXT) | instid1(VALU_DEP_1)
	v_fma_f32 v21, 0x3f317217, v23, -v22
	v_fmac_f32_e32 v21, 0x3377d1cf, v23
	s_delay_alu instid0(VALU_DEP_1) | instskip(NEXT) | instid1(VALU_DEP_1)
	v_dual_sub_f32 v24, 0x3fc90fdb, v11 :: v_dual_add_f32 v21, v22, v21
	v_cndmask_b32_e64 v11, v11, v24, s4
	v_cndmask_b32_e64 v22, 0, 0x40490fdb, s5
	v_cmp_eq_f32_e64 s5, 0, v4
	s_delay_alu instid0(VALU_DEP_3) | instskip(SKIP_1) | instid1(VALU_DEP_2)
	v_dual_cndmask_b32 v21, v23, v21 :: v_dual_sub_f32 v24, 0x40490fdb, v11
	v_cmp_gt_f32_e32 vcc_lo, 0, v3
                                        ; implicit-def: $vgpr23
	v_sub_f32_e32 v3, v21, v25
	s_delay_alu instid0(VALU_DEP_3) | instskip(NEXT) | instid1(VALU_DEP_1)
	v_cndmask_b32_e32 v11, v11, v24, vcc_lo
	v_cndmask_b32_e64 v21, v11, v22, s5
	v_cndmask_b32_e32 v22, 0x3f490fdb, v19, vcc_lo
	s_and_b32 vcc_lo, s8, s7
	v_mul_f32_e32 v11, 0.5, v3
	s_delay_alu instid0(VALU_DEP_2)
	v_cndmask_b32_e32 v21, v21, v22, vcc_lo
                                        ; implicit-def: $vgpr22
.LBB169_230:                            ;   in Loop: Header=BB169_145 Depth=1
	s_and_not1_saveexec_b32 s33, s6
	s_cbranch_execz .LBB169_234
; %bb.231:                              ;   in Loop: Header=BB169_145 Depth=1
	v_and_b32_e32 v24, 0x7fff0000, v22
	v_and_b32_e32 v21, 0x7fff0000, v23
	s_mov_b32 s34, 0
	s_delay_alu instid0(VALU_DEP_2) | instskip(NEXT) | instid1(VALU_DEP_2)
	v_sub_f32_e32 v25, v22, v24
	v_dual_mul_f32 v22, v24, v24 :: v_dual_sub_f32 v23, v23, v21
	v_dual_add_f32 v28, v21, v21 :: v_dual_add_f32 v31, v24, v24
	s_delay_alu instid0(VALU_DEP_2) | instskip(NEXT) | instid1(VALU_DEP_4)
	v_and_b32_e32 v26, 0xffff0000, v23
	v_and_b32_e32 v27, 0xffff0000, v25
	s_delay_alu instid0(VALU_DEP_2) | instskip(NEXT) | instid1(VALU_DEP_4)
	v_dual_mul_f32 v11, v21, v21 :: v_dual_sub_f32 v24, v23, v26
	v_mul_f32_e32 v30, v28, v26
	s_delay_alu instid0(VALU_DEP_3)
	v_dual_sub_f32 v32, v25, v27 :: v_dual_mul_f32 v23, v26, v26
	v_add_f32_e32 v25, v26, v26
	v_add_f32_e32 v33, v27, v27
	v_dual_mul_f32 v21, v31, v27 :: v_dual_mul_f32 v26, v28, v24
	v_mul_f32_e32 v29, v27, v27
	v_mul_f32_e32 v28, v31, v32
	;; [unrolled: 1-line block ×6, first 2 shown]
.LBB169_232:                            ;   Parent Loop BB169_145 Depth=1
                                        ; =>  This Inner Loop Header: Depth=2
	v_cmp_nlt_f32_e32 vcc_lo, v11, v22
	s_delay_alu instid0(VALU_DEP_2) | instskip(SKIP_1) | instid1(VALU_DEP_1)
	v_mov_b32_e32 v33, v31
	v_dual_cndmask_b32 v32, v11, v22 :: v_dual_cndmask_b32 v11, v22, v11
	v_cmp_nlt_f32_e64 s5, v32, v30
	s_delay_alu instid0(VALU_DEP_1) | instskip(SKIP_2) | instid1(VALU_DEP_2)
	v_cndmask_b32_e64 v31, v32, v30, s5
	v_cndmask_b32_e64 v22, v30, v32, s5
	s_and_b32 s35, vcc_lo, s5
	v_cmp_nlt_f32_e64 s6, v31, v21
	s_delay_alu instid0(VALU_DEP_1) | instskip(SKIP_1) | instid1(VALU_DEP_2)
	v_cndmask_b32_e64 v34, v31, v21, s6
	v_cndmask_b32_e64 v30, v21, v31, s6
	v_cmp_nlt_f32_e64 s7, v34, v23
	s_delay_alu instid0(VALU_DEP_1) | instskip(SKIP_2) | instid1(VALU_DEP_2)
	v_cndmask_b32_e64 v32, v34, v23, s7
	v_cndmask_b32_e64 v21, v23, v34, s7
	s_and_b32 s36, s6, s7
	v_cmp_nlt_f32_e64 s8, v32, v29
	s_delay_alu instid0(VALU_DEP_1) | instskip(SKIP_1) | instid1(VALU_DEP_2)
	v_cndmask_b32_e64 v35, v32, v29, s8
	v_cndmask_b32_e64 v23, v29, v32, s8
	v_cmp_nlt_f32_e64 s9, v35, v26
	s_delay_alu instid0(VALU_DEP_1) | instskip(SKIP_2) | instid1(VALU_DEP_2)
	v_cndmask_b32_e64 v36, v35, v26, s9
	s_and_b32 s7, s8, s9
	v_cndmask_b32_e64 v29, v26, v35, s9
	v_cmp_nlt_f32_e64 s10, v36, v28
	s_delay_alu instid0(VALU_DEP_1) | instskip(SKIP_2) | instid1(VALU_DEP_2)
	v_cndmask_b32_e64 v37, v36, v28, s10
	s_and_b32 s7, s7, s10
	v_cndmask_b32_e64 v26, v28, v36, s10
	v_cmp_nlt_f32_e32 vcc_lo, v37, v27
	v_cndmask_b32_e32 v38, v37, v27, vcc_lo
	s_and_b32 s8, s7, vcc_lo
	v_cndmask_b32_e32 v28, v27, v37, vcc_lo
	s_delay_alu instid0(VALU_DEP_2) | instskip(NEXT) | instid1(VALU_DEP_1)
	v_cmp_nlt_f32_e64 s5, v38, v25
	v_cndmask_b32_e64 v34, v38, v25, s5
	s_and_b32 s8, s8, s5
	v_cndmask_b32_e64 v27, v25, v38, s5
	s_delay_alu instid0(VALU_DEP_2) | instskip(NEXT) | instid1(VALU_DEP_1)
	v_cmp_nlt_f32_e64 s6, v34, v24
	v_cndmask_b32_e64 v32, v34, v24, s6
	s_and_b32 s8, s8, s6
	v_cndmask_b32_e64 v25, v24, v34, s6
	s_delay_alu instid0(VALU_DEP_2) | instskip(NEXT) | instid1(VALU_DEP_1)
	v_cmp_nlt_f32_e64 s7, v32, v33
	s_and_b32 s8, s8, s7
	v_cndmask_b32_e64 v31, v32, v33, s7
	s_and_b32 s5, s8, s36
	v_cndmask_b32_e64 v24, v33, v32, s7
	s_and_b32 s5, s5, s35
	s_delay_alu instid0(SALU_CYCLE_1) | instskip(NEXT) | instid1(SALU_CYCLE_1)
	s_and_b32 s5, exec_lo, s5
	s_or_b32 s34, s5, s34
	s_delay_alu instid0(SALU_CYCLE_1)
	s_and_not1_b32 exec_lo, exec_lo, s34
	s_cbranch_execnz .LBB169_232
; %bb.233:                              ;   in Loop: Header=BB169_145 Depth=1
	s_or_b32 exec_lo, exec_lo, s34
	v_add_f32_e32 v11, -1.0, v11
	v_cmp_class_f32_e64 s6, v3, 0x204
	s_delay_alu instid0(VALU_DEP_2) | instskip(NEXT) | instid1(VALU_DEP_1)
	v_add_f32_e32 v11, v11, v22
	v_add_f32_e32 v11, v11, v30
	s_delay_alu instid0(VALU_DEP_1) | instskip(NEXT) | instid1(VALU_DEP_1)
	v_add_f32_e32 v11, v11, v21
	v_add_f32_e32 v11, v11, v23
	s_delay_alu instid0(VALU_DEP_1) | instskip(NEXT) | instid1(VALU_DEP_1)
	;; [unrolled: 3-line block ×5, first 2 shown]
	v_add_f32_e32 v11, v31, v11
	v_add_f32_e32 v23, 1.0, v11
	s_delay_alu instid0(VALU_DEP_1) | instskip(NEXT) | instid1(VALU_DEP_1)
	v_cvt_f64_f32_e32 v[21:22], v23
	v_frexp_exp_i32_f64_e32 v21, v[21:22]
	v_frexp_mant_f32_e32 v22, v23
	s_delay_alu instid0(VALU_DEP_1) | instskip(SKIP_1) | instid1(VALU_DEP_1)
	v_cmp_gt_f32_e32 vcc_lo, 0x3f2aaaab, v22
	v_add_f32_e32 v22, -1.0, v23
	v_dual_sub_f32 v25, v22, v23 :: v_dual_sub_f32 v22, v11, v22
	s_delay_alu instid0(VALU_DEP_1) | instskip(NEXT) | instid1(VALU_DEP_1)
	v_add_f32_e32 v25, 1.0, v25
	v_add_f32_e32 v22, v22, v25
	v_subrev_co_ci_u32_e32 v21, vcc_lo, 0, v21, vcc_lo
	s_delay_alu instid0(VALU_DEP_1) | instskip(SKIP_1) | instid1(VALU_DEP_2)
	v_sub_nc_u32_e32 v24, 0, v21
	v_cvt_f32_i32_e32 v21, v21
	v_ldexp_f32 v23, v23, v24
	v_ldexp_f32 v22, v22, v24
	s_delay_alu instid0(VALU_DEP_2) | instskip(NEXT) | instid1(VALU_DEP_1)
	v_add_f32_e32 v26, 1.0, v23
	v_dual_add_f32 v24, -1.0, v23 :: v_dual_add_f32 v25, -1.0, v26
	s_delay_alu instid0(VALU_DEP_1) | instskip(NEXT) | instid1(VALU_DEP_2)
	v_add_f32_e32 v27, 1.0, v24
	v_sub_f32_e32 v25, v23, v25
	s_delay_alu instid0(VALU_DEP_2) | instskip(NEXT) | instid1(VALU_DEP_2)
	v_sub_f32_e32 v23, v23, v27
	v_add_f32_e32 v25, v22, v25
	s_delay_alu instid0(VALU_DEP_2) | instskip(NEXT) | instid1(VALU_DEP_1)
	v_add_f32_e32 v22, v22, v23
	v_dual_add_f32 v27, v26, v25 :: v_dual_add_f32 v28, v24, v22
	s_delay_alu instid0(VALU_DEP_1) | instskip(SKIP_1) | instid1(VALU_DEP_1)
	v_rcp_f32_e32 v23, v27
	v_sub_f32_e32 v26, v27, v26
	v_dual_sub_f32 v24, v28, v24 :: v_dual_sub_f32 v25, v25, v26
	s_delay_alu instid0(VALU_DEP_1) | instskip(SKIP_4) | instid1(VALU_DEP_1)
	v_sub_f32_e32 v22, v22, v24
	v_cmp_eq_f32_e32 vcc_lo, 0x7f800000, v11
	v_cmp_neq_f32_e64 s5, -1.0, v11
	s_waitcnt_depctr 0xfff
	v_mul_f32_e32 v29, v28, v23
	v_mul_f32_e32 v30, v27, v29
	s_delay_alu instid0(VALU_DEP_1) | instskip(NEXT) | instid1(VALU_DEP_1)
	v_fma_f32 v26, v29, v27, -v30
	v_fmac_f32_e32 v26, v29, v25
	s_delay_alu instid0(VALU_DEP_1) | instskip(NEXT) | instid1(VALU_DEP_1)
	v_add_f32_e32 v31, v30, v26
	v_sub_f32_e32 v32, v28, v31
	v_sub_f32_e32 v24, v31, v30
	s_delay_alu instid0(VALU_DEP_2) | instskip(NEXT) | instid1(VALU_DEP_2)
	v_sub_f32_e32 v28, v28, v32
	v_sub_f32_e32 v24, v24, v26
	s_delay_alu instid0(VALU_DEP_2) | instskip(NEXT) | instid1(VALU_DEP_1)
	v_sub_f32_e32 v28, v28, v31
	v_add_f32_e32 v22, v22, v28
	s_delay_alu instid0(VALU_DEP_1) | instskip(NEXT) | instid1(VALU_DEP_1)
	v_add_f32_e32 v22, v24, v22
	v_add_f32_e32 v24, v32, v22
	s_delay_alu instid0(VALU_DEP_1) | instskip(NEXT) | instid1(VALU_DEP_1)
	v_mul_f32_e32 v26, v23, v24
	v_dual_mul_f32 v28, v27, v26 :: v_dual_sub_f32 v31, v32, v24
	s_delay_alu instid0(VALU_DEP_1) | instskip(NEXT) | instid1(VALU_DEP_2)
	v_fma_f32 v27, v26, v27, -v28
	v_add_f32_e32 v22, v22, v31
	s_delay_alu instid0(VALU_DEP_2) | instskip(NEXT) | instid1(VALU_DEP_1)
	v_fmac_f32_e32 v27, v26, v25
	v_add_f32_e32 v25, v28, v27
	s_delay_alu instid0(VALU_DEP_1) | instskip(NEXT) | instid1(VALU_DEP_1)
	v_sub_f32_e32 v30, v24, v25
	v_sub_f32_e32 v24, v24, v30
	s_delay_alu instid0(VALU_DEP_1) | instskip(NEXT) | instid1(VALU_DEP_1)
	v_sub_f32_e32 v24, v24, v25
	v_add_f32_e32 v22, v22, v24
	v_add_f32_e32 v24, v29, v26
	v_sub_f32_e32 v28, v25, v28
	s_delay_alu instid0(VALU_DEP_1) | instskip(SKIP_1) | instid1(VALU_DEP_2)
	v_sub_f32_e32 v25, v28, v27
	v_max_f32_e64 v27, |v4|, |v4|
	v_dual_add_f32 v22, v25, v22 :: v_dual_sub_f32 v25, v24, v29
	s_delay_alu instid0(VALU_DEP_1) | instskip(NEXT) | instid1(VALU_DEP_2)
	v_sub_f32_e32 v25, v26, v25
	v_add_f32_e32 v22, v30, v22
	s_delay_alu instid0(VALU_DEP_1) | instskip(NEXT) | instid1(VALU_DEP_1)
	v_mul_f32_e32 v22, v23, v22
	v_add_f32_e32 v22, v25, v22
	s_delay_alu instid0(VALU_DEP_1) | instskip(NEXT) | instid1(VALU_DEP_1)
	v_add_f32_e32 v23, v24, v22
	v_mul_f32_e32 v25, v23, v23
	s_delay_alu instid0(VALU_DEP_1) | instskip(SKIP_3) | instid1(VALU_DEP_4)
	v_fmaak_f32 v26, s21, v25, 0x3ecc95a3
	v_mul_f32_e32 v28, v23, v25
	v_ldexp_f32 v29, v23, 1
	v_sub_f32_e32 v23, v23, v24
	v_fmaak_f32 v25, v25, v26, 0x3f2aaada
	v_max_f32_e64 v26, |v3|, |v3|
	s_delay_alu instid0(VALU_DEP_2) | instskip(NEXT) | instid1(VALU_DEP_1)
	v_dual_sub_f32 v22, v22, v23 :: v_dual_mul_f32 v25, v28, v25
	v_ldexp_f32 v22, v22, 1
	s_delay_alu instid0(VALU_DEP_2) | instskip(NEXT) | instid1(VALU_DEP_1)
	v_add_f32_e32 v24, v29, v25
	v_dual_max_f32 v28, v26, v27 :: v_dual_sub_f32 v23, v24, v29
	s_delay_alu instid0(VALU_DEP_1) | instskip(NEXT) | instid1(VALU_DEP_1)
	v_dual_mul_f32 v30, 0x3f317218, v21 :: v_dual_sub_f32 v23, v25, v23
	v_fma_f32 v31, 0x3f317218, v21, -v30
	v_min_f32_e32 v26, v26, v27
	s_delay_alu instid0(VALU_DEP_4) | instskip(SKIP_1) | instid1(VALU_DEP_4)
	v_frexp_mant_f32_e32 v27, v28
	v_frexp_exp_i32_f32_e32 v28, v28
	v_fmac_f32_e32 v31, 0xb102e308, v21
	s_delay_alu instid0(VALU_DEP_4) | instskip(NEXT) | instid1(VALU_DEP_4)
	v_frexp_exp_i32_f32_e32 v29, v26
	v_rcp_f32_e32 v27, v27
	v_frexp_mant_f32_e32 v25, v26
	v_add_f32_e32 v21, v22, v23
	s_delay_alu instid0(VALU_DEP_3) | instskip(SKIP_3) | instid1(VALU_DEP_2)
	v_sub_nc_u32_e32 v26, v29, v28
	s_waitcnt_depctr 0xfff
	v_dual_mul_f32 v22, v25, v27 :: v_dual_add_f32 v25, v24, v21
	v_add_f32_e32 v23, v30, v31
	v_ldexp_f32 v22, v22, v26
	s_delay_alu instid0(VALU_DEP_3) | instskip(NEXT) | instid1(VALU_DEP_3)
	v_sub_f32_e32 v24, v25, v24
	v_add_f32_e32 v26, v23, v25
	v_sub_f32_e32 v30, v23, v30
	s_delay_alu instid0(VALU_DEP_4) | instskip(NEXT) | instid1(VALU_DEP_3)
	v_mul_f32_e32 v27, v22, v22
	v_dual_sub_f32 v21, v21, v24 :: v_dual_sub_f32 v28, v26, v23
	s_delay_alu instid0(VALU_DEP_1) | instskip(NEXT) | instid1(VALU_DEP_1)
	v_dual_fmaak_f32 v29, s26, v27, 0xbc7a590c :: v_dual_sub_f32 v24, v25, v28
	v_dual_fmaak_f32 v29, v27, v29, 0x3d29fb3f :: v_dual_sub_f32 v32, v26, v28
	s_delay_alu instid0(VALU_DEP_1) | instskip(NEXT) | instid1(VALU_DEP_2)
	v_fmaak_f32 v25, v27, v29, 0xbd97d4d7
	v_sub_f32_e32 v23, v23, v32
	s_delay_alu instid0(VALU_DEP_1) | instskip(NEXT) | instid1(VALU_DEP_1)
	v_dual_sub_f32 v30, v31, v30 :: v_dual_add_f32 v23, v24, v23
	v_add_f32_e32 v28, v30, v21
	s_delay_alu instid0(VALU_DEP_1) | instskip(NEXT) | instid1(VALU_DEP_1)
	v_dual_fmaak_f32 v24, v27, v25, 0x3dd931b2 :: v_dual_add_f32 v23, v28, v23
	v_dual_sub_f32 v25, v28, v30 :: v_dual_fmaak_f32 v24, v27, v24, 0xbe1160e6
	s_delay_alu instid0(VALU_DEP_2) | instskip(NEXT) | instid1(VALU_DEP_2)
	v_add_f32_e32 v29, v26, v23
	v_dual_sub_f32 v21, v21, v25 :: v_dual_fmaak_f32 v24, v27, v24, 0x3e4cb8bf
	s_delay_alu instid0(VALU_DEP_2) | instskip(NEXT) | instid1(VALU_DEP_1)
	v_sub_f32_e32 v26, v29, v26
	v_dual_sub_f32 v28, v28, v25 :: v_dual_sub_f32 v23, v23, v26
	s_delay_alu instid0(VALU_DEP_1) | instskip(NEXT) | instid1(VALU_DEP_1)
	v_sub_f32_e32 v25, v30, v28
	v_dual_fmaak_f32 v24, v27, v24, 0xbeaaaa62 :: v_dual_add_f32 v21, v21, v25
	s_delay_alu instid0(VALU_DEP_1) | instskip(NEXT) | instid1(VALU_DEP_1)
	v_dual_mul_f32 v24, v27, v24 :: v_dual_add_f32 v21, v21, v23
	v_dual_fmac_f32 v22, v22, v24 :: v_dual_add_f32 v21, v29, v21
	s_delay_alu instid0(VALU_DEP_1) | instskip(NEXT) | instid1(VALU_DEP_2)
	v_sub_f32_e32 v23, 0x3fc90fdb, v22
	v_cndmask_b32_e32 v21, v21, v11, vcc_lo
	v_cmp_gt_i32_e32 vcc_lo, 0, v3
	s_delay_alu instid0(VALU_DEP_3) | instskip(SKIP_2) | instid1(VALU_DEP_3)
	v_cndmask_b32_e64 v22, v22, v23, s4
	v_cndmask_b32_e64 v23, 0, 0x40490fdb, vcc_lo
	v_cmp_ngt_f32_e32 vcc_lo, -1.0, v11
	v_sub_f32_e32 v24, 0x40490fdb, v22
	v_cndmask_b32_e32 v21, 0x7fc00000, v21, vcc_lo
	v_cmp_gt_f32_e32 vcc_lo, 0, v3
	s_delay_alu instid0(VALU_DEP_2) | instskip(NEXT) | instid1(VALU_DEP_4)
	v_cndmask_b32_e64 v3, 0xff800000, v21, s5
	v_cndmask_b32_e32 v21, v22, v24, vcc_lo
	v_cndmask_b32_e32 v22, 0x3f490fdb, v19, vcc_lo
	v_cmp_gt_f32_e64 vcc_lo, 0x33800000, |v11|
	v_cmp_class_f32_e64 s5, v4, 0x204
	v_cndmask_b32_e32 v3, v3, v11, vcc_lo
	v_cmp_eq_f32_e32 vcc_lo, 0, v4
	s_delay_alu instid0(VALU_DEP_2) | instskip(SKIP_2) | instid1(VALU_DEP_1)
	v_mul_f32_e32 v11, 0.5, v3
	v_cndmask_b32_e32 v21, v21, v23, vcc_lo
	s_and_b32 vcc_lo, s5, s6
	v_cndmask_b32_e32 v21, v21, v22, vcc_lo
.LBB169_234:                            ;   in Loop: Header=BB169_145 Depth=1
	s_or_b32 exec_lo, exec_lo, s33
.LBB169_235:                            ;   in Loop: Header=BB169_145 Depth=1
	s_delay_alu instid0(SALU_CYCLE_1)
	s_or_b32 exec_lo, exec_lo, s31
.LBB169_236:                            ;   in Loop: Header=BB169_145 Depth=1
	s_and_not1_saveexec_b32 s6, s30
	s_cbranch_execz .LBB169_238
; %bb.237:                              ;   in Loop: Header=BB169_145 Depth=1
	v_max_f32_e64 v11, |v4|, |v4|
	v_max_f32_e64 v23, |v3|, |v3|
	v_cmp_gt_i32_e64 s5, 0, v3
	v_cmp_class_f32_e64 s7, v3, 0x204
	v_cmp_class_f32_e64 s8, v4, 0x204
	s_delay_alu instid0(VALU_DEP_4) | instskip(SKIP_1) | instid1(VALU_DEP_2)
	v_max_f32_e32 v24, v23, v11
	v_min_f32_e32 v11, v23, v11
	v_cvt_f64_f32_e32 v[21:22], v24
	v_frexp_exp_i32_f32_e32 v23, v24
	s_delay_alu instid0(VALU_DEP_3) | instskip(SKIP_1) | instid1(VALU_DEP_2)
	v_frexp_exp_i32_f32_e32 v25, v11
	v_frexp_mant_f32_e32 v11, v11
	v_sub_nc_u32_e32 v23, v25, v23
	v_frexp_exp_i32_f64_e32 v21, v[21:22]
	v_frexp_mant_f32_e32 v22, v24
	s_delay_alu instid0(VALU_DEP_1) | instskip(SKIP_2) | instid1(VALU_DEP_1)
	v_rcp_f32_e32 v22, v22
	s_waitcnt_depctr 0xfff
	v_mul_f32_e32 v11, v11, v22
	v_ldexp_f32 v11, v11, v23
	s_delay_alu instid0(VALU_DEP_1) | instskip(SKIP_1) | instid1(VALU_DEP_1)
	v_mul_f32_e32 v25, v11, v11
	v_sub_nc_u32_e32 v26, 0, v21
	v_ldexp_f32 v22, |v4|, v26
	v_ldexp_f32 v23, |v3|, v26
	s_delay_alu instid0(VALU_DEP_2) | instskip(NEXT) | instid1(VALU_DEP_1)
	v_mul_f32_e32 v22, v22, v22
	v_dual_fmac_f32 v22, v23, v23 :: v_dual_fmaak_f32 v23, s26, v25, 0xbc7a590c
	v_cmp_neq_f32_e32 vcc_lo, 0x7f800000, v24
	s_delay_alu instid0(VALU_DEP_2) | instskip(NEXT) | instid1(VALU_DEP_2)
	v_sqrt_f32_e32 v22, v22
	v_fmaak_f32 v23, v25, v23, 0x3d29fb3f
	s_delay_alu instid0(VALU_DEP_1) | instskip(SKIP_3) | instid1(VALU_DEP_2)
	v_fmaak_f32 v23, v25, v23, 0xbd97d4d7
	s_waitcnt_depctr 0xfff
	v_ldexp_f32 v21, v22, v21
	v_fmaak_f32 v22, v25, v23, 0x3dd931b2
	v_cndmask_b32_e32 v21, 0x7f800000, v21, vcc_lo
	s_delay_alu instid0(VALU_DEP_2) | instskip(NEXT) | instid1(VALU_DEP_2)
	v_fmaak_f32 v22, v25, v22, 0xbe1160e6
	v_cmp_gt_f32_e32 vcc_lo, 0x800000, v21
	s_delay_alu instid0(VALU_DEP_2) | instskip(SKIP_1) | instid1(VALU_DEP_2)
	v_fmaak_f32 v22, v25, v22, 0x3e4cb8bf
	v_cndmask_b32_e64 v23, 1.0, 0x4f800000, vcc_lo
	v_fmaak_f32 v22, v25, v22, 0xbeaaaa62
	s_delay_alu instid0(VALU_DEP_2) | instskip(NEXT) | instid1(VALU_DEP_2)
	v_mul_f32_e32 v21, v21, v23
	v_mul_f32_e32 v22, v25, v22
	s_delay_alu instid0(VALU_DEP_2) | instskip(SKIP_2) | instid1(VALU_DEP_1)
	v_log_f32_e32 v21, v21
	s_waitcnt_depctr 0xfff
	v_dual_fmac_f32 v11, v11, v22 :: v_dual_mul_f32 v22, 0x3f317217, v21
	v_fma_f32 v24, 0x3f317217, v21, -v22
	s_delay_alu instid0(VALU_DEP_1) | instskip(NEXT) | instid1(VALU_DEP_3)
	v_fmac_f32_e32 v24, 0x3377d1cf, v21
	v_sub_f32_e32 v23, 0x3fc90fdb, v11
	s_delay_alu instid0(VALU_DEP_1)
	v_cndmask_b32_e64 v11, v11, v23, s4
	v_cndmask_b32_e64 v23, 0, 0x40490fdb, s5
	v_cmp_gt_f32_e64 s5, 0, v3
	v_add_f32_e32 v3, v22, v24
	v_cndmask_b32_e64 v24, 0, 0x41b17218, vcc_lo
	v_sub_f32_e32 v25, 0x40490fdb, v11
	v_cmp_gt_f32_e64 vcc_lo, 0x7f800000, |v21|
	v_cndmask_b32_e64 v22, 0x3f490fdb, v19, s5
	s_delay_alu instid0(VALU_DEP_3) | instskip(SKIP_2) | instid1(VALU_DEP_3)
	v_cndmask_b32_e64 v11, v11, v25, s5
	v_cndmask_b32_e32 v3, v21, v3, vcc_lo
	v_cmp_eq_f32_e32 vcc_lo, 0, v4
	v_cndmask_b32_e32 v21, v11, v23, vcc_lo
	s_and_b32 vcc_lo, s8, s7
	s_delay_alu instid0(VALU_DEP_3) | instskip(NEXT) | instid1(VALU_DEP_2)
	v_sub_f32_e32 v11, v3, v24
	v_cndmask_b32_e32 v21, v21, v22, vcc_lo
.LBB169_238:                            ;   in Loop: Header=BB169_145 Depth=1
	s_or_b32 exec_lo, exec_lo, s6
                                        ; implicit-def: $vgpr22
.LBB169_239:                            ;   in Loop: Header=BB169_145 Depth=1
	s_and_not1_saveexec_b32 s6, s29
	s_cbranch_execz .LBB169_245
; %bb.240:                              ;   in Loop: Header=BB169_145 Depth=1
                                        ; implicit-def: $vgpr11
                                        ; implicit-def: $vgpr21
	s_mov_b32 s5, exec_lo
	v_cmpx_ngt_f32_e32 0x1fec1e4a, v22
	s_xor_b32 s7, exec_lo, s5
	s_cbranch_execz .LBB169_242
; %bb.241:                              ;   in Loop: Header=BB169_145 Depth=1
	v_mul_f32_e32 v11, v22, v22
	v_cmp_class_f32_e64 s8, v3, 0x204
	v_cmp_gt_f32_e64 s5, 0, v3
	v_cmp_class_f32_e64 s10, v4, 0x204
	s_delay_alu instid0(VALU_DEP_4) | instskip(NEXT) | instid1(VALU_DEP_1)
	v_add_f32_e32 v23, 1.0, v11
	v_cvt_f64_f32_e32 v[21:22], v23
	s_delay_alu instid0(VALU_DEP_1) | instskip(SKIP_1) | instid1(VALU_DEP_1)
	v_frexp_exp_i32_f64_e32 v21, v[21:22]
	v_frexp_mant_f32_e32 v22, v23
	v_cmp_gt_f32_e32 vcc_lo, 0x3f2aaaab, v22
	v_add_f32_e32 v22, -1.0, v23
	v_cmp_gt_f32_e64 s9, 0x33800000, |v11|
	s_delay_alu instid0(VALU_DEP_2) | instskip(SKIP_2) | instid1(VALU_DEP_2)
	v_dual_sub_f32 v25, v22, v23 :: v_dual_sub_f32 v22, v11, v22
	v_subrev_co_ci_u32_e32 v21, vcc_lo, 0, v21, vcc_lo
	v_cmp_gt_i32_e32 vcc_lo, 0, v3
	v_sub_nc_u32_e32 v24, 0, v21
	v_cvt_f32_i32_e32 v21, v21
	s_delay_alu instid0(VALU_DEP_2) | instskip(NEXT) | instid1(VALU_DEP_1)
	v_ldexp_f32 v23, v23, v24
	v_dual_add_f32 v25, 1.0, v25 :: v_dual_add_f32 v26, 1.0, v23
	s_delay_alu instid0(VALU_DEP_1) | instskip(NEXT) | instid1(VALU_DEP_1)
	v_dual_add_f32 v22, v22, v25 :: v_dual_add_f32 v25, -1.0, v26
	v_ldexp_f32 v22, v22, v24
	s_delay_alu instid0(VALU_DEP_2) | instskip(NEXT) | instid1(VALU_DEP_1)
	v_dual_add_f32 v24, -1.0, v23 :: v_dual_sub_f32 v25, v23, v25
	v_add_f32_e32 v27, 1.0, v24
	s_delay_alu instid0(VALU_DEP_2) | instskip(NEXT) | instid1(VALU_DEP_2)
	v_add_f32_e32 v25, v22, v25
	v_sub_f32_e32 v23, v23, v27
	s_delay_alu instid0(VALU_DEP_1) | instskip(NEXT) | instid1(VALU_DEP_1)
	v_add_f32_e32 v22, v22, v23
	v_dual_add_f32 v28, v24, v22 :: v_dual_add_f32 v27, v26, v25
	s_delay_alu instid0(VALU_DEP_1) | instskip(NEXT) | instid1(VALU_DEP_2)
	v_sub_f32_e32 v24, v24, v28
	v_rcp_f32_e32 v23, v27
	v_sub_f32_e32 v26, v26, v27
	s_delay_alu instid0(VALU_DEP_1) | instskip(SKIP_2) | instid1(VALU_DEP_1)
	v_dual_add_f32 v22, v22, v24 :: v_dual_add_f32 v25, v25, v26
	s_waitcnt_depctr 0xfff
	v_mul_f32_e32 v29, v28, v23
	v_mul_f32_e32 v30, v27, v29
	s_delay_alu instid0(VALU_DEP_1) | instskip(NEXT) | instid1(VALU_DEP_1)
	v_fma_f32 v26, v29, v27, -v30
	v_fmac_f32_e32 v26, v29, v25
	s_delay_alu instid0(VALU_DEP_1) | instskip(NEXT) | instid1(VALU_DEP_1)
	v_add_f32_e32 v31, v30, v26
	v_sub_f32_e32 v32, v28, v31
	s_delay_alu instid0(VALU_DEP_1) | instskip(SKIP_1) | instid1(VALU_DEP_2)
	v_sub_f32_e32 v28, v28, v32
	v_sub_f32_e32 v24, v31, v30
	v_sub_f32_e32 v28, v28, v31
	s_delay_alu instid0(VALU_DEP_2) | instskip(NEXT) | instid1(VALU_DEP_2)
	v_sub_f32_e32 v24, v24, v26
	v_add_f32_e32 v22, v22, v28
	s_delay_alu instid0(VALU_DEP_1) | instskip(NEXT) | instid1(VALU_DEP_1)
	v_add_f32_e32 v22, v24, v22
	v_add_f32_e32 v24, v32, v22
	s_delay_alu instid0(VALU_DEP_1) | instskip(NEXT) | instid1(VALU_DEP_1)
	v_mul_f32_e32 v26, v23, v24
	v_dual_sub_f32 v31, v32, v24 :: v_dual_mul_f32 v28, v27, v26
	s_delay_alu instid0(VALU_DEP_1) | instskip(NEXT) | instid1(VALU_DEP_2)
	v_add_f32_e32 v22, v22, v31
	v_fma_f32 v27, v26, v27, -v28
	s_delay_alu instid0(VALU_DEP_1) | instskip(NEXT) | instid1(VALU_DEP_1)
	v_fmac_f32_e32 v27, v26, v25
	v_add_f32_e32 v25, v28, v27
	s_delay_alu instid0(VALU_DEP_1) | instskip(SKIP_1) | instid1(VALU_DEP_2)
	v_sub_f32_e32 v30, v24, v25
	v_sub_f32_e32 v28, v25, v28
	;; [unrolled: 1-line block ×3, first 2 shown]
	s_delay_alu instid0(VALU_DEP_1) | instskip(NEXT) | instid1(VALU_DEP_1)
	v_sub_f32_e32 v24, v24, v25
	v_dual_sub_f32 v25, v28, v27 :: v_dual_add_f32 v22, v22, v24
	v_add_f32_e32 v24, v29, v26
	s_delay_alu instid0(VALU_DEP_1) | instskip(NEXT) | instid1(VALU_DEP_1)
	v_dual_add_f32 v22, v25, v22 :: v_dual_sub_f32 v25, v24, v29
	v_add_f32_e32 v22, v30, v22
	s_delay_alu instid0(VALU_DEP_2) | instskip(SKIP_1) | instid1(VALU_DEP_3)
	v_sub_f32_e32 v25, v26, v25
	v_max_f32_e64 v26, |v3|, |v3|
	v_mul_f32_e32 v22, v23, v22
	v_max_f32_e64 v23, |v4|, |v4|
	s_delay_alu instid0(VALU_DEP_2) | instskip(NEXT) | instid1(VALU_DEP_2)
	v_add_f32_e32 v22, v25, v22
	v_max_f32_e32 v28, v26, v23
	v_min_f32_e32 v23, v26, v23
	s_delay_alu instid0(VALU_DEP_3) | instskip(NEXT) | instid1(VALU_DEP_3)
	v_add_f32_e32 v25, v24, v22
	v_frexp_mant_f32_e32 v30, v28
	v_frexp_exp_i32_f32_e32 v26, v28
	s_delay_alu instid0(VALU_DEP_3) | instskip(SKIP_2) | instid1(VALU_DEP_2)
	v_mul_f32_e32 v27, v25, v25
	v_sub_f32_e32 v24, v25, v24
	v_ldexp_f32 v31, v25, 1
	v_dual_fmaak_f32 v29, s21, v27, 0x3ecc95a3 :: v_dual_sub_f32 v22, v22, v24
	s_delay_alu instid0(VALU_DEP_1) | instskip(NEXT) | instid1(VALU_DEP_2)
	v_ldexp_f32 v22, v22, 1
	v_dual_mul_f32 v28, v25, v27 :: v_dual_fmaak_f32 v27, v27, v29, 0x3f2aaada
	v_rcp_f32_e32 v29, v30
	v_frexp_exp_i32_f32_e32 v30, v23
	v_frexp_mant_f32_e32 v23, v23
	s_delay_alu instid0(VALU_DEP_3) | instskip(NEXT) | instid1(VALU_DEP_3)
	v_dual_mul_f32 v27, v28, v27 :: v_dual_mul_f32 v28, 0x3f317218, v21
	v_sub_nc_u32_e32 v26, v30, v26
	s_delay_alu instid0(VALU_DEP_2) | instskip(SKIP_2) | instid1(VALU_DEP_1)
	v_add_f32_e32 v25, v31, v27
	s_waitcnt_depctr 0xfff
	v_mul_f32_e32 v23, v23, v29
	v_ldexp_f32 v23, v23, v26
	v_sub_f32_e32 v24, v25, v31
	v_fma_f32 v26, 0x3f317218, v21, -v28
	s_delay_alu instid0(VALU_DEP_2) | instskip(NEXT) | instid1(VALU_DEP_2)
	v_sub_f32_e32 v24, v27, v24
	v_dual_mul_f32 v27, v23, v23 :: v_dual_fmac_f32 v26, 0xb102e308, v21
	s_delay_alu instid0(VALU_DEP_1) | instskip(NEXT) | instid1(VALU_DEP_1)
	v_dual_add_f32 v21, v22, v24 :: v_dual_fmaak_f32 v22, s26, v27, 0xbc7a590c
	v_dual_add_f32 v24, v28, v26 :: v_dual_add_f32 v29, v25, v21
	s_delay_alu instid0(VALU_DEP_2) | instskip(NEXT) | instid1(VALU_DEP_2)
	v_fmaak_f32 v22, v27, v22, 0x3d29fb3f
	v_add_f32_e32 v30, v24, v29
	s_delay_alu instid0(VALU_DEP_2) | instskip(NEXT) | instid1(VALU_DEP_1)
	v_dual_fmaak_f32 v22, v27, v22, 0xbd97d4d7 :: v_dual_sub_f32 v25, v29, v25
	v_dual_sub_f32 v31, v30, v24 :: v_dual_fmaak_f32 v22, v27, v22, 0x3dd931b2
	s_delay_alu instid0(VALU_DEP_1) | instskip(SKIP_1) | instid1(VALU_DEP_3)
	v_dual_sub_f32 v21, v21, v25 :: v_dual_sub_f32 v32, v30, v31
	v_dual_sub_f32 v25, v29, v31 :: v_dual_sub_f32 v28, v24, v28
	v_fmaak_f32 v22, v27, v22, 0xbe1160e6
	s_delay_alu instid0(VALU_DEP_3) | instskip(NEXT) | instid1(VALU_DEP_3)
	v_sub_f32_e32 v24, v24, v32
	v_sub_f32_e32 v26, v26, v28
	s_delay_alu instid0(VALU_DEP_3) | instskip(NEXT) | instid1(VALU_DEP_3)
	v_fmaak_f32 v22, v27, v22, 0x3e4cb8bf
	v_add_f32_e32 v24, v25, v24
	s_delay_alu instid0(VALU_DEP_3) | instskip(NEXT) | instid1(VALU_DEP_3)
	v_add_f32_e32 v28, v26, v21
	v_fmaak_f32 v22, v27, v22, 0xbeaaaa62
	s_delay_alu instid0(VALU_DEP_2) | instskip(NEXT) | instid1(VALU_DEP_4)
	v_sub_f32_e32 v25, v28, v26
	v_add_f32_e32 v24, v28, v24
	s_delay_alu instid0(VALU_DEP_2) | instskip(NEXT) | instid1(VALU_DEP_1)
	v_dual_mul_f32 v22, v27, v22 :: v_dual_sub_f32 v27, v28, v25
	v_dual_add_f32 v28, v30, v24 :: v_dual_fmac_f32 v23, v23, v22
	s_delay_alu instid0(VALU_DEP_2) | instskip(NEXT) | instid1(VALU_DEP_2)
	v_dual_sub_f32 v21, v21, v25 :: v_dual_sub_f32 v22, v26, v27
	v_dual_sub_f32 v25, v28, v30 :: v_dual_sub_f32 v26, 0x3fc90fdb, v23
	s_delay_alu instid0(VALU_DEP_1) | instskip(NEXT) | instid1(VALU_DEP_2)
	v_dual_add_f32 v21, v21, v22 :: v_dual_sub_f32 v22, v24, v25
	v_cndmask_b32_e64 v23, v23, v26, s4
	v_cndmask_b32_e64 v24, 0, 0x40490fdb, vcc_lo
	v_cmp_eq_f32_e32 vcc_lo, 0x7f800000, v11
	s_delay_alu instid0(VALU_DEP_3) | instskip(SKIP_1) | instid1(VALU_DEP_1)
	v_dual_add_f32 v21, v21, v22 :: v_dual_sub_f32 v22, 0x40490fdb, v23
	s_or_b32 vcc_lo, vcc_lo, s9
	v_add_f32_e32 v3, v28, v21
	s_delay_alu instid0(VALU_DEP_2) | instskip(SKIP_1) | instid1(VALU_DEP_3)
	v_cndmask_b32_e64 v21, v23, v22, s5
	v_cndmask_b32_e64 v22, 0x3f490fdb, v19, s5
	v_cndmask_b32_e32 v3, v3, v11, vcc_lo
	v_cmp_eq_f32_e32 vcc_lo, 0, v4
	s_delay_alu instid0(VALU_DEP_2) | instskip(SKIP_2) | instid1(VALU_DEP_1)
	v_mul_f32_e32 v11, 0.5, v3
	v_cndmask_b32_e32 v21, v21, v24, vcc_lo
	s_and_b32 vcc_lo, s10, s8
	v_cndmask_b32_e32 v21, v21, v22, vcc_lo
                                        ; implicit-def: $vgpr22
.LBB169_242:                            ;   in Loop: Header=BB169_145 Depth=1
	s_and_not1_saveexec_b32 s7, s7
	s_cbranch_execz .LBB169_244
; %bb.243:                              ;   in Loop: Header=BB169_145 Depth=1
	v_max_f32_e64 v11, |v4|, |v4|
	v_max_f32_e64 v21, |v3|, |v3|
	v_cmp_gt_i32_e32 vcc_lo, 0, v3
	v_cmp_eq_f32_e64 s5, 0, v4
	v_cmp_class_f32_e64 s8, v3, 0x204
	v_cmp_class_f32_e64 s9, v4, 0x204
	v_max_f32_e32 v23, v21, v11
	v_min_f32_e32 v11, v21, v11
	s_delay_alu instid0(VALU_DEP_2) | instskip(SKIP_1) | instid1(VALU_DEP_2)
	v_frexp_mant_f32_e32 v24, v23
	v_frexp_exp_i32_f32_e32 v23, v23
	v_rcp_f32_e32 v21, v24
	s_delay_alu instid0(VALU_DEP_3) | instskip(SKIP_1) | instid1(VALU_DEP_2)
	v_frexp_exp_i32_f32_e32 v24, v11
	v_frexp_mant_f32_e32 v11, v11
	v_sub_nc_u32_e32 v23, v24, v23
	s_waitcnt_depctr 0xfff
	v_mul_f32_e32 v11, v11, v21
	s_delay_alu instid0(VALU_DEP_1) | instskip(NEXT) | instid1(VALU_DEP_1)
	v_ldexp_f32 v11, v11, v23
	v_mul_f32_e32 v21, v11, v11
	s_delay_alu instid0(VALU_DEP_1) | instskip(NEXT) | instid1(VALU_DEP_1)
	v_fmaak_f32 v23, s26, v21, 0xbc7a590c
	v_fmaak_f32 v23, v21, v23, 0x3d29fb3f
	s_delay_alu instid0(VALU_DEP_1) | instskip(NEXT) | instid1(VALU_DEP_1)
	v_fmaak_f32 v23, v21, v23, 0xbd97d4d7
	v_fmaak_f32 v23, v21, v23, 0x3dd931b2
	;; [unrolled: 3-line block ×3, first 2 shown]
	s_delay_alu instid0(VALU_DEP_1) | instskip(NEXT) | instid1(VALU_DEP_1)
	v_fmaak_f32 v23, v21, v23, 0xbeaaaa62
	v_mul_f32_e32 v21, v21, v23
	v_cndmask_b32_e64 v23, 0, 0x40490fdb, vcc_lo
	v_cmp_gt_f32_e32 vcc_lo, 0, v3
	s_delay_alu instid0(VALU_DEP_3) | instskip(NEXT) | instid1(VALU_DEP_1)
	v_fmac_f32_e32 v11, v11, v21
	v_sub_f32_e32 v21, 0x3fc90fdb, v11
	s_delay_alu instid0(VALU_DEP_1) | instskip(NEXT) | instid1(VALU_DEP_1)
	v_cndmask_b32_e64 v11, v11, v21, s4
	v_sub_f32_e32 v21, 0x40490fdb, v11
	s_delay_alu instid0(VALU_DEP_1) | instskip(SKIP_1) | instid1(VALU_DEP_2)
	v_cndmask_b32_e32 v11, v11, v21, vcc_lo
	v_mul_f32_e32 v21, 0.5, v22
	v_cndmask_b32_e64 v3, v11, v23, s5
	v_cndmask_b32_e32 v23, 0x3f490fdb, v19, vcc_lo
	s_and_b32 vcc_lo, s9, s8
	s_delay_alu instid0(VALU_DEP_3) | instskip(NEXT) | instid1(VALU_DEP_2)
	v_mul_f32_e32 v11, v22, v21
	v_cndmask_b32_e32 v21, v3, v23, vcc_lo
.LBB169_244:                            ;   in Loop: Header=BB169_145 Depth=1
	s_or_b32 exec_lo, exec_lo, s7
.LBB169_245:                            ;   in Loop: Header=BB169_145 Depth=1
	s_delay_alu instid0(SALU_CYCLE_1)
	s_or_b32 exec_lo, exec_lo, s6
.LBB169_246:                            ;   in Loop: Header=BB169_145 Depth=1
	s_and_not1_saveexec_b32 s6, s28
	s_cbranch_execz .LBB169_248
; %bb.247:                              ;   in Loop: Header=BB169_145 Depth=1
	v_div_scale_f32 v11, null, 0x402df854, 0x402df854, v3
	v_div_scale_f32 v21, null, 0x402df854, 0x402df854, v4
	v_div_scale_f32 v26, vcc_lo, v3, 0x402df854, v3
	s_delay_alu instid0(VALU_DEP_3) | instskip(NEXT) | instid1(VALU_DEP_2)
	v_rcp_f32_e32 v22, v11
	v_rcp_f32_e32 v23, v21
	v_cmp_class_f32_e64 s7, v4, 0x204
	s_waitcnt_depctr 0xfff
	v_fma_f32 v24, -v11, v22, 1.0
	v_fma_f32 v25, -v21, v23, 1.0
	s_delay_alu instid0(VALU_DEP_1) | instskip(SKIP_1) | instid1(VALU_DEP_2)
	v_dual_fmac_f32 v22, v24, v22 :: v_dual_fmac_f32 v23, v25, v23
	v_div_scale_f32 v24, s5, v4, 0x402df854, v4
	v_mul_f32_e32 v25, v26, v22
	s_delay_alu instid0(VALU_DEP_1) | instskip(NEXT) | instid1(VALU_DEP_1)
	v_fma_f32 v28, -v11, v25, v26
	v_fmac_f32_e32 v25, v28, v22
	s_delay_alu instid0(VALU_DEP_1) | instskip(NEXT) | instid1(VALU_DEP_1)
	v_fma_f32 v11, -v11, v25, v26
	v_div_fmas_f32 v11, v11, v22, v25
	v_max_f32_e64 v25, |v3|, |v3|
	v_mul_f32_e32 v27, v24, v23
	s_mov_b32 vcc_lo, s5
	v_cmp_class_f32_e64 s5, v3, 0x204
	v_div_fixup_f32 v11, v11, 0x402df854, v3
	s_delay_alu instid0(VALU_DEP_3) | instskip(NEXT) | instid1(VALU_DEP_1)
	v_fma_f32 v29, -v21, v27, v24
	v_fmac_f32_e32 v27, v29, v23
	s_delay_alu instid0(VALU_DEP_1) | instskip(NEXT) | instid1(VALU_DEP_1)
	v_fma_f32 v21, -v21, v27, v24
	v_div_fmas_f32 v21, v21, v23, v27
	s_delay_alu instid0(VALU_DEP_1) | instskip(NEXT) | instid1(VALU_DEP_1)
	v_div_fixup_f32 v23, v21, 0x402df854, v4
	v_max_f32_e64 v24, |v11|, |v23|
	s_delay_alu instid0(VALU_DEP_1) | instskip(SKIP_1) | instid1(VALU_DEP_2)
	v_cvt_f64_f32_e32 v[21:22], v24
	v_cmp_neq_f32_e32 vcc_lo, 0x7f800000, v24
	v_frexp_exp_i32_f64_e32 v21, v[21:22]
	v_max_f32_e64 v22, |v4|, |v4|
	s_delay_alu instid0(VALU_DEP_1) | instskip(SKIP_1) | instid1(VALU_DEP_2)
	v_max_f32_e32 v26, v25, v22
	v_min_f32_e32 v22, v25, v22
	v_frexp_mant_f32_e32 v27, v26
	v_frexp_exp_i32_f32_e32 v26, v26
	s_delay_alu instid0(VALU_DEP_2) | instskip(SKIP_1) | instid1(VALU_DEP_1)
	v_rcp_f32_e32 v25, v27
	v_sub_nc_u32_e32 v27, 0, v21
	v_ldexp_f32 v23, |v23|, v27
	v_ldexp_f32 v11, |v11|, v27
	s_delay_alu instid0(VALU_DEP_2) | instskip(SKIP_2) | instid1(VALU_DEP_3)
	v_mul_f32_e32 v23, v23, v23
	v_frexp_exp_i32_f32_e32 v28, v22
	v_frexp_mant_f32_e32 v22, v22
	v_fmac_f32_e32 v23, v11, v11
	s_delay_alu instid0(VALU_DEP_3)
	v_sub_nc_u32_e32 v26, v28, v26
	s_delay_alu instid0(TRANS32_DEP_1) | instid1(VALU_DEP_3)
	v_mul_f32_e32 v22, v22, v25
	s_delay_alu instid0(VALU_DEP_3) | instskip(NEXT) | instid1(VALU_DEP_1)
	v_sqrt_f32_e32 v23, v23
	v_ldexp_f32 v22, v22, v26
	s_delay_alu instid0(VALU_DEP_1) | instskip(SKIP_3) | instid1(VALU_DEP_2)
	v_mul_f32_e32 v11, v22, v22
	s_waitcnt_depctr 0xfff
	v_ldexp_f32 v21, v23, v21
	v_fmaak_f32 v25, s26, v11, 0xbc7a590c
	v_cndmask_b32_e32 v21, 0x7f800000, v21, vcc_lo
	s_delay_alu instid0(VALU_DEP_2) | instskip(NEXT) | instid1(VALU_DEP_2)
	v_fmaak_f32 v25, v11, v25, 0x3d29fb3f
	v_cmp_gt_f32_e32 vcc_lo, 0x800000, v21
	s_delay_alu instid0(VALU_DEP_2) | instskip(SKIP_2) | instid1(VALU_DEP_3)
	v_fmaak_f32 v23, v11, v25, 0xbd97d4d7
	v_cndmask_b32_e64 v24, 1.0, 0x4f800000, vcc_lo
	v_cndmask_b32_e64 v25, 0, 0x41b17218, vcc_lo
	v_fmaak_f32 v23, v11, v23, 0x3dd931b2
	s_delay_alu instid0(VALU_DEP_3) | instskip(NEXT) | instid1(VALU_DEP_2)
	v_mul_f32_e32 v21, v21, v24
	v_fmaak_f32 v23, v11, v23, 0xbe1160e6
	s_delay_alu instid0(VALU_DEP_2) | instskip(NEXT) | instid1(VALU_DEP_1)
	v_log_f32_e32 v21, v21
	v_fmaak_f32 v23, v11, v23, 0x3e4cb8bf
	s_delay_alu instid0(VALU_DEP_1) | instskip(SKIP_3) | instid1(VALU_DEP_1)
	v_fmaak_f32 v23, v11, v23, 0xbeaaaa62
	s_waitcnt_depctr 0xfff
	v_cmp_gt_f32_e64 vcc_lo, 0x7f800000, |v21|
	v_mul_f32_e32 v11, v11, v23
	v_dual_mul_f32 v23, 0x3f317217, v21 :: v_dual_fmac_f32 v22, v22, v11
	s_delay_alu instid0(VALU_DEP_1) | instskip(NEXT) | instid1(VALU_DEP_2)
	v_fma_f32 v11, 0x3f317217, v21, -v23
	v_sub_f32_e32 v24, 0x3fc90fdb, v22
	s_delay_alu instid0(VALU_DEP_2) | instskip(NEXT) | instid1(VALU_DEP_2)
	v_fmac_f32_e32 v11, 0x3377d1cf, v21
	v_cndmask_b32_e64 v22, v22, v24, s4
	v_cmp_gt_i32_e64 s4, 0, v3
	s_delay_alu instid0(VALU_DEP_3) | instskip(NEXT) | instid1(VALU_DEP_3)
	v_add_f32_e32 v11, v23, v11
	v_sub_f32_e32 v23, 0x40490fdb, v22
	s_delay_alu instid0(VALU_DEP_3) | instskip(SKIP_1) | instid1(VALU_DEP_4)
	v_cndmask_b32_e64 v24, 0, 0x40490fdb, s4
	v_cmp_gt_f32_e64 s4, 0, v3
	v_cndmask_b32_e32 v11, v21, v11, vcc_lo
	v_cmp_eq_f32_e32 vcc_lo, 0, v4
	s_delay_alu instid0(VALU_DEP_3) | instskip(SKIP_1) | instid1(VALU_DEP_4)
	v_cndmask_b32_e64 v3, v22, v23, s4
	v_cndmask_b32_e64 v21, 0x3f490fdb, v19, s4
	v_sub_f32_e32 v11, v11, v25
	s_delay_alu instid0(VALU_DEP_3) | instskip(SKIP_1) | instid1(VALU_DEP_2)
	v_cndmask_b32_e32 v3, v3, v24, vcc_lo
	s_and_b32 vcc_lo, s7, s5
	v_add_f32_e32 v11, 1.0, v11
	s_delay_alu instid0(VALU_DEP_2)
	v_cndmask_b32_e32 v21, v3, v21, vcc_lo
.LBB169_248:                            ;   in Loop: Header=BB169_145 Depth=1
	s_or_b32 exec_lo, exec_lo, s6
.LBB169_249:                            ;   in Loop: Header=BB169_145 Depth=1
	s_and_not1_saveexec_b32 s4, s27
	s_cbranch_execz .LBB169_255
; %bb.250:                              ;   in Loop: Header=BB169_145 Depth=1
	v_cmp_ngt_f32_e64 s5, 0x20000000, |v3|
	v_cmp_ngt_f32_e64 s6, 0x20000000, |v4|
                                        ; implicit-def: $vgpr11
	s_delay_alu instid0(VALU_DEP_1) | instskip(NEXT) | instid1(SALU_CYCLE_1)
	s_or_b32 s5, s6, s5
	s_and_saveexec_b32 s6, s5
	s_delay_alu instid0(SALU_CYCLE_1)
	s_xor_b32 s5, exec_lo, s6
; %bb.251:                              ;   in Loop: Header=BB169_145 Depth=1
	v_mul_f32_e32 v11, v3, v3
	s_delay_alu instid0(VALU_DEP_1)
	v_fmac_f32_e32 v11, v4, v4
; %bb.252:                              ;   in Loop: Header=BB169_145 Depth=1
	s_and_not1_saveexec_b32 s5, s5
; %bb.253:                              ;   in Loop: Header=BB169_145 Depth=1
	v_mul_f32_e32 v3, 4.0, v3
	v_mul_f32_e32 v11, 4.0, v4
	s_delay_alu instid0(VALU_DEP_2) | instskip(NEXT) | instid1(VALU_DEP_1)
	v_mul_f32_e32 v3, v3, v3
	v_fmac_f32_e32 v3, v11, v11
	s_delay_alu instid0(VALU_DEP_1)
	v_mul_f32_e32 v11, 0x3d800000, v3
; %bb.254:                              ;   in Loop: Header=BB169_145 Depth=1
	s_or_b32 exec_lo, exec_lo, s5
	s_delay_alu instid0(VALU_DEP_1) | instskip(SKIP_1) | instid1(VALU_DEP_1)
	v_cmp_gt_f32_e32 vcc_lo, 0x800000, v11
	v_cndmask_b32_e64 v3, 1.0, 0x4f800000, vcc_lo
	v_mul_f32_e32 v3, v11, v3
	s_delay_alu instid0(VALU_DEP_1) | instskip(SKIP_2) | instid1(VALU_DEP_1)
	v_log_f32_e32 v3, v3
	s_waitcnt_depctr 0xfff
	v_mul_f32_e32 v11, 0x3f317217, v3
	v_fma_f32 v21, 0x3f317217, v3, -v11
	s_delay_alu instid0(VALU_DEP_1) | instskip(NEXT) | instid1(VALU_DEP_1)
	v_fmac_f32_e32 v21, 0x3377d1cf, v3
	v_add_f32_e32 v11, v11, v21
	v_cndmask_b32_e64 v21, 0, 0x41b17218, vcc_lo
	v_cmp_gt_f32_e64 vcc_lo, 0x7f800000, |v3|
	s_delay_alu instid0(VALU_DEP_3) | instskip(NEXT) | instid1(VALU_DEP_1)
	v_cndmask_b32_e32 v3, v3, v11, vcc_lo
	v_sub_f32_e32 v11, v3, v21
	v_mov_b32_e32 v21, 0x7fc00000
.LBB169_255:                            ;   in Loop: Header=BB169_145 Depth=1
	s_or_b32 exec_lo, exec_lo, s4
                                        ; implicit-def: $vgpr3
                                        ; implicit-def: $vgpr22
	s_delay_alu instid0(SALU_CYCLE_1)
	s_mov_b32 s4, exec_lo
	v_cmpx_o_f32_e32 v16, v15
	s_xor_b32 s27, exec_lo, s4
	s_cbranch_execnz .LBB169_261
; %bb.256:                              ;   in Loop: Header=BB169_145 Depth=1
	s_and_not1_saveexec_b32 s4, s27
	s_cbranch_execnz .LBB169_288
.LBB169_257:                            ;   in Loop: Header=BB169_145 Depth=1
	s_or_b32 exec_lo, exec_lo, s4
	s_and_saveexec_b32 s4, s0
	s_delay_alu instid0(SALU_CYCLE_1)
	s_xor_b32 s0, exec_lo, s4
	s_cbranch_execnz .LBB169_293
.LBB169_258:                            ;   in Loop: Header=BB169_145 Depth=1
	s_or_b32 exec_lo, exec_lo, s0
	s_and_saveexec_b32 s0, s1
	s_cbranch_execnz .LBB169_294
.LBB169_259:                            ;   in Loop: Header=BB169_145 Depth=1
	s_or_b32 exec_lo, exec_lo, s0
	s_and_saveexec_b32 s0, s2
	s_cbranch_execnz .LBB169_295
.LBB169_260:                            ;   in Loop: Header=BB169_145 Depth=1
	s_or_b32 exec_lo, exec_lo, s0
	s_and_saveexec_b32 s0, s3
	s_cbranch_execz .LBB169_144
	s_branch .LBB169_296
.LBB169_261:                            ;   in Loop: Header=BB169_145 Depth=1
	v_cmp_lt_f32_e64 s4, |v15|, |v16|
                                        ; implicit-def: $vgpr3
                                        ; implicit-def: $vgpr22
	s_mov_b32 s5, exec_lo
	s_delay_alu instid0(VALU_DEP_1) | instskip(NEXT) | instid1(VALU_DEP_1)
	v_cndmask_b32_e64 v23, |v16|, |v15|, s4
	v_cmpx_nlt_f32_e32 0x77f684df, v23
	s_xor_b32 s28, exec_lo, s5
	s_cbranch_execz .LBB169_285
; %bb.262:                              ;   in Loop: Header=BB169_145 Depth=1
	v_and_b32_e32 v3, 0x7fffffff, v16
                                        ; implicit-def: $vgpr22
	s_mov_b32 s5, exec_lo
	s_delay_alu instid0(VALU_DEP_1) | instskip(NEXT) | instid1(VALU_DEP_1)
	v_cndmask_b32_e64 v24, |v15|, v3, s4
                                        ; implicit-def: $vgpr3
	v_cmpx_neq_f32_e32 1.0, v24
	s_xor_b32 s29, exec_lo, s5
	s_cbranch_execz .LBB169_278
; %bb.263:                              ;   in Loop: Header=BB169_145 Depth=1
	v_dual_max_f32 v3, v23, v23 :: v_dual_max_f32 v22, v24, v24
	s_delay_alu instid0(VALU_DEP_1) | instskip(SKIP_1) | instid1(VALU_DEP_2)
	v_min_f32_e32 v25, v22, v3
	v_max_f32_e32 v3, v22, v3
                                        ; implicit-def: $vgpr22
	v_cmp_ngt_f32_e32 vcc_lo, 0x358637bd, v25
	s_delay_alu instid0(VALU_DEP_2) | instskip(NEXT) | instid1(VALU_DEP_1)
	v_cmp_nlt_f32_e64 s5, 0x49742400, v3
                                        ; implicit-def: $vgpr3
	s_and_b32 s5, s5, vcc_lo
	s_delay_alu instid0(SALU_CYCLE_1) | instskip(NEXT) | instid1(SALU_CYCLE_1)
	s_and_saveexec_b32 s6, s5
	s_xor_b32 s30, exec_lo, s6
	s_cbranch_execz .LBB169_275
; %bb.264:                              ;   in Loop: Header=BB169_145 Depth=1
                                        ; implicit-def: $vgpr3
                                        ; implicit-def: $vgpr22
	s_mov_b32 s5, exec_lo
	v_cmpx_le_f32_e32 1.0, v24
	s_xor_b32 s6, exec_lo, s5
	s_cbranch_execz .LBB169_266
; %bb.265:                              ;   in Loop: Header=BB169_145 Depth=1
	v_add_f32_e32 v3, -1.0, v24
	v_add_f32_e32 v22, 1.0, v24
	v_cmp_class_f32_e64 s7, v15, 0x204
	s_delay_alu instid0(VALU_DEP_2) | instskip(NEXT) | instid1(VALU_DEP_1)
	v_mul_f32_e32 v3, v3, v22
	v_fmac_f32_e32 v3, v23, v23
	s_delay_alu instid0(VALU_DEP_1) | instskip(SKIP_1) | instid1(VALU_DEP_2)
	v_add_f32_e32 v24, 1.0, v3
	v_cmp_neq_f32_e64 s5, -1.0, v3
	v_cvt_f64_f32_e32 v[22:23], v24
	s_delay_alu instid0(VALU_DEP_1) | instskip(SKIP_1) | instid1(VALU_DEP_1)
	v_frexp_exp_i32_f64_e32 v22, v[22:23]
	v_frexp_mant_f32_e32 v23, v24
	v_cmp_gt_f32_e32 vcc_lo, 0x3f2aaaab, v23
	v_add_f32_e32 v23, -1.0, v24
	s_delay_alu instid0(VALU_DEP_1) | instskip(NEXT) | instid1(VALU_DEP_1)
	v_sub_f32_e32 v26, v23, v24
	v_dual_sub_f32 v23, v3, v23 :: v_dual_add_f32 v26, 1.0, v26
	s_delay_alu instid0(VALU_DEP_1) | instskip(SKIP_2) | instid1(VALU_DEP_2)
	v_add_f32_e32 v23, v23, v26
	v_subrev_co_ci_u32_e32 v22, vcc_lo, 0, v22, vcc_lo
	v_cmp_eq_f32_e32 vcc_lo, 0x7f800000, v3
	v_sub_nc_u32_e32 v25, 0, v22
	v_cvt_f32_i32_e32 v22, v22
	s_delay_alu instid0(VALU_DEP_2) | instskip(SKIP_1) | instid1(VALU_DEP_2)
	v_ldexp_f32 v24, v24, v25
	v_ldexp_f32 v23, v23, v25
	v_add_f32_e32 v27, 1.0, v24
	s_delay_alu instid0(VALU_DEP_1) | instskip(NEXT) | instid1(VALU_DEP_1)
	v_add_f32_e32 v26, -1.0, v27
	v_sub_f32_e32 v26, v24, v26
	s_delay_alu instid0(VALU_DEP_1) | instskip(NEXT) | instid1(VALU_DEP_1)
	v_dual_add_f32 v26, v23, v26 :: v_dual_add_f32 v25, -1.0, v24
	v_add_f32_e32 v28, 1.0, v25
	s_delay_alu instid0(VALU_DEP_1) | instskip(NEXT) | instid1(VALU_DEP_3)
	v_sub_f32_e32 v24, v24, v28
	v_add_f32_e32 v28, v27, v26
	s_delay_alu instid0(VALU_DEP_1) | instskip(NEXT) | instid1(VALU_DEP_3)
	v_sub_f32_e32 v27, v28, v27
	v_add_f32_e32 v23, v23, v24
	v_rcp_f32_e32 v24, v28
	s_delay_alu instid0(VALU_DEP_2) | instskip(NEXT) | instid1(VALU_DEP_2)
	v_sub_f32_e32 v26, v26, v27
	v_add_f32_e32 v29, v25, v23
	s_delay_alu instid0(VALU_DEP_1) | instskip(SKIP_2) | instid1(VALU_DEP_1)
	v_sub_f32_e32 v25, v29, v25
	s_waitcnt_depctr 0xfff
	v_dual_mul_f32 v30, v29, v24 :: v_dual_sub_f32 v23, v23, v25
	v_mul_f32_e32 v31, v28, v30
	s_delay_alu instid0(VALU_DEP_1) | instskip(NEXT) | instid1(VALU_DEP_1)
	v_fma_f32 v27, v30, v28, -v31
	v_fmac_f32_e32 v27, v30, v26
	s_delay_alu instid0(VALU_DEP_1) | instskip(NEXT) | instid1(VALU_DEP_1)
	v_add_f32_e32 v32, v31, v27
	v_sub_f32_e32 v33, v29, v32
	s_delay_alu instid0(VALU_DEP_1) | instskip(SKIP_1) | instid1(VALU_DEP_2)
	v_sub_f32_e32 v29, v29, v33
	v_sub_f32_e32 v25, v32, v31
	;; [unrolled: 1-line block ×3, first 2 shown]
	s_delay_alu instid0(VALU_DEP_2) | instskip(NEXT) | instid1(VALU_DEP_2)
	v_sub_f32_e32 v25, v25, v27
	v_add_f32_e32 v23, v23, v29
	s_delay_alu instid0(VALU_DEP_1) | instskip(NEXT) | instid1(VALU_DEP_1)
	v_add_f32_e32 v23, v25, v23
	v_add_f32_e32 v25, v33, v23
	s_delay_alu instid0(VALU_DEP_1) | instskip(NEXT) | instid1(VALU_DEP_1)
	v_mul_f32_e32 v27, v24, v25
	v_mul_f32_e32 v29, v28, v27
	s_delay_alu instid0(VALU_DEP_1) | instskip(NEXT) | instid1(VALU_DEP_1)
	v_fma_f32 v28, v27, v28, -v29
	v_fmac_f32_e32 v28, v27, v26
	v_sub_f32_e32 v32, v33, v25
	s_delay_alu instid0(VALU_DEP_2) | instskip(NEXT) | instid1(VALU_DEP_2)
	v_add_f32_e32 v26, v29, v28
	v_add_f32_e32 v23, v23, v32
	s_delay_alu instid0(VALU_DEP_2) | instskip(SKIP_1) | instid1(VALU_DEP_2)
	v_sub_f32_e32 v31, v25, v26
	v_sub_f32_e32 v29, v26, v29
	;; [unrolled: 1-line block ×3, first 2 shown]
	s_delay_alu instid0(VALU_DEP_1) | instskip(NEXT) | instid1(VALU_DEP_3)
	v_sub_f32_e32 v25, v25, v26
	v_sub_f32_e32 v26, v29, v28
	v_max_f32_e64 v28, |v16|, |v16|
	s_delay_alu instid0(VALU_DEP_3) | instskip(SKIP_1) | instid1(VALU_DEP_1)
	v_add_f32_e32 v23, v23, v25
	v_add_f32_e32 v25, v30, v27
	v_dual_add_f32 v23, v26, v23 :: v_dual_sub_f32 v26, v25, v30
	s_delay_alu instid0(VALU_DEP_1) | instskip(NEXT) | instid1(VALU_DEP_2)
	v_add_f32_e32 v23, v31, v23
	v_sub_f32_e32 v26, v27, v26
	v_mul_f32_e32 v31, 0x3f317218, v22
	s_delay_alu instid0(VALU_DEP_3) | instskip(NEXT) | instid1(VALU_DEP_2)
	v_mul_f32_e32 v23, v24, v23
	v_fma_f32 v32, 0x3f317218, v22, -v31
	s_delay_alu instid0(VALU_DEP_1) | instskip(NEXT) | instid1(VALU_DEP_1)
	v_dual_add_f32 v23, v26, v23 :: v_dual_fmac_f32 v32, 0xb102e308, v22
	v_add_f32_e32 v24, v25, v23
	s_delay_alu instid0(VALU_DEP_1) | instskip(SKIP_1) | instid1(VALU_DEP_2)
	v_mul_f32_e32 v26, v24, v24
	v_ldexp_f32 v30, v24, 1
	v_fmaak_f32 v27, s21, v26, 0x3ecc95a3
	v_mul_f32_e32 v29, v24, v26
	v_sub_f32_e32 v24, v24, v25
	s_delay_alu instid0(VALU_DEP_3) | instskip(SKIP_1) | instid1(VALU_DEP_2)
	v_fmaak_f32 v26, v26, v27, 0x3f2aaada
	v_max_f32_e64 v27, |v15|, |v15|
	v_dual_sub_f32 v23, v23, v24 :: v_dual_mul_f32 v26, v29, v26
	s_delay_alu instid0(VALU_DEP_2) | instskip(SKIP_1) | instid1(VALU_DEP_3)
	v_max_f32_e32 v29, v27, v28
	v_min_f32_e32 v27, v27, v28
	v_ldexp_f32 v23, v23, 1
	s_delay_alu instid0(VALU_DEP_4) | instskip(NEXT) | instid1(VALU_DEP_4)
	v_add_f32_e32 v25, v30, v26
	v_frexp_mant_f32_e32 v28, v29
	v_frexp_exp_i32_f32_e32 v29, v29
	s_delay_alu instid0(VALU_DEP_3) | instskip(NEXT) | instid1(VALU_DEP_3)
	v_sub_f32_e32 v24, v25, v30
	v_rcp_f32_e32 v28, v28
	v_frexp_exp_i32_f32_e32 v30, v27
	s_delay_alu instid0(VALU_DEP_2) | instskip(SKIP_1) | instid1(VALU_DEP_3)
	v_sub_f32_e32 v24, v26, v24
	v_frexp_mant_f32_e32 v26, v27
	v_sub_nc_u32_e32 v27, v30, v29
	s_delay_alu instid0(VALU_DEP_3) | instskip(SKIP_1) | instid1(VALU_DEP_1)
	v_add_f32_e32 v22, v23, v24
	v_add_f32_e32 v24, v31, v32
	v_sub_f32_e32 v31, v24, v31
	s_delay_alu instid0(VALU_DEP_1)
	v_sub_f32_e32 v31, v32, v31
	s_delay_alu instid0(TRANS32_DEP_1) | instid1(VALU_DEP_4)
	v_dual_mul_f32 v23, v26, v28 :: v_dual_add_f32 v26, v25, v22
	s_delay_alu instid0(VALU_DEP_1) | instskip(NEXT) | instid1(VALU_DEP_2)
	v_ldexp_f32 v23, v23, v27
	v_add_f32_e32 v27, v24, v26
	s_delay_alu instid0(VALU_DEP_2) | instskip(NEXT) | instid1(VALU_DEP_1)
	v_dual_sub_f32 v25, v26, v25 :: v_dual_mul_f32 v28, v23, v23
	v_dual_sub_f32 v29, v27, v24 :: v_dual_sub_f32 v22, v22, v25
	s_delay_alu instid0(VALU_DEP_1) | instskip(SKIP_1) | instid1(VALU_DEP_3)
	v_dual_fmaak_f32 v30, s26, v28, 0xbc7a590c :: v_dual_sub_f32 v33, v27, v29
	v_sub_f32_e32 v25, v26, v29
	v_add_f32_e32 v29, v31, v22
	s_delay_alu instid0(VALU_DEP_3) | instskip(NEXT) | instid1(VALU_DEP_4)
	v_fmaak_f32 v30, v28, v30, 0x3d29fb3f
	v_sub_f32_e32 v24, v24, v33
	s_delay_alu instid0(VALU_DEP_2) | instskip(NEXT) | instid1(VALU_DEP_1)
	v_fmaak_f32 v26, v28, v30, 0xbd97d4d7
	v_dual_add_f32 v24, v25, v24 :: v_dual_fmaak_f32 v25, v28, v26, 0x3dd931b2
	v_sub_f32_e32 v26, v29, v31
	s_delay_alu instid0(VALU_DEP_2) | instskip(NEXT) | instid1(VALU_DEP_1)
	v_dual_add_f32 v24, v29, v24 :: v_dual_fmaak_f32 v25, v28, v25, 0xbe1160e6
	v_dual_sub_f32 v29, v29, v26 :: v_dual_add_f32 v30, v27, v24
	s_delay_alu instid0(VALU_DEP_2) | instskip(NEXT) | instid1(VALU_DEP_2)
	v_dual_sub_f32 v22, v22, v26 :: v_dual_fmaak_f32 v25, v28, v25, 0x3e4cb8bf
	v_dual_sub_f32 v26, v31, v29 :: v_dual_sub_f32 v27, v30, v27
	s_delay_alu instid0(VALU_DEP_1) | instskip(NEXT) | instid1(VALU_DEP_2)
	v_dual_fmaak_f32 v25, v28, v25, 0xbeaaaa62 :: v_dual_add_f32 v22, v22, v26
	v_sub_f32_e32 v24, v24, v27
	s_delay_alu instid0(VALU_DEP_1) | instskip(NEXT) | instid1(VALU_DEP_1)
	v_dual_mul_f32 v25, v28, v25 :: v_dual_add_f32 v22, v22, v24
	v_dual_fmac_f32 v23, v23, v25 :: v_dual_add_f32 v22, v30, v22
	s_delay_alu instid0(VALU_DEP_1) | instskip(NEXT) | instid1(VALU_DEP_2)
	v_sub_f32_e32 v24, 0x3fc90fdb, v23
	v_cndmask_b32_e32 v22, v22, v3, vcc_lo
	v_cmp_gt_i32_e32 vcc_lo, 0, v15
	s_delay_alu instid0(VALU_DEP_3) | instskip(SKIP_2) | instid1(VALU_DEP_3)
	v_cndmask_b32_e64 v23, v23, v24, s4
	v_cndmask_b32_e64 v24, 0, 0x40490fdb, vcc_lo
	v_cmp_ngt_f32_e32 vcc_lo, -1.0, v3
	v_sub_f32_e32 v25, 0x40490fdb, v23
	v_cndmask_b32_e32 v22, 0x7fc00000, v22, vcc_lo
	v_cmp_gt_f32_e32 vcc_lo, 0, v15
	s_delay_alu instid0(VALU_DEP_2) | instskip(NEXT) | instid1(VALU_DEP_4)
	v_cndmask_b32_e64 v15, 0xff800000, v22, s5
	v_cndmask_b32_e32 v22, v23, v25, vcc_lo
	v_cndmask_b32_e32 v23, 0x3f490fdb, v19, vcc_lo
	v_cmp_gt_f32_e64 vcc_lo, 0x33800000, |v3|
	v_cmp_class_f32_e64 s5, v16, 0x204
	v_cndmask_b32_e32 v3, v15, v3, vcc_lo
	v_cmp_eq_f32_e32 vcc_lo, 0, v16
	s_delay_alu instid0(VALU_DEP_2) | instskip(SKIP_2) | instid1(VALU_DEP_1)
	v_mul_f32_e32 v3, 0.5, v3
	v_cndmask_b32_e32 v15, v22, v24, vcc_lo
	s_and_b32 vcc_lo, s5, s7
                                        ; implicit-def: $vgpr24
	v_cndmask_b32_e32 v22, v15, v23, vcc_lo
                                        ; implicit-def: $vgpr23
.LBB169_266:                            ;   in Loop: Header=BB169_145 Depth=1
	s_and_not1_saveexec_b32 s31, s6
	s_cbranch_execz .LBB169_274
; %bb.267:                              ;   in Loop: Header=BB169_145 Depth=1
	v_mul_f32_e32 v25, v23, v23
                                        ; implicit-def: $vgpr3
                                        ; implicit-def: $vgpr22
	s_mov_b32 s5, exec_lo
	s_delay_alu instid0(VALU_DEP_1) | instskip(NEXT) | instid1(VALU_DEP_1)
	v_fmac_f32_e32 v25, v24, v24
	v_cmpx_ge_f32_e32 0x3f333333, v25
	s_xor_b32 s6, exec_lo, s5
	s_cbranch_execz .LBB169_269
; %bb.268:                              ;   in Loop: Header=BB169_145 Depth=1
	v_max_f32_e64 v3, |v16|, |v16|
	v_max_f32_e64 v22, |v15|, |v15|
	v_cmp_gt_f32_e32 vcc_lo, 0x800000, v25
	v_cmp_gt_i32_e64 s5, 0, v15
	v_cmp_class_f32_e64 s7, v15, 0x204
	v_cmp_class_f32_e64 s8, v16, 0x204
	v_max_f32_e32 v23, v22, v3
	v_min_f32_e32 v3, v22, v3
	v_cndmask_b32_e64 v26, 0, 0x41b17218, vcc_lo
	s_delay_alu instid0(VALU_DEP_3) | instskip(SKIP_1) | instid1(VALU_DEP_2)
	v_frexp_mant_f32_e32 v24, v23
	v_frexp_exp_i32_f32_e32 v23, v23
	v_rcp_f32_e32 v22, v24
	v_frexp_exp_i32_f32_e32 v24, v3
	v_frexp_mant_f32_e32 v3, v3
	s_delay_alu instid0(VALU_DEP_2) | instskip(SKIP_3) | instid1(VALU_DEP_1)
	v_sub_nc_u32_e32 v23, v24, v23
	v_cndmask_b32_e64 v24, 1.0, 0x4f800000, vcc_lo
	s_waitcnt_depctr 0xfff
	v_dual_mul_f32 v3, v3, v22 :: v_dual_mul_f32 v24, v25, v24
	v_ldexp_f32 v3, v3, v23
	s_delay_alu instid0(VALU_DEP_2) | instskip(NEXT) | instid1(VALU_DEP_1)
	v_log_f32_e32 v24, v24
	v_mul_f32_e32 v22, v3, v3
	s_delay_alu instid0(VALU_DEP_1) | instskip(SKIP_3) | instid1(VALU_DEP_1)
	v_fmaak_f32 v23, s26, v22, 0xbc7a590c
	s_waitcnt_depctr 0xfff
	v_cmp_gt_f32_e64 vcc_lo, 0x7f800000, |v24|
	v_fmaak_f32 v23, v22, v23, 0x3d29fb3f
	v_fmaak_f32 v23, v22, v23, 0xbd97d4d7
	s_delay_alu instid0(VALU_DEP_1) | instskip(NEXT) | instid1(VALU_DEP_1)
	v_fmaak_f32 v23, v22, v23, 0x3dd931b2
	v_fmaak_f32 v23, v22, v23, 0xbe1160e6
	s_delay_alu instid0(VALU_DEP_1) | instskip(NEXT) | instid1(VALU_DEP_1)
	;; [unrolled: 3-line block ×3, first 2 shown]
	v_dual_mul_f32 v22, v22, v23 :: v_dual_mul_f32 v23, 0x3f317217, v24
	v_fmac_f32_e32 v3, v3, v22
	s_delay_alu instid0(VALU_DEP_2) | instskip(NEXT) | instid1(VALU_DEP_1)
	v_fma_f32 v22, 0x3f317217, v24, -v23
	v_fmac_f32_e32 v22, 0x3377d1cf, v24
	s_delay_alu instid0(VALU_DEP_1) | instskip(NEXT) | instid1(VALU_DEP_1)
	v_dual_sub_f32 v25, 0x3fc90fdb, v3 :: v_dual_add_f32 v22, v23, v22
	v_cndmask_b32_e64 v3, v3, v25, s4
	v_cndmask_b32_e64 v23, 0, 0x40490fdb, s5
	v_cmp_eq_f32_e64 s5, 0, v16
	s_delay_alu instid0(VALU_DEP_3) | instskip(SKIP_1) | instid1(VALU_DEP_2)
	v_dual_cndmask_b32 v22, v24, v22 :: v_dual_sub_f32 v25, 0x40490fdb, v3
	v_cmp_gt_f32_e32 vcc_lo, 0, v15
                                        ; implicit-def: $vgpr24
	v_sub_f32_e32 v15, v22, v26
	s_delay_alu instid0(VALU_DEP_3) | instskip(NEXT) | instid1(VALU_DEP_1)
	v_cndmask_b32_e32 v3, v3, v25, vcc_lo
	v_cndmask_b32_e64 v22, v3, v23, s5
	v_cndmask_b32_e32 v23, 0x3f490fdb, v19, vcc_lo
	s_and_b32 vcc_lo, s8, s7
	v_mul_f32_e32 v3, 0.5, v15
	s_delay_alu instid0(VALU_DEP_2)
	v_cndmask_b32_e32 v22, v22, v23, vcc_lo
                                        ; implicit-def: $vgpr23
.LBB169_269:                            ;   in Loop: Header=BB169_145 Depth=1
	s_and_not1_saveexec_b32 s33, s6
	s_cbranch_execz .LBB169_273
; %bb.270:                              ;   in Loop: Header=BB169_145 Depth=1
	v_and_b32_e32 v25, 0x7fff0000, v23
	v_and_b32_e32 v22, 0x7fff0000, v24
	s_mov_b32 s34, 0
	s_delay_alu instid0(VALU_DEP_2) | instskip(SKIP_1) | instid1(VALU_DEP_3)
	v_sub_f32_e32 v26, v23, v25
	v_mul_f32_e32 v23, v25, v25
	v_mul_f32_e32 v3, v22, v22
	v_sub_f32_e32 v24, v24, v22
	s_delay_alu instid0(VALU_DEP_1) | instskip(NEXT) | instid1(VALU_DEP_1)
	v_dual_add_f32 v32, v25, v25 :: v_dual_and_b32 v27, 0xffff0000, v24
	v_dual_sub_f32 v25, v24, v27 :: v_dual_and_b32 v28, 0xffff0000, v26
	s_delay_alu instid0(VALU_DEP_1) | instskip(SKIP_2) | instid1(VALU_DEP_3)
	v_dual_add_f32 v29, v22, v22 :: v_dual_mul_f32 v22, v32, v28
	v_dual_sub_f32 v33, v26, v28 :: v_dual_mul_f32 v24, v27, v27
	v_add_f32_e32 v26, v27, v27
	v_dual_mul_f32 v31, v29, v27 :: v_dual_add_f32 v34, v28, v28
	v_dual_mul_f32 v30, v28, v28 :: v_dual_mul_f32 v27, v29, v25
	s_delay_alu instid0(VALU_DEP_4) | instskip(NEXT) | instid1(VALU_DEP_4)
	v_mul_f32_e32 v29, v32, v33
	v_mul_f32_e32 v28, v26, v25
	;; [unrolled: 1-line block ×5, first 2 shown]
.LBB169_271:                            ;   Parent Loop BB169_145 Depth=1
                                        ; =>  This Inner Loop Header: Depth=2
	v_cmp_nlt_f32_e32 vcc_lo, v3, v23
	s_delay_alu instid0(VALU_DEP_2) | instskip(SKIP_1) | instid1(VALU_DEP_2)
	v_dual_mov_b32 v34, v32 :: v_dual_cndmask_b32 v33, v3, v23
	v_cndmask_b32_e32 v3, v23, v3, vcc_lo
	v_cmp_nlt_f32_e64 s5, v33, v31
	s_delay_alu instid0(VALU_DEP_1) | instskip(SKIP_2) | instid1(VALU_DEP_2)
	v_cndmask_b32_e64 v32, v33, v31, s5
	v_cndmask_b32_e64 v23, v31, v33, s5
	s_and_b32 s35, vcc_lo, s5
	v_cmp_nlt_f32_e64 s6, v32, v22
	s_delay_alu instid0(VALU_DEP_1) | instskip(SKIP_1) | instid1(VALU_DEP_2)
	v_cndmask_b32_e64 v35, v32, v22, s6
	v_cndmask_b32_e64 v31, v22, v32, s6
	v_cmp_nlt_f32_e64 s7, v35, v24
	s_delay_alu instid0(VALU_DEP_1) | instskip(SKIP_2) | instid1(VALU_DEP_2)
	v_cndmask_b32_e64 v33, v35, v24, s7
	v_cndmask_b32_e64 v22, v24, v35, s7
	s_and_b32 s36, s6, s7
	v_cmp_nlt_f32_e64 s8, v33, v30
	s_delay_alu instid0(VALU_DEP_1) | instskip(SKIP_1) | instid1(VALU_DEP_2)
	v_cndmask_b32_e64 v36, v33, v30, s8
	v_cndmask_b32_e64 v24, v30, v33, s8
	v_cmp_nlt_f32_e64 s9, v36, v27
	s_delay_alu instid0(VALU_DEP_1) | instskip(SKIP_2) | instid1(VALU_DEP_2)
	v_cndmask_b32_e64 v37, v36, v27, s9
	s_and_b32 s7, s8, s9
	v_cndmask_b32_e64 v30, v27, v36, s9
	v_cmp_nlt_f32_e64 s10, v37, v29
	s_delay_alu instid0(VALU_DEP_1) | instskip(SKIP_2) | instid1(VALU_DEP_2)
	v_cndmask_b32_e64 v38, v37, v29, s10
	s_and_b32 s7, s7, s10
	v_cndmask_b32_e64 v27, v29, v37, s10
	v_cmp_nlt_f32_e32 vcc_lo, v38, v28
	v_cndmask_b32_e32 v39, v38, v28, vcc_lo
	s_and_b32 s8, s7, vcc_lo
	v_cndmask_b32_e32 v29, v28, v38, vcc_lo
	s_delay_alu instid0(VALU_DEP_2) | instskip(NEXT) | instid1(VALU_DEP_1)
	v_cmp_nlt_f32_e64 s5, v39, v26
	v_cndmask_b32_e64 v35, v39, v26, s5
	s_and_b32 s8, s8, s5
	v_cndmask_b32_e64 v28, v26, v39, s5
	s_delay_alu instid0(VALU_DEP_2) | instskip(NEXT) | instid1(VALU_DEP_1)
	v_cmp_nlt_f32_e64 s6, v35, v25
	v_cndmask_b32_e64 v33, v35, v25, s6
	s_and_b32 s8, s8, s6
	v_cndmask_b32_e64 v26, v25, v35, s6
	s_delay_alu instid0(VALU_DEP_2) | instskip(NEXT) | instid1(VALU_DEP_1)
	v_cmp_nlt_f32_e64 s7, v33, v34
	s_and_b32 s8, s8, s7
	v_cndmask_b32_e64 v32, v33, v34, s7
	s_and_b32 s5, s8, s36
	v_cndmask_b32_e64 v25, v34, v33, s7
	s_and_b32 s5, s5, s35
	s_delay_alu instid0(SALU_CYCLE_1) | instskip(NEXT) | instid1(SALU_CYCLE_1)
	s_and_b32 s5, exec_lo, s5
	s_or_b32 s34, s5, s34
	s_delay_alu instid0(SALU_CYCLE_1)
	s_and_not1_b32 exec_lo, exec_lo, s34
	s_cbranch_execnz .LBB169_271
; %bb.272:                              ;   in Loop: Header=BB169_145 Depth=1
	s_or_b32 exec_lo, exec_lo, s34
	v_add_f32_e32 v3, -1.0, v3
	v_cmp_class_f32_e64 s6, v15, 0x204
	s_delay_alu instid0(VALU_DEP_2) | instskip(NEXT) | instid1(VALU_DEP_1)
	v_add_f32_e32 v3, v3, v23
	v_add_f32_e32 v3, v3, v31
	s_delay_alu instid0(VALU_DEP_1) | instskip(NEXT) | instid1(VALU_DEP_1)
	v_add_f32_e32 v3, v3, v22
	v_add_f32_e32 v3, v3, v24
	s_delay_alu instid0(VALU_DEP_1) | instskip(NEXT) | instid1(VALU_DEP_1)
	;; [unrolled: 3-line block ×5, first 2 shown]
	v_add_f32_e32 v3, v32, v3
	v_add_f32_e32 v24, 1.0, v3
	s_delay_alu instid0(VALU_DEP_1) | instskip(NEXT) | instid1(VALU_DEP_1)
	v_cvt_f64_f32_e32 v[22:23], v24
	v_frexp_exp_i32_f64_e32 v22, v[22:23]
	v_frexp_mant_f32_e32 v23, v24
	s_delay_alu instid0(VALU_DEP_1) | instskip(SKIP_1) | instid1(VALU_DEP_1)
	v_cmp_gt_f32_e32 vcc_lo, 0x3f2aaaab, v23
	v_add_f32_e32 v23, -1.0, v24
	v_sub_f32_e32 v26, v23, v24
	s_delay_alu instid0(VALU_DEP_1) | instskip(NEXT) | instid1(VALU_DEP_1)
	v_dual_sub_f32 v23, v3, v23 :: v_dual_add_f32 v26, 1.0, v26
	v_add_f32_e32 v23, v23, v26
	v_subrev_co_ci_u32_e32 v22, vcc_lo, 0, v22, vcc_lo
	s_delay_alu instid0(VALU_DEP_1) | instskip(SKIP_1) | instid1(VALU_DEP_2)
	v_sub_nc_u32_e32 v25, 0, v22
	v_cvt_f32_i32_e32 v22, v22
	v_ldexp_f32 v24, v24, v25
	v_ldexp_f32 v23, v23, v25
	s_delay_alu instid0(VALU_DEP_2) | instskip(NEXT) | instid1(VALU_DEP_1)
	v_add_f32_e32 v27, 1.0, v24
	v_dual_add_f32 v25, -1.0, v24 :: v_dual_add_f32 v26, -1.0, v27
	s_delay_alu instid0(VALU_DEP_1) | instskip(NEXT) | instid1(VALU_DEP_2)
	v_add_f32_e32 v28, 1.0, v25
	v_sub_f32_e32 v26, v24, v26
	s_delay_alu instid0(VALU_DEP_2) | instskip(NEXT) | instid1(VALU_DEP_2)
	v_sub_f32_e32 v24, v24, v28
	v_add_f32_e32 v26, v23, v26
	s_delay_alu instid0(VALU_DEP_2) | instskip(SKIP_2) | instid1(VALU_DEP_4)
	v_add_f32_e32 v23, v23, v24
	v_cmp_eq_f32_e32 vcc_lo, 0x7f800000, v3
	v_cmp_neq_f32_e64 s5, -1.0, v3
	v_add_f32_e32 v28, v27, v26
	s_delay_alu instid0(VALU_DEP_1) | instskip(SKIP_1) | instid1(VALU_DEP_1)
	v_rcp_f32_e32 v24, v28
	v_sub_f32_e32 v27, v28, v27
	v_sub_f32_e32 v26, v26, v27
	v_add_f32_e32 v29, v25, v23
	s_waitcnt_depctr 0xfff
	v_mul_f32_e32 v30, v29, v24
	s_delay_alu instid0(VALU_DEP_1) | instskip(NEXT) | instid1(VALU_DEP_1)
	v_mul_f32_e32 v31, v28, v30
	v_fma_f32 v27, v30, v28, -v31
	s_delay_alu instid0(VALU_DEP_1) | instskip(NEXT) | instid1(VALU_DEP_1)
	v_fmac_f32_e32 v27, v30, v26
	v_dual_add_f32 v32, v31, v27 :: v_dual_sub_f32 v25, v29, v25
	s_delay_alu instid0(VALU_DEP_1) | instskip(NEXT) | instid1(VALU_DEP_2)
	v_sub_f32_e32 v33, v29, v32
	v_sub_f32_e32 v23, v23, v25
	;; [unrolled: 1-line block ×3, first 2 shown]
	s_delay_alu instid0(VALU_DEP_3) | instskip(NEXT) | instid1(VALU_DEP_2)
	v_sub_f32_e32 v29, v29, v33
	v_sub_f32_e32 v25, v25, v27
	s_delay_alu instid0(VALU_DEP_2) | instskip(NEXT) | instid1(VALU_DEP_1)
	v_sub_f32_e32 v29, v29, v32
	v_add_f32_e32 v23, v23, v29
	s_delay_alu instid0(VALU_DEP_1) | instskip(NEXT) | instid1(VALU_DEP_1)
	v_add_f32_e32 v23, v25, v23
	v_add_f32_e32 v25, v33, v23
	s_delay_alu instid0(VALU_DEP_1) | instskip(NEXT) | instid1(VALU_DEP_1)
	v_mul_f32_e32 v27, v24, v25
	v_dual_sub_f32 v32, v33, v25 :: v_dual_mul_f32 v29, v28, v27
	s_delay_alu instid0(VALU_DEP_1) | instskip(NEXT) | instid1(VALU_DEP_2)
	v_add_f32_e32 v23, v23, v32
	v_fma_f32 v28, v27, v28, -v29
	s_delay_alu instid0(VALU_DEP_1) | instskip(NEXT) | instid1(VALU_DEP_1)
	v_fmac_f32_e32 v28, v27, v26
	v_add_f32_e32 v26, v29, v28
	s_delay_alu instid0(VALU_DEP_1) | instskip(SKIP_1) | instid1(VALU_DEP_2)
	v_sub_f32_e32 v31, v25, v26
	v_sub_f32_e32 v29, v26, v29
	;; [unrolled: 1-line block ×3, first 2 shown]
	s_delay_alu instid0(VALU_DEP_1) | instskip(NEXT) | instid1(VALU_DEP_3)
	v_sub_f32_e32 v25, v25, v26
	v_sub_f32_e32 v26, v29, v28
	v_max_f32_e64 v28, |v16|, |v16|
	s_delay_alu instid0(VALU_DEP_3) | instskip(SKIP_1) | instid1(VALU_DEP_1)
	v_add_f32_e32 v23, v23, v25
	v_add_f32_e32 v25, v30, v27
	v_dual_add_f32 v23, v26, v23 :: v_dual_sub_f32 v26, v25, v30
	s_delay_alu instid0(VALU_DEP_1) | instskip(NEXT) | instid1(VALU_DEP_2)
	v_add_f32_e32 v23, v31, v23
	v_sub_f32_e32 v26, v27, v26
	v_mul_f32_e32 v31, 0x3f317218, v22
	s_delay_alu instid0(VALU_DEP_3) | instskip(NEXT) | instid1(VALU_DEP_2)
	v_mul_f32_e32 v23, v24, v23
	v_fma_f32 v32, 0x3f317218, v22, -v31
	s_delay_alu instid0(VALU_DEP_1) | instskip(NEXT) | instid1(VALU_DEP_1)
	v_dual_add_f32 v23, v26, v23 :: v_dual_fmac_f32 v32, 0xb102e308, v22
	v_add_f32_e32 v24, v25, v23
	s_delay_alu instid0(VALU_DEP_1) | instskip(SKIP_1) | instid1(VALU_DEP_2)
	v_mul_f32_e32 v26, v24, v24
	v_ldexp_f32 v30, v24, 1
	v_fmaak_f32 v27, s21, v26, 0x3ecc95a3
	v_mul_f32_e32 v29, v24, v26
	v_sub_f32_e32 v24, v24, v25
	s_delay_alu instid0(VALU_DEP_3) | instskip(SKIP_1) | instid1(VALU_DEP_2)
	v_fmaak_f32 v26, v26, v27, 0x3f2aaada
	v_max_f32_e64 v27, |v15|, |v15|
	v_dual_sub_f32 v23, v23, v24 :: v_dual_mul_f32 v26, v29, v26
	s_delay_alu instid0(VALU_DEP_2) | instskip(SKIP_1) | instid1(VALU_DEP_3)
	v_max_f32_e32 v29, v27, v28
	v_min_f32_e32 v27, v27, v28
	v_ldexp_f32 v23, v23, 1
	s_delay_alu instid0(VALU_DEP_4) | instskip(NEXT) | instid1(VALU_DEP_4)
	v_add_f32_e32 v25, v30, v26
	v_frexp_mant_f32_e32 v28, v29
	v_frexp_exp_i32_f32_e32 v29, v29
	s_delay_alu instid0(VALU_DEP_3) | instskip(NEXT) | instid1(VALU_DEP_3)
	v_sub_f32_e32 v24, v25, v30
	v_rcp_f32_e32 v28, v28
	v_frexp_exp_i32_f32_e32 v30, v27
	s_delay_alu instid0(VALU_DEP_2) | instskip(SKIP_1) | instid1(VALU_DEP_3)
	v_sub_f32_e32 v24, v26, v24
	v_frexp_mant_f32_e32 v26, v27
	v_sub_nc_u32_e32 v27, v30, v29
	s_delay_alu instid0(VALU_DEP_3) | instskip(SKIP_4) | instid1(VALU_DEP_3)
	v_add_f32_e32 v22, v23, v24
	s_waitcnt_depctr 0xfff
	v_mul_f32_e32 v23, v26, v28
	v_add_f32_e32 v24, v31, v32
	v_add_f32_e32 v26, v25, v22
	v_ldexp_f32 v23, v23, v27
	s_delay_alu instid0(VALU_DEP_3) | instskip(NEXT) | instid1(VALU_DEP_2)
	v_sub_f32_e32 v31, v24, v31
	v_dual_add_f32 v27, v24, v26 :: v_dual_mul_f32 v28, v23, v23
	v_sub_f32_e32 v25, v26, v25
	s_delay_alu instid0(VALU_DEP_3) | instskip(NEXT) | instid1(VALU_DEP_3)
	v_sub_f32_e32 v31, v32, v31
	v_sub_f32_e32 v29, v27, v24
	s_delay_alu instid0(VALU_DEP_4) | instskip(NEXT) | instid1(VALU_DEP_4)
	v_fmaak_f32 v30, s26, v28, 0xbc7a590c
	v_sub_f32_e32 v22, v22, v25
	s_delay_alu instid0(VALU_DEP_2) | instskip(SKIP_1) | instid1(VALU_DEP_2)
	v_dual_sub_f32 v33, v27, v29 :: v_dual_fmaak_f32 v30, v28, v30, 0x3d29fb3f
	v_sub_f32_e32 v25, v26, v29
	v_dual_add_f32 v29, v31, v22 :: v_dual_sub_f32 v24, v24, v33
	s_delay_alu instid0(VALU_DEP_3) | instskip(NEXT) | instid1(VALU_DEP_1)
	v_fmaak_f32 v26, v28, v30, 0xbd97d4d7
	v_dual_add_f32 v24, v25, v24 :: v_dual_fmaak_f32 v25, v28, v26, 0x3dd931b2
	s_delay_alu instid0(VALU_DEP_3) | instskip(NEXT) | instid1(VALU_DEP_2)
	v_sub_f32_e32 v26, v29, v31
	v_dual_add_f32 v24, v29, v24 :: v_dual_fmaak_f32 v25, v28, v25, 0xbe1160e6
	s_delay_alu instid0(VALU_DEP_2) | instskip(SKIP_1) | instid1(VALU_DEP_3)
	v_sub_f32_e32 v29, v29, v26
	v_sub_f32_e32 v22, v22, v26
	v_dual_add_f32 v30, v27, v24 :: v_dual_fmaak_f32 v25, v28, v25, 0x3e4cb8bf
	s_delay_alu instid0(VALU_DEP_1) | instskip(NEXT) | instid1(VALU_DEP_1)
	v_dual_sub_f32 v26, v31, v29 :: v_dual_sub_f32 v27, v30, v27
	v_dual_fmaak_f32 v25, v28, v25, 0xbeaaaa62 :: v_dual_add_f32 v22, v22, v26
	s_delay_alu instid0(VALU_DEP_2) | instskip(NEXT) | instid1(VALU_DEP_1)
	v_sub_f32_e32 v24, v24, v27
	v_dual_mul_f32 v25, v28, v25 :: v_dual_add_f32 v22, v22, v24
	s_delay_alu instid0(VALU_DEP_1) | instskip(NEXT) | instid1(VALU_DEP_1)
	v_dual_fmac_f32 v23, v23, v25 :: v_dual_add_f32 v22, v30, v22
	v_sub_f32_e32 v24, 0x3fc90fdb, v23
	s_delay_alu instid0(VALU_DEP_2) | instskip(SKIP_1) | instid1(VALU_DEP_3)
	v_cndmask_b32_e32 v22, v22, v3, vcc_lo
	v_cmp_gt_i32_e32 vcc_lo, 0, v15
	v_cndmask_b32_e64 v23, v23, v24, s4
	v_cndmask_b32_e64 v24, 0, 0x40490fdb, vcc_lo
	v_cmp_ngt_f32_e32 vcc_lo, -1.0, v3
	s_delay_alu instid0(VALU_DEP_3) | instskip(SKIP_2) | instid1(VALU_DEP_2)
	v_sub_f32_e32 v25, 0x40490fdb, v23
	v_cndmask_b32_e32 v22, 0x7fc00000, v22, vcc_lo
	v_cmp_gt_f32_e32 vcc_lo, 0, v15
	v_cndmask_b32_e64 v15, 0xff800000, v22, s5
	s_delay_alu instid0(VALU_DEP_4)
	v_cndmask_b32_e32 v22, v23, v25, vcc_lo
	v_cndmask_b32_e32 v23, 0x3f490fdb, v19, vcc_lo
	v_cmp_gt_f32_e64 vcc_lo, 0x33800000, |v3|
	v_cmp_class_f32_e64 s5, v16, 0x204
	v_cndmask_b32_e32 v3, v15, v3, vcc_lo
	v_cmp_eq_f32_e32 vcc_lo, 0, v16
	s_delay_alu instid0(VALU_DEP_2) | instskip(SKIP_2) | instid1(VALU_DEP_1)
	v_mul_f32_e32 v3, 0.5, v3
	v_cndmask_b32_e32 v15, v22, v24, vcc_lo
	s_and_b32 vcc_lo, s5, s6
	v_cndmask_b32_e32 v22, v15, v23, vcc_lo
.LBB169_273:                            ;   in Loop: Header=BB169_145 Depth=1
	s_or_b32 exec_lo, exec_lo, s33
.LBB169_274:                            ;   in Loop: Header=BB169_145 Depth=1
	s_delay_alu instid0(SALU_CYCLE_1)
	s_or_b32 exec_lo, exec_lo, s31
.LBB169_275:                            ;   in Loop: Header=BB169_145 Depth=1
	s_and_not1_saveexec_b32 s6, s30
	s_cbranch_execz .LBB169_277
; %bb.276:                              ;   in Loop: Header=BB169_145 Depth=1
	v_max_f32_e64 v3, |v16|, |v16|
	v_max_f32_e64 v24, |v15|, |v15|
	v_cmp_gt_i32_e64 s5, 0, v15
	v_cmp_class_f32_e64 s7, v15, 0x204
	v_cmp_class_f32_e64 s8, v16, 0x204
	s_delay_alu instid0(VALU_DEP_4) | instskip(SKIP_1) | instid1(VALU_DEP_2)
	v_max_f32_e32 v25, v24, v3
	v_min_f32_e32 v3, v24, v3
	v_cvt_f64_f32_e32 v[22:23], v25
	v_frexp_exp_i32_f32_e32 v24, v25
	s_delay_alu instid0(VALU_DEP_3) | instskip(SKIP_1) | instid1(VALU_DEP_2)
	v_frexp_exp_i32_f32_e32 v26, v3
	v_frexp_mant_f32_e32 v3, v3
	v_sub_nc_u32_e32 v24, v26, v24
	v_frexp_exp_i32_f64_e32 v22, v[22:23]
	v_frexp_mant_f32_e32 v23, v25
	s_delay_alu instid0(VALU_DEP_1) | instskip(SKIP_2) | instid1(VALU_DEP_1)
	v_rcp_f32_e32 v23, v23
	s_waitcnt_depctr 0xfff
	v_mul_f32_e32 v3, v3, v23
	v_ldexp_f32 v3, v3, v24
	v_sub_nc_u32_e32 v27, 0, v22
	s_delay_alu instid0(VALU_DEP_1) | instskip(SKIP_1) | instid1(VALU_DEP_2)
	v_ldexp_f32 v23, |v16|, v27
	v_ldexp_f32 v24, |v15|, v27
	v_mul_f32_e32 v23, v23, v23
	s_delay_alu instid0(VALU_DEP_1) | instskip(NEXT) | instid1(VALU_DEP_1)
	v_dual_mul_f32 v26, v3, v3 :: v_dual_fmac_f32 v23, v24, v24
	v_fmaak_f32 v24, s26, v26, 0xbc7a590c
	v_cmp_neq_f32_e32 vcc_lo, 0x7f800000, v25
	s_delay_alu instid0(VALU_DEP_3) | instskip(NEXT) | instid1(VALU_DEP_2)
	v_sqrt_f32_e32 v23, v23
	v_fmaak_f32 v24, v26, v24, 0x3d29fb3f
	s_delay_alu instid0(VALU_DEP_1) | instskip(SKIP_3) | instid1(VALU_DEP_2)
	v_fmaak_f32 v24, v26, v24, 0xbd97d4d7
	s_waitcnt_depctr 0xfff
	v_ldexp_f32 v22, v23, v22
	v_fmaak_f32 v23, v26, v24, 0x3dd931b2
	v_cndmask_b32_e32 v22, 0x7f800000, v22, vcc_lo
	s_delay_alu instid0(VALU_DEP_2) | instskip(NEXT) | instid1(VALU_DEP_2)
	v_fmaak_f32 v23, v26, v23, 0xbe1160e6
	v_cmp_gt_f32_e32 vcc_lo, 0x800000, v22
	s_delay_alu instid0(VALU_DEP_2) | instskip(SKIP_1) | instid1(VALU_DEP_2)
	v_fmaak_f32 v23, v26, v23, 0x3e4cb8bf
	v_cndmask_b32_e64 v24, 1.0, 0x4f800000, vcc_lo
	v_fmaak_f32 v23, v26, v23, 0xbeaaaa62
	s_delay_alu instid0(VALU_DEP_1) | instskip(NEXT) | instid1(VALU_DEP_1)
	v_mul_f32_e32 v23, v26, v23
	v_dual_mul_f32 v22, v22, v24 :: v_dual_fmac_f32 v3, v3, v23
	s_delay_alu instid0(VALU_DEP_1) | instskip(SKIP_2) | instid1(VALU_DEP_1)
	v_log_f32_e32 v22, v22
	s_waitcnt_depctr 0xfff
	v_mul_f32_e32 v23, 0x3f317217, v22
	v_fma_f32 v25, 0x3f317217, v22, -v23
	s_delay_alu instid0(VALU_DEP_1) | instskip(SKIP_1) | instid1(VALU_DEP_1)
	v_fmac_f32_e32 v25, 0x3377d1cf, v22
	v_sub_f32_e32 v24, 0x3fc90fdb, v3
	v_cndmask_b32_e64 v3, v3, v24, s4
	v_cndmask_b32_e64 v24, 0, 0x40490fdb, s5
	v_cmp_gt_f32_e64 s5, 0, v15
	v_add_f32_e32 v15, v23, v25
	v_cndmask_b32_e64 v25, 0, 0x41b17218, vcc_lo
	v_cmp_gt_f32_e64 vcc_lo, 0x7f800000, |v22|
	s_delay_alu instid0(VALU_DEP_4) | instskip(NEXT) | instid1(VALU_DEP_4)
	v_cndmask_b32_e64 v23, 0x3f490fdb, v19, s5
	v_cndmask_b32_e32 v15, v22, v15, vcc_lo
	v_sub_f32_e32 v26, 0x40490fdb, v3
	v_cmp_eq_f32_e32 vcc_lo, 0, v16
	s_delay_alu instid0(VALU_DEP_2) | instskip(NEXT) | instid1(VALU_DEP_1)
	v_cndmask_b32_e64 v3, v3, v26, s5
	v_cndmask_b32_e32 v22, v3, v24, vcc_lo
	v_sub_f32_e32 v3, v15, v25
	s_and_b32 vcc_lo, s8, s7
	s_delay_alu instid0(VALU_DEP_2)
	v_cndmask_b32_e32 v22, v22, v23, vcc_lo
.LBB169_277:                            ;   in Loop: Header=BB169_145 Depth=1
	s_or_b32 exec_lo, exec_lo, s6
                                        ; implicit-def: $vgpr23
.LBB169_278:                            ;   in Loop: Header=BB169_145 Depth=1
	s_and_not1_saveexec_b32 s6, s29
	s_cbranch_execz .LBB169_284
; %bb.279:                              ;   in Loop: Header=BB169_145 Depth=1
                                        ; implicit-def: $vgpr3
                                        ; implicit-def: $vgpr22
	s_mov_b32 s5, exec_lo
	v_cmpx_ngt_f32_e32 0x1fec1e4a, v23
	s_xor_b32 s7, exec_lo, s5
	s_cbranch_execz .LBB169_281
; %bb.280:                              ;   in Loop: Header=BB169_145 Depth=1
	v_mul_f32_e32 v3, v23, v23
	v_cmp_class_f32_e64 s8, v15, 0x204
	v_cmp_gt_f32_e64 s5, 0, v15
	v_cmp_class_f32_e64 s10, v16, 0x204
	s_delay_alu instid0(VALU_DEP_4) | instskip(NEXT) | instid1(VALU_DEP_1)
	v_add_f32_e32 v24, 1.0, v3
	v_cvt_f64_f32_e32 v[22:23], v24
	s_delay_alu instid0(VALU_DEP_1) | instskip(SKIP_1) | instid1(VALU_DEP_1)
	v_frexp_exp_i32_f64_e32 v22, v[22:23]
	v_frexp_mant_f32_e32 v23, v24
	v_cmp_gt_f32_e32 vcc_lo, 0x3f2aaaab, v23
	v_add_f32_e32 v23, -1.0, v24
	s_delay_alu instid0(VALU_DEP_1) | instskip(NEXT) | instid1(VALU_DEP_1)
	v_sub_f32_e32 v26, v23, v24
	v_dual_add_f32 v26, 1.0, v26 :: v_dual_sub_f32 v23, v3, v23
	v_cmp_gt_f32_e64 s9, 0x33800000, |v3|
	s_delay_alu instid0(VALU_DEP_2) | instskip(SKIP_2) | instid1(VALU_DEP_2)
	v_add_f32_e32 v23, v23, v26
	v_subrev_co_ci_u32_e32 v22, vcc_lo, 0, v22, vcc_lo
	v_cmp_gt_i32_e32 vcc_lo, 0, v15
	v_sub_nc_u32_e32 v25, 0, v22
	v_cvt_f32_i32_e32 v22, v22
	s_delay_alu instid0(VALU_DEP_2) | instskip(SKIP_1) | instid1(VALU_DEP_2)
	v_ldexp_f32 v24, v24, v25
	v_ldexp_f32 v23, v23, v25
	v_add_f32_e32 v25, -1.0, v24
	s_delay_alu instid0(VALU_DEP_1) | instskip(NEXT) | instid1(VALU_DEP_1)
	v_dual_add_f32 v27, 1.0, v24 :: v_dual_add_f32 v28, 1.0, v25
	v_add_f32_e32 v26, -1.0, v27
	s_delay_alu instid0(VALU_DEP_1) | instskip(NEXT) | instid1(VALU_DEP_3)
	v_sub_f32_e32 v26, v24, v26
	v_sub_f32_e32 v24, v24, v28
	s_delay_alu instid0(VALU_DEP_2) | instskip(NEXT) | instid1(VALU_DEP_2)
	v_add_f32_e32 v26, v23, v26
	v_add_f32_e32 v23, v23, v24
	s_delay_alu instid0(VALU_DEP_1) | instskip(NEXT) | instid1(VALU_DEP_1)
	v_dual_add_f32 v29, v25, v23 :: v_dual_add_f32 v28, v27, v26
	v_rcp_f32_e32 v24, v28
	v_sub_f32_e32 v27, v27, v28
	s_delay_alu instid0(VALU_DEP_1) | instskip(SKIP_2) | instid1(VALU_DEP_1)
	v_dual_add_f32 v26, v26, v27 :: v_dual_sub_f32 v25, v25, v29
	s_waitcnt_depctr 0xfff
	v_dual_mul_f32 v30, v29, v24 :: v_dual_add_f32 v23, v23, v25
	v_mul_f32_e32 v31, v28, v30
	s_delay_alu instid0(VALU_DEP_1) | instskip(NEXT) | instid1(VALU_DEP_1)
	v_fma_f32 v27, v30, v28, -v31
	v_fmac_f32_e32 v27, v30, v26
	s_delay_alu instid0(VALU_DEP_1) | instskip(NEXT) | instid1(VALU_DEP_1)
	v_add_f32_e32 v32, v31, v27
	v_sub_f32_e32 v33, v29, v32
	s_delay_alu instid0(VALU_DEP_1) | instskip(SKIP_1) | instid1(VALU_DEP_2)
	v_sub_f32_e32 v29, v29, v33
	v_sub_f32_e32 v25, v32, v31
	;; [unrolled: 1-line block ×3, first 2 shown]
	s_delay_alu instid0(VALU_DEP_2) | instskip(NEXT) | instid1(VALU_DEP_2)
	v_sub_f32_e32 v25, v25, v27
	v_add_f32_e32 v23, v23, v29
	s_delay_alu instid0(VALU_DEP_1) | instskip(NEXT) | instid1(VALU_DEP_1)
	v_add_f32_e32 v23, v25, v23
	v_add_f32_e32 v25, v33, v23
	s_delay_alu instid0(VALU_DEP_1) | instskip(NEXT) | instid1(VALU_DEP_1)
	v_mul_f32_e32 v27, v24, v25
	v_dual_sub_f32 v32, v33, v25 :: v_dual_mul_f32 v29, v28, v27
	s_delay_alu instid0(VALU_DEP_1) | instskip(NEXT) | instid1(VALU_DEP_2)
	v_add_f32_e32 v23, v23, v32
	v_fma_f32 v28, v27, v28, -v29
	s_delay_alu instid0(VALU_DEP_1) | instskip(NEXT) | instid1(VALU_DEP_1)
	v_fmac_f32_e32 v28, v27, v26
	v_add_f32_e32 v26, v29, v28
	s_delay_alu instid0(VALU_DEP_1) | instskip(SKIP_1) | instid1(VALU_DEP_2)
	v_sub_f32_e32 v31, v25, v26
	v_sub_f32_e32 v29, v26, v29
	;; [unrolled: 1-line block ×3, first 2 shown]
	s_delay_alu instid0(VALU_DEP_1) | instskip(NEXT) | instid1(VALU_DEP_1)
	v_sub_f32_e32 v25, v25, v26
	v_dual_sub_f32 v26, v29, v28 :: v_dual_add_f32 v23, v23, v25
	v_add_f32_e32 v25, v30, v27
	s_delay_alu instid0(VALU_DEP_1) | instskip(NEXT) | instid1(VALU_DEP_1)
	v_dual_add_f32 v23, v26, v23 :: v_dual_sub_f32 v26, v25, v30
	v_add_f32_e32 v23, v31, v23
	s_delay_alu instid0(VALU_DEP_2) | instskip(SKIP_1) | instid1(VALU_DEP_3)
	v_sub_f32_e32 v26, v27, v26
	v_max_f32_e64 v27, |v15|, |v15|
	v_mul_f32_e32 v23, v24, v23
	v_max_f32_e64 v24, |v16|, |v16|
	s_delay_alu instid0(VALU_DEP_2) | instskip(NEXT) | instid1(VALU_DEP_2)
	v_add_f32_e32 v23, v26, v23
	v_max_f32_e32 v29, v27, v24
	v_min_f32_e32 v24, v27, v24
	s_delay_alu instid0(VALU_DEP_3) | instskip(NEXT) | instid1(VALU_DEP_3)
	v_add_f32_e32 v26, v25, v23
	v_frexp_mant_f32_e32 v31, v29
	v_frexp_exp_i32_f32_e32 v27, v29
	s_delay_alu instid0(VALU_DEP_3) | instskip(SKIP_1) | instid1(VALU_DEP_2)
	v_mul_f32_e32 v28, v26, v26
	v_ldexp_f32 v32, v26, 1
	v_dual_sub_f32 v25, v26, v25 :: v_dual_fmaak_f32 v30, s21, v28, 0x3ecc95a3
	v_mul_f32_e32 v29, v26, v28
	s_delay_alu instid0(VALU_DEP_2) | instskip(SKIP_3) | instid1(VALU_DEP_3)
	v_dual_sub_f32 v23, v23, v25 :: v_dual_fmaak_f32 v28, v28, v30, 0x3f2aaada
	v_rcp_f32_e32 v30, v31
	v_frexp_exp_i32_f32_e32 v31, v24
	v_frexp_mant_f32_e32 v24, v24
	v_ldexp_f32 v23, v23, 1
	v_dual_mul_f32 v28, v29, v28 :: v_dual_mul_f32 v29, 0x3f317218, v22
	s_delay_alu instid0(VALU_DEP_4) | instskip(NEXT) | instid1(VALU_DEP_2)
	v_sub_nc_u32_e32 v27, v31, v27
	v_add_f32_e32 v26, v32, v28
	s_delay_alu instid0(TRANS32_DEP_1) | instid1(VALU_DEP_1)
	v_dual_mul_f32 v24, v24, v30 :: v_dual_sub_f32 v25, v26, v32
	s_delay_alu instid0(VALU_DEP_1) | instskip(SKIP_1) | instid1(VALU_DEP_3)
	v_ldexp_f32 v24, v24, v27
	v_fma_f32 v27, 0x3f317218, v22, -v29
	v_sub_f32_e32 v25, v28, v25
	s_delay_alu instid0(VALU_DEP_2) | instskip(NEXT) | instid1(VALU_DEP_1)
	v_dual_mul_f32 v28, v24, v24 :: v_dual_fmac_f32 v27, 0xb102e308, v22
	v_dual_add_f32 v22, v23, v25 :: v_dual_fmaak_f32 v23, s26, v28, 0xbc7a590c
	s_delay_alu instid0(VALU_DEP_1) | instskip(NEXT) | instid1(VALU_DEP_2)
	v_dual_add_f32 v25, v29, v27 :: v_dual_add_f32 v30, v26, v22
	v_fmaak_f32 v23, v28, v23, 0x3d29fb3f
	s_delay_alu instid0(VALU_DEP_2) | instskip(NEXT) | instid1(VALU_DEP_3)
	v_sub_f32_e32 v29, v25, v29
	v_add_f32_e32 v31, v25, v30
	s_delay_alu instid0(VALU_DEP_3) | instskip(NEXT) | instid1(VALU_DEP_3)
	v_dual_fmaak_f32 v23, v28, v23, 0xbd97d4d7 :: v_dual_sub_f32 v26, v30, v26
	v_sub_f32_e32 v27, v27, v29
	s_delay_alu instid0(VALU_DEP_2) | instskip(NEXT) | instid1(VALU_DEP_1)
	v_dual_sub_f32 v32, v31, v25 :: v_dual_fmaak_f32 v23, v28, v23, 0x3dd931b2
	v_dual_sub_f32 v22, v22, v26 :: v_dual_sub_f32 v33, v31, v32
	s_delay_alu instid0(VALU_DEP_2) | instskip(NEXT) | instid1(VALU_DEP_2)
	v_dual_fmaak_f32 v23, v28, v23, 0xbe1160e6 :: v_dual_sub_f32 v26, v30, v32
	v_add_f32_e32 v29, v27, v22
	s_delay_alu instid0(VALU_DEP_3) | instskip(NEXT) | instid1(VALU_DEP_3)
	v_sub_f32_e32 v25, v25, v33
	v_fmaak_f32 v23, v28, v23, 0x3e4cb8bf
	s_delay_alu instid0(VALU_DEP_2) | instskip(NEXT) | instid1(VALU_DEP_2)
	v_add_f32_e32 v25, v26, v25
	v_fmaak_f32 v23, v28, v23, 0xbeaaaa62
	v_sub_f32_e32 v26, v29, v27
	s_delay_alu instid0(VALU_DEP_3) | instskip(NEXT) | instid1(VALU_DEP_2)
	v_add_f32_e32 v25, v29, v25
	v_dual_mul_f32 v23, v28, v23 :: v_dual_sub_f32 v28, v29, v26
	s_delay_alu instid0(VALU_DEP_2) | instskip(NEXT) | instid1(VALU_DEP_2)
	v_dual_sub_f32 v22, v22, v26 :: v_dual_add_f32 v29, v31, v25
	v_dual_fmac_f32 v24, v24, v23 :: v_dual_sub_f32 v23, v27, v28
	s_delay_alu instid0(VALU_DEP_1) | instskip(NEXT) | instid1(VALU_DEP_1)
	v_dual_sub_f32 v26, v29, v31 :: v_dual_sub_f32 v27, 0x3fc90fdb, v24
	v_dual_add_f32 v22, v22, v23 :: v_dual_sub_f32 v23, v25, v26
	s_delay_alu instid0(VALU_DEP_2) | instskip(SKIP_2) | instid1(VALU_DEP_3)
	v_cndmask_b32_e64 v24, v24, v27, s4
	v_cndmask_b32_e64 v25, 0, 0x40490fdb, vcc_lo
	v_cmp_eq_f32_e32 vcc_lo, 0x7f800000, v3
	v_dual_add_f32 v22, v22, v23 :: v_dual_sub_f32 v23, 0x40490fdb, v24
	s_or_b32 vcc_lo, vcc_lo, s9
	s_delay_alu instid0(VALU_DEP_1) | instskip(NEXT) | instid1(VALU_DEP_2)
	v_add_f32_e32 v15, v29, v22
	v_cndmask_b32_e64 v22, v24, v23, s5
	v_cndmask_b32_e64 v23, 0x3f490fdb, v19, s5
	s_delay_alu instid0(VALU_DEP_3) | instskip(SKIP_1) | instid1(VALU_DEP_2)
	v_cndmask_b32_e32 v3, v15, v3, vcc_lo
	v_cmp_eq_f32_e32 vcc_lo, 0, v16
	v_mul_f32_e32 v3, 0.5, v3
	v_cndmask_b32_e32 v15, v22, v25, vcc_lo
	s_and_b32 vcc_lo, s10, s8
	s_delay_alu instid0(VALU_DEP_1)
	v_cndmask_b32_e32 v22, v15, v23, vcc_lo
                                        ; implicit-def: $vgpr23
.LBB169_281:                            ;   in Loop: Header=BB169_145 Depth=1
	s_and_not1_saveexec_b32 s7, s7
	s_cbranch_execz .LBB169_283
; %bb.282:                              ;   in Loop: Header=BB169_145 Depth=1
	v_max_f32_e64 v3, |v16|, |v16|
	v_max_f32_e64 v22, |v15|, |v15|
	v_cmp_gt_i32_e32 vcc_lo, 0, v15
	v_cmp_eq_f32_e64 s5, 0, v16
	v_cmp_class_f32_e64 s8, v15, 0x204
	v_cmp_class_f32_e64 s9, v16, 0x204
	v_max_f32_e32 v24, v22, v3
	v_min_f32_e32 v3, v22, v3
	s_delay_alu instid0(VALU_DEP_2) | instskip(NEXT) | instid1(VALU_DEP_1)
	v_frexp_mant_f32_e32 v25, v24
	v_rcp_f32_e32 v22, v25
	s_delay_alu instid0(VALU_DEP_2) | instskip(SKIP_4) | instid1(VALU_DEP_1)
	v_frexp_exp_i32_f32_e32 v25, v3
	v_frexp_mant_f32_e32 v3, v3
	s_waitcnt_depctr 0xfff
	v_mul_f32_e32 v3, v3, v22
	v_frexp_exp_i32_f32_e32 v24, v24
	v_sub_nc_u32_e32 v24, v25, v24
	s_delay_alu instid0(VALU_DEP_1) | instskip(NEXT) | instid1(VALU_DEP_1)
	v_ldexp_f32 v3, v3, v24
	v_mul_f32_e32 v22, v3, v3
	s_delay_alu instid0(VALU_DEP_1) | instskip(NEXT) | instid1(VALU_DEP_1)
	v_fmaak_f32 v24, s26, v22, 0xbc7a590c
	v_fmaak_f32 v24, v22, v24, 0x3d29fb3f
	s_delay_alu instid0(VALU_DEP_1) | instskip(NEXT) | instid1(VALU_DEP_1)
	v_fmaak_f32 v24, v22, v24, 0xbd97d4d7
	v_fmaak_f32 v24, v22, v24, 0x3dd931b2
	;; [unrolled: 3-line block ×3, first 2 shown]
	s_delay_alu instid0(VALU_DEP_1) | instskip(NEXT) | instid1(VALU_DEP_1)
	v_fmaak_f32 v24, v22, v24, 0xbeaaaa62
	v_mul_f32_e32 v22, v22, v24
	v_cndmask_b32_e64 v24, 0, 0x40490fdb, vcc_lo
	v_cmp_gt_f32_e32 vcc_lo, 0, v15
	s_delay_alu instid0(VALU_DEP_3) | instskip(NEXT) | instid1(VALU_DEP_1)
	v_fmac_f32_e32 v3, v3, v22
	v_sub_f32_e32 v22, 0x3fc90fdb, v3
	s_delay_alu instid0(VALU_DEP_1) | instskip(NEXT) | instid1(VALU_DEP_1)
	v_cndmask_b32_e64 v3, v3, v22, s4
	v_sub_f32_e32 v22, 0x40490fdb, v3
	s_delay_alu instid0(VALU_DEP_1) | instskip(NEXT) | instid1(VALU_DEP_1)
	v_dual_cndmask_b32 v3, v3, v22 :: v_dual_mul_f32 v22, 0.5, v23
	v_cndmask_b32_e64 v15, v3, v24, s5
	s_delay_alu instid0(VALU_DEP_2) | instskip(SKIP_1) | instid1(VALU_DEP_1)
	v_dual_mul_f32 v3, v23, v22 :: v_dual_cndmask_b32 v24, 0x3f490fdb, v19
	s_and_b32 vcc_lo, s9, s8
	v_cndmask_b32_e32 v22, v15, v24, vcc_lo
.LBB169_283:                            ;   in Loop: Header=BB169_145 Depth=1
	s_or_b32 exec_lo, exec_lo, s7
.LBB169_284:                            ;   in Loop: Header=BB169_145 Depth=1
	s_delay_alu instid0(SALU_CYCLE_1)
	s_or_b32 exec_lo, exec_lo, s6
.LBB169_285:                            ;   in Loop: Header=BB169_145 Depth=1
	s_and_not1_saveexec_b32 s6, s28
	s_cbranch_execz .LBB169_287
; %bb.286:                              ;   in Loop: Header=BB169_145 Depth=1
	v_div_scale_f32 v3, null, 0x402df854, 0x402df854, v15
	v_div_scale_f32 v22, null, 0x402df854, 0x402df854, v16
	v_div_scale_f32 v27, vcc_lo, v15, 0x402df854, v15
	s_delay_alu instid0(VALU_DEP_3) | instskip(NEXT) | instid1(VALU_DEP_2)
	v_rcp_f32_e32 v23, v3
	v_rcp_f32_e32 v24, v22
	v_cmp_class_f32_e64 s7, v16, 0x204
	s_waitcnt_depctr 0xfff
	v_fma_f32 v25, -v3, v23, 1.0
	v_fma_f32 v26, -v22, v24, 1.0
	s_delay_alu instid0(VALU_DEP_1) | instskip(SKIP_1) | instid1(VALU_DEP_2)
	v_dual_fmac_f32 v23, v25, v23 :: v_dual_fmac_f32 v24, v26, v24
	v_div_scale_f32 v25, s5, v16, 0x402df854, v16
	v_mul_f32_e32 v26, v27, v23
	s_delay_alu instid0(VALU_DEP_1) | instskip(NEXT) | instid1(VALU_DEP_1)
	v_fma_f32 v29, -v3, v26, v27
	v_fmac_f32_e32 v26, v29, v23
	s_delay_alu instid0(VALU_DEP_1) | instskip(NEXT) | instid1(VALU_DEP_1)
	v_fma_f32 v3, -v3, v26, v27
	v_div_fmas_f32 v3, v3, v23, v26
	v_max_f32_e64 v26, |v15|, |v15|
	v_mul_f32_e32 v28, v25, v24
	s_mov_b32 vcc_lo, s5
	v_cmp_class_f32_e64 s5, v15, 0x204
	v_div_fixup_f32 v3, v3, 0x402df854, v15
	s_delay_alu instid0(VALU_DEP_3) | instskip(NEXT) | instid1(VALU_DEP_1)
	v_fma_f32 v30, -v22, v28, v25
	v_fmac_f32_e32 v28, v30, v24
	s_delay_alu instid0(VALU_DEP_1) | instskip(NEXT) | instid1(VALU_DEP_1)
	v_fma_f32 v22, -v22, v28, v25
	v_div_fmas_f32 v22, v22, v24, v28
	s_delay_alu instid0(VALU_DEP_1) | instskip(NEXT) | instid1(VALU_DEP_1)
	v_div_fixup_f32 v24, v22, 0x402df854, v16
	v_max_f32_e64 v25, |v3|, |v24|
	s_delay_alu instid0(VALU_DEP_1) | instskip(SKIP_1) | instid1(VALU_DEP_2)
	v_cvt_f64_f32_e32 v[22:23], v25
	v_cmp_neq_f32_e32 vcc_lo, 0x7f800000, v25
	v_frexp_exp_i32_f64_e32 v22, v[22:23]
	v_max_f32_e64 v23, |v16|, |v16|
	s_delay_alu instid0(VALU_DEP_1) | instskip(SKIP_1) | instid1(VALU_DEP_2)
	v_max_f32_e32 v27, v26, v23
	v_min_f32_e32 v23, v26, v23
	v_frexp_mant_f32_e32 v28, v27
	v_frexp_exp_i32_f32_e32 v27, v27
	s_delay_alu instid0(VALU_DEP_2) | instskip(SKIP_1) | instid1(VALU_DEP_1)
	v_rcp_f32_e32 v26, v28
	v_sub_nc_u32_e32 v28, 0, v22
	v_ldexp_f32 v24, |v24|, v28
	v_ldexp_f32 v3, |v3|, v28
	s_delay_alu instid0(VALU_DEP_2) | instskip(SKIP_2) | instid1(VALU_DEP_3)
	v_mul_f32_e32 v24, v24, v24
	v_frexp_exp_i32_f32_e32 v29, v23
	v_frexp_mant_f32_e32 v23, v23
	v_fmac_f32_e32 v24, v3, v3
	s_delay_alu instid0(VALU_DEP_3)
	v_sub_nc_u32_e32 v27, v29, v27
	s_delay_alu instid0(TRANS32_DEP_1) | instid1(VALU_DEP_3)
	v_mul_f32_e32 v23, v23, v26
	s_delay_alu instid0(VALU_DEP_3) | instskip(NEXT) | instid1(VALU_DEP_1)
	v_sqrt_f32_e32 v24, v24
	v_ldexp_f32 v23, v23, v27
	s_waitcnt_depctr 0xfff
	v_ldexp_f32 v22, v24, v22
	s_delay_alu instid0(VALU_DEP_1) | instskip(NEXT) | instid1(VALU_DEP_1)
	v_dual_mul_f32 v3, v23, v23 :: v_dual_cndmask_b32 v22, 0x7f800000, v22
	v_fmaak_f32 v26, s26, v3, 0xbc7a590c
	s_delay_alu instid0(VALU_DEP_2) | instskip(NEXT) | instid1(VALU_DEP_2)
	v_cmp_gt_f32_e32 vcc_lo, 0x800000, v22
	v_fmaak_f32 v26, v3, v26, 0x3d29fb3f
	v_cndmask_b32_e64 v25, 1.0, 0x4f800000, vcc_lo
	s_delay_alu instid0(VALU_DEP_1) | instskip(NEXT) | instid1(VALU_DEP_1)
	v_mul_f32_e32 v22, v22, v25
	v_log_f32_e32 v22, v22
	s_delay_alu instid0(VALU_DEP_3) | instskip(SKIP_1) | instid1(VALU_DEP_2)
	v_fmaak_f32 v24, v3, v26, 0xbd97d4d7
	v_cndmask_b32_e64 v26, 0, 0x41b17218, vcc_lo
	v_fmaak_f32 v24, v3, v24, 0x3dd931b2
	s_waitcnt_depctr 0xfff
	v_cmp_gt_f32_e64 vcc_lo, 0x7f800000, |v22|
	v_fmaak_f32 v24, v3, v24, 0xbe1160e6
	s_delay_alu instid0(VALU_DEP_1) | instskip(NEXT) | instid1(VALU_DEP_1)
	v_fmaak_f32 v24, v3, v24, 0x3e4cb8bf
	v_fmaak_f32 v24, v3, v24, 0xbeaaaa62
	s_delay_alu instid0(VALU_DEP_1) | instskip(NEXT) | instid1(VALU_DEP_1)
	v_mul_f32_e32 v3, v3, v24
	v_fmac_f32_e32 v23, v23, v3
	s_delay_alu instid0(VALU_DEP_1) | instskip(NEXT) | instid1(VALU_DEP_1)
	v_sub_f32_e32 v25, 0x3fc90fdb, v23
	v_cndmask_b32_e64 v23, v23, v25, s4
	v_cmp_gt_i32_e64 s4, 0, v15
	s_delay_alu instid0(VALU_DEP_1) | instskip(SKIP_2) | instid1(VALU_DEP_2)
	v_cndmask_b32_e64 v25, 0, 0x40490fdb, s4
	v_mul_f32_e32 v24, 0x3f317217, v22
	v_cmp_gt_f32_e64 s4, 0, v15
	v_fma_f32 v3, 0x3f317217, v22, -v24
	s_delay_alu instid0(VALU_DEP_1) | instskip(NEXT) | instid1(VALU_DEP_1)
	v_fmac_f32_e32 v3, 0x3377d1cf, v22
	v_add_f32_e32 v3, v24, v3
	s_delay_alu instid0(VALU_DEP_1) | instskip(SKIP_3) | instid1(VALU_DEP_4)
	v_cndmask_b32_e32 v3, v22, v3, vcc_lo
	v_sub_f32_e32 v24, 0x40490fdb, v23
	v_cmp_eq_f32_e32 vcc_lo, 0, v16
	v_cndmask_b32_e64 v22, 0x3f490fdb, v19, s4
	v_sub_f32_e32 v3, v3, v26
	s_delay_alu instid0(VALU_DEP_4) | instskip(NEXT) | instid1(VALU_DEP_2)
	v_cndmask_b32_e64 v15, v23, v24, s4
	v_add_f32_e32 v3, 1.0, v3
	s_delay_alu instid0(VALU_DEP_2) | instskip(SKIP_1) | instid1(VALU_DEP_1)
	v_cndmask_b32_e32 v15, v15, v25, vcc_lo
	s_and_b32 vcc_lo, s7, s5
	v_cndmask_b32_e32 v22, v15, v22, vcc_lo
.LBB169_287:                            ;   in Loop: Header=BB169_145 Depth=1
	s_or_b32 exec_lo, exec_lo, s6
	s_and_not1_saveexec_b32 s4, s27
	s_cbranch_execz .LBB169_257
.LBB169_288:                            ;   in Loop: Header=BB169_145 Depth=1
	v_cmp_ngt_f32_e64 s5, 0x20000000, |v15|
	v_cmp_ngt_f32_e64 s6, 0x20000000, |v16|
                                        ; implicit-def: $vgpr3
	s_delay_alu instid0(VALU_DEP_1) | instskip(NEXT) | instid1(SALU_CYCLE_1)
	s_or_b32 s5, s6, s5
	s_and_saveexec_b32 s6, s5
	s_delay_alu instid0(SALU_CYCLE_1)
	s_xor_b32 s5, exec_lo, s6
; %bb.289:                              ;   in Loop: Header=BB169_145 Depth=1
	v_mul_f32_e32 v3, v15, v15
	s_delay_alu instid0(VALU_DEP_1)
	v_fmac_f32_e32 v3, v16, v16
; %bb.290:                              ;   in Loop: Header=BB169_145 Depth=1
	s_and_not1_saveexec_b32 s5, s5
; %bb.291:                              ;   in Loop: Header=BB169_145 Depth=1
	v_mul_f32_e32 v3, 4.0, v15
	v_mul_f32_e32 v15, 4.0, v16
	s_delay_alu instid0(VALU_DEP_2) | instskip(NEXT) | instid1(VALU_DEP_1)
	v_mul_f32_e32 v3, v3, v3
	v_fmac_f32_e32 v3, v15, v15
	s_delay_alu instid0(VALU_DEP_1)
	v_mul_f32_e32 v3, 0x3d800000, v3
; %bb.292:                              ;   in Loop: Header=BB169_145 Depth=1
	s_or_b32 exec_lo, exec_lo, s5
	s_delay_alu instid0(VALU_DEP_1) | instskip(SKIP_1) | instid1(VALU_DEP_1)
	v_cmp_gt_f32_e32 vcc_lo, 0x800000, v3
	v_cndmask_b32_e64 v15, 1.0, 0x4f800000, vcc_lo
	v_mul_f32_e32 v3, v3, v15
	s_delay_alu instid0(VALU_DEP_1) | instskip(SKIP_2) | instid1(VALU_DEP_1)
	v_log_f32_e32 v3, v3
	s_waitcnt_depctr 0xfff
	v_mul_f32_e32 v15, 0x3f317217, v3
	v_fma_f32 v22, 0x3f317217, v3, -v15
	s_delay_alu instid0(VALU_DEP_1) | instskip(NEXT) | instid1(VALU_DEP_1)
	v_fmac_f32_e32 v22, 0x3377d1cf, v3
	v_add_f32_e32 v15, v15, v22
	v_cndmask_b32_e64 v22, 0, 0x41b17218, vcc_lo
	v_cmp_gt_f32_e64 vcc_lo, 0x7f800000, |v3|
	s_delay_alu instid0(VALU_DEP_3) | instskip(NEXT) | instid1(VALU_DEP_1)
	v_cndmask_b32_e32 v3, v3, v15, vcc_lo
	v_dual_sub_f32 v3, v3, v22 :: v_dual_mov_b32 v22, 0x7fc00000
	s_or_b32 exec_lo, exec_lo, s4
	s_and_saveexec_b32 s4, s0
	s_delay_alu instid0(SALU_CYCLE_1)
	s_xor_b32 s0, exec_lo, s4
	s_cbranch_execz .LBB169_258
.LBB169_293:                            ;   in Loop: Header=BB169_145 Depth=1
	v_lshlrev_b64 v[1:2], 3, v[1:2]
	v_bfi_b32 v18, 0x7fffffff, v18, v8
	s_delay_alu instid0(VALU_DEP_2) | instskip(NEXT) | instid1(VALU_DEP_3)
	v_add_co_u32 v1, vcc_lo, s19, v1
	v_add_co_ci_u32_e32 v2, vcc_lo, s20, v2, vcc_lo
	global_store_b64 v[1:2], v[17:18], off
	s_or_b32 exec_lo, exec_lo, s0
	s_and_saveexec_b32 s0, s1
	s_cbranch_execz .LBB169_259
.LBB169_294:                            ;   in Loop: Header=BB169_145 Depth=1
	v_lshlrev_b64 v[1:2], 3, v[5:6]
	v_bfi_b32 v8, 0x7fffffff, v20, v12
	s_delay_alu instid0(VALU_DEP_2) | instskip(NEXT) | instid1(VALU_DEP_3)
	v_add_co_u32 v1, vcc_lo, s19, v1
	v_add_co_ci_u32_e32 v2, vcc_lo, s20, v2, vcc_lo
	global_store_b64 v[1:2], v[7:8], off
	s_or_b32 exec_lo, exec_lo, s0
	s_and_saveexec_b32 s0, s2
	s_cbranch_execz .LBB169_260
.LBB169_295:                            ;   in Loop: Header=BB169_145 Depth=1
	v_lshlrev_b64 v[1:2], 3, v[9:10]
	v_bfi_b32 v12, 0x7fffffff, v21, v4
	s_delay_alu instid0(VALU_DEP_2) | instskip(NEXT) | instid1(VALU_DEP_3)
	v_add_co_u32 v1, vcc_lo, s19, v1
	v_add_co_ci_u32_e32 v2, vcc_lo, s20, v2, vcc_lo
	global_store_b64 v[1:2], v[11:12], off
	s_or_b32 exec_lo, exec_lo, s0
	s_and_saveexec_b32 s0, s3
	s_cbranch_execz .LBB169_144
.LBB169_296:                            ;   in Loop: Header=BB169_145 Depth=1
	v_lshlrev_b64 v[1:2], 3, v[13:14]
	v_bfi_b32 v4, 0x7fffffff, v22, v16
	s_delay_alu instid0(VALU_DEP_2) | instskip(NEXT) | instid1(VALU_DEP_3)
	v_add_co_u32 v1, vcc_lo, s19, v1
	v_add_co_ci_u32_e32 v2, vcc_lo, s20, v2, vcc_lo
	global_store_b64 v[1:2], v[3:4], off
	s_branch .LBB169_144
.LBB169_297:
	s_nop 0
	s_sendmsg sendmsg(MSG_DEALLOC_VGPRS)
	s_endpgm
	.section	.rodata,"a",@progbits
	.p2align	6, 0x0
	.amdhsa_kernel _ZN2at6native12_GLOBAL__N_125multi_tensor_apply_kernelINS1_18TensorListMetadataILi2EEENS1_14UnaryOpFunctorIN3c107complexIfEELi2ELi1ELi1EEEJNS0_3LogIS8_EEEEEvT_T0_DpT1_
		.amdhsa_group_segment_fixed_size 0
		.amdhsa_private_segment_fixed_size 0
		.amdhsa_kernarg_size 3408
		.amdhsa_user_sgpr_count 15
		.amdhsa_user_sgpr_dispatch_ptr 0
		.amdhsa_user_sgpr_queue_ptr 0
		.amdhsa_user_sgpr_kernarg_segment_ptr 1
		.amdhsa_user_sgpr_dispatch_id 0
		.amdhsa_user_sgpr_private_segment_size 0
		.amdhsa_wavefront_size32 1
		.amdhsa_uses_dynamic_stack 0
		.amdhsa_enable_private_segment 0
		.amdhsa_system_sgpr_workgroup_id_x 1
		.amdhsa_system_sgpr_workgroup_id_y 0
		.amdhsa_system_sgpr_workgroup_id_z 0
		.amdhsa_system_sgpr_workgroup_info 0
		.amdhsa_system_vgpr_workitem_id 0
		.amdhsa_next_free_vgpr 40
		.amdhsa_next_free_sgpr 37
		.amdhsa_reserve_vcc 1
		.amdhsa_float_round_mode_32 0
		.amdhsa_float_round_mode_16_64 0
		.amdhsa_float_denorm_mode_32 3
		.amdhsa_float_denorm_mode_16_64 3
		.amdhsa_dx10_clamp 1
		.amdhsa_ieee_mode 1
		.amdhsa_fp16_overflow 0
		.amdhsa_workgroup_processor_mode 1
		.amdhsa_memory_ordered 1
		.amdhsa_forward_progress 0
		.amdhsa_shared_vgpr_count 0
		.amdhsa_exception_fp_ieee_invalid_op 0
		.amdhsa_exception_fp_denorm_src 0
		.amdhsa_exception_fp_ieee_div_zero 0
		.amdhsa_exception_fp_ieee_overflow 0
		.amdhsa_exception_fp_ieee_underflow 0
		.amdhsa_exception_fp_ieee_inexact 0
		.amdhsa_exception_int_div_zero 0
	.end_amdhsa_kernel
	.section	.text._ZN2at6native12_GLOBAL__N_125multi_tensor_apply_kernelINS1_18TensorListMetadataILi2EEENS1_14UnaryOpFunctorIN3c107complexIfEELi2ELi1ELi1EEEJNS0_3LogIS8_EEEEEvT_T0_DpT1_,"axG",@progbits,_ZN2at6native12_GLOBAL__N_125multi_tensor_apply_kernelINS1_18TensorListMetadataILi2EEENS1_14UnaryOpFunctorIN3c107complexIfEELi2ELi1ELi1EEEJNS0_3LogIS8_EEEEEvT_T0_DpT1_,comdat
.Lfunc_end169:
	.size	_ZN2at6native12_GLOBAL__N_125multi_tensor_apply_kernelINS1_18TensorListMetadataILi2EEENS1_14UnaryOpFunctorIN3c107complexIfEELi2ELi1ELi1EEEJNS0_3LogIS8_EEEEEvT_T0_DpT1_, .Lfunc_end169-_ZN2at6native12_GLOBAL__N_125multi_tensor_apply_kernelINS1_18TensorListMetadataILi2EEENS1_14UnaryOpFunctorIN3c107complexIfEELi2ELi1ELi1EEEJNS0_3LogIS8_EEEEEvT_T0_DpT1_
                                        ; -- End function
	.section	.AMDGPU.csdata,"",@progbits
; Kernel info:
; codeLenInByte = 47456
; NumSgprs: 39
; NumVgprs: 40
; ScratchSize: 0
; MemoryBound: 1
; FloatMode: 240
; IeeeMode: 1
; LDSByteSize: 0 bytes/workgroup (compile time only)
; SGPRBlocks: 4
; VGPRBlocks: 4
; NumSGPRsForWavesPerEU: 39
; NumVGPRsForWavesPerEU: 40
; Occupancy: 16
; WaveLimiterHint : 0
; COMPUTE_PGM_RSRC2:SCRATCH_EN: 0
; COMPUTE_PGM_RSRC2:USER_SGPR: 15
; COMPUTE_PGM_RSRC2:TRAP_HANDLER: 0
; COMPUTE_PGM_RSRC2:TGID_X_EN: 1
; COMPUTE_PGM_RSRC2:TGID_Y_EN: 0
; COMPUTE_PGM_RSRC2:TGID_Z_EN: 0
; COMPUTE_PGM_RSRC2:TIDIG_COMP_CNT: 0
	.section	.text._ZN2at6native12_GLOBAL__N_125multi_tensor_apply_kernelINS1_18TensorListMetadataILi2EEENS1_14UnaryOpFunctorIN3c104HalfELi2ELi1ELi1EEEJNS0_3LogIfEEEEEvT_T0_DpT1_,"axG",@progbits,_ZN2at6native12_GLOBAL__N_125multi_tensor_apply_kernelINS1_18TensorListMetadataILi2EEENS1_14UnaryOpFunctorIN3c104HalfELi2ELi1ELi1EEEJNS0_3LogIfEEEEEvT_T0_DpT1_,comdat
	.globl	_ZN2at6native12_GLOBAL__N_125multi_tensor_apply_kernelINS1_18TensorListMetadataILi2EEENS1_14UnaryOpFunctorIN3c104HalfELi2ELi1ELi1EEEJNS0_3LogIfEEEEEvT_T0_DpT1_ ; -- Begin function _ZN2at6native12_GLOBAL__N_125multi_tensor_apply_kernelINS1_18TensorListMetadataILi2EEENS1_14UnaryOpFunctorIN3c104HalfELi2ELi1ELi1EEEJNS0_3LogIfEEEEEvT_T0_DpT1_
	.p2align	8
	.type	_ZN2at6native12_GLOBAL__N_125multi_tensor_apply_kernelINS1_18TensorListMetadataILi2EEENS1_14UnaryOpFunctorIN3c104HalfELi2ELi1ELi1EEEJNS0_3LogIfEEEEEvT_T0_DpT1_,@function
_ZN2at6native12_GLOBAL__N_125multi_tensor_apply_kernelINS1_18TensorListMetadataILi2EEENS1_14UnaryOpFunctorIN3c104HalfELi2ELi1ELi1EEEJNS0_3LogIfEEEEEvT_T0_DpT1_: ; @_ZN2at6native12_GLOBAL__N_125multi_tensor_apply_kernelINS1_18TensorListMetadataILi2EEENS1_14UnaryOpFunctorIN3c104HalfELi2ELi1ELi1EEEJNS0_3LogIfEEEEEvT_T0_DpT1_
; %bb.0:
	v_mov_b32_e32 v1, s15
	s_add_u32 s2, s0, s15
	s_mul_hi_u32 s3, s15, 3
	s_mul_i32 s15, s15, 3
	s_addc_u32 s4, s1, 0
	global_load_u8 v1, v1, s[0:1] offset:1536
	s_add_u32 s2, s2, s15
	s_addc_u32 s3, s4, s3
	s_mov_b32 s17, 0
	s_load_b32 s2, s[2:3], 0x740
	s_mov_b32 s19, s17
	s_mov_b32 s21, s17
	s_waitcnt vmcnt(0)
	v_readfirstlane_b32 s5, v1
	s_delay_alu instid0(VALU_DEP_1)
	s_lshl_b32 s3, s5, 3
	s_clause 0x2
	s_load_b64 s[10:11], s[0:1], s3 offset:0x0
	s_load_b64 s[12:13], s[0:1], s3 offset:0x200
	;; [unrolled: 1-line block ×3, first 2 shown]
	s_waitcnt lgkmcnt(0)
	s_ashr_i32 s3, s2, 31
	s_delay_alu instid0(SALU_CYCLE_1) | instskip(NEXT) | instid1(SALU_CYCLE_1)
	s_lshl_b64 s[4:5], s[2:3], 17
	s_add_u32 s8, s10, s4
	s_addc_u32 s9, s11, s5
	s_and_b32 s16, s8, 7
	s_add_u32 s14, s12, s4
	s_addc_u32 s15, s13, s5
	s_and_b32 s18, s6, 3
	s_and_b32 s20, s14, 7
	s_or_b64 s[16:17], s[16:17], s[18:19]
	s_lshl_b64 s[2:3], s[2:3], 16
	s_or_b64 s[16:17], s[20:21], s[16:17]
	s_sub_u32 s6, s6, s2
	s_subb_u32 s7, s7, s3
	s_cmp_eq_u64 s[16:17], 0
	s_mov_b32 s2, -1
	s_cbranch_scc0 .LBB170_5
; %bb.1:
	v_dual_mov_b32 v2, 0 :: v_dual_lshlrev_b32 v1, 2, v0
	s_mov_b32 s16, exec_lo
	s_delay_alu instid0(VALU_DEP_1)
	v_cmpx_gt_i64_e64 s[6:7], v[1:2]
	s_cbranch_execz .LBB170_4
; %bb.2:
	s_load_b32 s2, s[0:1], 0xc5c
	v_lshlrev_b32_e32 v3, 3, v0
	s_mov_b32 s17, 0
	s_waitcnt lgkmcnt(0)
	s_and_b32 s2, s2, 0xffff
	s_delay_alu instid0(SALU_CYCLE_1)
	v_add_lshl_u32 v1, v0, s2, 2
	s_lshl_b32 s18, s2, 2
	s_lshl_b32 s19, s2, 3
.LBB170_3:                              ; =>This Inner Loop Header: Depth=1
	v_add_co_u32 v4, s2, s8, v3
	s_delay_alu instid0(VALU_DEP_1) | instskip(SKIP_1) | instid1(VALU_DEP_1)
	v_add_co_ci_u32_e64 v5, null, s9, 0, s2
	v_add_co_u32 v6, s2, s14, v3
	v_add_co_ci_u32_e64 v7, null, s15, 0, s2
	global_load_b64 v[4:5], v[4:5], off
	v_cmp_le_i64_e32 vcc_lo, s[6:7], v[1:2]
	v_cmp_lt_u64_e64 s2, 0xffff, v[1:2]
	v_add_co_u32 v1, s3, v1, s18
	s_delay_alu instid0(VALU_DEP_1) | instskip(NEXT) | instid1(VALU_DEP_3)
	v_add_co_ci_u32_e64 v2, s3, 0, v2, s3
	s_or_b32 s3, vcc_lo, s2
	s_add_u32 s8, s8, s19
	s_addc_u32 s9, s9, 0
	s_add_u32 s14, s14, s19
	s_addc_u32 s15, s15, 0
	s_waitcnt vmcnt(0)
	v_cvt_f32_f16_e32 v8, v4
	v_lshrrev_b32_e32 v4, 16, v4
	v_lshrrev_b32_e32 v9, 16, v5
	v_cvt_f32_f16_e32 v5, v5
	s_delay_alu instid0(VALU_DEP_4) | instskip(NEXT) | instid1(VALU_DEP_3)
	v_log_f32_e32 v8, v8
	v_cvt_f32_f16_e32 v4, v4
	s_delay_alu instid0(VALU_DEP_3) | instskip(NEXT) | instid1(VALU_DEP_3)
	v_cvt_f32_f16_e32 v9, v9
	v_log_f32_e32 v5, v5
	s_delay_alu instid0(VALU_DEP_2) | instskip(NEXT) | instid1(VALU_DEP_1)
	v_log_f32_e32 v4, v4
	v_log_f32_e32 v9, v9
	v_mul_f32_e32 v10, 0x3f317217, v8
	v_cmp_gt_f32_e64 s2, 0x7f800000, |v8|
	s_delay_alu instid0(TRANS32_DEP_3) | instskip(SKIP_1) | instid1(VALU_DEP_4)
	v_mul_f32_e32 v11, 0x3f317217, v5
	v_cmp_gt_f32_e64 vcc_lo, 0x7f800000, |v5|
	v_fma_f32 v12, 0x3f317217, v8, -v10
	s_waitcnt_depctr 0xfff
	v_dual_mul_f32 v13, 0x3f317217, v4 :: v_dual_mul_f32 v14, 0x3f317217, v9
	v_fma_f32 v15, 0x3f317217, v5, -v11
	v_fmac_f32_e32 v12, 0x3377d1cf, v8
	s_delay_alu instid0(VALU_DEP_3) | instskip(NEXT) | instid1(VALU_DEP_4)
	v_fma_f32 v16, 0x3f317217, v4, -v13
	v_fma_f32 v17, 0x3f317217, v9, -v14
	s_delay_alu instid0(VALU_DEP_3) | instskip(NEXT) | instid1(VALU_DEP_2)
	v_dual_fmac_f32 v15, 0x3377d1cf, v5 :: v_dual_add_f32 v10, v10, v12
	v_dual_fmac_f32 v16, 0x3377d1cf, v4 :: v_dual_fmac_f32 v17, 0x3377d1cf, v9
	s_delay_alu instid0(VALU_DEP_2) | instskip(NEXT) | instid1(VALU_DEP_3)
	v_add_f32_e32 v11, v11, v15
	v_cndmask_b32_e64 v8, v8, v10, s2
	s_delay_alu instid0(VALU_DEP_3) | instskip(NEXT) | instid1(VALU_DEP_3)
	v_add_f32_e32 v12, v13, v16
	v_dual_add_f32 v10, v14, v17 :: v_dual_cndmask_b32 v5, v5, v11
	v_cmp_gt_f32_e64 s2, 0x7f800000, |v4|
	v_cmp_gt_f32_e64 vcc_lo, 0x7f800000, |v9|
	v_cvt_f16_f32_e32 v8, v8
	s_delay_alu instid0(VALU_DEP_4) | instskip(NEXT) | instid1(VALU_DEP_4)
	v_cvt_f16_f32_e32 v5, v5
	v_cndmask_b32_e64 v4, v4, v12, s2
	v_cndmask_b32_e32 v9, v9, v10, vcc_lo
	s_and_b32 s2, exec_lo, s3
	s_delay_alu instid0(SALU_CYCLE_1) | instskip(NEXT) | instid1(VALU_DEP_2)
	s_or_b32 s17, s2, s17
	v_cvt_f16_f32_e32 v4, v4
	s_delay_alu instid0(VALU_DEP_2) | instskip(NEXT) | instid1(VALU_DEP_2)
	v_cvt_f16_f32_e32 v9, v9
	v_pack_b32_f16 v4, v8, v4
	s_delay_alu instid0(VALU_DEP_2)
	v_pack_b32_f16 v5, v5, v9
	global_store_b64 v[6:7], v[4:5], off
	s_and_not1_b32 exec_lo, exec_lo, s17
	s_cbranch_execnz .LBB170_3
.LBB170_4:
	s_or_b32 exec_lo, exec_lo, s16
	s_mov_b32 s2, 0
.LBB170_5:
	s_delay_alu instid0(SALU_CYCLE_1)
	s_and_not1_b32 vcc_lo, exec_lo, s2
	s_cbranch_vccnz .LBB170_25
; %bb.6:
	v_cmp_lt_i64_e64 s2, s[6:7], 1
	s_delay_alu instid0(VALU_DEP_1)
	s_and_b32 vcc_lo, exec_lo, s2
	s_cbranch_vccnz .LBB170_25
; %bb.7:
	s_load_b32 s0, s[0:1], 0xc5c
	v_dual_mov_b32 v10, 0 :: v_dual_lshlrev_b32 v9, 1, v0
	v_cmp_gt_u64_e64 s1, 0x10000, s[6:7]
	s_delay_alu instid0(VALU_DEP_2) | instskip(NEXT) | instid1(VALU_DEP_1)
	v_add_co_u32 v1, s2, s10, v9
	v_add_co_ci_u32_e64 v2, null, s11, 0, s2
	v_add_co_u32 v3, s2, s12, v9
	s_delay_alu instid0(VALU_DEP_1)
	v_add_co_ci_u32_e64 v4, null, s13, 0, s2
	s_waitcnt lgkmcnt(0)
	s_and_b32 s0, s0, 0xffff
	s_and_b32 s1, s1, exec_lo
	v_mad_u64_u32 v[7:8], null, s0, 6, v[9:10]
	s_cselect_b32 s9, s7, 0
	s_cselect_b32 s8, s6, 0x10000
	s_mul_i32 s2, s0, 3
	s_lshl_b32 s14, s0, 2
	s_lshl_b32 s1, s0, 1
	v_add_co_u32 v14, s3, s14, v9
	v_add_co_u32 v9, s2, s2, v0
	s_delay_alu instid0(VALU_DEP_1) | instskip(SKIP_3) | instid1(VALU_DEP_3)
	v_add_co_ci_u32_e64 v10, null, 0, 0, s2
	v_add_co_u32 v13, s2, v0, s0
	v_add_co_u32 v5, vcc_lo, s10, v7
	v_add_co_ci_u32_e32 v6, vcc_lo, s11, v8, vcc_lo
	v_lshlrev_b32_e32 v21, 1, v13
	v_add_co_u32 v7, vcc_lo, s12, v7
	v_add_co_ci_u32_e64 v15, null, 0, 0, s3
	v_add_co_ci_u32_e32 v8, vcc_lo, s13, v8, vcc_lo
	v_add_co_u32 v17, s1, s1, v0
	v_add_co_u32 v11, vcc_lo, s10, v14
	v_add_co_ci_u32_e64 v18, null, 0, 0, s1
	v_add_co_u32 v19, s1, s10, v21
	v_add_co_ci_u32_e32 v12, vcc_lo, s11, v15, vcc_lo
	v_add_co_u32 v14, vcc_lo, s12, v14
	v_add_co_ci_u32_e64 v20, null, s11, 0, s1
	v_add_co_u32 v21, s1, s12, v21
	v_add_co_ci_u32_e32 v15, vcc_lo, s13, v15, vcc_lo
	v_add_co_ci_u32_e64 v16, null, 0, 0, s2
	v_add_co_ci_u32_e64 v22, null, s13, 0, s1
	s_lshl_b32 s12, s0, 3
	s_mov_b64 s[10:11], 0
	s_branch .LBB170_9
.LBB170_8:                              ;   in Loop: Header=BB170_9 Depth=1
	s_or_b32 exec_lo, exec_lo, s0
	v_add_co_u32 v1, vcc_lo, v1, s12
	v_add_co_ci_u32_e32 v2, vcc_lo, 0, v2, vcc_lo
	v_add_co_u32 v3, vcc_lo, v3, s12
	v_add_co_ci_u32_e32 v4, vcc_lo, 0, v4, vcc_lo
	;; [unrolled: 2-line block ×5, first 2 shown]
	s_add_u32 s10, s10, s14
	v_add_co_u32 v14, vcc_lo, v14, s12
	s_addc_u32 s11, s11, 0
	v_add_co_ci_u32_e32 v15, vcc_lo, 0, v15, vcc_lo
	v_cmp_ge_i64_e64 s0, s[10:11], s[6:7]
	v_cmp_lt_u64_e64 s1, 0xffff, s[10:11]
	v_add_co_u32 v19, vcc_lo, v19, s12
	v_add_co_ci_u32_e32 v20, vcc_lo, 0, v20, vcc_lo
	v_add_co_u32 v21, vcc_lo, v21, s12
	v_add_co_ci_u32_e32 v22, vcc_lo, 0, v22, vcc_lo
	s_or_b32 s0, s0, s1
	s_delay_alu instid0(SALU_CYCLE_1)
	s_and_b32 vcc_lo, exec_lo, s0
	s_cbranch_vccnz .LBB170_25
.LBB170_9:                              ; =>This Inner Loop Header: Depth=1
	s_waitcnt vmcnt(0)
	v_add_co_u32 v23, s0, v0, s10
	s_delay_alu instid0(VALU_DEP_1) | instskip(SKIP_1) | instid1(VALU_DEP_2)
	v_add_co_ci_u32_e64 v24, null, 0, s11, s0
	v_mov_b32_e32 v25, 0
	v_cmp_gt_u64_e64 s2, s[8:9], v[23:24]
	s_delay_alu instid0(VALU_DEP_1)
	s_and_saveexec_b32 s0, s2
	s_cbranch_execz .LBB170_11
; %bb.10:                               ;   in Loop: Header=BB170_9 Depth=1
	v_add_co_u32 v23, vcc_lo, v1, s4
	v_add_co_ci_u32_e32 v24, vcc_lo, s5, v2, vcc_lo
	global_load_u16 v25, v[23:24], off
.LBB170_11:                             ;   in Loop: Header=BB170_9 Depth=1
	s_or_b32 exec_lo, exec_lo, s0
	v_add_co_u32 v23, vcc_lo, v13, s10
	v_add_co_ci_u32_e32 v24, vcc_lo, s11, v16, vcc_lo
	v_mov_b32_e32 v26, 0
	s_delay_alu instid0(VALU_DEP_2) | instskip(NEXT) | instid1(VALU_DEP_1)
	v_cmp_gt_u64_e64 s1, s[8:9], v[23:24]
	s_and_saveexec_b32 s0, s1
	s_cbranch_execz .LBB170_13
; %bb.12:                               ;   in Loop: Header=BB170_9 Depth=1
	v_add_co_u32 v23, vcc_lo, v19, s4
	v_add_co_ci_u32_e32 v24, vcc_lo, s5, v20, vcc_lo
	global_load_u16 v26, v[23:24], off
.LBB170_13:                             ;   in Loop: Header=BB170_9 Depth=1
	s_or_b32 exec_lo, exec_lo, s0
	v_add_co_u32 v23, vcc_lo, v17, s10
	v_add_co_ci_u32_e32 v24, vcc_lo, s11, v18, vcc_lo
	s_delay_alu instid0(VALU_DEP_1) | instskip(SKIP_1) | instid1(VALU_DEP_2)
	v_cmp_gt_u64_e64 s0, s[8:9], v[23:24]
	v_dual_mov_b32 v23, 0 :: v_dual_mov_b32 v24, 0
	s_and_saveexec_b32 s3, s0
	s_cbranch_execz .LBB170_15
; %bb.14:                               ;   in Loop: Header=BB170_9 Depth=1
	v_add_co_u32 v27, vcc_lo, v11, s4
	v_add_co_ci_u32_e32 v28, vcc_lo, s5, v12, vcc_lo
	global_load_u16 v24, v[27:28], off
.LBB170_15:                             ;   in Loop: Header=BB170_9 Depth=1
	s_or_b32 exec_lo, exec_lo, s3
	v_add_co_u32 v27, vcc_lo, v9, s10
	v_add_co_ci_u32_e32 v28, vcc_lo, s11, v10, vcc_lo
	s_delay_alu instid0(VALU_DEP_1)
	v_cmp_gt_u64_e32 vcc_lo, s[8:9], v[27:28]
	s_and_saveexec_b32 s13, vcc_lo
	s_cbranch_execnz .LBB170_20
; %bb.16:                               ;   in Loop: Header=BB170_9 Depth=1
	s_or_b32 exec_lo, exec_lo, s13
	s_and_saveexec_b32 s3, s2
	s_cbranch_execnz .LBB170_21
.LBB170_17:                             ;   in Loop: Header=BB170_9 Depth=1
	s_or_b32 exec_lo, exec_lo, s3
	s_and_saveexec_b32 s2, s1
	s_cbranch_execnz .LBB170_22
.LBB170_18:                             ;   in Loop: Header=BB170_9 Depth=1
	s_or_b32 exec_lo, exec_lo, s2
	s_and_saveexec_b32 s1, s0
	s_cbranch_execnz .LBB170_23
.LBB170_19:                             ;   in Loop: Header=BB170_9 Depth=1
	s_or_b32 exec_lo, exec_lo, s1
	s_and_saveexec_b32 s0, vcc_lo
	s_cbranch_execz .LBB170_8
	s_branch .LBB170_24
.LBB170_20:                             ;   in Loop: Header=BB170_9 Depth=1
	v_add_co_u32 v27, s3, v5, s4
	s_delay_alu instid0(VALU_DEP_1)
	v_add_co_ci_u32_e64 v28, s3, s5, v6, s3
	global_load_u16 v23, v[27:28], off
	s_or_b32 exec_lo, exec_lo, s13
	s_and_saveexec_b32 s3, s2
	s_cbranch_execz .LBB170_17
.LBB170_21:                             ;   in Loop: Header=BB170_9 Depth=1
	s_waitcnt vmcnt(0)
	v_cvt_f32_f16_e32 v25, v25
	s_delay_alu instid0(VALU_DEP_1) | instskip(SKIP_3) | instid1(VALU_DEP_2)
	v_log_f32_e32 v25, v25
	s_waitcnt_depctr 0xfff
	v_mul_f32_e32 v27, 0x3f317217, v25
	v_cmp_gt_f32_e64 s2, 0x7f800000, |v25|
	v_fma_f32 v28, 0x3f317217, v25, -v27
	s_delay_alu instid0(VALU_DEP_1) | instskip(NEXT) | instid1(VALU_DEP_1)
	v_fmac_f32_e32 v28, 0x3377d1cf, v25
	v_add_f32_e32 v27, v27, v28
	s_delay_alu instid0(VALU_DEP_1) | instskip(SKIP_1) | instid1(VALU_DEP_1)
	v_cndmask_b32_e64 v25, v25, v27, s2
	v_add_co_u32 v27, s2, v3, s4
	v_add_co_ci_u32_e64 v28, s2, s5, v4, s2
	s_delay_alu instid0(VALU_DEP_3)
	v_cvt_f16_f32_e32 v25, v25
	global_store_b16 v[27:28], v25, off
	s_or_b32 exec_lo, exec_lo, s3
	s_and_saveexec_b32 s2, s1
	s_cbranch_execz .LBB170_18
.LBB170_22:                             ;   in Loop: Header=BB170_9 Depth=1
	s_waitcnt vmcnt(0)
	v_cvt_f32_f16_e32 v25, v26
	s_delay_alu instid0(VALU_DEP_1) | instskip(SKIP_3) | instid1(VALU_DEP_2)
	v_log_f32_e32 v25, v25
	s_waitcnt_depctr 0xfff
	v_mul_f32_e32 v26, 0x3f317217, v25
	v_cmp_gt_f32_e64 s1, 0x7f800000, |v25|
	v_fma_f32 v27, 0x3f317217, v25, -v26
	s_delay_alu instid0(VALU_DEP_1) | instskip(NEXT) | instid1(VALU_DEP_1)
	v_fmac_f32_e32 v27, 0x3377d1cf, v25
	v_add_f32_e32 v26, v26, v27
	s_delay_alu instid0(VALU_DEP_1) | instskip(NEXT) | instid1(VALU_DEP_1)
	v_cndmask_b32_e64 v25, v25, v26, s1
	v_cvt_f16_f32_e32 v27, v25
	v_add_co_u32 v25, s1, v21, s4
	s_delay_alu instid0(VALU_DEP_1)
	v_add_co_ci_u32_e64 v26, s1, s5, v22, s1
	global_store_b16 v[25:26], v27, off
	s_or_b32 exec_lo, exec_lo, s2
	s_and_saveexec_b32 s1, s0
	s_cbranch_execz .LBB170_19
.LBB170_23:                             ;   in Loop: Header=BB170_9 Depth=1
	s_waitcnt vmcnt(0)
	v_cvt_f32_f16_e32 v24, v24
	s_delay_alu instid0(VALU_DEP_1) | instskip(SKIP_3) | instid1(VALU_DEP_2)
	v_log_f32_e32 v24, v24
	s_waitcnt_depctr 0xfff
	v_mul_f32_e32 v25, 0x3f317217, v24
	v_cmp_gt_f32_e64 s0, 0x7f800000, |v24|
	v_fma_f32 v26, 0x3f317217, v24, -v25
	s_delay_alu instid0(VALU_DEP_1) | instskip(NEXT) | instid1(VALU_DEP_1)
	v_fmac_f32_e32 v26, 0x3377d1cf, v24
	v_add_f32_e32 v25, v25, v26
	s_delay_alu instid0(VALU_DEP_1) | instskip(NEXT) | instid1(VALU_DEP_1)
	v_cndmask_b32_e64 v24, v24, v25, s0
	v_cvt_f16_f32_e32 v26, v24
	v_add_co_u32 v24, s0, v14, s4
	s_delay_alu instid0(VALU_DEP_1)
	v_add_co_ci_u32_e64 v25, s0, s5, v15, s0
	global_store_b16 v[24:25], v26, off
	s_or_b32 exec_lo, exec_lo, s1
	s_and_saveexec_b32 s0, vcc_lo
	s_cbranch_execz .LBB170_8
.LBB170_24:                             ;   in Loop: Header=BB170_9 Depth=1
	s_waitcnt vmcnt(0)
	v_cvt_f32_f16_e32 v23, v23
	s_delay_alu instid0(VALU_DEP_1) | instskip(SKIP_3) | instid1(VALU_DEP_2)
	v_log_f32_e32 v23, v23
	s_waitcnt_depctr 0xfff
	v_mul_f32_e32 v24, 0x3f317217, v23
	v_cmp_gt_f32_e64 vcc_lo, 0x7f800000, |v23|
	v_fma_f32 v25, 0x3f317217, v23, -v24
	s_delay_alu instid0(VALU_DEP_1) | instskip(NEXT) | instid1(VALU_DEP_1)
	v_fmac_f32_e32 v25, 0x3377d1cf, v23
	v_add_f32_e32 v24, v24, v25
	s_delay_alu instid0(VALU_DEP_1) | instskip(NEXT) | instid1(VALU_DEP_1)
	v_cndmask_b32_e32 v23, v23, v24, vcc_lo
	v_cvt_f16_f32_e32 v25, v23
	v_add_co_u32 v23, vcc_lo, v7, s4
	v_add_co_ci_u32_e32 v24, vcc_lo, s5, v8, vcc_lo
	global_store_b16 v[23:24], v25, off
	s_branch .LBB170_8
.LBB170_25:
	s_nop 0
	s_sendmsg sendmsg(MSG_DEALLOC_VGPRS)
	s_endpgm
	.section	.rodata,"a",@progbits
	.p2align	6, 0x0
	.amdhsa_kernel _ZN2at6native12_GLOBAL__N_125multi_tensor_apply_kernelINS1_18TensorListMetadataILi2EEENS1_14UnaryOpFunctorIN3c104HalfELi2ELi1ELi1EEEJNS0_3LogIfEEEEEvT_T0_DpT1_
		.amdhsa_group_segment_fixed_size 0
		.amdhsa_private_segment_fixed_size 0
		.amdhsa_kernarg_size 3408
		.amdhsa_user_sgpr_count 15
		.amdhsa_user_sgpr_dispatch_ptr 0
		.amdhsa_user_sgpr_queue_ptr 0
		.amdhsa_user_sgpr_kernarg_segment_ptr 1
		.amdhsa_user_sgpr_dispatch_id 0
		.amdhsa_user_sgpr_private_segment_size 0
		.amdhsa_wavefront_size32 1
		.amdhsa_uses_dynamic_stack 0
		.amdhsa_enable_private_segment 0
		.amdhsa_system_sgpr_workgroup_id_x 1
		.amdhsa_system_sgpr_workgroup_id_y 0
		.amdhsa_system_sgpr_workgroup_id_z 0
		.amdhsa_system_sgpr_workgroup_info 0
		.amdhsa_system_vgpr_workitem_id 0
		.amdhsa_next_free_vgpr 29
		.amdhsa_next_free_sgpr 22
		.amdhsa_reserve_vcc 1
		.amdhsa_float_round_mode_32 0
		.amdhsa_float_round_mode_16_64 0
		.amdhsa_float_denorm_mode_32 3
		.amdhsa_float_denorm_mode_16_64 3
		.amdhsa_dx10_clamp 1
		.amdhsa_ieee_mode 1
		.amdhsa_fp16_overflow 0
		.amdhsa_workgroup_processor_mode 1
		.amdhsa_memory_ordered 1
		.amdhsa_forward_progress 0
		.amdhsa_shared_vgpr_count 0
		.amdhsa_exception_fp_ieee_invalid_op 0
		.amdhsa_exception_fp_denorm_src 0
		.amdhsa_exception_fp_ieee_div_zero 0
		.amdhsa_exception_fp_ieee_overflow 0
		.amdhsa_exception_fp_ieee_underflow 0
		.amdhsa_exception_fp_ieee_inexact 0
		.amdhsa_exception_int_div_zero 0
	.end_amdhsa_kernel
	.section	.text._ZN2at6native12_GLOBAL__N_125multi_tensor_apply_kernelINS1_18TensorListMetadataILi2EEENS1_14UnaryOpFunctorIN3c104HalfELi2ELi1ELi1EEEJNS0_3LogIfEEEEEvT_T0_DpT1_,"axG",@progbits,_ZN2at6native12_GLOBAL__N_125multi_tensor_apply_kernelINS1_18TensorListMetadataILi2EEENS1_14UnaryOpFunctorIN3c104HalfELi2ELi1ELi1EEEJNS0_3LogIfEEEEEvT_T0_DpT1_,comdat
.Lfunc_end170:
	.size	_ZN2at6native12_GLOBAL__N_125multi_tensor_apply_kernelINS1_18TensorListMetadataILi2EEENS1_14UnaryOpFunctorIN3c104HalfELi2ELi1ELi1EEEJNS0_3LogIfEEEEEvT_T0_DpT1_, .Lfunc_end170-_ZN2at6native12_GLOBAL__N_125multi_tensor_apply_kernelINS1_18TensorListMetadataILi2EEENS1_14UnaryOpFunctorIN3c104HalfELi2ELi1ELi1EEEJNS0_3LogIfEEEEEvT_T0_DpT1_
                                        ; -- End function
	.section	.AMDGPU.csdata,"",@progbits
; Kernel info:
; codeLenInByte = 1964
; NumSgprs: 24
; NumVgprs: 29
; ScratchSize: 0
; MemoryBound: 0
; FloatMode: 240
; IeeeMode: 1
; LDSByteSize: 0 bytes/workgroup (compile time only)
; SGPRBlocks: 2
; VGPRBlocks: 3
; NumSGPRsForWavesPerEU: 24
; NumVGPRsForWavesPerEU: 29
; Occupancy: 16
; WaveLimiterHint : 0
; COMPUTE_PGM_RSRC2:SCRATCH_EN: 0
; COMPUTE_PGM_RSRC2:USER_SGPR: 15
; COMPUTE_PGM_RSRC2:TRAP_HANDLER: 0
; COMPUTE_PGM_RSRC2:TGID_X_EN: 1
; COMPUTE_PGM_RSRC2:TGID_Y_EN: 0
; COMPUTE_PGM_RSRC2:TGID_Z_EN: 0
; COMPUTE_PGM_RSRC2:TIDIG_COMP_CNT: 0
	.section	.text._ZN2at6native12_GLOBAL__N_125multi_tensor_apply_kernelINS1_18TensorListMetadataILi2EEENS1_14UnaryOpFunctorIN3c108BFloat16ELi2ELi1ELi1EEEJNS0_3LogIfEEEEEvT_T0_DpT1_,"axG",@progbits,_ZN2at6native12_GLOBAL__N_125multi_tensor_apply_kernelINS1_18TensorListMetadataILi2EEENS1_14UnaryOpFunctorIN3c108BFloat16ELi2ELi1ELi1EEEJNS0_3LogIfEEEEEvT_T0_DpT1_,comdat
	.globl	_ZN2at6native12_GLOBAL__N_125multi_tensor_apply_kernelINS1_18TensorListMetadataILi2EEENS1_14UnaryOpFunctorIN3c108BFloat16ELi2ELi1ELi1EEEJNS0_3LogIfEEEEEvT_T0_DpT1_ ; -- Begin function _ZN2at6native12_GLOBAL__N_125multi_tensor_apply_kernelINS1_18TensorListMetadataILi2EEENS1_14UnaryOpFunctorIN3c108BFloat16ELi2ELi1ELi1EEEJNS0_3LogIfEEEEEvT_T0_DpT1_
	.p2align	8
	.type	_ZN2at6native12_GLOBAL__N_125multi_tensor_apply_kernelINS1_18TensorListMetadataILi2EEENS1_14UnaryOpFunctorIN3c108BFloat16ELi2ELi1ELi1EEEJNS0_3LogIfEEEEEvT_T0_DpT1_,@function
_ZN2at6native12_GLOBAL__N_125multi_tensor_apply_kernelINS1_18TensorListMetadataILi2EEENS1_14UnaryOpFunctorIN3c108BFloat16ELi2ELi1ELi1EEEJNS0_3LogIfEEEEEvT_T0_DpT1_: ; @_ZN2at6native12_GLOBAL__N_125multi_tensor_apply_kernelINS1_18TensorListMetadataILi2EEENS1_14UnaryOpFunctorIN3c108BFloat16ELi2ELi1ELi1EEEJNS0_3LogIfEEEEEvT_T0_DpT1_
; %bb.0:
	v_mov_b32_e32 v1, s15
	s_add_u32 s2, s0, s15
	s_mul_hi_u32 s3, s15, 3
	s_mul_i32 s15, s15, 3
	s_addc_u32 s4, s1, 0
	global_load_u8 v1, v1, s[0:1] offset:1536
	s_add_u32 s2, s2, s15
	s_addc_u32 s3, s4, s3
	s_mov_b32 s7, 0
	s_load_b32 s2, s[2:3], 0x740
	s_mov_b32 s17, s7
	s_mov_b32 s11, s7
	s_waitcnt vmcnt(0)
	v_readfirstlane_b32 s5, v1
	s_delay_alu instid0(VALU_DEP_1)
	s_lshl_b32 s3, s5, 3
	s_clause 0x2
	s_load_b64 s[12:13], s[0:1], s3 offset:0x0
	s_load_b64 s[14:15], s[0:1], s3 offset:0x200
	;; [unrolled: 1-line block ×3, first 2 shown]
	s_waitcnt lgkmcnt(0)
	s_ashr_i32 s3, s2, 31
	s_delay_alu instid0(SALU_CYCLE_1) | instskip(SKIP_4) | instid1(SALU_CYCLE_1)
	s_lshl_b64 s[8:9], s[2:3], 17
	s_lshl_b64 s[2:3], s[2:3], 16
	s_and_b32 s6, s12, 7
	s_and_b32 s10, s14, 7
	;; [unrolled: 1-line block ×3, first 2 shown]
	s_or_b64 s[6:7], s[6:7], s[16:17]
	s_delay_alu instid0(SALU_CYCLE_1)
	s_or_b64 s[6:7], s[10:11], s[6:7]
	s_sub_u32 s10, s4, s2
	s_subb_u32 s11, s5, s3
	s_cmp_eq_u64 s[6:7], 0
	s_mov_b32 s2, -1
	s_cbranch_scc0 .LBB171_5
; %bb.1:
	v_dual_mov_b32 v2, 0 :: v_dual_lshlrev_b32 v1, 2, v0
	s_mov_b32 s7, exec_lo
	s_delay_alu instid0(VALU_DEP_1)
	v_cmpx_gt_i64_e64 s[10:11], v[1:2]
	s_cbranch_execz .LBB171_4
; %bb.2:
	s_load_b32 s2, s[0:1], 0xc5c
	v_lshlrev_b32_e32 v1, 3, v0
	s_mov_b32 s16, 0
	s_delay_alu instid0(VALU_DEP_1) | instskip(NEXT) | instid1(VALU_DEP_1)
	v_add_co_u32 v3, s3, s8, v1
	v_add_co_ci_u32_e64 v4, null, s9, 0, s3
	s_waitcnt lgkmcnt(0)
	s_and_b32 s2, s2, 0xffff
	s_delay_alu instid0(SALU_CYCLE_1)
	v_add_lshl_u32 v1, v0, s2, 2
	s_lshl_b32 s17, s2, 3
	s_lshl_b32 s18, s2, 2
.LBB171_3:                              ; =>This Inner Loop Header: Depth=1
	v_add_co_u32 v5, vcc_lo, s12, v3
	v_add_co_ci_u32_e32 v6, vcc_lo, s13, v4, vcc_lo
	v_add_co_u32 v7, vcc_lo, s14, v3
	v_add_co_ci_u32_e32 v8, vcc_lo, s15, v4, vcc_lo
	global_load_b64 v[5:6], v[5:6], off
	v_cmp_le_i64_e32 vcc_lo, s[10:11], v[1:2]
	v_cmp_lt_u64_e64 s2, 0xffff, v[1:2]
	v_add_co_u32 v3, s3, v3, s17
	s_delay_alu instid0(VALU_DEP_1) | instskip(SKIP_1) | instid1(VALU_DEP_4)
	v_add_co_ci_u32_e64 v4, s3, 0, v4, s3
	v_add_co_u32 v1, s3, v1, s18
	s_or_b32 s2, vcc_lo, s2
	v_add_co_ci_u32_e64 v2, s3, 0, v2, s3
	s_and_b32 s2, exec_lo, s2
	s_delay_alu instid0(SALU_CYCLE_1) | instskip(SKIP_2) | instid1(VALU_DEP_1)
	s_or_b32 s16, s2, s16
	s_waitcnt vmcnt(0)
	v_and_b32_e32 v10, 0xffff0000, v5
	v_cmp_gt_f32_e64 s5, 0x800000, v10
	s_delay_alu instid0(VALU_DEP_1) | instskip(SKIP_3) | instid1(VALU_DEP_4)
	v_cndmask_b32_e64 v12, 1.0, 0x4f800000, s5
	v_lshlrev_b32_e32 v9, 16, v5
	v_alignbit_b32 v5, v6, v5, 16
	v_and_b32_e32 v6, 0xffff0000, v6
	v_mul_f32_e32 v10, v10, v12
	s_delay_alu instid0(VALU_DEP_4) | instskip(SKIP_1) | instid1(VALU_DEP_4)
	v_cmp_gt_f32_e64 s4, 0x800000, v9
	v_cndmask_b32_e64 v12, 0, 0x41b17218, s5
	v_cmp_gt_f32_e64 s6, 0x800000, v6
	s_delay_alu instid0(VALU_DEP_4) | instskip(NEXT) | instid1(VALU_DEP_3)
	v_log_f32_e32 v10, v10
	v_cndmask_b32_e64 v11, 1.0, 0x4f800000, s4
	s_delay_alu instid0(VALU_DEP_2) | instskip(NEXT) | instid1(VALU_DEP_2)
	v_cndmask_b32_e64 v13, 1.0, 0x4f800000, s6
	v_mul_f32_e32 v9, v9, v11
	v_cndmask_b32_e64 v11, 0, 0x41b17218, s4
	s_waitcnt_depctr 0xfff
	v_mul_f32_e32 v16, 0x3f317217, v10
	v_log_f32_e32 v9, v9
	s_delay_alu instid0(VALU_DEP_1) | instskip(NEXT) | instid1(VALU_DEP_1)
	v_fma_f32 v19, 0x3f317217, v10, -v16
	v_fmac_f32_e32 v19, 0x3377d1cf, v10
	s_waitcnt_depctr 0xfff
	v_mul_f32_e32 v15, 0x3f317217, v9
	v_dual_add_f32 v16, v16, v19 :: v_dual_and_b32 v5, 0xffff0000, v5
	s_delay_alu instid0(VALU_DEP_2) | instskip(NEXT) | instid1(VALU_DEP_2)
	v_fma_f32 v18, 0x3f317217, v9, -v15
	v_cmp_gt_f32_e64 s4, 0x800000, v5
	s_delay_alu instid0(VALU_DEP_2) | instskip(NEXT) | instid1(VALU_DEP_2)
	v_fmac_f32_e32 v18, 0x3377d1cf, v9
	v_cndmask_b32_e64 v14, 1.0, 0x4f800000, s4
	v_mul_f32_e32 v6, v6, v13
	v_cndmask_b32_e64 v13, 0, 0x41b17218, s6
	v_cmp_gt_f32_e64 s6, 0x7f800000, |v9|
	s_delay_alu instid0(VALU_DEP_4) | instskip(NEXT) | instid1(VALU_DEP_4)
	v_mul_f32_e32 v5, v5, v14
	v_log_f32_e32 v6, v6
	v_cndmask_b32_e64 v14, 0, 0x41b17218, s4
	v_cmp_gt_f32_e64 s4, 0x7f800000, |v10|
	s_delay_alu instid0(VALU_DEP_3) | instskip(NEXT) | instid1(VALU_DEP_1)
	v_log_f32_e32 v5, v5
	v_cndmask_b32_e64 v10, v10, v16, s4
	v_add_f32_e32 v15, v15, v18
	s_waitcnt_depctr 0xfff
	v_mul_f32_e32 v17, 0x3f317217, v6
	v_cmp_gt_f32_e64 s5, 0x7f800000, |v6|
	v_sub_f32_e32 v10, v10, v12
	v_cndmask_b32_e64 v9, v9, v15, s6
	v_mul_f32_e32 v20, 0x3f317217, v5
	v_fma_f32 v21, 0x3f317217, v6, -v17
	v_cmp_gt_f32_e64 s4, 0x7f800000, |v5|
	v_bfe_u32 v12, v10, 16, 1
	s_delay_alu instid0(VALU_DEP_4) | instskip(NEXT) | instid1(VALU_DEP_4)
	v_fma_f32 v22, 0x3f317217, v5, -v20
	v_fmac_f32_e32 v21, 0x3377d1cf, v6
	s_delay_alu instid0(VALU_DEP_3) | instskip(NEXT) | instid1(VALU_DEP_3)
	v_add3_u32 v12, v10, v12, 0x7fff
	v_dual_sub_f32 v9, v9, v11 :: v_dual_fmac_f32 v22, 0x3377d1cf, v5
	s_delay_alu instid0(VALU_DEP_2) | instskip(NEXT) | instid1(VALU_DEP_2)
	v_dual_add_f32 v17, v17, v21 :: v_dual_and_b32 v12, 0xffff0000, v12
	v_bfe_u32 v11, v9, 16, 1
	s_delay_alu instid0(VALU_DEP_2) | instskip(NEXT) | instid1(VALU_DEP_4)
	v_cndmask_b32_e64 v6, v6, v17, s5
	v_add_f32_e32 v15, v20, v22
	v_cmp_o_f32_e64 s5, v10, v10
	s_delay_alu instid0(VALU_DEP_4) | instskip(NEXT) | instid1(VALU_DEP_4)
	v_add3_u32 v11, v9, v11, 0x7fff
	v_sub_f32_e32 v6, v6, v13
	s_delay_alu instid0(VALU_DEP_4) | instskip(SKIP_1) | instid1(VALU_DEP_4)
	v_cndmask_b32_e64 v5, v5, v15, s4
	v_cmp_o_f32_e64 s4, v9, v9
	v_lshrrev_b32_e32 v11, 16, v11
	v_cndmask_b32_e64 v10, 0x7fc00000, v12, s5
	v_bfe_u32 v13, v6, 16, 1
	v_sub_f32_e32 v5, v5, v14
	s_delay_alu instid0(VALU_DEP_4) | instskip(SKIP_1) | instid1(VALU_DEP_4)
	v_cndmask_b32_e64 v11, 0x7fc0, v11, s4
	v_cmp_o_f32_e64 s4, v6, v6
	v_add3_u32 v13, v6, v13, 0x7fff
	s_delay_alu instid0(VALU_DEP_4) | instskip(NEXT) | instid1(VALU_DEP_2)
	v_bfe_u32 v14, v5, 16, 1
	v_and_b32_e32 v13, 0xffff0000, v13
	s_delay_alu instid0(VALU_DEP_2) | instskip(NEXT) | instid1(VALU_DEP_2)
	v_add3_u32 v14, v5, v14, 0x7fff
	v_cndmask_b32_e64 v6, 0x7fc00000, v13, s4
	s_delay_alu instid0(VALU_DEP_2) | instskip(SKIP_1) | instid1(VALU_DEP_1)
	v_lshrrev_b32_e32 v9, 16, v14
	v_cmp_o_f32_e64 s4, v5, v5
	v_cndmask_b32_e64 v5, 0x7fc0, v9, s4
	v_or_b32_e32 v9, v11, v10
	s_delay_alu instid0(VALU_DEP_2) | instskip(NEXT) | instid1(VALU_DEP_2)
	v_or3_b32 v6, 0, v5, v6
	v_or3_b32 v5, v9, 0, 0
	global_store_b64 v[7:8], v[5:6], off
	s_and_not1_b32 exec_lo, exec_lo, s16
	s_cbranch_execnz .LBB171_3
.LBB171_4:
	s_or_b32 exec_lo, exec_lo, s7
	s_mov_b32 s2, 0
.LBB171_5:
	s_delay_alu instid0(SALU_CYCLE_1)
	s_and_not1_b32 vcc_lo, exec_lo, s2
	s_cbranch_vccnz .LBB171_25
; %bb.6:
	v_cmp_lt_i64_e64 s2, s[10:11], 1
	s_delay_alu instid0(VALU_DEP_1)
	s_and_b32 vcc_lo, exec_lo, s2
	s_cbranch_vccnz .LBB171_25
; %bb.7:
	s_load_b32 s0, s[0:1], 0xc5c
	v_dual_mov_b32 v10, 0 :: v_dual_lshlrev_b32 v9, 1, v0
	v_cmp_gt_u64_e64 s1, 0x10000, s[10:11]
	s_mov_b64 s[6:7], 0
	s_delay_alu instid0(VALU_DEP_2) | instskip(NEXT) | instid1(VALU_DEP_1)
	v_add_co_u32 v1, s2, s12, v9
	v_add_co_ci_u32_e64 v2, null, s13, 0, s2
	v_add_co_u32 v3, s2, s14, v9
	s_delay_alu instid0(VALU_DEP_1)
	v_add_co_ci_u32_e64 v4, null, s15, 0, s2
	s_waitcnt lgkmcnt(0)
	s_and_b32 s0, s0, 0xffff
	s_and_b32 s1, s1, exec_lo
	v_mad_u64_u32 v[7:8], null, s0, 6, v[9:10]
	s_cselect_b32 s5, s11, 0
	s_cselect_b32 s4, s10, 0x10000
	s_mul_i32 s2, s0, 3
	s_lshl_b32 s16, s0, 2
	s_lshl_b32 s1, s0, 1
	v_add_co_u32 v14, s3, s16, v9
	v_add_co_u32 v9, s2, s2, v0
	s_delay_alu instid0(VALU_DEP_1) | instskip(SKIP_3) | instid1(VALU_DEP_3)
	v_add_co_ci_u32_e64 v10, null, 0, 0, s2
	v_add_co_u32 v13, s2, v0, s0
	v_add_co_u32 v5, vcc_lo, s12, v7
	v_add_co_ci_u32_e32 v6, vcc_lo, s13, v8, vcc_lo
	v_lshlrev_b32_e32 v21, 1, v13
	v_add_co_u32 v7, vcc_lo, s14, v7
	v_add_co_ci_u32_e64 v15, null, 0, 0, s3
	v_add_co_ci_u32_e32 v8, vcc_lo, s15, v8, vcc_lo
	v_add_co_u32 v17, s1, s1, v0
	v_add_co_u32 v11, vcc_lo, s12, v14
	v_add_co_ci_u32_e64 v18, null, 0, 0, s1
	v_add_co_u32 v19, s1, s12, v21
	v_add_co_ci_u32_e32 v12, vcc_lo, s13, v15, vcc_lo
	v_add_co_u32 v14, vcc_lo, s14, v14
	v_add_co_ci_u32_e64 v20, null, s13, 0, s1
	v_add_co_u32 v21, s1, s14, v21
	v_add_co_ci_u32_e32 v15, vcc_lo, s15, v15, vcc_lo
	v_add_co_ci_u32_e64 v16, null, 0, 0, s2
	v_add_co_ci_u32_e64 v22, null, s15, 0, s1
	s_lshl_b32 s12, s0, 3
	s_branch .LBB171_9
.LBB171_8:                              ;   in Loop: Header=BB171_9 Depth=1
	s_or_b32 exec_lo, exec_lo, s0
	v_add_co_u32 v1, vcc_lo, v1, s12
	v_add_co_ci_u32_e32 v2, vcc_lo, 0, v2, vcc_lo
	v_add_co_u32 v3, vcc_lo, v3, s12
	v_add_co_ci_u32_e32 v4, vcc_lo, 0, v4, vcc_lo
	;; [unrolled: 2-line block ×5, first 2 shown]
	s_add_u32 s6, s6, s16
	v_add_co_u32 v14, vcc_lo, v14, s12
	s_addc_u32 s7, s7, 0
	v_add_co_ci_u32_e32 v15, vcc_lo, 0, v15, vcc_lo
	v_cmp_ge_i64_e64 s0, s[6:7], s[10:11]
	v_cmp_lt_u64_e64 s1, 0xffff, s[6:7]
	v_add_co_u32 v19, vcc_lo, v19, s12
	v_add_co_ci_u32_e32 v20, vcc_lo, 0, v20, vcc_lo
	v_add_co_u32 v21, vcc_lo, v21, s12
	v_add_co_ci_u32_e32 v22, vcc_lo, 0, v22, vcc_lo
	s_or_b32 s0, s0, s1
	s_delay_alu instid0(SALU_CYCLE_1)
	s_and_b32 vcc_lo, exec_lo, s0
	s_cbranch_vccnz .LBB171_25
.LBB171_9:                              ; =>This Inner Loop Header: Depth=1
	s_waitcnt vmcnt(0)
	v_add_co_u32 v23, s0, v0, s6
	s_delay_alu instid0(VALU_DEP_1) | instskip(SKIP_1) | instid1(VALU_DEP_2)
	v_add_co_ci_u32_e64 v24, null, 0, s7, s0
	v_mov_b32_e32 v26, 0
	v_cmp_gt_u64_e64 s2, s[4:5], v[23:24]
	s_delay_alu instid0(VALU_DEP_1)
	s_and_saveexec_b32 s0, s2
	s_cbranch_execz .LBB171_11
; %bb.10:                               ;   in Loop: Header=BB171_9 Depth=1
	v_add_co_u32 v23, vcc_lo, v1, s8
	v_add_co_ci_u32_e32 v24, vcc_lo, s9, v2, vcc_lo
	global_load_u16 v26, v[23:24], off
.LBB171_11:                             ;   in Loop: Header=BB171_9 Depth=1
	s_or_b32 exec_lo, exec_lo, s0
	v_add_co_u32 v23, vcc_lo, v13, s6
	v_add_co_ci_u32_e32 v24, vcc_lo, s7, v16, vcc_lo
	v_mov_b32_e32 v25, 0
	s_delay_alu instid0(VALU_DEP_2) | instskip(NEXT) | instid1(VALU_DEP_1)
	v_cmp_gt_u64_e64 s1, s[4:5], v[23:24]
	s_and_saveexec_b32 s0, s1
	s_cbranch_execz .LBB171_13
; %bb.12:                               ;   in Loop: Header=BB171_9 Depth=1
	v_add_co_u32 v23, vcc_lo, v19, s8
	v_add_co_ci_u32_e32 v24, vcc_lo, s9, v20, vcc_lo
	global_load_u16 v25, v[23:24], off
.LBB171_13:                             ;   in Loop: Header=BB171_9 Depth=1
	s_or_b32 exec_lo, exec_lo, s0
	v_add_co_u32 v23, vcc_lo, v17, s6
	v_add_co_ci_u32_e32 v24, vcc_lo, s7, v18, vcc_lo
	s_delay_alu instid0(VALU_DEP_1) | instskip(SKIP_1) | instid1(VALU_DEP_2)
	v_cmp_gt_u64_e64 s0, s[4:5], v[23:24]
	v_dual_mov_b32 v23, 0 :: v_dual_mov_b32 v24, 0
	s_and_saveexec_b32 s3, s0
	s_cbranch_execz .LBB171_15
; %bb.14:                               ;   in Loop: Header=BB171_9 Depth=1
	v_add_co_u32 v27, vcc_lo, v11, s8
	v_add_co_ci_u32_e32 v28, vcc_lo, s9, v12, vcc_lo
	global_load_u16 v24, v[27:28], off
.LBB171_15:                             ;   in Loop: Header=BB171_9 Depth=1
	s_or_b32 exec_lo, exec_lo, s3
	v_add_co_u32 v27, vcc_lo, v9, s6
	v_add_co_ci_u32_e32 v28, vcc_lo, s7, v10, vcc_lo
	s_delay_alu instid0(VALU_DEP_1)
	v_cmp_gt_u64_e32 vcc_lo, s[4:5], v[27:28]
	s_and_saveexec_b32 s13, vcc_lo
	s_cbranch_execnz .LBB171_20
; %bb.16:                               ;   in Loop: Header=BB171_9 Depth=1
	s_or_b32 exec_lo, exec_lo, s13
	s_and_saveexec_b32 s3, s2
	s_cbranch_execnz .LBB171_21
.LBB171_17:                             ;   in Loop: Header=BB171_9 Depth=1
	s_or_b32 exec_lo, exec_lo, s3
	s_and_saveexec_b32 s2, s1
	s_cbranch_execnz .LBB171_22
.LBB171_18:                             ;   in Loop: Header=BB171_9 Depth=1
	s_or_b32 exec_lo, exec_lo, s2
	s_and_saveexec_b32 s1, s0
	s_cbranch_execnz .LBB171_23
.LBB171_19:                             ;   in Loop: Header=BB171_9 Depth=1
	s_or_b32 exec_lo, exec_lo, s1
	s_and_saveexec_b32 s0, vcc_lo
	s_cbranch_execz .LBB171_8
	s_branch .LBB171_24
.LBB171_20:                             ;   in Loop: Header=BB171_9 Depth=1
	v_add_co_u32 v27, s3, v5, s8
	s_delay_alu instid0(VALU_DEP_1)
	v_add_co_ci_u32_e64 v28, s3, s9, v6, s3
	global_load_u16 v23, v[27:28], off
	s_or_b32 exec_lo, exec_lo, s13
	s_and_saveexec_b32 s3, s2
	s_cbranch_execz .LBB171_17
.LBB171_21:                             ;   in Loop: Header=BB171_9 Depth=1
	s_waitcnt vmcnt(0)
	v_lshlrev_b32_e32 v26, 16, v26
	s_delay_alu instid0(VALU_DEP_1) | instskip(NEXT) | instid1(VALU_DEP_1)
	v_cmp_gt_f32_e64 s2, 0x800000, v26
	v_cndmask_b32_e64 v27, 1.0, 0x4f800000, s2
	s_delay_alu instid0(VALU_DEP_1) | instskip(NEXT) | instid1(VALU_DEP_1)
	v_mul_f32_e32 v26, v26, v27
	v_log_f32_e32 v26, v26
	s_waitcnt_depctr 0xfff
	v_mul_f32_e32 v27, 0x3f317217, v26
	s_delay_alu instid0(VALU_DEP_1) | instskip(NEXT) | instid1(VALU_DEP_1)
	v_fma_f32 v28, 0x3f317217, v26, -v27
	v_fmac_f32_e32 v28, 0x3377d1cf, v26
	s_delay_alu instid0(VALU_DEP_1) | instskip(SKIP_2) | instid1(VALU_DEP_1)
	v_add_f32_e32 v27, v27, v28
	v_cndmask_b32_e64 v28, 0, 0x41b17218, s2
	v_cmp_gt_f32_e64 s2, 0x7f800000, |v26|
	v_cndmask_b32_e64 v26, v26, v27, s2
	s_delay_alu instid0(VALU_DEP_1) | instskip(NEXT) | instid1(VALU_DEP_1)
	v_sub_f32_e32 v26, v26, v28
	v_bfe_u32 v27, v26, 16, 1
	v_cmp_o_f32_e64 s2, v26, v26
	s_delay_alu instid0(VALU_DEP_2) | instskip(NEXT) | instid1(VALU_DEP_1)
	v_add3_u32 v27, v26, v27, 0x7fff
	v_lshrrev_b32_e32 v27, 16, v27
	s_delay_alu instid0(VALU_DEP_1) | instskip(SKIP_1) | instid1(VALU_DEP_1)
	v_cndmask_b32_e64 v28, 0x7fc0, v27, s2
	v_add_co_u32 v26, s2, v3, s8
	v_add_co_ci_u32_e64 v27, s2, s9, v4, s2
	global_store_b16 v[26:27], v28, off
	s_or_b32 exec_lo, exec_lo, s3
	s_and_saveexec_b32 s2, s1
	s_cbranch_execz .LBB171_18
.LBB171_22:                             ;   in Loop: Header=BB171_9 Depth=1
	s_waitcnt vmcnt(0)
	v_lshlrev_b32_e32 v25, 16, v25
	s_delay_alu instid0(VALU_DEP_1) | instskip(NEXT) | instid1(VALU_DEP_1)
	v_cmp_gt_f32_e64 s1, 0x800000, v25
	v_cndmask_b32_e64 v26, 1.0, 0x4f800000, s1
	s_delay_alu instid0(VALU_DEP_1) | instskip(NEXT) | instid1(VALU_DEP_1)
	v_mul_f32_e32 v25, v25, v26
	v_log_f32_e32 v25, v25
	s_waitcnt_depctr 0xfff
	v_mul_f32_e32 v26, 0x3f317217, v25
	s_delay_alu instid0(VALU_DEP_1) | instskip(NEXT) | instid1(VALU_DEP_1)
	v_fma_f32 v27, 0x3f317217, v25, -v26
	v_fmac_f32_e32 v27, 0x3377d1cf, v25
	s_delay_alu instid0(VALU_DEP_1) | instskip(SKIP_2) | instid1(VALU_DEP_1)
	v_add_f32_e32 v26, v26, v27
	v_cndmask_b32_e64 v27, 0, 0x41b17218, s1
	v_cmp_gt_f32_e64 s1, 0x7f800000, |v25|
	v_cndmask_b32_e64 v25, v25, v26, s1
	s_delay_alu instid0(VALU_DEP_1) | instskip(NEXT) | instid1(VALU_DEP_1)
	v_sub_f32_e32 v25, v25, v27
	v_bfe_u32 v26, v25, 16, 1
	v_cmp_o_f32_e64 s1, v25, v25
	s_delay_alu instid0(VALU_DEP_2) | instskip(NEXT) | instid1(VALU_DEP_1)
	v_add3_u32 v26, v25, v26, 0x7fff
	v_lshrrev_b32_e32 v26, 16, v26
	s_delay_alu instid0(VALU_DEP_1) | instskip(SKIP_1) | instid1(VALU_DEP_1)
	v_cndmask_b32_e64 v27, 0x7fc0, v26, s1
	v_add_co_u32 v25, s1, v21, s8
	v_add_co_ci_u32_e64 v26, s1, s9, v22, s1
	global_store_b16 v[25:26], v27, off
	s_or_b32 exec_lo, exec_lo, s2
	s_and_saveexec_b32 s1, s0
	s_cbranch_execz .LBB171_19
.LBB171_23:                             ;   in Loop: Header=BB171_9 Depth=1
	s_waitcnt vmcnt(0)
	v_lshlrev_b32_e32 v24, 16, v24
	s_delay_alu instid0(VALU_DEP_1) | instskip(NEXT) | instid1(VALU_DEP_1)
	v_cmp_gt_f32_e64 s0, 0x800000, v24
	v_cndmask_b32_e64 v25, 1.0, 0x4f800000, s0
	s_delay_alu instid0(VALU_DEP_1) | instskip(NEXT) | instid1(VALU_DEP_1)
	v_mul_f32_e32 v24, v24, v25
	v_log_f32_e32 v24, v24
	s_waitcnt_depctr 0xfff
	v_mul_f32_e32 v25, 0x3f317217, v24
	s_delay_alu instid0(VALU_DEP_1) | instskip(NEXT) | instid1(VALU_DEP_1)
	v_fma_f32 v26, 0x3f317217, v24, -v25
	v_fmac_f32_e32 v26, 0x3377d1cf, v24
	s_delay_alu instid0(VALU_DEP_1) | instskip(SKIP_2) | instid1(VALU_DEP_1)
	v_add_f32_e32 v25, v25, v26
	v_cndmask_b32_e64 v26, 0, 0x41b17218, s0
	v_cmp_gt_f32_e64 s0, 0x7f800000, |v24|
	v_cndmask_b32_e64 v24, v24, v25, s0
	s_delay_alu instid0(VALU_DEP_1) | instskip(NEXT) | instid1(VALU_DEP_1)
	v_sub_f32_e32 v24, v24, v26
	v_bfe_u32 v25, v24, 16, 1
	v_cmp_o_f32_e64 s0, v24, v24
	s_delay_alu instid0(VALU_DEP_2) | instskip(NEXT) | instid1(VALU_DEP_1)
	v_add3_u32 v25, v24, v25, 0x7fff
	v_lshrrev_b32_e32 v25, 16, v25
	s_delay_alu instid0(VALU_DEP_1) | instskip(SKIP_1) | instid1(VALU_DEP_1)
	v_cndmask_b32_e64 v26, 0x7fc0, v25, s0
	v_add_co_u32 v24, s0, v14, s8
	v_add_co_ci_u32_e64 v25, s0, s9, v15, s0
	global_store_b16 v[24:25], v26, off
	s_or_b32 exec_lo, exec_lo, s1
	s_and_saveexec_b32 s0, vcc_lo
	s_cbranch_execz .LBB171_8
.LBB171_24:                             ;   in Loop: Header=BB171_9 Depth=1
	s_waitcnt vmcnt(0)
	v_lshlrev_b32_e32 v23, 16, v23
	s_delay_alu instid0(VALU_DEP_1) | instskip(SKIP_1) | instid1(VALU_DEP_1)
	v_cmp_gt_f32_e32 vcc_lo, 0x800000, v23
	v_cndmask_b32_e64 v24, 1.0, 0x4f800000, vcc_lo
	v_mul_f32_e32 v23, v23, v24
	s_delay_alu instid0(VALU_DEP_1) | instskip(SKIP_2) | instid1(VALU_DEP_1)
	v_log_f32_e32 v23, v23
	s_waitcnt_depctr 0xfff
	v_mul_f32_e32 v24, 0x3f317217, v23
	v_fma_f32 v25, 0x3f317217, v23, -v24
	s_delay_alu instid0(VALU_DEP_1) | instskip(NEXT) | instid1(VALU_DEP_1)
	v_fmac_f32_e32 v25, 0x3377d1cf, v23
	v_add_f32_e32 v24, v24, v25
	v_cndmask_b32_e64 v25, 0, 0x41b17218, vcc_lo
	v_cmp_gt_f32_e64 vcc_lo, 0x7f800000, |v23|
	s_delay_alu instid0(VALU_DEP_3) | instskip(NEXT) | instid1(VALU_DEP_1)
	v_cndmask_b32_e32 v23, v23, v24, vcc_lo
	v_sub_f32_e32 v23, v23, v25
	s_delay_alu instid0(VALU_DEP_1) | instskip(SKIP_1) | instid1(VALU_DEP_2)
	v_bfe_u32 v24, v23, 16, 1
	v_cmp_o_f32_e32 vcc_lo, v23, v23
	v_add3_u32 v24, v23, v24, 0x7fff
	s_delay_alu instid0(VALU_DEP_1) | instskip(NEXT) | instid1(VALU_DEP_1)
	v_lshrrev_b32_e32 v24, 16, v24
	v_cndmask_b32_e32 v25, 0x7fc0, v24, vcc_lo
	v_add_co_u32 v23, vcc_lo, v7, s8
	v_add_co_ci_u32_e32 v24, vcc_lo, s9, v8, vcc_lo
	global_store_b16 v[23:24], v25, off
	s_branch .LBB171_8
.LBB171_25:
	s_nop 0
	s_sendmsg sendmsg(MSG_DEALLOC_VGPRS)
	s_endpgm
	.section	.rodata,"a",@progbits
	.p2align	6, 0x0
	.amdhsa_kernel _ZN2at6native12_GLOBAL__N_125multi_tensor_apply_kernelINS1_18TensorListMetadataILi2EEENS1_14UnaryOpFunctorIN3c108BFloat16ELi2ELi1ELi1EEEJNS0_3LogIfEEEEEvT_T0_DpT1_
		.amdhsa_group_segment_fixed_size 0
		.amdhsa_private_segment_fixed_size 0
		.amdhsa_kernarg_size 3408
		.amdhsa_user_sgpr_count 15
		.amdhsa_user_sgpr_dispatch_ptr 0
		.amdhsa_user_sgpr_queue_ptr 0
		.amdhsa_user_sgpr_kernarg_segment_ptr 1
		.amdhsa_user_sgpr_dispatch_id 0
		.amdhsa_user_sgpr_private_segment_size 0
		.amdhsa_wavefront_size32 1
		.amdhsa_uses_dynamic_stack 0
		.amdhsa_enable_private_segment 0
		.amdhsa_system_sgpr_workgroup_id_x 1
		.amdhsa_system_sgpr_workgroup_id_y 0
		.amdhsa_system_sgpr_workgroup_id_z 0
		.amdhsa_system_sgpr_workgroup_info 0
		.amdhsa_system_vgpr_workitem_id 0
		.amdhsa_next_free_vgpr 29
		.amdhsa_next_free_sgpr 19
		.amdhsa_reserve_vcc 1
		.amdhsa_float_round_mode_32 0
		.amdhsa_float_round_mode_16_64 0
		.amdhsa_float_denorm_mode_32 3
		.amdhsa_float_denorm_mode_16_64 3
		.amdhsa_dx10_clamp 1
		.amdhsa_ieee_mode 1
		.amdhsa_fp16_overflow 0
		.amdhsa_workgroup_processor_mode 1
		.amdhsa_memory_ordered 1
		.amdhsa_forward_progress 0
		.amdhsa_shared_vgpr_count 0
		.amdhsa_exception_fp_ieee_invalid_op 0
		.amdhsa_exception_fp_denorm_src 0
		.amdhsa_exception_fp_ieee_div_zero 0
		.amdhsa_exception_fp_ieee_overflow 0
		.amdhsa_exception_fp_ieee_underflow 0
		.amdhsa_exception_fp_ieee_inexact 0
		.amdhsa_exception_int_div_zero 0
	.end_amdhsa_kernel
	.section	.text._ZN2at6native12_GLOBAL__N_125multi_tensor_apply_kernelINS1_18TensorListMetadataILi2EEENS1_14UnaryOpFunctorIN3c108BFloat16ELi2ELi1ELi1EEEJNS0_3LogIfEEEEEvT_T0_DpT1_,"axG",@progbits,_ZN2at6native12_GLOBAL__N_125multi_tensor_apply_kernelINS1_18TensorListMetadataILi2EEENS1_14UnaryOpFunctorIN3c108BFloat16ELi2ELi1ELi1EEEJNS0_3LogIfEEEEEvT_T0_DpT1_,comdat
.Lfunc_end171:
	.size	_ZN2at6native12_GLOBAL__N_125multi_tensor_apply_kernelINS1_18TensorListMetadataILi2EEENS1_14UnaryOpFunctorIN3c108BFloat16ELi2ELi1ELi1EEEJNS0_3LogIfEEEEEvT_T0_DpT1_, .Lfunc_end171-_ZN2at6native12_GLOBAL__N_125multi_tensor_apply_kernelINS1_18TensorListMetadataILi2EEENS1_14UnaryOpFunctorIN3c108BFloat16ELi2ELi1ELi1EEEJNS0_3LogIfEEEEEvT_T0_DpT1_
                                        ; -- End function
	.section	.AMDGPU.csdata,"",@progbits
; Kernel info:
; codeLenInByte = 2752
; NumSgprs: 21
; NumVgprs: 29
; ScratchSize: 0
; MemoryBound: 0
; FloatMode: 240
; IeeeMode: 1
; LDSByteSize: 0 bytes/workgroup (compile time only)
; SGPRBlocks: 2
; VGPRBlocks: 3
; NumSGPRsForWavesPerEU: 21
; NumVGPRsForWavesPerEU: 29
; Occupancy: 16
; WaveLimiterHint : 0
; COMPUTE_PGM_RSRC2:SCRATCH_EN: 0
; COMPUTE_PGM_RSRC2:USER_SGPR: 15
; COMPUTE_PGM_RSRC2:TRAP_HANDLER: 0
; COMPUTE_PGM_RSRC2:TGID_X_EN: 1
; COMPUTE_PGM_RSRC2:TGID_Y_EN: 0
; COMPUTE_PGM_RSRC2:TGID_Z_EN: 0
; COMPUTE_PGM_RSRC2:TIDIG_COMP_CNT: 0
	.section	.text._ZN2at6native12_GLOBAL__N_125multi_tensor_apply_kernelINS1_18TensorListMetadataILi1EEENS1_14UnaryOpFunctorIdLi1ELi1ELi0EEEJNS0_3LogIdEEEEEvT_T0_DpT1_,"axG",@progbits,_ZN2at6native12_GLOBAL__N_125multi_tensor_apply_kernelINS1_18TensorListMetadataILi1EEENS1_14UnaryOpFunctorIdLi1ELi1ELi0EEEJNS0_3LogIdEEEEEvT_T0_DpT1_,comdat
	.globl	_ZN2at6native12_GLOBAL__N_125multi_tensor_apply_kernelINS1_18TensorListMetadataILi1EEENS1_14UnaryOpFunctorIdLi1ELi1ELi0EEEJNS0_3LogIdEEEEEvT_T0_DpT1_ ; -- Begin function _ZN2at6native12_GLOBAL__N_125multi_tensor_apply_kernelINS1_18TensorListMetadataILi1EEENS1_14UnaryOpFunctorIdLi1ELi1ELi0EEEJNS0_3LogIdEEEEEvT_T0_DpT1_
	.p2align	8
	.type	_ZN2at6native12_GLOBAL__N_125multi_tensor_apply_kernelINS1_18TensorListMetadataILi1EEENS1_14UnaryOpFunctorIdLi1ELi1ELi0EEEJNS0_3LogIdEEEEEvT_T0_DpT1_,@function
_ZN2at6native12_GLOBAL__N_125multi_tensor_apply_kernelINS1_18TensorListMetadataILi1EEENS1_14UnaryOpFunctorIdLi1ELi1ELi0EEEJNS0_3LogIdEEEEEvT_T0_DpT1_: ; @_ZN2at6native12_GLOBAL__N_125multi_tensor_apply_kernelINS1_18TensorListMetadataILi1EEENS1_14UnaryOpFunctorIdLi1ELi1ELi0EEEJNS0_3LogIdEEEEEvT_T0_DpT1_
; %bb.0:
	v_mov_b32_e32 v1, s15
	s_add_u32 s2, s0, s15
	s_mul_hi_u32 s3, s15, 3
	s_mul_i32 s15, s15, 3
	s_addc_u32 s4, s1, 0
	global_load_u8 v1, v1, s[0:1] offset:1760
	s_add_u32 s2, s2, s15
	s_addc_u32 s3, s4, s3
	s_mov_b32 s13, 0
	s_load_b32 s2, s[2:3], 0x820
	s_waitcnt vmcnt(0)
	v_readfirstlane_b32 s5, v1
	s_delay_alu instid0(VALU_DEP_1)
	s_lshl_b32 s3, s5, 3
	s_clause 0x1
	s_load_b64 s[8:9], s[0:1], s3 offset:0x0
	s_load_b64 s[4:5], s[0:1], s3 offset:0x370
	s_waitcnt lgkmcnt(0)
	s_ashr_i32 s3, s2, 31
	s_delay_alu instid0(SALU_CYCLE_1)
	s_lshl_b64 s[10:11], s[2:3], 19
	s_lshl_b64 s[2:3], s[2:3], 16
	s_and_b32 s12, s8, 31
	s_sub_u32 s6, s4, s2
	s_subb_u32 s7, s5, s3
	s_and_b32 s2, s4, 3
	s_mov_b32 s3, s13
	s_delay_alu instid0(SALU_CYCLE_1) | instskip(NEXT) | instid1(SALU_CYCLE_1)
	s_or_b64 s[2:3], s[12:13], s[2:3]
	s_cmp_eq_u64 s[2:3], 0
	s_cbranch_scc1 .LBB172_21
; %bb.1:
	v_cmp_lt_i64_e64 s2, s[6:7], 1
	s_delay_alu instid0(VALU_DEP_1)
	s_and_b32 vcc_lo, exec_lo, s2
	s_cbranch_vccnz .LBB172_20
; %bb.2:
	s_load_b32 s2, s[0:1], 0xd3c
	v_cmp_gt_u64_e64 s3, 0x10000, s[6:7]
	v_dual_mov_b32 v1, 0 :: v_dual_lshlrev_b32 v2, 3, v0
	s_mov_b32 s14, 0x55555555
	s_mov_b32 s16, 0xfefa39ef
	;; [unrolled: 1-line block ×16, first 2 shown]
	s_waitcnt lgkmcnt(0)
	s_and_b32 s2, s2, 0xffff
	s_and_b32 s3, s3, exec_lo
	v_add_co_u32 v15, s5, v0, s2
	s_mul_i32 s4, s2, 3
	s_cselect_b32 s13, s7, 0
	s_cselect_b32 s12, s6, 0x10000
	s_lshl_b32 s3, s2, 1
	s_lshl_b32 s33, s2, 2
	s_add_u32 s34, s8, s10
	v_add_co_u32 v16, s4, s4, v0
	s_delay_alu instid0(VALU_DEP_1)
	v_add_co_ci_u32_e64 v17, null, 0, 0, s4
	v_add_co_u32 v3, s4, s34, v2
	v_lshlrev_b32_e32 v2, 3, v15
	v_add_co_u32 v18, s3, s3, v0
	s_addc_u32 s35, s9, s11
	v_add_co_ci_u32_e64 v19, null, 0, 0, s3
	s_delay_alu instid0(VALU_DEP_3)
	v_add_co_u32 v5, s3, s34, v2
	v_add_co_ci_u32_e64 v4, null, s35, 0, s4
	v_add_co_ci_u32_e64 v20, null, 0, 0, s5
	;; [unrolled: 1-line block ×3, first 2 shown]
	s_mul_i32 s38, s2, 24
	s_lshl_b32 s39, s2, 5
	s_mov_b32 s29, 0x3fd24924
	s_mov_b32 s31, 0x3fd99999
	s_lshl_b32 s40, s2, 4
	s_mov_b64 s[34:35], 0
	s_mov_b32 s36, 0x55555780
	s_branch .LBB172_4
.LBB172_3:                              ;   in Loop: Header=BB172_4 Depth=1
	s_or_b32 exec_lo, exec_lo, s2
	s_add_u32 s34, s34, s33
	s_addc_u32 s35, s35, 0
	v_add_co_u32 v3, vcc_lo, v3, s39
	v_cmp_lt_i64_e64 s2, s[34:35], s[6:7]
	v_cmp_gt_u64_e64 s3, 0x10000, s[34:35]
	v_add_co_ci_u32_e32 v4, vcc_lo, 0, v4, vcc_lo
	v_add_co_u32 v5, vcc_lo, v5, s39
	v_add_co_ci_u32_e32 v6, vcc_lo, 0, v6, vcc_lo
	s_delay_alu instid0(VALU_DEP_4) | instskip(NEXT) | instid1(SALU_CYCLE_1)
	s_and_b32 s2, s2, s3
	s_and_b32 vcc_lo, exec_lo, s2
	s_cbranch_vccz .LBB172_20
.LBB172_4:                              ; =>This Inner Loop Header: Depth=1
	s_waitcnt vmcnt(0)
	v_add_co_u32 v7, s2, v0, s34
	s_delay_alu instid0(VALU_DEP_1) | instskip(SKIP_2) | instid1(VALU_DEP_3)
	v_add_co_ci_u32_e64 v8, null, 0, s35, s2
	v_mov_b32_e32 v11, 0
	v_mov_b32_e32 v12, 0
	v_cmp_gt_u64_e64 s4, s[12:13], v[7:8]
	s_delay_alu instid0(VALU_DEP_2) | instskip(NEXT) | instid1(VALU_DEP_2)
	v_dual_mov_b32 v14, v12 :: v_dual_mov_b32 v13, v11
	s_and_saveexec_b32 s2, s4
	s_cbranch_execz .LBB172_6
; %bb.5:                                ;   in Loop: Header=BB172_4 Depth=1
	global_load_b64 v[13:14], v[3:4], off
.LBB172_6:                              ;   in Loop: Header=BB172_4 Depth=1
	s_or_b32 exec_lo, exec_lo, s2
	v_add_co_u32 v7, vcc_lo, v15, s34
	v_add_co_ci_u32_e32 v8, vcc_lo, s35, v20, vcc_lo
	s_delay_alu instid0(VALU_DEP_1) | instskip(NEXT) | instid1(VALU_DEP_1)
	v_cmp_gt_u64_e64 s3, s[12:13], v[7:8]
	s_and_saveexec_b32 s2, s3
	s_cbranch_execz .LBB172_8
; %bb.7:                                ;   in Loop: Header=BB172_4 Depth=1
	global_load_b64 v[11:12], v[5:6], off
.LBB172_8:                              ;   in Loop: Header=BB172_4 Depth=1
	s_or_b32 exec_lo, exec_lo, s2
	v_add_co_u32 v9, vcc_lo, v18, s34
	v_add_co_ci_u32_e32 v10, vcc_lo, s35, v19, vcc_lo
	v_mov_b32_e32 v7, 0
	v_mov_b32_e32 v8, 0
	s_delay_alu instid0(VALU_DEP_3) | instskip(NEXT) | instid1(VALU_DEP_2)
	v_cmp_gt_u64_e64 s2, s[12:13], v[9:10]
	v_dual_mov_b32 v10, v8 :: v_dual_mov_b32 v9, v7
	s_delay_alu instid0(VALU_DEP_2)
	s_and_saveexec_b32 s5, s2
	s_cbranch_execz .LBB172_10
; %bb.9:                                ;   in Loop: Header=BB172_4 Depth=1
	v_add_co_u32 v9, vcc_lo, v3, s40
	v_add_co_ci_u32_e32 v10, vcc_lo, 0, v4, vcc_lo
	global_load_b64 v[9:10], v[9:10], off
.LBB172_10:                             ;   in Loop: Header=BB172_4 Depth=1
	s_or_b32 exec_lo, exec_lo, s5
	v_add_co_u32 v21, vcc_lo, v16, s34
	v_add_co_ci_u32_e32 v22, vcc_lo, s35, v17, vcc_lo
	s_delay_alu instid0(VALU_DEP_1)
	v_cmp_gt_u64_e32 vcc_lo, s[12:13], v[21:22]
	s_and_saveexec_b32 s37, vcc_lo
	s_cbranch_execnz .LBB172_15
; %bb.11:                               ;   in Loop: Header=BB172_4 Depth=1
	s_or_b32 exec_lo, exec_lo, s37
	s_and_saveexec_b32 s41, s4
	s_cbranch_execnz .LBB172_16
.LBB172_12:                             ;   in Loop: Header=BB172_4 Depth=1
	s_or_b32 exec_lo, exec_lo, s41
	s_and_saveexec_b32 s4, s3
	s_cbranch_execnz .LBB172_17
.LBB172_13:                             ;   in Loop: Header=BB172_4 Depth=1
	s_or_b32 exec_lo, exec_lo, s4
	s_and_saveexec_b32 s3, s2
	s_cbranch_execnz .LBB172_18
.LBB172_14:                             ;   in Loop: Header=BB172_4 Depth=1
	s_or_b32 exec_lo, exec_lo, s3
	s_and_saveexec_b32 s2, vcc_lo
	s_cbranch_execz .LBB172_3
	s_branch .LBB172_19
.LBB172_15:                             ;   in Loop: Header=BB172_4 Depth=1
	v_add_co_u32 v7, s5, v3, s38
	s_delay_alu instid0(VALU_DEP_1)
	v_add_co_ci_u32_e64 v8, s5, 0, v4, s5
	global_load_b64 v[7:8], v[7:8], off
	s_or_b32 exec_lo, exec_lo, s37
	s_and_saveexec_b32 s41, s4
	s_cbranch_execz .LBB172_12
.LBB172_16:                             ;   in Loop: Header=BB172_4 Depth=1
	s_waitcnt vmcnt(0)
	v_frexp_mant_f64_e32 v[21:22], v[13:14]
	v_frexp_exp_i32_f64_e32 v2, v[13:14]
	s_mov_b32 s37, s15
	s_delay_alu instid0(VALU_DEP_2) | instskip(NEXT) | instid1(VALU_DEP_1)
	v_cmp_gt_f64_e64 s4, s[14:15], v[21:22]
	v_subrev_co_ci_u32_e64 v35, s5, 0, v2, s4
	v_cndmask_b32_e64 v2, 0x3ff00000, 2.0, s4
	v_cmp_class_f64_e64 s4, v[13:14], 0x204
	s_delay_alu instid0(VALU_DEP_2) | instskip(NEXT) | instid1(VALU_DEP_1)
	v_mul_f64 v[21:22], v[21:22], v[1:2]
	v_add_f64 v[23:24], v[21:22], 1.0
	v_add_f64 v[29:30], v[21:22], -1.0
	s_delay_alu instid0(VALU_DEP_2) | instskip(SKIP_1) | instid1(VALU_DEP_1)
	v_rcp_f64_e32 v[25:26], v[23:24]
	v_add_f64 v[31:32], v[23:24], -1.0
	v_add_f64 v[21:22], v[21:22], -v[31:32]
	s_waitcnt_depctr 0xfff
	v_fma_f64 v[27:28], -v[23:24], v[25:26], 1.0
	s_delay_alu instid0(VALU_DEP_1) | instskip(NEXT) | instid1(VALU_DEP_1)
	v_fma_f64 v[25:26], v[27:28], v[25:26], v[25:26]
	v_fma_f64 v[27:28], -v[23:24], v[25:26], 1.0
	s_delay_alu instid0(VALU_DEP_1) | instskip(NEXT) | instid1(VALU_DEP_1)
	v_fma_f64 v[25:26], v[27:28], v[25:26], v[25:26]
	v_mul_f64 v[27:28], v[29:30], v[25:26]
	s_delay_alu instid0(VALU_DEP_1) | instskip(NEXT) | instid1(VALU_DEP_1)
	v_mul_f64 v[33:34], v[23:24], v[27:28]
	v_fma_f64 v[23:24], v[27:28], v[23:24], -v[33:34]
	s_delay_alu instid0(VALU_DEP_1) | instskip(NEXT) | instid1(VALU_DEP_1)
	v_fma_f64 v[21:22], v[27:28], v[21:22], v[23:24]
	v_add_f64 v[23:24], v[33:34], v[21:22]
	s_delay_alu instid0(VALU_DEP_1) | instskip(SKIP_1) | instid1(VALU_DEP_2)
	v_add_f64 v[31:32], v[29:30], -v[23:24]
	v_add_f64 v[33:34], v[23:24], -v[33:34]
	v_add_f64 v[29:30], v[29:30], -v[31:32]
	s_delay_alu instid0(VALU_DEP_2) | instskip(NEXT) | instid1(VALU_DEP_2)
	v_add_f64 v[21:22], v[33:34], -v[21:22]
	v_add_f64 v[23:24], v[29:30], -v[23:24]
	s_delay_alu instid0(VALU_DEP_1) | instskip(NEXT) | instid1(VALU_DEP_1)
	v_add_f64 v[21:22], v[21:22], v[23:24]
	v_add_f64 v[21:22], v[31:32], v[21:22]
	s_delay_alu instid0(VALU_DEP_1) | instskip(NEXT) | instid1(VALU_DEP_1)
	v_mul_f64 v[21:22], v[25:26], v[21:22]
	v_add_f64 v[23:24], v[27:28], v[21:22]
	s_delay_alu instid0(VALU_DEP_1) | instskip(NEXT) | instid1(VALU_DEP_1)
	v_mul_f64 v[25:26], v[23:24], v[23:24]
	v_fma_f64 v[29:30], v[25:26], s[22:23], s[20:21]
	v_mul_f64 v[31:32], v[23:24], v[25:26]
	s_delay_alu instid0(VALU_DEP_2) | instskip(NEXT) | instid1(VALU_DEP_1)
	v_fma_f64 v[29:30], v[25:26], v[29:30], s[24:25]
	v_fma_f64 v[29:30], v[25:26], v[29:30], s[26:27]
	s_delay_alu instid0(VALU_DEP_1) | instskip(NEXT) | instid1(VALU_DEP_1)
	v_fma_f64 v[29:30], v[25:26], v[29:30], s[28:29]
	v_fma_f64 v[29:30], v[25:26], v[29:30], s[30:31]
	s_delay_alu instid0(VALU_DEP_1) | instskip(SKIP_2) | instid1(VALU_DEP_3)
	v_fma_f64 v[25:26], v[25:26], v[29:30], s[36:37]
	v_ldexp_f64 v[29:30], v[23:24], 1
	v_add_f64 v[23:24], v[23:24], -v[27:28]
	v_mul_f64 v[25:26], v[31:32], v[25:26]
	v_cvt_f64_i32_e32 v[31:32], v35
	s_delay_alu instid0(VALU_DEP_3) | instskip(NEXT) | instid1(VALU_DEP_3)
	v_add_f64 v[21:22], v[21:22], -v[23:24]
	v_add_f64 v[27:28], v[29:30], v[25:26]
	s_delay_alu instid0(VALU_DEP_3) | instskip(NEXT) | instid1(VALU_DEP_3)
	v_mul_f64 v[33:34], v[31:32], s[16:17]
	v_ldexp_f64 v[21:22], v[21:22], 1
	s_delay_alu instid0(VALU_DEP_3) | instskip(NEXT) | instid1(VALU_DEP_3)
	v_add_f64 v[23:24], v[27:28], -v[29:30]
	v_fma_f64 v[29:30], v[31:32], s[16:17], -v[33:34]
	s_delay_alu instid0(VALU_DEP_2) | instskip(NEXT) | instid1(VALU_DEP_2)
	v_add_f64 v[23:24], v[25:26], -v[23:24]
	v_fma_f64 v[25:26], v[31:32], s[18:19], v[29:30]
	s_delay_alu instid0(VALU_DEP_2) | instskip(NEXT) | instid1(VALU_DEP_2)
	v_add_f64 v[21:22], v[21:22], v[23:24]
	v_add_f64 v[23:24], v[33:34], v[25:26]
	s_delay_alu instid0(VALU_DEP_2) | instskip(NEXT) | instid1(VALU_DEP_2)
	v_add_f64 v[29:30], v[27:28], v[21:22]
	v_add_f64 v[33:34], v[23:24], -v[33:34]
	s_delay_alu instid0(VALU_DEP_2) | instskip(SKIP_1) | instid1(VALU_DEP_3)
	v_add_f64 v[31:32], v[23:24], v[29:30]
	v_add_f64 v[27:28], v[29:30], -v[27:28]
	v_add_f64 v[25:26], v[25:26], -v[33:34]
	s_delay_alu instid0(VALU_DEP_3) | instskip(NEXT) | instid1(VALU_DEP_3)
	v_add_f64 v[35:36], v[31:32], -v[23:24]
	v_add_f64 v[21:22], v[21:22], -v[27:28]
	s_delay_alu instid0(VALU_DEP_2) | instskip(SKIP_1) | instid1(VALU_DEP_3)
	v_add_f64 v[37:38], v[31:32], -v[35:36]
	v_add_f64 v[27:28], v[29:30], -v[35:36]
	v_add_f64 v[29:30], v[25:26], v[21:22]
	s_delay_alu instid0(VALU_DEP_3) | instskip(NEXT) | instid1(VALU_DEP_1)
	v_add_f64 v[23:24], v[23:24], -v[37:38]
	v_add_f64 v[23:24], v[27:28], v[23:24]
	s_delay_alu instid0(VALU_DEP_3) | instskip(NEXT) | instid1(VALU_DEP_2)
	v_add_f64 v[27:28], v[29:30], -v[25:26]
	v_add_f64 v[23:24], v[29:30], v[23:24]
	s_delay_alu instid0(VALU_DEP_2) | instskip(SKIP_1) | instid1(VALU_DEP_3)
	v_add_f64 v[29:30], v[29:30], -v[27:28]
	v_add_f64 v[21:22], v[21:22], -v[27:28]
	v_add_f64 v[33:34], v[31:32], v[23:24]
	s_delay_alu instid0(VALU_DEP_3) | instskip(NEXT) | instid1(VALU_DEP_2)
	v_add_f64 v[25:26], v[25:26], -v[29:30]
	v_add_f64 v[27:28], v[33:34], -v[31:32]
	s_delay_alu instid0(VALU_DEP_2) | instskip(NEXT) | instid1(VALU_DEP_2)
	v_add_f64 v[21:22], v[21:22], v[25:26]
	v_add_f64 v[23:24], v[23:24], -v[27:28]
	s_delay_alu instid0(VALU_DEP_1) | instskip(NEXT) | instid1(VALU_DEP_1)
	v_add_f64 v[21:22], v[21:22], v[23:24]
	v_add_f64 v[21:22], v[33:34], v[21:22]
	s_delay_alu instid0(VALU_DEP_1) | instskip(NEXT) | instid1(VALU_DEP_2)
	v_cndmask_b32_e64 v2, v21, v13, s4
	v_cndmask_b32_e64 v21, v22, v14, s4
	v_cmp_ngt_f64_e64 s4, 0, v[13:14]
	s_delay_alu instid0(VALU_DEP_1) | instskip(SKIP_1) | instid1(VALU_DEP_1)
	v_cndmask_b32_e64 v22, 0x7ff80000, v21, s4
	v_cmp_nge_f64_e64 s4, 0, v[13:14]
	v_cndmask_b32_e64 v21, 0, v2, s4
	v_cmp_neq_f64_e64 s4, 0, v[13:14]
	s_delay_alu instid0(VALU_DEP_1)
	v_cndmask_b32_e64 v22, 0xfff00000, v22, s4
	global_store_b64 v[3:4], v[21:22], off
	s_or_b32 exec_lo, exec_lo, s41
	s_and_saveexec_b32 s4, s3
	s_cbranch_execz .LBB172_13
.LBB172_17:                             ;   in Loop: Header=BB172_4 Depth=1
	s_waitcnt vmcnt(0)
	v_frexp_mant_f64_e32 v[13:14], v[11:12]
	s_mov_b32 s37, s15
	s_delay_alu instid0(VALU_DEP_1) | instskip(NEXT) | instid1(VALU_DEP_1)
	v_cmp_gt_f64_e64 s3, s[14:15], v[13:14]
	v_cndmask_b32_e64 v2, 0x3ff00000, 2.0, s3
	s_delay_alu instid0(VALU_DEP_1) | instskip(SKIP_1) | instid1(VALU_DEP_2)
	v_mul_f64 v[13:14], v[13:14], v[1:2]
	v_frexp_exp_i32_f64_e32 v2, v[11:12]
	v_add_f64 v[21:22], v[13:14], 1.0
	v_add_f64 v[27:28], v[13:14], -1.0
	s_delay_alu instid0(VALU_DEP_3) | instskip(SKIP_1) | instid1(VALU_DEP_4)
	v_subrev_co_ci_u32_e64 v2, s3, 0, v2, s3
	v_cmp_class_f64_e64 s3, v[11:12], 0x204
	v_rcp_f64_e32 v[23:24], v[21:22]
	v_add_f64 v[29:30], v[21:22], -1.0
	s_delay_alu instid0(VALU_DEP_1) | instskip(SKIP_2) | instid1(VALU_DEP_1)
	v_add_f64 v[13:14], v[13:14], -v[29:30]
	s_waitcnt_depctr 0xfff
	v_fma_f64 v[25:26], -v[21:22], v[23:24], 1.0
	v_fma_f64 v[23:24], v[25:26], v[23:24], v[23:24]
	s_delay_alu instid0(VALU_DEP_1) | instskip(NEXT) | instid1(VALU_DEP_1)
	v_fma_f64 v[25:26], -v[21:22], v[23:24], 1.0
	v_fma_f64 v[23:24], v[25:26], v[23:24], v[23:24]
	s_delay_alu instid0(VALU_DEP_1) | instskip(NEXT) | instid1(VALU_DEP_1)
	v_mul_f64 v[25:26], v[27:28], v[23:24]
	v_mul_f64 v[31:32], v[21:22], v[25:26]
	s_delay_alu instid0(VALU_DEP_1) | instskip(NEXT) | instid1(VALU_DEP_1)
	v_fma_f64 v[21:22], v[25:26], v[21:22], -v[31:32]
	v_fma_f64 v[13:14], v[25:26], v[13:14], v[21:22]
	s_delay_alu instid0(VALU_DEP_1) | instskip(NEXT) | instid1(VALU_DEP_1)
	v_add_f64 v[21:22], v[31:32], v[13:14]
	v_add_f64 v[29:30], v[27:28], -v[21:22]
	v_add_f64 v[31:32], v[21:22], -v[31:32]
	s_delay_alu instid0(VALU_DEP_2) | instskip(NEXT) | instid1(VALU_DEP_2)
	v_add_f64 v[27:28], v[27:28], -v[29:30]
	v_add_f64 v[13:14], v[31:32], -v[13:14]
	s_delay_alu instid0(VALU_DEP_2) | instskip(NEXT) | instid1(VALU_DEP_1)
	v_add_f64 v[21:22], v[27:28], -v[21:22]
	v_add_f64 v[13:14], v[13:14], v[21:22]
	s_delay_alu instid0(VALU_DEP_1) | instskip(NEXT) | instid1(VALU_DEP_1)
	v_add_f64 v[13:14], v[29:30], v[13:14]
	v_mul_f64 v[13:14], v[23:24], v[13:14]
	s_delay_alu instid0(VALU_DEP_1) | instskip(NEXT) | instid1(VALU_DEP_1)
	v_add_f64 v[21:22], v[25:26], v[13:14]
	v_mul_f64 v[23:24], v[21:22], v[21:22]
	s_delay_alu instid0(VALU_DEP_1) | instskip(SKIP_1) | instid1(VALU_DEP_2)
	v_fma_f64 v[27:28], v[23:24], s[22:23], s[20:21]
	v_mul_f64 v[29:30], v[21:22], v[23:24]
	v_fma_f64 v[27:28], v[23:24], v[27:28], s[24:25]
	s_delay_alu instid0(VALU_DEP_1) | instskip(NEXT) | instid1(VALU_DEP_1)
	v_fma_f64 v[27:28], v[23:24], v[27:28], s[26:27]
	v_fma_f64 v[27:28], v[23:24], v[27:28], s[28:29]
	s_delay_alu instid0(VALU_DEP_1) | instskip(NEXT) | instid1(VALU_DEP_1)
	v_fma_f64 v[27:28], v[23:24], v[27:28], s[30:31]
	v_fma_f64 v[23:24], v[23:24], v[27:28], s[36:37]
	v_ldexp_f64 v[27:28], v[21:22], 1
	v_add_f64 v[21:22], v[21:22], -v[25:26]
	s_delay_alu instid0(VALU_DEP_3) | instskip(SKIP_1) | instid1(VALU_DEP_3)
	v_mul_f64 v[23:24], v[29:30], v[23:24]
	v_cvt_f64_i32_e32 v[29:30], v2
	v_add_f64 v[13:14], v[13:14], -v[21:22]
	s_delay_alu instid0(VALU_DEP_3) | instskip(NEXT) | instid1(VALU_DEP_3)
	v_add_f64 v[25:26], v[27:28], v[23:24]
	v_mul_f64 v[31:32], v[29:30], s[16:17]
	s_delay_alu instid0(VALU_DEP_3) | instskip(NEXT) | instid1(VALU_DEP_3)
	v_ldexp_f64 v[13:14], v[13:14], 1
	v_add_f64 v[21:22], v[25:26], -v[27:28]
	s_delay_alu instid0(VALU_DEP_3) | instskip(NEXT) | instid1(VALU_DEP_2)
	v_fma_f64 v[27:28], v[29:30], s[16:17], -v[31:32]
	v_add_f64 v[21:22], v[23:24], -v[21:22]
	s_delay_alu instid0(VALU_DEP_2) | instskip(NEXT) | instid1(VALU_DEP_2)
	v_fma_f64 v[23:24], v[29:30], s[18:19], v[27:28]
	v_add_f64 v[13:14], v[13:14], v[21:22]
	s_delay_alu instid0(VALU_DEP_2) | instskip(NEXT) | instid1(VALU_DEP_2)
	v_add_f64 v[21:22], v[31:32], v[23:24]
	v_add_f64 v[27:28], v[25:26], v[13:14]
	s_delay_alu instid0(VALU_DEP_2) | instskip(NEXT) | instid1(VALU_DEP_2)
	v_add_f64 v[31:32], v[21:22], -v[31:32]
	v_add_f64 v[29:30], v[21:22], v[27:28]
	v_add_f64 v[25:26], v[27:28], -v[25:26]
	s_delay_alu instid0(VALU_DEP_3) | instskip(NEXT) | instid1(VALU_DEP_3)
	v_add_f64 v[23:24], v[23:24], -v[31:32]
	v_add_f64 v[33:34], v[29:30], -v[21:22]
	s_delay_alu instid0(VALU_DEP_3) | instskip(NEXT) | instid1(VALU_DEP_2)
	v_add_f64 v[13:14], v[13:14], -v[25:26]
	v_add_f64 v[35:36], v[29:30], -v[33:34]
	;; [unrolled: 1-line block ×3, first 2 shown]
	s_delay_alu instid0(VALU_DEP_3) | instskip(NEXT) | instid1(VALU_DEP_3)
	v_add_f64 v[27:28], v[23:24], v[13:14]
	v_add_f64 v[21:22], v[21:22], -v[35:36]
	s_delay_alu instid0(VALU_DEP_1) | instskip(NEXT) | instid1(VALU_DEP_3)
	v_add_f64 v[21:22], v[25:26], v[21:22]
	v_add_f64 v[25:26], v[27:28], -v[23:24]
	s_delay_alu instid0(VALU_DEP_2) | instskip(NEXT) | instid1(VALU_DEP_2)
	v_add_f64 v[21:22], v[27:28], v[21:22]
	v_add_f64 v[27:28], v[27:28], -v[25:26]
	v_add_f64 v[13:14], v[13:14], -v[25:26]
	s_delay_alu instid0(VALU_DEP_3) | instskip(NEXT) | instid1(VALU_DEP_3)
	v_add_f64 v[31:32], v[29:30], v[21:22]
	v_add_f64 v[23:24], v[23:24], -v[27:28]
	s_delay_alu instid0(VALU_DEP_2) | instskip(NEXT) | instid1(VALU_DEP_2)
	v_add_f64 v[25:26], v[31:32], -v[29:30]
	v_add_f64 v[13:14], v[13:14], v[23:24]
	s_delay_alu instid0(VALU_DEP_2) | instskip(NEXT) | instid1(VALU_DEP_1)
	v_add_f64 v[21:22], v[21:22], -v[25:26]
	v_add_f64 v[13:14], v[13:14], v[21:22]
	s_delay_alu instid0(VALU_DEP_1) | instskip(NEXT) | instid1(VALU_DEP_1)
	v_add_f64 v[13:14], v[31:32], v[13:14]
	v_cndmask_b32_e64 v2, v13, v11, s3
	s_delay_alu instid0(VALU_DEP_2) | instskip(SKIP_1) | instid1(VALU_DEP_1)
	v_cndmask_b32_e64 v13, v14, v12, s3
	v_cmp_ngt_f64_e64 s3, 0, v[11:12]
	v_cndmask_b32_e64 v14, 0x7ff80000, v13, s3
	v_cmp_nge_f64_e64 s3, 0, v[11:12]
	s_delay_alu instid0(VALU_DEP_1) | instskip(SKIP_1) | instid1(VALU_DEP_1)
	v_cndmask_b32_e64 v13, 0, v2, s3
	v_cmp_neq_f64_e64 s3, 0, v[11:12]
	v_cndmask_b32_e64 v14, 0xfff00000, v14, s3
	global_store_b64 v[5:6], v[13:14], off
	s_or_b32 exec_lo, exec_lo, s4
	s_and_saveexec_b32 s3, s2
	s_cbranch_execz .LBB172_14
.LBB172_18:                             ;   in Loop: Header=BB172_4 Depth=1
	s_waitcnt vmcnt(0)
	v_frexp_mant_f64_e32 v[11:12], v[9:10]
	s_mov_b32 s37, s15
	s_delay_alu instid0(VALU_DEP_1) | instskip(NEXT) | instid1(VALU_DEP_1)
	v_cmp_gt_f64_e64 s2, s[14:15], v[11:12]
	v_cndmask_b32_e64 v2, 0x3ff00000, 2.0, s2
	s_delay_alu instid0(VALU_DEP_1) | instskip(SKIP_1) | instid1(VALU_DEP_2)
	v_mul_f64 v[11:12], v[11:12], v[1:2]
	v_frexp_exp_i32_f64_e32 v2, v[9:10]
	v_add_f64 v[13:14], v[11:12], 1.0
	v_add_f64 v[25:26], v[11:12], -1.0
	s_delay_alu instid0(VALU_DEP_3) | instskip(SKIP_1) | instid1(VALU_DEP_4)
	v_subrev_co_ci_u32_e64 v2, s2, 0, v2, s2
	v_cmp_class_f64_e64 s2, v[9:10], 0x204
	v_rcp_f64_e32 v[21:22], v[13:14]
	v_add_f64 v[27:28], v[13:14], -1.0
	s_delay_alu instid0(VALU_DEP_1) | instskip(SKIP_2) | instid1(VALU_DEP_1)
	v_add_f64 v[11:12], v[11:12], -v[27:28]
	s_waitcnt_depctr 0xfff
	v_fma_f64 v[23:24], -v[13:14], v[21:22], 1.0
	v_fma_f64 v[21:22], v[23:24], v[21:22], v[21:22]
	s_delay_alu instid0(VALU_DEP_1) | instskip(NEXT) | instid1(VALU_DEP_1)
	v_fma_f64 v[23:24], -v[13:14], v[21:22], 1.0
	v_fma_f64 v[21:22], v[23:24], v[21:22], v[21:22]
	s_delay_alu instid0(VALU_DEP_1) | instskip(NEXT) | instid1(VALU_DEP_1)
	v_mul_f64 v[23:24], v[25:26], v[21:22]
	v_mul_f64 v[29:30], v[13:14], v[23:24]
	s_delay_alu instid0(VALU_DEP_1) | instskip(NEXT) | instid1(VALU_DEP_1)
	v_fma_f64 v[13:14], v[23:24], v[13:14], -v[29:30]
	v_fma_f64 v[11:12], v[23:24], v[11:12], v[13:14]
	s_delay_alu instid0(VALU_DEP_1) | instskip(NEXT) | instid1(VALU_DEP_1)
	v_add_f64 v[13:14], v[29:30], v[11:12]
	v_add_f64 v[27:28], v[25:26], -v[13:14]
	v_add_f64 v[29:30], v[13:14], -v[29:30]
	s_delay_alu instid0(VALU_DEP_2) | instskip(NEXT) | instid1(VALU_DEP_2)
	v_add_f64 v[25:26], v[25:26], -v[27:28]
	v_add_f64 v[11:12], v[29:30], -v[11:12]
	s_delay_alu instid0(VALU_DEP_2) | instskip(NEXT) | instid1(VALU_DEP_1)
	v_add_f64 v[13:14], v[25:26], -v[13:14]
	v_add_f64 v[11:12], v[11:12], v[13:14]
	s_delay_alu instid0(VALU_DEP_1) | instskip(NEXT) | instid1(VALU_DEP_1)
	v_add_f64 v[11:12], v[27:28], v[11:12]
	v_mul_f64 v[11:12], v[21:22], v[11:12]
	s_delay_alu instid0(VALU_DEP_1) | instskip(NEXT) | instid1(VALU_DEP_1)
	v_add_f64 v[13:14], v[23:24], v[11:12]
	v_mul_f64 v[21:22], v[13:14], v[13:14]
	s_delay_alu instid0(VALU_DEP_1) | instskip(SKIP_1) | instid1(VALU_DEP_2)
	v_fma_f64 v[25:26], v[21:22], s[22:23], s[20:21]
	v_mul_f64 v[27:28], v[13:14], v[21:22]
	v_fma_f64 v[25:26], v[21:22], v[25:26], s[24:25]
	s_delay_alu instid0(VALU_DEP_1) | instskip(NEXT) | instid1(VALU_DEP_1)
	v_fma_f64 v[25:26], v[21:22], v[25:26], s[26:27]
	v_fma_f64 v[25:26], v[21:22], v[25:26], s[28:29]
	s_delay_alu instid0(VALU_DEP_1) | instskip(NEXT) | instid1(VALU_DEP_1)
	v_fma_f64 v[25:26], v[21:22], v[25:26], s[30:31]
	v_fma_f64 v[21:22], v[21:22], v[25:26], s[36:37]
	v_ldexp_f64 v[25:26], v[13:14], 1
	v_add_f64 v[13:14], v[13:14], -v[23:24]
	s_delay_alu instid0(VALU_DEP_3) | instskip(SKIP_1) | instid1(VALU_DEP_3)
	v_mul_f64 v[21:22], v[27:28], v[21:22]
	v_cvt_f64_i32_e32 v[27:28], v2
	v_add_f64 v[11:12], v[11:12], -v[13:14]
	s_delay_alu instid0(VALU_DEP_3) | instskip(NEXT) | instid1(VALU_DEP_3)
	v_add_f64 v[23:24], v[25:26], v[21:22]
	v_mul_f64 v[29:30], v[27:28], s[16:17]
	s_delay_alu instid0(VALU_DEP_3) | instskip(NEXT) | instid1(VALU_DEP_3)
	v_ldexp_f64 v[11:12], v[11:12], 1
	v_add_f64 v[13:14], v[23:24], -v[25:26]
	s_delay_alu instid0(VALU_DEP_3) | instskip(NEXT) | instid1(VALU_DEP_2)
	v_fma_f64 v[25:26], v[27:28], s[16:17], -v[29:30]
	v_add_f64 v[13:14], v[21:22], -v[13:14]
	s_delay_alu instid0(VALU_DEP_2) | instskip(NEXT) | instid1(VALU_DEP_2)
	v_fma_f64 v[21:22], v[27:28], s[18:19], v[25:26]
	v_add_f64 v[11:12], v[11:12], v[13:14]
	s_delay_alu instid0(VALU_DEP_2) | instskip(NEXT) | instid1(VALU_DEP_2)
	v_add_f64 v[13:14], v[29:30], v[21:22]
	v_add_f64 v[25:26], v[23:24], v[11:12]
	s_delay_alu instid0(VALU_DEP_2) | instskip(NEXT) | instid1(VALU_DEP_2)
	v_add_f64 v[29:30], v[13:14], -v[29:30]
	v_add_f64 v[27:28], v[13:14], v[25:26]
	v_add_f64 v[23:24], v[25:26], -v[23:24]
	s_delay_alu instid0(VALU_DEP_3) | instskip(NEXT) | instid1(VALU_DEP_3)
	v_add_f64 v[21:22], v[21:22], -v[29:30]
	v_add_f64 v[31:32], v[27:28], -v[13:14]
	s_delay_alu instid0(VALU_DEP_3) | instskip(NEXT) | instid1(VALU_DEP_2)
	v_add_f64 v[11:12], v[11:12], -v[23:24]
	v_add_f64 v[33:34], v[27:28], -v[31:32]
	;; [unrolled: 1-line block ×3, first 2 shown]
	s_delay_alu instid0(VALU_DEP_3) | instskip(NEXT) | instid1(VALU_DEP_3)
	v_add_f64 v[25:26], v[21:22], v[11:12]
	v_add_f64 v[13:14], v[13:14], -v[33:34]
	s_delay_alu instid0(VALU_DEP_1) | instskip(NEXT) | instid1(VALU_DEP_3)
	v_add_f64 v[13:14], v[23:24], v[13:14]
	v_add_f64 v[23:24], v[25:26], -v[21:22]
	s_delay_alu instid0(VALU_DEP_2) | instskip(NEXT) | instid1(VALU_DEP_2)
	v_add_f64 v[13:14], v[25:26], v[13:14]
	v_add_f64 v[25:26], v[25:26], -v[23:24]
	v_add_f64 v[11:12], v[11:12], -v[23:24]
	s_delay_alu instid0(VALU_DEP_3) | instskip(NEXT) | instid1(VALU_DEP_3)
	v_add_f64 v[29:30], v[27:28], v[13:14]
	v_add_f64 v[21:22], v[21:22], -v[25:26]
	s_delay_alu instid0(VALU_DEP_2) | instskip(NEXT) | instid1(VALU_DEP_2)
	v_add_f64 v[23:24], v[29:30], -v[27:28]
	v_add_f64 v[11:12], v[11:12], v[21:22]
	s_delay_alu instid0(VALU_DEP_2) | instskip(NEXT) | instid1(VALU_DEP_1)
	v_add_f64 v[13:14], v[13:14], -v[23:24]
	v_add_f64 v[11:12], v[11:12], v[13:14]
	s_delay_alu instid0(VALU_DEP_1) | instskip(NEXT) | instid1(VALU_DEP_1)
	v_add_f64 v[11:12], v[29:30], v[11:12]
	v_cndmask_b32_e64 v2, v11, v9, s2
	s_delay_alu instid0(VALU_DEP_2) | instskip(SKIP_1) | instid1(VALU_DEP_1)
	v_cndmask_b32_e64 v11, v12, v10, s2
	v_cmp_ngt_f64_e64 s2, 0, v[9:10]
	v_cndmask_b32_e64 v12, 0x7ff80000, v11, s2
	v_cmp_nge_f64_e64 s2, 0, v[9:10]
	s_delay_alu instid0(VALU_DEP_1) | instskip(SKIP_1) | instid1(VALU_DEP_1)
	v_cndmask_b32_e64 v11, 0, v2, s2
	v_cmp_neq_f64_e64 s2, 0, v[9:10]
	v_cndmask_b32_e64 v12, 0xfff00000, v12, s2
	v_add_co_u32 v9, s2, v3, s40
	s_delay_alu instid0(VALU_DEP_1)
	v_add_co_ci_u32_e64 v10, s2, 0, v4, s2
	global_store_b64 v[9:10], v[11:12], off
	s_or_b32 exec_lo, exec_lo, s3
	s_and_saveexec_b32 s2, vcc_lo
	s_cbranch_execz .LBB172_3
.LBB172_19:                             ;   in Loop: Header=BB172_4 Depth=1
	s_waitcnt vmcnt(0)
	v_frexp_mant_f64_e32 v[9:10], v[7:8]
	s_mov_b32 s37, s15
	s_delay_alu instid0(VALU_DEP_1) | instskip(SKIP_1) | instid1(VALU_DEP_1)
	v_cmp_gt_f64_e32 vcc_lo, s[14:15], v[9:10]
	v_cndmask_b32_e64 v2, 0x3ff00000, 2.0, vcc_lo
	v_mul_f64 v[9:10], v[9:10], v[1:2]
	v_frexp_exp_i32_f64_e32 v2, v[7:8]
	s_delay_alu instid0(VALU_DEP_2) | instskip(SKIP_1) | instid1(VALU_DEP_3)
	v_add_f64 v[11:12], v[9:10], 1.0
	v_add_f64 v[23:24], v[9:10], -1.0
	v_subrev_co_ci_u32_e32 v2, vcc_lo, 0, v2, vcc_lo
	v_cmp_class_f64_e64 vcc_lo, v[7:8], 0x204
	s_delay_alu instid0(VALU_DEP_4) | instskip(SKIP_1) | instid1(VALU_DEP_1)
	v_rcp_f64_e32 v[13:14], v[11:12]
	v_add_f64 v[25:26], v[11:12], -1.0
	v_add_f64 v[9:10], v[9:10], -v[25:26]
	s_waitcnt_depctr 0xfff
	v_fma_f64 v[21:22], -v[11:12], v[13:14], 1.0
	s_delay_alu instid0(VALU_DEP_1) | instskip(NEXT) | instid1(VALU_DEP_1)
	v_fma_f64 v[13:14], v[21:22], v[13:14], v[13:14]
	v_fma_f64 v[21:22], -v[11:12], v[13:14], 1.0
	s_delay_alu instid0(VALU_DEP_1) | instskip(NEXT) | instid1(VALU_DEP_1)
	v_fma_f64 v[13:14], v[21:22], v[13:14], v[13:14]
	v_mul_f64 v[21:22], v[23:24], v[13:14]
	s_delay_alu instid0(VALU_DEP_1) | instskip(NEXT) | instid1(VALU_DEP_1)
	v_mul_f64 v[27:28], v[11:12], v[21:22]
	v_fma_f64 v[11:12], v[21:22], v[11:12], -v[27:28]
	s_delay_alu instid0(VALU_DEP_1) | instskip(NEXT) | instid1(VALU_DEP_1)
	v_fma_f64 v[9:10], v[21:22], v[9:10], v[11:12]
	v_add_f64 v[11:12], v[27:28], v[9:10]
	s_delay_alu instid0(VALU_DEP_1) | instskip(SKIP_1) | instid1(VALU_DEP_2)
	v_add_f64 v[25:26], v[23:24], -v[11:12]
	v_add_f64 v[27:28], v[11:12], -v[27:28]
	;; [unrolled: 1-line block ×3, first 2 shown]
	s_delay_alu instid0(VALU_DEP_2) | instskip(NEXT) | instid1(VALU_DEP_2)
	v_add_f64 v[9:10], v[27:28], -v[9:10]
	v_add_f64 v[11:12], v[23:24], -v[11:12]
	s_delay_alu instid0(VALU_DEP_1) | instskip(NEXT) | instid1(VALU_DEP_1)
	v_add_f64 v[9:10], v[9:10], v[11:12]
	v_add_f64 v[9:10], v[25:26], v[9:10]
	s_delay_alu instid0(VALU_DEP_1) | instskip(NEXT) | instid1(VALU_DEP_1)
	v_mul_f64 v[9:10], v[13:14], v[9:10]
	v_add_f64 v[11:12], v[21:22], v[9:10]
	s_delay_alu instid0(VALU_DEP_1) | instskip(NEXT) | instid1(VALU_DEP_1)
	v_mul_f64 v[13:14], v[11:12], v[11:12]
	v_fma_f64 v[23:24], v[13:14], s[22:23], s[20:21]
	v_mul_f64 v[25:26], v[11:12], v[13:14]
	s_delay_alu instid0(VALU_DEP_2) | instskip(NEXT) | instid1(VALU_DEP_1)
	v_fma_f64 v[23:24], v[13:14], v[23:24], s[24:25]
	v_fma_f64 v[23:24], v[13:14], v[23:24], s[26:27]
	s_delay_alu instid0(VALU_DEP_1) | instskip(NEXT) | instid1(VALU_DEP_1)
	v_fma_f64 v[23:24], v[13:14], v[23:24], s[28:29]
	v_fma_f64 v[23:24], v[13:14], v[23:24], s[30:31]
	s_delay_alu instid0(VALU_DEP_1) | instskip(SKIP_2) | instid1(VALU_DEP_3)
	v_fma_f64 v[13:14], v[13:14], v[23:24], s[36:37]
	v_ldexp_f64 v[23:24], v[11:12], 1
	v_add_f64 v[11:12], v[11:12], -v[21:22]
	v_mul_f64 v[13:14], v[25:26], v[13:14]
	v_cvt_f64_i32_e32 v[25:26], v2
	s_delay_alu instid0(VALU_DEP_3) | instskip(NEXT) | instid1(VALU_DEP_3)
	v_add_f64 v[9:10], v[9:10], -v[11:12]
	v_add_f64 v[21:22], v[23:24], v[13:14]
	s_delay_alu instid0(VALU_DEP_3) | instskip(NEXT) | instid1(VALU_DEP_3)
	v_mul_f64 v[27:28], v[25:26], s[16:17]
	v_ldexp_f64 v[9:10], v[9:10], 1
	s_delay_alu instid0(VALU_DEP_3) | instskip(NEXT) | instid1(VALU_DEP_3)
	v_add_f64 v[11:12], v[21:22], -v[23:24]
	v_fma_f64 v[23:24], v[25:26], s[16:17], -v[27:28]
	s_delay_alu instid0(VALU_DEP_2) | instskip(NEXT) | instid1(VALU_DEP_2)
	v_add_f64 v[11:12], v[13:14], -v[11:12]
	v_fma_f64 v[13:14], v[25:26], s[18:19], v[23:24]
	s_delay_alu instid0(VALU_DEP_2) | instskip(NEXT) | instid1(VALU_DEP_2)
	v_add_f64 v[9:10], v[9:10], v[11:12]
	v_add_f64 v[11:12], v[27:28], v[13:14]
	s_delay_alu instid0(VALU_DEP_2) | instskip(NEXT) | instid1(VALU_DEP_2)
	v_add_f64 v[23:24], v[21:22], v[9:10]
	v_add_f64 v[27:28], v[11:12], -v[27:28]
	s_delay_alu instid0(VALU_DEP_2) | instskip(SKIP_1) | instid1(VALU_DEP_3)
	v_add_f64 v[25:26], v[11:12], v[23:24]
	v_add_f64 v[21:22], v[23:24], -v[21:22]
	v_add_f64 v[13:14], v[13:14], -v[27:28]
	s_delay_alu instid0(VALU_DEP_3) | instskip(NEXT) | instid1(VALU_DEP_3)
	v_add_f64 v[29:30], v[25:26], -v[11:12]
	v_add_f64 v[9:10], v[9:10], -v[21:22]
	s_delay_alu instid0(VALU_DEP_2) | instskip(SKIP_1) | instid1(VALU_DEP_3)
	v_add_f64 v[31:32], v[25:26], -v[29:30]
	v_add_f64 v[21:22], v[23:24], -v[29:30]
	v_add_f64 v[23:24], v[13:14], v[9:10]
	s_delay_alu instid0(VALU_DEP_3) | instskip(NEXT) | instid1(VALU_DEP_1)
	v_add_f64 v[11:12], v[11:12], -v[31:32]
	v_add_f64 v[11:12], v[21:22], v[11:12]
	s_delay_alu instid0(VALU_DEP_3) | instskip(NEXT) | instid1(VALU_DEP_2)
	v_add_f64 v[21:22], v[23:24], -v[13:14]
	v_add_f64 v[11:12], v[23:24], v[11:12]
	s_delay_alu instid0(VALU_DEP_2) | instskip(SKIP_1) | instid1(VALU_DEP_3)
	v_add_f64 v[23:24], v[23:24], -v[21:22]
	v_add_f64 v[9:10], v[9:10], -v[21:22]
	v_add_f64 v[27:28], v[25:26], v[11:12]
	s_delay_alu instid0(VALU_DEP_3) | instskip(NEXT) | instid1(VALU_DEP_2)
	v_add_f64 v[13:14], v[13:14], -v[23:24]
	v_add_f64 v[21:22], v[27:28], -v[25:26]
	s_delay_alu instid0(VALU_DEP_2) | instskip(NEXT) | instid1(VALU_DEP_2)
	v_add_f64 v[9:10], v[9:10], v[13:14]
	v_add_f64 v[11:12], v[11:12], -v[21:22]
	s_delay_alu instid0(VALU_DEP_1) | instskip(NEXT) | instid1(VALU_DEP_1)
	v_add_f64 v[9:10], v[9:10], v[11:12]
	v_add_f64 v[9:10], v[27:28], v[9:10]
	s_delay_alu instid0(VALU_DEP_1) | instskip(SKIP_1) | instid1(VALU_DEP_2)
	v_dual_cndmask_b32 v2, v9, v7 :: v_dual_cndmask_b32 v9, v10, v8
	v_cmp_ngt_f64_e32 vcc_lo, 0, v[7:8]
	v_cndmask_b32_e32 v10, 0x7ff80000, v9, vcc_lo
	v_cmp_nge_f64_e32 vcc_lo, 0, v[7:8]
	s_delay_alu instid0(VALU_DEP_4) | instskip(SKIP_1) | instid1(VALU_DEP_4)
	v_cndmask_b32_e32 v9, 0, v2, vcc_lo
	v_cmp_neq_f64_e32 vcc_lo, 0, v[7:8]
	v_cndmask_b32_e32 v10, 0xfff00000, v10, vcc_lo
	v_add_co_u32 v7, vcc_lo, v3, s38
	v_add_co_ci_u32_e32 v8, vcc_lo, 0, v4, vcc_lo
	global_store_b64 v[7:8], v[9:10], off
	s_branch .LBB172_3
.LBB172_20:
	s_cbranch_execz .LBB172_22
	s_branch .LBB172_25
.LBB172_21:
.LBB172_22:
	s_waitcnt vmcnt(0)
	v_dual_mov_b32 v8, 0 :: v_dual_lshlrev_b32 v1, 2, v0
	s_mov_b32 s5, 0
	s_mov_b32 s2, exec_lo
	s_delay_alu instid0(VALU_DEP_1) | instskip(NEXT) | instid1(VALU_DEP_1)
	v_mov_b32_e32 v2, v8
	v_cmpx_gt_i64_e64 s[6:7], v[1:2]
	s_cbranch_execz .LBB172_25
; %bb.23:
	s_load_b32 s0, s[0:1], 0xd3c
	v_lshlrev_b32_e32 v1, 5, v0
	v_mov_b32_e32 v11, v8
	s_mov_b32 s12, 0x6b47b09a
	s_mov_b32 s14, 0xbf559e2b
	;; [unrolled: 1-line block ×15, first 2 shown]
	s_waitcnt lgkmcnt(0)
	s_and_b32 s0, s0, 0xffff
	s_delay_alu instid0(SALU_CYCLE_1) | instskip(SKIP_4) | instid1(VALU_DEP_1)
	s_lshl_b32 s28, s0, 2
	s_add_u32 s1, s8, s10
	v_add_lshl_u32 v10, v0, s0, 2
	s_addc_u32 s2, s9, s11
	v_add_co_u32 v0, s1, s1, v1
	v_add_co_ci_u32_e64 v1, null, s2, 0, s1
	s_mov_b32 s10, 0x55555555
	s_delay_alu instid0(VALU_DEP_2) | instskip(NEXT) | instid1(VALU_DEP_2)
	v_add_co_u32 v12, vcc_lo, v0, 16
	v_add_co_ci_u32_e32 v13, vcc_lo, 0, v1, vcc_lo
	s_mov_b32 s11, 0x3fe55555
	s_mov_b32 s8, 0x3b39803f
	s_lshl_b32 s29, s0, 5
	s_mov_b32 s9, 0x3c7abc9e
	s_mov_b32 s27, s11
.LBB172_24:                             ; =>This Inner Loop Header: Depth=1
	s_clause 0x1
	global_load_b128 v[4:7], v[12:13], off offset:-16
	global_load_b128 v[0:3], v[12:13], off
	v_cmp_lt_u64_e64 s3, 0xffff, v[10:11]
	s_waitcnt vmcnt(1)
	v_frexp_mant_f64_e32 v[14:15], v[4:5]
	v_frexp_mant_f64_e32 v[16:17], v[6:7]
	s_waitcnt vmcnt(0)
	v_frexp_mant_f64_e32 v[18:19], v[0:1]
	v_frexp_mant_f64_e32 v[20:21], v[2:3]
	v_cmp_ngt_f64_e64 s4, 0, v[4:5]
	v_cmp_gt_f64_e32 vcc_lo, s[10:11], v[14:15]
	v_cmp_gt_f64_e64 s0, s[10:11], v[16:17]
	v_cmp_gt_f64_e64 s1, s[10:11], v[18:19]
	;; [unrolled: 1-line block ×3, first 2 shown]
	v_cndmask_b32_e64 v9, 0x3ff00000, 2.0, vcc_lo
	s_delay_alu instid0(VALU_DEP_1) | instskip(SKIP_1) | instid1(VALU_DEP_1)
	v_mul_f64 v[14:15], v[14:15], v[8:9]
	v_cndmask_b32_e64 v9, 0x3ff00000, 2.0, s0
	v_mul_f64 v[16:17], v[16:17], v[8:9]
	v_cndmask_b32_e64 v9, 0x3ff00000, 2.0, s1
	s_delay_alu instid0(VALU_DEP_1) | instskip(SKIP_1) | instid1(VALU_DEP_1)
	v_mul_f64 v[18:19], v[18:19], v[8:9]
	v_cndmask_b32_e64 v9, 0x3ff00000, 2.0, s2
	v_mul_f64 v[20:21], v[20:21], v[8:9]
	v_frexp_exp_i32_f64_e32 v9, v[4:5]
	v_add_f64 v[22:23], v[14:15], 1.0
	v_add_f64 v[46:47], v[14:15], -1.0
	v_add_f64 v[24:25], v[16:17], 1.0
	v_add_f64 v[26:27], v[18:19], 1.0
	;; [unrolled: 1-line block ×3, first 2 shown]
	v_subrev_co_ci_u32_e32 v9, vcc_lo, 0, v9, vcc_lo
	v_rcp_f64_e32 v[30:31], v[22:23]
	v_add_f64 v[54:55], v[22:23], -1.0
	v_rcp_f64_e32 v[32:33], v[24:25]
	v_add_f64 v[58:59], v[24:25], -1.0
	v_rcp_f64_e32 v[34:35], v[26:27]
	v_add_f64 v[62:63], v[26:27], -1.0
	v_rcp_f64_e32 v[36:37], v[28:29]
	v_add_f64 v[66:67], v[28:29], -1.0
	s_delay_alu instid0(VALU_DEP_4) | instskip(SKIP_1) | instid1(TRANS32_DEP_3)
	v_add_f64 v[14:15], v[14:15], -v[54:55]
	v_fma_f64 v[38:39], -v[22:23], v[30:31], 1.0
	v_fma_f64 v[40:41], -v[24:25], v[32:33], 1.0
	s_delay_alu instid0(TRANS32_DEP_2)
	v_fma_f64 v[42:43], -v[26:27], v[34:35], 1.0
	s_waitcnt_depctr 0xfff
	v_fma_f64 v[44:45], -v[28:29], v[36:37], 1.0
	v_fma_f64 v[30:31], v[38:39], v[30:31], v[30:31]
	v_fma_f64 v[32:33], v[40:41], v[32:33], v[32:33]
	;; [unrolled: 1-line block ×3, first 2 shown]
	s_delay_alu instid0(VALU_DEP_4) | instskip(NEXT) | instid1(VALU_DEP_4)
	v_fma_f64 v[36:37], v[44:45], v[36:37], v[36:37]
	v_fma_f64 v[38:39], -v[22:23], v[30:31], 1.0
	s_delay_alu instid0(VALU_DEP_4) | instskip(NEXT) | instid1(VALU_DEP_4)
	v_fma_f64 v[40:41], -v[24:25], v[32:33], 1.0
	v_fma_f64 v[42:43], -v[26:27], v[34:35], 1.0
	s_delay_alu instid0(VALU_DEP_4) | instskip(NEXT) | instid1(VALU_DEP_4)
	v_fma_f64 v[44:45], -v[28:29], v[36:37], 1.0
	v_fma_f64 v[30:31], v[38:39], v[30:31], v[30:31]
	v_add_f64 v[38:39], v[16:17], -1.0
	v_add_f64 v[16:17], v[16:17], -v[58:59]
	v_fma_f64 v[32:33], v[40:41], v[32:33], v[32:33]
	v_add_f64 v[40:41], v[18:19], -1.0
	v_add_f64 v[18:19], v[18:19], -v[62:63]
	;; [unrolled: 3-line block ×3, first 2 shown]
	v_fma_f64 v[36:37], v[44:45], v[36:37], v[36:37]
	v_mul_f64 v[44:45], v[46:47], v[30:31]
	v_mul_f64 v[48:49], v[38:39], v[32:33]
	v_mul_f64 v[50:51], v[40:41], v[34:35]
	s_delay_alu instid0(VALU_DEP_4) | instskip(NEXT) | instid1(VALU_DEP_4)
	v_mul_f64 v[52:53], v[42:43], v[36:37]
	v_mul_f64 v[56:57], v[22:23], v[44:45]
	s_delay_alu instid0(VALU_DEP_4) | instskip(NEXT) | instid1(VALU_DEP_4)
	v_mul_f64 v[60:61], v[24:25], v[48:49]
	v_mul_f64 v[64:65], v[26:27], v[50:51]
	s_delay_alu instid0(VALU_DEP_4) | instskip(NEXT) | instid1(VALU_DEP_4)
	v_mul_f64 v[68:69], v[28:29], v[52:53]
	v_fma_f64 v[22:23], v[44:45], v[22:23], -v[56:57]
	s_delay_alu instid0(VALU_DEP_4) | instskip(NEXT) | instid1(VALU_DEP_4)
	v_fma_f64 v[24:25], v[48:49], v[24:25], -v[60:61]
	v_fma_f64 v[26:27], v[50:51], v[26:27], -v[64:65]
	s_delay_alu instid0(VALU_DEP_4) | instskip(NEXT) | instid1(VALU_DEP_4)
	v_fma_f64 v[28:29], v[52:53], v[28:29], -v[68:69]
	v_fma_f64 v[14:15], v[44:45], v[14:15], v[22:23]
	s_delay_alu instid0(VALU_DEP_4) | instskip(NEXT) | instid1(VALU_DEP_4)
	v_fma_f64 v[16:17], v[48:49], v[16:17], v[24:25]
	v_fma_f64 v[18:19], v[50:51], v[18:19], v[26:27]
	s_delay_alu instid0(VALU_DEP_4) | instskip(NEXT) | instid1(VALU_DEP_4)
	v_fma_f64 v[20:21], v[52:53], v[20:21], v[28:29]
	v_add_f64 v[22:23], v[56:57], v[14:15]
	s_delay_alu instid0(VALU_DEP_4) | instskip(NEXT) | instid1(VALU_DEP_4)
	v_add_f64 v[24:25], v[60:61], v[16:17]
	v_add_f64 v[26:27], v[64:65], v[18:19]
	s_delay_alu instid0(VALU_DEP_4) | instskip(NEXT) | instid1(VALU_DEP_4)
	v_add_f64 v[28:29], v[68:69], v[20:21]
	v_add_f64 v[54:55], v[46:47], -v[22:23]
	v_add_f64 v[56:57], v[22:23], -v[56:57]
	;; [unrolled: 1-line block ×10, first 2 shown]
	v_frexp_exp_i32_f64_e32 v56, v[6:7]
	v_add_f64 v[38:39], v[38:39], -v[58:59]
	v_add_f64 v[16:17], v[60:61], -v[16:17]
	;; [unrolled: 1-line block ×7, first 2 shown]
	v_subrev_co_ci_u32_e64 v56, vcc_lo, 0, v56, s0
	v_cmp_class_f64_e64 s0, v[6:7], 0x204
	v_add_f64 v[24:25], v[38:39], -v[24:25]
	s_delay_alu instid0(VALU_DEP_3) | instskip(SKIP_4) | instid1(VALU_DEP_4)
	v_cvt_f64_i32_e32 v[56:57], v56
	v_add_f64 v[26:27], v[40:41], -v[26:27]
	v_add_f64 v[28:29], v[42:43], -v[28:29]
	v_add_f64 v[14:15], v[14:15], v[22:23]
	v_add_f64 v[16:17], v[16:17], v[24:25]
	;; [unrolled: 1-line block ×3, first 2 shown]
	s_delay_alu instid0(VALU_DEP_4) | instskip(NEXT) | instid1(VALU_DEP_4)
	v_add_f64 v[20:21], v[20:21], v[28:29]
	v_add_f64 v[14:15], v[54:55], v[14:15]
	s_delay_alu instid0(VALU_DEP_4)
	v_add_f64 v[16:17], v[58:59], v[16:17]
	v_frexp_exp_i32_f64_e32 v58, v[0:1]
	v_frexp_exp_i32_f64_e32 v59, v[2:3]
	v_add_f64 v[18:19], v[62:63], v[18:19]
	v_add_f64 v[20:21], v[66:67], v[20:21]
	v_mul_f64 v[14:15], v[30:31], v[14:15]
	v_mul_f64 v[16:17], v[32:33], v[16:17]
	v_subrev_co_ci_u32_e64 v60, vcc_lo, 0, v59, s2
	v_cmp_class_f64_e64 s2, v[2:3], 0x204
	v_mul_f64 v[18:19], v[34:35], v[18:19]
	s_delay_alu instid0(VALU_DEP_3) | instskip(SKIP_4) | instid1(VALU_DEP_4)
	v_cvt_f64_i32_e32 v[60:61], v60
	v_mul_f64 v[20:21], v[36:37], v[20:21]
	v_add_f64 v[22:23], v[44:45], v[14:15]
	v_add_f64 v[24:25], v[48:49], v[16:17]
	;; [unrolled: 1-line block ×4, first 2 shown]
	s_delay_alu instid0(VALU_DEP_4) | instskip(NEXT) | instid1(VALU_DEP_4)
	v_mul_f64 v[30:31], v[22:23], v[22:23]
	v_mul_f64 v[32:33], v[24:25], v[24:25]
	s_delay_alu instid0(VALU_DEP_4) | instskip(NEXT) | instid1(VALU_DEP_4)
	v_mul_f64 v[34:35], v[26:27], v[26:27]
	v_mul_f64 v[36:37], v[28:29], v[28:29]
	s_delay_alu instid0(VALU_DEP_4)
	v_fma_f64 v[38:39], v[30:31], s[14:15], s[12:13]
	v_mul_f64 v[54:55], v[22:23], v[30:31]
	v_fma_f64 v[40:41], v[32:33], s[14:15], s[12:13]
	v_fma_f64 v[42:43], v[34:35], s[14:15], s[12:13]
	;; [unrolled: 1-line block ×4, first 2 shown]
	s_delay_alu instid0(VALU_DEP_4) | instskip(NEXT) | instid1(VALU_DEP_4)
	v_fma_f64 v[40:41], v[32:33], v[40:41], s[16:17]
	v_fma_f64 v[42:43], v[34:35], v[42:43], s[16:17]
	s_delay_alu instid0(VALU_DEP_4) | instskip(NEXT) | instid1(VALU_DEP_4)
	v_fma_f64 v[46:47], v[36:37], v[46:47], s[16:17]
	v_fma_f64 v[38:39], v[30:31], v[38:39], s[18:19]
	;; [unrolled: 3-line block ×8, first 2 shown]
	v_mul_f64 v[38:39], v[24:25], v[32:33]
	v_fma_f64 v[32:33], v[32:33], v[40:41], s[26:27]
	v_mul_f64 v[40:41], v[26:27], v[34:35]
	v_fma_f64 v[34:35], v[34:35], v[42:43], s[26:27]
	;; [unrolled: 2-line block ×3, first 2 shown]
	v_ldexp_f64 v[46:47], v[22:23], 1
	v_add_f64 v[22:23], v[22:23], -v[44:45]
	v_mul_f64 v[30:31], v[54:55], v[30:31]
	v_ldexp_f64 v[54:55], v[24:25], 1
	v_add_f64 v[24:25], v[24:25], -v[48:49]
	v_mul_f64 v[32:33], v[38:39], v[32:33]
	;; [unrolled: 3-line block ×4, first 2 shown]
	v_cvt_f64_i32_e32 v[42:43], v9
	v_subrev_co_ci_u32_e64 v9, vcc_lo, 0, v58, s1
	v_add_f64 v[14:15], v[14:15], -v[22:23]
	v_cmp_class_f64_e64 vcc_lo, v[4:5], 0x204
	v_cmp_class_f64_e64 s1, v[0:1], 0x204
	s_delay_alu instid0(VALU_DEP_4)
	v_cvt_f64_i32_e32 v[58:59], v9
	v_add_f64 v[44:45], v[46:47], v[30:31]
	v_add_f64 v[16:17], v[16:17], -v[24:25]
	v_add_f64 v[48:49], v[54:55], v[32:33]
	v_add_f64 v[18:19], v[18:19], -v[26:27]
	v_add_f64 v[50:51], v[38:39], v[34:35]
	v_add_f64 v[20:21], v[20:21], -v[28:29]
	v_add_f64 v[52:53], v[40:41], v[36:37]
	v_mul_f64 v[62:63], v[42:43], s[24:25]
	v_ldexp_f64 v[14:15], v[14:15], 1
	v_add_f64 v[22:23], v[44:45], -v[46:47]
	v_mul_f64 v[46:47], v[56:57], s[24:25]
	v_ldexp_f64 v[16:17], v[16:17], 1
	v_add_f64 v[24:25], v[48:49], -v[54:55]
	;; [unrolled: 3-line block ×4, first 2 shown]
	v_fma_f64 v[40:41], v[42:43], s[24:25], -v[62:63]
	v_add_f64 v[22:23], v[30:31], -v[22:23]
	v_fma_f64 v[30:31], v[56:57], s[24:25], -v[46:47]
	v_add_f64 v[24:25], v[32:33], -v[24:25]
	;; [unrolled: 2-line block ×4, first 2 shown]
	v_fma_f64 v[36:37], v[42:43], s[8:9], v[40:41]
	v_add_f64 v[14:15], v[14:15], v[22:23]
	v_fma_f64 v[22:23], v[56:57], s[8:9], v[30:31]
	v_add_f64 v[16:17], v[16:17], v[24:25]
	;; [unrolled: 2-line block ×4, first 2 shown]
	v_add_f64 v[28:29], v[62:63], v[36:37]
	v_add_f64 v[30:31], v[44:45], v[14:15]
	;; [unrolled: 1-line block ×8, first 2 shown]
	v_add_f64 v[62:63], v[28:29], -v[62:63]
	v_add_f64 v[60:61], v[28:29], v[30:31]
	v_add_f64 v[46:47], v[32:33], -v[46:47]
	v_add_f64 v[44:45], v[30:31], -v[44:45]
	v_add_f64 v[64:65], v[32:33], v[34:35]
	v_add_f64 v[48:49], v[34:35], -v[48:49]
	;; [unrolled: 3-line block ×4, first 2 shown]
	v_add_f64 v[52:53], v[58:59], -v[52:53]
	v_add_f64 v[70:71], v[60:61], -v[28:29]
	;; [unrolled: 1-line block ×14, first 2 shown]
	v_add_f64 v[46:47], v[36:37], v[14:15]
	v_add_f64 v[80:81], v[64:65], -v[72:73]
	v_add_f64 v[34:35], v[34:35], -v[72:73]
	;; [unrolled: 1-line block ×10, first 2 shown]
	s_delay_alu instid0(VALU_DEP_4)
	v_add_f64 v[28:29], v[30:31], v[28:29]
	v_add_f64 v[30:31], v[22:23], v[16:17]
	v_add_f64 v[32:33], v[34:35], v[32:33]
	v_add_f64 v[34:35], v[24:25], v[18:19]
	v_add_f64 v[40:41], v[42:43], v[40:41]
	v_add_f64 v[42:43], v[26:27], v[20:21]
	v_add_f64 v[38:39], v[38:39], v[44:45]
	v_add_f64 v[44:45], v[46:47], -v[36:37]
	v_add_f64 v[28:29], v[46:47], v[28:29]
	v_add_f64 v[48:49], v[30:31], -v[22:23]
	v_add_f64 v[32:33], v[30:31], v[32:33]
	;; [unrolled: 2-line block ×4, first 2 shown]
	v_add_f64 v[46:47], v[46:47], -v[44:45]
	v_add_f64 v[14:15], v[14:15], -v[44:45]
	v_add_f64 v[54:55], v[60:61], v[28:29]
	v_add_f64 v[30:31], v[30:31], -v[48:49]
	v_add_f64 v[16:17], v[16:17], -v[48:49]
	v_add_f64 v[56:57], v[64:65], v[32:33]
	;; [unrolled: 3-line block ×4, first 2 shown]
	v_add_f64 v[36:37], v[36:37], -v[46:47]
	v_add_f64 v[44:45], v[54:55], -v[60:61]
	;; [unrolled: 1-line block ×8, first 2 shown]
	v_add_f64 v[14:15], v[14:15], v[36:37]
	v_add_f64 v[28:29], v[28:29], -v[44:45]
	v_add_f64 v[16:17], v[16:17], v[22:23]
	v_add_f64 v[22:23], v[32:33], -v[30:31]
	;; [unrolled: 2-line block ×4, first 2 shown]
	v_add_f64 v[14:15], v[14:15], v[28:29]
	v_add_f64 v[16:17], v[16:17], v[22:23]
	;; [unrolled: 1-line block ×3, first 2 shown]
	s_delay_alu instid0(VALU_DEP_4) | instskip(NEXT) | instid1(VALU_DEP_4)
	v_add_f64 v[20:21], v[20:21], v[26:27]
	v_add_f64 v[14:15], v[54:55], v[14:15]
	s_delay_alu instid0(VALU_DEP_4) | instskip(NEXT) | instid1(VALU_DEP_4)
	v_add_f64 v[16:17], v[56:57], v[16:17]
	v_add_f64 v[18:19], v[58:59], v[18:19]
	s_delay_alu instid0(VALU_DEP_4) | instskip(NEXT) | instid1(VALU_DEP_4)
	v_add_f64 v[20:21], v[62:63], v[20:21]
	v_dual_cndmask_b32 v9, v14, v4 :: v_dual_cndmask_b32 v14, v15, v5
	v_cmp_le_i64_e32 vcc_lo, s[6:7], v[10:11]
	v_cndmask_b32_e64 v16, v16, v6, s0
	v_cndmask_b32_e64 v17, v17, v7, s0
	v_cmp_nge_f64_e64 s0, 0, v[4:5]
	v_cndmask_b32_e64 v15, 0x7ff80000, v14, s4
	s_delay_alu instid0(VALU_DEP_2) | instskip(SKIP_3) | instid1(VALU_DEP_3)
	v_cndmask_b32_e64 v14, 0, v9, s0
	v_cmp_neq_f64_e64 s0, 0, v[4:5]
	v_cndmask_b32_e64 v9, v19, v1, s1
	v_cndmask_b32_e64 v5, v18, v0, s1
	;; [unrolled: 1-line block ×3, first 2 shown]
	v_cmp_ngt_f64_e64 s0, 0, v[6:7]
	s_delay_alu instid0(VALU_DEP_1) | instskip(SKIP_1) | instid1(VALU_DEP_1)
	v_cndmask_b32_e64 v4, 0x7ff80000, v17, s0
	v_cmp_nge_f64_e64 s0, 0, v[6:7]
	v_cndmask_b32_e64 v16, 0, v16, s0
	v_cmp_neq_f64_e64 s0, 0, v[6:7]
	v_cndmask_b32_e64 v7, v21, v3, s2
	v_cndmask_b32_e64 v6, v20, v2, s2
	s_delay_alu instid0(VALU_DEP_3) | instskip(SKIP_1) | instid1(VALU_DEP_1)
	v_cndmask_b32_e64 v17, 0xfff00000, v4, s0
	v_cmp_ngt_f64_e64 s0, 0, v[0:1]
	v_cndmask_b32_e64 v9, 0x7ff80000, v9, s0
	v_cmp_nge_f64_e64 s0, 0, v[0:1]
	s_delay_alu instid0(VALU_DEP_1) | instskip(SKIP_1) | instid1(VALU_DEP_1)
	v_cndmask_b32_e64 v4, 0, v5, s0
	v_cmp_ngt_f64_e64 s0, 0, v[2:3]
	v_cndmask_b32_e64 v7, 0x7ff80000, v7, s0
	v_cmp_neq_f64_e64 s0, 0, v[0:1]
	s_delay_alu instid0(VALU_DEP_1) | instskip(SKIP_1) | instid1(VALU_DEP_1)
	v_cndmask_b32_e64 v5, 0xfff00000, v9, s0
	v_cmp_nge_f64_e64 s0, 0, v[2:3]
	v_cndmask_b32_e64 v6, 0, v6, s0
	v_cmp_neq_f64_e64 s0, 0, v[2:3]
	s_delay_alu instid0(VALU_DEP_1) | instskip(SKIP_1) | instid1(VALU_DEP_1)
	v_cndmask_b32_e64 v7, 0xfff00000, v7, s0
	v_add_co_u32 v10, s0, v10, s28
	v_add_co_ci_u32_e64 v11, s0, 0, v11, s0
	s_or_b32 s0, vcc_lo, s3
	s_clause 0x1
	global_store_b128 v[12:13], v[14:17], off offset:-16
	global_store_b128 v[12:13], v[4:7], off
	v_add_co_u32 v12, vcc_lo, v12, s29
	v_add_co_ci_u32_e32 v13, vcc_lo, 0, v13, vcc_lo
	s_and_b32 s0, exec_lo, s0
	s_delay_alu instid0(SALU_CYCLE_1) | instskip(NEXT) | instid1(SALU_CYCLE_1)
	s_or_b32 s5, s0, s5
	s_and_not1_b32 exec_lo, exec_lo, s5
	s_cbranch_execnz .LBB172_24
.LBB172_25:
	s_nop 0
	s_sendmsg sendmsg(MSG_DEALLOC_VGPRS)
	s_endpgm
	.section	.rodata,"a",@progbits
	.p2align	6, 0x0
	.amdhsa_kernel _ZN2at6native12_GLOBAL__N_125multi_tensor_apply_kernelINS1_18TensorListMetadataILi1EEENS1_14UnaryOpFunctorIdLi1ELi1ELi0EEEJNS0_3LogIdEEEEEvT_T0_DpT1_
		.amdhsa_group_segment_fixed_size 0
		.amdhsa_private_segment_fixed_size 0
		.amdhsa_kernarg_size 3632
		.amdhsa_user_sgpr_count 15
		.amdhsa_user_sgpr_dispatch_ptr 0
		.amdhsa_user_sgpr_queue_ptr 0
		.amdhsa_user_sgpr_kernarg_segment_ptr 1
		.amdhsa_user_sgpr_dispatch_id 0
		.amdhsa_user_sgpr_private_segment_size 0
		.amdhsa_wavefront_size32 1
		.amdhsa_uses_dynamic_stack 0
		.amdhsa_enable_private_segment 0
		.amdhsa_system_sgpr_workgroup_id_x 1
		.amdhsa_system_sgpr_workgroup_id_y 0
		.amdhsa_system_sgpr_workgroup_id_z 0
		.amdhsa_system_sgpr_workgroup_info 0
		.amdhsa_system_vgpr_workitem_id 0
		.amdhsa_next_free_vgpr 86
		.amdhsa_next_free_sgpr 42
		.amdhsa_reserve_vcc 1
		.amdhsa_float_round_mode_32 0
		.amdhsa_float_round_mode_16_64 0
		.amdhsa_float_denorm_mode_32 3
		.amdhsa_float_denorm_mode_16_64 3
		.amdhsa_dx10_clamp 1
		.amdhsa_ieee_mode 1
		.amdhsa_fp16_overflow 0
		.amdhsa_workgroup_processor_mode 1
		.amdhsa_memory_ordered 1
		.amdhsa_forward_progress 0
		.amdhsa_shared_vgpr_count 0
		.amdhsa_exception_fp_ieee_invalid_op 0
		.amdhsa_exception_fp_denorm_src 0
		.amdhsa_exception_fp_ieee_div_zero 0
		.amdhsa_exception_fp_ieee_overflow 0
		.amdhsa_exception_fp_ieee_underflow 0
		.amdhsa_exception_fp_ieee_inexact 0
		.amdhsa_exception_int_div_zero 0
	.end_amdhsa_kernel
	.section	.text._ZN2at6native12_GLOBAL__N_125multi_tensor_apply_kernelINS1_18TensorListMetadataILi1EEENS1_14UnaryOpFunctorIdLi1ELi1ELi0EEEJNS0_3LogIdEEEEEvT_T0_DpT1_,"axG",@progbits,_ZN2at6native12_GLOBAL__N_125multi_tensor_apply_kernelINS1_18TensorListMetadataILi1EEENS1_14UnaryOpFunctorIdLi1ELi1ELi0EEEJNS0_3LogIdEEEEEvT_T0_DpT1_,comdat
.Lfunc_end172:
	.size	_ZN2at6native12_GLOBAL__N_125multi_tensor_apply_kernelINS1_18TensorListMetadataILi1EEENS1_14UnaryOpFunctorIdLi1ELi1ELi0EEEJNS0_3LogIdEEEEEvT_T0_DpT1_, .Lfunc_end172-_ZN2at6native12_GLOBAL__N_125multi_tensor_apply_kernelINS1_18TensorListMetadataILi1EEENS1_14UnaryOpFunctorIdLi1ELi1ELi0EEEJNS0_3LogIdEEEEEvT_T0_DpT1_
                                        ; -- End function
	.section	.AMDGPU.csdata,"",@progbits
; Kernel info:
; codeLenInByte = 7408
; NumSgprs: 44
; NumVgprs: 86
; ScratchSize: 0
; MemoryBound: 0
; FloatMode: 240
; IeeeMode: 1
; LDSByteSize: 0 bytes/workgroup (compile time only)
; SGPRBlocks: 5
; VGPRBlocks: 10
; NumSGPRsForWavesPerEU: 44
; NumVGPRsForWavesPerEU: 86
; Occupancy: 16
; WaveLimiterHint : 0
; COMPUTE_PGM_RSRC2:SCRATCH_EN: 0
; COMPUTE_PGM_RSRC2:USER_SGPR: 15
; COMPUTE_PGM_RSRC2:TRAP_HANDLER: 0
; COMPUTE_PGM_RSRC2:TGID_X_EN: 1
; COMPUTE_PGM_RSRC2:TGID_Y_EN: 0
; COMPUTE_PGM_RSRC2:TGID_Z_EN: 0
; COMPUTE_PGM_RSRC2:TIDIG_COMP_CNT: 0
	.section	.text._ZN2at6native12_GLOBAL__N_125multi_tensor_apply_kernelINS1_18TensorListMetadataILi1EEENS1_14UnaryOpFunctorIfLi1ELi1ELi0EEEJNS0_3LogIfEEEEEvT_T0_DpT1_,"axG",@progbits,_ZN2at6native12_GLOBAL__N_125multi_tensor_apply_kernelINS1_18TensorListMetadataILi1EEENS1_14UnaryOpFunctorIfLi1ELi1ELi0EEEJNS0_3LogIfEEEEEvT_T0_DpT1_,comdat
	.globl	_ZN2at6native12_GLOBAL__N_125multi_tensor_apply_kernelINS1_18TensorListMetadataILi1EEENS1_14UnaryOpFunctorIfLi1ELi1ELi0EEEJNS0_3LogIfEEEEEvT_T0_DpT1_ ; -- Begin function _ZN2at6native12_GLOBAL__N_125multi_tensor_apply_kernelINS1_18TensorListMetadataILi1EEENS1_14UnaryOpFunctorIfLi1ELi1ELi0EEEJNS0_3LogIfEEEEEvT_T0_DpT1_
	.p2align	8
	.type	_ZN2at6native12_GLOBAL__N_125multi_tensor_apply_kernelINS1_18TensorListMetadataILi1EEENS1_14UnaryOpFunctorIfLi1ELi1ELi0EEEJNS0_3LogIfEEEEEvT_T0_DpT1_,@function
_ZN2at6native12_GLOBAL__N_125multi_tensor_apply_kernelINS1_18TensorListMetadataILi1EEENS1_14UnaryOpFunctorIfLi1ELi1ELi0EEEJNS0_3LogIfEEEEEvT_T0_DpT1_: ; @_ZN2at6native12_GLOBAL__N_125multi_tensor_apply_kernelINS1_18TensorListMetadataILi1EEENS1_14UnaryOpFunctorIfLi1ELi1ELi0EEEJNS0_3LogIfEEEEEvT_T0_DpT1_
; %bb.0:
	v_mov_b32_e32 v1, s15
	s_add_u32 s2, s0, s15
	s_mul_hi_u32 s3, s15, 3
	s_mul_i32 s15, s15, 3
	s_addc_u32 s4, s1, 0
	global_load_u8 v1, v1, s[0:1] offset:1760
	s_add_u32 s2, s2, s15
	s_addc_u32 s3, s4, s3
	s_mov_b32 s13, 0
	s_load_b32 s2, s[2:3], 0x820
	s_waitcnt vmcnt(0)
	v_readfirstlane_b32 s5, v1
	s_delay_alu instid0(VALU_DEP_1)
	s_lshl_b32 s3, s5, 3
	s_clause 0x1
	s_load_b64 s[8:9], s[0:1], s3 offset:0x0
	s_load_b64 s[4:5], s[0:1], s3 offset:0x370
	s_waitcnt lgkmcnt(0)
	s_ashr_i32 s3, s2, 31
	s_delay_alu instid0(SALU_CYCLE_1)
	s_lshl_b64 s[10:11], s[2:3], 18
	s_lshl_b64 s[2:3], s[2:3], 16
	s_and_b32 s12, s8, 15
	s_sub_u32 s6, s4, s2
	s_subb_u32 s7, s5, s3
	s_and_b32 s2, s4, 3
	s_mov_b32 s3, s13
	s_delay_alu instid0(SALU_CYCLE_1) | instskip(NEXT) | instid1(SALU_CYCLE_1)
	s_or_b64 s[2:3], s[12:13], s[2:3]
	s_cmp_eq_u64 s[2:3], 0
	s_cbranch_scc1 .LBB173_21
; %bb.1:
	v_cmp_lt_i64_e64 s2, s[6:7], 1
	s_delay_alu instid0(VALU_DEP_1)
	s_and_b32 vcc_lo, exec_lo, s2
	s_cbranch_vccnz .LBB173_20
; %bb.2:
	s_load_b32 s2, s[0:1], 0xd3c
	v_cmp_gt_u64_e64 s3, 0x10000, s[6:7]
	v_lshlrev_b32_e32 v1, 2, v0
	s_waitcnt lgkmcnt(0)
	s_and_b32 s2, s2, 0xffff
	s_delay_alu instid0(VALU_DEP_2)
	s_and_b32 s3, s3, exec_lo
	v_add_co_u32 v5, s5, v0, s2
	s_cselect_b32 s13, s7, 0
	s_cselect_b32 s12, s6, 0x10000
	s_lshl_b32 s3, s2, 1
	s_lshl_b32 s16, s2, 2
	v_lshlrev_b32_e32 v3, 2, v5
	v_add_co_ci_u32_e64 v6, null, 0, 0, s5
	s_add_u32 s5, s8, s10
	v_add_co_u32 v9, s3, s3, v0
	s_mul_i32 s4, s2, 3
	s_addc_u32 s14, s9, s11
	v_add_co_ci_u32_e64 v10, null, 0, 0, s3
	v_add_co_u32 v1, s3, s5, v1
	v_add_co_u32 v7, s4, s4, v0
	v_add_co_ci_u32_e64 v2, null, s14, 0, s3
	v_add_co_u32 v3, s3, s5, v3
	v_add_co_ci_u32_e64 v8, null, 0, 0, s4
	v_add_co_ci_u32_e64 v4, null, s14, 0, s3
	s_lshl_b32 s17, s2, 4
	s_mul_i32 s18, s2, 12
	s_lshl_b32 s19, s2, 3
	s_mov_b64 s[14:15], 0
	s_branch .LBB173_4
.LBB173_3:                              ;   in Loop: Header=BB173_4 Depth=1
	s_or_b32 exec_lo, exec_lo, s2
	s_add_u32 s14, s14, s16
	s_addc_u32 s15, s15, 0
	v_add_co_u32 v1, vcc_lo, v1, s17
	v_cmp_lt_i64_e64 s2, s[14:15], s[6:7]
	v_cmp_gt_u64_e64 s3, 0x10000, s[14:15]
	v_add_co_ci_u32_e32 v2, vcc_lo, 0, v2, vcc_lo
	v_add_co_u32 v3, vcc_lo, v3, s17
	v_add_co_ci_u32_e32 v4, vcc_lo, 0, v4, vcc_lo
	s_delay_alu instid0(VALU_DEP_4) | instskip(NEXT) | instid1(SALU_CYCLE_1)
	s_and_b32 s2, s2, s3
	s_and_b32 vcc_lo, exec_lo, s2
	s_cbranch_vccz .LBB173_20
.LBB173_4:                              ; =>This Inner Loop Header: Depth=1
	s_waitcnt vmcnt(0)
	v_add_co_u32 v11, s2, v0, s14
	s_delay_alu instid0(VALU_DEP_1) | instskip(SKIP_1) | instid1(VALU_DEP_2)
	v_add_co_ci_u32_e64 v12, null, 0, s15, s2
	v_mov_b32_e32 v14, 0
	v_cmp_gt_u64_e64 s4, s[12:13], v[11:12]
	s_delay_alu instid0(VALU_DEP_1)
	s_and_saveexec_b32 s2, s4
	s_cbranch_execz .LBB173_6
; %bb.5:                                ;   in Loop: Header=BB173_4 Depth=1
	global_load_b32 v14, v[1:2], off
.LBB173_6:                              ;   in Loop: Header=BB173_4 Depth=1
	s_or_b32 exec_lo, exec_lo, s2
	v_add_co_u32 v11, vcc_lo, v5, s14
	v_add_co_ci_u32_e32 v12, vcc_lo, s15, v6, vcc_lo
	s_delay_alu instid0(VALU_DEP_1) | instskip(SKIP_1) | instid1(VALU_DEP_2)
	v_cmp_gt_u64_e64 s3, s[12:13], v[11:12]
	v_mov_b32_e32 v12, 0
	s_and_saveexec_b32 s2, s3
	s_cbranch_execz .LBB173_8
; %bb.7:                                ;   in Loop: Header=BB173_4 Depth=1
	global_load_b32 v12, v[3:4], off
.LBB173_8:                              ;   in Loop: Header=BB173_4 Depth=1
	s_or_b32 exec_lo, exec_lo, s2
	v_add_co_u32 v15, vcc_lo, v9, s14
	v_add_co_ci_u32_e32 v16, vcc_lo, s15, v10, vcc_lo
	v_mov_b32_e32 v11, 0
	v_mov_b32_e32 v13, 0
	s_delay_alu instid0(VALU_DEP_3) | instskip(NEXT) | instid1(VALU_DEP_1)
	v_cmp_gt_u64_e64 s2, s[12:13], v[15:16]
	s_and_saveexec_b32 s5, s2
	s_cbranch_execz .LBB173_10
; %bb.9:                                ;   in Loop: Header=BB173_4 Depth=1
	v_add_co_u32 v15, vcc_lo, v1, s19
	v_add_co_ci_u32_e32 v16, vcc_lo, 0, v2, vcc_lo
	global_load_b32 v13, v[15:16], off
.LBB173_10:                             ;   in Loop: Header=BB173_4 Depth=1
	s_or_b32 exec_lo, exec_lo, s5
	v_add_co_u32 v15, vcc_lo, v7, s14
	v_add_co_ci_u32_e32 v16, vcc_lo, s15, v8, vcc_lo
	s_delay_alu instid0(VALU_DEP_1)
	v_cmp_gt_u64_e32 vcc_lo, s[12:13], v[15:16]
	s_and_saveexec_b32 s20, vcc_lo
	s_cbranch_execnz .LBB173_15
; %bb.11:                               ;   in Loop: Header=BB173_4 Depth=1
	s_or_b32 exec_lo, exec_lo, s20
	s_and_saveexec_b32 s20, s4
	s_cbranch_execnz .LBB173_16
.LBB173_12:                             ;   in Loop: Header=BB173_4 Depth=1
	s_or_b32 exec_lo, exec_lo, s20
	s_and_saveexec_b32 s5, s3
	s_cbranch_execnz .LBB173_17
.LBB173_13:                             ;   in Loop: Header=BB173_4 Depth=1
	s_or_b32 exec_lo, exec_lo, s5
	s_and_saveexec_b32 s3, s2
	s_cbranch_execnz .LBB173_18
.LBB173_14:                             ;   in Loop: Header=BB173_4 Depth=1
	s_or_b32 exec_lo, exec_lo, s3
	s_and_saveexec_b32 s2, vcc_lo
	s_cbranch_execz .LBB173_3
	s_branch .LBB173_19
.LBB173_15:                             ;   in Loop: Header=BB173_4 Depth=1
	v_add_co_u32 v15, s5, v1, s18
	s_delay_alu instid0(VALU_DEP_1)
	v_add_co_ci_u32_e64 v16, s5, 0, v2, s5
	global_load_b32 v11, v[15:16], off
	s_or_b32 exec_lo, exec_lo, s20
	s_and_saveexec_b32 s20, s4
	s_cbranch_execz .LBB173_12
.LBB173_16:                             ;   in Loop: Header=BB173_4 Depth=1
	s_waitcnt vmcnt(0)
	v_cmp_gt_f32_e64 s4, 0x800000, v14
	s_delay_alu instid0(VALU_DEP_1) | instskip(NEXT) | instid1(VALU_DEP_1)
	v_cndmask_b32_e64 v15, 1.0, 0x4f800000, s4
	v_mul_f32_e32 v14, v14, v15
	s_delay_alu instid0(VALU_DEP_1) | instskip(SKIP_3) | instid1(VALU_DEP_2)
	v_log_f32_e32 v14, v14
	s_waitcnt_depctr 0xfff
	v_mul_f32_e32 v15, 0x3f317217, v14
	v_cmp_gt_f32_e64 s5, 0x7f800000, |v14|
	v_fma_f32 v16, 0x3f317217, v14, -v15
	s_delay_alu instid0(VALU_DEP_1) | instskip(NEXT) | instid1(VALU_DEP_1)
	v_fmac_f32_e32 v16, 0x3377d1cf, v14
	v_add_f32_e32 v15, v15, v16
	s_delay_alu instid0(VALU_DEP_1) | instskip(SKIP_1) | instid1(VALU_DEP_1)
	v_cndmask_b32_e64 v14, v14, v15, s5
	v_cndmask_b32_e64 v15, 0, 0x41b17218, s4
	v_sub_f32_e32 v14, v14, v15
	global_store_b32 v[1:2], v14, off
	s_or_b32 exec_lo, exec_lo, s20
	s_and_saveexec_b32 s5, s3
	s_cbranch_execz .LBB173_13
.LBB173_17:                             ;   in Loop: Header=BB173_4 Depth=1
	s_waitcnt vmcnt(0)
	v_cmp_gt_f32_e64 s3, 0x800000, v12
	s_delay_alu instid0(VALU_DEP_1) | instskip(NEXT) | instid1(VALU_DEP_1)
	v_cndmask_b32_e64 v14, 1.0, 0x4f800000, s3
	v_mul_f32_e32 v12, v12, v14
	s_delay_alu instid0(VALU_DEP_1) | instskip(SKIP_3) | instid1(VALU_DEP_2)
	v_log_f32_e32 v12, v12
	s_waitcnt_depctr 0xfff
	v_mul_f32_e32 v14, 0x3f317217, v12
	v_cmp_gt_f32_e64 s4, 0x7f800000, |v12|
	v_fma_f32 v15, 0x3f317217, v12, -v14
	s_delay_alu instid0(VALU_DEP_1) | instskip(NEXT) | instid1(VALU_DEP_1)
	v_fmac_f32_e32 v15, 0x3377d1cf, v12
	v_add_f32_e32 v14, v14, v15
	s_delay_alu instid0(VALU_DEP_1) | instskip(SKIP_1) | instid1(VALU_DEP_1)
	v_cndmask_b32_e64 v12, v12, v14, s4
	v_cndmask_b32_e64 v14, 0, 0x41b17218, s3
	v_sub_f32_e32 v12, v12, v14
	global_store_b32 v[3:4], v12, off
	s_or_b32 exec_lo, exec_lo, s5
	s_and_saveexec_b32 s3, s2
	s_cbranch_execz .LBB173_14
.LBB173_18:                             ;   in Loop: Header=BB173_4 Depth=1
	s_waitcnt vmcnt(0)
	v_cmp_gt_f32_e64 s2, 0x800000, v13
	s_delay_alu instid0(VALU_DEP_1) | instskip(NEXT) | instid1(VALU_DEP_1)
	v_cndmask_b32_e64 v12, 1.0, 0x4f800000, s2
	v_mul_f32_e32 v12, v13, v12
	s_delay_alu instid0(VALU_DEP_1) | instskip(SKIP_2) | instid1(VALU_DEP_1)
	v_log_f32_e32 v12, v12
	s_waitcnt_depctr 0xfff
	v_mul_f32_e32 v13, 0x3f317217, v12
	v_fma_f32 v14, 0x3f317217, v12, -v13
	s_delay_alu instid0(VALU_DEP_1) | instskip(NEXT) | instid1(VALU_DEP_1)
	v_fmac_f32_e32 v14, 0x3377d1cf, v12
	v_add_f32_e32 v13, v13, v14
	v_cndmask_b32_e64 v14, 0, 0x41b17218, s2
	v_cmp_gt_f32_e64 s2, 0x7f800000, |v12|
	s_delay_alu instid0(VALU_DEP_1) | instskip(NEXT) | instid1(VALU_DEP_1)
	v_cndmask_b32_e64 v12, v12, v13, s2
	v_sub_f32_e32 v14, v12, v14
	v_add_co_u32 v12, s2, v1, s19
	s_delay_alu instid0(VALU_DEP_1)
	v_add_co_ci_u32_e64 v13, s2, 0, v2, s2
	global_store_b32 v[12:13], v14, off
	s_or_b32 exec_lo, exec_lo, s3
	s_and_saveexec_b32 s2, vcc_lo
	s_cbranch_execz .LBB173_3
.LBB173_19:                             ;   in Loop: Header=BB173_4 Depth=1
	s_waitcnt vmcnt(0)
	v_cmp_gt_f32_e32 vcc_lo, 0x800000, v11
	v_cndmask_b32_e64 v12, 1.0, 0x4f800000, vcc_lo
	s_delay_alu instid0(VALU_DEP_1) | instskip(NEXT) | instid1(VALU_DEP_1)
	v_mul_f32_e32 v11, v11, v12
	v_log_f32_e32 v11, v11
	s_waitcnt_depctr 0xfff
	v_mul_f32_e32 v12, 0x3f317217, v11
	s_delay_alu instid0(VALU_DEP_1) | instskip(NEXT) | instid1(VALU_DEP_1)
	v_fma_f32 v13, 0x3f317217, v11, -v12
	v_fmac_f32_e32 v13, 0x3377d1cf, v11
	s_delay_alu instid0(VALU_DEP_1) | instskip(SKIP_2) | instid1(VALU_DEP_3)
	v_add_f32_e32 v12, v12, v13
	v_cndmask_b32_e64 v13, 0, 0x41b17218, vcc_lo
	v_cmp_gt_f32_e64 vcc_lo, 0x7f800000, |v11|
	v_cndmask_b32_e32 v11, v11, v12, vcc_lo
	s_delay_alu instid0(VALU_DEP_1)
	v_sub_f32_e32 v13, v11, v13
	v_add_co_u32 v11, vcc_lo, v1, s18
	v_add_co_ci_u32_e32 v12, vcc_lo, 0, v2, vcc_lo
	global_store_b32 v[11:12], v13, off
	s_branch .LBB173_3
.LBB173_20:
	s_cbranch_execz .LBB173_22
	s_branch .LBB173_25
.LBB173_21:
.LBB173_22:
	v_dual_mov_b32 v2, 0 :: v_dual_lshlrev_b32 v1, 2, v0
	s_mov_b32 s4, 0
	s_mov_b32 s2, exec_lo
	s_delay_alu instid0(VALU_DEP_1)
	v_cmpx_gt_i64_e64 s[6:7], v[1:2]
	s_cbranch_execz .LBB173_25
; %bb.23:
	s_load_b32 s0, s[0:1], 0xd3c
	v_lshlrev_b32_e32 v1, 4, v0
	s_waitcnt lgkmcnt(0)
	s_and_b32 s0, s0, 0xffff
	s_delay_alu instid0(SALU_CYCLE_1) | instskip(SKIP_3) | instid1(VALU_DEP_1)
	s_lshl_b32 s5, s0, 2
	s_add_u32 s1, s8, s10
	s_addc_u32 s2, s9, s11
	v_add_co_u32 v3, s1, s1, v1
	v_add_co_ci_u32_e64 v4, null, s2, 0, s1
	v_add_lshl_u32 v1, v0, s0, 2
	s_delay_alu instid0(VALU_DEP_3) | instskip(NEXT) | instid1(VALU_DEP_3)
	v_add_co_u32 v3, vcc_lo, v3, 8
	v_add_co_ci_u32_e32 v4, vcc_lo, 0, v4, vcc_lo
	s_lshl_b32 s8, s0, 4
.LBB173_24:                             ; =>This Inner Loop Header: Depth=1
	global_load_b128 v[5:8], v[3:4], off offset:-8
	v_cmp_le_i64_e64 s3, s[6:7], v[1:2]
	s_waitcnt vmcnt(0)
	v_cmp_gt_f32_e32 vcc_lo, 0x800000, v5
	v_cmp_gt_f32_e64 s0, 0x800000, v6
	v_cmp_gt_f32_e64 s1, 0x800000, v7
	;; [unrolled: 1-line block ×3, first 2 shown]
	v_cndmask_b32_e64 v0, 1.0, 0x4f800000, vcc_lo
	s_delay_alu instid0(VALU_DEP_4) | instskip(NEXT) | instid1(VALU_DEP_4)
	v_cndmask_b32_e64 v9, 1.0, 0x4f800000, s0
	v_cndmask_b32_e64 v10, 1.0, 0x4f800000, s1
	s_delay_alu instid0(VALU_DEP_4) | instskip(SKIP_1) | instid1(VALU_DEP_4)
	v_cndmask_b32_e64 v11, 1.0, 0x4f800000, s2
	v_cndmask_b32_e64 v13, 0, 0x41b17218, s0
	v_dual_mul_f32 v0, v5, v0 :: v_dual_mul_f32 v5, v6, v9
	s_delay_alu instid0(VALU_DEP_3) | instskip(SKIP_1) | instid1(VALU_DEP_3)
	v_dual_mul_f32 v6, v7, v10 :: v_dual_mul_f32 v7, v8, v11
	v_cndmask_b32_e64 v8, 0, 0x41b17218, vcc_lo
	v_log_f32_e32 v0, v0
	s_delay_alu instid0(VALU_DEP_3) | instskip(NEXT) | instid1(VALU_DEP_2)
	v_log_f32_e32 v5, v5
	v_log_f32_e32 v6, v6
	;; [unrolled: 1-line block ×3, first 2 shown]
	v_cndmask_b32_e64 v18, 0, 0x41b17218, s1
	v_cndmask_b32_e64 v19, 0, 0x41b17218, s2
	s_delay_alu instid0(TRANS32_DEP_3)
	v_dual_mul_f32 v9, 0x3f317217, v0 :: v_dual_mul_f32 v10, 0x3f317217, v5
	s_waitcnt_depctr 0xfff
	v_dual_mul_f32 v11, 0x3f317217, v6 :: v_dual_mul_f32 v12, 0x3f317217, v7
	v_cmp_gt_f32_e64 vcc_lo, 0x7f800000, |v0|
	v_fma_f32 v14, 0x3f317217, v0, -v9
	v_fma_f32 v15, 0x3f317217, v5, -v10
	s_delay_alu instid0(VALU_DEP_4) | instskip(SKIP_1) | instid1(VALU_DEP_3)
	v_fma_f32 v16, 0x3f317217, v6, -v11
	v_fma_f32 v17, 0x3f317217, v7, -v12
	v_dual_fmac_f32 v14, 0x3377d1cf, v0 :: v_dual_fmac_f32 v15, 0x3377d1cf, v5
	s_delay_alu instid0(VALU_DEP_2) | instskip(NEXT) | instid1(VALU_DEP_2)
	v_dual_fmac_f32 v16, 0x3377d1cf, v6 :: v_dual_fmac_f32 v17, 0x3377d1cf, v7
	v_dual_add_f32 v9, v9, v14 :: v_dual_add_f32 v10, v10, v15
	s_delay_alu instid0(VALU_DEP_2) | instskip(NEXT) | instid1(VALU_DEP_2)
	v_dual_add_f32 v11, v11, v16 :: v_dual_add_f32 v12, v12, v17
	v_cndmask_b32_e32 v0, v0, v9, vcc_lo
	v_cmp_gt_f32_e64 vcc_lo, 0x7f800000, |v5|
	s_delay_alu instid0(VALU_DEP_4) | instskip(SKIP_1) | instid1(VALU_DEP_4)
	v_cndmask_b32_e32 v9, v5, v10, vcc_lo
	v_cmp_gt_f32_e64 vcc_lo, 0x7f800000, |v6|
	v_dual_sub_f32 v5, v0, v8 :: v_dual_cndmask_b32 v10, v6, v11
	v_cmp_gt_f32_e64 vcc_lo, 0x7f800000, |v7|
	s_delay_alu instid0(VALU_DEP_4) | instskip(SKIP_1) | instid1(VALU_DEP_4)
	v_dual_sub_f32 v6, v9, v13 :: v_dual_cndmask_b32 v11, v7, v12
	v_cmp_lt_u64_e32 vcc_lo, 0xffff, v[1:2]
	v_sub_f32_e32 v7, v10, v18
	v_add_co_u32 v1, s0, v1, s5
	s_delay_alu instid0(VALU_DEP_4)
	v_sub_f32_e32 v8, v11, v19
	v_add_co_ci_u32_e64 v2, s0, 0, v2, s0
	s_or_b32 s0, s3, vcc_lo
	global_store_b128 v[3:4], v[5:8], off offset:-8
	v_add_co_u32 v3, vcc_lo, v3, s8
	v_add_co_ci_u32_e32 v4, vcc_lo, 0, v4, vcc_lo
	s_and_b32 s0, exec_lo, s0
	s_delay_alu instid0(SALU_CYCLE_1) | instskip(NEXT) | instid1(SALU_CYCLE_1)
	s_or_b32 s4, s0, s4
	s_and_not1_b32 exec_lo, exec_lo, s4
	s_cbranch_execnz .LBB173_24
.LBB173_25:
	s_nop 0
	s_sendmsg sendmsg(MSG_DEALLOC_VGPRS)
	s_endpgm
	.section	.rodata,"a",@progbits
	.p2align	6, 0x0
	.amdhsa_kernel _ZN2at6native12_GLOBAL__N_125multi_tensor_apply_kernelINS1_18TensorListMetadataILi1EEENS1_14UnaryOpFunctorIfLi1ELi1ELi0EEEJNS0_3LogIfEEEEEvT_T0_DpT1_
		.amdhsa_group_segment_fixed_size 0
		.amdhsa_private_segment_fixed_size 0
		.amdhsa_kernarg_size 3632
		.amdhsa_user_sgpr_count 15
		.amdhsa_user_sgpr_dispatch_ptr 0
		.amdhsa_user_sgpr_queue_ptr 0
		.amdhsa_user_sgpr_kernarg_segment_ptr 1
		.amdhsa_user_sgpr_dispatch_id 0
		.amdhsa_user_sgpr_private_segment_size 0
		.amdhsa_wavefront_size32 1
		.amdhsa_uses_dynamic_stack 0
		.amdhsa_enable_private_segment 0
		.amdhsa_system_sgpr_workgroup_id_x 1
		.amdhsa_system_sgpr_workgroup_id_y 0
		.amdhsa_system_sgpr_workgroup_id_z 0
		.amdhsa_system_sgpr_workgroup_info 0
		.amdhsa_system_vgpr_workitem_id 0
		.amdhsa_next_free_vgpr 20
		.amdhsa_next_free_sgpr 21
		.amdhsa_reserve_vcc 1
		.amdhsa_float_round_mode_32 0
		.amdhsa_float_round_mode_16_64 0
		.amdhsa_float_denorm_mode_32 3
		.amdhsa_float_denorm_mode_16_64 3
		.amdhsa_dx10_clamp 1
		.amdhsa_ieee_mode 1
		.amdhsa_fp16_overflow 0
		.amdhsa_workgroup_processor_mode 1
		.amdhsa_memory_ordered 1
		.amdhsa_forward_progress 0
		.amdhsa_shared_vgpr_count 0
		.amdhsa_exception_fp_ieee_invalid_op 0
		.amdhsa_exception_fp_denorm_src 0
		.amdhsa_exception_fp_ieee_div_zero 0
		.amdhsa_exception_fp_ieee_overflow 0
		.amdhsa_exception_fp_ieee_underflow 0
		.amdhsa_exception_fp_ieee_inexact 0
		.amdhsa_exception_int_div_zero 0
	.end_amdhsa_kernel
	.section	.text._ZN2at6native12_GLOBAL__N_125multi_tensor_apply_kernelINS1_18TensorListMetadataILi1EEENS1_14UnaryOpFunctorIfLi1ELi1ELi0EEEJNS0_3LogIfEEEEEvT_T0_DpT1_,"axG",@progbits,_ZN2at6native12_GLOBAL__N_125multi_tensor_apply_kernelINS1_18TensorListMetadataILi1EEENS1_14UnaryOpFunctorIfLi1ELi1ELi0EEEJNS0_3LogIfEEEEEvT_T0_DpT1_,comdat
.Lfunc_end173:
	.size	_ZN2at6native12_GLOBAL__N_125multi_tensor_apply_kernelINS1_18TensorListMetadataILi1EEENS1_14UnaryOpFunctorIfLi1ELi1ELi0EEEJNS0_3LogIfEEEEEvT_T0_DpT1_, .Lfunc_end173-_ZN2at6native12_GLOBAL__N_125multi_tensor_apply_kernelINS1_18TensorListMetadataILi1EEENS1_14UnaryOpFunctorIfLi1ELi1ELi0EEEJNS0_3LogIfEEEEEvT_T0_DpT1_
                                        ; -- End function
	.section	.AMDGPU.csdata,"",@progbits
; Kernel info:
; codeLenInByte = 1932
; NumSgprs: 23
; NumVgprs: 20
; ScratchSize: 0
; MemoryBound: 0
; FloatMode: 240
; IeeeMode: 1
; LDSByteSize: 0 bytes/workgroup (compile time only)
; SGPRBlocks: 2
; VGPRBlocks: 2
; NumSGPRsForWavesPerEU: 23
; NumVGPRsForWavesPerEU: 20
; Occupancy: 16
; WaveLimiterHint : 0
; COMPUTE_PGM_RSRC2:SCRATCH_EN: 0
; COMPUTE_PGM_RSRC2:USER_SGPR: 15
; COMPUTE_PGM_RSRC2:TRAP_HANDLER: 0
; COMPUTE_PGM_RSRC2:TGID_X_EN: 1
; COMPUTE_PGM_RSRC2:TGID_Y_EN: 0
; COMPUTE_PGM_RSRC2:TGID_Z_EN: 0
; COMPUTE_PGM_RSRC2:TIDIG_COMP_CNT: 0
	.section	.text._ZN2at6native12_GLOBAL__N_125multi_tensor_apply_kernelINS1_18TensorListMetadataILi1EEENS1_14UnaryOpFunctorIN3c107complexIdEELi1ELi1ELi0EEEJNS0_3LogIS8_EEEEEvT_T0_DpT1_,"axG",@progbits,_ZN2at6native12_GLOBAL__N_125multi_tensor_apply_kernelINS1_18TensorListMetadataILi1EEENS1_14UnaryOpFunctorIN3c107complexIdEELi1ELi1ELi0EEEJNS0_3LogIS8_EEEEEvT_T0_DpT1_,comdat
	.globl	_ZN2at6native12_GLOBAL__N_125multi_tensor_apply_kernelINS1_18TensorListMetadataILi1EEENS1_14UnaryOpFunctorIN3c107complexIdEELi1ELi1ELi0EEEJNS0_3LogIS8_EEEEEvT_T0_DpT1_ ; -- Begin function _ZN2at6native12_GLOBAL__N_125multi_tensor_apply_kernelINS1_18TensorListMetadataILi1EEENS1_14UnaryOpFunctorIN3c107complexIdEELi1ELi1ELi0EEEJNS0_3LogIS8_EEEEEvT_T0_DpT1_
	.p2align	8
	.type	_ZN2at6native12_GLOBAL__N_125multi_tensor_apply_kernelINS1_18TensorListMetadataILi1EEENS1_14UnaryOpFunctorIN3c107complexIdEELi1ELi1ELi0EEEJNS0_3LogIS8_EEEEEvT_T0_DpT1_,@function
_ZN2at6native12_GLOBAL__N_125multi_tensor_apply_kernelINS1_18TensorListMetadataILi1EEENS1_14UnaryOpFunctorIN3c107complexIdEELi1ELi1ELi0EEEJNS0_3LogIS8_EEEEEvT_T0_DpT1_: ; @_ZN2at6native12_GLOBAL__N_125multi_tensor_apply_kernelINS1_18TensorListMetadataILi1EEENS1_14UnaryOpFunctorIN3c107complexIdEELi1ELi1ELi0EEEJNS0_3LogIS8_EEEEEvT_T0_DpT1_
; %bb.0:
	v_mov_b32_e32 v1, s15
	s_add_u32 s2, s0, s15
	s_mul_hi_u32 s3, s15, 3
	s_mul_i32 s15, s15, 3
	s_addc_u32 s4, s1, 0
	global_load_u8 v1, v1, s[0:1] offset:1760
	s_add_u32 s2, s2, s15
	s_addc_u32 s3, s4, s3
	s_mov_b32 s11, 0
	s_load_b32 s2, s[2:3], 0x820
	s_waitcnt vmcnt(0)
	v_readfirstlane_b32 s5, v1
	s_delay_alu instid0(VALU_DEP_1)
	s_lshl_b32 s3, s5, 3
	s_clause 0x1
	s_load_b64 s[4:5], s[0:1], s3 offset:0x0
	s_load_b64 s[6:7], s[0:1], s3 offset:0x370
	s_waitcnt lgkmcnt(0)
	s_ashr_i32 s3, s2, 31
	s_delay_alu instid0(SALU_CYCLE_1) | instskip(NEXT) | instid1(SALU_CYCLE_1)
	s_lshl_b64 s[8:9], s[2:3], 20
	s_add_u32 s33, s4, s8
	s_addc_u32 s100, s5, s9
	s_lshl_b64 s[2:3], s[2:3], 16
	s_and_b32 s10, s33, 63
	s_sub_u32 s18, s6, s2
	s_subb_u32 s19, s7, s3
	s_and_b32 s2, s6, 3
	s_mov_b32 s3, s11
	s_delay_alu instid0(SALU_CYCLE_1) | instskip(NEXT) | instid1(SALU_CYCLE_1)
	s_or_b64 s[2:3], s[10:11], s[2:3]
	s_cmp_eq_u64 s[2:3], 0
	s_cbranch_scc1 .LBB174_157
; %bb.1:
	v_cmp_lt_i64_e64 s2, s[18:19], 1
	s_delay_alu instid0(VALU_DEP_1)
	s_and_b32 vcc_lo, exec_lo, s2
	s_cbranch_vccnz .LBB174_156
; %bb.2:
	s_load_b32 s2, s[0:1], 0xd3c
	v_cmp_gt_u64_e64 s3, 0x10000, s[18:19]
	v_dual_mov_b32 v33, 0 :: v_dual_mov_b32 v60, 0x4002d97c
	v_mov_b32_e32 v59, 0x7f3321d2
	s_mov_b32 s20, 0x85ebc8a0
	s_mov_b32 s14, 0x4ad4b81f
	s_mov_b32 s26, 0x55555555
	s_mov_b32 s28, 0x6b47b09a
	s_mov_b32 s30, 0xbf559e2b
	s_mov_b32 s36, 0xd7f4df2e
	s_mov_b32 s38, 0x16291751
	s_mov_b32 s40, 0x9b27acf1
	s_mov_b32 s42, 0x998ef7b6
	s_mov_b32 s44, 0xfefa39ef
	s_mov_b32 s46, 0x3b39803f
	s_mov_b32 s48, 0xbd3237f4
	s_mov_b32 s50, 0xb5e68a13
	s_mov_b32 s52, 0x69efb384
	s_mov_b32 s54, 0xaf56de9b
	s_waitcnt lgkmcnt(0)
	s_and_b32 s101, s2, 0xffff
	s_and_b32 s2, s3, exec_lo
	s_mov_b32 s56, 0xa595c56f
	s_mov_b32 s58, 0xa57d9582
	;; [unrolled: 1-line block ×24, first 2 shown]
	s_cselect_b32 s35, s19, 0
	s_cselect_b32 s34, s18, 0x10000
	s_lshl_b32 s102, s101, 1
	s_mul_i32 s103, s101, 3
	s_lshl_b32 s104, s101, 2
	s_mov_b32 s37, 0x3fc7474d
	s_mov_b32 s39, 0x3fcc71c0
	;; [unrolled: 1-line block ×29, first 2 shown]
	s_mov_b64 s[96:97], 0
	s_mov_b32 s98, 0x55555780
	s_mov_b32 s17, 0x400921fb
	s_branch .LBB174_4
.LBB174_3:                              ;   in Loop: Header=BB174_4 Depth=1
	s_or_b32 exec_lo, exec_lo, s2
	s_add_u32 s96, s96, s104
	s_addc_u32 s97, s97, 0
	s_delay_alu instid0(SALU_CYCLE_1) | instskip(SKIP_1) | instid1(VALU_DEP_1)
	v_cmp_ge_i64_e64 s2, s[96:97], s[18:19]
	v_cmp_lt_u64_e64 s3, 0xffff, s[96:97]
	s_or_b32 s2, s2, s3
	s_delay_alu instid0(SALU_CYCLE_1)
	s_and_b32 vcc_lo, exec_lo, s2
	s_cbranch_vccnz .LBB174_156
.LBB174_4:                              ; =>This Loop Header: Depth=1
                                        ;     Child Loop BB174_23 Depth 2
                                        ;     Child Loop BB174_57 Depth 2
	;; [unrolled: 1-line block ×4, first 2 shown]
	v_add_co_u32 v9, s2, s96, v0
	s_delay_alu instid0(VALU_DEP_1) | instskip(SKIP_2) | instid1(VALU_DEP_3)
	v_add_co_ci_u32_e64 v10, null, s97, 0, s2
	v_mov_b32_e32 v3, 0
	v_mov_b32_e32 v4, 0
	v_cmp_gt_u64_e64 s2, s[34:35], v[9:10]
	v_lshlrev_b64 v[35:36], 4, v[9:10]
	s_delay_alu instid0(VALU_DEP_3) | instskip(SKIP_1) | instid1(VALU_DEP_4)
	v_dual_mov_b32 v8, v4 :: v_dual_mov_b32 v7, v3
	v_dual_mov_b32 v6, v4 :: v_dual_mov_b32 v5, v3
	s_and_saveexec_b32 s3, s2
	s_cbranch_execz .LBB174_6
; %bb.5:                                ;   in Loop: Header=BB174_4 Depth=1
	s_delay_alu instid0(VALU_DEP_3)
	v_add_co_u32 v1, vcc_lo, s33, v35
	v_add_co_ci_u32_e32 v2, vcc_lo, s100, v36, vcc_lo
	global_load_b128 v[5:8], v[1:2], off
.LBB174_6:                              ;   in Loop: Header=BB174_4 Depth=1
	s_or_b32 exec_lo, exec_lo, s3
	v_add_co_u32 v1, vcc_lo, v9, s101
	v_add_co_ci_u32_e32 v2, vcc_lo, 0, v10, vcc_lo
	s_delay_alu instid0(VALU_DEP_1) | instskip(SKIP_2) | instid1(VALU_DEP_3)
	v_cmp_gt_u64_e64 s3, s[34:35], v[1:2]
	v_lshlrev_b64 v[37:38], 4, v[1:2]
	v_dual_mov_b32 v1, v3 :: v_dual_mov_b32 v2, v4
	s_and_saveexec_b32 s4, s3
	s_cbranch_execz .LBB174_8
; %bb.7:                                ;   in Loop: Header=BB174_4 Depth=1
	s_delay_alu instid0(VALU_DEP_2) | instskip(NEXT) | instid1(VALU_DEP_3)
	v_add_co_u32 v1, vcc_lo, s33, v37
	v_add_co_ci_u32_e32 v2, vcc_lo, s100, v38, vcc_lo
	global_load_b128 v[1:4], v[1:2], off
.LBB174_8:                              ;   in Loop: Header=BB174_4 Depth=1
	s_or_b32 exec_lo, exec_lo, s4
	v_add_co_u32 v13, vcc_lo, v9, s102
	v_add_co_ci_u32_e32 v14, vcc_lo, 0, v10, vcc_lo
	v_mov_b32_e32 v11, 0
	v_mov_b32_e32 v12, 0
	s_delay_alu instid0(VALU_DEP_3) | instskip(SKIP_1) | instid1(VALU_DEP_3)
	v_cmp_gt_u64_e64 s4, s[34:35], v[13:14]
	v_lshlrev_b64 v[39:40], 4, v[13:14]
	v_dual_mov_b32 v16, v12 :: v_dual_mov_b32 v15, v11
	v_dual_mov_b32 v14, v12 :: v_dual_mov_b32 v13, v11
	s_delay_alu instid0(VALU_DEP_4)
	s_and_saveexec_b32 s5, s4
	s_cbranch_execz .LBB174_10
; %bb.9:                                ;   in Loop: Header=BB174_4 Depth=1
	s_delay_alu instid0(VALU_DEP_3)
	v_add_co_u32 v13, vcc_lo, s33, v39
	v_add_co_ci_u32_e32 v14, vcc_lo, s100, v40, vcc_lo
	global_load_b128 v[13:16], v[13:14], off
.LBB174_10:                             ;   in Loop: Header=BB174_4 Depth=1
	s_or_b32 exec_lo, exec_lo, s5
	v_add_co_u32 v9, vcc_lo, v9, s103
	v_add_co_ci_u32_e32 v10, vcc_lo, 0, v10, vcc_lo
	s_delay_alu instid0(VALU_DEP_1) | instskip(SKIP_2) | instid1(VALU_DEP_3)
	v_cmp_gt_u64_e64 s5, s[34:35], v[9:10]
	v_lshlrev_b64 v[41:42], 4, v[9:10]
	v_dual_mov_b32 v9, v11 :: v_dual_mov_b32 v10, v12
	s_and_saveexec_b32 s6, s5
	s_cbranch_execz .LBB174_12
; %bb.11:                               ;   in Loop: Header=BB174_4 Depth=1
	s_delay_alu instid0(VALU_DEP_2) | instskip(NEXT) | instid1(VALU_DEP_3)
	v_add_co_u32 v9, vcc_lo, s33, v41
	v_add_co_ci_u32_e32 v10, vcc_lo, s100, v42, vcc_lo
	global_load_b128 v[9:12], v[9:10], off
.LBB174_12:                             ;   in Loop: Header=BB174_4 Depth=1
	s_or_b32 exec_lo, exec_lo, s6
                                        ; implicit-def: $vgpr17_vgpr18
	s_delay_alu instid0(SALU_CYCLE_1)
	s_mov_b32 s6, exec_lo
	s_waitcnt vmcnt(0)
	v_cmpx_o_f64_e32 v[5:6], v[7:8]
	s_xor_b32 vcc_hi, exec_lo, s6
	s_cbranch_execz .LBB174_40
; %bb.13:                               ;   in Loop: Header=BB174_4 Depth=1
	v_cmp_lt_f64_e64 s6, |v[5:6]|, |v[7:8]|
	v_and_b32_e32 v19, 0x7fffffff, v6
	v_dual_mov_b32 v23, v7 :: v_dual_and_b32 v20, 0x7fffffff, v8
                                        ; implicit-def: $vgpr17_vgpr18
	s_mov_b32 s7, exec_lo
	s_delay_alu instid0(VALU_DEP_1) | instskip(NEXT) | instid1(VALU_DEP_2)
	v_cndmask_b32_e64 v22, v20, v19, s6
	v_cndmask_b32_e64 v21, v23, v5, s6
	s_delay_alu instid0(VALU_DEP_1)
	v_cmpx_nlt_f64_e32 s[20:21], v[21:22]
	s_xor_b32 s90, exec_lo, s7
	s_cbranch_execz .LBB174_37
; %bb.14:                               ;   in Loop: Header=BB174_4 Depth=1
	v_cndmask_b32_e64 v24, v19, v20, s6
	v_cndmask_b32_e64 v23, v5, v23, s6
                                        ; implicit-def: $vgpr17_vgpr18
	s_mov_b32 s7, exec_lo
	s_delay_alu instid0(VALU_DEP_1)
	v_cmpx_neq_f64_e32 1.0, v[23:24]
	s_xor_b32 s91, exec_lo, s7
	s_cbranch_execz .LBB174_30
; %bb.15:                               ;   in Loop: Header=BB174_4 Depth=1
	v_max_f64 v[17:18], v[21:22], v[21:22]
	v_max_f64 v[19:20], v[23:24], v[23:24]
	s_mov_b32 s8, 0xc57e649a
	s_mov_b32 s9, 0x4a511b0e
	s_delay_alu instid0(VALU_DEP_1) | instskip(SKIP_1) | instid1(VALU_DEP_2)
	v_min_f64 v[25:26], v[19:20], v[17:18]
	v_max_f64 v[17:18], v[19:20], v[17:18]
	v_cmp_ngt_f64_e32 vcc_lo, s[14:15], v[25:26]
	s_delay_alu instid0(VALU_DEP_2) | instskip(NEXT) | instid1(VALU_DEP_1)
	v_cmp_nlt_f64_e64 s7, s[8:9], v[17:18]
                                        ; implicit-def: $vgpr17_vgpr18
	s_and_b32 s7, s7, vcc_lo
	s_delay_alu instid0(SALU_CYCLE_1) | instskip(NEXT) | instid1(SALU_CYCLE_1)
	s_and_saveexec_b32 s8, s7
	s_xor_b32 s22, exec_lo, s8
	s_cbranch_execz .LBB174_27
; %bb.16:                               ;   in Loop: Header=BB174_4 Depth=1
                                        ; implicit-def: $vgpr17_vgpr18
	s_mov_b32 s7, exec_lo
	v_cmpx_le_f64_e32 1.0, v[23:24]
	s_xor_b32 s8, exec_lo, s7
	s_cbranch_execz .LBB174_18
; %bb.17:                               ;   in Loop: Header=BB174_4 Depth=1
	v_add_f64 v[17:18], v[23:24], -1.0
	v_add_f64 v[19:20], v[23:24], 1.0
	s_mov_b32 s99, s27
	s_mov_b32 s16, s88
	v_cmp_gt_i32_e64 s7, 0, v6
	v_cmp_class_f64_e64 s10, v[5:6], 0x204
	v_cmp_class_f64_e64 s9, v[7:8], 0x204
	s_delay_alu instid0(VALU_DEP_4) | instskip(NEXT) | instid1(VALU_DEP_1)
	v_mul_f64 v[17:18], v[17:18], v[19:20]
	v_fma_f64 v[18:19], v[21:22], v[21:22], v[17:18]
	s_delay_alu instid0(VALU_DEP_1) | instskip(NEXT) | instid1(VALU_DEP_1)
	v_add_f64 v[20:21], v[18:19], 1.0
	v_frexp_mant_f64_e32 v[22:23], v[20:21]
	v_frexp_exp_i32_f64_e32 v17, v[20:21]
	v_add_f64 v[24:25], v[20:21], -1.0
	s_delay_alu instid0(VALU_DEP_3) | instskip(NEXT) | instid1(VALU_DEP_2)
	v_cmp_gt_f64_e32 vcc_lo, s[26:27], v[22:23]
	v_add_f64 v[22:23], v[24:25], -v[20:21]
	v_add_f64 v[24:25], v[18:19], -v[24:25]
	v_subrev_co_ci_u32_e32 v17, vcc_lo, 0, v17, vcc_lo
	s_delay_alu instid0(VALU_DEP_3) | instskip(NEXT) | instid1(VALU_DEP_2)
	v_add_f64 v[22:23], v[22:23], 1.0
	v_sub_nc_u32_e32 v28, 0, v17
	s_delay_alu instid0(VALU_DEP_1) | instskip(NEXT) | instid1(VALU_DEP_3)
	v_ldexp_f64 v[20:21], v[20:21], v28
	v_add_f64 v[22:23], v[24:25], v[22:23]
	s_delay_alu instid0(VALU_DEP_2) | instskip(SKIP_1) | instid1(VALU_DEP_3)
	v_add_f64 v[26:27], v[20:21], 1.0
	v_add_f64 v[43:44], v[20:21], -1.0
	v_ldexp_f64 v[22:23], v[22:23], v28
	s_delay_alu instid0(VALU_DEP_3) | instskip(NEXT) | instid1(VALU_DEP_3)
	v_add_f64 v[24:25], v[26:27], -1.0
	v_add_f64 v[45:46], v[43:44], 1.0
	s_delay_alu instid0(VALU_DEP_2) | instskip(NEXT) | instid1(VALU_DEP_2)
	v_add_f64 v[24:25], v[20:21], -v[24:25]
	v_add_f64 v[20:21], v[20:21], -v[45:46]
	s_delay_alu instid0(VALU_DEP_2) | instskip(NEXT) | instid1(VALU_DEP_2)
	v_add_f64 v[24:25], v[22:23], v[24:25]
	v_add_f64 v[20:21], v[22:23], v[20:21]
	s_delay_alu instid0(VALU_DEP_2) | instskip(NEXT) | instid1(VALU_DEP_2)
	v_add_f64 v[28:29], v[26:27], v[24:25]
	v_add_f64 v[45:46], v[43:44], v[20:21]
	s_delay_alu instid0(VALU_DEP_2) | instskip(SKIP_1) | instid1(VALU_DEP_2)
	v_rcp_f64_e32 v[30:31], v[28:29]
	v_add_f64 v[26:27], v[28:29], -v[26:27]
	v_add_f64 v[43:44], v[45:46], -v[43:44]
	s_delay_alu instid0(VALU_DEP_2) | instskip(SKIP_3) | instid1(VALU_DEP_2)
	v_add_f64 v[24:25], v[24:25], -v[26:27]
	s_waitcnt_depctr 0xfff
	v_fma_f64 v[47:48], -v[28:29], v[30:31], 1.0
	v_add_f64 v[20:21], v[20:21], -v[43:44]
	v_fma_f64 v[30:31], v[47:48], v[30:31], v[30:31]
	s_delay_alu instid0(VALU_DEP_1) | instskip(NEXT) | instid1(VALU_DEP_1)
	v_fma_f64 v[22:23], -v[28:29], v[30:31], 1.0
	v_fma_f64 v[22:23], v[22:23], v[30:31], v[30:31]
	s_delay_alu instid0(VALU_DEP_1) | instskip(NEXT) | instid1(VALU_DEP_1)
	v_mul_f64 v[30:31], v[45:46], v[22:23]
	v_mul_f64 v[47:48], v[28:29], v[30:31]
	s_delay_alu instid0(VALU_DEP_1) | instskip(NEXT) | instid1(VALU_DEP_1)
	v_fma_f64 v[26:27], v[30:31], v[28:29], -v[47:48]
	v_fma_f64 v[26:27], v[30:31], v[24:25], v[26:27]
	s_delay_alu instid0(VALU_DEP_1) | instskip(NEXT) | instid1(VALU_DEP_1)
	v_add_f64 v[49:50], v[47:48], v[26:27]
	v_add_f64 v[51:52], v[45:46], -v[49:50]
	v_add_f64 v[43:44], v[49:50], -v[47:48]
	v_max_f64 v[47:48], |v[7:8]|, |v[7:8]|
	s_delay_alu instid0(VALU_DEP_3) | instskip(NEXT) | instid1(VALU_DEP_3)
	v_add_f64 v[45:46], v[45:46], -v[51:52]
	v_add_f64 v[26:27], v[43:44], -v[26:27]
	s_delay_alu instid0(VALU_DEP_2) | instskip(SKIP_2) | instid1(VALU_DEP_1)
	v_add_f64 v[45:46], v[45:46], -v[49:50]
	v_max_f64 v[49:50], |v[5:6]|, |v[5:6]|
	v_cndmask_b32_e64 v5, 0x3fe921fb, v60, s7
	v_bfi_b32 v5, 0x7fffffff, v5, v8
	s_delay_alu instid0(VALU_DEP_4) | instskip(NEXT) | instid1(VALU_DEP_4)
	v_add_f64 v[20:21], v[20:21], v[45:46]
	v_max_f64 v[53:54], v[49:50], v[47:48]
	v_min_f64 v[47:48], v[49:50], v[47:48]
	s_delay_alu instid0(VALU_DEP_3) | instskip(NEXT) | instid1(VALU_DEP_1)
	v_add_f64 v[20:21], v[26:27], v[20:21]
	v_add_f64 v[26:27], v[51:52], v[20:21]
	s_delay_alu instid0(VALU_DEP_1) | instskip(SKIP_1) | instid1(VALU_DEP_2)
	v_mul_f64 v[43:44], v[22:23], v[26:27]
	v_add_f64 v[51:52], v[51:52], -v[26:27]
	v_mul_f64 v[45:46], v[28:29], v[43:44]
	s_delay_alu instid0(VALU_DEP_2) | instskip(NEXT) | instid1(VALU_DEP_2)
	v_add_f64 v[20:21], v[20:21], v[51:52]
	v_fma_f64 v[28:29], v[43:44], v[28:29], -v[45:46]
	s_delay_alu instid0(VALU_DEP_1) | instskip(SKIP_1) | instid1(VALU_DEP_2)
	v_fma_f64 v[24:25], v[43:44], v[24:25], v[28:29]
	v_div_scale_f64 v[28:29], null, v[53:54], v[53:54], v[47:48]
	v_add_f64 v[49:50], v[45:46], v[24:25]
	s_delay_alu instid0(VALU_DEP_2) | instskip(NEXT) | instid1(VALU_DEP_1)
	v_rcp_f64_e32 v[55:56], v[28:29]
	v_add_f64 v[57:58], v[26:27], -v[49:50]
	v_add_f64 v[45:46], v[49:50], -v[45:46]
	s_waitcnt_depctr 0xfff
	v_fma_f64 v[61:62], -v[28:29], v[55:56], 1.0
	v_add_f64 v[26:27], v[26:27], -v[57:58]
	v_add_f64 v[24:25], v[45:46], -v[24:25]
	s_delay_alu instid0(VALU_DEP_3) | instskip(NEXT) | instid1(VALU_DEP_3)
	v_fma_f64 v[55:56], v[55:56], v[61:62], v[55:56]
	v_add_f64 v[26:27], v[26:27], -v[49:50]
	s_delay_alu instid0(VALU_DEP_2) | instskip(NEXT) | instid1(VALU_DEP_2)
	v_fma_f64 v[49:50], -v[28:29], v[55:56], 1.0
	v_add_f64 v[20:21], v[20:21], v[26:27]
	v_div_scale_f64 v[26:27], vcc_lo, v[47:48], v[53:54], v[47:48]
	s_delay_alu instid0(VALU_DEP_3) | instskip(SKIP_1) | instid1(VALU_DEP_4)
	v_fma_f64 v[45:46], v[55:56], v[49:50], v[55:56]
	v_add_f64 v[49:50], v[30:31], v[43:44]
	v_add_f64 v[20:21], v[24:25], v[20:21]
	s_delay_alu instid0(VALU_DEP_3) | instskip(NEXT) | instid1(VALU_DEP_3)
	v_mul_f64 v[24:25], v[26:27], v[45:46]
	v_add_f64 v[30:31], v[49:50], -v[30:31]
	s_delay_alu instid0(VALU_DEP_3) | instskip(NEXT) | instid1(VALU_DEP_3)
	v_add_f64 v[20:21], v[57:58], v[20:21]
	v_fma_f64 v[26:27], -v[28:29], v[24:25], v[26:27]
	s_delay_alu instid0(VALU_DEP_3) | instskip(NEXT) | instid1(VALU_DEP_3)
	v_add_f64 v[28:29], v[43:44], -v[30:31]
	v_mul_f64 v[20:21], v[22:23], v[20:21]
	s_delay_alu instid0(VALU_DEP_3) | instskip(SKIP_1) | instid1(VALU_DEP_3)
	v_div_fmas_f64 v[22:23], v[26:27], v[45:46], v[24:25]
	v_cmp_eq_f64_e32 vcc_lo, 0x7ff00000, v[18:19]
	v_add_f64 v[20:21], v[28:29], v[20:21]
	s_delay_alu instid0(VALU_DEP_3) | instskip(NEXT) | instid1(VALU_DEP_2)
	v_div_fixup_f64 v[22:23], v[22:23], v[53:54], v[47:48]
	v_add_f64 v[24:25], v[49:50], v[20:21]
	s_delay_alu instid0(VALU_DEP_2) | instskip(NEXT) | instid1(VALU_DEP_2)
	v_mul_f64 v[26:27], v[22:23], v[22:23]
	v_mul_f64 v[28:29], v[24:25], v[24:25]
	s_delay_alu instid0(VALU_DEP_2) | instskip(NEXT) | instid1(VALU_DEP_2)
	v_fma_f64 v[30:31], v[26:27], s[50:51], s[48:49]
	v_fma_f64 v[43:44], v[28:29], s[30:31], s[28:29]
	v_mul_f64 v[45:46], v[24:25], v[28:29]
	s_delay_alu instid0(VALU_DEP_3) | instskip(NEXT) | instid1(VALU_DEP_3)
	v_fma_f64 v[30:31], v[26:27], v[30:31], s[52:53]
	v_fma_f64 v[43:44], v[28:29], v[43:44], s[36:37]
	s_delay_alu instid0(VALU_DEP_2) | instskip(NEXT) | instid1(VALU_DEP_2)
	v_fma_f64 v[30:31], v[26:27], v[30:31], s[54:55]
	v_fma_f64 v[43:44], v[28:29], v[43:44], s[38:39]
	s_delay_alu instid0(VALU_DEP_2) | instskip(NEXT) | instid1(VALU_DEP_2)
	;; [unrolled: 3-line block ×4, first 2 shown]
	v_fma_f64 v[30:31], v[26:27], v[30:31], s[60:61]
	v_fma_f64 v[28:29], v[28:29], v[43:44], s[98:99]
	v_ldexp_f64 v[43:44], v[24:25], 1
	v_add_f64 v[24:25], v[24:25], -v[49:50]
	s_delay_alu instid0(VALU_DEP_4) | instskip(NEXT) | instid1(VALU_DEP_4)
	v_fma_f64 v[30:31], v[26:27], v[30:31], s[62:63]
	v_mul_f64 v[28:29], v[45:46], v[28:29]
	v_cvt_f64_i32_e32 v[45:46], v17
	s_delay_alu instid0(VALU_DEP_4) | instskip(NEXT) | instid1(VALU_DEP_4)
	v_add_f64 v[20:21], v[20:21], -v[24:25]
	v_fma_f64 v[30:31], v[26:27], v[30:31], s[64:65]
	v_ashrrev_i32_e32 v17, 31, v6
	s_delay_alu instid0(VALU_DEP_1) | instskip(SKIP_4) | instid1(VALU_DEP_4)
	v_and_b32_e32 v6, 0x400921fb, v17
	v_add_f64 v[47:48], v[43:44], v[28:29]
	v_mul_f64 v[49:50], v[45:46], s[44:45]
	v_ldexp_f64 v[20:21], v[20:21], 1
	v_fma_f64 v[30:31], v[26:27], v[30:31], s[66:67]
	v_add_f64 v[24:25], v[47:48], -v[43:44]
	s_delay_alu instid0(VALU_DEP_4) | instskip(NEXT) | instid1(VALU_DEP_3)
	v_fma_f64 v[43:44], v[45:46], s[44:45], -v[49:50]
	v_fma_f64 v[30:31], v[26:27], v[30:31], s[68:69]
	s_delay_alu instid0(VALU_DEP_3) | instskip(NEXT) | instid1(VALU_DEP_2)
	v_add_f64 v[24:25], v[28:29], -v[24:25]
	v_fma_f64 v[28:29], v[26:27], v[30:31], s[70:71]
	s_delay_alu instid0(VALU_DEP_4) | instskip(NEXT) | instid1(VALU_DEP_3)
	v_fma_f64 v[30:31], v[45:46], s[46:47], v[43:44]
	v_add_f64 v[20:21], v[20:21], v[24:25]
	s_delay_alu instid0(VALU_DEP_3) | instskip(NEXT) | instid1(VALU_DEP_3)
	v_fma_f64 v[24:25], v[26:27], v[28:29], s[72:73]
	v_add_f64 v[28:29], v[49:50], v[30:31]
	s_delay_alu instid0(VALU_DEP_3) | instskip(NEXT) | instid1(VALU_DEP_3)
	v_add_f64 v[43:44], v[47:48], v[20:21]
	v_fma_f64 v[24:25], v[26:27], v[24:25], s[74:75]
	s_delay_alu instid0(VALU_DEP_3) | instskip(NEXT) | instid1(VALU_DEP_3)
	v_add_f64 v[49:50], v[28:29], -v[49:50]
	v_add_f64 v[45:46], v[28:29], v[43:44]
	v_add_f64 v[47:48], v[43:44], -v[47:48]
	s_delay_alu instid0(VALU_DEP_4) | instskip(NEXT) | instid1(VALU_DEP_4)
	v_fma_f64 v[24:25], v[26:27], v[24:25], s[76:77]
	v_add_f64 v[30:31], v[30:31], -v[49:50]
	s_delay_alu instid0(VALU_DEP_4) | instskip(NEXT) | instid1(VALU_DEP_4)
	v_add_f64 v[51:52], v[45:46], -v[28:29]
	v_add_f64 v[20:21], v[20:21], -v[47:48]
	s_delay_alu instid0(VALU_DEP_4) | instskip(NEXT) | instid1(VALU_DEP_3)
	v_fma_f64 v[24:25], v[26:27], v[24:25], s[78:79]
	v_add_f64 v[53:54], v[45:46], -v[51:52]
	v_add_f64 v[43:44], v[43:44], -v[51:52]
	s_delay_alu instid0(VALU_DEP_4) | instskip(NEXT) | instid1(VALU_DEP_4)
	v_add_f64 v[47:48], v[30:31], v[20:21]
	v_fma_f64 v[24:25], v[26:27], v[24:25], s[80:81]
	s_delay_alu instid0(VALU_DEP_4) | instskip(NEXT) | instid1(VALU_DEP_2)
	v_add_f64 v[28:29], v[28:29], -v[53:54]
	v_fma_f64 v[24:25], v[26:27], v[24:25], s[82:83]
	s_delay_alu instid0(VALU_DEP_2) | instskip(SKIP_1) | instid1(VALU_DEP_3)
	v_add_f64 v[28:29], v[43:44], v[28:29]
	v_add_f64 v[43:44], v[47:48], -v[30:31]
	v_fma_f64 v[24:25], v[26:27], v[24:25], s[84:85]
	s_delay_alu instid0(VALU_DEP_3) | instskip(NEXT) | instid1(VALU_DEP_3)
	v_add_f64 v[28:29], v[47:48], v[28:29]
	v_add_f64 v[47:48], v[47:48], -v[43:44]
	v_add_f64 v[20:21], v[20:21], -v[43:44]
	s_delay_alu instid0(VALU_DEP_4) | instskip(NEXT) | instid1(VALU_DEP_4)
	v_fma_f64 v[24:25], v[26:27], v[24:25], s[86:87]
	v_add_f64 v[49:50], v[45:46], v[28:29]
	s_delay_alu instid0(VALU_DEP_2) | instskip(SKIP_1) | instid1(VALU_DEP_3)
	v_mul_f64 v[24:25], v[26:27], v[24:25]
	v_add_f64 v[26:27], v[30:31], -v[47:48]
	v_add_f64 v[30:31], v[49:50], -v[45:46]
	s_delay_alu instid0(VALU_DEP_3) | instskip(NEXT) | instid1(VALU_DEP_3)
	v_fma_f64 v[22:23], v[22:23], v[24:25], v[22:23]
	v_add_f64 v[20:21], v[20:21], v[26:27]
	s_delay_alu instid0(VALU_DEP_3) | instskip(NEXT) | instid1(VALU_DEP_3)
	v_add_f64 v[24:25], v[28:29], -v[30:31]
	v_add_f64 v[26:27], -v[22:23], s[88:89]
	s_delay_alu instid0(VALU_DEP_2) | instskip(NEXT) | instid1(VALU_DEP_2)
	v_add_f64 v[20:21], v[20:21], v[24:25]
	v_cndmask_b32_e64 v23, v23, v27, s6
	s_delay_alu instid0(VALU_DEP_3) | instskip(SKIP_1) | instid1(VALU_DEP_2)
	v_cndmask_b32_e64 v22, v22, v26, s6
	v_cndmask_b32_e64 v26, 0x54442d18, v59, s7
	v_add_f64 v[24:25], -v[22:23], s[16:17]
	v_add_f64 v[20:21], v[49:50], v[20:21]
	v_and_b32_e32 v27, 0x54442d18, v17
	s_delay_alu instid0(VALU_DEP_3) | instskip(NEXT) | instid1(VALU_DEP_4)
	v_cndmask_b32_e64 v24, v22, v24, s7
	v_cndmask_b32_e64 v17, v23, v25, s7
	v_cmp_nge_f64_e64 s7, -1.0, v[18:19]
	v_dual_cndmask_b32 v20, v20, v18 :: v_dual_cndmask_b32 v21, v21, v19
	v_cmp_eq_f64_e32 vcc_lo, 0, v[7:8]
	s_delay_alu instid0(VALU_DEP_2) | instskip(SKIP_2) | instid1(VALU_DEP_3)
	v_mul_f64 v[21:22], v[20:21], 0.5
	v_dual_cndmask_b32 v23, v24, v27 :: v_dual_cndmask_b32 v6, v17, v6
	v_cmp_ngt_f64_e32 vcc_lo, -1.0, v[18:19]
	v_cndmask_b32_e64 v17, 0, v21, s7
	v_cmp_neq_f64_e64 s7, -1.0, v[18:19]
	v_cndmask_b32_e32 v22, 0x7ff80000, v22, vcc_lo
	s_and_b32 vcc_lo, s9, s10
	v_dual_cndmask_b32 v20, v6, v5 :: v_dual_cndmask_b32 v19, v23, v26
	s_delay_alu instid0(VALU_DEP_2)
	v_cndmask_b32_e64 v18, 0xfff00000, v22, s7
                                        ; implicit-def: $vgpr21_vgpr22
                                        ; implicit-def: $vgpr23_vgpr24
.LBB174_18:                             ;   in Loop: Header=BB174_4 Depth=1
	s_and_not1_saveexec_b32 s23, s8
	s_cbranch_execz .LBB174_26
; %bb.19:                               ;   in Loop: Header=BB174_4 Depth=1
	v_mul_f64 v[17:18], v[21:22], v[21:22]
	s_mov_b32 s8, 0x66666666
	s_mov_b32 s9, 0x3fe66666
	s_mov_b32 s7, exec_lo
	s_delay_alu instid0(VALU_DEP_1) | instskip(NEXT) | instid1(VALU_DEP_1)
	v_fma_f64 v[19:20], v[23:24], v[23:24], v[17:18]
                                        ; implicit-def: $vgpr17_vgpr18
	v_cmpx_ge_f64_e32 s[8:9], v[19:20]
	s_xor_b32 s9, exec_lo, s7
	s_cbranch_execz .LBB174_21
; %bb.20:                               ;   in Loop: Header=BB174_4 Depth=1
	v_frexp_mant_f64_e32 v[17:18], v[19:20]
	v_max_f64 v[29:30], |v[5:6]|, |v[5:6]|
	s_mov_b32 s99, s27
	s_mov_b32 s16, s88
	v_cmp_class_f64_e64 s10, v[7:8], 0x204
	v_cmp_class_f64_e64 s11, v[5:6], 0x204
	v_cmp_neq_f64_e64 s8, 0, v[19:20]
	v_cmp_gt_f64_e64 s7, s[26:27], v[17:18]
	s_delay_alu instid0(VALU_DEP_1) | instskip(NEXT) | instid1(VALU_DEP_1)
	v_cndmask_b32_e64 v34, 0x3ff00000, 2.0, s7
	v_mul_f64 v[17:18], v[17:18], v[33:34]
	v_frexp_exp_i32_f64_e32 v34, v[19:20]
	s_delay_alu instid0(VALU_DEP_2) | instskip(SKIP_1) | instid1(VALU_DEP_2)
	v_add_f64 v[21:22], v[17:18], 1.0
	v_add_f64 v[27:28], v[17:18], -1.0
	v_rcp_f64_e32 v[23:24], v[21:22]
	s_waitcnt_depctr 0xfff
	v_fma_f64 v[25:26], -v[21:22], v[23:24], 1.0
	s_delay_alu instid0(VALU_DEP_1) | instskip(NEXT) | instid1(VALU_DEP_1)
	v_fma_f64 v[23:24], v[25:26], v[23:24], v[23:24]
	v_fma_f64 v[25:26], -v[21:22], v[23:24], 1.0
	s_delay_alu instid0(VALU_DEP_1) | instskip(SKIP_1) | instid1(VALU_DEP_2)
	v_fma_f64 v[23:24], v[25:26], v[23:24], v[23:24]
	v_max_f64 v[25:26], |v[7:8]|, |v[7:8]|
	v_mul_f64 v[31:32], v[27:28], v[23:24]
	s_delay_alu instid0(VALU_DEP_2) | instskip(SKIP_2) | instid1(VALU_DEP_4)
	v_max_f64 v[43:44], v[29:30], v[25:26]
	v_min_f64 v[25:26], v[29:30], v[25:26]
	v_add_f64 v[29:30], v[21:22], -1.0
	v_mul_f64 v[45:46], v[21:22], v[31:32]
	s_delay_alu instid0(VALU_DEP_3) | instskip(NEXT) | instid1(VALU_DEP_3)
	v_div_scale_f64 v[47:48], null, v[43:44], v[43:44], v[25:26]
	v_add_f64 v[17:18], v[17:18], -v[29:30]
	v_div_scale_f64 v[53:54], vcc_lo, v[25:26], v[43:44], v[25:26]
	s_delay_alu instid0(VALU_DEP_4) | instskip(NEXT) | instid1(VALU_DEP_4)
	v_fma_f64 v[21:22], v[31:32], v[21:22], -v[45:46]
	v_rcp_f64_e32 v[29:30], v[47:48]
	s_delay_alu instid0(VALU_DEP_1) | instskip(SKIP_3) | instid1(VALU_DEP_2)
	v_fma_f64 v[17:18], v[31:32], v[17:18], v[21:22]
	s_waitcnt_depctr 0xfff
	v_fma_f64 v[21:22], -v[47:48], v[29:30], 1.0
	v_add_f64 v[49:50], v[45:46], v[17:18]
	v_fma_f64 v[21:22], v[29:30], v[21:22], v[29:30]
	s_delay_alu instid0(VALU_DEP_2) | instskip(SKIP_1) | instid1(VALU_DEP_3)
	v_add_f64 v[29:30], v[27:28], -v[49:50]
	v_add_f64 v[45:46], v[49:50], -v[45:46]
	v_fma_f64 v[51:52], -v[47:48], v[21:22], 1.0
	s_delay_alu instid0(VALU_DEP_3) | instskip(NEXT) | instid1(VALU_DEP_3)
	v_add_f64 v[27:28], v[27:28], -v[29:30]
	v_add_f64 v[17:18], v[45:46], -v[17:18]
	s_delay_alu instid0(VALU_DEP_3) | instskip(NEXT) | instid1(VALU_DEP_3)
	v_fma_f64 v[21:22], v[21:22], v[51:52], v[21:22]
	v_add_f64 v[27:28], v[27:28], -v[49:50]
	s_delay_alu instid0(VALU_DEP_2) | instskip(NEXT) | instid1(VALU_DEP_2)
	v_mul_f64 v[45:46], v[53:54], v[21:22]
	v_add_f64 v[17:18], v[17:18], v[27:28]
	s_delay_alu instid0(VALU_DEP_2) | instskip(NEXT) | instid1(VALU_DEP_2)
	v_fma_f64 v[27:28], -v[47:48], v[45:46], v[53:54]
	v_add_f64 v[17:18], v[29:30], v[17:18]
	s_delay_alu instid0(VALU_DEP_2)
	v_div_fmas_f64 v[21:22], v[27:28], v[21:22], v[45:46]
	v_subrev_co_ci_u32_e64 v34, vcc_lo, 0, v34, s7
	v_cmp_eq_f64_e64 s7, 0, v[7:8]
	v_cmp_gt_i32_e32 vcc_lo, 0, v6
	v_mul_f64 v[17:18], v[23:24], v[17:18]
	v_div_fixup_f64 v[21:22], v[21:22], v[43:44], v[25:26]
	s_delay_alu instid0(VALU_DEP_2) | instskip(NEXT) | instid1(VALU_DEP_2)
	v_add_f64 v[23:24], v[31:32], v[17:18]
	v_mul_f64 v[25:26], v[21:22], v[21:22]
	s_delay_alu instid0(VALU_DEP_2) | instskip(NEXT) | instid1(VALU_DEP_2)
	v_mul_f64 v[27:28], v[23:24], v[23:24]
	v_fma_f64 v[29:30], v[25:26], s[50:51], s[48:49]
	s_delay_alu instid0(VALU_DEP_2) | instskip(SKIP_1) | instid1(VALU_DEP_3)
	v_fma_f64 v[43:44], v[27:28], s[30:31], s[28:29]
	v_mul_f64 v[45:46], v[23:24], v[27:28]
	v_fma_f64 v[29:30], v[25:26], v[29:30], s[52:53]
	s_delay_alu instid0(VALU_DEP_3) | instskip(NEXT) | instid1(VALU_DEP_2)
	v_fma_f64 v[43:44], v[27:28], v[43:44], s[36:37]
	v_fma_f64 v[29:30], v[25:26], v[29:30], s[54:55]
	s_delay_alu instid0(VALU_DEP_2) | instskip(NEXT) | instid1(VALU_DEP_2)
	v_fma_f64 v[43:44], v[27:28], v[43:44], s[38:39]
	v_fma_f64 v[29:30], v[25:26], v[29:30], s[56:57]
	s_delay_alu instid0(VALU_DEP_2) | instskip(NEXT) | instid1(VALU_DEP_2)
	;; [unrolled: 3-line block ×3, first 2 shown]
	v_fma_f64 v[43:44], v[27:28], v[43:44], s[42:43]
	v_fma_f64 v[29:30], v[25:26], v[29:30], s[60:61]
	s_delay_alu instid0(VALU_DEP_2) | instskip(SKIP_2) | instid1(VALU_DEP_4)
	v_fma_f64 v[27:28], v[27:28], v[43:44], s[98:99]
	v_ldexp_f64 v[43:44], v[23:24], 1
	v_add_f64 v[23:24], v[23:24], -v[31:32]
	v_fma_f64 v[29:30], v[25:26], v[29:30], s[62:63]
	s_delay_alu instid0(VALU_DEP_4) | instskip(SKIP_1) | instid1(VALU_DEP_4)
	v_mul_f64 v[27:28], v[45:46], v[27:28]
	v_cvt_f64_i32_e32 v[45:46], v34
	v_add_f64 v[17:18], v[17:18], -v[23:24]
	s_delay_alu instid0(VALU_DEP_4) | instskip(NEXT) | instid1(VALU_DEP_4)
	v_fma_f64 v[29:30], v[25:26], v[29:30], s[64:65]
	v_add_f64 v[31:32], v[43:44], v[27:28]
	s_delay_alu instid0(VALU_DEP_4) | instskip(NEXT) | instid1(VALU_DEP_4)
	v_mul_f64 v[47:48], v[45:46], s[44:45]
	v_ldexp_f64 v[17:18], v[17:18], 1
	s_delay_alu instid0(VALU_DEP_4) | instskip(NEXT) | instid1(VALU_DEP_4)
	v_fma_f64 v[29:30], v[25:26], v[29:30], s[66:67]
	v_add_f64 v[23:24], v[31:32], -v[43:44]
	s_delay_alu instid0(VALU_DEP_4) | instskip(NEXT) | instid1(VALU_DEP_3)
	v_fma_f64 v[43:44], v[45:46], s[44:45], -v[47:48]
	v_fma_f64 v[29:30], v[25:26], v[29:30], s[68:69]
	s_delay_alu instid0(VALU_DEP_3) | instskip(NEXT) | instid1(VALU_DEP_2)
	v_add_f64 v[23:24], v[27:28], -v[23:24]
	v_fma_f64 v[27:28], v[25:26], v[29:30], s[70:71]
	s_delay_alu instid0(VALU_DEP_4) | instskip(NEXT) | instid1(VALU_DEP_3)
	v_fma_f64 v[29:30], v[45:46], s[46:47], v[43:44]
	v_add_f64 v[17:18], v[17:18], v[23:24]
	s_delay_alu instid0(VALU_DEP_3) | instskip(NEXT) | instid1(VALU_DEP_3)
	v_fma_f64 v[23:24], v[25:26], v[27:28], s[72:73]
	v_add_f64 v[27:28], v[47:48], v[29:30]
	s_delay_alu instid0(VALU_DEP_3) | instskip(NEXT) | instid1(VALU_DEP_3)
	v_add_f64 v[43:44], v[31:32], v[17:18]
	v_fma_f64 v[23:24], v[25:26], v[23:24], s[74:75]
	s_delay_alu instid0(VALU_DEP_3) | instskip(NEXT) | instid1(VALU_DEP_3)
	v_add_f64 v[47:48], v[27:28], -v[47:48]
	v_add_f64 v[45:46], v[27:28], v[43:44]
	v_add_f64 v[31:32], v[43:44], -v[31:32]
	s_delay_alu instid0(VALU_DEP_4) | instskip(NEXT) | instid1(VALU_DEP_4)
	v_fma_f64 v[23:24], v[25:26], v[23:24], s[76:77]
	v_add_f64 v[29:30], v[29:30], -v[47:48]
	s_delay_alu instid0(VALU_DEP_4) | instskip(NEXT) | instid1(VALU_DEP_4)
	v_add_f64 v[49:50], v[45:46], -v[27:28]
	v_add_f64 v[17:18], v[17:18], -v[31:32]
	s_delay_alu instid0(VALU_DEP_4) | instskip(NEXT) | instid1(VALU_DEP_3)
	v_fma_f64 v[23:24], v[25:26], v[23:24], s[78:79]
	v_add_f64 v[51:52], v[45:46], -v[49:50]
	v_add_f64 v[31:32], v[43:44], -v[49:50]
	s_delay_alu instid0(VALU_DEP_4) | instskip(NEXT) | instid1(VALU_DEP_4)
	v_add_f64 v[43:44], v[29:30], v[17:18]
	v_fma_f64 v[23:24], v[25:26], v[23:24], s[80:81]
	s_delay_alu instid0(VALU_DEP_4) | instskip(NEXT) | instid1(VALU_DEP_2)
	v_add_f64 v[27:28], v[27:28], -v[51:52]
	v_fma_f64 v[23:24], v[25:26], v[23:24], s[82:83]
	s_delay_alu instid0(VALU_DEP_2) | instskip(SKIP_1) | instid1(VALU_DEP_3)
	v_add_f64 v[27:28], v[31:32], v[27:28]
	v_add_f64 v[31:32], v[43:44], -v[29:30]
	v_fma_f64 v[23:24], v[25:26], v[23:24], s[84:85]
	s_delay_alu instid0(VALU_DEP_3) | instskip(NEXT) | instid1(VALU_DEP_3)
	v_add_f64 v[27:28], v[43:44], v[27:28]
	v_add_f64 v[43:44], v[43:44], -v[31:32]
	v_add_f64 v[17:18], v[17:18], -v[31:32]
	s_delay_alu instid0(VALU_DEP_4) | instskip(NEXT) | instid1(VALU_DEP_4)
	v_fma_f64 v[23:24], v[25:26], v[23:24], s[86:87]
	v_add_f64 v[47:48], v[45:46], v[27:28]
	s_delay_alu instid0(VALU_DEP_2) | instskip(SKIP_1) | instid1(VALU_DEP_3)
	v_mul_f64 v[23:24], v[25:26], v[23:24]
	v_add_f64 v[25:26], v[29:30], -v[43:44]
	v_add_f64 v[29:30], v[47:48], -v[45:46]
	s_delay_alu instid0(VALU_DEP_3) | instskip(NEXT) | instid1(VALU_DEP_3)
	v_fma_f64 v[21:22], v[21:22], v[23:24], v[21:22]
	v_add_f64 v[17:18], v[17:18], v[25:26]
	s_delay_alu instid0(VALU_DEP_3) | instskip(NEXT) | instid1(VALU_DEP_3)
	v_add_f64 v[23:24], v[27:28], -v[29:30]
	v_add_f64 v[25:26], -v[21:22], s[88:89]
	s_delay_alu instid0(VALU_DEP_2) | instskip(NEXT) | instid1(VALU_DEP_2)
	v_add_f64 v[17:18], v[17:18], v[23:24]
	v_cndmask_b32_e64 v22, v22, v26, s6
	s_delay_alu instid0(VALU_DEP_3) | instskip(SKIP_2) | instid1(VALU_DEP_3)
	v_cndmask_b32_e64 v21, v21, v25, s6
	v_ashrrev_i32_e32 v25, 31, v6
	v_cndmask_b32_e32 v26, 0x54442d18, v59, vcc_lo
	v_add_f64 v[23:24], -v[21:22], s[16:17]
	s_delay_alu instid0(VALU_DEP_3) | instskip(SKIP_1) | instid1(VALU_DEP_3)
	v_and_b32_e32 v27, 0x54442d18, v25
	v_add_f64 v[17:18], v[47:48], v[17:18]
	v_cndmask_b32_e32 v21, v21, v23, vcc_lo
	s_delay_alu instid0(VALU_DEP_4) | instskip(NEXT) | instid1(VALU_DEP_3)
	v_cndmask_b32_e32 v19, v22, v24, vcc_lo
                                        ; implicit-def: $vgpr23_vgpr24
	v_mul_f64 v[5:6], v[17:18], 0.5
	v_and_b32_e32 v18, 0x400921fb, v25
	v_cndmask_b32_e32 v17, 0x3fe921fb, v60, vcc_lo
	v_cndmask_b32_e64 v21, v21, v27, s7
	s_and_b32 vcc_lo, s10, s11
	s_delay_alu instid0(VALU_DEP_3) | instskip(NEXT) | instid1(VALU_DEP_3)
	v_cndmask_b32_e64 v18, v19, v18, s7
	v_bfi_b32 v17, 0x7fffffff, v17, v8
	s_delay_alu instid0(VALU_DEP_3) | instskip(NEXT) | instid1(VALU_DEP_2)
	v_cndmask_b32_e32 v19, v21, v26, vcc_lo
                                        ; implicit-def: $vgpr21_vgpr22
	v_cndmask_b32_e32 v20, v18, v17, vcc_lo
	v_cndmask_b32_e64 v18, 0xfff00000, v6, s8
	v_cndmask_b32_e64 v17, 0, v5, s8
.LBB174_21:                             ;   in Loop: Header=BB174_4 Depth=1
	s_and_not1_saveexec_b32 s24, s9
	s_cbranch_execz .LBB174_25
; %bb.22:                               ;   in Loop: Header=BB174_4 Depth=1
	v_dual_mov_b32 v19, v33 :: v_dual_and_b32 v34, 0x7ffffff8, v24
	v_dual_mov_b32 v25, v33 :: v_dual_and_b32 v20, 0x7ffffff8, v22
	s_mov_b32 s25, 0
	s_delay_alu instid0(VALU_DEP_2) | instskip(SKIP_1) | instid1(VALU_DEP_3)
	v_add_f64 v[17:18], v[23:24], -v[33:34]
	v_mov_b32_e32 v27, v33
	v_add_f64 v[21:22], v[21:22], -v[19:20]
	v_add_f64 v[29:30], v[33:34], v[33:34]
	v_add_f64 v[47:48], v[19:20], v[19:20]
	v_mul_f64 v[23:24], v[19:20], v[19:20]
	v_and_b32_e32 v26, -8, v18
	v_and_b32_e32 v28, -8, v22
	s_delay_alu instid0(VALU_DEP_2) | instskip(SKIP_1) | instid1(VALU_DEP_3)
	v_add_f64 v[49:50], v[17:18], -v[25:26]
	v_add_f64 v[53:54], v[25:26], v[25:26]
	v_add_f64 v[51:52], v[21:22], -v[27:28]
	v_add_f64 v[55:56], v[27:28], v[27:28]
	v_mul_f64 v[17:18], v[33:34], v[33:34]
	v_mul_f64 v[45:46], v[29:30], v[25:26]
	;; [unrolled: 1-line block ×11, first 2 shown]
.LBB174_23:                             ;   Parent Loop BB174_4 Depth=1
                                        ; =>  This Inner Loop Header: Depth=2
	v_cmp_nlt_f64_e32 vcc_lo, v[17:18], v[23:24]
	v_dual_cndmask_b32 v52, v18, v24 :: v_dual_cndmask_b32 v51, v17, v23
	v_dual_cndmask_b32 v18, v24, v18 :: v_dual_cndmask_b32 v17, v23, v17
	s_delay_alu instid0(VALU_DEP_2) | instskip(NEXT) | instid1(VALU_DEP_1)
	v_cmp_nlt_f64_e64 s7, v[51:52], v[45:46]
	v_cndmask_b32_e64 v54, v52, v46, s7
	v_cndmask_b32_e64 v53, v51, v45, s7
	;; [unrolled: 1-line block ×4, first 2 shown]
	s_and_b32 s7, vcc_lo, s7
	s_delay_alu instid0(VALU_DEP_3) | instskip(NEXT) | instid1(VALU_DEP_1)
	v_cmp_nlt_f64_e64 s8, v[53:54], v[21:22]
	v_cndmask_b32_e64 v52, v54, v22, s8
	v_cndmask_b32_e64 v51, v53, v21, s8
	;; [unrolled: 1-line block ×4, first 2 shown]
	s_delay_alu instid0(VALU_DEP_3) | instskip(NEXT) | instid1(VALU_DEP_1)
	v_cmp_nlt_f64_e64 s9, v[51:52], v[43:44]
	v_cndmask_b32_e64 v54, v52, v44, s9
	v_cndmask_b32_e64 v53, v51, v43, s9
	v_cndmask_b32_e64 v22, v44, v52, s9
	v_cndmask_b32_e64 v21, v43, v51, s9
	s_and_b32 s8, s8, s9
	s_delay_alu instid0(VALU_DEP_3) | instskip(NEXT) | instid1(VALU_DEP_1)
	v_cmp_nlt_f64_e64 s10, v[53:54], v[19:20]
	v_cndmask_b32_e64 v52, v54, v20, s10
	v_cndmask_b32_e64 v51, v53, v19, s10
	;; [unrolled: 1-line block ×4, first 2 shown]
	s_delay_alu instid0(VALU_DEP_3) | instskip(NEXT) | instid1(VALU_DEP_1)
	v_cmp_nlt_f64_e64 s11, v[51:52], v[31:32]
	v_cndmask_b32_e64 v54, v52, v32, s11
	v_cndmask_b32_e64 v53, v51, v31, s11
	v_cndmask_b32_e64 v20, v32, v52, s11
	v_cndmask_b32_e64 v19, v31, v51, s11
	s_and_b32 s9, s10, s11
	s_delay_alu instid0(VALU_DEP_3) | instskip(NEXT) | instid1(VALU_DEP_1)
	v_cmp_nlt_f64_e64 s12, v[53:54], v[29:30]
	v_cndmask_b32_e64 v52, v54, v30, s12
	v_cndmask_b32_e64 v51, v53, v29, s12
	v_cndmask_b32_e64 v32, v30, v54, s12
	v_cndmask_b32_e64 v31, v29, v53, s12
	s_and_b32 s9, s9, s12
	;; [unrolled: 7-line block ×4, first 2 shown]
	s_delay_alu instid0(VALU_DEP_3) | instskip(NEXT) | instid1(VALU_DEP_1)
	v_cmp_nlt_f64_e64 s15, v[51:52], v[47:48]
	v_cndmask_b32_e64 v54, v52, v48, s15
	v_cndmask_b32_e64 v53, v51, v47, s15
	s_and_b32 s9, s9, s15
	v_cndmask_b32_e64 v26, v48, v52, s15
	v_cndmask_b32_e64 v25, v47, v51, s15
	s_delay_alu instid0(VALU_DEP_3) | instskip(NEXT) | instid1(VALU_DEP_1)
	v_cmp_nlt_f64_e64 s16, v[53:54], v[49:50]
	v_cndmask_b32_e64 v52, v54, v50, s16
	v_cndmask_b32_e64 v51, v53, v49, s16
	s_and_b32 s9, s9, s16
	v_cndmask_b32_e64 v48, v50, v54, s16
	s_and_b32 s8, s9, s8
	;; [unrolled: 2-line block ×3, first 2 shown]
	v_dual_mov_b32 v49, v51 :: v_dual_mov_b32 v50, v52
	s_and_b32 s7, exec_lo, s7
	s_delay_alu instid0(SALU_CYCLE_1) | instskip(NEXT) | instid1(SALU_CYCLE_1)
	s_or_b32 s25, s7, s25
	s_and_not1_b32 exec_lo, exec_lo, s25
	s_cbranch_execnz .LBB174_23
; %bb.24:                               ;   in Loop: Header=BB174_4 Depth=1
	s_or_b32 exec_lo, exec_lo, s25
	v_add_f64 v[17:18], v[17:18], -1.0
	s_mov_b32 s99, s27
	s_mov_b32 s16, s88
	v_cmp_gt_i32_e64 s7, 0, v6
	v_cmp_class_f64_e64 s9, v[5:6], 0x204
	v_cmp_class_f64_e64 s8, v[7:8], 0x204
	s_mov_b32 s14, 0x4ad4b81f
	s_mov_b32 s15, 0x358dee7a
	s_delay_alu instid0(VALU_DEP_4) | instskip(NEXT) | instid1(VALU_DEP_1)
	v_add_f64 v[17:18], v[17:18], v[23:24]
	v_add_f64 v[17:18], v[17:18], v[45:46]
	s_delay_alu instid0(VALU_DEP_1) | instskip(NEXT) | instid1(VALU_DEP_1)
	v_add_f64 v[17:18], v[17:18], v[21:22]
	v_add_f64 v[17:18], v[17:18], v[43:44]
	s_delay_alu instid0(VALU_DEP_1) | instskip(NEXT) | instid1(VALU_DEP_1)
	;; [unrolled: 3-line block ×5, first 2 shown]
	v_add_f64 v[18:19], v[51:52], v[17:18]
	v_add_f64 v[20:21], v[18:19], 1.0
	s_delay_alu instid0(VALU_DEP_1) | instskip(SKIP_2) | instid1(VALU_DEP_3)
	v_frexp_mant_f64_e32 v[22:23], v[20:21]
	v_frexp_exp_i32_f64_e32 v17, v[20:21]
	v_add_f64 v[24:25], v[20:21], -1.0
	v_cmp_gt_f64_e32 vcc_lo, s[26:27], v[22:23]
	s_delay_alu instid0(VALU_DEP_2) | instskip(SKIP_2) | instid1(VALU_DEP_3)
	v_add_f64 v[22:23], v[24:25], -v[20:21]
	v_add_f64 v[24:25], v[18:19], -v[24:25]
	v_subrev_co_ci_u32_e32 v17, vcc_lo, 0, v17, vcc_lo
	v_add_f64 v[22:23], v[22:23], 1.0
	s_delay_alu instid0(VALU_DEP_2) | instskip(NEXT) | instid1(VALU_DEP_1)
	v_sub_nc_u32_e32 v28, 0, v17
	v_ldexp_f64 v[20:21], v[20:21], v28
	s_delay_alu instid0(VALU_DEP_3) | instskip(NEXT) | instid1(VALU_DEP_2)
	v_add_f64 v[22:23], v[24:25], v[22:23]
	v_add_f64 v[26:27], v[20:21], 1.0
	v_add_f64 v[43:44], v[20:21], -1.0
	s_delay_alu instid0(VALU_DEP_3) | instskip(NEXT) | instid1(VALU_DEP_3)
	v_ldexp_f64 v[22:23], v[22:23], v28
	v_add_f64 v[24:25], v[26:27], -1.0
	s_delay_alu instid0(VALU_DEP_3) | instskip(NEXT) | instid1(VALU_DEP_2)
	v_add_f64 v[45:46], v[43:44], 1.0
	v_add_f64 v[24:25], v[20:21], -v[24:25]
	s_delay_alu instid0(VALU_DEP_2) | instskip(NEXT) | instid1(VALU_DEP_2)
	v_add_f64 v[20:21], v[20:21], -v[45:46]
	v_add_f64 v[24:25], v[22:23], v[24:25]
	s_delay_alu instid0(VALU_DEP_2) | instskip(NEXT) | instid1(VALU_DEP_2)
	v_add_f64 v[20:21], v[22:23], v[20:21]
	v_add_f64 v[28:29], v[26:27], v[24:25]
	s_delay_alu instid0(VALU_DEP_2) | instskip(NEXT) | instid1(VALU_DEP_2)
	v_add_f64 v[45:46], v[43:44], v[20:21]
	v_rcp_f64_e32 v[30:31], v[28:29]
	v_add_f64 v[26:27], v[28:29], -v[26:27]
	s_delay_alu instid0(VALU_DEP_2) | instskip(NEXT) | instid1(VALU_DEP_2)
	v_add_f64 v[43:44], v[45:46], -v[43:44]
	v_add_f64 v[24:25], v[24:25], -v[26:27]
	s_waitcnt_depctr 0xfff
	v_fma_f64 v[47:48], -v[28:29], v[30:31], 1.0
	v_add_f64 v[20:21], v[20:21], -v[43:44]
	s_delay_alu instid0(VALU_DEP_2) | instskip(NEXT) | instid1(VALU_DEP_1)
	v_fma_f64 v[30:31], v[47:48], v[30:31], v[30:31]
	v_fma_f64 v[22:23], -v[28:29], v[30:31], 1.0
	s_delay_alu instid0(VALU_DEP_1) | instskip(NEXT) | instid1(VALU_DEP_1)
	v_fma_f64 v[22:23], v[22:23], v[30:31], v[30:31]
	v_mul_f64 v[30:31], v[45:46], v[22:23]
	s_delay_alu instid0(VALU_DEP_1) | instskip(NEXT) | instid1(VALU_DEP_1)
	v_mul_f64 v[47:48], v[28:29], v[30:31]
	v_fma_f64 v[26:27], v[30:31], v[28:29], -v[47:48]
	s_delay_alu instid0(VALU_DEP_1) | instskip(NEXT) | instid1(VALU_DEP_1)
	v_fma_f64 v[26:27], v[30:31], v[24:25], v[26:27]
	v_add_f64 v[49:50], v[47:48], v[26:27]
	s_delay_alu instid0(VALU_DEP_1) | instskip(SKIP_2) | instid1(VALU_DEP_3)
	v_add_f64 v[51:52], v[45:46], -v[49:50]
	v_add_f64 v[43:44], v[49:50], -v[47:48]
	v_max_f64 v[47:48], |v[7:8]|, |v[7:8]|
	v_add_f64 v[45:46], v[45:46], -v[51:52]
	s_delay_alu instid0(VALU_DEP_3) | instskip(NEXT) | instid1(VALU_DEP_2)
	v_add_f64 v[26:27], v[43:44], -v[26:27]
	v_add_f64 v[45:46], v[45:46], -v[49:50]
	v_max_f64 v[49:50], |v[5:6]|, |v[5:6]|
	v_cndmask_b32_e64 v5, 0x3fe921fb, v60, s7
	s_delay_alu instid0(VALU_DEP_1) | instskip(NEXT) | instid1(VALU_DEP_4)
	v_bfi_b32 v5, 0x7fffffff, v5, v8
	v_add_f64 v[20:21], v[20:21], v[45:46]
	s_delay_alu instid0(VALU_DEP_4) | instskip(SKIP_1) | instid1(VALU_DEP_3)
	v_max_f64 v[53:54], v[49:50], v[47:48]
	v_min_f64 v[47:48], v[49:50], v[47:48]
	v_add_f64 v[20:21], v[26:27], v[20:21]
	s_delay_alu instid0(VALU_DEP_1) | instskip(NEXT) | instid1(VALU_DEP_1)
	v_add_f64 v[26:27], v[51:52], v[20:21]
	v_mul_f64 v[43:44], v[22:23], v[26:27]
	v_add_f64 v[51:52], v[51:52], -v[26:27]
	s_delay_alu instid0(VALU_DEP_2) | instskip(NEXT) | instid1(VALU_DEP_2)
	v_mul_f64 v[45:46], v[28:29], v[43:44]
	v_add_f64 v[20:21], v[20:21], v[51:52]
	s_delay_alu instid0(VALU_DEP_2) | instskip(NEXT) | instid1(VALU_DEP_1)
	v_fma_f64 v[28:29], v[43:44], v[28:29], -v[45:46]
	v_fma_f64 v[24:25], v[43:44], v[24:25], v[28:29]
	v_div_scale_f64 v[28:29], null, v[53:54], v[53:54], v[47:48]
	s_delay_alu instid0(VALU_DEP_2) | instskip(NEXT) | instid1(VALU_DEP_2)
	v_add_f64 v[49:50], v[45:46], v[24:25]
	v_rcp_f64_e32 v[55:56], v[28:29]
	s_delay_alu instid0(VALU_DEP_1)
	v_add_f64 v[57:58], v[26:27], -v[49:50]
	v_add_f64 v[45:46], v[49:50], -v[45:46]
	s_waitcnt_depctr 0xfff
	v_fma_f64 v[61:62], -v[28:29], v[55:56], 1.0
	v_add_f64 v[26:27], v[26:27], -v[57:58]
	v_add_f64 v[24:25], v[45:46], -v[24:25]
	s_delay_alu instid0(VALU_DEP_3) | instskip(NEXT) | instid1(VALU_DEP_3)
	v_fma_f64 v[55:56], v[55:56], v[61:62], v[55:56]
	v_add_f64 v[26:27], v[26:27], -v[49:50]
	s_delay_alu instid0(VALU_DEP_2) | instskip(NEXT) | instid1(VALU_DEP_2)
	v_fma_f64 v[49:50], -v[28:29], v[55:56], 1.0
	v_add_f64 v[20:21], v[20:21], v[26:27]
	v_div_scale_f64 v[26:27], vcc_lo, v[47:48], v[53:54], v[47:48]
	s_delay_alu instid0(VALU_DEP_3) | instskip(SKIP_1) | instid1(VALU_DEP_4)
	v_fma_f64 v[45:46], v[55:56], v[49:50], v[55:56]
	v_add_f64 v[49:50], v[30:31], v[43:44]
	v_add_f64 v[20:21], v[24:25], v[20:21]
	s_delay_alu instid0(VALU_DEP_3) | instskip(NEXT) | instid1(VALU_DEP_3)
	v_mul_f64 v[24:25], v[26:27], v[45:46]
	v_add_f64 v[30:31], v[49:50], -v[30:31]
	s_delay_alu instid0(VALU_DEP_3) | instskip(NEXT) | instid1(VALU_DEP_3)
	v_add_f64 v[20:21], v[57:58], v[20:21]
	v_fma_f64 v[26:27], -v[28:29], v[24:25], v[26:27]
	s_delay_alu instid0(VALU_DEP_3) | instskip(NEXT) | instid1(VALU_DEP_3)
	v_add_f64 v[28:29], v[43:44], -v[30:31]
	v_mul_f64 v[20:21], v[22:23], v[20:21]
	s_delay_alu instid0(VALU_DEP_3) | instskip(SKIP_1) | instid1(VALU_DEP_3)
	v_div_fmas_f64 v[22:23], v[26:27], v[45:46], v[24:25]
	v_cmp_eq_f64_e32 vcc_lo, 0x7ff00000, v[18:19]
	v_add_f64 v[20:21], v[28:29], v[20:21]
	s_delay_alu instid0(VALU_DEP_3) | instskip(NEXT) | instid1(VALU_DEP_2)
	v_div_fixup_f64 v[22:23], v[22:23], v[53:54], v[47:48]
	v_add_f64 v[24:25], v[49:50], v[20:21]
	s_delay_alu instid0(VALU_DEP_2) | instskip(NEXT) | instid1(VALU_DEP_2)
	v_mul_f64 v[26:27], v[22:23], v[22:23]
	v_mul_f64 v[28:29], v[24:25], v[24:25]
	s_delay_alu instid0(VALU_DEP_2) | instskip(NEXT) | instid1(VALU_DEP_2)
	v_fma_f64 v[30:31], v[26:27], s[50:51], s[48:49]
	v_fma_f64 v[43:44], v[28:29], s[30:31], s[28:29]
	v_mul_f64 v[45:46], v[24:25], v[28:29]
	s_delay_alu instid0(VALU_DEP_3) | instskip(NEXT) | instid1(VALU_DEP_3)
	v_fma_f64 v[30:31], v[26:27], v[30:31], s[52:53]
	v_fma_f64 v[43:44], v[28:29], v[43:44], s[36:37]
	s_delay_alu instid0(VALU_DEP_2) | instskip(NEXT) | instid1(VALU_DEP_2)
	v_fma_f64 v[30:31], v[26:27], v[30:31], s[54:55]
	v_fma_f64 v[43:44], v[28:29], v[43:44], s[38:39]
	s_delay_alu instid0(VALU_DEP_2) | instskip(NEXT) | instid1(VALU_DEP_2)
	;; [unrolled: 3-line block ×4, first 2 shown]
	v_fma_f64 v[30:31], v[26:27], v[30:31], s[60:61]
	v_fma_f64 v[28:29], v[28:29], v[43:44], s[98:99]
	v_ldexp_f64 v[43:44], v[24:25], 1
	v_add_f64 v[24:25], v[24:25], -v[49:50]
	s_delay_alu instid0(VALU_DEP_4) | instskip(NEXT) | instid1(VALU_DEP_4)
	v_fma_f64 v[30:31], v[26:27], v[30:31], s[62:63]
	v_mul_f64 v[28:29], v[45:46], v[28:29]
	v_cvt_f64_i32_e32 v[45:46], v17
	s_delay_alu instid0(VALU_DEP_4) | instskip(NEXT) | instid1(VALU_DEP_4)
	v_add_f64 v[20:21], v[20:21], -v[24:25]
	v_fma_f64 v[30:31], v[26:27], v[30:31], s[64:65]
	v_ashrrev_i32_e32 v17, 31, v6
	s_delay_alu instid0(VALU_DEP_1) | instskip(SKIP_4) | instid1(VALU_DEP_4)
	v_and_b32_e32 v6, 0x400921fb, v17
	v_add_f64 v[47:48], v[43:44], v[28:29]
	v_mul_f64 v[49:50], v[45:46], s[44:45]
	v_ldexp_f64 v[20:21], v[20:21], 1
	v_fma_f64 v[30:31], v[26:27], v[30:31], s[66:67]
	v_add_f64 v[24:25], v[47:48], -v[43:44]
	s_delay_alu instid0(VALU_DEP_4) | instskip(NEXT) | instid1(VALU_DEP_3)
	v_fma_f64 v[43:44], v[45:46], s[44:45], -v[49:50]
	v_fma_f64 v[30:31], v[26:27], v[30:31], s[68:69]
	s_delay_alu instid0(VALU_DEP_3) | instskip(NEXT) | instid1(VALU_DEP_2)
	v_add_f64 v[24:25], v[28:29], -v[24:25]
	v_fma_f64 v[28:29], v[26:27], v[30:31], s[70:71]
	s_delay_alu instid0(VALU_DEP_4) | instskip(NEXT) | instid1(VALU_DEP_3)
	v_fma_f64 v[30:31], v[45:46], s[46:47], v[43:44]
	v_add_f64 v[20:21], v[20:21], v[24:25]
	s_delay_alu instid0(VALU_DEP_3) | instskip(NEXT) | instid1(VALU_DEP_3)
	v_fma_f64 v[24:25], v[26:27], v[28:29], s[72:73]
	v_add_f64 v[28:29], v[49:50], v[30:31]
	s_delay_alu instid0(VALU_DEP_3) | instskip(NEXT) | instid1(VALU_DEP_3)
	v_add_f64 v[43:44], v[47:48], v[20:21]
	v_fma_f64 v[24:25], v[26:27], v[24:25], s[74:75]
	s_delay_alu instid0(VALU_DEP_3) | instskip(NEXT) | instid1(VALU_DEP_3)
	v_add_f64 v[49:50], v[28:29], -v[49:50]
	v_add_f64 v[45:46], v[28:29], v[43:44]
	v_add_f64 v[47:48], v[43:44], -v[47:48]
	s_delay_alu instid0(VALU_DEP_4) | instskip(NEXT) | instid1(VALU_DEP_4)
	v_fma_f64 v[24:25], v[26:27], v[24:25], s[76:77]
	v_add_f64 v[30:31], v[30:31], -v[49:50]
	s_delay_alu instid0(VALU_DEP_4) | instskip(NEXT) | instid1(VALU_DEP_4)
	v_add_f64 v[51:52], v[45:46], -v[28:29]
	v_add_f64 v[20:21], v[20:21], -v[47:48]
	s_delay_alu instid0(VALU_DEP_4) | instskip(NEXT) | instid1(VALU_DEP_3)
	v_fma_f64 v[24:25], v[26:27], v[24:25], s[78:79]
	v_add_f64 v[53:54], v[45:46], -v[51:52]
	v_add_f64 v[43:44], v[43:44], -v[51:52]
	s_delay_alu instid0(VALU_DEP_4) | instskip(NEXT) | instid1(VALU_DEP_4)
	v_add_f64 v[47:48], v[30:31], v[20:21]
	v_fma_f64 v[24:25], v[26:27], v[24:25], s[80:81]
	s_delay_alu instid0(VALU_DEP_4) | instskip(NEXT) | instid1(VALU_DEP_2)
	v_add_f64 v[28:29], v[28:29], -v[53:54]
	v_fma_f64 v[24:25], v[26:27], v[24:25], s[82:83]
	s_delay_alu instid0(VALU_DEP_2) | instskip(SKIP_1) | instid1(VALU_DEP_3)
	v_add_f64 v[28:29], v[43:44], v[28:29]
	v_add_f64 v[43:44], v[47:48], -v[30:31]
	v_fma_f64 v[24:25], v[26:27], v[24:25], s[84:85]
	s_delay_alu instid0(VALU_DEP_3) | instskip(NEXT) | instid1(VALU_DEP_3)
	v_add_f64 v[28:29], v[47:48], v[28:29]
	v_add_f64 v[47:48], v[47:48], -v[43:44]
	v_add_f64 v[20:21], v[20:21], -v[43:44]
	s_delay_alu instid0(VALU_DEP_4) | instskip(NEXT) | instid1(VALU_DEP_4)
	v_fma_f64 v[24:25], v[26:27], v[24:25], s[86:87]
	v_add_f64 v[49:50], v[45:46], v[28:29]
	s_delay_alu instid0(VALU_DEP_2) | instskip(SKIP_1) | instid1(VALU_DEP_3)
	v_mul_f64 v[24:25], v[26:27], v[24:25]
	v_add_f64 v[26:27], v[30:31], -v[47:48]
	v_add_f64 v[30:31], v[49:50], -v[45:46]
	s_delay_alu instid0(VALU_DEP_3) | instskip(NEXT) | instid1(VALU_DEP_3)
	v_fma_f64 v[22:23], v[22:23], v[24:25], v[22:23]
	v_add_f64 v[20:21], v[20:21], v[26:27]
	s_delay_alu instid0(VALU_DEP_3) | instskip(NEXT) | instid1(VALU_DEP_3)
	v_add_f64 v[24:25], v[28:29], -v[30:31]
	v_add_f64 v[26:27], -v[22:23], s[88:89]
	s_delay_alu instid0(VALU_DEP_2) | instskip(NEXT) | instid1(VALU_DEP_2)
	v_add_f64 v[20:21], v[20:21], v[24:25]
	v_cndmask_b32_e64 v23, v23, v27, s6
	s_delay_alu instid0(VALU_DEP_3) | instskip(SKIP_1) | instid1(VALU_DEP_2)
	v_cndmask_b32_e64 v22, v22, v26, s6
	v_cndmask_b32_e64 v26, 0x54442d18, v59, s7
	v_add_f64 v[24:25], -v[22:23], s[16:17]
	v_add_f64 v[20:21], v[49:50], v[20:21]
	v_and_b32_e32 v27, 0x54442d18, v17
	s_delay_alu instid0(VALU_DEP_3) | instskip(NEXT) | instid1(VALU_DEP_4)
	v_cndmask_b32_e64 v24, v22, v24, s7
	v_cndmask_b32_e64 v17, v23, v25, s7
	v_cmp_nge_f64_e64 s7, -1.0, v[18:19]
	v_dual_cndmask_b32 v20, v20, v18 :: v_dual_cndmask_b32 v21, v21, v19
	v_cmp_eq_f64_e32 vcc_lo, 0, v[7:8]
	s_delay_alu instid0(VALU_DEP_2) | instskip(SKIP_2) | instid1(VALU_DEP_3)
	v_mul_f64 v[21:22], v[20:21], 0.5
	v_dual_cndmask_b32 v23, v24, v27 :: v_dual_cndmask_b32 v6, v17, v6
	v_cmp_ngt_f64_e32 vcc_lo, -1.0, v[18:19]
	v_cndmask_b32_e64 v17, 0, v21, s7
	v_cmp_neq_f64_e64 s7, -1.0, v[18:19]
	v_cndmask_b32_e32 v22, 0x7ff80000, v22, vcc_lo
	s_and_b32 vcc_lo, s8, s9
	v_dual_cndmask_b32 v20, v6, v5 :: v_dual_cndmask_b32 v19, v23, v26
	s_delay_alu instid0(VALU_DEP_2)
	v_cndmask_b32_e64 v18, 0xfff00000, v22, s7
.LBB174_25:                             ;   in Loop: Header=BB174_4 Depth=1
	s_or_b32 exec_lo, exec_lo, s24
.LBB174_26:                             ;   in Loop: Header=BB174_4 Depth=1
	s_delay_alu instid0(SALU_CYCLE_1)
	s_or_b32 exec_lo, exec_lo, s23
.LBB174_27:                             ;   in Loop: Header=BB174_4 Depth=1
	s_and_not1_saveexec_b32 s9, s22
	s_cbranch_execz .LBB174_29
; %bb.28:                               ;   in Loop: Header=BB174_4 Depth=1
	v_max_f64 v[17:18], |v[7:8]|, |v[7:8]|
	v_max_f64 v[19:20], |v[5:6]|, |v[5:6]|
	v_cmp_class_f64_e64 s10, v[5:6], 0x204
	v_cmp_class_f64_e64 s11, v[7:8], 0x204
	s_mov_b32 s99, s27
	s_mov_b32 s16, s88
	v_cmp_eq_f64_e64 s8, 0, v[7:8]
	s_delay_alu instid0(VALU_DEP_4) | instskip(SKIP_1) | instid1(VALU_DEP_4)
	v_max_f64 v[21:22], v[19:20], v[17:18]
	v_min_f64 v[17:18], v[19:20], v[17:18]
	s_or_b32 s12, s11, s10
	s_delay_alu instid0(VALU_DEP_2) | instskip(NEXT) | instid1(VALU_DEP_1)
	v_frexp_exp_i32_f64_e32 v31, v[21:22]
	v_sub_nc_u32_e32 v25, 0, v31
	s_delay_alu instid0(VALU_DEP_1) | instskip(SKIP_1) | instid1(VALU_DEP_2)
	v_ldexp_f64 v[23:24], |v[7:8]|, v25
	v_ldexp_f64 v[25:26], |v[5:6]|, v25
	v_mul_f64 v[23:24], v[23:24], v[23:24]
	s_delay_alu instid0(VALU_DEP_1) | instskip(NEXT) | instid1(VALU_DEP_1)
	v_fma_f64 v[23:24], v[25:26], v[25:26], v[23:24]
	v_rsq_f64_e32 v[25:26], v[23:24]
	v_cmp_eq_f64_e32 vcc_lo, 0, v[23:24]
	s_waitcnt_depctr 0xfff
	v_mul_f64 v[27:28], v[23:24], v[25:26]
	v_mul_f64 v[25:26], v[25:26], 0.5
	s_delay_alu instid0(VALU_DEP_1) | instskip(NEXT) | instid1(VALU_DEP_1)
	v_fma_f64 v[29:30], -v[25:26], v[27:28], 0.5
	v_fma_f64 v[27:28], v[27:28], v[29:30], v[27:28]
	v_fma_f64 v[25:26], v[25:26], v[29:30], v[25:26]
	s_delay_alu instid0(VALU_DEP_2) | instskip(NEXT) | instid1(VALU_DEP_1)
	v_fma_f64 v[29:30], -v[27:28], v[27:28], v[23:24]
	v_fma_f64 v[25:26], v[29:30], v[25:26], v[27:28]
	s_delay_alu instid0(VALU_DEP_1) | instskip(SKIP_1) | instid1(VALU_DEP_2)
	v_dual_cndmask_b32 v24, v26, v24 :: v_dual_cndmask_b32 v23, v25, v23
	v_div_scale_f64 v[55:56], vcc_lo, v[17:18], v[21:22], v[17:18]
	v_ldexp_f64 v[23:24], v[23:24], v31
	s_delay_alu instid0(VALU_DEP_1) | instskip(NEXT) | instid1(VALU_DEP_2)
	v_cndmask_b32_e64 v26, v24, 0x7ff00000, s12
	v_cndmask_b32_e64 v25, v23, 0, s12
	s_delay_alu instid0(VALU_DEP_1) | instskip(SKIP_1) | instid1(VALU_DEP_2)
	v_frexp_mant_f64_e32 v[27:28], v[25:26]
	v_frexp_exp_i32_f64_e32 v5, v[25:26]
	v_cmp_gt_f64_e64 s7, s[26:27], v[27:28]
	s_delay_alu instid0(VALU_DEP_1) | instskip(NEXT) | instid1(VALU_DEP_1)
	v_cndmask_b32_e64 v34, 0x3ff00000, 2.0, s7
	v_mul_f64 v[27:28], v[27:28], v[33:34]
	s_delay_alu instid0(VALU_DEP_1) | instskip(SKIP_1) | instid1(VALU_DEP_2)
	v_add_f64 v[29:30], v[27:28], 1.0
	v_add_f64 v[45:46], v[27:28], -1.0
	v_rcp_f64_e32 v[31:32], v[29:30]
	v_add_f64 v[47:48], v[29:30], -1.0
	s_delay_alu instid0(VALU_DEP_1) | instskip(SKIP_2) | instid1(VALU_DEP_1)
	v_add_f64 v[27:28], v[27:28], -v[47:48]
	s_waitcnt_depctr 0xfff
	v_fma_f64 v[43:44], -v[29:30], v[31:32], 1.0
	v_fma_f64 v[31:32], v[43:44], v[31:32], v[31:32]
	s_delay_alu instid0(VALU_DEP_1) | instskip(NEXT) | instid1(VALU_DEP_1)
	v_fma_f64 v[43:44], -v[29:30], v[31:32], 1.0
	v_fma_f64 v[31:32], v[43:44], v[31:32], v[31:32]
	v_div_scale_f64 v[43:44], null, v[21:22], v[21:22], v[17:18]
	s_delay_alu instid0(VALU_DEP_2) | instskip(NEXT) | instid1(VALU_DEP_2)
	v_mul_f64 v[19:20], v[45:46], v[31:32]
	v_rcp_f64_e32 v[51:52], v[43:44]
	s_delay_alu instid0(VALU_DEP_1) | instskip(SKIP_3) | instid1(VALU_DEP_1)
	v_mul_f64 v[49:50], v[29:30], v[19:20]
	s_waitcnt_depctr 0xfff
	v_fma_f64 v[47:48], -v[43:44], v[51:52], 1.0
	v_fma_f64 v[29:30], v[19:20], v[29:30], -v[49:50]
	v_fma_f64 v[27:28], v[19:20], v[27:28], v[29:30]
	s_delay_alu instid0(VALU_DEP_3) | instskip(NEXT) | instid1(VALU_DEP_2)
	v_fma_f64 v[29:30], v[51:52], v[47:48], v[51:52]
	v_add_f64 v[47:48], v[49:50], v[27:28]
	s_delay_alu instid0(VALU_DEP_2) | instskip(NEXT) | instid1(VALU_DEP_2)
	v_fma_f64 v[51:52], -v[43:44], v[29:30], 1.0
	v_add_f64 v[53:54], v[45:46], -v[47:48]
	s_delay_alu instid0(VALU_DEP_2) | instskip(SKIP_1) | instid1(VALU_DEP_3)
	v_fma_f64 v[29:30], v[29:30], v[51:52], v[29:30]
	v_add_f64 v[49:50], v[47:48], -v[49:50]
	v_add_f64 v[45:46], v[45:46], -v[53:54]
	s_delay_alu instid0(VALU_DEP_3) | instskip(NEXT) | instid1(VALU_DEP_3)
	v_mul_f64 v[51:52], v[55:56], v[29:30]
	v_add_f64 v[27:28], v[49:50], -v[27:28]
	s_delay_alu instid0(VALU_DEP_3) | instskip(NEXT) | instid1(VALU_DEP_3)
	v_add_f64 v[45:46], v[45:46], -v[47:48]
	v_fma_f64 v[43:44], -v[43:44], v[51:52], v[55:56]
	s_delay_alu instid0(VALU_DEP_2) | instskip(NEXT) | instid1(VALU_DEP_2)
	v_add_f64 v[27:28], v[27:28], v[45:46]
	v_div_fmas_f64 v[29:30], v[43:44], v[29:30], v[51:52]
	v_subrev_co_ci_u32_e64 v5, vcc_lo, 0, v5, s7
	v_cmp_class_f64_e64 s7, v[23:24], 0x204
	v_cmp_gt_i32_e32 vcc_lo, 0, v6
	v_add_f64 v[27:28], v[53:54], v[27:28]
	v_div_fixup_f64 v[17:18], v[29:30], v[21:22], v[17:18]
	s_delay_alu instid0(VALU_DEP_2) | instskip(NEXT) | instid1(VALU_DEP_2)
	v_mul_f64 v[21:22], v[31:32], v[27:28]
	v_mul_f64 v[27:28], v[17:18], v[17:18]
	s_delay_alu instid0(VALU_DEP_2) | instskip(NEXT) | instid1(VALU_DEP_2)
	v_add_f64 v[29:30], v[19:20], v[21:22]
	v_fma_f64 v[31:32], v[27:28], s[50:51], s[48:49]
	s_delay_alu instid0(VALU_DEP_2) | instskip(NEXT) | instid1(VALU_DEP_2)
	v_mul_f64 v[43:44], v[29:30], v[29:30]
	v_fma_f64 v[31:32], v[27:28], v[31:32], s[52:53]
	v_add_f64 v[19:20], v[29:30], -v[19:20]
	s_delay_alu instid0(VALU_DEP_3) | instskip(NEXT) | instid1(VALU_DEP_3)
	v_fma_f64 v[45:46], v[43:44], s[30:31], s[28:29]
	v_fma_f64 v[31:32], v[27:28], v[31:32], s[54:55]
	v_mul_f64 v[47:48], v[29:30], v[43:44]
	s_delay_alu instid0(VALU_DEP_4) | instskip(NEXT) | instid1(VALU_DEP_4)
	v_add_f64 v[19:20], v[21:22], -v[19:20]
	v_fma_f64 v[45:46], v[43:44], v[45:46], s[36:37]
	s_delay_alu instid0(VALU_DEP_4) | instskip(NEXT) | instid1(VALU_DEP_3)
	v_fma_f64 v[31:32], v[27:28], v[31:32], s[56:57]
	v_ldexp_f64 v[19:20], v[19:20], 1
	s_delay_alu instid0(VALU_DEP_3) | instskip(NEXT) | instid1(VALU_DEP_3)
	v_fma_f64 v[45:46], v[43:44], v[45:46], s[38:39]
	v_fma_f64 v[31:32], v[27:28], v[31:32], s[58:59]
	s_delay_alu instid0(VALU_DEP_2) | instskip(NEXT) | instid1(VALU_DEP_2)
	v_fma_f64 v[45:46], v[43:44], v[45:46], s[40:41]
	v_fma_f64 v[31:32], v[27:28], v[31:32], s[60:61]
	s_delay_alu instid0(VALU_DEP_2) | instskip(NEXT) | instid1(VALU_DEP_2)
	;; [unrolled: 3-line block ×3, first 2 shown]
	v_fma_f64 v[43:44], v[43:44], v[45:46], s[98:99]
	v_fma_f64 v[31:32], v[27:28], v[31:32], s[64:65]
	v_ldexp_f64 v[45:46], v[29:30], 1
	s_delay_alu instid0(VALU_DEP_3) | instskip(NEXT) | instid1(VALU_DEP_3)
	v_mul_f64 v[43:44], v[47:48], v[43:44]
	v_fma_f64 v[31:32], v[27:28], v[31:32], s[66:67]
	v_cvt_f64_i32_e32 v[47:48], v5
	v_ashrrev_i32_e32 v5, 31, v6
	v_cndmask_b32_e32 v6, 0x54442d18, v59, vcc_lo
	v_add_f64 v[29:30], v[45:46], v[43:44]
	v_fma_f64 v[31:32], v[27:28], v[31:32], s[68:69]
	v_mul_f64 v[49:50], v[47:48], s[44:45]
	s_delay_alu instid0(VALU_DEP_3) | instskip(NEXT) | instid1(VALU_DEP_3)
	v_add_f64 v[21:22], v[29:30], -v[45:46]
	v_fma_f64 v[31:32], v[27:28], v[31:32], s[70:71]
	s_delay_alu instid0(VALU_DEP_3) | instskip(NEXT) | instid1(VALU_DEP_3)
	v_fma_f64 v[45:46], v[47:48], s[44:45], -v[49:50]
	v_add_f64 v[21:22], v[43:44], -v[21:22]
	s_delay_alu instid0(VALU_DEP_3) | instskip(NEXT) | instid1(VALU_DEP_3)
	v_fma_f64 v[31:32], v[27:28], v[31:32], s[72:73]
	v_fma_f64 v[43:44], v[47:48], s[46:47], v[45:46]
	s_delay_alu instid0(VALU_DEP_3) | instskip(NEXT) | instid1(VALU_DEP_3)
	v_add_f64 v[19:20], v[19:20], v[21:22]
	v_fma_f64 v[21:22], v[27:28], v[31:32], s[74:75]
	s_delay_alu instid0(VALU_DEP_3) | instskip(NEXT) | instid1(VALU_DEP_3)
	v_add_f64 v[31:32], v[49:50], v[43:44]
	v_add_f64 v[45:46], v[29:30], v[19:20]
	s_delay_alu instid0(VALU_DEP_3) | instskip(NEXT) | instid1(VALU_DEP_3)
	v_fma_f64 v[21:22], v[27:28], v[21:22], s[76:77]
	v_add_f64 v[49:50], v[31:32], -v[49:50]
	s_delay_alu instid0(VALU_DEP_3) | instskip(NEXT) | instid1(VALU_DEP_3)
	v_add_f64 v[47:48], v[31:32], v[45:46]
	v_fma_f64 v[21:22], v[27:28], v[21:22], s[78:79]
	v_add_f64 v[29:30], v[45:46], -v[29:30]
	s_delay_alu instid0(VALU_DEP_4) | instskip(NEXT) | instid1(VALU_DEP_4)
	v_add_f64 v[43:44], v[43:44], -v[49:50]
	v_add_f64 v[51:52], v[47:48], -v[31:32]
	s_delay_alu instid0(VALU_DEP_4) | instskip(NEXT) | instid1(VALU_DEP_4)
	v_fma_f64 v[21:22], v[27:28], v[21:22], s[80:81]
	v_add_f64 v[19:20], v[19:20], -v[29:30]
	s_delay_alu instid0(VALU_DEP_3) | instskip(NEXT) | instid1(VALU_DEP_3)
	v_add_f64 v[53:54], v[47:48], -v[51:52]
	v_fma_f64 v[21:22], v[27:28], v[21:22], s[82:83]
	v_add_f64 v[29:30], v[45:46], -v[51:52]
	s_delay_alu instid0(VALU_DEP_4) | instskip(NEXT) | instid1(VALU_DEP_4)
	v_add_f64 v[45:46], v[43:44], v[19:20]
	v_add_f64 v[31:32], v[31:32], -v[53:54]
	s_delay_alu instid0(VALU_DEP_4) | instskip(NEXT) | instid1(VALU_DEP_2)
	v_fma_f64 v[21:22], v[27:28], v[21:22], s[84:85]
	v_add_f64 v[29:30], v[29:30], v[31:32]
	s_delay_alu instid0(VALU_DEP_2) | instskip(SKIP_1) | instid1(VALU_DEP_3)
	v_fma_f64 v[21:22], v[27:28], v[21:22], s[86:87]
	v_add_f64 v[31:32], v[45:46], -v[43:44]
	v_add_f64 v[29:30], v[45:46], v[29:30]
	s_delay_alu instid0(VALU_DEP_3) | instskip(NEXT) | instid1(VALU_DEP_3)
	v_mul_f64 v[21:22], v[27:28], v[21:22]
	v_add_f64 v[27:28], v[45:46], -v[31:32]
	v_add_f64 v[19:20], v[19:20], -v[31:32]
	s_delay_alu instid0(VALU_DEP_4) | instskip(NEXT) | instid1(VALU_DEP_4)
	v_add_f64 v[45:46], v[47:48], v[29:30]
	v_fma_f64 v[17:18], v[17:18], v[21:22], v[17:18]
	s_delay_alu instid0(VALU_DEP_4) | instskip(NEXT) | instid1(VALU_DEP_3)
	v_add_f64 v[21:22], v[43:44], -v[27:28]
	v_add_f64 v[27:28], v[45:46], -v[47:48]
	s_delay_alu instid0(VALU_DEP_3) | instskip(NEXT) | instid1(VALU_DEP_3)
	v_add_f64 v[31:32], -v[17:18], s[88:89]
	v_add_f64 v[19:20], v[19:20], v[21:22]
	s_delay_alu instid0(VALU_DEP_3) | instskip(SKIP_1) | instid1(VALU_DEP_4)
	v_add_f64 v[21:22], v[29:30], -v[27:28]
	v_and_b32_e32 v27, 0x54442d18, v5
	v_cndmask_b32_e64 v18, v18, v32, s6
	v_cndmask_b32_e64 v17, v17, v31, s6
	v_and_b32_e32 v5, 0x400921fb, v5
	v_add_f64 v[19:20], v[19:20], v[21:22]
	s_delay_alu instid0(VALU_DEP_3) | instskip(NEXT) | instid1(VALU_DEP_2)
	v_add_f64 v[21:22], -v[17:18], s[16:17]
	v_add_f64 v[19:20], v[45:46], v[19:20]
	s_delay_alu instid0(VALU_DEP_2) | instskip(SKIP_2) | instid1(VALU_DEP_3)
	v_dual_cndmask_b32 v17, v17, v21 :: v_dual_cndmask_b32 v18, v18, v22
	v_cndmask_b32_e32 v21, 0x3fe921fb, v60, vcc_lo
	v_cmp_ngt_f64_e32 vcc_lo, 0, v[25:26]
	v_cndmask_b32_e64 v22, v17, v27, s8
	s_delay_alu instid0(VALU_DEP_4) | instskip(NEXT) | instid1(VALU_DEP_4)
	v_cndmask_b32_e64 v5, v18, v5, s8
	v_bfi_b32 v21, 0x7fffffff, v21, v8
	v_cndmask_b32_e64 v20, v20, v24, s7
	v_cndmask_b32_e64 v19, v19, v23, s7
	v_cmp_nge_f64_e64 s7, 0, v[25:26]
	s_delay_alu instid0(VALU_DEP_3) | instskip(NEXT) | instid1(VALU_DEP_3)
	v_cndmask_b32_e64 v20, v20, 0x7ff00000, s12
	v_cndmask_b32_e64 v17, v19, 0, s12
	s_delay_alu instid0(VALU_DEP_2) | instskip(SKIP_2) | instid1(VALU_DEP_3)
	v_cndmask_b32_e32 v18, 0x7ff80000, v20, vcc_lo
	s_and_b32 vcc_lo, s11, s10
	v_dual_cndmask_b32 v20, v5, v21 :: v_dual_cndmask_b32 v19, v22, v6
	v_cndmask_b32_e64 v17, 0, v17, s7
	v_cmp_neq_f64_e64 s7, 0, v[25:26]
	s_delay_alu instid0(VALU_DEP_1)
	v_cndmask_b32_e64 v18, 0xfff00000, v18, s7
.LBB174_29:                             ;   in Loop: Header=BB174_4 Depth=1
	s_or_b32 exec_lo, exec_lo, s9
                                        ; implicit-def: $vgpr21_vgpr22
.LBB174_30:                             ;   in Loop: Header=BB174_4 Depth=1
	s_and_not1_saveexec_b32 s9, s91
	s_cbranch_execz .LBB174_36
; %bb.31:                               ;   in Loop: Header=BB174_4 Depth=1
                                        ; implicit-def: $vgpr17_vgpr18
	s_mov_b32 s7, exec_lo
	v_cmpx_ngt_f64_e32 s[92:93], v[21:22]
	s_xor_b32 s10, exec_lo, s7
	s_cbranch_execz .LBB174_33
; %bb.32:                               ;   in Loop: Header=BB174_4 Depth=1
	v_mul_f64 v[17:18], v[21:22], v[21:22]
	s_mov_b32 s99, s27
	s_mov_b32 s16, s88
	v_cmp_eq_f64_e64 s8, 0, v[7:8]
	v_cmp_class_f64_e64 s11, v[7:8], 0x204
	v_cmp_class_f64_e64 s12, v[5:6], 0x204
	v_cmp_gt_i32_e64 s7, 0, v6
	v_add_f64 v[19:20], v[17:18], 1.0
	s_delay_alu instid0(VALU_DEP_1) | instskip(SKIP_2) | instid1(VALU_DEP_3)
	v_frexp_mant_f64_e32 v[21:22], v[19:20]
	v_frexp_exp_i32_f64_e32 v25, v[19:20]
	v_add_f64 v[23:24], v[19:20], -1.0
	v_cmp_gt_f64_e32 vcc_lo, s[26:27], v[21:22]
	s_delay_alu instid0(VALU_DEP_2) | instskip(SKIP_2) | instid1(VALU_DEP_3)
	v_add_f64 v[21:22], v[23:24], -v[19:20]
	v_add_f64 v[23:24], v[17:18], -v[23:24]
	v_subrev_co_ci_u32_e32 v34, vcc_lo, 0, v25, vcc_lo
	v_add_f64 v[21:22], v[21:22], 1.0
	s_delay_alu instid0(VALU_DEP_2) | instskip(NEXT) | instid1(VALU_DEP_1)
	v_sub_nc_u32_e32 v27, 0, v34
	v_ldexp_f64 v[19:20], v[19:20], v27
	s_delay_alu instid0(VALU_DEP_3) | instskip(NEXT) | instid1(VALU_DEP_2)
	v_add_f64 v[21:22], v[23:24], v[21:22]
	v_add_f64 v[25:26], v[19:20], 1.0
	v_add_f64 v[31:32], v[19:20], -1.0
	s_delay_alu instid0(VALU_DEP_3) | instskip(NEXT) | instid1(VALU_DEP_3)
	v_ldexp_f64 v[21:22], v[21:22], v27
	v_add_f64 v[23:24], v[25:26], -1.0
	s_delay_alu instid0(VALU_DEP_3) | instskip(NEXT) | instid1(VALU_DEP_2)
	v_add_f64 v[43:44], v[31:32], 1.0
	v_add_f64 v[23:24], v[19:20], -v[23:24]
	s_delay_alu instid0(VALU_DEP_2) | instskip(NEXT) | instid1(VALU_DEP_2)
	v_add_f64 v[19:20], v[19:20], -v[43:44]
	v_add_f64 v[23:24], v[21:22], v[23:24]
	s_delay_alu instid0(VALU_DEP_2) | instskip(NEXT) | instid1(VALU_DEP_2)
	v_add_f64 v[19:20], v[21:22], v[19:20]
	v_add_f64 v[27:28], v[25:26], v[23:24]
	s_delay_alu instid0(VALU_DEP_2) | instskip(NEXT) | instid1(VALU_DEP_2)
	v_add_f64 v[43:44], v[31:32], v[19:20]
	v_rcp_f64_e32 v[29:30], v[27:28]
	v_add_f64 v[25:26], v[25:26], -v[27:28]
	s_delay_alu instid0(VALU_DEP_2) | instskip(NEXT) | instid1(VALU_DEP_2)
	v_add_f64 v[31:32], v[31:32], -v[43:44]
	v_add_f64 v[23:24], v[23:24], v[25:26]
	s_waitcnt_depctr 0xfff
	v_fma_f64 v[45:46], -v[27:28], v[29:30], 1.0
	v_add_f64 v[19:20], v[19:20], v[31:32]
	s_delay_alu instid0(VALU_DEP_2) | instskip(NEXT) | instid1(VALU_DEP_1)
	v_fma_f64 v[29:30], v[45:46], v[29:30], v[29:30]
	v_fma_f64 v[21:22], -v[27:28], v[29:30], 1.0
	s_delay_alu instid0(VALU_DEP_1) | instskip(NEXT) | instid1(VALU_DEP_1)
	v_fma_f64 v[21:22], v[21:22], v[29:30], v[29:30]
	v_mul_f64 v[29:30], v[43:44], v[21:22]
	s_delay_alu instid0(VALU_DEP_1) | instskip(NEXT) | instid1(VALU_DEP_1)
	v_mul_f64 v[45:46], v[27:28], v[29:30]
	v_fma_f64 v[25:26], v[29:30], v[27:28], -v[45:46]
	s_delay_alu instid0(VALU_DEP_1) | instskip(NEXT) | instid1(VALU_DEP_1)
	v_fma_f64 v[25:26], v[29:30], v[23:24], v[25:26]
	v_add_f64 v[47:48], v[45:46], v[25:26]
	s_delay_alu instid0(VALU_DEP_1) | instskip(SKIP_2) | instid1(VALU_DEP_3)
	v_add_f64 v[49:50], v[43:44], -v[47:48]
	v_add_f64 v[31:32], v[47:48], -v[45:46]
	v_max_f64 v[45:46], |v[7:8]|, |v[7:8]|
	v_add_f64 v[43:44], v[43:44], -v[49:50]
	s_delay_alu instid0(VALU_DEP_3) | instskip(NEXT) | instid1(VALU_DEP_2)
	v_add_f64 v[25:26], v[31:32], -v[25:26]
	v_add_f64 v[43:44], v[43:44], -v[47:48]
	v_max_f64 v[47:48], |v[5:6]|, |v[5:6]|
	s_delay_alu instid0(VALU_DEP_2) | instskip(NEXT) | instid1(VALU_DEP_2)
	v_add_f64 v[19:20], v[19:20], v[43:44]
	v_max_f64 v[51:52], v[47:48], v[45:46]
	v_min_f64 v[45:46], v[47:48], v[45:46]
	s_delay_alu instid0(VALU_DEP_3) | instskip(NEXT) | instid1(VALU_DEP_1)
	v_add_f64 v[19:20], v[25:26], v[19:20]
	v_add_f64 v[25:26], v[49:50], v[19:20]
	s_delay_alu instid0(VALU_DEP_1) | instskip(SKIP_1) | instid1(VALU_DEP_2)
	v_mul_f64 v[31:32], v[21:22], v[25:26]
	v_add_f64 v[49:50], v[49:50], -v[25:26]
	v_mul_f64 v[43:44], v[27:28], v[31:32]
	s_delay_alu instid0(VALU_DEP_2) | instskip(NEXT) | instid1(VALU_DEP_2)
	v_add_f64 v[19:20], v[19:20], v[49:50]
	v_fma_f64 v[27:28], v[31:32], v[27:28], -v[43:44]
	s_delay_alu instid0(VALU_DEP_1) | instskip(SKIP_1) | instid1(VALU_DEP_2)
	v_fma_f64 v[23:24], v[31:32], v[23:24], v[27:28]
	v_div_scale_f64 v[27:28], null, v[51:52], v[51:52], v[45:46]
	v_add_f64 v[47:48], v[43:44], v[23:24]
	s_delay_alu instid0(VALU_DEP_2) | instskip(NEXT) | instid1(VALU_DEP_1)
	v_rcp_f64_e32 v[53:54], v[27:28]
	v_add_f64 v[55:56], v[25:26], -v[47:48]
	v_add_f64 v[43:44], v[47:48], -v[43:44]
	s_waitcnt_depctr 0xfff
	v_fma_f64 v[57:58], -v[27:28], v[53:54], 1.0
	v_add_f64 v[25:26], v[25:26], -v[55:56]
	v_add_f64 v[23:24], v[43:44], -v[23:24]
	s_delay_alu instid0(VALU_DEP_3) | instskip(NEXT) | instid1(VALU_DEP_3)
	v_fma_f64 v[53:54], v[53:54], v[57:58], v[53:54]
	v_add_f64 v[25:26], v[25:26], -v[47:48]
	s_delay_alu instid0(VALU_DEP_2) | instskip(NEXT) | instid1(VALU_DEP_2)
	v_fma_f64 v[47:48], -v[27:28], v[53:54], 1.0
	v_add_f64 v[19:20], v[19:20], v[25:26]
	v_div_scale_f64 v[25:26], vcc_lo, v[45:46], v[51:52], v[45:46]
	s_delay_alu instid0(VALU_DEP_3) | instskip(SKIP_1) | instid1(VALU_DEP_4)
	v_fma_f64 v[43:44], v[53:54], v[47:48], v[53:54]
	v_add_f64 v[47:48], v[29:30], v[31:32]
	v_add_f64 v[19:20], v[23:24], v[19:20]
	s_delay_alu instid0(VALU_DEP_3) | instskip(NEXT) | instid1(VALU_DEP_3)
	v_mul_f64 v[23:24], v[25:26], v[43:44]
	v_add_f64 v[29:30], v[47:48], -v[29:30]
	s_delay_alu instid0(VALU_DEP_3) | instskip(NEXT) | instid1(VALU_DEP_3)
	v_add_f64 v[19:20], v[55:56], v[19:20]
	v_fma_f64 v[25:26], -v[27:28], v[23:24], v[25:26]
	s_delay_alu instid0(VALU_DEP_3) | instskip(NEXT) | instid1(VALU_DEP_3)
	v_add_f64 v[27:28], v[31:32], -v[29:30]
	v_mul_f64 v[19:20], v[21:22], v[19:20]
	s_delay_alu instid0(VALU_DEP_3) | instskip(SKIP_1) | instid1(VALU_DEP_3)
	v_div_fmas_f64 v[21:22], v[25:26], v[43:44], v[23:24]
	v_cmp_eq_f64_e32 vcc_lo, 0x7ff00000, v[17:18]
	v_add_f64 v[19:20], v[27:28], v[19:20]
	s_delay_alu instid0(VALU_DEP_3) | instskip(NEXT) | instid1(VALU_DEP_2)
	v_div_fixup_f64 v[21:22], v[21:22], v[51:52], v[45:46]
	v_add_f64 v[23:24], v[47:48], v[19:20]
	s_delay_alu instid0(VALU_DEP_2) | instskip(NEXT) | instid1(VALU_DEP_2)
	v_mul_f64 v[25:26], v[21:22], v[21:22]
	v_mul_f64 v[27:28], v[23:24], v[23:24]
	s_delay_alu instid0(VALU_DEP_2) | instskip(NEXT) | instid1(VALU_DEP_2)
	v_fma_f64 v[29:30], v[25:26], s[50:51], s[48:49]
	v_fma_f64 v[31:32], v[27:28], s[30:31], s[28:29]
	v_mul_f64 v[43:44], v[23:24], v[27:28]
	s_delay_alu instid0(VALU_DEP_3) | instskip(NEXT) | instid1(VALU_DEP_3)
	v_fma_f64 v[29:30], v[25:26], v[29:30], s[52:53]
	v_fma_f64 v[31:32], v[27:28], v[31:32], s[36:37]
	s_delay_alu instid0(VALU_DEP_2) | instskip(NEXT) | instid1(VALU_DEP_2)
	v_fma_f64 v[29:30], v[25:26], v[29:30], s[54:55]
	v_fma_f64 v[31:32], v[27:28], v[31:32], s[38:39]
	s_delay_alu instid0(VALU_DEP_2) | instskip(NEXT) | instid1(VALU_DEP_2)
	;; [unrolled: 3-line block ×4, first 2 shown]
	v_fma_f64 v[29:30], v[25:26], v[29:30], s[60:61]
	v_fma_f64 v[27:28], v[27:28], v[31:32], s[98:99]
	v_ldexp_f64 v[31:32], v[23:24], 1
	v_add_f64 v[23:24], v[23:24], -v[47:48]
	s_delay_alu instid0(VALU_DEP_4) | instskip(NEXT) | instid1(VALU_DEP_4)
	v_fma_f64 v[29:30], v[25:26], v[29:30], s[62:63]
	v_mul_f64 v[27:28], v[43:44], v[27:28]
	v_cvt_f64_i32_e32 v[43:44], v34
	s_delay_alu instid0(VALU_DEP_4) | instskip(NEXT) | instid1(VALU_DEP_4)
	v_add_f64 v[19:20], v[19:20], -v[23:24]
	v_fma_f64 v[29:30], v[25:26], v[29:30], s[64:65]
	s_delay_alu instid0(VALU_DEP_4) | instskip(NEXT) | instid1(VALU_DEP_4)
	v_add_f64 v[45:46], v[31:32], v[27:28]
	v_mul_f64 v[47:48], v[43:44], s[44:45]
	s_delay_alu instid0(VALU_DEP_4) | instskip(NEXT) | instid1(VALU_DEP_4)
	v_ldexp_f64 v[19:20], v[19:20], 1
	v_fma_f64 v[29:30], v[25:26], v[29:30], s[66:67]
	s_delay_alu instid0(VALU_DEP_4) | instskip(NEXT) | instid1(VALU_DEP_4)
	v_add_f64 v[23:24], v[45:46], -v[31:32]
	v_fma_f64 v[31:32], v[43:44], s[44:45], -v[47:48]
	s_delay_alu instid0(VALU_DEP_3) | instskip(NEXT) | instid1(VALU_DEP_3)
	v_fma_f64 v[29:30], v[25:26], v[29:30], s[68:69]
	v_add_f64 v[23:24], v[27:28], -v[23:24]
	s_delay_alu instid0(VALU_DEP_2) | instskip(NEXT) | instid1(VALU_DEP_4)
	v_fma_f64 v[27:28], v[25:26], v[29:30], s[70:71]
	v_fma_f64 v[29:30], v[43:44], s[46:47], v[31:32]
	s_delay_alu instid0(VALU_DEP_3) | instskip(NEXT) | instid1(VALU_DEP_3)
	v_add_f64 v[19:20], v[19:20], v[23:24]
	v_fma_f64 v[23:24], v[25:26], v[27:28], s[72:73]
	s_delay_alu instid0(VALU_DEP_3) | instskip(NEXT) | instid1(VALU_DEP_3)
	v_add_f64 v[27:28], v[47:48], v[29:30]
	v_add_f64 v[31:32], v[45:46], v[19:20]
	s_delay_alu instid0(VALU_DEP_3) | instskip(NEXT) | instid1(VALU_DEP_3)
	v_fma_f64 v[23:24], v[25:26], v[23:24], s[74:75]
	v_add_f64 v[47:48], v[27:28], -v[47:48]
	s_delay_alu instid0(VALU_DEP_3) | instskip(SKIP_1) | instid1(VALU_DEP_4)
	v_add_f64 v[43:44], v[27:28], v[31:32]
	v_add_f64 v[45:46], v[31:32], -v[45:46]
	v_fma_f64 v[23:24], v[25:26], v[23:24], s[76:77]
	s_delay_alu instid0(VALU_DEP_4) | instskip(NEXT) | instid1(VALU_DEP_4)
	v_add_f64 v[29:30], v[29:30], -v[47:48]
	v_add_f64 v[49:50], v[43:44], -v[27:28]
	s_delay_alu instid0(VALU_DEP_4) | instskip(NEXT) | instid1(VALU_DEP_4)
	v_add_f64 v[19:20], v[19:20], -v[45:46]
	v_fma_f64 v[23:24], v[25:26], v[23:24], s[78:79]
	s_delay_alu instid0(VALU_DEP_3) | instskip(SKIP_1) | instid1(VALU_DEP_4)
	v_add_f64 v[51:52], v[43:44], -v[49:50]
	v_add_f64 v[31:32], v[31:32], -v[49:50]
	v_add_f64 v[45:46], v[29:30], v[19:20]
	s_delay_alu instid0(VALU_DEP_4) | instskip(NEXT) | instid1(VALU_DEP_4)
	v_fma_f64 v[23:24], v[25:26], v[23:24], s[80:81]
	v_add_f64 v[27:28], v[27:28], -v[51:52]
	s_delay_alu instid0(VALU_DEP_2) | instskip(NEXT) | instid1(VALU_DEP_2)
	v_fma_f64 v[23:24], v[25:26], v[23:24], s[82:83]
	v_add_f64 v[27:28], v[31:32], v[27:28]
	v_add_f64 v[31:32], v[45:46], -v[29:30]
	s_delay_alu instid0(VALU_DEP_3) | instskip(NEXT) | instid1(VALU_DEP_3)
	v_fma_f64 v[23:24], v[25:26], v[23:24], s[84:85]
	v_add_f64 v[27:28], v[45:46], v[27:28]
	s_delay_alu instid0(VALU_DEP_3) | instskip(SKIP_1) | instid1(VALU_DEP_4)
	v_add_f64 v[45:46], v[45:46], -v[31:32]
	v_add_f64 v[19:20], v[19:20], -v[31:32]
	v_fma_f64 v[23:24], v[25:26], v[23:24], s[86:87]
	s_delay_alu instid0(VALU_DEP_4) | instskip(NEXT) | instid1(VALU_DEP_2)
	v_add_f64 v[47:48], v[43:44], v[27:28]
	v_mul_f64 v[23:24], v[25:26], v[23:24]
	v_add_f64 v[25:26], v[29:30], -v[45:46]
	s_delay_alu instid0(VALU_DEP_3) | instskip(NEXT) | instid1(VALU_DEP_3)
	v_add_f64 v[29:30], v[47:48], -v[43:44]
	v_fma_f64 v[21:22], v[21:22], v[23:24], v[21:22]
	s_delay_alu instid0(VALU_DEP_3) | instskip(NEXT) | instid1(VALU_DEP_3)
	v_add_f64 v[19:20], v[19:20], v[25:26]
	v_add_f64 v[23:24], v[27:28], -v[29:30]
	s_delay_alu instid0(VALU_DEP_3) | instskip(NEXT) | instid1(VALU_DEP_2)
	v_add_f64 v[25:26], -v[21:22], s[88:89]
	v_add_f64 v[19:20], v[19:20], v[23:24]
	s_delay_alu instid0(VALU_DEP_2) | instskip(NEXT) | instid1(VALU_DEP_3)
	v_cndmask_b32_e64 v22, v22, v26, s6
	v_cndmask_b32_e64 v21, v21, v25, s6
	v_ashrrev_i32_e32 v25, 31, v6
	v_cndmask_b32_e64 v26, 0x54442d18, v59, s7
	s_delay_alu instid0(VALU_DEP_3) | instskip(SKIP_1) | instid1(VALU_DEP_4)
	v_add_f64 v[23:24], -v[21:22], s[16:17]
	v_add_f64 v[19:20], v[47:48], v[19:20]
	v_and_b32_e32 v27, 0x54442d18, v25
	s_delay_alu instid0(VALU_DEP_3) | instskip(NEXT) | instid1(VALU_DEP_3)
	v_cndmask_b32_e64 v21, v21, v23, s7
	v_dual_cndmask_b32 v6, v20, v18 :: v_dual_cndmask_b32 v5, v19, v17
	v_cndmask_b32_e64 v19, v22, v24, s7
	s_delay_alu instid0(VALU_DEP_3) | instskip(SKIP_1) | instid1(VALU_DEP_3)
	v_cndmask_b32_e64 v21, v21, v27, s8
	s_and_b32 vcc_lo, s11, s12
	v_mul_f64 v[17:18], v[5:6], 0.5
	v_cndmask_b32_e64 v5, 0x3fe921fb, v60, s7
	v_and_b32_e32 v6, 0x400921fb, v25
	s_delay_alu instid0(VALU_DEP_2) | instskip(NEXT) | instid1(VALU_DEP_2)
	v_bfi_b32 v5, 0x7fffffff, v5, v8
	v_cndmask_b32_e64 v6, v19, v6, s8
	v_cndmask_b32_e32 v19, v21, v26, vcc_lo
                                        ; implicit-def: $vgpr21_vgpr22
	s_delay_alu instid0(VALU_DEP_2)
	v_cndmask_b32_e32 v20, v6, v5, vcc_lo
.LBB174_33:                             ;   in Loop: Header=BB174_4 Depth=1
	s_and_not1_saveexec_b32 s8, s10
	s_cbranch_execz .LBB174_35
; %bb.34:                               ;   in Loop: Header=BB174_4 Depth=1
	v_max_f64 v[17:18], |v[7:8]|, |v[7:8]|
	v_max_f64 v[19:20], |v[5:6]|, |v[5:6]|
	s_mov_b32 s16, s88
	v_cmp_eq_f64_e64 s7, 0, v[7:8]
	v_cmp_class_f64_e64 s10, v[7:8], 0x204
	v_cmp_class_f64_e64 s11, v[5:6], 0x204
	s_delay_alu instid0(VALU_DEP_4) | instskip(SKIP_1) | instid1(VALU_DEP_1)
	v_max_f64 v[23:24], v[19:20], v[17:18]
	v_min_f64 v[17:18], v[19:20], v[17:18]
	v_div_scale_f64 v[19:20], null, v[23:24], v[23:24], v[17:18]
	v_div_scale_f64 v[29:30], vcc_lo, v[17:18], v[23:24], v[17:18]
	s_delay_alu instid0(VALU_DEP_2) | instskip(SKIP_2) | instid1(VALU_DEP_1)
	v_rcp_f64_e32 v[25:26], v[19:20]
	s_waitcnt_depctr 0xfff
	v_fma_f64 v[27:28], -v[19:20], v[25:26], 1.0
	v_fma_f64 v[25:26], v[25:26], v[27:28], v[25:26]
	s_delay_alu instid0(VALU_DEP_1) | instskip(NEXT) | instid1(VALU_DEP_1)
	v_fma_f64 v[27:28], -v[19:20], v[25:26], 1.0
	v_fma_f64 v[25:26], v[25:26], v[27:28], v[25:26]
	s_delay_alu instid0(VALU_DEP_1) | instskip(NEXT) | instid1(VALU_DEP_1)
	v_mul_f64 v[27:28], v[29:30], v[25:26]
	v_fma_f64 v[19:20], -v[19:20], v[27:28], v[29:30]
	s_delay_alu instid0(VALU_DEP_1) | instskip(SKIP_2) | instid1(VALU_DEP_2)
	v_div_fmas_f64 v[19:20], v[19:20], v[25:26], v[27:28]
	v_ashrrev_i32_e32 v25, 31, v6
	v_cmp_gt_i32_e32 vcc_lo, 0, v6
	v_dual_cndmask_b32 v26, 0x54442d18, v59 :: v_dual_and_b32 v27, 0x54442d18, v25
	v_cndmask_b32_e32 v5, 0x3fe921fb, v60, vcc_lo
	v_and_b32_e32 v6, 0x400921fb, v25
	s_delay_alu instid0(VALU_DEP_2) | instskip(SKIP_1) | instid1(VALU_DEP_1)
	v_bfi_b32 v5, 0x7fffffff, v5, v8
	v_div_fixup_f64 v[17:18], v[19:20], v[23:24], v[17:18]
	v_mul_f64 v[19:20], v[17:18], v[17:18]
	s_delay_alu instid0(VALU_DEP_1) | instskip(NEXT) | instid1(VALU_DEP_1)
	v_fma_f64 v[23:24], v[19:20], s[50:51], s[48:49]
	v_fma_f64 v[23:24], v[19:20], v[23:24], s[52:53]
	s_delay_alu instid0(VALU_DEP_1) | instskip(NEXT) | instid1(VALU_DEP_1)
	v_fma_f64 v[23:24], v[19:20], v[23:24], s[54:55]
	v_fma_f64 v[23:24], v[19:20], v[23:24], s[56:57]
	;; [unrolled: 3-line block ×9, first 2 shown]
	s_delay_alu instid0(VALU_DEP_1) | instskip(NEXT) | instid1(VALU_DEP_1)
	v_fma_f64 v[23:24], v[19:20], v[23:24], s[86:87]
	v_mul_f64 v[19:20], v[19:20], v[23:24]
	s_delay_alu instid0(VALU_DEP_1) | instskip(NEXT) | instid1(VALU_DEP_1)
	v_fma_f64 v[17:18], v[17:18], v[19:20], v[17:18]
	v_add_f64 v[19:20], -v[17:18], s[88:89]
	s_delay_alu instid0(VALU_DEP_1) | instskip(NEXT) | instid1(VALU_DEP_2)
	v_cndmask_b32_e64 v20, v18, v20, s6
	v_cndmask_b32_e64 v19, v17, v19, s6
	v_mul_f64 v[17:18], v[21:22], 0.5
	s_delay_alu instid0(VALU_DEP_2) | instskip(NEXT) | instid1(VALU_DEP_2)
	v_add_f64 v[23:24], -v[19:20], s[16:17]
	v_mul_f64 v[17:18], v[21:22], v[17:18]
	s_delay_alu instid0(VALU_DEP_2) | instskip(NEXT) | instid1(VALU_DEP_1)
	v_cndmask_b32_e32 v19, v19, v23, vcc_lo
	v_cndmask_b32_e64 v19, v19, v27, s7
	s_delay_alu instid0(VALU_DEP_4) | instskip(SKIP_1) | instid1(VALU_DEP_2)
	v_cndmask_b32_e32 v20, v20, v24, vcc_lo
	s_and_b32 vcc_lo, s10, s11
	v_cndmask_b32_e32 v19, v19, v26, vcc_lo
	s_delay_alu instid0(VALU_DEP_2) | instskip(NEXT) | instid1(VALU_DEP_1)
	v_cndmask_b32_e64 v6, v20, v6, s7
	v_cndmask_b32_e32 v20, v6, v5, vcc_lo
.LBB174_35:                             ;   in Loop: Header=BB174_4 Depth=1
	s_or_b32 exec_lo, exec_lo, s8
.LBB174_36:                             ;   in Loop: Header=BB174_4 Depth=1
	s_delay_alu instid0(SALU_CYCLE_1)
	s_or_b32 exec_lo, exec_lo, s9
.LBB174_37:                             ;   in Loop: Header=BB174_4 Depth=1
	s_and_not1_saveexec_b32 s9, s90
	s_cbranch_execz .LBB174_39
; %bb.38:                               ;   in Loop: Header=BB174_4 Depth=1
	v_div_scale_f64 v[17:18], null, s[94:95], s[94:95], v[5:6]
	v_div_scale_f64 v[19:20], null, s[94:95], s[94:95], v[7:8]
	v_div_scale_f64 v[29:30], vcc_lo, v[5:6], s[94:95], v[5:6]
	v_max_f64 v[45:46], |v[5:6]|, |v[5:6]|
	s_mov_b32 s99, s27
	s_mov_b32 s16, s88
	s_delay_alu instid0(VALU_DEP_4) | instskip(NEXT) | instid1(VALU_DEP_3)
	v_rcp_f64_e32 v[21:22], v[17:18]
	v_rcp_f64_e32 v[23:24], v[19:20]
	s_waitcnt_depctr 0xfff
	v_fma_f64 v[25:26], -v[17:18], v[21:22], 1.0
	v_fma_f64 v[27:28], -v[19:20], v[23:24], 1.0
	s_delay_alu instid0(VALU_DEP_2) | instskip(NEXT) | instid1(VALU_DEP_2)
	v_fma_f64 v[21:22], v[21:22], v[25:26], v[21:22]
	v_fma_f64 v[23:24], v[23:24], v[27:28], v[23:24]
	s_delay_alu instid0(VALU_DEP_2) | instskip(NEXT) | instid1(VALU_DEP_2)
	v_fma_f64 v[25:26], -v[17:18], v[21:22], 1.0
	v_fma_f64 v[27:28], -v[19:20], v[23:24], 1.0
	s_delay_alu instid0(VALU_DEP_2) | instskip(SKIP_1) | instid1(VALU_DEP_3)
	v_fma_f64 v[21:22], v[21:22], v[25:26], v[21:22]
	v_div_scale_f64 v[25:26], s7, v[7:8], s[94:95], v[7:8]
	v_fma_f64 v[23:24], v[23:24], v[27:28], v[23:24]
	s_delay_alu instid0(VALU_DEP_3) | instskip(NEXT) | instid1(VALU_DEP_2)
	v_mul_f64 v[27:28], v[29:30], v[21:22]
	v_mul_f64 v[31:32], v[25:26], v[23:24]
	s_delay_alu instid0(VALU_DEP_2) | instskip(NEXT) | instid1(VALU_DEP_2)
	v_fma_f64 v[17:18], -v[17:18], v[27:28], v[29:30]
	v_fma_f64 v[19:20], -v[19:20], v[31:32], v[25:26]
	s_delay_alu instid0(VALU_DEP_2) | instskip(SKIP_1) | instid1(VALU_DEP_2)
	v_div_fmas_f64 v[17:18], v[17:18], v[21:22], v[27:28]
	s_mov_b32 vcc_lo, s7
	v_div_fmas_f64 v[19:20], v[19:20], v[23:24], v[31:32]
	s_delay_alu instid0(VALU_DEP_2) | instskip(NEXT) | instid1(VALU_DEP_2)
	v_div_fixup_f64 v[17:18], v[17:18], s[94:95], v[5:6]
	v_div_fixup_f64 v[19:20], v[19:20], s[94:95], v[7:8]
	s_delay_alu instid0(VALU_DEP_2) | instskip(NEXT) | instid1(VALU_DEP_2)
	v_cmp_class_f64_e64 s8, v[17:18], 0x204
	v_max_f64 v[21:22], |v[17:18]|, |v[19:20]|
	v_cmp_o_f64_e64 s7, v[17:18], v[19:20]
	v_cmp_class_f64_e64 s10, v[19:20], 0x204
	s_delay_alu instid0(VALU_DEP_3) | instskip(NEXT) | instid1(VALU_DEP_2)
	v_frexp_exp_i32_f64_e32 v29, v[21:22]
	s_or_b32 s10, s10, s8
	s_delay_alu instid0(VALU_DEP_1) | instskip(NEXT) | instid1(VALU_DEP_1)
	v_sub_nc_u32_e32 v23, 0, v29
	v_ldexp_f64 v[21:22], |v[19:20]|, v23
	v_ldexp_f64 v[23:24], |v[17:18]|, v23
	s_delay_alu instid0(VALU_DEP_2) | instskip(NEXT) | instid1(VALU_DEP_1)
	v_mul_f64 v[21:22], v[21:22], v[21:22]
	v_fma_f64 v[21:22], v[23:24], v[23:24], v[21:22]
	s_delay_alu instid0(VALU_DEP_1) | instskip(SKIP_4) | instid1(VALU_DEP_1)
	v_rsq_f64_e32 v[23:24], v[21:22]
	v_cmp_eq_f64_e32 vcc_lo, 0, v[21:22]
	s_waitcnt_depctr 0xfff
	v_mul_f64 v[25:26], v[21:22], v[23:24]
	v_mul_f64 v[23:24], v[23:24], 0.5
	v_fma_f64 v[27:28], -v[23:24], v[25:26], 0.5
	s_delay_alu instid0(VALU_DEP_1) | instskip(SKIP_1) | instid1(VALU_DEP_2)
	v_fma_f64 v[25:26], v[25:26], v[27:28], v[25:26]
	v_fma_f64 v[23:24], v[23:24], v[27:28], v[23:24]
	v_fma_f64 v[27:28], -v[25:26], v[25:26], v[21:22]
	s_delay_alu instid0(VALU_DEP_1) | instskip(NEXT) | instid1(VALU_DEP_1)
	v_fma_f64 v[23:24], v[27:28], v[23:24], v[25:26]
	v_dual_cndmask_b32 v22, v24, v22 :: v_dual_cndmask_b32 v21, v23, v21
	s_delay_alu instid0(VALU_DEP_1) | instskip(NEXT) | instid1(VALU_DEP_1)
	v_ldexp_f64 v[21:22], v[21:22], v29
	v_cndmask_b32_e64 v17, 0, v21, s7
	s_delay_alu instid0(VALU_DEP_2) | instskip(SKIP_1) | instid1(VALU_DEP_3)
	v_cndmask_b32_e64 v57, 0x7ff80000, v22, s7
	v_and_b32_e32 v22, 0x7fffffff, v22
	v_cndmask_b32_e64 v18, v17, 0, s10
	s_delay_alu instid0(VALU_DEP_3) | instskip(NEXT) | instid1(VALU_DEP_1)
	v_cndmask_b32_e64 v19, v57, 0x7ff00000, s10
	v_frexp_mant_f64_e32 v[23:24], v[18:19]
	v_frexp_exp_i32_f64_e32 v20, v[18:19]
	s_delay_alu instid0(VALU_DEP_2) | instskip(NEXT) | instid1(VALU_DEP_1)
	v_cmp_gt_f64_e64 s8, s[26:27], v[23:24]
	v_cndmask_b32_e64 v34, 0x3ff00000, 2.0, s8
	s_delay_alu instid0(VALU_DEP_1) | instskip(NEXT) | instid1(VALU_DEP_1)
	v_mul_f64 v[23:24], v[23:24], v[33:34]
	v_add_f64 v[25:26], v[23:24], 1.0
	v_add_f64 v[31:32], v[23:24], -1.0
	s_delay_alu instid0(VALU_DEP_2) | instskip(SKIP_1) | instid1(VALU_DEP_1)
	v_rcp_f64_e32 v[27:28], v[25:26]
	v_add_f64 v[47:48], v[25:26], -1.0
	v_add_f64 v[23:24], v[23:24], -v[47:48]
	s_waitcnt_depctr 0xfff
	v_fma_f64 v[29:30], -v[25:26], v[27:28], 1.0
	s_delay_alu instid0(VALU_DEP_1) | instskip(NEXT) | instid1(VALU_DEP_1)
	v_fma_f64 v[27:28], v[29:30], v[27:28], v[27:28]
	v_fma_f64 v[29:30], -v[25:26], v[27:28], 1.0
	s_delay_alu instid0(VALU_DEP_1) | instskip(SKIP_1) | instid1(VALU_DEP_2)
	v_fma_f64 v[27:28], v[29:30], v[27:28], v[27:28]
	v_max_f64 v[29:30], |v[7:8]|, |v[7:8]|
	v_mul_f64 v[43:44], v[31:32], v[27:28]
	s_delay_alu instid0(VALU_DEP_2) | instskip(SKIP_1) | instid1(VALU_DEP_3)
	v_max_f64 v[51:52], v[45:46], v[29:30]
	v_min_f64 v[29:30], v[45:46], v[29:30]
	v_mul_f64 v[49:50], v[25:26], v[43:44]
	s_delay_alu instid0(VALU_DEP_2) | instskip(NEXT) | instid1(VALU_DEP_2)
	v_div_scale_f64 v[45:46], null, v[51:52], v[51:52], v[29:30]
	v_fma_f64 v[25:26], v[43:44], v[25:26], -v[49:50]
	s_delay_alu instid0(VALU_DEP_1) | instskip(NEXT) | instid1(VALU_DEP_3)
	v_fma_f64 v[23:24], v[43:44], v[23:24], v[25:26]
	v_rcp_f64_e32 v[25:26], v[45:46]
	s_delay_alu instid0(VALU_DEP_1) | instskip(SKIP_4) | instid1(VALU_DEP_3)
	v_add_f64 v[47:48], v[49:50], v[23:24]
	s_waitcnt_depctr 0xfff
	v_fma_f64 v[53:54], -v[45:46], v[25:26], 1.0
	v_add_f64 v[55:56], v[31:32], -v[47:48]
	v_add_f64 v[49:50], v[47:48], -v[49:50]
	v_fma_f64 v[25:26], v[25:26], v[53:54], v[25:26]
	s_delay_alu instid0(VALU_DEP_3) | instskip(NEXT) | instid1(VALU_DEP_3)
	v_add_f64 v[31:32], v[31:32], -v[55:56]
	v_add_f64 v[23:24], v[49:50], -v[23:24]
	s_delay_alu instid0(VALU_DEP_3) | instskip(NEXT) | instid1(VALU_DEP_3)
	v_fma_f64 v[53:54], -v[45:46], v[25:26], 1.0
	v_add_f64 v[31:32], v[31:32], -v[47:48]
	v_div_scale_f64 v[47:48], vcc_lo, v[29:30], v[51:52], v[29:30]
	s_delay_alu instid0(VALU_DEP_3) | instskip(NEXT) | instid1(VALU_DEP_3)
	v_fma_f64 v[25:26], v[25:26], v[53:54], v[25:26]
	v_add_f64 v[23:24], v[23:24], v[31:32]
	s_delay_alu instid0(VALU_DEP_2) | instskip(NEXT) | instid1(VALU_DEP_2)
	v_mul_f64 v[31:32], v[47:48], v[25:26]
	v_add_f64 v[23:24], v[55:56], v[23:24]
	s_delay_alu instid0(VALU_DEP_2) | instskip(NEXT) | instid1(VALU_DEP_2)
	v_fma_f64 v[45:46], -v[45:46], v[31:32], v[47:48]
	v_mul_f64 v[23:24], v[27:28], v[23:24]
	s_delay_alu instid0(VALU_DEP_2)
	v_div_fmas_f64 v[25:26], v[45:46], v[25:26], v[31:32]
	v_subrev_co_ci_u32_e64 v20, vcc_lo, 0, v20, s8
	v_cmp_eq_f64_e32 vcc_lo, 0x7ff00000, v[21:22]
	v_cmp_class_f64_e64 s8, v[5:6], 0x204
	v_add_f64 v[27:28], v[43:44], v[23:24]
	v_div_fixup_f64 v[25:26], v[25:26], v[51:52], v[29:30]
	s_and_b32 vcc_lo, s7, vcc_lo
	v_cmp_class_f64_e64 s7, v[7:8], 0x204
	s_delay_alu instid0(VALU_DEP_3) | instskip(NEXT) | instid1(VALU_DEP_3)
	v_mul_f64 v[29:30], v[27:28], v[27:28]
	v_mul_f64 v[31:32], v[25:26], v[25:26]
	s_delay_alu instid0(VALU_DEP_2) | instskip(SKIP_1) | instid1(VALU_DEP_3)
	v_fma_f64 v[45:46], v[29:30], s[30:31], s[28:29]
	v_mul_f64 v[49:50], v[27:28], v[29:30]
	v_fma_f64 v[47:48], v[31:32], s[50:51], s[48:49]
	s_delay_alu instid0(VALU_DEP_3) | instskip(NEXT) | instid1(VALU_DEP_2)
	v_fma_f64 v[45:46], v[29:30], v[45:46], s[36:37]
	v_fma_f64 v[47:48], v[31:32], v[47:48], s[52:53]
	s_delay_alu instid0(VALU_DEP_2) | instskip(NEXT) | instid1(VALU_DEP_2)
	v_fma_f64 v[45:46], v[29:30], v[45:46], s[38:39]
	v_fma_f64 v[47:48], v[31:32], v[47:48], s[54:55]
	s_delay_alu instid0(VALU_DEP_2) | instskip(NEXT) | instid1(VALU_DEP_2)
	;; [unrolled: 3-line block ×4, first 2 shown]
	v_fma_f64 v[29:30], v[29:30], v[45:46], s[98:99]
	v_fma_f64 v[45:46], v[31:32], v[47:48], s[60:61]
	v_ldexp_f64 v[47:48], v[27:28], 1
	v_add_f64 v[27:28], v[27:28], -v[43:44]
	s_delay_alu instid0(VALU_DEP_4) | instskip(SKIP_2) | instid1(VALU_DEP_4)
	v_mul_f64 v[29:30], v[49:50], v[29:30]
	v_cvt_f64_i32_e32 v[49:50], v20
	v_fma_f64 v[45:46], v[31:32], v[45:46], s[62:63]
	v_add_f64 v[23:24], v[23:24], -v[27:28]
	s_delay_alu instid0(VALU_DEP_4) | instskip(NEXT) | instid1(VALU_DEP_4)
	v_add_f64 v[43:44], v[47:48], v[29:30]
	v_mul_f64 v[51:52], v[49:50], s[44:45]
	s_delay_alu instid0(VALU_DEP_4) | instskip(NEXT) | instid1(VALU_DEP_4)
	v_fma_f64 v[45:46], v[31:32], v[45:46], s[64:65]
	v_ldexp_f64 v[23:24], v[23:24], 1
	s_delay_alu instid0(VALU_DEP_4) | instskip(NEXT) | instid1(VALU_DEP_4)
	v_add_f64 v[27:28], v[43:44], -v[47:48]
	v_fma_f64 v[47:48], v[49:50], s[44:45], -v[51:52]
	s_delay_alu instid0(VALU_DEP_4) | instskip(NEXT) | instid1(VALU_DEP_3)
	v_fma_f64 v[45:46], v[31:32], v[45:46], s[66:67]
	v_add_f64 v[27:28], v[29:30], -v[27:28]
	s_delay_alu instid0(VALU_DEP_2) | instskip(NEXT) | instid1(VALU_DEP_4)
	v_fma_f64 v[29:30], v[31:32], v[45:46], s[68:69]
	v_fma_f64 v[45:46], v[49:50], s[46:47], v[47:48]
	s_delay_alu instid0(VALU_DEP_3) | instskip(NEXT) | instid1(VALU_DEP_3)
	v_add_f64 v[23:24], v[23:24], v[27:28]
	v_fma_f64 v[27:28], v[31:32], v[29:30], s[70:71]
	s_delay_alu instid0(VALU_DEP_3) | instskip(NEXT) | instid1(VALU_DEP_3)
	v_add_f64 v[29:30], v[51:52], v[45:46]
	v_add_f64 v[47:48], v[43:44], v[23:24]
	s_delay_alu instid0(VALU_DEP_3) | instskip(NEXT) | instid1(VALU_DEP_3)
	v_fma_f64 v[27:28], v[31:32], v[27:28], s[72:73]
	v_add_f64 v[51:52], v[29:30], -v[51:52]
	s_delay_alu instid0(VALU_DEP_3) | instskip(SKIP_1) | instid1(VALU_DEP_4)
	v_add_f64 v[49:50], v[29:30], v[47:48]
	v_add_f64 v[43:44], v[47:48], -v[43:44]
	v_fma_f64 v[27:28], v[31:32], v[27:28], s[74:75]
	s_delay_alu instid0(VALU_DEP_4) | instskip(NEXT) | instid1(VALU_DEP_4)
	v_add_f64 v[45:46], v[45:46], -v[51:52]
	v_add_f64 v[53:54], v[49:50], -v[29:30]
	s_delay_alu instid0(VALU_DEP_4) | instskip(NEXT) | instid1(VALU_DEP_4)
	v_add_f64 v[23:24], v[23:24], -v[43:44]
	v_fma_f64 v[27:28], v[31:32], v[27:28], s[76:77]
	s_delay_alu instid0(VALU_DEP_3) | instskip(SKIP_1) | instid1(VALU_DEP_4)
	v_add_f64 v[55:56], v[49:50], -v[53:54]
	v_add_f64 v[43:44], v[47:48], -v[53:54]
	v_add_f64 v[47:48], v[45:46], v[23:24]
	s_delay_alu instid0(VALU_DEP_4) | instskip(NEXT) | instid1(VALU_DEP_4)
	v_fma_f64 v[27:28], v[31:32], v[27:28], s[78:79]
	v_add_f64 v[29:30], v[29:30], -v[55:56]
	s_delay_alu instid0(VALU_DEP_2) | instskip(NEXT) | instid1(VALU_DEP_2)
	v_fma_f64 v[27:28], v[31:32], v[27:28], s[80:81]
	v_add_f64 v[29:30], v[43:44], v[29:30]
	v_add_f64 v[43:44], v[47:48], -v[45:46]
	s_delay_alu instid0(VALU_DEP_3) | instskip(NEXT) | instid1(VALU_DEP_3)
	v_fma_f64 v[27:28], v[31:32], v[27:28], s[82:83]
	v_add_f64 v[29:30], v[47:48], v[29:30]
	s_delay_alu instid0(VALU_DEP_3) | instskip(SKIP_1) | instid1(VALU_DEP_4)
	v_add_f64 v[47:48], v[47:48], -v[43:44]
	v_add_f64 v[23:24], v[23:24], -v[43:44]
	v_fma_f64 v[27:28], v[31:32], v[27:28], s[84:85]
	s_delay_alu instid0(VALU_DEP_4) | instskip(NEXT) | instid1(VALU_DEP_4)
	v_add_f64 v[51:52], v[49:50], v[29:30]
	v_add_f64 v[43:44], v[45:46], -v[47:48]
	s_delay_alu instid0(VALU_DEP_3) | instskip(NEXT) | instid1(VALU_DEP_3)
	v_fma_f64 v[27:28], v[31:32], v[27:28], s[86:87]
	v_add_f64 v[45:46], v[51:52], -v[49:50]
	s_delay_alu instid0(VALU_DEP_3) | instskip(NEXT) | instid1(VALU_DEP_3)
	v_add_f64 v[23:24], v[23:24], v[43:44]
	v_mul_f64 v[27:28], v[31:32], v[27:28]
	s_delay_alu instid0(VALU_DEP_3) | instskip(NEXT) | instid1(VALU_DEP_2)
	v_add_f64 v[29:30], v[29:30], -v[45:46]
	v_fma_f64 v[25:26], v[25:26], v[27:28], v[25:26]
	s_delay_alu instid0(VALU_DEP_2) | instskip(NEXT) | instid1(VALU_DEP_2)
	v_add_f64 v[23:24], v[23:24], v[29:30]
	v_add_f64 v[27:28], -v[25:26], s[88:89]
	s_delay_alu instid0(VALU_DEP_2) | instskip(NEXT) | instid1(VALU_DEP_2)
	v_add_f64 v[20:21], v[51:52], v[23:24]
	v_cndmask_b32_e64 v23, v26, v28, s6
	s_delay_alu instid0(VALU_DEP_3) | instskip(SKIP_2) | instid1(VALU_DEP_3)
	v_cndmask_b32_e64 v22, v25, v27, s6
	v_ashrrev_i32_e32 v26, 31, v6
	v_cmp_eq_f64_e64 s6, 0, v[7:8]
	v_add_f64 v[24:25], -v[22:23], s[16:17]
	v_cndmask_b32_e32 v21, v21, v57, vcc_lo
	s_delay_alu instid0(VALU_DEP_4) | instskip(SKIP_1) | instid1(VALU_DEP_2)
	v_dual_cndmask_b32 v20, v20, v17 :: v_dual_and_b32 v17, 0x54442d18, v26
	v_cmp_gt_i32_e32 vcc_lo, 0, v6
	v_add_f64 v[20:21], v[20:21], 1.0
	v_cndmask_b32_e32 v27, 0x54442d18, v59, vcc_lo
	v_dual_cndmask_b32 v22, v22, v24 :: v_dual_cndmask_b32 v23, v23, v25
	v_cndmask_b32_e32 v5, 0x3fe921fb, v60, vcc_lo
	v_cmp_ngt_f64_e32 vcc_lo, 0, v[18:19]
	s_delay_alu instid0(VALU_DEP_3) | instskip(NEXT) | instid1(VALU_DEP_3)
	v_cndmask_b32_e64 v22, v22, v17, s6
	v_bfi_b32 v5, 0x7fffffff, v5, v8
	v_cndmask_b32_e64 v21, v21, 0x7ff00000, s10
	v_cndmask_b32_e64 v17, v20, 0, s10
	s_delay_alu instid0(VALU_DEP_2) | instskip(SKIP_2) | instid1(VALU_DEP_1)
	v_cndmask_b32_e32 v21, 0x7ff80000, v21, vcc_lo
	s_and_b32 vcc_lo, s7, s8
	v_and_b32_e32 v6, 0x400921fb, v26
	v_cndmask_b32_e64 v6, v23, v6, s6
	v_cmp_nge_f64_e64 s6, 0, v[18:19]
	s_delay_alu instid0(VALU_DEP_2) | instskip(NEXT) | instid1(VALU_DEP_2)
	v_cndmask_b32_e32 v20, v6, v5, vcc_lo
	v_cndmask_b32_e64 v17, 0, v17, s6
	v_cmp_neq_f64_e64 s6, 0, v[18:19]
	v_cndmask_b32_e32 v19, v22, v27, vcc_lo
	s_delay_alu instid0(VALU_DEP_2)
	v_cndmask_b32_e64 v18, 0xfff00000, v21, s6
.LBB174_39:                             ;   in Loop: Header=BB174_4 Depth=1
	s_or_b32 exec_lo, exec_lo, s9
.LBB174_40:                             ;   in Loop: Header=BB174_4 Depth=1
	s_and_not1_saveexec_b32 s6, vcc_hi
	s_cbranch_execz .LBB174_46
; %bb.41:                               ;   in Loop: Header=BB174_4 Depth=1
	v_cmp_ngt_f64_e64 s7, 0x20000000, |v[5:6]|
	v_cmp_ngt_f64_e64 s8, 0x20000000, |v[7:8]|
                                        ; implicit-def: $vgpr21_vgpr22
	s_delay_alu instid0(VALU_DEP_1) | instskip(NEXT) | instid1(SALU_CYCLE_1)
	s_or_b32 s7, s8, s7
	s_and_saveexec_b32 s8, s7
	s_delay_alu instid0(SALU_CYCLE_1)
	s_xor_b32 s7, exec_lo, s8
; %bb.42:                               ;   in Loop: Header=BB174_4 Depth=1
	v_mul_f64 v[5:6], v[5:6], v[5:6]
	s_delay_alu instid0(VALU_DEP_1)
	v_fma_f64 v[21:22], v[7:8], v[7:8], v[5:6]
; %bb.43:                               ;   in Loop: Header=BB174_4 Depth=1
	s_and_not1_saveexec_b32 s7, s7
; %bb.44:                               ;   in Loop: Header=BB174_4 Depth=1
	v_mul_f64 v[5:6], v[5:6], 4.0
	v_mul_f64 v[17:18], v[7:8], 4.0
	s_delay_alu instid0(VALU_DEP_2) | instskip(NEXT) | instid1(VALU_DEP_1)
	v_mul_f64 v[5:6], v[5:6], v[5:6]
	v_fma_f64 v[5:6], v[17:18], v[17:18], v[5:6]
	s_delay_alu instid0(VALU_DEP_1)
	v_ldexp_f64 v[21:22], v[5:6], -4
; %bb.45:                               ;   in Loop: Header=BB174_4 Depth=1
	s_or_b32 exec_lo, exec_lo, s7
	s_delay_alu instid0(VALU_DEP_1) | instskip(SKIP_2) | instid1(VALU_DEP_2)
	v_frexp_mant_f64_e32 v[5:6], v[21:22]
	s_mov_b32 s99, s27
	v_frexp_exp_i32_f64_e32 v7, v[21:22]
	v_cmp_gt_f64_e32 vcc_lo, s[26:27], v[5:6]
	v_cndmask_b32_e64 v34, 0x3ff00000, 2.0, vcc_lo
	s_delay_alu instid0(VALU_DEP_3) | instskip(SKIP_1) | instid1(VALU_DEP_3)
	v_subrev_co_ci_u32_e32 v7, vcc_lo, 0, v7, vcc_lo
	v_cmp_class_f64_e64 vcc_lo, v[21:22], 0x204
	v_mul_f64 v[5:6], v[5:6], v[33:34]
	s_delay_alu instid0(VALU_DEP_1) | instskip(SKIP_1) | instid1(VALU_DEP_2)
	v_add_f64 v[17:18], v[5:6], 1.0
	v_add_f64 v[25:26], v[5:6], -1.0
	v_rcp_f64_e32 v[19:20], v[17:18]
	v_add_f64 v[27:28], v[17:18], -1.0
	s_delay_alu instid0(VALU_DEP_1) | instskip(SKIP_2) | instid1(VALU_DEP_1)
	v_add_f64 v[5:6], v[5:6], -v[27:28]
	s_waitcnt_depctr 0xfff
	v_fma_f64 v[23:24], -v[17:18], v[19:20], 1.0
	v_fma_f64 v[19:20], v[23:24], v[19:20], v[19:20]
	s_delay_alu instid0(VALU_DEP_1) | instskip(NEXT) | instid1(VALU_DEP_1)
	v_fma_f64 v[23:24], -v[17:18], v[19:20], 1.0
	v_fma_f64 v[19:20], v[23:24], v[19:20], v[19:20]
	s_delay_alu instid0(VALU_DEP_1) | instskip(NEXT) | instid1(VALU_DEP_1)
	v_mul_f64 v[23:24], v[25:26], v[19:20]
	v_mul_f64 v[29:30], v[17:18], v[23:24]
	s_delay_alu instid0(VALU_DEP_1) | instskip(NEXT) | instid1(VALU_DEP_1)
	v_fma_f64 v[17:18], v[23:24], v[17:18], -v[29:30]
	v_fma_f64 v[5:6], v[23:24], v[5:6], v[17:18]
	s_delay_alu instid0(VALU_DEP_1) | instskip(NEXT) | instid1(VALU_DEP_1)
	v_add_f64 v[17:18], v[29:30], v[5:6]
	v_add_f64 v[27:28], v[25:26], -v[17:18]
	v_add_f64 v[29:30], v[17:18], -v[29:30]
	s_delay_alu instid0(VALU_DEP_2) | instskip(NEXT) | instid1(VALU_DEP_2)
	v_add_f64 v[25:26], v[25:26], -v[27:28]
	v_add_f64 v[5:6], v[29:30], -v[5:6]
	s_delay_alu instid0(VALU_DEP_2) | instskip(NEXT) | instid1(VALU_DEP_1)
	v_add_f64 v[17:18], v[25:26], -v[17:18]
	v_add_f64 v[5:6], v[5:6], v[17:18]
	s_delay_alu instid0(VALU_DEP_1) | instskip(NEXT) | instid1(VALU_DEP_1)
	v_add_f64 v[5:6], v[27:28], v[5:6]
	v_mul_f64 v[5:6], v[19:20], v[5:6]
	s_delay_alu instid0(VALU_DEP_1) | instskip(NEXT) | instid1(VALU_DEP_1)
	v_add_f64 v[17:18], v[23:24], v[5:6]
	v_mul_f64 v[19:20], v[17:18], v[17:18]
	s_delay_alu instid0(VALU_DEP_1) | instskip(SKIP_1) | instid1(VALU_DEP_2)
	v_fma_f64 v[25:26], v[19:20], s[30:31], s[28:29]
	v_mul_f64 v[27:28], v[17:18], v[19:20]
	v_fma_f64 v[25:26], v[19:20], v[25:26], s[36:37]
	s_delay_alu instid0(VALU_DEP_1) | instskip(NEXT) | instid1(VALU_DEP_1)
	v_fma_f64 v[25:26], v[19:20], v[25:26], s[38:39]
	v_fma_f64 v[25:26], v[19:20], v[25:26], s[40:41]
	s_delay_alu instid0(VALU_DEP_1) | instskip(NEXT) | instid1(VALU_DEP_1)
	v_fma_f64 v[25:26], v[19:20], v[25:26], s[42:43]
	v_fma_f64 v[19:20], v[19:20], v[25:26], s[98:99]
	v_ldexp_f64 v[25:26], v[17:18], 1
	v_add_f64 v[17:18], v[17:18], -v[23:24]
	s_delay_alu instid0(VALU_DEP_3) | instskip(SKIP_1) | instid1(VALU_DEP_3)
	v_mul_f64 v[19:20], v[27:28], v[19:20]
	v_cvt_f64_i32_e32 v[27:28], v7
	v_add_f64 v[5:6], v[5:6], -v[17:18]
	s_delay_alu instid0(VALU_DEP_3) | instskip(NEXT) | instid1(VALU_DEP_3)
	v_add_f64 v[23:24], v[25:26], v[19:20]
	v_mul_f64 v[29:30], v[27:28], s[44:45]
	s_delay_alu instid0(VALU_DEP_3) | instskip(NEXT) | instid1(VALU_DEP_3)
	v_ldexp_f64 v[5:6], v[5:6], 1
	v_add_f64 v[17:18], v[23:24], -v[25:26]
	s_delay_alu instid0(VALU_DEP_3) | instskip(NEXT) | instid1(VALU_DEP_2)
	v_fma_f64 v[25:26], v[27:28], s[44:45], -v[29:30]
	v_add_f64 v[17:18], v[19:20], -v[17:18]
	s_delay_alu instid0(VALU_DEP_2) | instskip(NEXT) | instid1(VALU_DEP_2)
	v_fma_f64 v[19:20], v[27:28], s[46:47], v[25:26]
	v_add_f64 v[5:6], v[5:6], v[17:18]
	s_delay_alu instid0(VALU_DEP_2) | instskip(NEXT) | instid1(VALU_DEP_2)
	v_add_f64 v[17:18], v[29:30], v[19:20]
	v_add_f64 v[25:26], v[23:24], v[5:6]
	s_delay_alu instid0(VALU_DEP_2) | instskip(NEXT) | instid1(VALU_DEP_2)
	v_add_f64 v[29:30], v[17:18], -v[29:30]
	v_add_f64 v[27:28], v[17:18], v[25:26]
	v_add_f64 v[23:24], v[25:26], -v[23:24]
	s_delay_alu instid0(VALU_DEP_3) | instskip(NEXT) | instid1(VALU_DEP_3)
	v_add_f64 v[19:20], v[19:20], -v[29:30]
	v_add_f64 v[31:32], v[27:28], -v[17:18]
	s_delay_alu instid0(VALU_DEP_3) | instskip(NEXT) | instid1(VALU_DEP_2)
	v_add_f64 v[5:6], v[5:6], -v[23:24]
	v_add_f64 v[43:44], v[27:28], -v[31:32]
	;; [unrolled: 1-line block ×3, first 2 shown]
	s_delay_alu instid0(VALU_DEP_3) | instskip(NEXT) | instid1(VALU_DEP_3)
	v_add_f64 v[25:26], v[19:20], v[5:6]
	v_add_f64 v[17:18], v[17:18], -v[43:44]
	s_delay_alu instid0(VALU_DEP_1) | instskip(NEXT) | instid1(VALU_DEP_3)
	v_add_f64 v[17:18], v[23:24], v[17:18]
	v_add_f64 v[23:24], v[25:26], -v[19:20]
	s_delay_alu instid0(VALU_DEP_2) | instskip(NEXT) | instid1(VALU_DEP_2)
	v_add_f64 v[17:18], v[25:26], v[17:18]
	v_add_f64 v[25:26], v[25:26], -v[23:24]
	v_add_f64 v[5:6], v[5:6], -v[23:24]
	s_delay_alu instid0(VALU_DEP_3) | instskip(NEXT) | instid1(VALU_DEP_3)
	v_add_f64 v[29:30], v[27:28], v[17:18]
	v_add_f64 v[19:20], v[19:20], -v[25:26]
	s_delay_alu instid0(VALU_DEP_2) | instskip(NEXT) | instid1(VALU_DEP_2)
	v_add_f64 v[23:24], v[29:30], -v[27:28]
	v_add_f64 v[5:6], v[5:6], v[19:20]
	v_mov_b32_e32 v19, 0
	v_mov_b32_e32 v20, 0x7ff80000
	s_delay_alu instid0(VALU_DEP_4) | instskip(NEXT) | instid1(VALU_DEP_1)
	v_add_f64 v[17:18], v[17:18], -v[23:24]
	v_add_f64 v[5:6], v[5:6], v[17:18]
	s_delay_alu instid0(VALU_DEP_1) | instskip(NEXT) | instid1(VALU_DEP_1)
	v_add_f64 v[5:6], v[29:30], v[5:6]
	v_dual_cndmask_b32 v5, v5, v21 :: v_dual_cndmask_b32 v6, v6, v22
	v_cmp_ngt_f64_e32 vcc_lo, 0, v[21:22]
	s_delay_alu instid0(VALU_DEP_2) | instskip(SKIP_1) | instid1(VALU_DEP_4)
	v_cndmask_b32_e32 v6, 0x7ff80000, v6, vcc_lo
	v_cmp_nge_f64_e32 vcc_lo, 0, v[21:22]
	v_cndmask_b32_e32 v17, 0, v5, vcc_lo
	v_cmp_neq_f64_e32 vcc_lo, 0, v[21:22]
	s_delay_alu instid0(VALU_DEP_4)
	v_cndmask_b32_e32 v18, 0xfff00000, v6, vcc_lo
.LBB174_46:                             ;   in Loop: Header=BB174_4 Depth=1
	s_or_b32 exec_lo, exec_lo, s6
                                        ; implicit-def: $vgpr21_vgpr22
	s_delay_alu instid0(SALU_CYCLE_1)
	s_mov_b32 s6, exec_lo
	v_cmpx_o_f64_e32 v[1:2], v[3:4]
	s_xor_b32 vcc_hi, exec_lo, s6
	s_cbranch_execz .LBB174_74
; %bb.47:                               ;   in Loop: Header=BB174_4 Depth=1
	v_cmp_lt_f64_e64 s6, |v[1:2]|, |v[3:4]|
	v_and_b32_e32 v5, 0x7fffffff, v2
	v_dual_mov_b32 v7, v3 :: v_dual_and_b32 v6, 0x7fffffff, v4
                                        ; implicit-def: $vgpr21_vgpr22
	s_mov_b32 s7, exec_lo
	s_delay_alu instid0(VALU_DEP_1) | instskip(NEXT) | instid1(VALU_DEP_2)
	v_cndmask_b32_e64 v26, v6, v5, s6
	v_cndmask_b32_e64 v25, v7, v1, s6
	s_delay_alu instid0(VALU_DEP_1)
	v_cmpx_nlt_f64_e32 s[20:21], v[25:26]
	s_xor_b32 s90, exec_lo, s7
	s_cbranch_execz .LBB174_71
; %bb.48:                               ;   in Loop: Header=BB174_4 Depth=1
	v_cndmask_b32_e64 v28, v5, v6, s6
	v_cndmask_b32_e64 v27, v1, v7, s6
                                        ; implicit-def: $vgpr21_vgpr22
	s_mov_b32 s7, exec_lo
	s_delay_alu instid0(VALU_DEP_1)
	v_cmpx_neq_f64_e32 1.0, v[27:28]
	s_xor_b32 s91, exec_lo, s7
	s_cbranch_execz .LBB174_64
; %bb.49:                               ;   in Loop: Header=BB174_4 Depth=1
	v_max_f64 v[5:6], v[25:26], v[25:26]
	v_max_f64 v[21:22], v[27:28], v[27:28]
	s_mov_b32 s8, 0xc57e649a
	s_mov_b32 s9, 0x4a511b0e
	s_delay_alu instid0(VALU_DEP_1) | instskip(SKIP_1) | instid1(VALU_DEP_2)
	v_min_f64 v[23:24], v[21:22], v[5:6]
	v_max_f64 v[5:6], v[21:22], v[5:6]
                                        ; implicit-def: $vgpr21_vgpr22
	v_cmp_ngt_f64_e32 vcc_lo, s[14:15], v[23:24]
	s_delay_alu instid0(VALU_DEP_2) | instskip(NEXT) | instid1(VALU_DEP_1)
	v_cmp_nlt_f64_e64 s7, s[8:9], v[5:6]
	s_and_b32 s7, s7, vcc_lo
	s_delay_alu instid0(SALU_CYCLE_1) | instskip(NEXT) | instid1(SALU_CYCLE_1)
	s_and_saveexec_b32 s8, s7
	s_xor_b32 s22, exec_lo, s8
	s_cbranch_execz .LBB174_61
; %bb.50:                               ;   in Loop: Header=BB174_4 Depth=1
                                        ; implicit-def: $vgpr21_vgpr22
	s_mov_b32 s7, exec_lo
	v_cmpx_le_f64_e32 1.0, v[27:28]
	s_xor_b32 s8, exec_lo, s7
	s_cbranch_execz .LBB174_52
; %bb.51:                               ;   in Loop: Header=BB174_4 Depth=1
	v_add_f64 v[5:6], v[27:28], -1.0
	v_add_f64 v[21:22], v[27:28], 1.0
	s_mov_b32 s99, s27
	s_mov_b32 s16, s88
	v_cmp_gt_i32_e64 s7, 0, v2
	v_cmp_class_f64_e64 s10, v[1:2], 0x204
	v_cmp_class_f64_e64 s9, v[3:4], 0x204
	s_delay_alu instid0(VALU_DEP_4) | instskip(NEXT) | instid1(VALU_DEP_1)
	v_mul_f64 v[5:6], v[5:6], v[21:22]
	v_fma_f64 v[5:6], v[25:26], v[25:26], v[5:6]
	s_delay_alu instid0(VALU_DEP_1) | instskip(NEXT) | instid1(VALU_DEP_1)
	v_add_f64 v[21:22], v[5:6], 1.0
	v_frexp_mant_f64_e32 v[23:24], v[21:22]
	v_frexp_exp_i32_f64_e32 v7, v[21:22]
	v_add_f64 v[25:26], v[21:22], -1.0
	s_delay_alu instid0(VALU_DEP_3) | instskip(NEXT) | instid1(VALU_DEP_2)
	v_cmp_gt_f64_e32 vcc_lo, s[26:27], v[23:24]
	v_add_f64 v[23:24], v[25:26], -v[21:22]
	v_add_f64 v[25:26], v[5:6], -v[25:26]
	v_subrev_co_ci_u32_e32 v7, vcc_lo, 0, v7, vcc_lo
	s_delay_alu instid0(VALU_DEP_3) | instskip(NEXT) | instid1(VALU_DEP_2)
	v_add_f64 v[23:24], v[23:24], 1.0
	v_sub_nc_u32_e32 v29, 0, v7
	s_delay_alu instid0(VALU_DEP_1) | instskip(NEXT) | instid1(VALU_DEP_3)
	v_ldexp_f64 v[21:22], v[21:22], v29
	v_add_f64 v[23:24], v[25:26], v[23:24]
	s_delay_alu instid0(VALU_DEP_2) | instskip(SKIP_1) | instid1(VALU_DEP_3)
	v_add_f64 v[27:28], v[21:22], 1.0
	v_add_f64 v[43:44], v[21:22], -1.0
	v_ldexp_f64 v[23:24], v[23:24], v29
	s_delay_alu instid0(VALU_DEP_3) | instskip(NEXT) | instid1(VALU_DEP_3)
	v_add_f64 v[25:26], v[27:28], -1.0
	v_add_f64 v[45:46], v[43:44], 1.0
	s_delay_alu instid0(VALU_DEP_2) | instskip(NEXT) | instid1(VALU_DEP_2)
	v_add_f64 v[25:26], v[21:22], -v[25:26]
	v_add_f64 v[21:22], v[21:22], -v[45:46]
	s_delay_alu instid0(VALU_DEP_2) | instskip(NEXT) | instid1(VALU_DEP_2)
	v_add_f64 v[25:26], v[23:24], v[25:26]
	v_add_f64 v[21:22], v[23:24], v[21:22]
	s_delay_alu instid0(VALU_DEP_2) | instskip(NEXT) | instid1(VALU_DEP_2)
	v_add_f64 v[29:30], v[27:28], v[25:26]
	v_add_f64 v[45:46], v[43:44], v[21:22]
	s_delay_alu instid0(VALU_DEP_2) | instskip(SKIP_1) | instid1(VALU_DEP_2)
	v_rcp_f64_e32 v[31:32], v[29:30]
	v_add_f64 v[27:28], v[29:30], -v[27:28]
	v_add_f64 v[43:44], v[45:46], -v[43:44]
	s_delay_alu instid0(VALU_DEP_2) | instskip(SKIP_3) | instid1(VALU_DEP_2)
	v_add_f64 v[25:26], v[25:26], -v[27:28]
	s_waitcnt_depctr 0xfff
	v_fma_f64 v[47:48], -v[29:30], v[31:32], 1.0
	v_add_f64 v[21:22], v[21:22], -v[43:44]
	v_fma_f64 v[31:32], v[47:48], v[31:32], v[31:32]
	s_delay_alu instid0(VALU_DEP_1) | instskip(NEXT) | instid1(VALU_DEP_1)
	v_fma_f64 v[23:24], -v[29:30], v[31:32], 1.0
	v_fma_f64 v[23:24], v[23:24], v[31:32], v[31:32]
	s_delay_alu instid0(VALU_DEP_1) | instskip(NEXT) | instid1(VALU_DEP_1)
	v_mul_f64 v[31:32], v[45:46], v[23:24]
	v_mul_f64 v[47:48], v[29:30], v[31:32]
	s_delay_alu instid0(VALU_DEP_1) | instskip(NEXT) | instid1(VALU_DEP_1)
	v_fma_f64 v[27:28], v[31:32], v[29:30], -v[47:48]
	v_fma_f64 v[27:28], v[31:32], v[25:26], v[27:28]
	s_delay_alu instid0(VALU_DEP_1) | instskip(NEXT) | instid1(VALU_DEP_1)
	v_add_f64 v[49:50], v[47:48], v[27:28]
	v_add_f64 v[51:52], v[45:46], -v[49:50]
	v_add_f64 v[43:44], v[49:50], -v[47:48]
	v_max_f64 v[47:48], |v[3:4]|, |v[3:4]|
	s_delay_alu instid0(VALU_DEP_3) | instskip(NEXT) | instid1(VALU_DEP_3)
	v_add_f64 v[45:46], v[45:46], -v[51:52]
	v_add_f64 v[27:28], v[43:44], -v[27:28]
	s_delay_alu instid0(VALU_DEP_2) | instskip(SKIP_2) | instid1(VALU_DEP_1)
	v_add_f64 v[45:46], v[45:46], -v[49:50]
	v_max_f64 v[49:50], |v[1:2]|, |v[1:2]|
	v_cndmask_b32_e64 v1, 0x3fe921fb, v60, s7
	v_bfi_b32 v1, 0x7fffffff, v1, v4
	s_delay_alu instid0(VALU_DEP_4) | instskip(NEXT) | instid1(VALU_DEP_4)
	v_add_f64 v[21:22], v[21:22], v[45:46]
	v_max_f64 v[53:54], v[49:50], v[47:48]
	v_min_f64 v[47:48], v[49:50], v[47:48]
	s_delay_alu instid0(VALU_DEP_3) | instskip(NEXT) | instid1(VALU_DEP_1)
	v_add_f64 v[21:22], v[27:28], v[21:22]
	v_add_f64 v[27:28], v[51:52], v[21:22]
	s_delay_alu instid0(VALU_DEP_1) | instskip(SKIP_1) | instid1(VALU_DEP_2)
	v_mul_f64 v[43:44], v[23:24], v[27:28]
	v_add_f64 v[51:52], v[51:52], -v[27:28]
	v_mul_f64 v[45:46], v[29:30], v[43:44]
	s_delay_alu instid0(VALU_DEP_2) | instskip(NEXT) | instid1(VALU_DEP_2)
	v_add_f64 v[21:22], v[21:22], v[51:52]
	v_fma_f64 v[29:30], v[43:44], v[29:30], -v[45:46]
	s_delay_alu instid0(VALU_DEP_1) | instskip(SKIP_1) | instid1(VALU_DEP_2)
	v_fma_f64 v[25:26], v[43:44], v[25:26], v[29:30]
	v_div_scale_f64 v[29:30], null, v[53:54], v[53:54], v[47:48]
	v_add_f64 v[49:50], v[45:46], v[25:26]
	s_delay_alu instid0(VALU_DEP_2) | instskip(NEXT) | instid1(VALU_DEP_1)
	v_rcp_f64_e32 v[55:56], v[29:30]
	v_add_f64 v[57:58], v[27:28], -v[49:50]
	v_add_f64 v[45:46], v[49:50], -v[45:46]
	s_waitcnt_depctr 0xfff
	v_fma_f64 v[61:62], -v[29:30], v[55:56], 1.0
	v_add_f64 v[27:28], v[27:28], -v[57:58]
	v_add_f64 v[25:26], v[45:46], -v[25:26]
	s_delay_alu instid0(VALU_DEP_3) | instskip(NEXT) | instid1(VALU_DEP_3)
	v_fma_f64 v[55:56], v[55:56], v[61:62], v[55:56]
	v_add_f64 v[27:28], v[27:28], -v[49:50]
	s_delay_alu instid0(VALU_DEP_2) | instskip(NEXT) | instid1(VALU_DEP_2)
	v_fma_f64 v[49:50], -v[29:30], v[55:56], 1.0
	v_add_f64 v[21:22], v[21:22], v[27:28]
	v_div_scale_f64 v[27:28], vcc_lo, v[47:48], v[53:54], v[47:48]
	s_delay_alu instid0(VALU_DEP_3) | instskip(SKIP_1) | instid1(VALU_DEP_4)
	v_fma_f64 v[45:46], v[55:56], v[49:50], v[55:56]
	v_add_f64 v[49:50], v[31:32], v[43:44]
	v_add_f64 v[21:22], v[25:26], v[21:22]
	s_delay_alu instid0(VALU_DEP_3) | instskip(NEXT) | instid1(VALU_DEP_3)
	v_mul_f64 v[25:26], v[27:28], v[45:46]
	v_add_f64 v[31:32], v[49:50], -v[31:32]
	s_delay_alu instid0(VALU_DEP_3) | instskip(NEXT) | instid1(VALU_DEP_3)
	v_add_f64 v[21:22], v[57:58], v[21:22]
	v_fma_f64 v[27:28], -v[29:30], v[25:26], v[27:28]
	s_delay_alu instid0(VALU_DEP_3) | instskip(NEXT) | instid1(VALU_DEP_3)
	v_add_f64 v[29:30], v[43:44], -v[31:32]
	v_mul_f64 v[21:22], v[23:24], v[21:22]
	s_delay_alu instid0(VALU_DEP_3) | instskip(SKIP_1) | instid1(VALU_DEP_3)
	v_div_fmas_f64 v[23:24], v[27:28], v[45:46], v[25:26]
	v_cmp_eq_f64_e32 vcc_lo, 0x7ff00000, v[5:6]
	v_add_f64 v[21:22], v[29:30], v[21:22]
	s_delay_alu instid0(VALU_DEP_3) | instskip(NEXT) | instid1(VALU_DEP_2)
	v_div_fixup_f64 v[23:24], v[23:24], v[53:54], v[47:48]
	v_add_f64 v[25:26], v[49:50], v[21:22]
	s_delay_alu instid0(VALU_DEP_2) | instskip(NEXT) | instid1(VALU_DEP_2)
	v_mul_f64 v[27:28], v[23:24], v[23:24]
	v_mul_f64 v[29:30], v[25:26], v[25:26]
	s_delay_alu instid0(VALU_DEP_2) | instskip(NEXT) | instid1(VALU_DEP_2)
	v_fma_f64 v[31:32], v[27:28], s[50:51], s[48:49]
	v_fma_f64 v[43:44], v[29:30], s[30:31], s[28:29]
	v_mul_f64 v[45:46], v[25:26], v[29:30]
	s_delay_alu instid0(VALU_DEP_3) | instskip(NEXT) | instid1(VALU_DEP_3)
	v_fma_f64 v[31:32], v[27:28], v[31:32], s[52:53]
	v_fma_f64 v[43:44], v[29:30], v[43:44], s[36:37]
	s_delay_alu instid0(VALU_DEP_2) | instskip(NEXT) | instid1(VALU_DEP_2)
	v_fma_f64 v[31:32], v[27:28], v[31:32], s[54:55]
	v_fma_f64 v[43:44], v[29:30], v[43:44], s[38:39]
	s_delay_alu instid0(VALU_DEP_2) | instskip(NEXT) | instid1(VALU_DEP_2)
	;; [unrolled: 3-line block ×4, first 2 shown]
	v_fma_f64 v[31:32], v[27:28], v[31:32], s[60:61]
	v_fma_f64 v[29:30], v[29:30], v[43:44], s[98:99]
	v_ldexp_f64 v[43:44], v[25:26], 1
	v_add_f64 v[25:26], v[25:26], -v[49:50]
	s_delay_alu instid0(VALU_DEP_4) | instskip(NEXT) | instid1(VALU_DEP_4)
	v_fma_f64 v[31:32], v[27:28], v[31:32], s[62:63]
	v_mul_f64 v[29:30], v[45:46], v[29:30]
	v_cvt_f64_i32_e32 v[45:46], v7
	s_delay_alu instid0(VALU_DEP_4) | instskip(NEXT) | instid1(VALU_DEP_4)
	v_add_f64 v[21:22], v[21:22], -v[25:26]
	v_fma_f64 v[31:32], v[27:28], v[31:32], s[64:65]
	v_ashrrev_i32_e32 v7, 31, v2
	s_delay_alu instid0(VALU_DEP_1) | instskip(SKIP_4) | instid1(VALU_DEP_4)
	v_and_b32_e32 v2, 0x400921fb, v7
	v_add_f64 v[47:48], v[43:44], v[29:30]
	v_mul_f64 v[49:50], v[45:46], s[44:45]
	v_ldexp_f64 v[21:22], v[21:22], 1
	v_fma_f64 v[31:32], v[27:28], v[31:32], s[66:67]
	v_add_f64 v[25:26], v[47:48], -v[43:44]
	s_delay_alu instid0(VALU_DEP_4) | instskip(NEXT) | instid1(VALU_DEP_3)
	v_fma_f64 v[43:44], v[45:46], s[44:45], -v[49:50]
	v_fma_f64 v[31:32], v[27:28], v[31:32], s[68:69]
	s_delay_alu instid0(VALU_DEP_3) | instskip(NEXT) | instid1(VALU_DEP_2)
	v_add_f64 v[25:26], v[29:30], -v[25:26]
	v_fma_f64 v[29:30], v[27:28], v[31:32], s[70:71]
	s_delay_alu instid0(VALU_DEP_4) | instskip(NEXT) | instid1(VALU_DEP_3)
	v_fma_f64 v[31:32], v[45:46], s[46:47], v[43:44]
	v_add_f64 v[21:22], v[21:22], v[25:26]
	s_delay_alu instid0(VALU_DEP_3) | instskip(NEXT) | instid1(VALU_DEP_3)
	v_fma_f64 v[25:26], v[27:28], v[29:30], s[72:73]
	v_add_f64 v[29:30], v[49:50], v[31:32]
	s_delay_alu instid0(VALU_DEP_3) | instskip(NEXT) | instid1(VALU_DEP_3)
	v_add_f64 v[43:44], v[47:48], v[21:22]
	v_fma_f64 v[25:26], v[27:28], v[25:26], s[74:75]
	s_delay_alu instid0(VALU_DEP_3) | instskip(NEXT) | instid1(VALU_DEP_3)
	v_add_f64 v[49:50], v[29:30], -v[49:50]
	v_add_f64 v[45:46], v[29:30], v[43:44]
	v_add_f64 v[47:48], v[43:44], -v[47:48]
	s_delay_alu instid0(VALU_DEP_4) | instskip(NEXT) | instid1(VALU_DEP_4)
	v_fma_f64 v[25:26], v[27:28], v[25:26], s[76:77]
	v_add_f64 v[31:32], v[31:32], -v[49:50]
	s_delay_alu instid0(VALU_DEP_4) | instskip(NEXT) | instid1(VALU_DEP_4)
	v_add_f64 v[51:52], v[45:46], -v[29:30]
	v_add_f64 v[21:22], v[21:22], -v[47:48]
	s_delay_alu instid0(VALU_DEP_4) | instskip(NEXT) | instid1(VALU_DEP_3)
	v_fma_f64 v[25:26], v[27:28], v[25:26], s[78:79]
	v_add_f64 v[53:54], v[45:46], -v[51:52]
	v_add_f64 v[43:44], v[43:44], -v[51:52]
	s_delay_alu instid0(VALU_DEP_4) | instskip(NEXT) | instid1(VALU_DEP_4)
	v_add_f64 v[47:48], v[31:32], v[21:22]
	v_fma_f64 v[25:26], v[27:28], v[25:26], s[80:81]
	s_delay_alu instid0(VALU_DEP_4) | instskip(NEXT) | instid1(VALU_DEP_2)
	v_add_f64 v[29:30], v[29:30], -v[53:54]
	v_fma_f64 v[25:26], v[27:28], v[25:26], s[82:83]
	s_delay_alu instid0(VALU_DEP_2) | instskip(SKIP_1) | instid1(VALU_DEP_3)
	v_add_f64 v[29:30], v[43:44], v[29:30]
	v_add_f64 v[43:44], v[47:48], -v[31:32]
	v_fma_f64 v[25:26], v[27:28], v[25:26], s[84:85]
	s_delay_alu instid0(VALU_DEP_3) | instskip(NEXT) | instid1(VALU_DEP_3)
	v_add_f64 v[29:30], v[47:48], v[29:30]
	v_add_f64 v[47:48], v[47:48], -v[43:44]
	v_add_f64 v[21:22], v[21:22], -v[43:44]
	s_delay_alu instid0(VALU_DEP_4) | instskip(NEXT) | instid1(VALU_DEP_4)
	v_fma_f64 v[25:26], v[27:28], v[25:26], s[86:87]
	v_add_f64 v[49:50], v[45:46], v[29:30]
	s_delay_alu instid0(VALU_DEP_2) | instskip(SKIP_1) | instid1(VALU_DEP_3)
	v_mul_f64 v[25:26], v[27:28], v[25:26]
	v_add_f64 v[27:28], v[31:32], -v[47:48]
	v_add_f64 v[31:32], v[49:50], -v[45:46]
	s_delay_alu instid0(VALU_DEP_3) | instskip(NEXT) | instid1(VALU_DEP_3)
	v_fma_f64 v[23:24], v[23:24], v[25:26], v[23:24]
	v_add_f64 v[21:22], v[21:22], v[27:28]
	s_delay_alu instid0(VALU_DEP_3) | instskip(NEXT) | instid1(VALU_DEP_3)
	v_add_f64 v[25:26], v[29:30], -v[31:32]
	v_add_f64 v[27:28], -v[23:24], s[88:89]
	s_delay_alu instid0(VALU_DEP_2) | instskip(NEXT) | instid1(VALU_DEP_2)
	v_add_f64 v[21:22], v[21:22], v[25:26]
	v_cndmask_b32_e64 v24, v24, v28, s6
	s_delay_alu instid0(VALU_DEP_3) | instskip(SKIP_1) | instid1(VALU_DEP_2)
	v_cndmask_b32_e64 v23, v23, v27, s6
	v_cndmask_b32_e64 v27, 0x54442d18, v59, s7
	v_add_f64 v[25:26], -v[23:24], s[16:17]
	v_add_f64 v[21:22], v[49:50], v[21:22]
	v_and_b32_e32 v28, 0x54442d18, v7
	s_delay_alu instid0(VALU_DEP_3) | instskip(NEXT) | instid1(VALU_DEP_4)
	v_cndmask_b32_e64 v23, v23, v25, s7
	v_cndmask_b32_e64 v7, v24, v26, s7
	v_cmp_nge_f64_e64 s7, -1.0, v[5:6]
                                        ; implicit-def: $vgpr25_vgpr26
	v_dual_cndmask_b32 v21, v21, v5 :: v_dual_cndmask_b32 v22, v22, v6
	v_cmp_eq_f64_e32 vcc_lo, 0, v[3:4]
	v_cndmask_b32_e32 v23, v23, v28, vcc_lo
	s_delay_alu instid0(VALU_DEP_3) | instskip(SKIP_2) | instid1(VALU_DEP_3)
	v_mul_f64 v[21:22], v[21:22], 0.5
	v_cndmask_b32_e32 v2, v7, v2, vcc_lo
	v_cmp_ngt_f64_e32 vcc_lo, -1.0, v[5:6]
	v_cndmask_b32_e64 v21, 0, v21, s7
	v_cmp_neq_f64_e64 s7, -1.0, v[5:6]
	v_cndmask_b32_e32 v7, 0x7ff80000, v22, vcc_lo
	s_and_b32 vcc_lo, s9, s10
	v_dual_cndmask_b32 v24, v2, v1 :: v_dual_cndmask_b32 v23, v23, v27
                                        ; implicit-def: $vgpr27_vgpr28
	s_delay_alu instid0(VALU_DEP_2)
	v_cndmask_b32_e64 v22, 0xfff00000, v7, s7
.LBB174_52:                             ;   in Loop: Header=BB174_4 Depth=1
	s_and_not1_saveexec_b32 s23, s8
	s_cbranch_execz .LBB174_60
; %bb.53:                               ;   in Loop: Header=BB174_4 Depth=1
	v_mul_f64 v[5:6], v[25:26], v[25:26]
	s_mov_b32 s8, 0x66666666
	s_mov_b32 s9, 0x3fe66666
                                        ; implicit-def: $vgpr21_vgpr22
	s_mov_b32 s7, exec_lo
	s_delay_alu instid0(VALU_DEP_1) | instskip(NEXT) | instid1(VALU_DEP_1)
	v_fma_f64 v[5:6], v[27:28], v[27:28], v[5:6]
	v_cmpx_ge_f64_e32 s[8:9], v[5:6]
	s_xor_b32 s9, exec_lo, s7
	s_cbranch_execz .LBB174_55
; %bb.54:                               ;   in Loop: Header=BB174_4 Depth=1
	v_frexp_mant_f64_e32 v[21:22], v[5:6]
	v_max_f64 v[31:32], |v[1:2]|, |v[1:2]|
	s_mov_b32 s99, s27
	v_frexp_exp_i32_f64_e32 v7, v[5:6]
	s_mov_b32 s16, s88
	v_cmp_class_f64_e64 s10, v[3:4], 0x204
	v_cmp_class_f64_e64 s11, v[1:2], 0x204
	v_cmp_neq_f64_e64 s8, 0, v[5:6]
	v_cmp_gt_f64_e64 s7, s[26:27], v[21:22]
	s_delay_alu instid0(VALU_DEP_1) | instskip(NEXT) | instid1(VALU_DEP_1)
	v_cndmask_b32_e64 v34, 0x3ff00000, 2.0, s7
	v_mul_f64 v[21:22], v[21:22], v[33:34]
	s_delay_alu instid0(VALU_DEP_1) | instskip(SKIP_1) | instid1(VALU_DEP_2)
	v_add_f64 v[23:24], v[21:22], 1.0
	v_add_f64 v[29:30], v[21:22], -1.0
	v_rcp_f64_e32 v[25:26], v[23:24]
	s_waitcnt_depctr 0xfff
	v_fma_f64 v[27:28], -v[23:24], v[25:26], 1.0
	s_delay_alu instid0(VALU_DEP_1) | instskip(NEXT) | instid1(VALU_DEP_1)
	v_fma_f64 v[25:26], v[27:28], v[25:26], v[25:26]
	v_fma_f64 v[27:28], -v[23:24], v[25:26], 1.0
	s_delay_alu instid0(VALU_DEP_1) | instskip(SKIP_1) | instid1(VALU_DEP_2)
	v_fma_f64 v[25:26], v[27:28], v[25:26], v[25:26]
	v_max_f64 v[27:28], |v[3:4]|, |v[3:4]|
	v_mul_f64 v[43:44], v[29:30], v[25:26]
	s_delay_alu instid0(VALU_DEP_2) | instskip(SKIP_2) | instid1(VALU_DEP_4)
	v_max_f64 v[45:46], v[31:32], v[27:28]
	v_min_f64 v[27:28], v[31:32], v[27:28]
	v_add_f64 v[31:32], v[23:24], -1.0
	v_mul_f64 v[47:48], v[23:24], v[43:44]
	s_delay_alu instid0(VALU_DEP_3) | instskip(NEXT) | instid1(VALU_DEP_3)
	v_div_scale_f64 v[49:50], null, v[45:46], v[45:46], v[27:28]
	v_add_f64 v[21:22], v[21:22], -v[31:32]
	v_div_scale_f64 v[55:56], vcc_lo, v[27:28], v[45:46], v[27:28]
	s_delay_alu instid0(VALU_DEP_4) | instskip(NEXT) | instid1(VALU_DEP_4)
	v_fma_f64 v[23:24], v[43:44], v[23:24], -v[47:48]
	v_rcp_f64_e32 v[31:32], v[49:50]
	s_delay_alu instid0(VALU_DEP_1) | instskip(SKIP_3) | instid1(VALU_DEP_2)
	v_fma_f64 v[21:22], v[43:44], v[21:22], v[23:24]
	s_waitcnt_depctr 0xfff
	v_fma_f64 v[23:24], -v[49:50], v[31:32], 1.0
	v_add_f64 v[51:52], v[47:48], v[21:22]
	v_fma_f64 v[23:24], v[31:32], v[23:24], v[31:32]
	s_delay_alu instid0(VALU_DEP_2) | instskip(SKIP_1) | instid1(VALU_DEP_3)
	v_add_f64 v[31:32], v[29:30], -v[51:52]
	v_add_f64 v[47:48], v[51:52], -v[47:48]
	v_fma_f64 v[53:54], -v[49:50], v[23:24], 1.0
	s_delay_alu instid0(VALU_DEP_3) | instskip(NEXT) | instid1(VALU_DEP_3)
	v_add_f64 v[29:30], v[29:30], -v[31:32]
	v_add_f64 v[21:22], v[47:48], -v[21:22]
	s_delay_alu instid0(VALU_DEP_3) | instskip(NEXT) | instid1(VALU_DEP_3)
	v_fma_f64 v[23:24], v[23:24], v[53:54], v[23:24]
	v_add_f64 v[29:30], v[29:30], -v[51:52]
	s_delay_alu instid0(VALU_DEP_2) | instskip(NEXT) | instid1(VALU_DEP_2)
	v_mul_f64 v[47:48], v[55:56], v[23:24]
	v_add_f64 v[21:22], v[21:22], v[29:30]
	s_delay_alu instid0(VALU_DEP_2) | instskip(NEXT) | instid1(VALU_DEP_2)
	v_fma_f64 v[29:30], -v[49:50], v[47:48], v[55:56]
	v_add_f64 v[21:22], v[31:32], v[21:22]
	s_delay_alu instid0(VALU_DEP_2) | instskip(SKIP_4) | instid1(VALU_DEP_1)
	v_div_fmas_f64 v[23:24], v[29:30], v[23:24], v[47:48]
	v_subrev_co_ci_u32_e64 v7, vcc_lo, 0, v7, s7
	v_cmp_eq_f64_e64 s7, 0, v[3:4]
	v_cmp_gt_i32_e32 vcc_lo, 0, v2
	v_cndmask_b32_e32 v5, 0x3fe921fb, v60, vcc_lo
	v_bfi_b32 v5, 0x7fffffff, v5, v4
	v_mul_f64 v[21:22], v[25:26], v[21:22]
	v_div_fixup_f64 v[23:24], v[23:24], v[45:46], v[27:28]
	s_delay_alu instid0(VALU_DEP_2) | instskip(NEXT) | instid1(VALU_DEP_2)
	v_add_f64 v[25:26], v[43:44], v[21:22]
	v_mul_f64 v[27:28], v[23:24], v[23:24]
	s_delay_alu instid0(VALU_DEP_2) | instskip(NEXT) | instid1(VALU_DEP_2)
	v_mul_f64 v[29:30], v[25:26], v[25:26]
	v_fma_f64 v[31:32], v[27:28], s[50:51], s[48:49]
	s_delay_alu instid0(VALU_DEP_2) | instskip(SKIP_1) | instid1(VALU_DEP_3)
	v_fma_f64 v[45:46], v[29:30], s[30:31], s[28:29]
	v_mul_f64 v[47:48], v[25:26], v[29:30]
	v_fma_f64 v[31:32], v[27:28], v[31:32], s[52:53]
	s_delay_alu instid0(VALU_DEP_3) | instskip(NEXT) | instid1(VALU_DEP_2)
	v_fma_f64 v[45:46], v[29:30], v[45:46], s[36:37]
	v_fma_f64 v[31:32], v[27:28], v[31:32], s[54:55]
	s_delay_alu instid0(VALU_DEP_2) | instskip(NEXT) | instid1(VALU_DEP_2)
	v_fma_f64 v[45:46], v[29:30], v[45:46], s[38:39]
	v_fma_f64 v[31:32], v[27:28], v[31:32], s[56:57]
	s_delay_alu instid0(VALU_DEP_2) | instskip(NEXT) | instid1(VALU_DEP_2)
	;; [unrolled: 3-line block ×3, first 2 shown]
	v_fma_f64 v[45:46], v[29:30], v[45:46], s[42:43]
	v_fma_f64 v[31:32], v[27:28], v[31:32], s[60:61]
	s_delay_alu instid0(VALU_DEP_2) | instskip(SKIP_2) | instid1(VALU_DEP_4)
	v_fma_f64 v[29:30], v[29:30], v[45:46], s[98:99]
	v_ldexp_f64 v[45:46], v[25:26], 1
	v_add_f64 v[25:26], v[25:26], -v[43:44]
	v_fma_f64 v[31:32], v[27:28], v[31:32], s[62:63]
	s_delay_alu instid0(VALU_DEP_4) | instskip(SKIP_1) | instid1(VALU_DEP_4)
	v_mul_f64 v[29:30], v[47:48], v[29:30]
	v_cvt_f64_i32_e32 v[47:48], v7
	v_add_f64 v[21:22], v[21:22], -v[25:26]
	v_ashrrev_i32_e32 v7, 31, v2
	v_fma_f64 v[31:32], v[27:28], v[31:32], s[64:65]
	v_add_f64 v[43:44], v[45:46], v[29:30]
	v_mul_f64 v[49:50], v[47:48], s[44:45]
	v_ldexp_f64 v[21:22], v[21:22], 1
	s_delay_alu instid0(VALU_DEP_4) | instskip(NEXT) | instid1(VALU_DEP_4)
	v_fma_f64 v[31:32], v[27:28], v[31:32], s[66:67]
	v_add_f64 v[25:26], v[43:44], -v[45:46]
	s_delay_alu instid0(VALU_DEP_4) | instskip(NEXT) | instid1(VALU_DEP_3)
	v_fma_f64 v[45:46], v[47:48], s[44:45], -v[49:50]
	v_fma_f64 v[31:32], v[27:28], v[31:32], s[68:69]
	s_delay_alu instid0(VALU_DEP_3) | instskip(NEXT) | instid1(VALU_DEP_2)
	v_add_f64 v[25:26], v[29:30], -v[25:26]
	v_fma_f64 v[29:30], v[27:28], v[31:32], s[70:71]
	s_delay_alu instid0(VALU_DEP_4) | instskip(NEXT) | instid1(VALU_DEP_3)
	v_fma_f64 v[31:32], v[47:48], s[46:47], v[45:46]
	v_add_f64 v[21:22], v[21:22], v[25:26]
	s_delay_alu instid0(VALU_DEP_3) | instskip(NEXT) | instid1(VALU_DEP_3)
	v_fma_f64 v[25:26], v[27:28], v[29:30], s[72:73]
	v_add_f64 v[29:30], v[49:50], v[31:32]
	s_delay_alu instid0(VALU_DEP_3) | instskip(NEXT) | instid1(VALU_DEP_3)
	v_add_f64 v[45:46], v[43:44], v[21:22]
	v_fma_f64 v[25:26], v[27:28], v[25:26], s[74:75]
	s_delay_alu instid0(VALU_DEP_3) | instskip(NEXT) | instid1(VALU_DEP_3)
	v_add_f64 v[49:50], v[29:30], -v[49:50]
	v_add_f64 v[47:48], v[29:30], v[45:46]
	v_add_f64 v[43:44], v[45:46], -v[43:44]
	s_delay_alu instid0(VALU_DEP_4) | instskip(NEXT) | instid1(VALU_DEP_4)
	v_fma_f64 v[25:26], v[27:28], v[25:26], s[76:77]
	v_add_f64 v[31:32], v[31:32], -v[49:50]
	s_delay_alu instid0(VALU_DEP_4) | instskip(NEXT) | instid1(VALU_DEP_4)
	v_add_f64 v[51:52], v[47:48], -v[29:30]
	v_add_f64 v[21:22], v[21:22], -v[43:44]
	s_delay_alu instid0(VALU_DEP_4) | instskip(NEXT) | instid1(VALU_DEP_3)
	v_fma_f64 v[25:26], v[27:28], v[25:26], s[78:79]
	v_add_f64 v[53:54], v[47:48], -v[51:52]
	v_add_f64 v[43:44], v[45:46], -v[51:52]
	s_delay_alu instid0(VALU_DEP_4) | instskip(NEXT) | instid1(VALU_DEP_4)
	v_add_f64 v[45:46], v[31:32], v[21:22]
	v_fma_f64 v[25:26], v[27:28], v[25:26], s[80:81]
	s_delay_alu instid0(VALU_DEP_4) | instskip(NEXT) | instid1(VALU_DEP_2)
	v_add_f64 v[29:30], v[29:30], -v[53:54]
	v_fma_f64 v[25:26], v[27:28], v[25:26], s[82:83]
	s_delay_alu instid0(VALU_DEP_2) | instskip(SKIP_1) | instid1(VALU_DEP_3)
	v_add_f64 v[29:30], v[43:44], v[29:30]
	v_add_f64 v[43:44], v[45:46], -v[31:32]
	v_fma_f64 v[25:26], v[27:28], v[25:26], s[84:85]
	s_delay_alu instid0(VALU_DEP_3) | instskip(NEXT) | instid1(VALU_DEP_3)
	v_add_f64 v[29:30], v[45:46], v[29:30]
	v_add_f64 v[45:46], v[45:46], -v[43:44]
	v_add_f64 v[21:22], v[21:22], -v[43:44]
	s_delay_alu instid0(VALU_DEP_4) | instskip(NEXT) | instid1(VALU_DEP_4)
	v_fma_f64 v[25:26], v[27:28], v[25:26], s[86:87]
	v_add_f64 v[49:50], v[47:48], v[29:30]
	s_delay_alu instid0(VALU_DEP_2) | instskip(SKIP_1) | instid1(VALU_DEP_3)
	v_mul_f64 v[25:26], v[27:28], v[25:26]
	v_add_f64 v[27:28], v[31:32], -v[45:46]
	v_add_f64 v[31:32], v[49:50], -v[47:48]
	s_delay_alu instid0(VALU_DEP_3) | instskip(NEXT) | instid1(VALU_DEP_3)
	v_fma_f64 v[23:24], v[23:24], v[25:26], v[23:24]
	v_add_f64 v[21:22], v[21:22], v[27:28]
	s_delay_alu instid0(VALU_DEP_3) | instskip(NEXT) | instid1(VALU_DEP_3)
	v_add_f64 v[25:26], v[29:30], -v[31:32]
	v_add_f64 v[27:28], -v[23:24], s[88:89]
	s_delay_alu instid0(VALU_DEP_2) | instskip(NEXT) | instid1(VALU_DEP_2)
	v_add_f64 v[21:22], v[21:22], v[25:26]
	v_cndmask_b32_e64 v24, v24, v28, s6
	s_delay_alu instid0(VALU_DEP_3) | instskip(SKIP_1) | instid1(VALU_DEP_2)
	v_cndmask_b32_e64 v23, v23, v27, s6
	v_cndmask_b32_e32 v27, 0x54442d18, v59, vcc_lo
	v_add_f64 v[25:26], -v[23:24], s[16:17]
	v_and_b32_e32 v28, 0x54442d18, v7
	v_and_b32_e32 v6, 0x400921fb, v7
	v_add_f64 v[21:22], v[49:50], v[21:22]
	s_delay_alu instid0(VALU_DEP_4) | instskip(SKIP_2) | instid1(VALU_DEP_2)
	v_cndmask_b32_e32 v7, v24, v26, vcc_lo
	v_cndmask_b32_e32 v23, v23, v25, vcc_lo
	s_and_b32 vcc_lo, s10, s11
                                        ; implicit-def: $vgpr25_vgpr26
	v_cndmask_b32_e64 v6, v7, v6, s7
	s_delay_alu instid0(VALU_DEP_2) | instskip(NEXT) | instid1(VALU_DEP_1)
	v_cndmask_b32_e64 v23, v23, v28, s7
	v_dual_cndmask_b32 v24, v6, v5 :: v_dual_cndmask_b32 v23, v23, v27
                                        ; implicit-def: $vgpr27_vgpr28
	v_mul_f64 v[1:2], v[21:22], 0.5
	s_delay_alu instid0(VALU_DEP_1) | instskip(NEXT) | instid1(VALU_DEP_2)
	v_cndmask_b32_e64 v22, 0xfff00000, v2, s8
	v_cndmask_b32_e64 v21, 0, v1, s8
.LBB174_55:                             ;   in Loop: Header=BB174_4 Depth=1
	s_and_not1_saveexec_b32 s24, s9
	s_cbranch_execz .LBB174_59
; %bb.56:                               ;   in Loop: Header=BB174_4 Depth=1
	v_dual_mov_b32 v21, v33 :: v_dual_and_b32 v34, 0x7ffffff8, v28
	v_and_b32_e32 v22, 0x7ffffff8, v26
	s_mov_b32 s25, 0
	s_delay_alu instid0(VALU_DEP_2) | instskip(SKIP_1) | instid1(VALU_DEP_3)
	v_add_f64 v[5:6], v[27:28], -v[33:34]
	v_mov_b32_e32 v27, v33
	v_add_f64 v[23:24], v[25:26], -v[21:22]
	v_mov_b32_e32 v29, v33
	v_add_f64 v[31:32], v[33:34], v[33:34]
	v_add_f64 v[49:50], v[21:22], v[21:22]
	v_mul_f64 v[25:26], v[21:22], v[21:22]
	v_and_b32_e32 v28, -8, v6
	v_and_b32_e32 v30, -8, v24
	s_delay_alu instid0(VALU_DEP_2) | instskip(SKIP_1) | instid1(VALU_DEP_3)
	v_add_f64 v[51:52], v[5:6], -v[27:28]
	v_add_f64 v[55:56], v[27:28], v[27:28]
	v_add_f64 v[53:54], v[23:24], -v[29:30]
	v_add_f64 v[57:58], v[29:30], v[29:30]
	v_mul_f64 v[5:6], v[33:34], v[33:34]
	v_mul_f64 v[47:48], v[31:32], v[27:28]
	;; [unrolled: 1-line block ×11, first 2 shown]
.LBB174_57:                             ;   Parent Loop BB174_4 Depth=1
                                        ; =>  This Inner Loop Header: Depth=2
	v_cmp_nlt_f64_e32 vcc_lo, v[5:6], v[25:26]
	v_dual_cndmask_b32 v54, v6, v26 :: v_dual_cndmask_b32 v53, v5, v25
	v_dual_cndmask_b32 v6, v26, v6 :: v_dual_cndmask_b32 v5, v25, v5
	s_delay_alu instid0(VALU_DEP_2) | instskip(NEXT) | instid1(VALU_DEP_1)
	v_cmp_nlt_f64_e64 s7, v[53:54], v[47:48]
	v_cndmask_b32_e64 v56, v54, v48, s7
	v_cndmask_b32_e64 v55, v53, v47, s7
	v_cndmask_b32_e64 v26, v48, v54, s7
	v_cndmask_b32_e64 v25, v47, v53, s7
	s_and_b32 s7, vcc_lo, s7
	s_delay_alu instid0(VALU_DEP_3) | instskip(NEXT) | instid1(VALU_DEP_1)
	v_cmp_nlt_f64_e64 s8, v[55:56], v[23:24]
	v_cndmask_b32_e64 v54, v56, v24, s8
	v_cndmask_b32_e64 v53, v55, v23, s8
	;; [unrolled: 1-line block ×4, first 2 shown]
	s_delay_alu instid0(VALU_DEP_3) | instskip(NEXT) | instid1(VALU_DEP_1)
	v_cmp_nlt_f64_e64 s9, v[53:54], v[45:46]
	v_cndmask_b32_e64 v56, v54, v46, s9
	v_cndmask_b32_e64 v55, v53, v45, s9
	;; [unrolled: 1-line block ×4, first 2 shown]
	s_and_b32 s8, s8, s9
	s_delay_alu instid0(VALU_DEP_3) | instskip(NEXT) | instid1(VALU_DEP_1)
	v_cmp_nlt_f64_e64 s10, v[55:56], v[21:22]
	v_cndmask_b32_e64 v54, v56, v22, s10
	v_cndmask_b32_e64 v53, v55, v21, s10
	;; [unrolled: 1-line block ×4, first 2 shown]
	s_delay_alu instid0(VALU_DEP_3) | instskip(NEXT) | instid1(VALU_DEP_1)
	v_cmp_nlt_f64_e64 s11, v[53:54], v[43:44]
	v_cndmask_b32_e64 v56, v54, v44, s11
	v_cndmask_b32_e64 v55, v53, v43, s11
	v_cndmask_b32_e64 v22, v44, v54, s11
	v_cndmask_b32_e64 v21, v43, v53, s11
	s_and_b32 s9, s10, s11
	s_delay_alu instid0(VALU_DEP_3) | instskip(NEXT) | instid1(VALU_DEP_1)
	v_cmp_nlt_f64_e64 s12, v[55:56], v[31:32]
	v_cndmask_b32_e64 v54, v56, v32, s12
	v_cndmask_b32_e64 v53, v55, v31, s12
	v_cndmask_b32_e64 v44, v32, v56, s12
	v_cndmask_b32_e64 v43, v31, v55, s12
	s_and_b32 s9, s9, s12
	;; [unrolled: 7-line block ×4, first 2 shown]
	s_delay_alu instid0(VALU_DEP_3) | instskip(NEXT) | instid1(VALU_DEP_1)
	v_cmp_nlt_f64_e64 s15, v[53:54], v[49:50]
	v_cndmask_b32_e64 v56, v54, v50, s15
	v_cndmask_b32_e64 v55, v53, v49, s15
	s_and_b32 s9, s9, s15
	v_cndmask_b32_e64 v28, v50, v54, s15
	v_cndmask_b32_e64 v27, v49, v53, s15
	s_delay_alu instid0(VALU_DEP_3) | instskip(NEXT) | instid1(VALU_DEP_1)
	v_cmp_nlt_f64_e64 s16, v[55:56], v[51:52]
	v_cndmask_b32_e64 v54, v56, v52, s16
	v_cndmask_b32_e64 v53, v55, v51, s16
	s_and_b32 s9, s9, s16
	v_cndmask_b32_e64 v50, v52, v56, s16
	s_and_b32 s8, s9, s8
	;; [unrolled: 2-line block ×3, first 2 shown]
	v_dual_mov_b32 v51, v53 :: v_dual_mov_b32 v52, v54
	s_and_b32 s7, exec_lo, s7
	s_delay_alu instid0(SALU_CYCLE_1) | instskip(NEXT) | instid1(SALU_CYCLE_1)
	s_or_b32 s25, s7, s25
	s_and_not1_b32 exec_lo, exec_lo, s25
	s_cbranch_execnz .LBB174_57
; %bb.58:                               ;   in Loop: Header=BB174_4 Depth=1
	s_or_b32 exec_lo, exec_lo, s25
	v_add_f64 v[5:6], v[5:6], -1.0
	s_mov_b32 s99, s27
	s_mov_b32 s16, s88
	v_cmp_gt_i32_e64 s7, 0, v2
	v_cmp_class_f64_e64 s9, v[1:2], 0x204
	v_cmp_class_f64_e64 s8, v[3:4], 0x204
	s_mov_b32 s14, 0x4ad4b81f
	s_mov_b32 s15, 0x358dee7a
	s_delay_alu instid0(VALU_DEP_4) | instskip(NEXT) | instid1(VALU_DEP_1)
	v_add_f64 v[5:6], v[5:6], v[25:26]
	v_add_f64 v[5:6], v[5:6], v[47:48]
	s_delay_alu instid0(VALU_DEP_1) | instskip(NEXT) | instid1(VALU_DEP_1)
	v_add_f64 v[5:6], v[5:6], v[23:24]
	v_add_f64 v[5:6], v[5:6], v[45:46]
	s_delay_alu instid0(VALU_DEP_1) | instskip(NEXT) | instid1(VALU_DEP_1)
	;; [unrolled: 3-line block ×5, first 2 shown]
	v_add_f64 v[5:6], v[53:54], v[5:6]
	v_add_f64 v[21:22], v[5:6], 1.0
	s_delay_alu instid0(VALU_DEP_1) | instskip(SKIP_2) | instid1(VALU_DEP_3)
	v_frexp_mant_f64_e32 v[23:24], v[21:22]
	v_frexp_exp_i32_f64_e32 v7, v[21:22]
	v_add_f64 v[25:26], v[21:22], -1.0
	v_cmp_gt_f64_e32 vcc_lo, s[26:27], v[23:24]
	s_delay_alu instid0(VALU_DEP_2) | instskip(SKIP_2) | instid1(VALU_DEP_3)
	v_add_f64 v[23:24], v[25:26], -v[21:22]
	v_add_f64 v[25:26], v[5:6], -v[25:26]
	v_subrev_co_ci_u32_e32 v7, vcc_lo, 0, v7, vcc_lo
	v_add_f64 v[23:24], v[23:24], 1.0
	s_delay_alu instid0(VALU_DEP_2) | instskip(NEXT) | instid1(VALU_DEP_1)
	v_sub_nc_u32_e32 v29, 0, v7
	v_ldexp_f64 v[21:22], v[21:22], v29
	s_delay_alu instid0(VALU_DEP_3) | instskip(NEXT) | instid1(VALU_DEP_2)
	v_add_f64 v[23:24], v[25:26], v[23:24]
	v_add_f64 v[27:28], v[21:22], 1.0
	v_add_f64 v[43:44], v[21:22], -1.0
	s_delay_alu instid0(VALU_DEP_3) | instskip(NEXT) | instid1(VALU_DEP_3)
	v_ldexp_f64 v[23:24], v[23:24], v29
	v_add_f64 v[25:26], v[27:28], -1.0
	s_delay_alu instid0(VALU_DEP_3) | instskip(NEXT) | instid1(VALU_DEP_2)
	v_add_f64 v[45:46], v[43:44], 1.0
	v_add_f64 v[25:26], v[21:22], -v[25:26]
	s_delay_alu instid0(VALU_DEP_2) | instskip(NEXT) | instid1(VALU_DEP_2)
	v_add_f64 v[21:22], v[21:22], -v[45:46]
	v_add_f64 v[25:26], v[23:24], v[25:26]
	s_delay_alu instid0(VALU_DEP_2) | instskip(NEXT) | instid1(VALU_DEP_2)
	v_add_f64 v[21:22], v[23:24], v[21:22]
	v_add_f64 v[29:30], v[27:28], v[25:26]
	s_delay_alu instid0(VALU_DEP_2) | instskip(NEXT) | instid1(VALU_DEP_2)
	v_add_f64 v[45:46], v[43:44], v[21:22]
	v_rcp_f64_e32 v[31:32], v[29:30]
	v_add_f64 v[27:28], v[29:30], -v[27:28]
	s_delay_alu instid0(VALU_DEP_2) | instskip(NEXT) | instid1(VALU_DEP_2)
	v_add_f64 v[43:44], v[45:46], -v[43:44]
	v_add_f64 v[25:26], v[25:26], -v[27:28]
	s_waitcnt_depctr 0xfff
	v_fma_f64 v[47:48], -v[29:30], v[31:32], 1.0
	v_add_f64 v[21:22], v[21:22], -v[43:44]
	s_delay_alu instid0(VALU_DEP_2) | instskip(NEXT) | instid1(VALU_DEP_1)
	v_fma_f64 v[31:32], v[47:48], v[31:32], v[31:32]
	v_fma_f64 v[23:24], -v[29:30], v[31:32], 1.0
	s_delay_alu instid0(VALU_DEP_1) | instskip(NEXT) | instid1(VALU_DEP_1)
	v_fma_f64 v[23:24], v[23:24], v[31:32], v[31:32]
	v_mul_f64 v[31:32], v[45:46], v[23:24]
	s_delay_alu instid0(VALU_DEP_1) | instskip(NEXT) | instid1(VALU_DEP_1)
	v_mul_f64 v[47:48], v[29:30], v[31:32]
	v_fma_f64 v[27:28], v[31:32], v[29:30], -v[47:48]
	s_delay_alu instid0(VALU_DEP_1) | instskip(NEXT) | instid1(VALU_DEP_1)
	v_fma_f64 v[27:28], v[31:32], v[25:26], v[27:28]
	v_add_f64 v[49:50], v[47:48], v[27:28]
	s_delay_alu instid0(VALU_DEP_1) | instskip(SKIP_2) | instid1(VALU_DEP_3)
	v_add_f64 v[51:52], v[45:46], -v[49:50]
	v_add_f64 v[43:44], v[49:50], -v[47:48]
	v_max_f64 v[47:48], |v[3:4]|, |v[3:4]|
	v_add_f64 v[45:46], v[45:46], -v[51:52]
	s_delay_alu instid0(VALU_DEP_3) | instskip(NEXT) | instid1(VALU_DEP_2)
	v_add_f64 v[27:28], v[43:44], -v[27:28]
	v_add_f64 v[45:46], v[45:46], -v[49:50]
	v_max_f64 v[49:50], |v[1:2]|, |v[1:2]|
	v_cndmask_b32_e64 v1, 0x3fe921fb, v60, s7
	s_delay_alu instid0(VALU_DEP_1) | instskip(NEXT) | instid1(VALU_DEP_4)
	v_bfi_b32 v1, 0x7fffffff, v1, v4
	v_add_f64 v[21:22], v[21:22], v[45:46]
	s_delay_alu instid0(VALU_DEP_4) | instskip(SKIP_1) | instid1(VALU_DEP_3)
	v_max_f64 v[53:54], v[49:50], v[47:48]
	v_min_f64 v[47:48], v[49:50], v[47:48]
	v_add_f64 v[21:22], v[27:28], v[21:22]
	s_delay_alu instid0(VALU_DEP_1) | instskip(NEXT) | instid1(VALU_DEP_1)
	v_add_f64 v[27:28], v[51:52], v[21:22]
	v_mul_f64 v[43:44], v[23:24], v[27:28]
	v_add_f64 v[51:52], v[51:52], -v[27:28]
	s_delay_alu instid0(VALU_DEP_2) | instskip(NEXT) | instid1(VALU_DEP_2)
	v_mul_f64 v[45:46], v[29:30], v[43:44]
	v_add_f64 v[21:22], v[21:22], v[51:52]
	s_delay_alu instid0(VALU_DEP_2) | instskip(NEXT) | instid1(VALU_DEP_1)
	v_fma_f64 v[29:30], v[43:44], v[29:30], -v[45:46]
	v_fma_f64 v[25:26], v[43:44], v[25:26], v[29:30]
	v_div_scale_f64 v[29:30], null, v[53:54], v[53:54], v[47:48]
	s_delay_alu instid0(VALU_DEP_2) | instskip(NEXT) | instid1(VALU_DEP_2)
	v_add_f64 v[49:50], v[45:46], v[25:26]
	v_rcp_f64_e32 v[55:56], v[29:30]
	s_delay_alu instid0(VALU_DEP_1)
	v_add_f64 v[57:58], v[27:28], -v[49:50]
	v_add_f64 v[45:46], v[49:50], -v[45:46]
	s_waitcnt_depctr 0xfff
	v_fma_f64 v[61:62], -v[29:30], v[55:56], 1.0
	v_add_f64 v[27:28], v[27:28], -v[57:58]
	v_add_f64 v[25:26], v[45:46], -v[25:26]
	s_delay_alu instid0(VALU_DEP_3) | instskip(NEXT) | instid1(VALU_DEP_3)
	v_fma_f64 v[55:56], v[55:56], v[61:62], v[55:56]
	v_add_f64 v[27:28], v[27:28], -v[49:50]
	s_delay_alu instid0(VALU_DEP_2) | instskip(NEXT) | instid1(VALU_DEP_2)
	v_fma_f64 v[49:50], -v[29:30], v[55:56], 1.0
	v_add_f64 v[21:22], v[21:22], v[27:28]
	v_div_scale_f64 v[27:28], vcc_lo, v[47:48], v[53:54], v[47:48]
	s_delay_alu instid0(VALU_DEP_3) | instskip(SKIP_1) | instid1(VALU_DEP_4)
	v_fma_f64 v[45:46], v[55:56], v[49:50], v[55:56]
	v_add_f64 v[49:50], v[31:32], v[43:44]
	v_add_f64 v[21:22], v[25:26], v[21:22]
	s_delay_alu instid0(VALU_DEP_3) | instskip(NEXT) | instid1(VALU_DEP_3)
	v_mul_f64 v[25:26], v[27:28], v[45:46]
	v_add_f64 v[31:32], v[49:50], -v[31:32]
	s_delay_alu instid0(VALU_DEP_3) | instskip(NEXT) | instid1(VALU_DEP_3)
	v_add_f64 v[21:22], v[57:58], v[21:22]
	v_fma_f64 v[27:28], -v[29:30], v[25:26], v[27:28]
	s_delay_alu instid0(VALU_DEP_3) | instskip(NEXT) | instid1(VALU_DEP_3)
	v_add_f64 v[29:30], v[43:44], -v[31:32]
	v_mul_f64 v[21:22], v[23:24], v[21:22]
	s_delay_alu instid0(VALU_DEP_3) | instskip(SKIP_1) | instid1(VALU_DEP_3)
	v_div_fmas_f64 v[23:24], v[27:28], v[45:46], v[25:26]
	v_cmp_eq_f64_e32 vcc_lo, 0x7ff00000, v[5:6]
	v_add_f64 v[21:22], v[29:30], v[21:22]
	s_delay_alu instid0(VALU_DEP_3) | instskip(NEXT) | instid1(VALU_DEP_2)
	v_div_fixup_f64 v[23:24], v[23:24], v[53:54], v[47:48]
	v_add_f64 v[25:26], v[49:50], v[21:22]
	s_delay_alu instid0(VALU_DEP_2) | instskip(NEXT) | instid1(VALU_DEP_2)
	v_mul_f64 v[27:28], v[23:24], v[23:24]
	v_mul_f64 v[29:30], v[25:26], v[25:26]
	s_delay_alu instid0(VALU_DEP_2) | instskip(NEXT) | instid1(VALU_DEP_2)
	v_fma_f64 v[31:32], v[27:28], s[50:51], s[48:49]
	v_fma_f64 v[43:44], v[29:30], s[30:31], s[28:29]
	v_mul_f64 v[45:46], v[25:26], v[29:30]
	s_delay_alu instid0(VALU_DEP_3) | instskip(NEXT) | instid1(VALU_DEP_3)
	v_fma_f64 v[31:32], v[27:28], v[31:32], s[52:53]
	v_fma_f64 v[43:44], v[29:30], v[43:44], s[36:37]
	s_delay_alu instid0(VALU_DEP_2) | instskip(NEXT) | instid1(VALU_DEP_2)
	v_fma_f64 v[31:32], v[27:28], v[31:32], s[54:55]
	v_fma_f64 v[43:44], v[29:30], v[43:44], s[38:39]
	s_delay_alu instid0(VALU_DEP_2) | instskip(NEXT) | instid1(VALU_DEP_2)
	;; [unrolled: 3-line block ×4, first 2 shown]
	v_fma_f64 v[31:32], v[27:28], v[31:32], s[60:61]
	v_fma_f64 v[29:30], v[29:30], v[43:44], s[98:99]
	v_ldexp_f64 v[43:44], v[25:26], 1
	v_add_f64 v[25:26], v[25:26], -v[49:50]
	s_delay_alu instid0(VALU_DEP_4) | instskip(NEXT) | instid1(VALU_DEP_4)
	v_fma_f64 v[31:32], v[27:28], v[31:32], s[62:63]
	v_mul_f64 v[29:30], v[45:46], v[29:30]
	v_cvt_f64_i32_e32 v[45:46], v7
	s_delay_alu instid0(VALU_DEP_4) | instskip(NEXT) | instid1(VALU_DEP_4)
	v_add_f64 v[21:22], v[21:22], -v[25:26]
	v_fma_f64 v[31:32], v[27:28], v[31:32], s[64:65]
	v_ashrrev_i32_e32 v7, 31, v2
	s_delay_alu instid0(VALU_DEP_1) | instskip(SKIP_4) | instid1(VALU_DEP_4)
	v_and_b32_e32 v2, 0x400921fb, v7
	v_add_f64 v[47:48], v[43:44], v[29:30]
	v_mul_f64 v[49:50], v[45:46], s[44:45]
	v_ldexp_f64 v[21:22], v[21:22], 1
	v_fma_f64 v[31:32], v[27:28], v[31:32], s[66:67]
	v_add_f64 v[25:26], v[47:48], -v[43:44]
	s_delay_alu instid0(VALU_DEP_4) | instskip(NEXT) | instid1(VALU_DEP_3)
	v_fma_f64 v[43:44], v[45:46], s[44:45], -v[49:50]
	v_fma_f64 v[31:32], v[27:28], v[31:32], s[68:69]
	s_delay_alu instid0(VALU_DEP_3) | instskip(NEXT) | instid1(VALU_DEP_2)
	v_add_f64 v[25:26], v[29:30], -v[25:26]
	v_fma_f64 v[29:30], v[27:28], v[31:32], s[70:71]
	s_delay_alu instid0(VALU_DEP_4) | instskip(NEXT) | instid1(VALU_DEP_3)
	v_fma_f64 v[31:32], v[45:46], s[46:47], v[43:44]
	v_add_f64 v[21:22], v[21:22], v[25:26]
	s_delay_alu instid0(VALU_DEP_3) | instskip(NEXT) | instid1(VALU_DEP_3)
	v_fma_f64 v[25:26], v[27:28], v[29:30], s[72:73]
	v_add_f64 v[29:30], v[49:50], v[31:32]
	s_delay_alu instid0(VALU_DEP_3) | instskip(NEXT) | instid1(VALU_DEP_3)
	v_add_f64 v[43:44], v[47:48], v[21:22]
	v_fma_f64 v[25:26], v[27:28], v[25:26], s[74:75]
	s_delay_alu instid0(VALU_DEP_3) | instskip(NEXT) | instid1(VALU_DEP_3)
	v_add_f64 v[49:50], v[29:30], -v[49:50]
	v_add_f64 v[45:46], v[29:30], v[43:44]
	v_add_f64 v[47:48], v[43:44], -v[47:48]
	s_delay_alu instid0(VALU_DEP_4) | instskip(NEXT) | instid1(VALU_DEP_4)
	v_fma_f64 v[25:26], v[27:28], v[25:26], s[76:77]
	v_add_f64 v[31:32], v[31:32], -v[49:50]
	s_delay_alu instid0(VALU_DEP_4) | instskip(NEXT) | instid1(VALU_DEP_4)
	v_add_f64 v[51:52], v[45:46], -v[29:30]
	v_add_f64 v[21:22], v[21:22], -v[47:48]
	s_delay_alu instid0(VALU_DEP_4) | instskip(NEXT) | instid1(VALU_DEP_3)
	v_fma_f64 v[25:26], v[27:28], v[25:26], s[78:79]
	v_add_f64 v[53:54], v[45:46], -v[51:52]
	v_add_f64 v[43:44], v[43:44], -v[51:52]
	s_delay_alu instid0(VALU_DEP_4) | instskip(NEXT) | instid1(VALU_DEP_4)
	v_add_f64 v[47:48], v[31:32], v[21:22]
	v_fma_f64 v[25:26], v[27:28], v[25:26], s[80:81]
	s_delay_alu instid0(VALU_DEP_4) | instskip(NEXT) | instid1(VALU_DEP_2)
	v_add_f64 v[29:30], v[29:30], -v[53:54]
	v_fma_f64 v[25:26], v[27:28], v[25:26], s[82:83]
	s_delay_alu instid0(VALU_DEP_2) | instskip(SKIP_1) | instid1(VALU_DEP_3)
	v_add_f64 v[29:30], v[43:44], v[29:30]
	v_add_f64 v[43:44], v[47:48], -v[31:32]
	v_fma_f64 v[25:26], v[27:28], v[25:26], s[84:85]
	s_delay_alu instid0(VALU_DEP_3) | instskip(NEXT) | instid1(VALU_DEP_3)
	v_add_f64 v[29:30], v[47:48], v[29:30]
	v_add_f64 v[47:48], v[47:48], -v[43:44]
	v_add_f64 v[21:22], v[21:22], -v[43:44]
	s_delay_alu instid0(VALU_DEP_4) | instskip(NEXT) | instid1(VALU_DEP_4)
	v_fma_f64 v[25:26], v[27:28], v[25:26], s[86:87]
	v_add_f64 v[49:50], v[45:46], v[29:30]
	s_delay_alu instid0(VALU_DEP_2) | instskip(SKIP_1) | instid1(VALU_DEP_3)
	v_mul_f64 v[25:26], v[27:28], v[25:26]
	v_add_f64 v[27:28], v[31:32], -v[47:48]
	v_add_f64 v[31:32], v[49:50], -v[45:46]
	s_delay_alu instid0(VALU_DEP_3) | instskip(NEXT) | instid1(VALU_DEP_3)
	v_fma_f64 v[23:24], v[23:24], v[25:26], v[23:24]
	v_add_f64 v[21:22], v[21:22], v[27:28]
	s_delay_alu instid0(VALU_DEP_3) | instskip(NEXT) | instid1(VALU_DEP_3)
	v_add_f64 v[25:26], v[29:30], -v[31:32]
	v_add_f64 v[27:28], -v[23:24], s[88:89]
	s_delay_alu instid0(VALU_DEP_2) | instskip(NEXT) | instid1(VALU_DEP_2)
	v_add_f64 v[21:22], v[21:22], v[25:26]
	v_cndmask_b32_e64 v24, v24, v28, s6
	s_delay_alu instid0(VALU_DEP_3) | instskip(SKIP_1) | instid1(VALU_DEP_2)
	v_cndmask_b32_e64 v23, v23, v27, s6
	v_cndmask_b32_e64 v27, 0x54442d18, v59, s7
	v_add_f64 v[25:26], -v[23:24], s[16:17]
	v_add_f64 v[21:22], v[49:50], v[21:22]
	v_and_b32_e32 v28, 0x54442d18, v7
	s_delay_alu instid0(VALU_DEP_3) | instskip(NEXT) | instid1(VALU_DEP_4)
	v_cndmask_b32_e64 v23, v23, v25, s7
	v_cndmask_b32_e64 v7, v24, v26, s7
	v_cmp_nge_f64_e64 s7, -1.0, v[5:6]
	v_dual_cndmask_b32 v21, v21, v5 :: v_dual_cndmask_b32 v22, v22, v6
	v_cmp_eq_f64_e32 vcc_lo, 0, v[3:4]
	v_cndmask_b32_e32 v23, v23, v28, vcc_lo
	s_delay_alu instid0(VALU_DEP_3) | instskip(SKIP_2) | instid1(VALU_DEP_3)
	v_mul_f64 v[21:22], v[21:22], 0.5
	v_cndmask_b32_e32 v2, v7, v2, vcc_lo
	v_cmp_ngt_f64_e32 vcc_lo, -1.0, v[5:6]
	v_cndmask_b32_e64 v21, 0, v21, s7
	v_cmp_neq_f64_e64 s7, -1.0, v[5:6]
	v_cndmask_b32_e32 v7, 0x7ff80000, v22, vcc_lo
	s_and_b32 vcc_lo, s8, s9
	v_dual_cndmask_b32 v24, v2, v1 :: v_dual_cndmask_b32 v23, v23, v27
	s_delay_alu instid0(VALU_DEP_2)
	v_cndmask_b32_e64 v22, 0xfff00000, v7, s7
.LBB174_59:                             ;   in Loop: Header=BB174_4 Depth=1
	s_or_b32 exec_lo, exec_lo, s24
.LBB174_60:                             ;   in Loop: Header=BB174_4 Depth=1
	s_delay_alu instid0(SALU_CYCLE_1)
	s_or_b32 exec_lo, exec_lo, s23
.LBB174_61:                             ;   in Loop: Header=BB174_4 Depth=1
	s_and_not1_saveexec_b32 s9, s22
	s_cbranch_execz .LBB174_63
; %bb.62:                               ;   in Loop: Header=BB174_4 Depth=1
	v_max_f64 v[5:6], |v[3:4]|, |v[3:4]|
	v_max_f64 v[21:22], |v[1:2]|, |v[1:2]|
	v_cmp_class_f64_e64 s10, v[1:2], 0x204
	v_cmp_class_f64_e64 s11, v[3:4], 0x204
	s_mov_b32 s99, s27
	s_mov_b32 s16, s88
	v_cmp_eq_f64_e64 s8, 0, v[3:4]
	s_delay_alu instid0(VALU_DEP_4) | instskip(SKIP_1) | instid1(VALU_DEP_4)
	v_max_f64 v[23:24], v[21:22], v[5:6]
	v_min_f64 v[5:6], v[21:22], v[5:6]
	s_or_b32 s12, s11, s10
	s_delay_alu instid0(VALU_DEP_2) | instskip(NEXT) | instid1(VALU_DEP_1)
	v_frexp_exp_i32_f64_e32 v7, v[23:24]
	v_sub_nc_u32_e32 v27, 0, v7
	s_delay_alu instid0(VALU_DEP_1) | instskip(SKIP_1) | instid1(VALU_DEP_2)
	v_ldexp_f64 v[25:26], |v[3:4]|, v27
	v_ldexp_f64 v[27:28], |v[1:2]|, v27
	v_mul_f64 v[25:26], v[25:26], v[25:26]
	s_delay_alu instid0(VALU_DEP_1) | instskip(NEXT) | instid1(VALU_DEP_1)
	v_fma_f64 v[25:26], v[27:28], v[27:28], v[25:26]
	v_rsq_f64_e32 v[27:28], v[25:26]
	v_cmp_eq_f64_e32 vcc_lo, 0, v[25:26]
	s_waitcnt_depctr 0xfff
	v_mul_f64 v[29:30], v[25:26], v[27:28]
	v_mul_f64 v[27:28], v[27:28], 0.5
	s_delay_alu instid0(VALU_DEP_1) | instskip(NEXT) | instid1(VALU_DEP_1)
	v_fma_f64 v[31:32], -v[27:28], v[29:30], 0.5
	v_fma_f64 v[29:30], v[29:30], v[31:32], v[29:30]
	v_fma_f64 v[27:28], v[27:28], v[31:32], v[27:28]
	s_delay_alu instid0(VALU_DEP_2) | instskip(NEXT) | instid1(VALU_DEP_1)
	v_fma_f64 v[31:32], -v[29:30], v[29:30], v[25:26]
	v_fma_f64 v[27:28], v[31:32], v[27:28], v[29:30]
	s_delay_alu instid0(VALU_DEP_1) | instskip(SKIP_1) | instid1(VALU_DEP_2)
	v_dual_cndmask_b32 v26, v28, v26 :: v_dual_cndmask_b32 v25, v27, v25
	v_div_scale_f64 v[57:58], vcc_lo, v[5:6], v[23:24], v[5:6]
	v_ldexp_f64 v[25:26], v[25:26], v7
	s_delay_alu instid0(VALU_DEP_1) | instskip(NEXT) | instid1(VALU_DEP_2)
	v_cndmask_b32_e64 v28, v26, 0x7ff00000, s12
	v_cndmask_b32_e64 v27, v25, 0, s12
	s_delay_alu instid0(VALU_DEP_1) | instskip(SKIP_1) | instid1(VALU_DEP_2)
	v_frexp_mant_f64_e32 v[29:30], v[27:28]
	v_frexp_exp_i32_f64_e32 v1, v[27:28]
	v_cmp_gt_f64_e64 s7, s[26:27], v[29:30]
	s_delay_alu instid0(VALU_DEP_1) | instskip(NEXT) | instid1(VALU_DEP_1)
	v_cndmask_b32_e64 v34, 0x3ff00000, 2.0, s7
	v_mul_f64 v[29:30], v[29:30], v[33:34]
	s_delay_alu instid0(VALU_DEP_1) | instskip(SKIP_1) | instid1(VALU_DEP_2)
	v_add_f64 v[31:32], v[29:30], 1.0
	v_add_f64 v[47:48], v[29:30], -1.0
	v_rcp_f64_e32 v[43:44], v[31:32]
	v_add_f64 v[49:50], v[31:32], -1.0
	s_delay_alu instid0(VALU_DEP_1) | instskip(SKIP_2) | instid1(VALU_DEP_1)
	v_add_f64 v[29:30], v[29:30], -v[49:50]
	s_waitcnt_depctr 0xfff
	v_fma_f64 v[45:46], -v[31:32], v[43:44], 1.0
	v_fma_f64 v[43:44], v[45:46], v[43:44], v[43:44]
	s_delay_alu instid0(VALU_DEP_1) | instskip(NEXT) | instid1(VALU_DEP_1)
	v_fma_f64 v[45:46], -v[31:32], v[43:44], 1.0
	v_fma_f64 v[43:44], v[45:46], v[43:44], v[43:44]
	v_div_scale_f64 v[45:46], null, v[23:24], v[23:24], v[5:6]
	s_delay_alu instid0(VALU_DEP_2) | instskip(NEXT) | instid1(VALU_DEP_2)
	v_mul_f64 v[21:22], v[47:48], v[43:44]
	v_rcp_f64_e32 v[53:54], v[45:46]
	s_delay_alu instid0(VALU_DEP_1) | instskip(SKIP_3) | instid1(VALU_DEP_1)
	v_mul_f64 v[51:52], v[31:32], v[21:22]
	s_waitcnt_depctr 0xfff
	v_fma_f64 v[49:50], -v[45:46], v[53:54], 1.0
	v_fma_f64 v[31:32], v[21:22], v[31:32], -v[51:52]
	v_fma_f64 v[29:30], v[21:22], v[29:30], v[31:32]
	s_delay_alu instid0(VALU_DEP_3) | instskip(NEXT) | instid1(VALU_DEP_2)
	v_fma_f64 v[31:32], v[53:54], v[49:50], v[53:54]
	v_add_f64 v[49:50], v[51:52], v[29:30]
	s_delay_alu instid0(VALU_DEP_2) | instskip(NEXT) | instid1(VALU_DEP_2)
	v_fma_f64 v[53:54], -v[45:46], v[31:32], 1.0
	v_add_f64 v[55:56], v[47:48], -v[49:50]
	s_delay_alu instid0(VALU_DEP_2) | instskip(SKIP_1) | instid1(VALU_DEP_3)
	v_fma_f64 v[31:32], v[31:32], v[53:54], v[31:32]
	v_add_f64 v[51:52], v[49:50], -v[51:52]
	v_add_f64 v[47:48], v[47:48], -v[55:56]
	s_delay_alu instid0(VALU_DEP_3) | instskip(NEXT) | instid1(VALU_DEP_3)
	v_mul_f64 v[53:54], v[57:58], v[31:32]
	v_add_f64 v[29:30], v[51:52], -v[29:30]
	s_delay_alu instid0(VALU_DEP_3) | instskip(NEXT) | instid1(VALU_DEP_3)
	v_add_f64 v[47:48], v[47:48], -v[49:50]
	v_fma_f64 v[45:46], -v[45:46], v[53:54], v[57:58]
	s_delay_alu instid0(VALU_DEP_2) | instskip(NEXT) | instid1(VALU_DEP_2)
	v_add_f64 v[29:30], v[29:30], v[47:48]
	v_div_fmas_f64 v[31:32], v[45:46], v[31:32], v[53:54]
	v_subrev_co_ci_u32_e64 v1, vcc_lo, 0, v1, s7
	v_cmp_class_f64_e64 s7, v[25:26], 0x204
	v_cmp_gt_i32_e32 vcc_lo, 0, v2
	v_add_f64 v[29:30], v[55:56], v[29:30]
	v_div_fixup_f64 v[5:6], v[31:32], v[23:24], v[5:6]
	s_delay_alu instid0(VALU_DEP_2) | instskip(NEXT) | instid1(VALU_DEP_2)
	v_mul_f64 v[23:24], v[43:44], v[29:30]
	v_mul_f64 v[29:30], v[5:6], v[5:6]
	s_delay_alu instid0(VALU_DEP_2) | instskip(NEXT) | instid1(VALU_DEP_2)
	v_add_f64 v[31:32], v[21:22], v[23:24]
	v_fma_f64 v[43:44], v[29:30], s[50:51], s[48:49]
	s_delay_alu instid0(VALU_DEP_2) | instskip(NEXT) | instid1(VALU_DEP_2)
	v_mul_f64 v[45:46], v[31:32], v[31:32]
	v_fma_f64 v[43:44], v[29:30], v[43:44], s[52:53]
	v_add_f64 v[21:22], v[31:32], -v[21:22]
	s_delay_alu instid0(VALU_DEP_3) | instskip(NEXT) | instid1(VALU_DEP_3)
	v_fma_f64 v[47:48], v[45:46], s[30:31], s[28:29]
	v_fma_f64 v[43:44], v[29:30], v[43:44], s[54:55]
	v_mul_f64 v[49:50], v[31:32], v[45:46]
	s_delay_alu instid0(VALU_DEP_4) | instskip(NEXT) | instid1(VALU_DEP_4)
	v_add_f64 v[21:22], v[23:24], -v[21:22]
	v_fma_f64 v[47:48], v[45:46], v[47:48], s[36:37]
	s_delay_alu instid0(VALU_DEP_4) | instskip(NEXT) | instid1(VALU_DEP_3)
	v_fma_f64 v[43:44], v[29:30], v[43:44], s[56:57]
	v_ldexp_f64 v[21:22], v[21:22], 1
	s_delay_alu instid0(VALU_DEP_3) | instskip(NEXT) | instid1(VALU_DEP_3)
	v_fma_f64 v[47:48], v[45:46], v[47:48], s[38:39]
	v_fma_f64 v[43:44], v[29:30], v[43:44], s[58:59]
	s_delay_alu instid0(VALU_DEP_2) | instskip(NEXT) | instid1(VALU_DEP_2)
	v_fma_f64 v[47:48], v[45:46], v[47:48], s[40:41]
	v_fma_f64 v[43:44], v[29:30], v[43:44], s[60:61]
	s_delay_alu instid0(VALU_DEP_2) | instskip(NEXT) | instid1(VALU_DEP_2)
	;; [unrolled: 3-line block ×3, first 2 shown]
	v_fma_f64 v[45:46], v[45:46], v[47:48], s[98:99]
	v_fma_f64 v[43:44], v[29:30], v[43:44], s[64:65]
	v_ldexp_f64 v[47:48], v[31:32], 1
	s_delay_alu instid0(VALU_DEP_3) | instskip(NEXT) | instid1(VALU_DEP_3)
	v_mul_f64 v[45:46], v[49:50], v[45:46]
	v_fma_f64 v[43:44], v[29:30], v[43:44], s[66:67]
	v_cvt_f64_i32_e32 v[49:50], v1
	v_ashrrev_i32_e32 v1, 31, v2
	s_delay_alu instid0(VALU_DEP_1) | instskip(SKIP_4) | instid1(VALU_DEP_3)
	v_dual_cndmask_b32 v2, 0x54442d18, v59 :: v_dual_and_b32 v7, 0x54442d18, v1
	v_and_b32_e32 v1, 0x400921fb, v1
	v_add_f64 v[31:32], v[47:48], v[45:46]
	v_fma_f64 v[43:44], v[29:30], v[43:44], s[68:69]
	v_mul_f64 v[51:52], v[49:50], s[44:45]
	v_add_f64 v[23:24], v[31:32], -v[47:48]
	s_delay_alu instid0(VALU_DEP_3) | instskip(NEXT) | instid1(VALU_DEP_3)
	v_fma_f64 v[43:44], v[29:30], v[43:44], s[70:71]
	v_fma_f64 v[47:48], v[49:50], s[44:45], -v[51:52]
	s_delay_alu instid0(VALU_DEP_3) | instskip(NEXT) | instid1(VALU_DEP_3)
	v_add_f64 v[23:24], v[45:46], -v[23:24]
	v_fma_f64 v[43:44], v[29:30], v[43:44], s[72:73]
	s_delay_alu instid0(VALU_DEP_3) | instskip(NEXT) | instid1(VALU_DEP_3)
	v_fma_f64 v[45:46], v[49:50], s[46:47], v[47:48]
	v_add_f64 v[21:22], v[21:22], v[23:24]
	s_delay_alu instid0(VALU_DEP_3) | instskip(NEXT) | instid1(VALU_DEP_3)
	v_fma_f64 v[23:24], v[29:30], v[43:44], s[74:75]
	v_add_f64 v[43:44], v[51:52], v[45:46]
	s_delay_alu instid0(VALU_DEP_3) | instskip(NEXT) | instid1(VALU_DEP_3)
	v_add_f64 v[47:48], v[31:32], v[21:22]
	v_fma_f64 v[23:24], v[29:30], v[23:24], s[76:77]
	s_delay_alu instid0(VALU_DEP_3) | instskip(NEXT) | instid1(VALU_DEP_3)
	v_add_f64 v[51:52], v[43:44], -v[51:52]
	v_add_f64 v[49:50], v[43:44], v[47:48]
	s_delay_alu instid0(VALU_DEP_3) | instskip(SKIP_1) | instid1(VALU_DEP_4)
	v_fma_f64 v[23:24], v[29:30], v[23:24], s[78:79]
	v_add_f64 v[31:32], v[47:48], -v[31:32]
	v_add_f64 v[45:46], v[45:46], -v[51:52]
	s_delay_alu instid0(VALU_DEP_4) | instskip(NEXT) | instid1(VALU_DEP_4)
	v_add_f64 v[53:54], v[49:50], -v[43:44]
	v_fma_f64 v[23:24], v[29:30], v[23:24], s[80:81]
	s_delay_alu instid0(VALU_DEP_4) | instskip(NEXT) | instid1(VALU_DEP_3)
	v_add_f64 v[21:22], v[21:22], -v[31:32]
	v_add_f64 v[55:56], v[49:50], -v[53:54]
	s_delay_alu instid0(VALU_DEP_3) | instskip(SKIP_1) | instid1(VALU_DEP_4)
	v_fma_f64 v[23:24], v[29:30], v[23:24], s[82:83]
	v_add_f64 v[31:32], v[47:48], -v[53:54]
	v_add_f64 v[47:48], v[45:46], v[21:22]
	s_delay_alu instid0(VALU_DEP_4) | instskip(NEXT) | instid1(VALU_DEP_4)
	v_add_f64 v[43:44], v[43:44], -v[55:56]
	v_fma_f64 v[23:24], v[29:30], v[23:24], s[84:85]
	s_delay_alu instid0(VALU_DEP_2) | instskip(NEXT) | instid1(VALU_DEP_2)
	v_add_f64 v[31:32], v[31:32], v[43:44]
	v_fma_f64 v[23:24], v[29:30], v[23:24], s[86:87]
	v_add_f64 v[43:44], v[47:48], -v[45:46]
	s_delay_alu instid0(VALU_DEP_3) | instskip(NEXT) | instid1(VALU_DEP_3)
	v_add_f64 v[31:32], v[47:48], v[31:32]
	v_mul_f64 v[23:24], v[29:30], v[23:24]
	s_delay_alu instid0(VALU_DEP_3) | instskip(SKIP_1) | instid1(VALU_DEP_4)
	v_add_f64 v[29:30], v[47:48], -v[43:44]
	v_add_f64 v[21:22], v[21:22], -v[43:44]
	v_add_f64 v[47:48], v[49:50], v[31:32]
	s_delay_alu instid0(VALU_DEP_4) | instskip(NEXT) | instid1(VALU_DEP_4)
	v_fma_f64 v[5:6], v[5:6], v[23:24], v[5:6]
	v_add_f64 v[23:24], v[45:46], -v[29:30]
	s_delay_alu instid0(VALU_DEP_3) | instskip(NEXT) | instid1(VALU_DEP_3)
	v_add_f64 v[29:30], v[47:48], -v[49:50]
	v_add_f64 v[43:44], -v[5:6], s[88:89]
	s_delay_alu instid0(VALU_DEP_3) | instskip(NEXT) | instid1(VALU_DEP_3)
	v_add_f64 v[21:22], v[21:22], v[23:24]
	v_add_f64 v[23:24], v[31:32], -v[29:30]
	s_delay_alu instid0(VALU_DEP_3) | instskip(NEXT) | instid1(VALU_DEP_4)
	v_cndmask_b32_e64 v6, v6, v44, s6
	v_cndmask_b32_e64 v5, v5, v43, s6
	s_delay_alu instid0(VALU_DEP_3) | instskip(NEXT) | instid1(VALU_DEP_2)
	v_add_f64 v[21:22], v[21:22], v[23:24]
	v_add_f64 v[23:24], -v[5:6], s[16:17]
	s_delay_alu instid0(VALU_DEP_2) | instskip(NEXT) | instid1(VALU_DEP_2)
	v_add_f64 v[21:22], v[47:48], v[21:22]
	v_dual_cndmask_b32 v5, v5, v23 :: v_dual_cndmask_b32 v6, v6, v24
	v_cndmask_b32_e32 v23, 0x3fe921fb, v60, vcc_lo
	v_cmp_ngt_f64_e32 vcc_lo, 0, v[27:28]
	s_delay_alu instid0(VALU_DEP_3) | instskip(NEXT) | instid1(VALU_DEP_4)
	v_cndmask_b32_e64 v5, v5, v7, s8
	v_cndmask_b32_e64 v1, v6, v1, s8
	s_delay_alu instid0(VALU_DEP_4) | instskip(SKIP_3) | instid1(VALU_DEP_3)
	v_bfi_b32 v23, 0x7fffffff, v23, v4
	v_cndmask_b32_e64 v22, v22, v26, s7
	v_cndmask_b32_e64 v21, v21, v25, s7
	v_cmp_nge_f64_e64 s7, 0, v[27:28]
	v_cndmask_b32_e64 v22, v22, 0x7ff00000, s12
	s_delay_alu instid0(VALU_DEP_3) | instskip(NEXT) | instid1(VALU_DEP_2)
	v_cndmask_b32_e64 v6, v21, 0, s12
	v_cndmask_b32_e32 v7, 0x7ff80000, v22, vcc_lo
	s_and_b32 vcc_lo, s11, s10
	v_cndmask_b32_e32 v24, v1, v23, vcc_lo
	v_cndmask_b32_e32 v23, v5, v2, vcc_lo
	v_cndmask_b32_e64 v21, 0, v6, s7
	v_cmp_neq_f64_e64 s7, 0, v[27:28]
	s_delay_alu instid0(VALU_DEP_1)
	v_cndmask_b32_e64 v22, 0xfff00000, v7, s7
.LBB174_63:                             ;   in Loop: Header=BB174_4 Depth=1
	s_or_b32 exec_lo, exec_lo, s9
                                        ; implicit-def: $vgpr25_vgpr26
.LBB174_64:                             ;   in Loop: Header=BB174_4 Depth=1
	s_and_not1_saveexec_b32 s9, s91
	s_cbranch_execz .LBB174_70
; %bb.65:                               ;   in Loop: Header=BB174_4 Depth=1
                                        ; implicit-def: $vgpr21_vgpr22
	s_mov_b32 s7, exec_lo
	v_cmpx_ngt_f64_e32 s[92:93], v[25:26]
	s_xor_b32 s10, exec_lo, s7
	s_cbranch_execz .LBB174_67
; %bb.66:                               ;   in Loop: Header=BB174_4 Depth=1
	v_mul_f64 v[5:6], v[25:26], v[25:26]
	s_mov_b32 s99, s27
	s_mov_b32 s16, s88
	v_cmp_eq_f64_e64 s8, 0, v[3:4]
	v_cmp_class_f64_e64 s11, v[3:4], 0x204
	v_cmp_class_f64_e64 s12, v[1:2], 0x204
	v_cmp_gt_i32_e64 s7, 0, v2
	v_add_f64 v[21:22], v[5:6], 1.0
	s_delay_alu instid0(VALU_DEP_1) | instskip(SKIP_2) | instid1(VALU_DEP_3)
	v_frexp_mant_f64_e32 v[23:24], v[21:22]
	v_frexp_exp_i32_f64_e32 v7, v[21:22]
	v_add_f64 v[25:26], v[21:22], -1.0
	v_cmp_gt_f64_e32 vcc_lo, s[26:27], v[23:24]
	s_delay_alu instid0(VALU_DEP_2) | instskip(SKIP_2) | instid1(VALU_DEP_3)
	v_add_f64 v[23:24], v[25:26], -v[21:22]
	v_add_f64 v[25:26], v[5:6], -v[25:26]
	v_subrev_co_ci_u32_e32 v7, vcc_lo, 0, v7, vcc_lo
	v_add_f64 v[23:24], v[23:24], 1.0
	s_delay_alu instid0(VALU_DEP_2) | instskip(NEXT) | instid1(VALU_DEP_1)
	v_sub_nc_u32_e32 v29, 0, v7
	v_ldexp_f64 v[21:22], v[21:22], v29
	s_delay_alu instid0(VALU_DEP_3) | instskip(NEXT) | instid1(VALU_DEP_2)
	v_add_f64 v[23:24], v[25:26], v[23:24]
	v_add_f64 v[27:28], v[21:22], 1.0
	v_add_f64 v[43:44], v[21:22], -1.0
	s_delay_alu instid0(VALU_DEP_3) | instskip(NEXT) | instid1(VALU_DEP_3)
	v_ldexp_f64 v[23:24], v[23:24], v29
	v_add_f64 v[25:26], v[27:28], -1.0
	s_delay_alu instid0(VALU_DEP_3) | instskip(NEXT) | instid1(VALU_DEP_2)
	v_add_f64 v[45:46], v[43:44], 1.0
	v_add_f64 v[25:26], v[21:22], -v[25:26]
	s_delay_alu instid0(VALU_DEP_2) | instskip(NEXT) | instid1(VALU_DEP_2)
	v_add_f64 v[21:22], v[21:22], -v[45:46]
	v_add_f64 v[25:26], v[23:24], v[25:26]
	s_delay_alu instid0(VALU_DEP_2) | instskip(NEXT) | instid1(VALU_DEP_2)
	v_add_f64 v[21:22], v[23:24], v[21:22]
	v_add_f64 v[29:30], v[27:28], v[25:26]
	s_delay_alu instid0(VALU_DEP_2) | instskip(NEXT) | instid1(VALU_DEP_2)
	v_add_f64 v[45:46], v[43:44], v[21:22]
	v_rcp_f64_e32 v[31:32], v[29:30]
	v_add_f64 v[27:28], v[27:28], -v[29:30]
	s_delay_alu instid0(VALU_DEP_2) | instskip(NEXT) | instid1(VALU_DEP_2)
	v_add_f64 v[43:44], v[43:44], -v[45:46]
	v_add_f64 v[25:26], v[25:26], v[27:28]
	s_waitcnt_depctr 0xfff
	v_fma_f64 v[47:48], -v[29:30], v[31:32], 1.0
	v_add_f64 v[21:22], v[21:22], v[43:44]
	s_delay_alu instid0(VALU_DEP_2) | instskip(NEXT) | instid1(VALU_DEP_1)
	v_fma_f64 v[31:32], v[47:48], v[31:32], v[31:32]
	v_fma_f64 v[23:24], -v[29:30], v[31:32], 1.0
	s_delay_alu instid0(VALU_DEP_1) | instskip(NEXT) | instid1(VALU_DEP_1)
	v_fma_f64 v[23:24], v[23:24], v[31:32], v[31:32]
	v_mul_f64 v[31:32], v[45:46], v[23:24]
	s_delay_alu instid0(VALU_DEP_1) | instskip(NEXT) | instid1(VALU_DEP_1)
	v_mul_f64 v[47:48], v[29:30], v[31:32]
	v_fma_f64 v[27:28], v[31:32], v[29:30], -v[47:48]
	s_delay_alu instid0(VALU_DEP_1) | instskip(NEXT) | instid1(VALU_DEP_1)
	v_fma_f64 v[27:28], v[31:32], v[25:26], v[27:28]
	v_add_f64 v[49:50], v[47:48], v[27:28]
	s_delay_alu instid0(VALU_DEP_1) | instskip(SKIP_2) | instid1(VALU_DEP_3)
	v_add_f64 v[51:52], v[45:46], -v[49:50]
	v_add_f64 v[43:44], v[49:50], -v[47:48]
	v_max_f64 v[47:48], |v[3:4]|, |v[3:4]|
	v_add_f64 v[45:46], v[45:46], -v[51:52]
	s_delay_alu instid0(VALU_DEP_3) | instskip(NEXT) | instid1(VALU_DEP_2)
	v_add_f64 v[27:28], v[43:44], -v[27:28]
	v_add_f64 v[45:46], v[45:46], -v[49:50]
	v_max_f64 v[49:50], |v[1:2]|, |v[1:2]|
	s_delay_alu instid0(VALU_DEP_2) | instskip(NEXT) | instid1(VALU_DEP_2)
	v_add_f64 v[21:22], v[21:22], v[45:46]
	v_max_f64 v[53:54], v[49:50], v[47:48]
	v_min_f64 v[47:48], v[49:50], v[47:48]
	s_delay_alu instid0(VALU_DEP_3) | instskip(NEXT) | instid1(VALU_DEP_1)
	v_add_f64 v[21:22], v[27:28], v[21:22]
	v_add_f64 v[27:28], v[51:52], v[21:22]
	s_delay_alu instid0(VALU_DEP_1) | instskip(SKIP_1) | instid1(VALU_DEP_2)
	v_mul_f64 v[43:44], v[23:24], v[27:28]
	v_add_f64 v[51:52], v[51:52], -v[27:28]
	v_mul_f64 v[45:46], v[29:30], v[43:44]
	s_delay_alu instid0(VALU_DEP_2) | instskip(NEXT) | instid1(VALU_DEP_2)
	v_add_f64 v[21:22], v[21:22], v[51:52]
	v_fma_f64 v[29:30], v[43:44], v[29:30], -v[45:46]
	s_delay_alu instid0(VALU_DEP_1) | instskip(SKIP_1) | instid1(VALU_DEP_2)
	v_fma_f64 v[25:26], v[43:44], v[25:26], v[29:30]
	v_div_scale_f64 v[29:30], null, v[53:54], v[53:54], v[47:48]
	v_add_f64 v[49:50], v[45:46], v[25:26]
	s_delay_alu instid0(VALU_DEP_2) | instskip(NEXT) | instid1(VALU_DEP_1)
	v_rcp_f64_e32 v[55:56], v[29:30]
	v_add_f64 v[57:58], v[27:28], -v[49:50]
	v_add_f64 v[45:46], v[49:50], -v[45:46]
	s_waitcnt_depctr 0xfff
	v_fma_f64 v[61:62], -v[29:30], v[55:56], 1.0
	v_add_f64 v[27:28], v[27:28], -v[57:58]
	v_add_f64 v[25:26], v[45:46], -v[25:26]
	s_delay_alu instid0(VALU_DEP_3) | instskip(NEXT) | instid1(VALU_DEP_3)
	v_fma_f64 v[55:56], v[55:56], v[61:62], v[55:56]
	v_add_f64 v[27:28], v[27:28], -v[49:50]
	s_delay_alu instid0(VALU_DEP_2) | instskip(NEXT) | instid1(VALU_DEP_2)
	v_fma_f64 v[49:50], -v[29:30], v[55:56], 1.0
	v_add_f64 v[21:22], v[21:22], v[27:28]
	v_div_scale_f64 v[27:28], vcc_lo, v[47:48], v[53:54], v[47:48]
	s_delay_alu instid0(VALU_DEP_3) | instskip(SKIP_1) | instid1(VALU_DEP_4)
	v_fma_f64 v[45:46], v[55:56], v[49:50], v[55:56]
	v_add_f64 v[49:50], v[31:32], v[43:44]
	v_add_f64 v[21:22], v[25:26], v[21:22]
	s_delay_alu instid0(VALU_DEP_3) | instskip(NEXT) | instid1(VALU_DEP_3)
	v_mul_f64 v[25:26], v[27:28], v[45:46]
	v_add_f64 v[31:32], v[49:50], -v[31:32]
	s_delay_alu instid0(VALU_DEP_3) | instskip(NEXT) | instid1(VALU_DEP_3)
	v_add_f64 v[21:22], v[57:58], v[21:22]
	v_fma_f64 v[27:28], -v[29:30], v[25:26], v[27:28]
	s_delay_alu instid0(VALU_DEP_3) | instskip(NEXT) | instid1(VALU_DEP_3)
	v_add_f64 v[29:30], v[43:44], -v[31:32]
	v_mul_f64 v[21:22], v[23:24], v[21:22]
	s_delay_alu instid0(VALU_DEP_3) | instskip(SKIP_1) | instid1(VALU_DEP_3)
	v_div_fmas_f64 v[23:24], v[27:28], v[45:46], v[25:26]
	v_cmp_eq_f64_e32 vcc_lo, 0x7ff00000, v[5:6]
	v_add_f64 v[21:22], v[29:30], v[21:22]
	s_delay_alu instid0(VALU_DEP_3) | instskip(NEXT) | instid1(VALU_DEP_2)
	v_div_fixup_f64 v[23:24], v[23:24], v[53:54], v[47:48]
	v_add_f64 v[25:26], v[49:50], v[21:22]
	s_delay_alu instid0(VALU_DEP_2) | instskip(NEXT) | instid1(VALU_DEP_2)
	v_mul_f64 v[27:28], v[23:24], v[23:24]
	v_mul_f64 v[29:30], v[25:26], v[25:26]
	s_delay_alu instid0(VALU_DEP_2) | instskip(NEXT) | instid1(VALU_DEP_2)
	v_fma_f64 v[31:32], v[27:28], s[50:51], s[48:49]
	v_fma_f64 v[43:44], v[29:30], s[30:31], s[28:29]
	v_mul_f64 v[45:46], v[25:26], v[29:30]
	s_delay_alu instid0(VALU_DEP_3) | instskip(NEXT) | instid1(VALU_DEP_3)
	v_fma_f64 v[31:32], v[27:28], v[31:32], s[52:53]
	v_fma_f64 v[43:44], v[29:30], v[43:44], s[36:37]
	s_delay_alu instid0(VALU_DEP_2) | instskip(NEXT) | instid1(VALU_DEP_2)
	v_fma_f64 v[31:32], v[27:28], v[31:32], s[54:55]
	v_fma_f64 v[43:44], v[29:30], v[43:44], s[38:39]
	s_delay_alu instid0(VALU_DEP_2) | instskip(NEXT) | instid1(VALU_DEP_2)
	;; [unrolled: 3-line block ×4, first 2 shown]
	v_fma_f64 v[31:32], v[27:28], v[31:32], s[60:61]
	v_fma_f64 v[29:30], v[29:30], v[43:44], s[98:99]
	v_ldexp_f64 v[43:44], v[25:26], 1
	v_add_f64 v[25:26], v[25:26], -v[49:50]
	s_delay_alu instid0(VALU_DEP_4) | instskip(NEXT) | instid1(VALU_DEP_4)
	v_fma_f64 v[31:32], v[27:28], v[31:32], s[62:63]
	v_mul_f64 v[29:30], v[45:46], v[29:30]
	v_cvt_f64_i32_e32 v[45:46], v7
	s_delay_alu instid0(VALU_DEP_4) | instskip(NEXT) | instid1(VALU_DEP_4)
	v_add_f64 v[21:22], v[21:22], -v[25:26]
	v_fma_f64 v[31:32], v[27:28], v[31:32], s[64:65]
	v_ashrrev_i32_e32 v7, 31, v2
	v_add_f64 v[47:48], v[43:44], v[29:30]
	v_mul_f64 v[49:50], v[45:46], s[44:45]
	v_ldexp_f64 v[21:22], v[21:22], 1
	v_fma_f64 v[31:32], v[27:28], v[31:32], s[66:67]
	s_delay_alu instid0(VALU_DEP_4) | instskip(NEXT) | instid1(VALU_DEP_4)
	v_add_f64 v[25:26], v[47:48], -v[43:44]
	v_fma_f64 v[43:44], v[45:46], s[44:45], -v[49:50]
	s_delay_alu instid0(VALU_DEP_3) | instskip(NEXT) | instid1(VALU_DEP_3)
	v_fma_f64 v[31:32], v[27:28], v[31:32], s[68:69]
	v_add_f64 v[25:26], v[29:30], -v[25:26]
	s_delay_alu instid0(VALU_DEP_2) | instskip(NEXT) | instid1(VALU_DEP_4)
	v_fma_f64 v[29:30], v[27:28], v[31:32], s[70:71]
	v_fma_f64 v[31:32], v[45:46], s[46:47], v[43:44]
	s_delay_alu instid0(VALU_DEP_3) | instskip(NEXT) | instid1(VALU_DEP_3)
	v_add_f64 v[21:22], v[21:22], v[25:26]
	v_fma_f64 v[25:26], v[27:28], v[29:30], s[72:73]
	s_delay_alu instid0(VALU_DEP_3) | instskip(NEXT) | instid1(VALU_DEP_3)
	v_add_f64 v[29:30], v[49:50], v[31:32]
	v_add_f64 v[43:44], v[47:48], v[21:22]
	s_delay_alu instid0(VALU_DEP_3) | instskip(NEXT) | instid1(VALU_DEP_3)
	v_fma_f64 v[25:26], v[27:28], v[25:26], s[74:75]
	v_add_f64 v[49:50], v[29:30], -v[49:50]
	s_delay_alu instid0(VALU_DEP_3) | instskip(SKIP_1) | instid1(VALU_DEP_4)
	v_add_f64 v[45:46], v[29:30], v[43:44]
	v_add_f64 v[47:48], v[43:44], -v[47:48]
	v_fma_f64 v[25:26], v[27:28], v[25:26], s[76:77]
	s_delay_alu instid0(VALU_DEP_4) | instskip(NEXT) | instid1(VALU_DEP_4)
	v_add_f64 v[31:32], v[31:32], -v[49:50]
	v_add_f64 v[51:52], v[45:46], -v[29:30]
	s_delay_alu instid0(VALU_DEP_4) | instskip(NEXT) | instid1(VALU_DEP_4)
	v_add_f64 v[21:22], v[21:22], -v[47:48]
	v_fma_f64 v[25:26], v[27:28], v[25:26], s[78:79]
	s_delay_alu instid0(VALU_DEP_3) | instskip(SKIP_1) | instid1(VALU_DEP_4)
	v_add_f64 v[53:54], v[45:46], -v[51:52]
	v_add_f64 v[43:44], v[43:44], -v[51:52]
	v_add_f64 v[47:48], v[31:32], v[21:22]
	s_delay_alu instid0(VALU_DEP_4) | instskip(NEXT) | instid1(VALU_DEP_4)
	v_fma_f64 v[25:26], v[27:28], v[25:26], s[80:81]
	v_add_f64 v[29:30], v[29:30], -v[53:54]
	s_delay_alu instid0(VALU_DEP_2) | instskip(NEXT) | instid1(VALU_DEP_2)
	v_fma_f64 v[25:26], v[27:28], v[25:26], s[82:83]
	v_add_f64 v[29:30], v[43:44], v[29:30]
	v_add_f64 v[43:44], v[47:48], -v[31:32]
	s_delay_alu instid0(VALU_DEP_3) | instskip(NEXT) | instid1(VALU_DEP_3)
	v_fma_f64 v[25:26], v[27:28], v[25:26], s[84:85]
	v_add_f64 v[29:30], v[47:48], v[29:30]
	s_delay_alu instid0(VALU_DEP_3) | instskip(SKIP_1) | instid1(VALU_DEP_4)
	v_add_f64 v[47:48], v[47:48], -v[43:44]
	v_add_f64 v[21:22], v[21:22], -v[43:44]
	v_fma_f64 v[25:26], v[27:28], v[25:26], s[86:87]
	s_delay_alu instid0(VALU_DEP_4) | instskip(NEXT) | instid1(VALU_DEP_2)
	v_add_f64 v[49:50], v[45:46], v[29:30]
	v_mul_f64 v[25:26], v[27:28], v[25:26]
	v_add_f64 v[27:28], v[31:32], -v[47:48]
	s_delay_alu instid0(VALU_DEP_3) | instskip(NEXT) | instid1(VALU_DEP_3)
	v_add_f64 v[31:32], v[49:50], -v[45:46]
	v_fma_f64 v[23:24], v[23:24], v[25:26], v[23:24]
	s_delay_alu instid0(VALU_DEP_3) | instskip(NEXT) | instid1(VALU_DEP_3)
	v_add_f64 v[21:22], v[21:22], v[27:28]
	v_add_f64 v[25:26], v[29:30], -v[31:32]
	s_delay_alu instid0(VALU_DEP_3) | instskip(NEXT) | instid1(VALU_DEP_2)
	v_add_f64 v[27:28], -v[23:24], s[88:89]
	v_add_f64 v[21:22], v[21:22], v[25:26]
	s_delay_alu instid0(VALU_DEP_2) | instskip(NEXT) | instid1(VALU_DEP_3)
	v_cndmask_b32_e64 v24, v24, v28, s6
	v_cndmask_b32_e64 v23, v23, v27, s6
	;; [unrolled: 1-line block ×3, first 2 shown]
	s_delay_alu instid0(VALU_DEP_2) | instskip(SKIP_2) | instid1(VALU_DEP_3)
	v_add_f64 v[25:26], -v[23:24], s[16:17]
	v_add_f64 v[21:22], v[49:50], v[21:22]
	v_and_b32_e32 v28, 0x54442d18, v7
	v_cndmask_b32_e64 v23, v23, v25, s7
	s_delay_alu instid0(VALU_DEP_3) | instskip(SKIP_1) | instid1(VALU_DEP_3)
	v_dual_cndmask_b32 v1, v21, v5 :: v_dual_cndmask_b32 v2, v22, v6
	v_cndmask_b32_e64 v5, v24, v26, s7
	v_cndmask_b32_e64 v6, v23, v28, s8
	s_and_b32 vcc_lo, s11, s12
                                        ; implicit-def: $vgpr25_vgpr26
	s_delay_alu instid0(VALU_DEP_3) | instskip(SKIP_3) | instid1(VALU_DEP_3)
	v_mul_f64 v[21:22], v[1:2], 0.5
	v_cndmask_b32_e64 v1, 0x3fe921fb, v60, s7
	v_and_b32_e32 v2, 0x400921fb, v7
	v_cndmask_b32_e32 v23, v6, v27, vcc_lo
	v_bfi_b32 v1, 0x7fffffff, v1, v4
	s_delay_alu instid0(VALU_DEP_3) | instskip(NEXT) | instid1(VALU_DEP_1)
	v_cndmask_b32_e64 v2, v5, v2, s8
	v_cndmask_b32_e32 v24, v2, v1, vcc_lo
.LBB174_67:                             ;   in Loop: Header=BB174_4 Depth=1
	s_and_not1_saveexec_b32 s8, s10
	s_cbranch_execz .LBB174_69
; %bb.68:                               ;   in Loop: Header=BB174_4 Depth=1
	v_max_f64 v[5:6], |v[3:4]|, |v[3:4]|
	v_max_f64 v[21:22], |v[1:2]|, |v[1:2]|
	s_mov_b32 s16, s88
	v_cmp_eq_f64_e64 s7, 0, v[3:4]
	v_cmp_class_f64_e64 s10, v[3:4], 0x204
	v_cmp_class_f64_e64 s11, v[1:2], 0x204
	v_ashrrev_i32_e32 v7, 31, v2
	v_max_f64 v[23:24], v[21:22], v[5:6]
	v_min_f64 v[5:6], v[21:22], v[5:6]
	s_delay_alu instid0(VALU_DEP_1) | instskip(SKIP_1) | instid1(VALU_DEP_2)
	v_div_scale_f64 v[21:22], null, v[23:24], v[23:24], v[5:6]
	v_div_scale_f64 v[31:32], vcc_lo, v[5:6], v[23:24], v[5:6]
	v_rcp_f64_e32 v[27:28], v[21:22]
	s_waitcnt_depctr 0xfff
	v_fma_f64 v[29:30], -v[21:22], v[27:28], 1.0
	s_delay_alu instid0(VALU_DEP_1) | instskip(NEXT) | instid1(VALU_DEP_1)
	v_fma_f64 v[27:28], v[27:28], v[29:30], v[27:28]
	v_fma_f64 v[29:30], -v[21:22], v[27:28], 1.0
	s_delay_alu instid0(VALU_DEP_1) | instskip(NEXT) | instid1(VALU_DEP_1)
	v_fma_f64 v[27:28], v[27:28], v[29:30], v[27:28]
	v_mul_f64 v[29:30], v[31:32], v[27:28]
	s_delay_alu instid0(VALU_DEP_1) | instskip(NEXT) | instid1(VALU_DEP_1)
	v_fma_f64 v[21:22], -v[21:22], v[29:30], v[31:32]
	v_div_fmas_f64 v[21:22], v[21:22], v[27:28], v[29:30]
	v_mul_f64 v[27:28], v[25:26], 0.5
	v_cmp_gt_i32_e32 vcc_lo, 0, v2
	v_cndmask_b32_e32 v29, 0x54442d18, v59, vcc_lo
	v_cndmask_b32_e32 v1, 0x3fe921fb, v60, vcc_lo
	s_delay_alu instid0(VALU_DEP_1) | instskip(SKIP_1) | instid1(VALU_DEP_1)
	v_bfi_b32 v1, 0x7fffffff, v1, v4
	v_div_fixup_f64 v[5:6], v[21:22], v[23:24], v[5:6]
	v_mul_f64 v[21:22], v[5:6], v[5:6]
	s_delay_alu instid0(VALU_DEP_1) | instskip(NEXT) | instid1(VALU_DEP_1)
	v_fma_f64 v[23:24], v[21:22], s[50:51], s[48:49]
	v_fma_f64 v[23:24], v[21:22], v[23:24], s[52:53]
	s_delay_alu instid0(VALU_DEP_1) | instskip(NEXT) | instid1(VALU_DEP_1)
	v_fma_f64 v[23:24], v[21:22], v[23:24], s[54:55]
	v_fma_f64 v[23:24], v[21:22], v[23:24], s[56:57]
	;; [unrolled: 3-line block ×9, first 2 shown]
	s_delay_alu instid0(VALU_DEP_1) | instskip(NEXT) | instid1(VALU_DEP_1)
	v_fma_f64 v[23:24], v[21:22], v[23:24], s[86:87]
	v_mul_f64 v[21:22], v[21:22], v[23:24]
	s_delay_alu instid0(VALU_DEP_1) | instskip(NEXT) | instid1(VALU_DEP_1)
	v_fma_f64 v[5:6], v[5:6], v[21:22], v[5:6]
	v_add_f64 v[21:22], -v[5:6], s[88:89]
	s_delay_alu instid0(VALU_DEP_1) | instskip(NEXT) | instid1(VALU_DEP_2)
	v_cndmask_b32_e64 v6, v6, v22, s6
	v_cndmask_b32_e64 v5, v5, v21, s6
	s_delay_alu instid0(VALU_DEP_1) | instskip(NEXT) | instid1(VALU_DEP_1)
	v_add_f64 v[22:23], -v[5:6], s[16:17]
	v_dual_cndmask_b32 v5, v5, v22 :: v_dual_and_b32 v24, 0x54442d18, v7
	v_mul_f64 v[21:22], v[25:26], v[27:28]
	s_delay_alu instid0(VALU_DEP_3) | instskip(SKIP_1) | instid1(VALU_DEP_3)
	v_cndmask_b32_e32 v6, v6, v23, vcc_lo
	s_and_b32 vcc_lo, s10, s11
	v_cndmask_b32_e64 v5, v5, v24, s7
	s_delay_alu instid0(VALU_DEP_1) | instskip(NEXT) | instid1(VALU_DEP_1)
	v_dual_cndmask_b32 v23, v5, v29 :: v_dual_and_b32 v2, 0x400921fb, v7
	v_cndmask_b32_e64 v2, v6, v2, s7
	s_delay_alu instid0(VALU_DEP_1)
	v_cndmask_b32_e32 v24, v2, v1, vcc_lo
.LBB174_69:                             ;   in Loop: Header=BB174_4 Depth=1
	s_or_b32 exec_lo, exec_lo, s8
.LBB174_70:                             ;   in Loop: Header=BB174_4 Depth=1
	s_delay_alu instid0(SALU_CYCLE_1)
	s_or_b32 exec_lo, exec_lo, s9
.LBB174_71:                             ;   in Loop: Header=BB174_4 Depth=1
	s_and_not1_saveexec_b32 s9, s90
	s_cbranch_execz .LBB174_73
; %bb.72:                               ;   in Loop: Header=BB174_4 Depth=1
	v_div_scale_f64 v[5:6], null, s[94:95], s[94:95], v[1:2]
	v_div_scale_f64 v[21:22], null, s[94:95], s[94:95], v[3:4]
	v_div_scale_f64 v[31:32], vcc_lo, v[1:2], s[94:95], v[1:2]
	v_max_f64 v[45:46], |v[1:2]|, |v[1:2]|
	s_mov_b32 s99, s27
	s_mov_b32 s16, s88
	s_delay_alu instid0(VALU_DEP_4) | instskip(NEXT) | instid1(VALU_DEP_3)
	v_rcp_f64_e32 v[23:24], v[5:6]
	v_rcp_f64_e32 v[25:26], v[21:22]
	s_waitcnt_depctr 0xfff
	v_fma_f64 v[27:28], -v[5:6], v[23:24], 1.0
	v_fma_f64 v[29:30], -v[21:22], v[25:26], 1.0
	s_delay_alu instid0(VALU_DEP_2) | instskip(NEXT) | instid1(VALU_DEP_2)
	v_fma_f64 v[23:24], v[23:24], v[27:28], v[23:24]
	v_fma_f64 v[25:26], v[25:26], v[29:30], v[25:26]
	s_delay_alu instid0(VALU_DEP_2) | instskip(NEXT) | instid1(VALU_DEP_2)
	v_fma_f64 v[27:28], -v[5:6], v[23:24], 1.0
	v_fma_f64 v[29:30], -v[21:22], v[25:26], 1.0
	s_delay_alu instid0(VALU_DEP_2) | instskip(SKIP_1) | instid1(VALU_DEP_3)
	v_fma_f64 v[23:24], v[23:24], v[27:28], v[23:24]
	v_div_scale_f64 v[27:28], s7, v[3:4], s[94:95], v[3:4]
	v_fma_f64 v[25:26], v[25:26], v[29:30], v[25:26]
	s_delay_alu instid0(VALU_DEP_3) | instskip(NEXT) | instid1(VALU_DEP_2)
	v_mul_f64 v[29:30], v[31:32], v[23:24]
	v_mul_f64 v[43:44], v[27:28], v[25:26]
	s_delay_alu instid0(VALU_DEP_2) | instskip(NEXT) | instid1(VALU_DEP_2)
	v_fma_f64 v[5:6], -v[5:6], v[29:30], v[31:32]
	v_fma_f64 v[21:22], -v[21:22], v[43:44], v[27:28]
	s_delay_alu instid0(VALU_DEP_2) | instskip(SKIP_1) | instid1(VALU_DEP_2)
	v_div_fmas_f64 v[5:6], v[5:6], v[23:24], v[29:30]
	s_mov_b32 vcc_lo, s7
	v_div_fmas_f64 v[21:22], v[21:22], v[25:26], v[43:44]
	s_delay_alu instid0(VALU_DEP_2) | instskip(NEXT) | instid1(VALU_DEP_2)
	v_div_fixup_f64 v[5:6], v[5:6], s[94:95], v[1:2]
	v_div_fixup_f64 v[21:22], v[21:22], s[94:95], v[3:4]
	s_delay_alu instid0(VALU_DEP_2) | instskip(NEXT) | instid1(VALU_DEP_2)
	v_cmp_class_f64_e64 s8, v[5:6], 0x204
	v_max_f64 v[23:24], |v[5:6]|, |v[21:22]|
	v_cmp_o_f64_e64 s7, v[5:6], v[21:22]
	v_cmp_class_f64_e64 s10, v[21:22], 0x204
	s_delay_alu instid0(VALU_DEP_3) | instskip(NEXT) | instid1(VALU_DEP_2)
	v_frexp_exp_i32_f64_e32 v7, v[23:24]
	s_or_b32 s10, s10, s8
	s_delay_alu instid0(VALU_DEP_1) | instskip(NEXT) | instid1(VALU_DEP_1)
	v_sub_nc_u32_e32 v25, 0, v7
	v_ldexp_f64 v[23:24], |v[21:22]|, v25
	v_ldexp_f64 v[25:26], |v[5:6]|, v25
	s_delay_alu instid0(VALU_DEP_2) | instskip(NEXT) | instid1(VALU_DEP_1)
	v_mul_f64 v[23:24], v[23:24], v[23:24]
	v_fma_f64 v[23:24], v[25:26], v[25:26], v[23:24]
	s_delay_alu instid0(VALU_DEP_1) | instskip(SKIP_4) | instid1(VALU_DEP_1)
	v_rsq_f64_e32 v[25:26], v[23:24]
	v_cmp_eq_f64_e32 vcc_lo, 0, v[23:24]
	s_waitcnt_depctr 0xfff
	v_mul_f64 v[27:28], v[23:24], v[25:26]
	v_mul_f64 v[25:26], v[25:26], 0.5
	v_fma_f64 v[29:30], -v[25:26], v[27:28], 0.5
	s_delay_alu instid0(VALU_DEP_1) | instskip(SKIP_1) | instid1(VALU_DEP_2)
	v_fma_f64 v[27:28], v[27:28], v[29:30], v[27:28]
	v_fma_f64 v[25:26], v[25:26], v[29:30], v[25:26]
	v_fma_f64 v[29:30], -v[27:28], v[27:28], v[23:24]
	s_delay_alu instid0(VALU_DEP_1) | instskip(NEXT) | instid1(VALU_DEP_1)
	v_fma_f64 v[25:26], v[29:30], v[25:26], v[27:28]
	v_dual_cndmask_b32 v24, v26, v24 :: v_dual_cndmask_b32 v23, v25, v23
	s_delay_alu instid0(VALU_DEP_1) | instskip(NEXT) | instid1(VALU_DEP_1)
	v_ldexp_f64 v[23:24], v[23:24], v7
	v_cndmask_b32_e64 v7, 0, v23, s7
	s_delay_alu instid0(VALU_DEP_2) | instskip(NEXT) | instid1(VALU_DEP_2)
	v_cndmask_b32_e64 v57, 0x7ff80000, v24, s7
	v_cndmask_b32_e64 v5, v7, 0, s10
	s_delay_alu instid0(VALU_DEP_2) | instskip(NEXT) | instid1(VALU_DEP_1)
	v_cndmask_b32_e64 v6, v57, 0x7ff00000, s10
	v_frexp_mant_f64_e32 v[21:22], v[5:6]
	s_delay_alu instid0(VALU_DEP_1) | instskip(NEXT) | instid1(VALU_DEP_1)
	v_cmp_gt_f64_e64 s8, s[26:27], v[21:22]
	v_cndmask_b32_e64 v34, 0x3ff00000, 2.0, s8
	s_delay_alu instid0(VALU_DEP_1) | instskip(SKIP_1) | instid1(VALU_DEP_2)
	v_mul_f64 v[21:22], v[21:22], v[33:34]
	v_frexp_exp_i32_f64_e32 v34, v[5:6]
	v_add_f64 v[25:26], v[21:22], 1.0
	v_add_f64 v[31:32], v[21:22], -1.0
	s_delay_alu instid0(VALU_DEP_2) | instskip(SKIP_1) | instid1(VALU_DEP_1)
	v_rcp_f64_e32 v[27:28], v[25:26]
	v_add_f64 v[47:48], v[25:26], -1.0
	v_add_f64 v[21:22], v[21:22], -v[47:48]
	s_waitcnt_depctr 0xfff
	v_fma_f64 v[29:30], -v[25:26], v[27:28], 1.0
	s_delay_alu instid0(VALU_DEP_1) | instskip(NEXT) | instid1(VALU_DEP_1)
	v_fma_f64 v[27:28], v[29:30], v[27:28], v[27:28]
	v_fma_f64 v[29:30], -v[25:26], v[27:28], 1.0
	s_delay_alu instid0(VALU_DEP_1) | instskip(SKIP_1) | instid1(VALU_DEP_2)
	v_fma_f64 v[27:28], v[29:30], v[27:28], v[27:28]
	v_max_f64 v[29:30], |v[3:4]|, |v[3:4]|
	v_mul_f64 v[43:44], v[31:32], v[27:28]
	s_delay_alu instid0(VALU_DEP_2) | instskip(SKIP_1) | instid1(VALU_DEP_3)
	v_max_f64 v[51:52], v[45:46], v[29:30]
	v_min_f64 v[29:30], v[45:46], v[29:30]
	v_mul_f64 v[49:50], v[25:26], v[43:44]
	s_delay_alu instid0(VALU_DEP_2) | instskip(NEXT) | instid1(VALU_DEP_2)
	v_div_scale_f64 v[45:46], null, v[51:52], v[51:52], v[29:30]
	v_fma_f64 v[25:26], v[43:44], v[25:26], -v[49:50]
	s_delay_alu instid0(VALU_DEP_1) | instskip(NEXT) | instid1(VALU_DEP_3)
	v_fma_f64 v[21:22], v[43:44], v[21:22], v[25:26]
	v_rcp_f64_e32 v[25:26], v[45:46]
	s_delay_alu instid0(VALU_DEP_1) | instskip(SKIP_4) | instid1(VALU_DEP_3)
	v_add_f64 v[47:48], v[49:50], v[21:22]
	s_waitcnt_depctr 0xfff
	v_fma_f64 v[53:54], -v[45:46], v[25:26], 1.0
	v_add_f64 v[55:56], v[31:32], -v[47:48]
	v_add_f64 v[49:50], v[47:48], -v[49:50]
	v_fma_f64 v[25:26], v[25:26], v[53:54], v[25:26]
	s_delay_alu instid0(VALU_DEP_3) | instskip(NEXT) | instid1(VALU_DEP_3)
	v_add_f64 v[31:32], v[31:32], -v[55:56]
	v_add_f64 v[21:22], v[49:50], -v[21:22]
	s_delay_alu instid0(VALU_DEP_3) | instskip(NEXT) | instid1(VALU_DEP_3)
	v_fma_f64 v[53:54], -v[45:46], v[25:26], 1.0
	v_add_f64 v[31:32], v[31:32], -v[47:48]
	v_div_scale_f64 v[47:48], vcc_lo, v[29:30], v[51:52], v[29:30]
	s_delay_alu instid0(VALU_DEP_3) | instskip(NEXT) | instid1(VALU_DEP_3)
	v_fma_f64 v[25:26], v[25:26], v[53:54], v[25:26]
	v_add_f64 v[21:22], v[21:22], v[31:32]
	s_delay_alu instid0(VALU_DEP_2) | instskip(NEXT) | instid1(VALU_DEP_2)
	v_mul_f64 v[31:32], v[47:48], v[25:26]
	v_add_f64 v[21:22], v[55:56], v[21:22]
	s_delay_alu instid0(VALU_DEP_2) | instskip(NEXT) | instid1(VALU_DEP_2)
	v_fma_f64 v[45:46], -v[45:46], v[31:32], v[47:48]
	v_mul_f64 v[21:22], v[27:28], v[21:22]
	s_delay_alu instid0(VALU_DEP_2) | instskip(SKIP_2) | instid1(VALU_DEP_4)
	v_div_fmas_f64 v[25:26], v[45:46], v[25:26], v[31:32]
	v_subrev_co_ci_u32_e64 v34, vcc_lo, 0, v34, s8
	v_cmp_class_f64_e64 s8, v[1:2], 0x204
	v_add_f64 v[27:28], v[43:44], v[21:22]
	s_delay_alu instid0(VALU_DEP_4) | instskip(NEXT) | instid1(VALU_DEP_2)
	v_div_fixup_f64 v[25:26], v[25:26], v[51:52], v[29:30]
	v_mul_f64 v[29:30], v[27:28], v[27:28]
	s_delay_alu instid0(VALU_DEP_2) | instskip(NEXT) | instid1(VALU_DEP_2)
	v_mul_f64 v[31:32], v[25:26], v[25:26]
	v_fma_f64 v[45:46], v[29:30], s[30:31], s[28:29]
	v_mul_f64 v[49:50], v[27:28], v[29:30]
	s_delay_alu instid0(VALU_DEP_3) | instskip(NEXT) | instid1(VALU_DEP_3)
	v_fma_f64 v[47:48], v[31:32], s[50:51], s[48:49]
	v_fma_f64 v[45:46], v[29:30], v[45:46], s[36:37]
	s_delay_alu instid0(VALU_DEP_2) | instskip(NEXT) | instid1(VALU_DEP_2)
	v_fma_f64 v[47:48], v[31:32], v[47:48], s[52:53]
	v_fma_f64 v[45:46], v[29:30], v[45:46], s[38:39]
	s_delay_alu instid0(VALU_DEP_2) | instskip(NEXT) | instid1(VALU_DEP_2)
	;; [unrolled: 3-line block ×4, first 2 shown]
	v_fma_f64 v[47:48], v[31:32], v[47:48], s[58:59]
	v_fma_f64 v[29:30], v[29:30], v[45:46], s[98:99]
	s_delay_alu instid0(VALU_DEP_2) | instskip(SKIP_2) | instid1(VALU_DEP_4)
	v_fma_f64 v[45:46], v[31:32], v[47:48], s[60:61]
	v_ldexp_f64 v[47:48], v[27:28], 1
	v_add_f64 v[27:28], v[27:28], -v[43:44]
	v_mul_f64 v[29:30], v[49:50], v[29:30]
	v_cvt_f64_i32_e32 v[49:50], v34
	v_fma_f64 v[45:46], v[31:32], v[45:46], s[62:63]
	s_delay_alu instid0(VALU_DEP_4) | instskip(NEXT) | instid1(VALU_DEP_4)
	v_add_f64 v[21:22], v[21:22], -v[27:28]
	v_add_f64 v[43:44], v[47:48], v[29:30]
	s_delay_alu instid0(VALU_DEP_4) | instskip(NEXT) | instid1(VALU_DEP_4)
	v_mul_f64 v[51:52], v[49:50], s[44:45]
	v_fma_f64 v[45:46], v[31:32], v[45:46], s[64:65]
	s_delay_alu instid0(VALU_DEP_4) | instskip(NEXT) | instid1(VALU_DEP_4)
	v_ldexp_f64 v[21:22], v[21:22], 1
	v_add_f64 v[27:28], v[43:44], -v[47:48]
	s_delay_alu instid0(VALU_DEP_4) | instskip(NEXT) | instid1(VALU_DEP_4)
	v_fma_f64 v[47:48], v[49:50], s[44:45], -v[51:52]
	v_fma_f64 v[45:46], v[31:32], v[45:46], s[66:67]
	s_delay_alu instid0(VALU_DEP_3) | instskip(NEXT) | instid1(VALU_DEP_2)
	v_add_f64 v[27:28], v[29:30], -v[27:28]
	v_fma_f64 v[29:30], v[31:32], v[45:46], s[68:69]
	s_delay_alu instid0(VALU_DEP_4) | instskip(NEXT) | instid1(VALU_DEP_3)
	v_fma_f64 v[45:46], v[49:50], s[46:47], v[47:48]
	v_add_f64 v[21:22], v[21:22], v[27:28]
	s_delay_alu instid0(VALU_DEP_3) | instskip(NEXT) | instid1(VALU_DEP_3)
	v_fma_f64 v[27:28], v[31:32], v[29:30], s[70:71]
	v_add_f64 v[29:30], v[51:52], v[45:46]
	s_delay_alu instid0(VALU_DEP_3) | instskip(NEXT) | instid1(VALU_DEP_3)
	v_add_f64 v[47:48], v[43:44], v[21:22]
	v_fma_f64 v[27:28], v[31:32], v[27:28], s[72:73]
	s_delay_alu instid0(VALU_DEP_3) | instskip(NEXT) | instid1(VALU_DEP_3)
	v_add_f64 v[51:52], v[29:30], -v[51:52]
	v_add_f64 v[49:50], v[29:30], v[47:48]
	v_add_f64 v[43:44], v[47:48], -v[43:44]
	s_delay_alu instid0(VALU_DEP_4) | instskip(NEXT) | instid1(VALU_DEP_4)
	v_fma_f64 v[27:28], v[31:32], v[27:28], s[74:75]
	v_add_f64 v[45:46], v[45:46], -v[51:52]
	s_delay_alu instid0(VALU_DEP_4) | instskip(NEXT) | instid1(VALU_DEP_4)
	v_add_f64 v[53:54], v[49:50], -v[29:30]
	v_add_f64 v[21:22], v[21:22], -v[43:44]
	s_delay_alu instid0(VALU_DEP_4) | instskip(NEXT) | instid1(VALU_DEP_3)
	v_fma_f64 v[27:28], v[31:32], v[27:28], s[76:77]
	v_add_f64 v[55:56], v[49:50], -v[53:54]
	v_add_f64 v[43:44], v[47:48], -v[53:54]
	s_delay_alu instid0(VALU_DEP_4) | instskip(NEXT) | instid1(VALU_DEP_4)
	v_add_f64 v[47:48], v[45:46], v[21:22]
	v_fma_f64 v[27:28], v[31:32], v[27:28], s[78:79]
	s_delay_alu instid0(VALU_DEP_4) | instskip(NEXT) | instid1(VALU_DEP_2)
	v_add_f64 v[29:30], v[29:30], -v[55:56]
	v_fma_f64 v[27:28], v[31:32], v[27:28], s[80:81]
	s_delay_alu instid0(VALU_DEP_2) | instskip(SKIP_1) | instid1(VALU_DEP_3)
	v_add_f64 v[29:30], v[43:44], v[29:30]
	v_add_f64 v[43:44], v[47:48], -v[45:46]
	v_fma_f64 v[27:28], v[31:32], v[27:28], s[82:83]
	s_delay_alu instid0(VALU_DEP_3) | instskip(NEXT) | instid1(VALU_DEP_3)
	v_add_f64 v[29:30], v[47:48], v[29:30]
	v_add_f64 v[47:48], v[47:48], -v[43:44]
	v_add_f64 v[21:22], v[21:22], -v[43:44]
	s_delay_alu instid0(VALU_DEP_4) | instskip(NEXT) | instid1(VALU_DEP_4)
	v_fma_f64 v[27:28], v[31:32], v[27:28], s[84:85]
	v_add_f64 v[51:52], v[49:50], v[29:30]
	s_delay_alu instid0(VALU_DEP_4) | instskip(NEXT) | instid1(VALU_DEP_3)
	v_add_f64 v[43:44], v[45:46], -v[47:48]
	v_fma_f64 v[27:28], v[31:32], v[27:28], s[86:87]
	s_delay_alu instid0(VALU_DEP_3) | instskip(NEXT) | instid1(VALU_DEP_3)
	v_add_f64 v[45:46], v[51:52], -v[49:50]
	v_add_f64 v[21:22], v[21:22], v[43:44]
	s_delay_alu instid0(VALU_DEP_3) | instskip(NEXT) | instid1(VALU_DEP_3)
	v_mul_f64 v[27:28], v[31:32], v[27:28]
	v_add_f64 v[29:30], v[29:30], -v[45:46]
	s_delay_alu instid0(VALU_DEP_2) | instskip(NEXT) | instid1(VALU_DEP_2)
	v_fma_f64 v[25:26], v[25:26], v[27:28], v[25:26]
	v_add_f64 v[21:22], v[21:22], v[29:30]
	s_delay_alu instid0(VALU_DEP_2) | instskip(NEXT) | instid1(VALU_DEP_2)
	v_add_f64 v[27:28], -v[25:26], s[88:89]
	v_add_f64 v[21:22], v[51:52], v[21:22]
	v_and_b32_e32 v24, 0x7fffffff, v24
	s_delay_alu instid0(VALU_DEP_1) | instskip(NEXT) | instid1(VALU_DEP_4)
	v_cmp_eq_f64_e32 vcc_lo, 0x7ff00000, v[23:24]
	v_cndmask_b32_e64 v24, v26, v28, s6
	v_cndmask_b32_e64 v23, v25, v27, s6
	v_cmp_eq_f64_e64 s6, 0, v[3:4]
	v_ashrrev_i32_e32 v27, 31, v2
	s_delay_alu instid0(VALU_DEP_3)
	v_add_f64 v[25:26], -v[23:24], s[16:17]
	s_and_b32 vcc_lo, s7, vcc_lo
	v_cmp_class_f64_e64 s7, v[3:4], 0x204
	v_dual_cndmask_b32 v21, v21, v7 :: v_dual_cndmask_b32 v22, v22, v57
	v_cmp_gt_i32_e32 vcc_lo, 0, v2
	v_and_b32_e32 v28, 0x54442d18, v27
	v_and_b32_e32 v2, 0x400921fb, v27
	s_delay_alu instid0(VALU_DEP_4) | instskip(SKIP_4) | instid1(VALU_DEP_4)
	v_add_f64 v[21:22], v[21:22], 1.0
	v_dual_cndmask_b32 v23, v23, v25 :: v_dual_cndmask_b32 v24, v24, v26
	v_cndmask_b32_e32 v7, 0x54442d18, v59, vcc_lo
	v_cndmask_b32_e32 v1, 0x3fe921fb, v60, vcc_lo
	v_cmp_ngt_f64_e32 vcc_lo, 0, v[5:6]
	v_cndmask_b32_e64 v23, v23, v28, s6
	v_cndmask_b32_e64 v2, v24, v2, s6
	v_cmp_nge_f64_e64 s6, 0, v[5:6]
	v_bfi_b32 v1, 0x7fffffff, v1, v4
	v_cndmask_b32_e64 v21, v21, 0, s10
	v_cndmask_b32_e64 v22, v22, 0x7ff00000, s10
	s_delay_alu instid0(VALU_DEP_1) | instskip(SKIP_1) | instid1(VALU_DEP_3)
	v_cndmask_b32_e32 v22, 0x7ff80000, v22, vcc_lo
	s_and_b32 vcc_lo, s7, s8
	v_cndmask_b32_e64 v21, 0, v21, s6
	v_cmp_neq_f64_e64 s6, 0, v[5:6]
	v_dual_cndmask_b32 v24, v2, v1 :: v_dual_cndmask_b32 v23, v23, v7
	s_delay_alu instid0(VALU_DEP_2)
	v_cndmask_b32_e64 v22, 0xfff00000, v22, s6
.LBB174_73:                             ;   in Loop: Header=BB174_4 Depth=1
	s_or_b32 exec_lo, exec_lo, s9
.LBB174_74:                             ;   in Loop: Header=BB174_4 Depth=1
	s_and_not1_saveexec_b32 s6, vcc_hi
	s_cbranch_execz .LBB174_80
; %bb.75:                               ;   in Loop: Header=BB174_4 Depth=1
	v_cmp_ngt_f64_e64 s7, 0x20000000, |v[1:2]|
	v_cmp_ngt_f64_e64 s8, 0x20000000, |v[3:4]|
                                        ; implicit-def: $vgpr5_vgpr6
	s_delay_alu instid0(VALU_DEP_1) | instskip(NEXT) | instid1(SALU_CYCLE_1)
	s_or_b32 s7, s8, s7
	s_and_saveexec_b32 s8, s7
	s_delay_alu instid0(SALU_CYCLE_1)
	s_xor_b32 s7, exec_lo, s8
; %bb.76:                               ;   in Loop: Header=BB174_4 Depth=1
	v_mul_f64 v[1:2], v[1:2], v[1:2]
	s_delay_alu instid0(VALU_DEP_1)
	v_fma_f64 v[5:6], v[3:4], v[3:4], v[1:2]
; %bb.77:                               ;   in Loop: Header=BB174_4 Depth=1
	s_and_not1_saveexec_b32 s7, s7
; %bb.78:                               ;   in Loop: Header=BB174_4 Depth=1
	v_mul_f64 v[1:2], v[1:2], 4.0
	v_mul_f64 v[5:6], v[3:4], 4.0
	s_delay_alu instid0(VALU_DEP_2) | instskip(NEXT) | instid1(VALU_DEP_1)
	v_mul_f64 v[1:2], v[1:2], v[1:2]
	v_fma_f64 v[1:2], v[5:6], v[5:6], v[1:2]
	s_delay_alu instid0(VALU_DEP_1)
	v_ldexp_f64 v[5:6], v[1:2], -4
; %bb.79:                               ;   in Loop: Header=BB174_4 Depth=1
	s_or_b32 exec_lo, exec_lo, s7
	s_delay_alu instid0(VALU_DEP_1) | instskip(SKIP_2) | instid1(VALU_DEP_2)
	v_frexp_mant_f64_e32 v[1:2], v[5:6]
	s_mov_b32 s99, s27
	v_frexp_exp_i32_f64_e32 v3, v[5:6]
	v_cmp_gt_f64_e32 vcc_lo, s[26:27], v[1:2]
	v_cndmask_b32_e64 v34, 0x3ff00000, 2.0, vcc_lo
	s_delay_alu instid0(VALU_DEP_3) | instskip(SKIP_1) | instid1(VALU_DEP_3)
	v_subrev_co_ci_u32_e32 v3, vcc_lo, 0, v3, vcc_lo
	v_cmp_class_f64_e64 vcc_lo, v[5:6], 0x204
	v_mul_f64 v[1:2], v[1:2], v[33:34]
	s_delay_alu instid0(VALU_DEP_1) | instskip(SKIP_1) | instid1(VALU_DEP_2)
	v_add_f64 v[21:22], v[1:2], 1.0
	v_add_f64 v[27:28], v[1:2], -1.0
	v_rcp_f64_e32 v[23:24], v[21:22]
	v_add_f64 v[29:30], v[21:22], -1.0
	s_delay_alu instid0(VALU_DEP_1) | instskip(SKIP_2) | instid1(VALU_DEP_1)
	v_add_f64 v[1:2], v[1:2], -v[29:30]
	s_waitcnt_depctr 0xfff
	v_fma_f64 v[25:26], -v[21:22], v[23:24], 1.0
	v_fma_f64 v[23:24], v[25:26], v[23:24], v[23:24]
	s_delay_alu instid0(VALU_DEP_1) | instskip(NEXT) | instid1(VALU_DEP_1)
	v_fma_f64 v[25:26], -v[21:22], v[23:24], 1.0
	v_fma_f64 v[23:24], v[25:26], v[23:24], v[23:24]
	s_delay_alu instid0(VALU_DEP_1) | instskip(NEXT) | instid1(VALU_DEP_1)
	v_mul_f64 v[25:26], v[27:28], v[23:24]
	v_mul_f64 v[31:32], v[21:22], v[25:26]
	s_delay_alu instid0(VALU_DEP_1) | instskip(NEXT) | instid1(VALU_DEP_1)
	v_fma_f64 v[21:22], v[25:26], v[21:22], -v[31:32]
	v_fma_f64 v[1:2], v[25:26], v[1:2], v[21:22]
	s_delay_alu instid0(VALU_DEP_1) | instskip(NEXT) | instid1(VALU_DEP_1)
	v_add_f64 v[21:22], v[31:32], v[1:2]
	v_add_f64 v[29:30], v[27:28], -v[21:22]
	v_add_f64 v[31:32], v[21:22], -v[31:32]
	s_delay_alu instid0(VALU_DEP_2) | instskip(NEXT) | instid1(VALU_DEP_2)
	v_add_f64 v[27:28], v[27:28], -v[29:30]
	v_add_f64 v[1:2], v[31:32], -v[1:2]
	s_delay_alu instid0(VALU_DEP_2) | instskip(NEXT) | instid1(VALU_DEP_1)
	v_add_f64 v[21:22], v[27:28], -v[21:22]
	v_add_f64 v[1:2], v[1:2], v[21:22]
	s_delay_alu instid0(VALU_DEP_1) | instskip(NEXT) | instid1(VALU_DEP_1)
	v_add_f64 v[1:2], v[29:30], v[1:2]
	v_mul_f64 v[1:2], v[23:24], v[1:2]
	s_delay_alu instid0(VALU_DEP_1) | instskip(NEXT) | instid1(VALU_DEP_1)
	v_add_f64 v[21:22], v[25:26], v[1:2]
	v_mul_f64 v[23:24], v[21:22], v[21:22]
	s_delay_alu instid0(VALU_DEP_1) | instskip(SKIP_1) | instid1(VALU_DEP_2)
	v_fma_f64 v[27:28], v[23:24], s[30:31], s[28:29]
	v_mul_f64 v[29:30], v[21:22], v[23:24]
	v_fma_f64 v[27:28], v[23:24], v[27:28], s[36:37]
	s_delay_alu instid0(VALU_DEP_1) | instskip(NEXT) | instid1(VALU_DEP_1)
	v_fma_f64 v[27:28], v[23:24], v[27:28], s[38:39]
	v_fma_f64 v[27:28], v[23:24], v[27:28], s[40:41]
	s_delay_alu instid0(VALU_DEP_1) | instskip(NEXT) | instid1(VALU_DEP_1)
	v_fma_f64 v[27:28], v[23:24], v[27:28], s[42:43]
	v_fma_f64 v[23:24], v[23:24], v[27:28], s[98:99]
	v_ldexp_f64 v[27:28], v[21:22], 1
	v_add_f64 v[21:22], v[21:22], -v[25:26]
	s_delay_alu instid0(VALU_DEP_3) | instskip(SKIP_1) | instid1(VALU_DEP_3)
	v_mul_f64 v[23:24], v[29:30], v[23:24]
	v_cvt_f64_i32_e32 v[29:30], v3
	v_add_f64 v[1:2], v[1:2], -v[21:22]
	s_delay_alu instid0(VALU_DEP_3) | instskip(NEXT) | instid1(VALU_DEP_3)
	v_add_f64 v[25:26], v[27:28], v[23:24]
	v_mul_f64 v[31:32], v[29:30], s[44:45]
	s_delay_alu instid0(VALU_DEP_3) | instskip(NEXT) | instid1(VALU_DEP_3)
	v_ldexp_f64 v[1:2], v[1:2], 1
	v_add_f64 v[21:22], v[25:26], -v[27:28]
	s_delay_alu instid0(VALU_DEP_3) | instskip(NEXT) | instid1(VALU_DEP_2)
	v_fma_f64 v[27:28], v[29:30], s[44:45], -v[31:32]
	v_add_f64 v[21:22], v[23:24], -v[21:22]
	s_delay_alu instid0(VALU_DEP_2) | instskip(NEXT) | instid1(VALU_DEP_2)
	v_fma_f64 v[23:24], v[29:30], s[46:47], v[27:28]
	v_add_f64 v[1:2], v[1:2], v[21:22]
	s_delay_alu instid0(VALU_DEP_2) | instskip(NEXT) | instid1(VALU_DEP_2)
	v_add_f64 v[21:22], v[31:32], v[23:24]
	v_add_f64 v[27:28], v[25:26], v[1:2]
	s_delay_alu instid0(VALU_DEP_2) | instskip(NEXT) | instid1(VALU_DEP_2)
	v_add_f64 v[31:32], v[21:22], -v[31:32]
	v_add_f64 v[29:30], v[21:22], v[27:28]
	v_add_f64 v[25:26], v[27:28], -v[25:26]
	s_delay_alu instid0(VALU_DEP_3) | instskip(NEXT) | instid1(VALU_DEP_3)
	v_add_f64 v[23:24], v[23:24], -v[31:32]
	v_add_f64 v[43:44], v[29:30], -v[21:22]
	s_delay_alu instid0(VALU_DEP_3) | instskip(NEXT) | instid1(VALU_DEP_2)
	v_add_f64 v[1:2], v[1:2], -v[25:26]
	v_add_f64 v[45:46], v[29:30], -v[43:44]
	;; [unrolled: 1-line block ×3, first 2 shown]
	s_delay_alu instid0(VALU_DEP_3) | instskip(NEXT) | instid1(VALU_DEP_3)
	v_add_f64 v[27:28], v[23:24], v[1:2]
	v_add_f64 v[21:22], v[21:22], -v[45:46]
	s_delay_alu instid0(VALU_DEP_1) | instskip(NEXT) | instid1(VALU_DEP_3)
	v_add_f64 v[21:22], v[25:26], v[21:22]
	v_add_f64 v[25:26], v[27:28], -v[23:24]
	s_delay_alu instid0(VALU_DEP_2) | instskip(NEXT) | instid1(VALU_DEP_2)
	v_add_f64 v[21:22], v[27:28], v[21:22]
	v_add_f64 v[27:28], v[27:28], -v[25:26]
	v_add_f64 v[1:2], v[1:2], -v[25:26]
	s_delay_alu instid0(VALU_DEP_3) | instskip(NEXT) | instid1(VALU_DEP_3)
	v_add_f64 v[31:32], v[29:30], v[21:22]
	v_add_f64 v[23:24], v[23:24], -v[27:28]
	s_delay_alu instid0(VALU_DEP_2) | instskip(NEXT) | instid1(VALU_DEP_2)
	v_add_f64 v[25:26], v[31:32], -v[29:30]
	v_add_f64 v[1:2], v[1:2], v[23:24]
	v_mov_b32_e32 v23, 0
	v_mov_b32_e32 v24, 0x7ff80000
	s_delay_alu instid0(VALU_DEP_4) | instskip(NEXT) | instid1(VALU_DEP_1)
	v_add_f64 v[21:22], v[21:22], -v[25:26]
	v_add_f64 v[1:2], v[1:2], v[21:22]
	s_delay_alu instid0(VALU_DEP_1) | instskip(NEXT) | instid1(VALU_DEP_1)
	v_add_f64 v[1:2], v[31:32], v[1:2]
	v_dual_cndmask_b32 v1, v1, v5 :: v_dual_cndmask_b32 v2, v2, v6
	v_cmp_ngt_f64_e32 vcc_lo, 0, v[5:6]
	s_delay_alu instid0(VALU_DEP_2) | instskip(SKIP_1) | instid1(VALU_DEP_4)
	v_cndmask_b32_e32 v2, 0x7ff80000, v2, vcc_lo
	v_cmp_nge_f64_e32 vcc_lo, 0, v[5:6]
	v_cndmask_b32_e32 v21, 0, v1, vcc_lo
	v_cmp_neq_f64_e32 vcc_lo, 0, v[5:6]
	s_delay_alu instid0(VALU_DEP_4)
	v_cndmask_b32_e32 v22, 0xfff00000, v2, vcc_lo
.LBB174_80:                             ;   in Loop: Header=BB174_4 Depth=1
	s_or_b32 exec_lo, exec_lo, s6
                                        ; implicit-def: $vgpr25_vgpr26
	s_delay_alu instid0(SALU_CYCLE_1)
	s_mov_b32 s6, exec_lo
	v_cmpx_o_f64_e32 v[13:14], v[15:16]
	s_xor_b32 vcc_hi, exec_lo, s6
	s_cbranch_execz .LBB174_108
; %bb.81:                               ;   in Loop: Header=BB174_4 Depth=1
	v_cmp_lt_f64_e64 s6, |v[13:14]|, |v[15:16]|
	v_and_b32_e32 v1, 0x7fffffff, v14
	v_dual_mov_b32 v3, v15 :: v_dual_and_b32 v2, 0x7fffffff, v16
                                        ; implicit-def: $vgpr25_vgpr26
	s_mov_b32 s7, exec_lo
	s_delay_alu instid0(VALU_DEP_1) | instskip(NEXT) | instid1(VALU_DEP_2)
	v_cndmask_b32_e64 v6, v2, v1, s6
	v_cndmask_b32_e64 v5, v3, v13, s6
	s_delay_alu instid0(VALU_DEP_1)
	v_cmpx_nlt_f64_e32 s[20:21], v[5:6]
	s_xor_b32 s90, exec_lo, s7
	s_cbranch_execz .LBB174_105
; %bb.82:                               ;   in Loop: Header=BB174_4 Depth=1
	v_cndmask_b32_e64 v30, v1, v2, s6
	v_cndmask_b32_e64 v29, v13, v3, s6
                                        ; implicit-def: $vgpr25_vgpr26
	s_mov_b32 s7, exec_lo
	s_delay_alu instid0(VALU_DEP_1)
	v_cmpx_neq_f64_e32 1.0, v[29:30]
	s_xor_b32 s91, exec_lo, s7
	s_cbranch_execz .LBB174_98
; %bb.83:                               ;   in Loop: Header=BB174_4 Depth=1
	v_max_f64 v[1:2], v[5:6], v[5:6]
	v_max_f64 v[25:26], v[29:30], v[29:30]
	s_mov_b32 s8, 0xc57e649a
	s_mov_b32 s9, 0x4a511b0e
	s_delay_alu instid0(VALU_DEP_1) | instskip(SKIP_1) | instid1(VALU_DEP_2)
	v_min_f64 v[27:28], v[25:26], v[1:2]
	v_max_f64 v[1:2], v[25:26], v[1:2]
                                        ; implicit-def: $vgpr25_vgpr26
	v_cmp_ngt_f64_e32 vcc_lo, s[14:15], v[27:28]
	s_delay_alu instid0(VALU_DEP_2) | instskip(NEXT) | instid1(VALU_DEP_1)
	v_cmp_nlt_f64_e64 s7, s[8:9], v[1:2]
	s_and_b32 s7, s7, vcc_lo
	s_delay_alu instid0(SALU_CYCLE_1) | instskip(NEXT) | instid1(SALU_CYCLE_1)
	s_and_saveexec_b32 s8, s7
	s_xor_b32 s22, exec_lo, s8
	s_cbranch_execz .LBB174_95
; %bb.84:                               ;   in Loop: Header=BB174_4 Depth=1
                                        ; implicit-def: $vgpr25_vgpr26
	s_mov_b32 s7, exec_lo
	v_cmpx_le_f64_e32 1.0, v[29:30]
	s_xor_b32 s8, exec_lo, s7
	s_cbranch_execz .LBB174_86
; %bb.85:                               ;   in Loop: Header=BB174_4 Depth=1
	v_add_f64 v[1:2], v[29:30], -1.0
	v_add_f64 v[25:26], v[29:30], 1.0
	s_mov_b32 s99, s27
	s_mov_b32 s16, s88
	v_cmp_gt_i32_e64 s7, 0, v14
	v_cmp_class_f64_e64 s10, v[13:14], 0x204
	v_cmp_class_f64_e64 s9, v[15:16], 0x204
	s_delay_alu instid0(VALU_DEP_4) | instskip(NEXT) | instid1(VALU_DEP_1)
	v_mul_f64 v[1:2], v[1:2], v[25:26]
	v_fma_f64 v[1:2], v[5:6], v[5:6], v[1:2]
	s_delay_alu instid0(VALU_DEP_1) | instskip(NEXT) | instid1(VALU_DEP_1)
	v_add_f64 v[5:6], v[1:2], 1.0
	v_frexp_mant_f64_e32 v[25:26], v[5:6]
	v_frexp_exp_i32_f64_e32 v3, v[5:6]
	v_add_f64 v[27:28], v[5:6], -1.0
	s_delay_alu instid0(VALU_DEP_3) | instskip(NEXT) | instid1(VALU_DEP_2)
	v_cmp_gt_f64_e32 vcc_lo, s[26:27], v[25:26]
	v_add_f64 v[25:26], v[27:28], -v[5:6]
	v_add_f64 v[27:28], v[1:2], -v[27:28]
	v_subrev_co_ci_u32_e32 v3, vcc_lo, 0, v3, vcc_lo
	s_delay_alu instid0(VALU_DEP_3) | instskip(NEXT) | instid1(VALU_DEP_2)
	v_add_f64 v[25:26], v[25:26], 1.0
	v_sub_nc_u32_e32 v7, 0, v3
	s_delay_alu instid0(VALU_DEP_1) | instskip(NEXT) | instid1(VALU_DEP_3)
	v_ldexp_f64 v[5:6], v[5:6], v7
	v_add_f64 v[25:26], v[27:28], v[25:26]
	s_delay_alu instid0(VALU_DEP_2) | instskip(SKIP_1) | instid1(VALU_DEP_3)
	v_add_f64 v[29:30], v[5:6], 1.0
	v_add_f64 v[45:46], v[5:6], -1.0
	v_ldexp_f64 v[25:26], v[25:26], v7
	v_cndmask_b32_e64 v7, 0x54442d18, v59, s7
	s_delay_alu instid0(VALU_DEP_4) | instskip(NEXT) | instid1(VALU_DEP_4)
	v_add_f64 v[27:28], v[29:30], -1.0
	v_add_f64 v[47:48], v[45:46], 1.0
	s_delay_alu instid0(VALU_DEP_2) | instskip(NEXT) | instid1(VALU_DEP_2)
	v_add_f64 v[27:28], v[5:6], -v[27:28]
	v_add_f64 v[5:6], v[5:6], -v[47:48]
	s_delay_alu instid0(VALU_DEP_2) | instskip(NEXT) | instid1(VALU_DEP_2)
	v_add_f64 v[27:28], v[25:26], v[27:28]
	v_add_f64 v[5:6], v[25:26], v[5:6]
	s_delay_alu instid0(VALU_DEP_2) | instskip(NEXT) | instid1(VALU_DEP_2)
	v_add_f64 v[31:32], v[29:30], v[27:28]
	v_add_f64 v[47:48], v[45:46], v[5:6]
	s_delay_alu instid0(VALU_DEP_2) | instskip(SKIP_1) | instid1(VALU_DEP_2)
	v_rcp_f64_e32 v[43:44], v[31:32]
	v_add_f64 v[29:30], v[31:32], -v[29:30]
	v_add_f64 v[45:46], v[47:48], -v[45:46]
	s_delay_alu instid0(VALU_DEP_2) | instskip(SKIP_3) | instid1(VALU_DEP_2)
	v_add_f64 v[27:28], v[27:28], -v[29:30]
	s_waitcnt_depctr 0xfff
	v_fma_f64 v[49:50], -v[31:32], v[43:44], 1.0
	v_add_f64 v[5:6], v[5:6], -v[45:46]
	v_fma_f64 v[43:44], v[49:50], v[43:44], v[43:44]
	s_delay_alu instid0(VALU_DEP_1) | instskip(NEXT) | instid1(VALU_DEP_1)
	v_fma_f64 v[25:26], -v[31:32], v[43:44], 1.0
	v_fma_f64 v[25:26], v[25:26], v[43:44], v[43:44]
	s_delay_alu instid0(VALU_DEP_1) | instskip(NEXT) | instid1(VALU_DEP_1)
	v_mul_f64 v[43:44], v[47:48], v[25:26]
	v_mul_f64 v[49:50], v[31:32], v[43:44]
	s_delay_alu instid0(VALU_DEP_1) | instskip(NEXT) | instid1(VALU_DEP_1)
	v_fma_f64 v[29:30], v[43:44], v[31:32], -v[49:50]
	v_fma_f64 v[29:30], v[43:44], v[27:28], v[29:30]
	s_delay_alu instid0(VALU_DEP_1) | instskip(NEXT) | instid1(VALU_DEP_1)
	v_add_f64 v[51:52], v[49:50], v[29:30]
	v_add_f64 v[53:54], v[47:48], -v[51:52]
	v_add_f64 v[45:46], v[51:52], -v[49:50]
	v_max_f64 v[49:50], |v[15:16]|, |v[15:16]|
	s_delay_alu instid0(VALU_DEP_3) | instskip(NEXT) | instid1(VALU_DEP_3)
	v_add_f64 v[47:48], v[47:48], -v[53:54]
	v_add_f64 v[29:30], v[45:46], -v[29:30]
	s_delay_alu instid0(VALU_DEP_2) | instskip(SKIP_2) | instid1(VALU_DEP_1)
	v_add_f64 v[47:48], v[47:48], -v[51:52]
	v_max_f64 v[51:52], |v[13:14]|, |v[13:14]|
	v_cndmask_b32_e64 v13, 0x3fe921fb, v60, s7
	v_bfi_b32 v13, 0x7fffffff, v13, v16
	s_delay_alu instid0(VALU_DEP_4) | instskip(NEXT) | instid1(VALU_DEP_4)
	v_add_f64 v[5:6], v[5:6], v[47:48]
	v_max_f64 v[55:56], v[51:52], v[49:50]
	v_min_f64 v[49:50], v[51:52], v[49:50]
	s_delay_alu instid0(VALU_DEP_3) | instskip(NEXT) | instid1(VALU_DEP_1)
	v_add_f64 v[5:6], v[29:30], v[5:6]
	v_add_f64 v[29:30], v[53:54], v[5:6]
	s_delay_alu instid0(VALU_DEP_1) | instskip(SKIP_1) | instid1(VALU_DEP_2)
	v_mul_f64 v[45:46], v[25:26], v[29:30]
	v_add_f64 v[53:54], v[53:54], -v[29:30]
	v_mul_f64 v[47:48], v[31:32], v[45:46]
	s_delay_alu instid0(VALU_DEP_2) | instskip(NEXT) | instid1(VALU_DEP_2)
	v_add_f64 v[5:6], v[5:6], v[53:54]
	v_fma_f64 v[31:32], v[45:46], v[31:32], -v[47:48]
	s_delay_alu instid0(VALU_DEP_1) | instskip(SKIP_1) | instid1(VALU_DEP_2)
	v_fma_f64 v[27:28], v[45:46], v[27:28], v[31:32]
	v_div_scale_f64 v[31:32], null, v[55:56], v[55:56], v[49:50]
	v_add_f64 v[51:52], v[47:48], v[27:28]
	s_delay_alu instid0(VALU_DEP_2) | instskip(NEXT) | instid1(VALU_DEP_1)
	v_rcp_f64_e32 v[57:58], v[31:32]
	v_add_f64 v[61:62], v[29:30], -v[51:52]
	v_add_f64 v[47:48], v[51:52], -v[47:48]
	s_waitcnt_depctr 0xfff
	v_fma_f64 v[63:64], -v[31:32], v[57:58], 1.0
	v_add_f64 v[29:30], v[29:30], -v[61:62]
	v_add_f64 v[27:28], v[47:48], -v[27:28]
	s_delay_alu instid0(VALU_DEP_3) | instskip(NEXT) | instid1(VALU_DEP_3)
	v_fma_f64 v[57:58], v[57:58], v[63:64], v[57:58]
	v_add_f64 v[29:30], v[29:30], -v[51:52]
	s_delay_alu instid0(VALU_DEP_2) | instskip(NEXT) | instid1(VALU_DEP_2)
	v_fma_f64 v[51:52], -v[31:32], v[57:58], 1.0
	v_add_f64 v[5:6], v[5:6], v[29:30]
	v_div_scale_f64 v[29:30], vcc_lo, v[49:50], v[55:56], v[49:50]
	s_delay_alu instid0(VALU_DEP_3) | instskip(SKIP_1) | instid1(VALU_DEP_4)
	v_fma_f64 v[47:48], v[57:58], v[51:52], v[57:58]
	v_add_f64 v[51:52], v[43:44], v[45:46]
	v_add_f64 v[5:6], v[27:28], v[5:6]
	s_delay_alu instid0(VALU_DEP_3) | instskip(NEXT) | instid1(VALU_DEP_3)
	v_mul_f64 v[27:28], v[29:30], v[47:48]
	v_add_f64 v[43:44], v[51:52], -v[43:44]
	s_delay_alu instid0(VALU_DEP_3) | instskip(NEXT) | instid1(VALU_DEP_3)
	v_add_f64 v[5:6], v[61:62], v[5:6]
	v_fma_f64 v[29:30], -v[31:32], v[27:28], v[29:30]
	s_delay_alu instid0(VALU_DEP_3) | instskip(NEXT) | instid1(VALU_DEP_3)
	v_add_f64 v[31:32], v[45:46], -v[43:44]
	v_mul_f64 v[5:6], v[25:26], v[5:6]
	s_delay_alu instid0(VALU_DEP_3) | instskip(SKIP_1) | instid1(VALU_DEP_3)
	v_div_fmas_f64 v[25:26], v[29:30], v[47:48], v[27:28]
	v_cmp_eq_f64_e32 vcc_lo, 0x7ff00000, v[1:2]
	v_add_f64 v[5:6], v[31:32], v[5:6]
	s_delay_alu instid0(VALU_DEP_3) | instskip(NEXT) | instid1(VALU_DEP_2)
	v_div_fixup_f64 v[25:26], v[25:26], v[55:56], v[49:50]
	v_add_f64 v[27:28], v[51:52], v[5:6]
	s_delay_alu instid0(VALU_DEP_2) | instskip(NEXT) | instid1(VALU_DEP_2)
	v_mul_f64 v[29:30], v[25:26], v[25:26]
	v_mul_f64 v[31:32], v[27:28], v[27:28]
	s_delay_alu instid0(VALU_DEP_2) | instskip(NEXT) | instid1(VALU_DEP_2)
	v_fma_f64 v[43:44], v[29:30], s[50:51], s[48:49]
	v_fma_f64 v[45:46], v[31:32], s[30:31], s[28:29]
	v_mul_f64 v[47:48], v[27:28], v[31:32]
	s_delay_alu instid0(VALU_DEP_3) | instskip(NEXT) | instid1(VALU_DEP_3)
	v_fma_f64 v[43:44], v[29:30], v[43:44], s[52:53]
	v_fma_f64 v[45:46], v[31:32], v[45:46], s[36:37]
	s_delay_alu instid0(VALU_DEP_2) | instskip(NEXT) | instid1(VALU_DEP_2)
	v_fma_f64 v[43:44], v[29:30], v[43:44], s[54:55]
	v_fma_f64 v[45:46], v[31:32], v[45:46], s[38:39]
	s_delay_alu instid0(VALU_DEP_2) | instskip(NEXT) | instid1(VALU_DEP_2)
	;; [unrolled: 3-line block ×4, first 2 shown]
	v_fma_f64 v[43:44], v[29:30], v[43:44], s[60:61]
	v_fma_f64 v[31:32], v[31:32], v[45:46], s[98:99]
	v_ldexp_f64 v[45:46], v[27:28], 1
	v_add_f64 v[27:28], v[27:28], -v[51:52]
	s_delay_alu instid0(VALU_DEP_4) | instskip(NEXT) | instid1(VALU_DEP_4)
	v_fma_f64 v[43:44], v[29:30], v[43:44], s[62:63]
	v_mul_f64 v[31:32], v[47:48], v[31:32]
	v_cvt_f64_i32_e32 v[47:48], v3
	s_delay_alu instid0(VALU_DEP_4) | instskip(NEXT) | instid1(VALU_DEP_4)
	v_add_f64 v[5:6], v[5:6], -v[27:28]
	v_fma_f64 v[43:44], v[29:30], v[43:44], s[64:65]
	v_ashrrev_i32_e32 v3, 31, v14
	v_add_f64 v[49:50], v[45:46], v[31:32]
	v_mul_f64 v[51:52], v[47:48], s[44:45]
	v_ldexp_f64 v[5:6], v[5:6], 1
	v_fma_f64 v[43:44], v[29:30], v[43:44], s[66:67]
	s_delay_alu instid0(VALU_DEP_4) | instskip(NEXT) | instid1(VALU_DEP_4)
	v_add_f64 v[27:28], v[49:50], -v[45:46]
	v_fma_f64 v[45:46], v[47:48], s[44:45], -v[51:52]
	s_delay_alu instid0(VALU_DEP_3) | instskip(NEXT) | instid1(VALU_DEP_3)
	v_fma_f64 v[43:44], v[29:30], v[43:44], s[68:69]
	v_add_f64 v[27:28], v[31:32], -v[27:28]
	s_delay_alu instid0(VALU_DEP_2) | instskip(NEXT) | instid1(VALU_DEP_4)
	v_fma_f64 v[31:32], v[29:30], v[43:44], s[70:71]
	v_fma_f64 v[43:44], v[47:48], s[46:47], v[45:46]
	s_delay_alu instid0(VALU_DEP_3) | instskip(NEXT) | instid1(VALU_DEP_3)
	v_add_f64 v[5:6], v[5:6], v[27:28]
	v_fma_f64 v[27:28], v[29:30], v[31:32], s[72:73]
	s_delay_alu instid0(VALU_DEP_3) | instskip(NEXT) | instid1(VALU_DEP_3)
	v_add_f64 v[31:32], v[51:52], v[43:44]
	v_add_f64 v[45:46], v[49:50], v[5:6]
	s_delay_alu instid0(VALU_DEP_3) | instskip(NEXT) | instid1(VALU_DEP_3)
	v_fma_f64 v[27:28], v[29:30], v[27:28], s[74:75]
	v_add_f64 v[51:52], v[31:32], -v[51:52]
	s_delay_alu instid0(VALU_DEP_3) | instskip(SKIP_1) | instid1(VALU_DEP_4)
	v_add_f64 v[47:48], v[31:32], v[45:46]
	v_add_f64 v[49:50], v[45:46], -v[49:50]
	v_fma_f64 v[27:28], v[29:30], v[27:28], s[76:77]
	s_delay_alu instid0(VALU_DEP_4) | instskip(NEXT) | instid1(VALU_DEP_4)
	v_add_f64 v[43:44], v[43:44], -v[51:52]
	v_add_f64 v[53:54], v[47:48], -v[31:32]
	s_delay_alu instid0(VALU_DEP_4) | instskip(NEXT) | instid1(VALU_DEP_4)
	v_add_f64 v[5:6], v[5:6], -v[49:50]
	v_fma_f64 v[27:28], v[29:30], v[27:28], s[78:79]
	s_delay_alu instid0(VALU_DEP_3) | instskip(SKIP_1) | instid1(VALU_DEP_4)
	v_add_f64 v[55:56], v[47:48], -v[53:54]
	v_add_f64 v[45:46], v[45:46], -v[53:54]
	v_add_f64 v[49:50], v[43:44], v[5:6]
	s_delay_alu instid0(VALU_DEP_4) | instskip(NEXT) | instid1(VALU_DEP_4)
	v_fma_f64 v[27:28], v[29:30], v[27:28], s[80:81]
	v_add_f64 v[31:32], v[31:32], -v[55:56]
	s_delay_alu instid0(VALU_DEP_2) | instskip(NEXT) | instid1(VALU_DEP_2)
	v_fma_f64 v[27:28], v[29:30], v[27:28], s[82:83]
	v_add_f64 v[31:32], v[45:46], v[31:32]
	v_add_f64 v[45:46], v[49:50], -v[43:44]
	s_delay_alu instid0(VALU_DEP_3) | instskip(NEXT) | instid1(VALU_DEP_3)
	v_fma_f64 v[27:28], v[29:30], v[27:28], s[84:85]
	v_add_f64 v[31:32], v[49:50], v[31:32]
	s_delay_alu instid0(VALU_DEP_3) | instskip(SKIP_1) | instid1(VALU_DEP_4)
	v_add_f64 v[49:50], v[49:50], -v[45:46]
	v_add_f64 v[5:6], v[5:6], -v[45:46]
	v_fma_f64 v[27:28], v[29:30], v[27:28], s[86:87]
	s_delay_alu instid0(VALU_DEP_4) | instskip(NEXT) | instid1(VALU_DEP_2)
	v_add_f64 v[51:52], v[47:48], v[31:32]
	v_mul_f64 v[27:28], v[29:30], v[27:28]
	v_add_f64 v[29:30], v[43:44], -v[49:50]
	s_delay_alu instid0(VALU_DEP_3) | instskip(NEXT) | instid1(VALU_DEP_3)
	v_add_f64 v[43:44], v[51:52], -v[47:48]
	v_fma_f64 v[25:26], v[25:26], v[27:28], v[25:26]
	s_delay_alu instid0(VALU_DEP_3) | instskip(NEXT) | instid1(VALU_DEP_3)
	v_add_f64 v[5:6], v[5:6], v[29:30]
	v_add_f64 v[27:28], v[31:32], -v[43:44]
	s_delay_alu instid0(VALU_DEP_3) | instskip(NEXT) | instid1(VALU_DEP_2)
	v_add_f64 v[29:30], -v[25:26], s[88:89]
	v_add_f64 v[5:6], v[5:6], v[27:28]
	s_delay_alu instid0(VALU_DEP_2) | instskip(NEXT) | instid1(VALU_DEP_3)
	v_cndmask_b32_e64 v26, v26, v30, s6
	v_cndmask_b32_e64 v25, v25, v29, s6
	s_delay_alu instid0(VALU_DEP_1) | instskip(NEXT) | instid1(VALU_DEP_4)
	v_add_f64 v[27:28], -v[25:26], s[16:17]
	v_add_f64 v[5:6], v[51:52], v[5:6]
	v_and_b32_e32 v29, 0x54442d18, v3
	v_and_b32_e32 v3, 0x400921fb, v3
	s_delay_alu instid0(VALU_DEP_4) | instskip(SKIP_4) | instid1(VALU_DEP_2)
	v_cndmask_b32_e64 v25, v25, v27, s7
	v_cndmask_b32_e64 v14, v26, v28, s7
	v_cmp_nge_f64_e64 s7, -1.0, v[1:2]
	v_dual_cndmask_b32 v6, v6, v2 :: v_dual_cndmask_b32 v5, v5, v1
	v_cmp_eq_f64_e32 vcc_lo, 0, v[15:16]
	v_mul_f64 v[5:6], v[5:6], 0.5
	v_cndmask_b32_e32 v27, v25, v29, vcc_lo
	v_cndmask_b32_e32 v3, v14, v3, vcc_lo
	v_cmp_ngt_f64_e32 vcc_lo, -1.0, v[1:2]
                                        ; implicit-def: $vgpr29_vgpr30
	s_delay_alu instid0(VALU_DEP_4)
	v_cndmask_b32_e64 v25, 0, v5, s7
	v_cmp_neq_f64_e64 s7, -1.0, v[1:2]
	v_cndmask_b32_e32 v6, 0x7ff80000, v6, vcc_lo
	s_and_b32 vcc_lo, s9, s10
	v_cndmask_b32_e32 v28, v3, v13, vcc_lo
	v_cndmask_b32_e32 v27, v27, v7, vcc_lo
	s_delay_alu instid0(VALU_DEP_3)
	v_cndmask_b32_e64 v26, 0xfff00000, v6, s7
                                        ; implicit-def: $vgpr5_vgpr6
.LBB174_86:                             ;   in Loop: Header=BB174_4 Depth=1
	s_and_not1_saveexec_b32 s23, s8
	s_cbranch_execz .LBB174_94
; %bb.87:                               ;   in Loop: Header=BB174_4 Depth=1
	v_mul_f64 v[1:2], v[5:6], v[5:6]
	s_mov_b32 s8, 0x66666666
	s_mov_b32 s9, 0x3fe66666
                                        ; implicit-def: $vgpr25_vgpr26
	s_mov_b32 s7, exec_lo
	s_delay_alu instid0(VALU_DEP_1) | instskip(NEXT) | instid1(VALU_DEP_1)
	v_fma_f64 v[1:2], v[29:30], v[29:30], v[1:2]
	v_cmpx_ge_f64_e32 s[8:9], v[1:2]
	s_xor_b32 s9, exec_lo, s7
	s_cbranch_execz .LBB174_89
; %bb.88:                               ;   in Loop: Header=BB174_4 Depth=1
	v_frexp_mant_f64_e32 v[5:6], v[1:2]
	v_max_f64 v[43:44], |v[13:14]|, |v[13:14]|
	s_mov_b32 s99, s27
	v_frexp_exp_i32_f64_e32 v3, v[1:2]
	s_mov_b32 s16, s88
	v_cmp_class_f64_e64 s10, v[15:16], 0x204
	v_cmp_class_f64_e64 s11, v[13:14], 0x204
	v_cmp_neq_f64_e64 s8, 0, v[1:2]
	v_cmp_gt_f64_e64 s7, s[26:27], v[5:6]
	s_delay_alu instid0(VALU_DEP_1) | instskip(NEXT) | instid1(VALU_DEP_1)
	v_cndmask_b32_e64 v34, 0x3ff00000, 2.0, s7
	v_mul_f64 v[5:6], v[5:6], v[33:34]
	s_delay_alu instid0(VALU_DEP_1) | instskip(SKIP_1) | instid1(VALU_DEP_2)
	v_add_f64 v[25:26], v[5:6], 1.0
	v_add_f64 v[31:32], v[5:6], -1.0
	v_rcp_f64_e32 v[27:28], v[25:26]
	s_waitcnt_depctr 0xfff
	v_fma_f64 v[29:30], -v[25:26], v[27:28], 1.0
	s_delay_alu instid0(VALU_DEP_1) | instskip(NEXT) | instid1(VALU_DEP_1)
	v_fma_f64 v[27:28], v[29:30], v[27:28], v[27:28]
	v_fma_f64 v[29:30], -v[25:26], v[27:28], 1.0
	s_delay_alu instid0(VALU_DEP_1) | instskip(SKIP_1) | instid1(VALU_DEP_2)
	v_fma_f64 v[27:28], v[29:30], v[27:28], v[27:28]
	v_max_f64 v[29:30], |v[15:16]|, |v[15:16]|
	v_mul_f64 v[45:46], v[31:32], v[27:28]
	s_delay_alu instid0(VALU_DEP_2) | instskip(SKIP_2) | instid1(VALU_DEP_4)
	v_max_f64 v[47:48], v[43:44], v[29:30]
	v_min_f64 v[29:30], v[43:44], v[29:30]
	v_add_f64 v[43:44], v[25:26], -1.0
	v_mul_f64 v[49:50], v[25:26], v[45:46]
	s_delay_alu instid0(VALU_DEP_3) | instskip(NEXT) | instid1(VALU_DEP_3)
	v_div_scale_f64 v[51:52], null, v[47:48], v[47:48], v[29:30]
	v_add_f64 v[5:6], v[5:6], -v[43:44]
	v_div_scale_f64 v[57:58], vcc_lo, v[29:30], v[47:48], v[29:30]
	s_delay_alu instid0(VALU_DEP_4) | instskip(NEXT) | instid1(VALU_DEP_4)
	v_fma_f64 v[25:26], v[45:46], v[25:26], -v[49:50]
	v_rcp_f64_e32 v[43:44], v[51:52]
	s_delay_alu instid0(VALU_DEP_1) | instskip(SKIP_3) | instid1(VALU_DEP_2)
	v_fma_f64 v[5:6], v[45:46], v[5:6], v[25:26]
	s_waitcnt_depctr 0xfff
	v_fma_f64 v[25:26], -v[51:52], v[43:44], 1.0
	v_add_f64 v[53:54], v[49:50], v[5:6]
	v_fma_f64 v[25:26], v[43:44], v[25:26], v[43:44]
	s_delay_alu instid0(VALU_DEP_2) | instskip(SKIP_1) | instid1(VALU_DEP_3)
	v_add_f64 v[43:44], v[31:32], -v[53:54]
	v_add_f64 v[49:50], v[53:54], -v[49:50]
	v_fma_f64 v[55:56], -v[51:52], v[25:26], 1.0
	s_delay_alu instid0(VALU_DEP_3) | instskip(NEXT) | instid1(VALU_DEP_3)
	v_add_f64 v[31:32], v[31:32], -v[43:44]
	v_add_f64 v[5:6], v[49:50], -v[5:6]
	s_delay_alu instid0(VALU_DEP_3) | instskip(NEXT) | instid1(VALU_DEP_3)
	v_fma_f64 v[25:26], v[25:26], v[55:56], v[25:26]
	v_add_f64 v[31:32], v[31:32], -v[53:54]
	s_delay_alu instid0(VALU_DEP_2) | instskip(NEXT) | instid1(VALU_DEP_2)
	v_mul_f64 v[49:50], v[57:58], v[25:26]
	v_add_f64 v[5:6], v[5:6], v[31:32]
	s_delay_alu instid0(VALU_DEP_2) | instskip(NEXT) | instid1(VALU_DEP_2)
	v_fma_f64 v[31:32], -v[51:52], v[49:50], v[57:58]
	v_add_f64 v[5:6], v[43:44], v[5:6]
	s_delay_alu instid0(VALU_DEP_2)
	v_div_fmas_f64 v[25:26], v[31:32], v[25:26], v[49:50]
	v_subrev_co_ci_u32_e64 v3, vcc_lo, 0, v3, s7
	v_cmp_eq_f64_e64 s7, 0, v[15:16]
	v_cmp_gt_i32_e32 vcc_lo, 0, v14
	v_cndmask_b32_e32 v1, 0x3fe921fb, v60, vcc_lo
	v_cndmask_b32_e32 v7, 0x54442d18, v59, vcc_lo
	s_delay_alu instid0(VALU_DEP_2) | instskip(SKIP_2) | instid1(VALU_DEP_2)
	v_bfi_b32 v1, 0x7fffffff, v1, v16
	v_mul_f64 v[5:6], v[27:28], v[5:6]
	v_div_fixup_f64 v[25:26], v[25:26], v[47:48], v[29:30]
	v_add_f64 v[27:28], v[45:46], v[5:6]
	s_delay_alu instid0(VALU_DEP_2) | instskip(NEXT) | instid1(VALU_DEP_2)
	v_mul_f64 v[29:30], v[25:26], v[25:26]
	v_mul_f64 v[31:32], v[27:28], v[27:28]
	s_delay_alu instid0(VALU_DEP_2) | instskip(NEXT) | instid1(VALU_DEP_2)
	v_fma_f64 v[43:44], v[29:30], s[50:51], s[48:49]
	v_fma_f64 v[47:48], v[31:32], s[30:31], s[28:29]
	v_mul_f64 v[49:50], v[27:28], v[31:32]
	s_delay_alu instid0(VALU_DEP_3) | instskip(NEXT) | instid1(VALU_DEP_3)
	v_fma_f64 v[43:44], v[29:30], v[43:44], s[52:53]
	v_fma_f64 v[47:48], v[31:32], v[47:48], s[36:37]
	s_delay_alu instid0(VALU_DEP_2) | instskip(NEXT) | instid1(VALU_DEP_2)
	v_fma_f64 v[43:44], v[29:30], v[43:44], s[54:55]
	v_fma_f64 v[47:48], v[31:32], v[47:48], s[38:39]
	s_delay_alu instid0(VALU_DEP_2) | instskip(NEXT) | instid1(VALU_DEP_2)
	;; [unrolled: 3-line block ×4, first 2 shown]
	v_fma_f64 v[43:44], v[29:30], v[43:44], s[60:61]
	v_fma_f64 v[31:32], v[31:32], v[47:48], s[98:99]
	v_ldexp_f64 v[47:48], v[27:28], 1
	v_add_f64 v[27:28], v[27:28], -v[45:46]
	s_delay_alu instid0(VALU_DEP_4) | instskip(NEXT) | instid1(VALU_DEP_4)
	v_fma_f64 v[43:44], v[29:30], v[43:44], s[62:63]
	v_mul_f64 v[31:32], v[49:50], v[31:32]
	v_cvt_f64_i32_e32 v[49:50], v3
	s_delay_alu instid0(VALU_DEP_4)
	v_add_f64 v[5:6], v[5:6], -v[27:28]
	v_ashrrev_i32_e32 v3, 31, v14
	v_fma_f64 v[43:44], v[29:30], v[43:44], s[64:65]
	v_add_f64 v[45:46], v[47:48], v[31:32]
	v_mul_f64 v[51:52], v[49:50], s[44:45]
	v_ldexp_f64 v[5:6], v[5:6], 1
	s_delay_alu instid0(VALU_DEP_4) | instskip(NEXT) | instid1(VALU_DEP_4)
	v_fma_f64 v[43:44], v[29:30], v[43:44], s[66:67]
	v_add_f64 v[27:28], v[45:46], -v[47:48]
	s_delay_alu instid0(VALU_DEP_4) | instskip(NEXT) | instid1(VALU_DEP_3)
	v_fma_f64 v[47:48], v[49:50], s[44:45], -v[51:52]
	v_fma_f64 v[43:44], v[29:30], v[43:44], s[68:69]
	s_delay_alu instid0(VALU_DEP_3) | instskip(NEXT) | instid1(VALU_DEP_2)
	v_add_f64 v[27:28], v[31:32], -v[27:28]
	v_fma_f64 v[31:32], v[29:30], v[43:44], s[70:71]
	s_delay_alu instid0(VALU_DEP_4) | instskip(NEXT) | instid1(VALU_DEP_3)
	v_fma_f64 v[43:44], v[49:50], s[46:47], v[47:48]
	v_add_f64 v[5:6], v[5:6], v[27:28]
	s_delay_alu instid0(VALU_DEP_3) | instskip(NEXT) | instid1(VALU_DEP_3)
	v_fma_f64 v[27:28], v[29:30], v[31:32], s[72:73]
	v_add_f64 v[31:32], v[51:52], v[43:44]
	s_delay_alu instid0(VALU_DEP_3) | instskip(NEXT) | instid1(VALU_DEP_3)
	v_add_f64 v[47:48], v[45:46], v[5:6]
	v_fma_f64 v[27:28], v[29:30], v[27:28], s[74:75]
	s_delay_alu instid0(VALU_DEP_3) | instskip(NEXT) | instid1(VALU_DEP_3)
	v_add_f64 v[51:52], v[31:32], -v[51:52]
	v_add_f64 v[49:50], v[31:32], v[47:48]
	v_add_f64 v[45:46], v[47:48], -v[45:46]
	s_delay_alu instid0(VALU_DEP_4) | instskip(NEXT) | instid1(VALU_DEP_4)
	v_fma_f64 v[27:28], v[29:30], v[27:28], s[76:77]
	v_add_f64 v[43:44], v[43:44], -v[51:52]
	s_delay_alu instid0(VALU_DEP_4) | instskip(NEXT) | instid1(VALU_DEP_4)
	v_add_f64 v[53:54], v[49:50], -v[31:32]
	v_add_f64 v[5:6], v[5:6], -v[45:46]
	s_delay_alu instid0(VALU_DEP_4) | instskip(NEXT) | instid1(VALU_DEP_3)
	v_fma_f64 v[27:28], v[29:30], v[27:28], s[78:79]
	v_add_f64 v[55:56], v[49:50], -v[53:54]
	v_add_f64 v[45:46], v[47:48], -v[53:54]
	s_delay_alu instid0(VALU_DEP_4) | instskip(NEXT) | instid1(VALU_DEP_4)
	v_add_f64 v[47:48], v[43:44], v[5:6]
	v_fma_f64 v[27:28], v[29:30], v[27:28], s[80:81]
	s_delay_alu instid0(VALU_DEP_4) | instskip(NEXT) | instid1(VALU_DEP_2)
	v_add_f64 v[31:32], v[31:32], -v[55:56]
	v_fma_f64 v[27:28], v[29:30], v[27:28], s[82:83]
	s_delay_alu instid0(VALU_DEP_2) | instskip(SKIP_1) | instid1(VALU_DEP_3)
	v_add_f64 v[31:32], v[45:46], v[31:32]
	v_add_f64 v[45:46], v[47:48], -v[43:44]
	v_fma_f64 v[27:28], v[29:30], v[27:28], s[84:85]
	s_delay_alu instid0(VALU_DEP_3) | instskip(NEXT) | instid1(VALU_DEP_3)
	v_add_f64 v[31:32], v[47:48], v[31:32]
	v_add_f64 v[47:48], v[47:48], -v[45:46]
	v_add_f64 v[5:6], v[5:6], -v[45:46]
	s_delay_alu instid0(VALU_DEP_4) | instskip(NEXT) | instid1(VALU_DEP_4)
	v_fma_f64 v[27:28], v[29:30], v[27:28], s[86:87]
	v_add_f64 v[51:52], v[49:50], v[31:32]
	s_delay_alu instid0(VALU_DEP_2) | instskip(SKIP_1) | instid1(VALU_DEP_3)
	v_mul_f64 v[27:28], v[29:30], v[27:28]
	v_add_f64 v[29:30], v[43:44], -v[47:48]
	v_add_f64 v[43:44], v[51:52], -v[49:50]
	s_delay_alu instid0(VALU_DEP_3) | instskip(NEXT) | instid1(VALU_DEP_3)
	v_fma_f64 v[25:26], v[25:26], v[27:28], v[25:26]
	v_add_f64 v[5:6], v[5:6], v[29:30]
	s_delay_alu instid0(VALU_DEP_3) | instskip(NEXT) | instid1(VALU_DEP_3)
	v_add_f64 v[27:28], v[31:32], -v[43:44]
	v_add_f64 v[29:30], -v[25:26], s[88:89]
	s_delay_alu instid0(VALU_DEP_2) | instskip(NEXT) | instid1(VALU_DEP_2)
	v_add_f64 v[5:6], v[5:6], v[27:28]
	v_cndmask_b32_e64 v26, v26, v30, s6
	s_delay_alu instid0(VALU_DEP_3) | instskip(SKIP_1) | instid1(VALU_DEP_2)
	v_cndmask_b32_e64 v25, v25, v29, s6
	v_and_b32_e32 v29, 0x54442d18, v3
	v_add_f64 v[27:28], -v[25:26], s[16:17]
	v_and_b32_e32 v2, 0x400921fb, v3
	v_add_f64 v[5:6], v[51:52], v[5:6]
	s_delay_alu instid0(VALU_DEP_3) | instskip(NEXT) | instid1(VALU_DEP_4)
	v_cndmask_b32_e32 v3, v26, v28, vcc_lo
	v_cndmask_b32_e32 v25, v25, v27, vcc_lo
	s_and_b32 vcc_lo, s10, s11
	s_delay_alu instid0(VALU_DEP_2) | instskip(NEXT) | instid1(VALU_DEP_1)
	v_cndmask_b32_e64 v2, v3, v2, s7
	v_cndmask_b32_e32 v28, v2, v1, vcc_lo
	s_delay_alu instid0(VALU_DEP_3) | instskip(NEXT) | instid1(VALU_DEP_1)
	v_cndmask_b32_e64 v13, v25, v29, s7
                                        ; implicit-def: $vgpr29_vgpr30
	v_cndmask_b32_e32 v27, v13, v7, vcc_lo
	v_mul_f64 v[5:6], v[5:6], 0.5
	s_delay_alu instid0(VALU_DEP_1) | instskip(NEXT) | instid1(VALU_DEP_2)
	v_cndmask_b32_e64 v26, 0xfff00000, v6, s8
	v_cndmask_b32_e64 v25, 0, v5, s8
                                        ; implicit-def: $vgpr5_vgpr6
.LBB174_89:                             ;   in Loop: Header=BB174_4 Depth=1
	s_and_not1_saveexec_b32 s24, s9
	s_cbranch_execz .LBB174_93
; %bb.90:                               ;   in Loop: Header=BB174_4 Depth=1
	v_dual_mov_b32 v25, v33 :: v_dual_and_b32 v34, 0x7ffffff8, v30
	v_and_b32_e32 v26, 0x7ffffff8, v6
	s_mov_b32 s25, 0
	s_delay_alu instid0(VALU_DEP_2) | instskip(SKIP_1) | instid1(VALU_DEP_3)
	v_add_f64 v[1:2], v[29:30], -v[33:34]
	v_mov_b32_e32 v29, v33
	v_add_f64 v[5:6], v[5:6], -v[25:26]
	v_mov_b32_e32 v31, v33
	v_add_f64 v[43:44], v[33:34], v[33:34]
	v_add_f64 v[51:52], v[25:26], v[25:26]
	v_mul_f64 v[27:28], v[25:26], v[25:26]
	v_and_b32_e32 v30, -8, v2
	v_and_b32_e32 v32, -8, v6
	s_delay_alu instid0(VALU_DEP_2) | instskip(SKIP_1) | instid1(VALU_DEP_3)
	v_add_f64 v[53:54], v[1:2], -v[29:30]
	v_add_f64 v[57:58], v[29:30], v[29:30]
	v_add_f64 v[55:56], v[5:6], -v[31:32]
	v_add_f64 v[61:62], v[31:32], v[31:32]
	v_mul_f64 v[1:2], v[33:34], v[33:34]
	v_mul_f64 v[49:50], v[43:44], v[29:30]
	;; [unrolled: 1-line block ×11, first 2 shown]
.LBB174_91:                             ;   Parent Loop BB174_4 Depth=1
                                        ; =>  This Inner Loop Header: Depth=2
	v_cmp_nlt_f64_e32 vcc_lo, v[1:2], v[27:28]
	v_dual_cndmask_b32 v56, v2, v28 :: v_dual_cndmask_b32 v55, v1, v27
	v_dual_cndmask_b32 v2, v28, v2 :: v_dual_cndmask_b32 v1, v27, v1
	s_delay_alu instid0(VALU_DEP_2) | instskip(NEXT) | instid1(VALU_DEP_1)
	v_cmp_nlt_f64_e64 s7, v[55:56], v[49:50]
	v_cndmask_b32_e64 v58, v56, v50, s7
	v_cndmask_b32_e64 v57, v55, v49, s7
	v_cndmask_b32_e64 v28, v50, v56, s7
	v_cndmask_b32_e64 v27, v49, v55, s7
	s_and_b32 s7, vcc_lo, s7
	s_delay_alu instid0(VALU_DEP_3) | instskip(NEXT) | instid1(VALU_DEP_1)
	v_cmp_nlt_f64_e64 s8, v[57:58], v[25:26]
	v_cndmask_b32_e64 v56, v58, v26, s8
	v_cndmask_b32_e64 v55, v57, v25, s8
	v_cndmask_b32_e64 v50, v26, v58, s8
	v_cndmask_b32_e64 v49, v25, v57, s8
	s_delay_alu instid0(VALU_DEP_3) | instskip(NEXT) | instid1(VALU_DEP_1)
	v_cmp_nlt_f64_e64 s9, v[55:56], v[47:48]
	v_cndmask_b32_e64 v58, v56, v48, s9
	v_cndmask_b32_e64 v57, v55, v47, s9
	;; [unrolled: 1-line block ×4, first 2 shown]
	s_and_b32 s8, s8, s9
	s_delay_alu instid0(VALU_DEP_3) | instskip(NEXT) | instid1(VALU_DEP_1)
	v_cmp_nlt_f64_e64 s10, v[57:58], v[5:6]
	v_cndmask_b32_e64 v56, v58, v6, s10
	v_cndmask_b32_e64 v55, v57, v5, s10
	;; [unrolled: 1-line block ×4, first 2 shown]
	s_delay_alu instid0(VALU_DEP_3) | instskip(NEXT) | instid1(VALU_DEP_1)
	v_cmp_nlt_f64_e64 s11, v[55:56], v[45:46]
	v_cndmask_b32_e64 v58, v56, v46, s11
	v_cndmask_b32_e64 v57, v55, v45, s11
	v_cndmask_b32_e64 v6, v46, v56, s11
	v_cndmask_b32_e64 v5, v45, v55, s11
	s_and_b32 s9, s10, s11
	s_delay_alu instid0(VALU_DEP_3) | instskip(NEXT) | instid1(VALU_DEP_1)
	v_cmp_nlt_f64_e64 s12, v[57:58], v[43:44]
	v_cndmask_b32_e64 v56, v58, v44, s12
	v_cndmask_b32_e64 v55, v57, v43, s12
	v_cndmask_b32_e64 v46, v44, v58, s12
	v_cndmask_b32_e64 v45, v43, v57, s12
	s_and_b32 s9, s9, s12
	;; [unrolled: 7-line block ×4, first 2 shown]
	s_delay_alu instid0(VALU_DEP_3) | instskip(NEXT) | instid1(VALU_DEP_1)
	v_cmp_nlt_f64_e64 s15, v[55:56], v[51:52]
	v_cndmask_b32_e64 v58, v56, v52, s15
	v_cndmask_b32_e64 v57, v55, v51, s15
	s_and_b32 s9, s9, s15
	v_cndmask_b32_e64 v30, v52, v56, s15
	v_cndmask_b32_e64 v29, v51, v55, s15
	s_delay_alu instid0(VALU_DEP_3) | instskip(NEXT) | instid1(VALU_DEP_1)
	v_cmp_nlt_f64_e64 s16, v[57:58], v[53:54]
	v_cndmask_b32_e64 v56, v58, v54, s16
	v_cndmask_b32_e64 v55, v57, v53, s16
	s_and_b32 s9, s9, s16
	v_cndmask_b32_e64 v52, v54, v58, s16
	s_and_b32 s8, s9, s8
	;; [unrolled: 2-line block ×3, first 2 shown]
	v_dual_mov_b32 v53, v55 :: v_dual_mov_b32 v54, v56
	s_and_b32 s7, exec_lo, s7
	s_delay_alu instid0(SALU_CYCLE_1) | instskip(NEXT) | instid1(SALU_CYCLE_1)
	s_or_b32 s25, s7, s25
	s_and_not1_b32 exec_lo, exec_lo, s25
	s_cbranch_execnz .LBB174_91
; %bb.92:                               ;   in Loop: Header=BB174_4 Depth=1
	s_or_b32 exec_lo, exec_lo, s25
	v_add_f64 v[1:2], v[1:2], -1.0
	s_mov_b32 s99, s27
	s_mov_b32 s16, s88
	v_cmp_gt_i32_e64 s7, 0, v14
	v_cmp_class_f64_e64 s9, v[13:14], 0x204
	v_cmp_class_f64_e64 s8, v[15:16], 0x204
	s_mov_b32 s14, 0x4ad4b81f
	s_mov_b32 s15, 0x358dee7a
	s_delay_alu instid0(VALU_DEP_4) | instskip(NEXT) | instid1(VALU_DEP_1)
	v_add_f64 v[1:2], v[1:2], v[27:28]
	v_add_f64 v[1:2], v[1:2], v[49:50]
	s_delay_alu instid0(VALU_DEP_1) | instskip(NEXT) | instid1(VALU_DEP_1)
	v_add_f64 v[1:2], v[1:2], v[25:26]
	v_add_f64 v[1:2], v[1:2], v[47:48]
	s_delay_alu instid0(VALU_DEP_1) | instskip(NEXT) | instid1(VALU_DEP_1)
	;; [unrolled: 3-line block ×5, first 2 shown]
	v_add_f64 v[1:2], v[55:56], v[1:2]
	v_add_f64 v[5:6], v[1:2], 1.0
	s_delay_alu instid0(VALU_DEP_1) | instskip(SKIP_2) | instid1(VALU_DEP_3)
	v_frexp_mant_f64_e32 v[25:26], v[5:6]
	v_frexp_exp_i32_f64_e32 v3, v[5:6]
	v_add_f64 v[27:28], v[5:6], -1.0
	v_cmp_gt_f64_e32 vcc_lo, s[26:27], v[25:26]
	s_delay_alu instid0(VALU_DEP_2) | instskip(SKIP_2) | instid1(VALU_DEP_3)
	v_add_f64 v[25:26], v[27:28], -v[5:6]
	v_add_f64 v[27:28], v[1:2], -v[27:28]
	v_subrev_co_ci_u32_e32 v3, vcc_lo, 0, v3, vcc_lo
	v_add_f64 v[25:26], v[25:26], 1.0
	s_delay_alu instid0(VALU_DEP_2) | instskip(NEXT) | instid1(VALU_DEP_1)
	v_sub_nc_u32_e32 v7, 0, v3
	v_ldexp_f64 v[5:6], v[5:6], v7
	s_delay_alu instid0(VALU_DEP_3) | instskip(NEXT) | instid1(VALU_DEP_2)
	v_add_f64 v[25:26], v[27:28], v[25:26]
	v_add_f64 v[29:30], v[5:6], 1.0
	v_add_f64 v[45:46], v[5:6], -1.0
	s_delay_alu instid0(VALU_DEP_3) | instskip(SKIP_1) | instid1(VALU_DEP_4)
	v_ldexp_f64 v[25:26], v[25:26], v7
	v_cndmask_b32_e64 v7, 0x54442d18, v59, s7
	v_add_f64 v[27:28], v[29:30], -1.0
	s_delay_alu instid0(VALU_DEP_4) | instskip(NEXT) | instid1(VALU_DEP_2)
	v_add_f64 v[47:48], v[45:46], 1.0
	v_add_f64 v[27:28], v[5:6], -v[27:28]
	s_delay_alu instid0(VALU_DEP_2) | instskip(NEXT) | instid1(VALU_DEP_2)
	v_add_f64 v[5:6], v[5:6], -v[47:48]
	v_add_f64 v[27:28], v[25:26], v[27:28]
	s_delay_alu instid0(VALU_DEP_2) | instskip(NEXT) | instid1(VALU_DEP_2)
	v_add_f64 v[5:6], v[25:26], v[5:6]
	v_add_f64 v[31:32], v[29:30], v[27:28]
	s_delay_alu instid0(VALU_DEP_2) | instskip(NEXT) | instid1(VALU_DEP_2)
	v_add_f64 v[47:48], v[45:46], v[5:6]
	v_rcp_f64_e32 v[43:44], v[31:32]
	v_add_f64 v[29:30], v[31:32], -v[29:30]
	s_delay_alu instid0(VALU_DEP_2) | instskip(NEXT) | instid1(VALU_DEP_2)
	v_add_f64 v[45:46], v[47:48], -v[45:46]
	v_add_f64 v[27:28], v[27:28], -v[29:30]
	s_waitcnt_depctr 0xfff
	v_fma_f64 v[49:50], -v[31:32], v[43:44], 1.0
	v_add_f64 v[5:6], v[5:6], -v[45:46]
	s_delay_alu instid0(VALU_DEP_2) | instskip(NEXT) | instid1(VALU_DEP_1)
	v_fma_f64 v[43:44], v[49:50], v[43:44], v[43:44]
	v_fma_f64 v[25:26], -v[31:32], v[43:44], 1.0
	s_delay_alu instid0(VALU_DEP_1) | instskip(NEXT) | instid1(VALU_DEP_1)
	v_fma_f64 v[25:26], v[25:26], v[43:44], v[43:44]
	v_mul_f64 v[43:44], v[47:48], v[25:26]
	s_delay_alu instid0(VALU_DEP_1) | instskip(NEXT) | instid1(VALU_DEP_1)
	v_mul_f64 v[49:50], v[31:32], v[43:44]
	v_fma_f64 v[29:30], v[43:44], v[31:32], -v[49:50]
	s_delay_alu instid0(VALU_DEP_1) | instskip(NEXT) | instid1(VALU_DEP_1)
	v_fma_f64 v[29:30], v[43:44], v[27:28], v[29:30]
	v_add_f64 v[51:52], v[49:50], v[29:30]
	s_delay_alu instid0(VALU_DEP_1) | instskip(SKIP_2) | instid1(VALU_DEP_3)
	v_add_f64 v[53:54], v[47:48], -v[51:52]
	v_add_f64 v[45:46], v[51:52], -v[49:50]
	v_max_f64 v[49:50], |v[15:16]|, |v[15:16]|
	v_add_f64 v[47:48], v[47:48], -v[53:54]
	s_delay_alu instid0(VALU_DEP_3) | instskip(NEXT) | instid1(VALU_DEP_2)
	v_add_f64 v[29:30], v[45:46], -v[29:30]
	v_add_f64 v[47:48], v[47:48], -v[51:52]
	v_max_f64 v[51:52], |v[13:14]|, |v[13:14]|
	v_cndmask_b32_e64 v13, 0x3fe921fb, v60, s7
	s_delay_alu instid0(VALU_DEP_1) | instskip(NEXT) | instid1(VALU_DEP_4)
	v_bfi_b32 v13, 0x7fffffff, v13, v16
	v_add_f64 v[5:6], v[5:6], v[47:48]
	s_delay_alu instid0(VALU_DEP_4) | instskip(SKIP_1) | instid1(VALU_DEP_3)
	v_max_f64 v[55:56], v[51:52], v[49:50]
	v_min_f64 v[49:50], v[51:52], v[49:50]
	v_add_f64 v[5:6], v[29:30], v[5:6]
	s_delay_alu instid0(VALU_DEP_1) | instskip(NEXT) | instid1(VALU_DEP_1)
	v_add_f64 v[29:30], v[53:54], v[5:6]
	v_mul_f64 v[45:46], v[25:26], v[29:30]
	v_add_f64 v[53:54], v[53:54], -v[29:30]
	s_delay_alu instid0(VALU_DEP_2) | instskip(NEXT) | instid1(VALU_DEP_2)
	v_mul_f64 v[47:48], v[31:32], v[45:46]
	v_add_f64 v[5:6], v[5:6], v[53:54]
	s_delay_alu instid0(VALU_DEP_2) | instskip(NEXT) | instid1(VALU_DEP_1)
	v_fma_f64 v[31:32], v[45:46], v[31:32], -v[47:48]
	v_fma_f64 v[27:28], v[45:46], v[27:28], v[31:32]
	v_div_scale_f64 v[31:32], null, v[55:56], v[55:56], v[49:50]
	s_delay_alu instid0(VALU_DEP_2) | instskip(NEXT) | instid1(VALU_DEP_2)
	v_add_f64 v[51:52], v[47:48], v[27:28]
	v_rcp_f64_e32 v[57:58], v[31:32]
	s_delay_alu instid0(VALU_DEP_1)
	v_add_f64 v[61:62], v[29:30], -v[51:52]
	v_add_f64 v[47:48], v[51:52], -v[47:48]
	s_waitcnt_depctr 0xfff
	v_fma_f64 v[63:64], -v[31:32], v[57:58], 1.0
	v_add_f64 v[29:30], v[29:30], -v[61:62]
	v_add_f64 v[27:28], v[47:48], -v[27:28]
	s_delay_alu instid0(VALU_DEP_3) | instskip(NEXT) | instid1(VALU_DEP_3)
	v_fma_f64 v[57:58], v[57:58], v[63:64], v[57:58]
	v_add_f64 v[29:30], v[29:30], -v[51:52]
	s_delay_alu instid0(VALU_DEP_2) | instskip(NEXT) | instid1(VALU_DEP_2)
	v_fma_f64 v[51:52], -v[31:32], v[57:58], 1.0
	v_add_f64 v[5:6], v[5:6], v[29:30]
	v_div_scale_f64 v[29:30], vcc_lo, v[49:50], v[55:56], v[49:50]
	s_delay_alu instid0(VALU_DEP_3) | instskip(SKIP_1) | instid1(VALU_DEP_4)
	v_fma_f64 v[47:48], v[57:58], v[51:52], v[57:58]
	v_add_f64 v[51:52], v[43:44], v[45:46]
	v_add_f64 v[5:6], v[27:28], v[5:6]
	s_delay_alu instid0(VALU_DEP_3) | instskip(NEXT) | instid1(VALU_DEP_3)
	v_mul_f64 v[27:28], v[29:30], v[47:48]
	v_add_f64 v[43:44], v[51:52], -v[43:44]
	s_delay_alu instid0(VALU_DEP_3) | instskip(NEXT) | instid1(VALU_DEP_3)
	v_add_f64 v[5:6], v[61:62], v[5:6]
	v_fma_f64 v[29:30], -v[31:32], v[27:28], v[29:30]
	s_delay_alu instid0(VALU_DEP_3) | instskip(NEXT) | instid1(VALU_DEP_3)
	v_add_f64 v[31:32], v[45:46], -v[43:44]
	v_mul_f64 v[5:6], v[25:26], v[5:6]
	s_delay_alu instid0(VALU_DEP_3) | instskip(SKIP_1) | instid1(VALU_DEP_3)
	v_div_fmas_f64 v[25:26], v[29:30], v[47:48], v[27:28]
	v_cmp_eq_f64_e32 vcc_lo, 0x7ff00000, v[1:2]
	v_add_f64 v[5:6], v[31:32], v[5:6]
	s_delay_alu instid0(VALU_DEP_3) | instskip(NEXT) | instid1(VALU_DEP_2)
	v_div_fixup_f64 v[25:26], v[25:26], v[55:56], v[49:50]
	v_add_f64 v[27:28], v[51:52], v[5:6]
	s_delay_alu instid0(VALU_DEP_2) | instskip(NEXT) | instid1(VALU_DEP_2)
	v_mul_f64 v[29:30], v[25:26], v[25:26]
	v_mul_f64 v[31:32], v[27:28], v[27:28]
	s_delay_alu instid0(VALU_DEP_2) | instskip(NEXT) | instid1(VALU_DEP_2)
	v_fma_f64 v[43:44], v[29:30], s[50:51], s[48:49]
	v_fma_f64 v[45:46], v[31:32], s[30:31], s[28:29]
	v_mul_f64 v[47:48], v[27:28], v[31:32]
	s_delay_alu instid0(VALU_DEP_3) | instskip(NEXT) | instid1(VALU_DEP_3)
	v_fma_f64 v[43:44], v[29:30], v[43:44], s[52:53]
	v_fma_f64 v[45:46], v[31:32], v[45:46], s[36:37]
	s_delay_alu instid0(VALU_DEP_2) | instskip(NEXT) | instid1(VALU_DEP_2)
	v_fma_f64 v[43:44], v[29:30], v[43:44], s[54:55]
	v_fma_f64 v[45:46], v[31:32], v[45:46], s[38:39]
	s_delay_alu instid0(VALU_DEP_2) | instskip(NEXT) | instid1(VALU_DEP_2)
	;; [unrolled: 3-line block ×4, first 2 shown]
	v_fma_f64 v[43:44], v[29:30], v[43:44], s[60:61]
	v_fma_f64 v[31:32], v[31:32], v[45:46], s[98:99]
	v_ldexp_f64 v[45:46], v[27:28], 1
	v_add_f64 v[27:28], v[27:28], -v[51:52]
	s_delay_alu instid0(VALU_DEP_4) | instskip(NEXT) | instid1(VALU_DEP_4)
	v_fma_f64 v[43:44], v[29:30], v[43:44], s[62:63]
	v_mul_f64 v[31:32], v[47:48], v[31:32]
	v_cvt_f64_i32_e32 v[47:48], v3
	s_delay_alu instid0(VALU_DEP_4) | instskip(NEXT) | instid1(VALU_DEP_4)
	v_add_f64 v[5:6], v[5:6], -v[27:28]
	v_fma_f64 v[43:44], v[29:30], v[43:44], s[64:65]
	v_ashrrev_i32_e32 v3, 31, v14
	v_add_f64 v[49:50], v[45:46], v[31:32]
	v_mul_f64 v[51:52], v[47:48], s[44:45]
	v_ldexp_f64 v[5:6], v[5:6], 1
	v_fma_f64 v[43:44], v[29:30], v[43:44], s[66:67]
	s_delay_alu instid0(VALU_DEP_4) | instskip(NEXT) | instid1(VALU_DEP_4)
	v_add_f64 v[27:28], v[49:50], -v[45:46]
	v_fma_f64 v[45:46], v[47:48], s[44:45], -v[51:52]
	s_delay_alu instid0(VALU_DEP_3) | instskip(NEXT) | instid1(VALU_DEP_3)
	v_fma_f64 v[43:44], v[29:30], v[43:44], s[68:69]
	v_add_f64 v[27:28], v[31:32], -v[27:28]
	s_delay_alu instid0(VALU_DEP_2) | instskip(NEXT) | instid1(VALU_DEP_4)
	v_fma_f64 v[31:32], v[29:30], v[43:44], s[70:71]
	v_fma_f64 v[43:44], v[47:48], s[46:47], v[45:46]
	s_delay_alu instid0(VALU_DEP_3) | instskip(NEXT) | instid1(VALU_DEP_3)
	v_add_f64 v[5:6], v[5:6], v[27:28]
	v_fma_f64 v[27:28], v[29:30], v[31:32], s[72:73]
	s_delay_alu instid0(VALU_DEP_3) | instskip(NEXT) | instid1(VALU_DEP_3)
	v_add_f64 v[31:32], v[51:52], v[43:44]
	v_add_f64 v[45:46], v[49:50], v[5:6]
	s_delay_alu instid0(VALU_DEP_3) | instskip(NEXT) | instid1(VALU_DEP_3)
	v_fma_f64 v[27:28], v[29:30], v[27:28], s[74:75]
	v_add_f64 v[51:52], v[31:32], -v[51:52]
	s_delay_alu instid0(VALU_DEP_3) | instskip(SKIP_1) | instid1(VALU_DEP_4)
	v_add_f64 v[47:48], v[31:32], v[45:46]
	v_add_f64 v[49:50], v[45:46], -v[49:50]
	v_fma_f64 v[27:28], v[29:30], v[27:28], s[76:77]
	s_delay_alu instid0(VALU_DEP_4) | instskip(NEXT) | instid1(VALU_DEP_4)
	v_add_f64 v[43:44], v[43:44], -v[51:52]
	v_add_f64 v[53:54], v[47:48], -v[31:32]
	s_delay_alu instid0(VALU_DEP_4) | instskip(NEXT) | instid1(VALU_DEP_4)
	v_add_f64 v[5:6], v[5:6], -v[49:50]
	v_fma_f64 v[27:28], v[29:30], v[27:28], s[78:79]
	s_delay_alu instid0(VALU_DEP_3) | instskip(SKIP_1) | instid1(VALU_DEP_4)
	v_add_f64 v[55:56], v[47:48], -v[53:54]
	v_add_f64 v[45:46], v[45:46], -v[53:54]
	v_add_f64 v[49:50], v[43:44], v[5:6]
	s_delay_alu instid0(VALU_DEP_4) | instskip(NEXT) | instid1(VALU_DEP_4)
	v_fma_f64 v[27:28], v[29:30], v[27:28], s[80:81]
	v_add_f64 v[31:32], v[31:32], -v[55:56]
	s_delay_alu instid0(VALU_DEP_2) | instskip(NEXT) | instid1(VALU_DEP_2)
	v_fma_f64 v[27:28], v[29:30], v[27:28], s[82:83]
	v_add_f64 v[31:32], v[45:46], v[31:32]
	v_add_f64 v[45:46], v[49:50], -v[43:44]
	s_delay_alu instid0(VALU_DEP_3) | instskip(NEXT) | instid1(VALU_DEP_3)
	v_fma_f64 v[27:28], v[29:30], v[27:28], s[84:85]
	v_add_f64 v[31:32], v[49:50], v[31:32]
	s_delay_alu instid0(VALU_DEP_3) | instskip(SKIP_1) | instid1(VALU_DEP_4)
	v_add_f64 v[49:50], v[49:50], -v[45:46]
	v_add_f64 v[5:6], v[5:6], -v[45:46]
	v_fma_f64 v[27:28], v[29:30], v[27:28], s[86:87]
	s_delay_alu instid0(VALU_DEP_4) | instskip(NEXT) | instid1(VALU_DEP_2)
	v_add_f64 v[51:52], v[47:48], v[31:32]
	v_mul_f64 v[27:28], v[29:30], v[27:28]
	v_add_f64 v[29:30], v[43:44], -v[49:50]
	s_delay_alu instid0(VALU_DEP_3) | instskip(NEXT) | instid1(VALU_DEP_3)
	v_add_f64 v[43:44], v[51:52], -v[47:48]
	v_fma_f64 v[25:26], v[25:26], v[27:28], v[25:26]
	s_delay_alu instid0(VALU_DEP_3) | instskip(NEXT) | instid1(VALU_DEP_3)
	v_add_f64 v[5:6], v[5:6], v[29:30]
	v_add_f64 v[27:28], v[31:32], -v[43:44]
	s_delay_alu instid0(VALU_DEP_3) | instskip(NEXT) | instid1(VALU_DEP_2)
	v_add_f64 v[29:30], -v[25:26], s[88:89]
	v_add_f64 v[5:6], v[5:6], v[27:28]
	s_delay_alu instid0(VALU_DEP_2) | instskip(NEXT) | instid1(VALU_DEP_3)
	v_cndmask_b32_e64 v26, v26, v30, s6
	v_cndmask_b32_e64 v25, v25, v29, s6
	s_delay_alu instid0(VALU_DEP_1) | instskip(NEXT) | instid1(VALU_DEP_4)
	v_add_f64 v[27:28], -v[25:26], s[16:17]
	v_add_f64 v[5:6], v[51:52], v[5:6]
	v_and_b32_e32 v29, 0x54442d18, v3
	v_and_b32_e32 v3, 0x400921fb, v3
	s_delay_alu instid0(VALU_DEP_4) | instskip(SKIP_4) | instid1(VALU_DEP_2)
	v_cndmask_b32_e64 v25, v25, v27, s7
	v_cndmask_b32_e64 v14, v26, v28, s7
	v_cmp_nge_f64_e64 s7, -1.0, v[1:2]
	v_dual_cndmask_b32 v6, v6, v2 :: v_dual_cndmask_b32 v5, v5, v1
	v_cmp_eq_f64_e32 vcc_lo, 0, v[15:16]
	v_mul_f64 v[5:6], v[5:6], 0.5
	v_cndmask_b32_e32 v27, v25, v29, vcc_lo
	v_cndmask_b32_e32 v3, v14, v3, vcc_lo
	v_cmp_ngt_f64_e32 vcc_lo, -1.0, v[1:2]
	s_delay_alu instid0(VALU_DEP_4)
	v_cndmask_b32_e64 v25, 0, v5, s7
	v_cmp_neq_f64_e64 s7, -1.0, v[1:2]
	v_cndmask_b32_e32 v6, 0x7ff80000, v6, vcc_lo
	s_and_b32 vcc_lo, s8, s9
	v_cndmask_b32_e32 v28, v3, v13, vcc_lo
	v_cndmask_b32_e32 v27, v27, v7, vcc_lo
	s_delay_alu instid0(VALU_DEP_3)
	v_cndmask_b32_e64 v26, 0xfff00000, v6, s7
.LBB174_93:                             ;   in Loop: Header=BB174_4 Depth=1
	s_or_b32 exec_lo, exec_lo, s24
.LBB174_94:                             ;   in Loop: Header=BB174_4 Depth=1
	s_delay_alu instid0(SALU_CYCLE_1)
	s_or_b32 exec_lo, exec_lo, s23
.LBB174_95:                             ;   in Loop: Header=BB174_4 Depth=1
	s_and_not1_saveexec_b32 s9, s22
	s_cbranch_execz .LBB174_97
; %bb.96:                               ;   in Loop: Header=BB174_4 Depth=1
	v_max_f64 v[1:2], |v[15:16]|, |v[15:16]|
	v_max_f64 v[5:6], |v[13:14]|, |v[13:14]|
	v_cmp_class_f64_e64 s10, v[13:14], 0x204
	v_cmp_class_f64_e64 s11, v[15:16], 0x204
	s_mov_b32 s99, s27
	s_mov_b32 s16, s88
	v_cmp_eq_f64_e64 s8, 0, v[15:16]
	s_delay_alu instid0(VALU_DEP_4) | instskip(SKIP_1) | instid1(VALU_DEP_4)
	v_max_f64 v[25:26], v[5:6], v[1:2]
	v_min_f64 v[1:2], v[5:6], v[1:2]
	s_or_b32 s12, s11, s10
	s_delay_alu instid0(VALU_DEP_2) | instskip(NEXT) | instid1(VALU_DEP_1)
	v_frexp_exp_i32_f64_e32 v3, v[25:26]
	v_sub_nc_u32_e32 v7, 0, v3
	s_delay_alu instid0(VALU_DEP_1) | instskip(SKIP_1) | instid1(VALU_DEP_2)
	v_ldexp_f64 v[27:28], |v[15:16]|, v7
	v_ldexp_f64 v[29:30], |v[13:14]|, v7
	v_mul_f64 v[27:28], v[27:28], v[27:28]
	s_delay_alu instid0(VALU_DEP_1) | instskip(NEXT) | instid1(VALU_DEP_1)
	v_fma_f64 v[27:28], v[29:30], v[29:30], v[27:28]
	v_rsq_f64_e32 v[29:30], v[27:28]
	v_cmp_eq_f64_e32 vcc_lo, 0, v[27:28]
	s_waitcnt_depctr 0xfff
	v_mul_f64 v[31:32], v[27:28], v[29:30]
	v_mul_f64 v[29:30], v[29:30], 0.5
	s_delay_alu instid0(VALU_DEP_1) | instskip(NEXT) | instid1(VALU_DEP_1)
	v_fma_f64 v[43:44], -v[29:30], v[31:32], 0.5
	v_fma_f64 v[31:32], v[31:32], v[43:44], v[31:32]
	v_fma_f64 v[29:30], v[29:30], v[43:44], v[29:30]
	s_delay_alu instid0(VALU_DEP_2) | instskip(NEXT) | instid1(VALU_DEP_1)
	v_fma_f64 v[43:44], -v[31:32], v[31:32], v[27:28]
	v_fma_f64 v[29:30], v[43:44], v[29:30], v[31:32]
	s_delay_alu instid0(VALU_DEP_1) | instskip(SKIP_1) | instid1(VALU_DEP_2)
	v_dual_cndmask_b32 v28, v30, v28 :: v_dual_cndmask_b32 v27, v29, v27
	v_div_scale_f64 v[61:62], vcc_lo, v[1:2], v[25:26], v[1:2]
	v_ldexp_f64 v[27:28], v[27:28], v3
	s_delay_alu instid0(VALU_DEP_1) | instskip(NEXT) | instid1(VALU_DEP_2)
	v_cndmask_b32_e64 v30, v28, 0x7ff00000, s12
	v_cndmask_b32_e64 v29, v27, 0, s12
	s_delay_alu instid0(VALU_DEP_1) | instskip(SKIP_1) | instid1(VALU_DEP_2)
	v_frexp_mant_f64_e32 v[31:32], v[29:30]
	v_frexp_exp_i32_f64_e32 v3, v[29:30]
	v_cmp_gt_f64_e64 s7, s[26:27], v[31:32]
	s_delay_alu instid0(VALU_DEP_1) | instskip(NEXT) | instid1(VALU_DEP_1)
	v_cndmask_b32_e64 v34, 0x3ff00000, 2.0, s7
	v_mul_f64 v[31:32], v[31:32], v[33:34]
	s_delay_alu instid0(VALU_DEP_1) | instskip(SKIP_1) | instid1(VALU_DEP_2)
	v_add_f64 v[43:44], v[31:32], 1.0
	v_add_f64 v[49:50], v[31:32], -1.0
	v_rcp_f64_e32 v[45:46], v[43:44]
	v_add_f64 v[51:52], v[43:44], -1.0
	s_delay_alu instid0(VALU_DEP_1) | instskip(SKIP_2) | instid1(VALU_DEP_1)
	v_add_f64 v[31:32], v[31:32], -v[51:52]
	s_waitcnt_depctr 0xfff
	v_fma_f64 v[47:48], -v[43:44], v[45:46], 1.0
	v_fma_f64 v[45:46], v[47:48], v[45:46], v[45:46]
	s_delay_alu instid0(VALU_DEP_1) | instskip(NEXT) | instid1(VALU_DEP_1)
	v_fma_f64 v[47:48], -v[43:44], v[45:46], 1.0
	v_fma_f64 v[45:46], v[47:48], v[45:46], v[45:46]
	v_div_scale_f64 v[47:48], null, v[25:26], v[25:26], v[1:2]
	s_delay_alu instid0(VALU_DEP_2) | instskip(NEXT) | instid1(VALU_DEP_2)
	v_mul_f64 v[5:6], v[49:50], v[45:46]
	v_rcp_f64_e32 v[55:56], v[47:48]
	s_delay_alu instid0(VALU_DEP_1) | instskip(SKIP_3) | instid1(VALU_DEP_1)
	v_mul_f64 v[53:54], v[43:44], v[5:6]
	s_waitcnt_depctr 0xfff
	v_fma_f64 v[51:52], -v[47:48], v[55:56], 1.0
	v_fma_f64 v[43:44], v[5:6], v[43:44], -v[53:54]
	v_fma_f64 v[31:32], v[5:6], v[31:32], v[43:44]
	s_delay_alu instid0(VALU_DEP_3) | instskip(NEXT) | instid1(VALU_DEP_2)
	v_fma_f64 v[43:44], v[55:56], v[51:52], v[55:56]
	v_add_f64 v[51:52], v[53:54], v[31:32]
	s_delay_alu instid0(VALU_DEP_2) | instskip(NEXT) | instid1(VALU_DEP_2)
	v_fma_f64 v[55:56], -v[47:48], v[43:44], 1.0
	v_add_f64 v[57:58], v[49:50], -v[51:52]
	s_delay_alu instid0(VALU_DEP_2) | instskip(SKIP_1) | instid1(VALU_DEP_3)
	v_fma_f64 v[43:44], v[43:44], v[55:56], v[43:44]
	v_add_f64 v[53:54], v[51:52], -v[53:54]
	v_add_f64 v[49:50], v[49:50], -v[57:58]
	s_delay_alu instid0(VALU_DEP_3) | instskip(NEXT) | instid1(VALU_DEP_3)
	v_mul_f64 v[55:56], v[61:62], v[43:44]
	v_add_f64 v[31:32], v[53:54], -v[31:32]
	s_delay_alu instid0(VALU_DEP_3) | instskip(NEXT) | instid1(VALU_DEP_3)
	v_add_f64 v[49:50], v[49:50], -v[51:52]
	v_fma_f64 v[47:48], -v[47:48], v[55:56], v[61:62]
	s_delay_alu instid0(VALU_DEP_2) | instskip(NEXT) | instid1(VALU_DEP_2)
	v_add_f64 v[31:32], v[31:32], v[49:50]
	v_div_fmas_f64 v[43:44], v[47:48], v[43:44], v[55:56]
	v_subrev_co_ci_u32_e64 v3, vcc_lo, 0, v3, s7
	v_cmp_class_f64_e64 s7, v[27:28], 0x204
	v_cmp_gt_i32_e32 vcc_lo, 0, v14
	v_cndmask_b32_e32 v7, 0x54442d18, v59, vcc_lo
	v_add_f64 v[31:32], v[57:58], v[31:32]
	v_div_fixup_f64 v[1:2], v[43:44], v[25:26], v[1:2]
	s_delay_alu instid0(VALU_DEP_2) | instskip(NEXT) | instid1(VALU_DEP_2)
	v_mul_f64 v[25:26], v[45:46], v[31:32]
	v_mul_f64 v[31:32], v[1:2], v[1:2]
	s_delay_alu instid0(VALU_DEP_2) | instskip(NEXT) | instid1(VALU_DEP_2)
	v_add_f64 v[43:44], v[5:6], v[25:26]
	v_fma_f64 v[45:46], v[31:32], s[50:51], s[48:49]
	s_delay_alu instid0(VALU_DEP_2) | instskip(NEXT) | instid1(VALU_DEP_2)
	v_mul_f64 v[47:48], v[43:44], v[43:44]
	v_fma_f64 v[45:46], v[31:32], v[45:46], s[52:53]
	v_add_f64 v[5:6], v[43:44], -v[5:6]
	s_delay_alu instid0(VALU_DEP_3) | instskip(NEXT) | instid1(VALU_DEP_3)
	v_fma_f64 v[49:50], v[47:48], s[30:31], s[28:29]
	v_fma_f64 v[45:46], v[31:32], v[45:46], s[54:55]
	v_mul_f64 v[51:52], v[43:44], v[47:48]
	s_delay_alu instid0(VALU_DEP_4) | instskip(NEXT) | instid1(VALU_DEP_4)
	v_add_f64 v[5:6], v[25:26], -v[5:6]
	v_fma_f64 v[49:50], v[47:48], v[49:50], s[36:37]
	s_delay_alu instid0(VALU_DEP_4) | instskip(NEXT) | instid1(VALU_DEP_3)
	v_fma_f64 v[45:46], v[31:32], v[45:46], s[56:57]
	v_ldexp_f64 v[5:6], v[5:6], 1
	s_delay_alu instid0(VALU_DEP_3) | instskip(NEXT) | instid1(VALU_DEP_3)
	v_fma_f64 v[49:50], v[47:48], v[49:50], s[38:39]
	v_fma_f64 v[45:46], v[31:32], v[45:46], s[58:59]
	s_delay_alu instid0(VALU_DEP_2) | instskip(NEXT) | instid1(VALU_DEP_2)
	v_fma_f64 v[49:50], v[47:48], v[49:50], s[40:41]
	v_fma_f64 v[45:46], v[31:32], v[45:46], s[60:61]
	s_delay_alu instid0(VALU_DEP_2) | instskip(NEXT) | instid1(VALU_DEP_2)
	;; [unrolled: 3-line block ×3, first 2 shown]
	v_fma_f64 v[47:48], v[47:48], v[49:50], s[98:99]
	v_fma_f64 v[45:46], v[31:32], v[45:46], s[64:65]
	v_ldexp_f64 v[49:50], v[43:44], 1
	s_delay_alu instid0(VALU_DEP_3) | instskip(NEXT) | instid1(VALU_DEP_3)
	v_mul_f64 v[47:48], v[51:52], v[47:48]
	v_fma_f64 v[45:46], v[31:32], v[45:46], s[66:67]
	v_cvt_f64_i32_e32 v[51:52], v3
	v_ashrrev_i32_e32 v3, 31, v14
	v_cndmask_b32_e32 v14, 0x3fe921fb, v60, vcc_lo
	s_delay_alu instid0(VALU_DEP_1) | instskip(SKIP_3) | instid1(VALU_DEP_3)
	v_bfi_b32 v14, 0x7fffffff, v14, v16
	v_add_f64 v[43:44], v[49:50], v[47:48]
	v_fma_f64 v[45:46], v[31:32], v[45:46], s[68:69]
	v_mul_f64 v[53:54], v[51:52], s[44:45]
	v_add_f64 v[25:26], v[43:44], -v[49:50]
	s_delay_alu instid0(VALU_DEP_3) | instskip(NEXT) | instid1(VALU_DEP_3)
	v_fma_f64 v[45:46], v[31:32], v[45:46], s[70:71]
	v_fma_f64 v[49:50], v[51:52], s[44:45], -v[53:54]
	s_delay_alu instid0(VALU_DEP_3) | instskip(NEXT) | instid1(VALU_DEP_3)
	v_add_f64 v[25:26], v[47:48], -v[25:26]
	v_fma_f64 v[45:46], v[31:32], v[45:46], s[72:73]
	s_delay_alu instid0(VALU_DEP_3) | instskip(NEXT) | instid1(VALU_DEP_3)
	v_fma_f64 v[47:48], v[51:52], s[46:47], v[49:50]
	v_add_f64 v[5:6], v[5:6], v[25:26]
	s_delay_alu instid0(VALU_DEP_3) | instskip(NEXT) | instid1(VALU_DEP_3)
	v_fma_f64 v[25:26], v[31:32], v[45:46], s[74:75]
	v_add_f64 v[45:46], v[53:54], v[47:48]
	s_delay_alu instid0(VALU_DEP_3) | instskip(NEXT) | instid1(VALU_DEP_3)
	v_add_f64 v[49:50], v[43:44], v[5:6]
	v_fma_f64 v[25:26], v[31:32], v[25:26], s[76:77]
	s_delay_alu instid0(VALU_DEP_3) | instskip(NEXT) | instid1(VALU_DEP_3)
	v_add_f64 v[53:54], v[45:46], -v[53:54]
	v_add_f64 v[51:52], v[45:46], v[49:50]
	s_delay_alu instid0(VALU_DEP_3) | instskip(SKIP_1) | instid1(VALU_DEP_4)
	v_fma_f64 v[25:26], v[31:32], v[25:26], s[78:79]
	v_add_f64 v[43:44], v[49:50], -v[43:44]
	v_add_f64 v[47:48], v[47:48], -v[53:54]
	s_delay_alu instid0(VALU_DEP_4) | instskip(NEXT) | instid1(VALU_DEP_4)
	v_add_f64 v[55:56], v[51:52], -v[45:46]
	v_fma_f64 v[25:26], v[31:32], v[25:26], s[80:81]
	s_delay_alu instid0(VALU_DEP_4) | instskip(NEXT) | instid1(VALU_DEP_3)
	v_add_f64 v[5:6], v[5:6], -v[43:44]
	v_add_f64 v[57:58], v[51:52], -v[55:56]
	s_delay_alu instid0(VALU_DEP_3) | instskip(SKIP_1) | instid1(VALU_DEP_4)
	v_fma_f64 v[25:26], v[31:32], v[25:26], s[82:83]
	v_add_f64 v[43:44], v[49:50], -v[55:56]
	v_add_f64 v[49:50], v[47:48], v[5:6]
	s_delay_alu instid0(VALU_DEP_4) | instskip(NEXT) | instid1(VALU_DEP_4)
	v_add_f64 v[45:46], v[45:46], -v[57:58]
	v_fma_f64 v[25:26], v[31:32], v[25:26], s[84:85]
	s_delay_alu instid0(VALU_DEP_2) | instskip(NEXT) | instid1(VALU_DEP_2)
	v_add_f64 v[43:44], v[43:44], v[45:46]
	v_fma_f64 v[25:26], v[31:32], v[25:26], s[86:87]
	v_add_f64 v[45:46], v[49:50], -v[47:48]
	s_delay_alu instid0(VALU_DEP_3) | instskip(NEXT) | instid1(VALU_DEP_3)
	v_add_f64 v[43:44], v[49:50], v[43:44]
	v_mul_f64 v[25:26], v[31:32], v[25:26]
	s_delay_alu instid0(VALU_DEP_3) | instskip(SKIP_1) | instid1(VALU_DEP_4)
	v_add_f64 v[31:32], v[49:50], -v[45:46]
	v_add_f64 v[5:6], v[5:6], -v[45:46]
	v_add_f64 v[49:50], v[51:52], v[43:44]
	s_delay_alu instid0(VALU_DEP_4) | instskip(NEXT) | instid1(VALU_DEP_4)
	v_fma_f64 v[1:2], v[1:2], v[25:26], v[1:2]
	v_add_f64 v[25:26], v[47:48], -v[31:32]
	s_delay_alu instid0(VALU_DEP_3) | instskip(NEXT) | instid1(VALU_DEP_3)
	v_add_f64 v[31:32], v[49:50], -v[51:52]
	v_add_f64 v[45:46], -v[1:2], s[88:89]
	s_delay_alu instid0(VALU_DEP_3) | instskip(NEXT) | instid1(VALU_DEP_3)
	v_add_f64 v[5:6], v[5:6], v[25:26]
	v_add_f64 v[25:26], v[43:44], -v[31:32]
	s_delay_alu instid0(VALU_DEP_3) | instskip(NEXT) | instid1(VALU_DEP_4)
	v_cndmask_b32_e64 v2, v2, v46, s6
	v_cndmask_b32_e64 v1, v1, v45, s6
	s_delay_alu instid0(VALU_DEP_3) | instskip(NEXT) | instid1(VALU_DEP_2)
	v_add_f64 v[5:6], v[5:6], v[25:26]
	v_add_f64 v[25:26], -v[1:2], s[16:17]
	v_and_b32_e32 v13, 0x54442d18, v3
	v_and_b32_e32 v3, 0x400921fb, v3
	s_delay_alu instid0(VALU_DEP_4) | instskip(NEXT) | instid1(VALU_DEP_4)
	v_add_f64 v[5:6], v[49:50], v[5:6]
	v_cndmask_b32_e32 v2, v2, v26, vcc_lo
	s_delay_alu instid0(VALU_DEP_1)
	v_cndmask_b32_e64 v2, v2, v3, s8
	v_cndmask_b32_e32 v1, v1, v25, vcc_lo
	v_cmp_ngt_f64_e32 vcc_lo, 0, v[29:30]
	v_cndmask_b32_e64 v6, v6, v28, s7
	v_cndmask_b32_e64 v5, v5, v27, s7
	v_cmp_nge_f64_e64 s7, 0, v[29:30]
	s_delay_alu instid0(VALU_DEP_3) | instskip(NEXT) | instid1(VALU_DEP_3)
	v_cndmask_b32_e64 v6, v6, 0x7ff00000, s12
	v_cndmask_b32_e64 v3, v5, 0, s12
	s_delay_alu instid0(VALU_DEP_2) | instskip(SKIP_3) | instid1(VALU_DEP_1)
	v_cndmask_b32_e32 v5, 0x7ff80000, v6, vcc_lo
	s_and_b32 vcc_lo, s11, s10
	v_cndmask_b32_e32 v28, v2, v14, vcc_lo
	v_cndmask_b32_e64 v1, v1, v13, s8
	v_cndmask_b32_e32 v27, v1, v7, vcc_lo
	v_cndmask_b32_e64 v25, 0, v3, s7
	v_cmp_neq_f64_e64 s7, 0, v[29:30]
	s_delay_alu instid0(VALU_DEP_1)
	v_cndmask_b32_e64 v26, 0xfff00000, v5, s7
.LBB174_97:                             ;   in Loop: Header=BB174_4 Depth=1
	s_or_b32 exec_lo, exec_lo, s9
                                        ; implicit-def: $vgpr5_vgpr6
.LBB174_98:                             ;   in Loop: Header=BB174_4 Depth=1
	s_and_not1_saveexec_b32 s9, s91
	s_cbranch_execz .LBB174_104
; %bb.99:                               ;   in Loop: Header=BB174_4 Depth=1
                                        ; implicit-def: $vgpr25_vgpr26
	s_mov_b32 s7, exec_lo
	v_cmpx_ngt_f64_e32 s[92:93], v[5:6]
	s_xor_b32 s10, exec_lo, s7
	s_cbranch_execz .LBB174_101
; %bb.100:                              ;   in Loop: Header=BB174_4 Depth=1
	v_mul_f64 v[1:2], v[5:6], v[5:6]
	s_mov_b32 s99, s27
	s_mov_b32 s16, s88
	v_cmp_eq_f64_e64 s8, 0, v[15:16]
	v_cmp_gt_i32_e64 s7, 0, v14
	v_cmp_class_f64_e64 s11, v[15:16], 0x204
	v_cmp_class_f64_e64 s12, v[13:14], 0x204
	v_add_f64 v[5:6], v[1:2], 1.0
	s_delay_alu instid0(VALU_DEP_1) | instskip(SKIP_2) | instid1(VALU_DEP_3)
	v_frexp_mant_f64_e32 v[25:26], v[5:6]
	v_frexp_exp_i32_f64_e32 v3, v[5:6]
	v_add_f64 v[27:28], v[5:6], -1.0
	v_cmp_gt_f64_e32 vcc_lo, s[26:27], v[25:26]
	s_delay_alu instid0(VALU_DEP_2) | instskip(SKIP_2) | instid1(VALU_DEP_3)
	v_add_f64 v[25:26], v[27:28], -v[5:6]
	v_add_f64 v[27:28], v[1:2], -v[27:28]
	v_subrev_co_ci_u32_e32 v3, vcc_lo, 0, v3, vcc_lo
	v_add_f64 v[25:26], v[25:26], 1.0
	s_delay_alu instid0(VALU_DEP_2) | instskip(NEXT) | instid1(VALU_DEP_1)
	v_sub_nc_u32_e32 v7, 0, v3
	v_ldexp_f64 v[5:6], v[5:6], v7
	s_delay_alu instid0(VALU_DEP_3) | instskip(NEXT) | instid1(VALU_DEP_2)
	v_add_f64 v[25:26], v[27:28], v[25:26]
	v_add_f64 v[29:30], v[5:6], 1.0
	v_add_f64 v[45:46], v[5:6], -1.0
	s_delay_alu instid0(VALU_DEP_3) | instskip(SKIP_1) | instid1(VALU_DEP_4)
	v_ldexp_f64 v[25:26], v[25:26], v7
	v_cndmask_b32_e64 v7, 0x54442d18, v59, s7
	v_add_f64 v[27:28], v[29:30], -1.0
	s_delay_alu instid0(VALU_DEP_4) | instskip(NEXT) | instid1(VALU_DEP_2)
	v_add_f64 v[47:48], v[45:46], 1.0
	v_add_f64 v[27:28], v[5:6], -v[27:28]
	s_delay_alu instid0(VALU_DEP_2) | instskip(NEXT) | instid1(VALU_DEP_2)
	v_add_f64 v[5:6], v[5:6], -v[47:48]
	v_add_f64 v[27:28], v[25:26], v[27:28]
	s_delay_alu instid0(VALU_DEP_2) | instskip(NEXT) | instid1(VALU_DEP_2)
	v_add_f64 v[5:6], v[25:26], v[5:6]
	v_add_f64 v[31:32], v[29:30], v[27:28]
	s_delay_alu instid0(VALU_DEP_2) | instskip(NEXT) | instid1(VALU_DEP_2)
	v_add_f64 v[47:48], v[45:46], v[5:6]
	v_rcp_f64_e32 v[43:44], v[31:32]
	v_add_f64 v[29:30], v[29:30], -v[31:32]
	s_delay_alu instid0(VALU_DEP_2) | instskip(NEXT) | instid1(VALU_DEP_2)
	v_add_f64 v[45:46], v[45:46], -v[47:48]
	v_add_f64 v[27:28], v[27:28], v[29:30]
	s_waitcnt_depctr 0xfff
	v_fma_f64 v[49:50], -v[31:32], v[43:44], 1.0
	v_add_f64 v[5:6], v[5:6], v[45:46]
	s_delay_alu instid0(VALU_DEP_2) | instskip(NEXT) | instid1(VALU_DEP_1)
	v_fma_f64 v[43:44], v[49:50], v[43:44], v[43:44]
	v_fma_f64 v[25:26], -v[31:32], v[43:44], 1.0
	s_delay_alu instid0(VALU_DEP_1) | instskip(NEXT) | instid1(VALU_DEP_1)
	v_fma_f64 v[25:26], v[25:26], v[43:44], v[43:44]
	v_mul_f64 v[43:44], v[47:48], v[25:26]
	s_delay_alu instid0(VALU_DEP_1) | instskip(NEXT) | instid1(VALU_DEP_1)
	v_mul_f64 v[49:50], v[31:32], v[43:44]
	v_fma_f64 v[29:30], v[43:44], v[31:32], -v[49:50]
	s_delay_alu instid0(VALU_DEP_1) | instskip(NEXT) | instid1(VALU_DEP_1)
	v_fma_f64 v[29:30], v[43:44], v[27:28], v[29:30]
	v_add_f64 v[51:52], v[49:50], v[29:30]
	s_delay_alu instid0(VALU_DEP_1) | instskip(SKIP_2) | instid1(VALU_DEP_3)
	v_add_f64 v[53:54], v[47:48], -v[51:52]
	v_add_f64 v[45:46], v[51:52], -v[49:50]
	v_max_f64 v[49:50], |v[15:16]|, |v[15:16]|
	v_add_f64 v[47:48], v[47:48], -v[53:54]
	s_delay_alu instid0(VALU_DEP_3) | instskip(NEXT) | instid1(VALU_DEP_2)
	v_add_f64 v[29:30], v[45:46], -v[29:30]
	v_add_f64 v[47:48], v[47:48], -v[51:52]
	v_max_f64 v[51:52], |v[13:14]|, |v[13:14]|
	s_delay_alu instid0(VALU_DEP_2) | instskip(NEXT) | instid1(VALU_DEP_2)
	v_add_f64 v[5:6], v[5:6], v[47:48]
	v_max_f64 v[55:56], v[51:52], v[49:50]
	v_min_f64 v[49:50], v[51:52], v[49:50]
	s_delay_alu instid0(VALU_DEP_3) | instskip(NEXT) | instid1(VALU_DEP_1)
	v_add_f64 v[5:6], v[29:30], v[5:6]
	v_add_f64 v[29:30], v[53:54], v[5:6]
	s_delay_alu instid0(VALU_DEP_1) | instskip(SKIP_1) | instid1(VALU_DEP_2)
	v_mul_f64 v[45:46], v[25:26], v[29:30]
	v_add_f64 v[53:54], v[53:54], -v[29:30]
	v_mul_f64 v[47:48], v[31:32], v[45:46]
	s_delay_alu instid0(VALU_DEP_2) | instskip(NEXT) | instid1(VALU_DEP_2)
	v_add_f64 v[5:6], v[5:6], v[53:54]
	v_fma_f64 v[31:32], v[45:46], v[31:32], -v[47:48]
	s_delay_alu instid0(VALU_DEP_1) | instskip(SKIP_1) | instid1(VALU_DEP_2)
	v_fma_f64 v[27:28], v[45:46], v[27:28], v[31:32]
	v_div_scale_f64 v[31:32], null, v[55:56], v[55:56], v[49:50]
	v_add_f64 v[51:52], v[47:48], v[27:28]
	s_delay_alu instid0(VALU_DEP_2) | instskip(NEXT) | instid1(VALU_DEP_1)
	v_rcp_f64_e32 v[57:58], v[31:32]
	v_add_f64 v[61:62], v[29:30], -v[51:52]
	v_add_f64 v[47:48], v[51:52], -v[47:48]
	s_waitcnt_depctr 0xfff
	v_fma_f64 v[63:64], -v[31:32], v[57:58], 1.0
	v_add_f64 v[29:30], v[29:30], -v[61:62]
	v_add_f64 v[27:28], v[47:48], -v[27:28]
	s_delay_alu instid0(VALU_DEP_3) | instskip(NEXT) | instid1(VALU_DEP_3)
	v_fma_f64 v[57:58], v[57:58], v[63:64], v[57:58]
	v_add_f64 v[29:30], v[29:30], -v[51:52]
	s_delay_alu instid0(VALU_DEP_2) | instskip(NEXT) | instid1(VALU_DEP_2)
	v_fma_f64 v[51:52], -v[31:32], v[57:58], 1.0
	v_add_f64 v[5:6], v[5:6], v[29:30]
	v_div_scale_f64 v[29:30], vcc_lo, v[49:50], v[55:56], v[49:50]
	s_delay_alu instid0(VALU_DEP_3) | instskip(SKIP_1) | instid1(VALU_DEP_4)
	v_fma_f64 v[47:48], v[57:58], v[51:52], v[57:58]
	v_add_f64 v[51:52], v[43:44], v[45:46]
	v_add_f64 v[5:6], v[27:28], v[5:6]
	s_delay_alu instid0(VALU_DEP_3) | instskip(NEXT) | instid1(VALU_DEP_3)
	v_mul_f64 v[27:28], v[29:30], v[47:48]
	v_add_f64 v[43:44], v[51:52], -v[43:44]
	s_delay_alu instid0(VALU_DEP_3) | instskip(NEXT) | instid1(VALU_DEP_3)
	v_add_f64 v[5:6], v[61:62], v[5:6]
	v_fma_f64 v[29:30], -v[31:32], v[27:28], v[29:30]
	s_delay_alu instid0(VALU_DEP_3) | instskip(NEXT) | instid1(VALU_DEP_3)
	v_add_f64 v[31:32], v[45:46], -v[43:44]
	v_mul_f64 v[5:6], v[25:26], v[5:6]
	s_delay_alu instid0(VALU_DEP_3) | instskip(SKIP_1) | instid1(VALU_DEP_3)
	v_div_fmas_f64 v[25:26], v[29:30], v[47:48], v[27:28]
	v_cmp_eq_f64_e32 vcc_lo, 0x7ff00000, v[1:2]
	v_add_f64 v[5:6], v[31:32], v[5:6]
	s_delay_alu instid0(VALU_DEP_3) | instskip(NEXT) | instid1(VALU_DEP_2)
	v_div_fixup_f64 v[25:26], v[25:26], v[55:56], v[49:50]
	v_add_f64 v[27:28], v[51:52], v[5:6]
	s_delay_alu instid0(VALU_DEP_2) | instskip(NEXT) | instid1(VALU_DEP_2)
	v_mul_f64 v[29:30], v[25:26], v[25:26]
	v_mul_f64 v[31:32], v[27:28], v[27:28]
	s_delay_alu instid0(VALU_DEP_2) | instskip(NEXT) | instid1(VALU_DEP_2)
	v_fma_f64 v[43:44], v[29:30], s[50:51], s[48:49]
	v_fma_f64 v[45:46], v[31:32], s[30:31], s[28:29]
	v_mul_f64 v[47:48], v[27:28], v[31:32]
	s_delay_alu instid0(VALU_DEP_3) | instskip(NEXT) | instid1(VALU_DEP_3)
	v_fma_f64 v[43:44], v[29:30], v[43:44], s[52:53]
	v_fma_f64 v[45:46], v[31:32], v[45:46], s[36:37]
	s_delay_alu instid0(VALU_DEP_2) | instskip(NEXT) | instid1(VALU_DEP_2)
	v_fma_f64 v[43:44], v[29:30], v[43:44], s[54:55]
	v_fma_f64 v[45:46], v[31:32], v[45:46], s[38:39]
	s_delay_alu instid0(VALU_DEP_2) | instskip(NEXT) | instid1(VALU_DEP_2)
	;; [unrolled: 3-line block ×4, first 2 shown]
	v_fma_f64 v[43:44], v[29:30], v[43:44], s[60:61]
	v_fma_f64 v[31:32], v[31:32], v[45:46], s[98:99]
	v_ldexp_f64 v[45:46], v[27:28], 1
	v_add_f64 v[27:28], v[27:28], -v[51:52]
	s_delay_alu instid0(VALU_DEP_4) | instskip(NEXT) | instid1(VALU_DEP_4)
	v_fma_f64 v[43:44], v[29:30], v[43:44], s[62:63]
	v_mul_f64 v[31:32], v[47:48], v[31:32]
	v_cvt_f64_i32_e32 v[47:48], v3
	s_delay_alu instid0(VALU_DEP_4) | instskip(NEXT) | instid1(VALU_DEP_4)
	v_add_f64 v[5:6], v[5:6], -v[27:28]
	v_fma_f64 v[43:44], v[29:30], v[43:44], s[64:65]
	v_ashrrev_i32_e32 v3, 31, v14
	v_add_f64 v[49:50], v[45:46], v[31:32]
	v_mul_f64 v[51:52], v[47:48], s[44:45]
	v_ldexp_f64 v[5:6], v[5:6], 1
	v_fma_f64 v[43:44], v[29:30], v[43:44], s[66:67]
	s_delay_alu instid0(VALU_DEP_4) | instskip(NEXT) | instid1(VALU_DEP_4)
	v_add_f64 v[27:28], v[49:50], -v[45:46]
	v_fma_f64 v[45:46], v[47:48], s[44:45], -v[51:52]
	s_delay_alu instid0(VALU_DEP_3) | instskip(NEXT) | instid1(VALU_DEP_3)
	v_fma_f64 v[43:44], v[29:30], v[43:44], s[68:69]
	v_add_f64 v[27:28], v[31:32], -v[27:28]
	s_delay_alu instid0(VALU_DEP_2) | instskip(NEXT) | instid1(VALU_DEP_4)
	v_fma_f64 v[31:32], v[29:30], v[43:44], s[70:71]
	v_fma_f64 v[43:44], v[47:48], s[46:47], v[45:46]
	s_delay_alu instid0(VALU_DEP_3) | instskip(NEXT) | instid1(VALU_DEP_3)
	v_add_f64 v[5:6], v[5:6], v[27:28]
	v_fma_f64 v[27:28], v[29:30], v[31:32], s[72:73]
	s_delay_alu instid0(VALU_DEP_3) | instskip(NEXT) | instid1(VALU_DEP_3)
	v_add_f64 v[31:32], v[51:52], v[43:44]
	v_add_f64 v[45:46], v[49:50], v[5:6]
	s_delay_alu instid0(VALU_DEP_3) | instskip(NEXT) | instid1(VALU_DEP_3)
	v_fma_f64 v[27:28], v[29:30], v[27:28], s[74:75]
	v_add_f64 v[51:52], v[31:32], -v[51:52]
	s_delay_alu instid0(VALU_DEP_3) | instskip(SKIP_1) | instid1(VALU_DEP_4)
	v_add_f64 v[47:48], v[31:32], v[45:46]
	v_add_f64 v[49:50], v[45:46], -v[49:50]
	v_fma_f64 v[27:28], v[29:30], v[27:28], s[76:77]
	s_delay_alu instid0(VALU_DEP_4) | instskip(NEXT) | instid1(VALU_DEP_4)
	v_add_f64 v[43:44], v[43:44], -v[51:52]
	v_add_f64 v[53:54], v[47:48], -v[31:32]
	s_delay_alu instid0(VALU_DEP_4) | instskip(NEXT) | instid1(VALU_DEP_4)
	v_add_f64 v[5:6], v[5:6], -v[49:50]
	v_fma_f64 v[27:28], v[29:30], v[27:28], s[78:79]
	s_delay_alu instid0(VALU_DEP_3) | instskip(SKIP_1) | instid1(VALU_DEP_4)
	v_add_f64 v[55:56], v[47:48], -v[53:54]
	v_add_f64 v[45:46], v[45:46], -v[53:54]
	v_add_f64 v[49:50], v[43:44], v[5:6]
	s_delay_alu instid0(VALU_DEP_4) | instskip(NEXT) | instid1(VALU_DEP_4)
	v_fma_f64 v[27:28], v[29:30], v[27:28], s[80:81]
	v_add_f64 v[31:32], v[31:32], -v[55:56]
	s_delay_alu instid0(VALU_DEP_2) | instskip(NEXT) | instid1(VALU_DEP_2)
	v_fma_f64 v[27:28], v[29:30], v[27:28], s[82:83]
	v_add_f64 v[31:32], v[45:46], v[31:32]
	v_add_f64 v[45:46], v[49:50], -v[43:44]
	s_delay_alu instid0(VALU_DEP_3) | instskip(NEXT) | instid1(VALU_DEP_3)
	v_fma_f64 v[27:28], v[29:30], v[27:28], s[84:85]
	v_add_f64 v[31:32], v[49:50], v[31:32]
	s_delay_alu instid0(VALU_DEP_3) | instskip(SKIP_1) | instid1(VALU_DEP_4)
	v_add_f64 v[49:50], v[49:50], -v[45:46]
	v_add_f64 v[5:6], v[5:6], -v[45:46]
	v_fma_f64 v[27:28], v[29:30], v[27:28], s[86:87]
	s_delay_alu instid0(VALU_DEP_4) | instskip(NEXT) | instid1(VALU_DEP_2)
	v_add_f64 v[51:52], v[47:48], v[31:32]
	v_mul_f64 v[27:28], v[29:30], v[27:28]
	v_add_f64 v[29:30], v[43:44], -v[49:50]
	s_delay_alu instid0(VALU_DEP_3) | instskip(NEXT) | instid1(VALU_DEP_3)
	v_add_f64 v[43:44], v[51:52], -v[47:48]
	v_fma_f64 v[25:26], v[25:26], v[27:28], v[25:26]
	s_delay_alu instid0(VALU_DEP_3) | instskip(NEXT) | instid1(VALU_DEP_3)
	v_add_f64 v[5:6], v[5:6], v[29:30]
	v_add_f64 v[27:28], v[31:32], -v[43:44]
	s_delay_alu instid0(VALU_DEP_3) | instskip(NEXT) | instid1(VALU_DEP_2)
	v_add_f64 v[29:30], -v[25:26], s[88:89]
	v_add_f64 v[5:6], v[5:6], v[27:28]
	s_delay_alu instid0(VALU_DEP_2) | instskip(NEXT) | instid1(VALU_DEP_3)
	v_cndmask_b32_e64 v27, v26, v30, s6
	v_cndmask_b32_e64 v26, v25, v29, s6
	s_delay_alu instid0(VALU_DEP_1) | instskip(NEXT) | instid1(VALU_DEP_4)
	v_add_f64 v[28:29], -v[26:27], s[16:17]
	v_add_f64 v[5:6], v[51:52], v[5:6]
	v_and_b32_e32 v30, 0x54442d18, v3
	s_delay_alu instid0(VALU_DEP_3) | instskip(NEXT) | instid1(VALU_DEP_3)
	v_cndmask_b32_e64 v28, v26, v28, s7
	v_cndmask_b32_e32 v1, v5, v1, vcc_lo
	s_delay_alu instid0(VALU_DEP_2) | instskip(SKIP_2) | instid1(VALU_DEP_1)
	v_cndmask_b32_e64 v5, v28, v30, s8
	v_cndmask_b32_e32 v2, v6, v2, vcc_lo
	s_and_b32 vcc_lo, s11, s12
	v_mul_f64 v[25:26], v[1:2], 0.5
	v_cndmask_b32_e64 v1, 0x3fe921fb, v60, s7
	v_and_b32_e32 v2, 0x400921fb, v3
	v_cndmask_b32_e64 v3, v27, v29, s7
	v_cndmask_b32_e32 v27, v5, v7, vcc_lo
                                        ; implicit-def: $vgpr5_vgpr6
	s_delay_alu instid0(VALU_DEP_4) | instskip(NEXT) | instid1(VALU_DEP_3)
	v_bfi_b32 v1, 0x7fffffff, v1, v16
	v_cndmask_b32_e64 v2, v3, v2, s8
	s_delay_alu instid0(VALU_DEP_1)
	v_cndmask_b32_e32 v28, v2, v1, vcc_lo
.LBB174_101:                            ;   in Loop: Header=BB174_4 Depth=1
	s_and_not1_saveexec_b32 s8, s10
	s_cbranch_execz .LBB174_103
; %bb.102:                              ;   in Loop: Header=BB174_4 Depth=1
	v_max_f64 v[1:2], |v[15:16]|, |v[15:16]|
	v_max_f64 v[25:26], |v[13:14]|, |v[13:14]|
	s_mov_b32 s16, s88
	v_cmp_class_f64_e64 s10, v[15:16], 0x204
	v_cmp_class_f64_e64 s11, v[13:14], 0x204
	v_cmp_eq_f64_e64 s7, 0, v[15:16]
	v_ashrrev_i32_e32 v3, 31, v14
	v_max_f64 v[27:28], v[25:26], v[1:2]
	v_min_f64 v[1:2], v[25:26], v[1:2]
	s_delay_alu instid0(VALU_DEP_1) | instskip(SKIP_1) | instid1(VALU_DEP_2)
	v_div_scale_f64 v[25:26], null, v[27:28], v[27:28], v[1:2]
	v_div_scale_f64 v[43:44], vcc_lo, v[1:2], v[27:28], v[1:2]
	v_rcp_f64_e32 v[29:30], v[25:26]
	s_waitcnt_depctr 0xfff
	v_fma_f64 v[31:32], -v[25:26], v[29:30], 1.0
	s_delay_alu instid0(VALU_DEP_1) | instskip(NEXT) | instid1(VALU_DEP_1)
	v_fma_f64 v[29:30], v[29:30], v[31:32], v[29:30]
	v_fma_f64 v[31:32], -v[25:26], v[29:30], 1.0
	s_delay_alu instid0(VALU_DEP_1) | instskip(NEXT) | instid1(VALU_DEP_1)
	v_fma_f64 v[29:30], v[29:30], v[31:32], v[29:30]
	v_mul_f64 v[31:32], v[43:44], v[29:30]
	s_delay_alu instid0(VALU_DEP_1) | instskip(NEXT) | instid1(VALU_DEP_1)
	v_fma_f64 v[25:26], -v[25:26], v[31:32], v[43:44]
	v_div_fmas_f64 v[25:26], v[25:26], v[29:30], v[31:32]
	v_cmp_gt_i32_e32 vcc_lo, 0, v14
	v_cndmask_b32_e32 v7, 0x54442d18, v59, vcc_lo
	s_delay_alu instid0(VALU_DEP_3) | instskip(NEXT) | instid1(VALU_DEP_1)
	v_div_fixup_f64 v[1:2], v[25:26], v[27:28], v[1:2]
	v_mul_f64 v[25:26], v[1:2], v[1:2]
	s_delay_alu instid0(VALU_DEP_1) | instskip(NEXT) | instid1(VALU_DEP_1)
	v_fma_f64 v[27:28], v[25:26], s[50:51], s[48:49]
	v_fma_f64 v[27:28], v[25:26], v[27:28], s[52:53]
	s_delay_alu instid0(VALU_DEP_1) | instskip(NEXT) | instid1(VALU_DEP_1)
	v_fma_f64 v[27:28], v[25:26], v[27:28], s[54:55]
	v_fma_f64 v[27:28], v[25:26], v[27:28], s[56:57]
	;; [unrolled: 3-line block ×9, first 2 shown]
	s_delay_alu instid0(VALU_DEP_1) | instskip(NEXT) | instid1(VALU_DEP_1)
	v_fma_f64 v[27:28], v[25:26], v[27:28], s[86:87]
	v_mul_f64 v[25:26], v[25:26], v[27:28]
	v_mul_f64 v[28:29], v[5:6], 0.5
	s_delay_alu instid0(VALU_DEP_2) | instskip(NEXT) | instid1(VALU_DEP_1)
	v_fma_f64 v[1:2], v[1:2], v[25:26], v[1:2]
	v_add_f64 v[25:26], -v[1:2], s[88:89]
	s_delay_alu instid0(VALU_DEP_1) | instskip(NEXT) | instid1(VALU_DEP_2)
	v_cndmask_b32_e64 v2, v2, v26, s6
	v_cndmask_b32_e64 v1, v1, v25, s6
	s_delay_alu instid0(VALU_DEP_1) | instskip(NEXT) | instid1(VALU_DEP_1)
	v_add_f64 v[26:27], -v[1:2], s[16:17]
	v_dual_cndmask_b32 v1, v1, v26 :: v_dual_and_b32 v30, 0x54442d18, v3
	v_mul_f64 v[25:26], v[5:6], v[28:29]
	v_cndmask_b32_e32 v5, 0x3fe921fb, v60, vcc_lo
	s_delay_alu instid0(VALU_DEP_4) | instskip(SKIP_2) | instid1(VALU_DEP_3)
	v_cndmask_b32_e32 v2, v2, v27, vcc_lo
	s_and_b32 vcc_lo, s10, s11
	v_cndmask_b32_e64 v1, v1, v30, s7
	v_bfi_b32 v5, 0x7fffffff, v5, v16
	v_and_b32_e32 v3, 0x400921fb, v3
	s_delay_alu instid0(VALU_DEP_3) | instskip(NEXT) | instid1(VALU_DEP_2)
	v_cndmask_b32_e32 v27, v1, v7, vcc_lo
	v_cndmask_b32_e64 v2, v2, v3, s7
	s_delay_alu instid0(VALU_DEP_1)
	v_cndmask_b32_e32 v28, v2, v5, vcc_lo
.LBB174_103:                            ;   in Loop: Header=BB174_4 Depth=1
	s_or_b32 exec_lo, exec_lo, s8
.LBB174_104:                            ;   in Loop: Header=BB174_4 Depth=1
	s_delay_alu instid0(SALU_CYCLE_1)
	s_or_b32 exec_lo, exec_lo, s9
.LBB174_105:                            ;   in Loop: Header=BB174_4 Depth=1
	s_and_not1_saveexec_b32 s9, s90
	s_cbranch_execz .LBB174_107
; %bb.106:                              ;   in Loop: Header=BB174_4 Depth=1
	v_div_scale_f64 v[1:2], null, s[94:95], s[94:95], v[13:14]
	v_div_scale_f64 v[5:6], null, s[94:95], s[94:95], v[15:16]
	v_div_scale_f64 v[43:44], vcc_lo, v[13:14], s[94:95], v[13:14]
	v_max_f64 v[47:48], |v[13:14]|, |v[13:14]|
	s_mov_b32 s99, s27
	s_mov_b32 s16, s88
	s_delay_alu instid0(VALU_DEP_4) | instskip(NEXT) | instid1(VALU_DEP_3)
	v_rcp_f64_e32 v[25:26], v[1:2]
	v_rcp_f64_e32 v[27:28], v[5:6]
	s_waitcnt_depctr 0xfff
	v_fma_f64 v[29:30], -v[1:2], v[25:26], 1.0
	v_fma_f64 v[31:32], -v[5:6], v[27:28], 1.0
	s_delay_alu instid0(VALU_DEP_2) | instskip(NEXT) | instid1(VALU_DEP_2)
	v_fma_f64 v[25:26], v[25:26], v[29:30], v[25:26]
	v_fma_f64 v[27:28], v[27:28], v[31:32], v[27:28]
	s_delay_alu instid0(VALU_DEP_2) | instskip(NEXT) | instid1(VALU_DEP_2)
	v_fma_f64 v[29:30], -v[1:2], v[25:26], 1.0
	v_fma_f64 v[31:32], -v[5:6], v[27:28], 1.0
	s_delay_alu instid0(VALU_DEP_2) | instskip(SKIP_1) | instid1(VALU_DEP_3)
	v_fma_f64 v[25:26], v[25:26], v[29:30], v[25:26]
	v_div_scale_f64 v[29:30], s7, v[15:16], s[94:95], v[15:16]
	v_fma_f64 v[27:28], v[27:28], v[31:32], v[27:28]
	s_delay_alu instid0(VALU_DEP_3) | instskip(NEXT) | instid1(VALU_DEP_2)
	v_mul_f64 v[31:32], v[43:44], v[25:26]
	v_mul_f64 v[45:46], v[29:30], v[27:28]
	s_delay_alu instid0(VALU_DEP_2) | instskip(NEXT) | instid1(VALU_DEP_2)
	v_fma_f64 v[1:2], -v[1:2], v[31:32], v[43:44]
	v_fma_f64 v[5:6], -v[5:6], v[45:46], v[29:30]
	s_delay_alu instid0(VALU_DEP_2) | instskip(SKIP_1) | instid1(VALU_DEP_2)
	v_div_fmas_f64 v[1:2], v[1:2], v[25:26], v[31:32]
	s_mov_b32 vcc_lo, s7
	v_div_fmas_f64 v[5:6], v[5:6], v[27:28], v[45:46]
	s_delay_alu instid0(VALU_DEP_2) | instskip(NEXT) | instid1(VALU_DEP_2)
	v_div_fixup_f64 v[1:2], v[1:2], s[94:95], v[13:14]
	v_div_fixup_f64 v[5:6], v[5:6], s[94:95], v[15:16]
	s_delay_alu instid0(VALU_DEP_2) | instskip(NEXT) | instid1(VALU_DEP_2)
	v_cmp_class_f64_e64 s8, v[1:2], 0x204
	v_max_f64 v[25:26], |v[1:2]|, |v[5:6]|
	v_cmp_o_f64_e64 s7, v[1:2], v[5:6]
	v_cmp_class_f64_e64 s10, v[5:6], 0x204
	s_delay_alu instid0(VALU_DEP_3) | instskip(NEXT) | instid1(VALU_DEP_2)
	v_frexp_exp_i32_f64_e32 v3, v[25:26]
	s_or_b32 s10, s10, s8
	s_delay_alu instid0(VALU_DEP_1) | instskip(NEXT) | instid1(VALU_DEP_1)
	v_sub_nc_u32_e32 v7, 0, v3
	v_ldexp_f64 v[25:26], |v[5:6]|, v7
	v_ldexp_f64 v[27:28], |v[1:2]|, v7
	s_delay_alu instid0(VALU_DEP_2) | instskip(NEXT) | instid1(VALU_DEP_1)
	v_mul_f64 v[25:26], v[25:26], v[25:26]
	v_fma_f64 v[25:26], v[27:28], v[27:28], v[25:26]
	s_delay_alu instid0(VALU_DEP_1) | instskip(SKIP_4) | instid1(VALU_DEP_1)
	v_rsq_f64_e32 v[27:28], v[25:26]
	v_cmp_eq_f64_e32 vcc_lo, 0, v[25:26]
	s_waitcnt_depctr 0xfff
	v_mul_f64 v[29:30], v[25:26], v[27:28]
	v_mul_f64 v[27:28], v[27:28], 0.5
	v_fma_f64 v[31:32], -v[27:28], v[29:30], 0.5
	s_delay_alu instid0(VALU_DEP_1) | instskip(SKIP_1) | instid1(VALU_DEP_2)
	v_fma_f64 v[29:30], v[29:30], v[31:32], v[29:30]
	v_fma_f64 v[27:28], v[27:28], v[31:32], v[27:28]
	v_fma_f64 v[31:32], -v[29:30], v[29:30], v[25:26]
	s_delay_alu instid0(VALU_DEP_1) | instskip(NEXT) | instid1(VALU_DEP_1)
	v_fma_f64 v[27:28], v[31:32], v[27:28], v[29:30]
	v_dual_cndmask_b32 v26, v28, v26 :: v_dual_cndmask_b32 v25, v27, v25
	s_delay_alu instid0(VALU_DEP_1) | instskip(NEXT) | instid1(VALU_DEP_1)
	v_ldexp_f64 v[25:26], v[25:26], v3
	v_cndmask_b32_e64 v3, 0, v25, s7
	s_delay_alu instid0(VALU_DEP_2) | instskip(NEXT) | instid1(VALU_DEP_2)
	v_cndmask_b32_e64 v7, 0x7ff80000, v26, s7
	v_cndmask_b32_e64 v1, v3, 0, s10
	s_delay_alu instid0(VALU_DEP_2) | instskip(NEXT) | instid1(VALU_DEP_1)
	v_cndmask_b32_e64 v2, v7, 0x7ff00000, s10
	v_frexp_mant_f64_e32 v[5:6], v[1:2]
	s_delay_alu instid0(VALU_DEP_1) | instskip(NEXT) | instid1(VALU_DEP_1)
	v_cmp_gt_f64_e64 s8, s[26:27], v[5:6]
	v_cndmask_b32_e64 v34, 0x3ff00000, 2.0, s8
	s_delay_alu instid0(VALU_DEP_1) | instskip(SKIP_1) | instid1(VALU_DEP_2)
	v_mul_f64 v[5:6], v[5:6], v[33:34]
	v_frexp_exp_i32_f64_e32 v34, v[1:2]
	v_add_f64 v[27:28], v[5:6], 1.0
	v_add_f64 v[43:44], v[5:6], -1.0
	s_delay_alu instid0(VALU_DEP_2) | instskip(SKIP_1) | instid1(VALU_DEP_1)
	v_rcp_f64_e32 v[29:30], v[27:28]
	v_add_f64 v[49:50], v[27:28], -1.0
	v_add_f64 v[5:6], v[5:6], -v[49:50]
	s_waitcnt_depctr 0xfff
	v_fma_f64 v[31:32], -v[27:28], v[29:30], 1.0
	s_delay_alu instid0(VALU_DEP_1) | instskip(NEXT) | instid1(VALU_DEP_1)
	v_fma_f64 v[29:30], v[31:32], v[29:30], v[29:30]
	v_fma_f64 v[31:32], -v[27:28], v[29:30], 1.0
	s_delay_alu instid0(VALU_DEP_1) | instskip(SKIP_1) | instid1(VALU_DEP_2)
	v_fma_f64 v[29:30], v[31:32], v[29:30], v[29:30]
	v_max_f64 v[31:32], |v[15:16]|, |v[15:16]|
	v_mul_f64 v[45:46], v[43:44], v[29:30]
	s_delay_alu instid0(VALU_DEP_2) | instskip(SKIP_1) | instid1(VALU_DEP_3)
	v_max_f64 v[53:54], v[47:48], v[31:32]
	v_min_f64 v[31:32], v[47:48], v[31:32]
	v_mul_f64 v[51:52], v[27:28], v[45:46]
	s_delay_alu instid0(VALU_DEP_2) | instskip(NEXT) | instid1(VALU_DEP_2)
	v_div_scale_f64 v[47:48], null, v[53:54], v[53:54], v[31:32]
	v_fma_f64 v[27:28], v[45:46], v[27:28], -v[51:52]
	s_delay_alu instid0(VALU_DEP_1) | instskip(NEXT) | instid1(VALU_DEP_3)
	v_fma_f64 v[5:6], v[45:46], v[5:6], v[27:28]
	v_rcp_f64_e32 v[27:28], v[47:48]
	s_delay_alu instid0(VALU_DEP_1) | instskip(SKIP_4) | instid1(VALU_DEP_3)
	v_add_f64 v[49:50], v[51:52], v[5:6]
	s_waitcnt_depctr 0xfff
	v_fma_f64 v[55:56], -v[47:48], v[27:28], 1.0
	v_add_f64 v[57:58], v[43:44], -v[49:50]
	v_add_f64 v[51:52], v[49:50], -v[51:52]
	v_fma_f64 v[27:28], v[27:28], v[55:56], v[27:28]
	s_delay_alu instid0(VALU_DEP_3) | instskip(NEXT) | instid1(VALU_DEP_3)
	v_add_f64 v[43:44], v[43:44], -v[57:58]
	v_add_f64 v[5:6], v[51:52], -v[5:6]
	s_delay_alu instid0(VALU_DEP_3) | instskip(NEXT) | instid1(VALU_DEP_3)
	v_fma_f64 v[55:56], -v[47:48], v[27:28], 1.0
	v_add_f64 v[43:44], v[43:44], -v[49:50]
	v_div_scale_f64 v[49:50], vcc_lo, v[31:32], v[53:54], v[31:32]
	s_delay_alu instid0(VALU_DEP_3) | instskip(NEXT) | instid1(VALU_DEP_3)
	v_fma_f64 v[27:28], v[27:28], v[55:56], v[27:28]
	v_add_f64 v[5:6], v[5:6], v[43:44]
	s_delay_alu instid0(VALU_DEP_2) | instskip(NEXT) | instid1(VALU_DEP_2)
	v_mul_f64 v[43:44], v[49:50], v[27:28]
	v_add_f64 v[5:6], v[57:58], v[5:6]
	s_delay_alu instid0(VALU_DEP_2) | instskip(NEXT) | instid1(VALU_DEP_2)
	v_fma_f64 v[47:48], -v[47:48], v[43:44], v[49:50]
	v_mul_f64 v[5:6], v[29:30], v[5:6]
	s_delay_alu instid0(VALU_DEP_2) | instskip(SKIP_2) | instid1(VALU_DEP_4)
	v_div_fmas_f64 v[27:28], v[47:48], v[27:28], v[43:44]
	v_subrev_co_ci_u32_e64 v34, vcc_lo, 0, v34, s8
	v_cmp_class_f64_e64 s8, v[13:14], 0x204
	v_add_f64 v[29:30], v[45:46], v[5:6]
	s_delay_alu instid0(VALU_DEP_4) | instskip(NEXT) | instid1(VALU_DEP_2)
	v_div_fixup_f64 v[27:28], v[27:28], v[53:54], v[31:32]
	v_mul_f64 v[31:32], v[29:30], v[29:30]
	s_delay_alu instid0(VALU_DEP_2) | instskip(NEXT) | instid1(VALU_DEP_2)
	v_mul_f64 v[43:44], v[27:28], v[27:28]
	v_fma_f64 v[47:48], v[31:32], s[30:31], s[28:29]
	v_mul_f64 v[51:52], v[29:30], v[31:32]
	s_delay_alu instid0(VALU_DEP_3) | instskip(NEXT) | instid1(VALU_DEP_3)
	v_fma_f64 v[49:50], v[43:44], s[50:51], s[48:49]
	v_fma_f64 v[47:48], v[31:32], v[47:48], s[36:37]
	s_delay_alu instid0(VALU_DEP_2) | instskip(NEXT) | instid1(VALU_DEP_2)
	v_fma_f64 v[49:50], v[43:44], v[49:50], s[52:53]
	v_fma_f64 v[47:48], v[31:32], v[47:48], s[38:39]
	s_delay_alu instid0(VALU_DEP_2) | instskip(NEXT) | instid1(VALU_DEP_2)
	;; [unrolled: 3-line block ×4, first 2 shown]
	v_fma_f64 v[49:50], v[43:44], v[49:50], s[58:59]
	v_fma_f64 v[31:32], v[31:32], v[47:48], s[98:99]
	s_delay_alu instid0(VALU_DEP_2) | instskip(SKIP_2) | instid1(VALU_DEP_4)
	v_fma_f64 v[47:48], v[43:44], v[49:50], s[60:61]
	v_ldexp_f64 v[49:50], v[29:30], 1
	v_add_f64 v[29:30], v[29:30], -v[45:46]
	v_mul_f64 v[31:32], v[51:52], v[31:32]
	v_cvt_f64_i32_e32 v[51:52], v34
	v_fma_f64 v[47:48], v[43:44], v[47:48], s[62:63]
	s_delay_alu instid0(VALU_DEP_4) | instskip(NEXT) | instid1(VALU_DEP_4)
	v_add_f64 v[5:6], v[5:6], -v[29:30]
	v_add_f64 v[45:46], v[49:50], v[31:32]
	s_delay_alu instid0(VALU_DEP_4) | instskip(NEXT) | instid1(VALU_DEP_4)
	v_mul_f64 v[53:54], v[51:52], s[44:45]
	v_fma_f64 v[47:48], v[43:44], v[47:48], s[64:65]
	s_delay_alu instid0(VALU_DEP_4) | instskip(NEXT) | instid1(VALU_DEP_4)
	v_ldexp_f64 v[5:6], v[5:6], 1
	v_add_f64 v[29:30], v[45:46], -v[49:50]
	s_delay_alu instid0(VALU_DEP_4) | instskip(NEXT) | instid1(VALU_DEP_4)
	v_fma_f64 v[49:50], v[51:52], s[44:45], -v[53:54]
	v_fma_f64 v[47:48], v[43:44], v[47:48], s[66:67]
	s_delay_alu instid0(VALU_DEP_3) | instskip(NEXT) | instid1(VALU_DEP_2)
	v_add_f64 v[29:30], v[31:32], -v[29:30]
	v_fma_f64 v[31:32], v[43:44], v[47:48], s[68:69]
	s_delay_alu instid0(VALU_DEP_4) | instskip(NEXT) | instid1(VALU_DEP_3)
	v_fma_f64 v[47:48], v[51:52], s[46:47], v[49:50]
	v_add_f64 v[5:6], v[5:6], v[29:30]
	s_delay_alu instid0(VALU_DEP_3) | instskip(NEXT) | instid1(VALU_DEP_3)
	v_fma_f64 v[29:30], v[43:44], v[31:32], s[70:71]
	v_add_f64 v[31:32], v[53:54], v[47:48]
	s_delay_alu instid0(VALU_DEP_3) | instskip(NEXT) | instid1(VALU_DEP_3)
	v_add_f64 v[49:50], v[45:46], v[5:6]
	v_fma_f64 v[29:30], v[43:44], v[29:30], s[72:73]
	s_delay_alu instid0(VALU_DEP_3) | instskip(NEXT) | instid1(VALU_DEP_3)
	v_add_f64 v[53:54], v[31:32], -v[53:54]
	v_add_f64 v[51:52], v[31:32], v[49:50]
	v_add_f64 v[45:46], v[49:50], -v[45:46]
	s_delay_alu instid0(VALU_DEP_4) | instskip(NEXT) | instid1(VALU_DEP_4)
	v_fma_f64 v[29:30], v[43:44], v[29:30], s[74:75]
	v_add_f64 v[47:48], v[47:48], -v[53:54]
	s_delay_alu instid0(VALU_DEP_4) | instskip(NEXT) | instid1(VALU_DEP_4)
	v_add_f64 v[55:56], v[51:52], -v[31:32]
	v_add_f64 v[5:6], v[5:6], -v[45:46]
	s_delay_alu instid0(VALU_DEP_4) | instskip(NEXT) | instid1(VALU_DEP_3)
	v_fma_f64 v[29:30], v[43:44], v[29:30], s[76:77]
	v_add_f64 v[57:58], v[51:52], -v[55:56]
	v_add_f64 v[45:46], v[49:50], -v[55:56]
	s_delay_alu instid0(VALU_DEP_4) | instskip(NEXT) | instid1(VALU_DEP_4)
	v_add_f64 v[49:50], v[47:48], v[5:6]
	v_fma_f64 v[29:30], v[43:44], v[29:30], s[78:79]
	s_delay_alu instid0(VALU_DEP_4) | instskip(NEXT) | instid1(VALU_DEP_2)
	v_add_f64 v[31:32], v[31:32], -v[57:58]
	v_fma_f64 v[29:30], v[43:44], v[29:30], s[80:81]
	s_delay_alu instid0(VALU_DEP_2) | instskip(SKIP_1) | instid1(VALU_DEP_3)
	v_add_f64 v[31:32], v[45:46], v[31:32]
	v_add_f64 v[45:46], v[49:50], -v[47:48]
	v_fma_f64 v[29:30], v[43:44], v[29:30], s[82:83]
	s_delay_alu instid0(VALU_DEP_3) | instskip(NEXT) | instid1(VALU_DEP_3)
	v_add_f64 v[31:32], v[49:50], v[31:32]
	v_add_f64 v[49:50], v[49:50], -v[45:46]
	v_add_f64 v[5:6], v[5:6], -v[45:46]
	s_delay_alu instid0(VALU_DEP_4) | instskip(NEXT) | instid1(VALU_DEP_4)
	v_fma_f64 v[29:30], v[43:44], v[29:30], s[84:85]
	v_add_f64 v[53:54], v[51:52], v[31:32]
	s_delay_alu instid0(VALU_DEP_4) | instskip(NEXT) | instid1(VALU_DEP_3)
	v_add_f64 v[45:46], v[47:48], -v[49:50]
	v_fma_f64 v[29:30], v[43:44], v[29:30], s[86:87]
	s_delay_alu instid0(VALU_DEP_3) | instskip(NEXT) | instid1(VALU_DEP_3)
	v_add_f64 v[47:48], v[53:54], -v[51:52]
	v_add_f64 v[5:6], v[5:6], v[45:46]
	s_delay_alu instid0(VALU_DEP_3) | instskip(NEXT) | instid1(VALU_DEP_3)
	v_mul_f64 v[29:30], v[43:44], v[29:30]
	v_add_f64 v[31:32], v[31:32], -v[47:48]
	s_delay_alu instid0(VALU_DEP_2) | instskip(NEXT) | instid1(VALU_DEP_2)
	v_fma_f64 v[27:28], v[27:28], v[29:30], v[27:28]
	v_add_f64 v[5:6], v[5:6], v[31:32]
	s_delay_alu instid0(VALU_DEP_2) | instskip(NEXT) | instid1(VALU_DEP_2)
	v_add_f64 v[29:30], -v[27:28], s[88:89]
	v_add_f64 v[5:6], v[53:54], v[5:6]
	v_and_b32_e32 v26, 0x7fffffff, v26
	s_delay_alu instid0(VALU_DEP_1) | instskip(NEXT) | instid1(VALU_DEP_4)
	v_cmp_eq_f64_e32 vcc_lo, 0x7ff00000, v[25:26]
	v_cndmask_b32_e64 v26, v28, v30, s6
	v_cndmask_b32_e64 v25, v27, v29, s6
	v_cmp_eq_f64_e64 s6, 0, v[15:16]
	v_ashrrev_i32_e32 v29, 31, v14
	s_delay_alu instid0(VALU_DEP_3)
	v_add_f64 v[27:28], -v[25:26], s[16:17]
	s_and_b32 vcc_lo, s7, vcc_lo
	v_cmp_class_f64_e64 s7, v[15:16], 0x204
	v_cndmask_b32_e32 v5, v5, v3, vcc_lo
	v_dual_cndmask_b32 v6, v6, v7 :: v_dual_and_b32 v7, 0x54442d18, v29
	v_cmp_gt_i32_e32 vcc_lo, 0, v14
	v_and_b32_e32 v14, 0x400921fb, v29
	s_delay_alu instid0(VALU_DEP_3) | instskip(SKIP_3) | instid1(VALU_DEP_3)
	v_add_f64 v[5:6], v[5:6], 1.0
	v_cndmask_b32_e32 v25, v25, v27, vcc_lo
	v_cndmask_b32_e32 v3, 0x54442d18, v59, vcc_lo
	v_cndmask_b32_e32 v13, 0x3fe921fb, v60, vcc_lo
	v_cndmask_b32_e64 v7, v25, v7, s6
	v_cndmask_b32_e32 v26, v26, v28, vcc_lo
	v_cmp_ngt_f64_e32 vcc_lo, 0, v[1:2]
	s_delay_alu instid0(VALU_DEP_4) | instskip(SKIP_2) | instid1(VALU_DEP_2)
	v_bfi_b32 v13, 0x7fffffff, v13, v16
	v_cndmask_b32_e64 v6, v6, 0x7ff00000, s10
	v_cndmask_b32_e64 v5, v5, 0, s10
	v_cndmask_b32_e32 v6, 0x7ff80000, v6, vcc_lo
	s_and_b32 vcc_lo, s7, s8
	v_cndmask_b32_e32 v27, v7, v3, vcc_lo
	v_cndmask_b32_e64 v14, v26, v14, s6
	v_cmp_nge_f64_e64 s6, 0, v[1:2]
	s_delay_alu instid0(VALU_DEP_2) | instskip(NEXT) | instid1(VALU_DEP_2)
	v_cndmask_b32_e32 v28, v14, v13, vcc_lo
	v_cndmask_b32_e64 v25, 0, v5, s6
	v_cmp_neq_f64_e64 s6, 0, v[1:2]
	s_delay_alu instid0(VALU_DEP_1)
	v_cndmask_b32_e64 v26, 0xfff00000, v6, s6
.LBB174_107:                            ;   in Loop: Header=BB174_4 Depth=1
	s_or_b32 exec_lo, exec_lo, s9
.LBB174_108:                            ;   in Loop: Header=BB174_4 Depth=1
	s_and_not1_saveexec_b32 s6, vcc_hi
	s_cbranch_execz .LBB174_114
; %bb.109:                              ;   in Loop: Header=BB174_4 Depth=1
	v_cmp_ngt_f64_e64 s7, 0x20000000, |v[13:14]|
	v_cmp_ngt_f64_e64 s8, 0x20000000, |v[15:16]|
                                        ; implicit-def: $vgpr1_vgpr2
	s_delay_alu instid0(VALU_DEP_1) | instskip(NEXT) | instid1(SALU_CYCLE_1)
	s_or_b32 s7, s8, s7
	s_and_saveexec_b32 s8, s7
	s_delay_alu instid0(SALU_CYCLE_1)
	s_xor_b32 s7, exec_lo, s8
; %bb.110:                              ;   in Loop: Header=BB174_4 Depth=1
	v_mul_f64 v[1:2], v[13:14], v[13:14]
	s_delay_alu instid0(VALU_DEP_1)
	v_fma_f64 v[1:2], v[15:16], v[15:16], v[1:2]
; %bb.111:                              ;   in Loop: Header=BB174_4 Depth=1
	s_and_not1_saveexec_b32 s7, s7
; %bb.112:                              ;   in Loop: Header=BB174_4 Depth=1
	v_mul_f64 v[1:2], v[13:14], 4.0
	v_mul_f64 v[5:6], v[15:16], 4.0
	s_delay_alu instid0(VALU_DEP_2) | instskip(NEXT) | instid1(VALU_DEP_1)
	v_mul_f64 v[1:2], v[1:2], v[1:2]
	v_fma_f64 v[1:2], v[5:6], v[5:6], v[1:2]
	s_delay_alu instid0(VALU_DEP_1)
	v_ldexp_f64 v[1:2], v[1:2], -4
; %bb.113:                              ;   in Loop: Header=BB174_4 Depth=1
	s_or_b32 exec_lo, exec_lo, s7
	s_delay_alu instid0(VALU_DEP_1) | instskip(SKIP_2) | instid1(VALU_DEP_2)
	v_frexp_mant_f64_e32 v[5:6], v[1:2]
	s_mov_b32 s99, s27
	v_frexp_exp_i32_f64_e32 v3, v[1:2]
	v_cmp_gt_f64_e32 vcc_lo, s[26:27], v[5:6]
	v_cndmask_b32_e64 v34, 0x3ff00000, 2.0, vcc_lo
	s_delay_alu instid0(VALU_DEP_3) | instskip(SKIP_1) | instid1(VALU_DEP_3)
	v_subrev_co_ci_u32_e32 v3, vcc_lo, 0, v3, vcc_lo
	v_cmp_class_f64_e64 vcc_lo, v[1:2], 0x204
	v_mul_f64 v[5:6], v[5:6], v[33:34]
	s_delay_alu instid0(VALU_DEP_1) | instskip(SKIP_1) | instid1(VALU_DEP_2)
	v_add_f64 v[13:14], v[5:6], 1.0
	v_add_f64 v[29:30], v[5:6], -1.0
	v_rcp_f64_e32 v[25:26], v[13:14]
	v_add_f64 v[31:32], v[13:14], -1.0
	s_delay_alu instid0(VALU_DEP_1) | instskip(SKIP_2) | instid1(VALU_DEP_1)
	v_add_f64 v[5:6], v[5:6], -v[31:32]
	s_waitcnt_depctr 0xfff
	v_fma_f64 v[27:28], -v[13:14], v[25:26], 1.0
	v_fma_f64 v[25:26], v[27:28], v[25:26], v[25:26]
	s_delay_alu instid0(VALU_DEP_1) | instskip(NEXT) | instid1(VALU_DEP_1)
	v_fma_f64 v[27:28], -v[13:14], v[25:26], 1.0
	v_fma_f64 v[25:26], v[27:28], v[25:26], v[25:26]
	s_delay_alu instid0(VALU_DEP_1) | instskip(NEXT) | instid1(VALU_DEP_1)
	v_mul_f64 v[27:28], v[29:30], v[25:26]
	v_mul_f64 v[43:44], v[13:14], v[27:28]
	s_delay_alu instid0(VALU_DEP_1) | instskip(NEXT) | instid1(VALU_DEP_1)
	v_fma_f64 v[13:14], v[27:28], v[13:14], -v[43:44]
	v_fma_f64 v[5:6], v[27:28], v[5:6], v[13:14]
	s_delay_alu instid0(VALU_DEP_1) | instskip(NEXT) | instid1(VALU_DEP_1)
	v_add_f64 v[13:14], v[43:44], v[5:6]
	v_add_f64 v[31:32], v[29:30], -v[13:14]
	v_add_f64 v[43:44], v[13:14], -v[43:44]
	s_delay_alu instid0(VALU_DEP_2) | instskip(NEXT) | instid1(VALU_DEP_2)
	v_add_f64 v[29:30], v[29:30], -v[31:32]
	v_add_f64 v[5:6], v[43:44], -v[5:6]
	s_delay_alu instid0(VALU_DEP_2) | instskip(NEXT) | instid1(VALU_DEP_1)
	v_add_f64 v[13:14], v[29:30], -v[13:14]
	v_add_f64 v[5:6], v[5:6], v[13:14]
	s_delay_alu instid0(VALU_DEP_1) | instskip(NEXT) | instid1(VALU_DEP_1)
	v_add_f64 v[5:6], v[31:32], v[5:6]
	v_mul_f64 v[5:6], v[25:26], v[5:6]
	s_delay_alu instid0(VALU_DEP_1) | instskip(NEXT) | instid1(VALU_DEP_1)
	v_add_f64 v[13:14], v[27:28], v[5:6]
	v_mul_f64 v[25:26], v[13:14], v[13:14]
	s_delay_alu instid0(VALU_DEP_1) | instskip(SKIP_1) | instid1(VALU_DEP_2)
	v_fma_f64 v[29:30], v[25:26], s[30:31], s[28:29]
	v_mul_f64 v[31:32], v[13:14], v[25:26]
	v_fma_f64 v[29:30], v[25:26], v[29:30], s[36:37]
	s_delay_alu instid0(VALU_DEP_1) | instskip(NEXT) | instid1(VALU_DEP_1)
	v_fma_f64 v[29:30], v[25:26], v[29:30], s[38:39]
	v_fma_f64 v[29:30], v[25:26], v[29:30], s[40:41]
	s_delay_alu instid0(VALU_DEP_1) | instskip(NEXT) | instid1(VALU_DEP_1)
	v_fma_f64 v[29:30], v[25:26], v[29:30], s[42:43]
	v_fma_f64 v[25:26], v[25:26], v[29:30], s[98:99]
	v_ldexp_f64 v[29:30], v[13:14], 1
	v_add_f64 v[13:14], v[13:14], -v[27:28]
	s_delay_alu instid0(VALU_DEP_3) | instskip(SKIP_1) | instid1(VALU_DEP_3)
	v_mul_f64 v[25:26], v[31:32], v[25:26]
	v_cvt_f64_i32_e32 v[31:32], v3
	v_add_f64 v[5:6], v[5:6], -v[13:14]
	s_delay_alu instid0(VALU_DEP_3) | instskip(NEXT) | instid1(VALU_DEP_3)
	v_add_f64 v[27:28], v[29:30], v[25:26]
	v_mul_f64 v[43:44], v[31:32], s[44:45]
	s_delay_alu instid0(VALU_DEP_3) | instskip(NEXT) | instid1(VALU_DEP_3)
	v_ldexp_f64 v[5:6], v[5:6], 1
	v_add_f64 v[13:14], v[27:28], -v[29:30]
	s_delay_alu instid0(VALU_DEP_3) | instskip(NEXT) | instid1(VALU_DEP_2)
	v_fma_f64 v[29:30], v[31:32], s[44:45], -v[43:44]
	v_add_f64 v[13:14], v[25:26], -v[13:14]
	s_delay_alu instid0(VALU_DEP_2) | instskip(NEXT) | instid1(VALU_DEP_2)
	v_fma_f64 v[25:26], v[31:32], s[46:47], v[29:30]
	v_add_f64 v[5:6], v[5:6], v[13:14]
	s_delay_alu instid0(VALU_DEP_2) | instskip(NEXT) | instid1(VALU_DEP_2)
	v_add_f64 v[13:14], v[43:44], v[25:26]
	v_add_f64 v[29:30], v[27:28], v[5:6]
	s_delay_alu instid0(VALU_DEP_2) | instskip(NEXT) | instid1(VALU_DEP_2)
	v_add_f64 v[43:44], v[13:14], -v[43:44]
	v_add_f64 v[31:32], v[13:14], v[29:30]
	v_add_f64 v[27:28], v[29:30], -v[27:28]
	s_delay_alu instid0(VALU_DEP_3) | instskip(NEXT) | instid1(VALU_DEP_3)
	v_add_f64 v[25:26], v[25:26], -v[43:44]
	v_add_f64 v[45:46], v[31:32], -v[13:14]
	s_delay_alu instid0(VALU_DEP_3) | instskip(NEXT) | instid1(VALU_DEP_2)
	v_add_f64 v[5:6], v[5:6], -v[27:28]
	v_add_f64 v[47:48], v[31:32], -v[45:46]
	;; [unrolled: 1-line block ×3, first 2 shown]
	s_delay_alu instid0(VALU_DEP_3) | instskip(NEXT) | instid1(VALU_DEP_3)
	v_add_f64 v[29:30], v[25:26], v[5:6]
	v_add_f64 v[13:14], v[13:14], -v[47:48]
	s_delay_alu instid0(VALU_DEP_1) | instskip(NEXT) | instid1(VALU_DEP_3)
	v_add_f64 v[13:14], v[27:28], v[13:14]
	v_add_f64 v[27:28], v[29:30], -v[25:26]
	s_delay_alu instid0(VALU_DEP_2) | instskip(NEXT) | instid1(VALU_DEP_2)
	v_add_f64 v[13:14], v[29:30], v[13:14]
	v_add_f64 v[29:30], v[29:30], -v[27:28]
	v_add_f64 v[5:6], v[5:6], -v[27:28]
	s_delay_alu instid0(VALU_DEP_3) | instskip(NEXT) | instid1(VALU_DEP_3)
	v_add_f64 v[43:44], v[31:32], v[13:14]
	v_add_f64 v[25:26], v[25:26], -v[29:30]
	s_delay_alu instid0(VALU_DEP_2) | instskip(NEXT) | instid1(VALU_DEP_2)
	v_add_f64 v[27:28], v[43:44], -v[31:32]
	v_add_f64 v[5:6], v[5:6], v[25:26]
	s_delay_alu instid0(VALU_DEP_2) | instskip(NEXT) | instid1(VALU_DEP_1)
	v_add_f64 v[13:14], v[13:14], -v[27:28]
	v_add_f64 v[5:6], v[5:6], v[13:14]
	s_delay_alu instid0(VALU_DEP_1) | instskip(NEXT) | instid1(VALU_DEP_1)
	v_add_f64 v[5:6], v[43:44], v[5:6]
	v_cndmask_b32_e32 v3, v5, v1, vcc_lo
	s_delay_alu instid0(VALU_DEP_2) | instskip(SKIP_1) | instid1(VALU_DEP_2)
	v_cndmask_b32_e32 v5, v6, v2, vcc_lo
	v_cmp_ngt_f64_e32 vcc_lo, 0, v[1:2]
	v_cndmask_b32_e32 v5, 0x7ff80000, v5, vcc_lo
	v_cmp_nge_f64_e32 vcc_lo, 0, v[1:2]
	v_mov_b32_e32 v27, 0
	v_dual_mov_b32 v28, 0x7ff80000 :: v_dual_cndmask_b32 v25, 0, v3
	v_cmp_neq_f64_e32 vcc_lo, 0, v[1:2]
	v_cndmask_b32_e32 v26, 0xfff00000, v5, vcc_lo
.LBB174_114:                            ;   in Loop: Header=BB174_4 Depth=1
	s_or_b32 exec_lo, exec_lo, s6
                                        ; implicit-def: $vgpr29_vgpr30
	s_delay_alu instid0(SALU_CYCLE_1)
	s_mov_b32 s6, exec_lo
	v_cmpx_o_f64_e32 v[9:10], v[11:12]
	s_xor_b32 vcc_hi, exec_lo, s6
	s_cbranch_execnz .LBB174_120
; %bb.115:                              ;   in Loop: Header=BB174_4 Depth=1
	s_and_not1_saveexec_b32 s6, vcc_hi
	s_cbranch_execnz .LBB174_147
.LBB174_116:                            ;   in Loop: Header=BB174_4 Depth=1
	s_or_b32 exec_lo, exec_lo, s6
	s_and_saveexec_b32 s6, s2
	s_delay_alu instid0(SALU_CYCLE_1)
	s_xor_b32 s2, exec_lo, s6
	s_cbranch_execnz .LBB174_152
.LBB174_117:                            ;   in Loop: Header=BB174_4 Depth=1
	s_or_b32 exec_lo, exec_lo, s2
	s_and_saveexec_b32 s2, s3
	s_cbranch_execnz .LBB174_153
.LBB174_118:                            ;   in Loop: Header=BB174_4 Depth=1
	s_or_b32 exec_lo, exec_lo, s2
	s_and_saveexec_b32 s2, s4
	s_cbranch_execnz .LBB174_154
.LBB174_119:                            ;   in Loop: Header=BB174_4 Depth=1
	s_or_b32 exec_lo, exec_lo, s2
	s_and_saveexec_b32 s2, s5
	s_cbranch_execz .LBB174_3
	s_branch .LBB174_155
.LBB174_120:                            ;   in Loop: Header=BB174_4 Depth=1
	v_cmp_lt_f64_e64 s6, |v[9:10]|, |v[11:12]|
	v_and_b32_e32 v1, 0x7fffffff, v10
	v_dual_mov_b32 v3, v11 :: v_dual_and_b32 v2, 0x7fffffff, v12
                                        ; implicit-def: $vgpr29_vgpr30
	s_mov_b32 s7, exec_lo
	s_delay_alu instid0(VALU_DEP_1) | instskip(NEXT) | instid1(VALU_DEP_2)
	v_cndmask_b32_e64 v6, v2, v1, s6
	v_cndmask_b32_e64 v5, v3, v9, s6
	s_delay_alu instid0(VALU_DEP_1)
	v_cmpx_nlt_f64_e32 s[20:21], v[5:6]
	s_xor_b32 s90, exec_lo, s7
	s_cbranch_execz .LBB174_144
; %bb.121:                              ;   in Loop: Header=BB174_4 Depth=1
	v_cndmask_b32_e64 v14, v1, v2, s6
	v_cndmask_b32_e64 v13, v9, v3, s6
                                        ; implicit-def: $vgpr29_vgpr30
	s_mov_b32 s7, exec_lo
	s_delay_alu instid0(VALU_DEP_1)
	v_cmpx_neq_f64_e32 1.0, v[13:14]
	s_xor_b32 s91, exec_lo, s7
	s_cbranch_execz .LBB174_137
; %bb.122:                              ;   in Loop: Header=BB174_4 Depth=1
	v_max_f64 v[1:2], v[5:6], v[5:6]
	v_max_f64 v[29:30], v[13:14], v[13:14]
	s_mov_b32 s8, 0xc57e649a
	s_mov_b32 s9, 0x4a511b0e
	s_delay_alu instid0(VALU_DEP_1) | instskip(SKIP_1) | instid1(VALU_DEP_2)
	v_min_f64 v[31:32], v[29:30], v[1:2]
	v_max_f64 v[1:2], v[29:30], v[1:2]
                                        ; implicit-def: $vgpr29_vgpr30
	v_cmp_ngt_f64_e32 vcc_lo, s[14:15], v[31:32]
	s_delay_alu instid0(VALU_DEP_2) | instskip(NEXT) | instid1(VALU_DEP_1)
	v_cmp_nlt_f64_e64 s7, s[8:9], v[1:2]
	s_and_b32 s7, s7, vcc_lo
	s_delay_alu instid0(SALU_CYCLE_1) | instskip(NEXT) | instid1(SALU_CYCLE_1)
	s_and_saveexec_b32 s8, s7
	s_xor_b32 s22, exec_lo, s8
	s_cbranch_execz .LBB174_134
; %bb.123:                              ;   in Loop: Header=BB174_4 Depth=1
                                        ; implicit-def: $vgpr29_vgpr30
	s_mov_b32 s7, exec_lo
	v_cmpx_le_f64_e32 1.0, v[13:14]
	s_xor_b32 s8, exec_lo, s7
	s_cbranch_execz .LBB174_125
; %bb.124:                              ;   in Loop: Header=BB174_4 Depth=1
	v_add_f64 v[1:2], v[13:14], -1.0
	v_add_f64 v[13:14], v[13:14], 1.0
	s_mov_b32 s99, s27
	s_mov_b32 s16, s88
	v_cmp_gt_i32_e64 s7, 0, v10
	v_cmp_class_f64_e64 s10, v[9:10], 0x204
	v_cmp_class_f64_e64 s9, v[11:12], 0x204
	s_delay_alu instid0(VALU_DEP_4) | instskip(NEXT) | instid1(VALU_DEP_1)
	v_mul_f64 v[1:2], v[1:2], v[13:14]
	v_fma_f64 v[1:2], v[5:6], v[5:6], v[1:2]
	s_delay_alu instid0(VALU_DEP_1) | instskip(NEXT) | instid1(VALU_DEP_1)
	v_add_f64 v[5:6], v[1:2], 1.0
	v_frexp_mant_f64_e32 v[13:14], v[5:6]
	v_frexp_exp_i32_f64_e32 v3, v[5:6]
	v_add_f64 v[29:30], v[5:6], -1.0
	s_delay_alu instid0(VALU_DEP_3) | instskip(NEXT) | instid1(VALU_DEP_2)
	v_cmp_gt_f64_e32 vcc_lo, s[26:27], v[13:14]
	v_add_f64 v[13:14], v[29:30], -v[5:6]
	v_add_f64 v[29:30], v[1:2], -v[29:30]
	v_subrev_co_ci_u32_e32 v3, vcc_lo, 0, v3, vcc_lo
	s_delay_alu instid0(VALU_DEP_3) | instskip(NEXT) | instid1(VALU_DEP_2)
	v_add_f64 v[13:14], v[13:14], 1.0
	v_sub_nc_u32_e32 v7, 0, v3
	s_delay_alu instid0(VALU_DEP_1) | instskip(NEXT) | instid1(VALU_DEP_3)
	v_ldexp_f64 v[5:6], v[5:6], v7
	v_add_f64 v[13:14], v[29:30], v[13:14]
	s_delay_alu instid0(VALU_DEP_2) | instskip(SKIP_1) | instid1(VALU_DEP_3)
	v_add_f64 v[31:32], v[5:6], 1.0
	v_add_f64 v[47:48], v[5:6], -1.0
	v_ldexp_f64 v[13:14], v[13:14], v7
	v_cndmask_b32_e64 v7, 0x54442d18, v59, s7
	s_delay_alu instid0(VALU_DEP_4) | instskip(NEXT) | instid1(VALU_DEP_4)
	v_add_f64 v[29:30], v[31:32], -1.0
	v_add_f64 v[49:50], v[47:48], 1.0
	s_delay_alu instid0(VALU_DEP_2) | instskip(NEXT) | instid1(VALU_DEP_2)
	v_add_f64 v[29:30], v[5:6], -v[29:30]
	v_add_f64 v[5:6], v[5:6], -v[49:50]
	s_delay_alu instid0(VALU_DEP_2) | instskip(NEXT) | instid1(VALU_DEP_2)
	v_add_f64 v[29:30], v[13:14], v[29:30]
	v_add_f64 v[5:6], v[13:14], v[5:6]
	s_delay_alu instid0(VALU_DEP_2) | instskip(NEXT) | instid1(VALU_DEP_2)
	v_add_f64 v[43:44], v[31:32], v[29:30]
	v_add_f64 v[49:50], v[47:48], v[5:6]
	s_delay_alu instid0(VALU_DEP_2) | instskip(SKIP_1) | instid1(VALU_DEP_2)
	v_rcp_f64_e32 v[45:46], v[43:44]
	v_add_f64 v[31:32], v[43:44], -v[31:32]
	v_add_f64 v[47:48], v[49:50], -v[47:48]
	s_delay_alu instid0(VALU_DEP_2) | instskip(SKIP_3) | instid1(VALU_DEP_2)
	v_add_f64 v[29:30], v[29:30], -v[31:32]
	s_waitcnt_depctr 0xfff
	v_fma_f64 v[51:52], -v[43:44], v[45:46], 1.0
	v_add_f64 v[5:6], v[5:6], -v[47:48]
	v_fma_f64 v[45:46], v[51:52], v[45:46], v[45:46]
	s_delay_alu instid0(VALU_DEP_1) | instskip(NEXT) | instid1(VALU_DEP_1)
	v_fma_f64 v[13:14], -v[43:44], v[45:46], 1.0
	v_fma_f64 v[13:14], v[13:14], v[45:46], v[45:46]
	s_delay_alu instid0(VALU_DEP_1) | instskip(NEXT) | instid1(VALU_DEP_1)
	v_mul_f64 v[45:46], v[49:50], v[13:14]
	v_mul_f64 v[51:52], v[43:44], v[45:46]
	s_delay_alu instid0(VALU_DEP_1) | instskip(NEXT) | instid1(VALU_DEP_1)
	v_fma_f64 v[31:32], v[45:46], v[43:44], -v[51:52]
	v_fma_f64 v[31:32], v[45:46], v[29:30], v[31:32]
	s_delay_alu instid0(VALU_DEP_1) | instskip(NEXT) | instid1(VALU_DEP_1)
	v_add_f64 v[53:54], v[51:52], v[31:32]
	v_add_f64 v[55:56], v[49:50], -v[53:54]
	v_add_f64 v[47:48], v[53:54], -v[51:52]
	v_max_f64 v[51:52], |v[11:12]|, |v[11:12]|
	s_delay_alu instid0(VALU_DEP_3) | instskip(NEXT) | instid1(VALU_DEP_3)
	v_add_f64 v[49:50], v[49:50], -v[55:56]
	v_add_f64 v[31:32], v[47:48], -v[31:32]
	s_delay_alu instid0(VALU_DEP_2) | instskip(SKIP_2) | instid1(VALU_DEP_1)
	v_add_f64 v[49:50], v[49:50], -v[53:54]
	v_max_f64 v[53:54], |v[9:10]|, |v[9:10]|
	v_cndmask_b32_e64 v9, 0x3fe921fb, v60, s7
	v_bfi_b32 v9, 0x7fffffff, v9, v12
	s_delay_alu instid0(VALU_DEP_4) | instskip(NEXT) | instid1(VALU_DEP_4)
	v_add_f64 v[5:6], v[5:6], v[49:50]
	v_max_f64 v[57:58], v[53:54], v[51:52]
	v_min_f64 v[51:52], v[53:54], v[51:52]
	s_delay_alu instid0(VALU_DEP_3) | instskip(NEXT) | instid1(VALU_DEP_1)
	v_add_f64 v[5:6], v[31:32], v[5:6]
	v_add_f64 v[31:32], v[55:56], v[5:6]
	s_delay_alu instid0(VALU_DEP_1) | instskip(SKIP_1) | instid1(VALU_DEP_2)
	v_mul_f64 v[47:48], v[13:14], v[31:32]
	v_add_f64 v[55:56], v[55:56], -v[31:32]
	v_mul_f64 v[49:50], v[43:44], v[47:48]
	s_delay_alu instid0(VALU_DEP_2) | instskip(NEXT) | instid1(VALU_DEP_2)
	v_add_f64 v[5:6], v[5:6], v[55:56]
	v_fma_f64 v[43:44], v[47:48], v[43:44], -v[49:50]
	s_delay_alu instid0(VALU_DEP_1) | instskip(SKIP_1) | instid1(VALU_DEP_2)
	v_fma_f64 v[29:30], v[47:48], v[29:30], v[43:44]
	v_div_scale_f64 v[43:44], null, v[57:58], v[57:58], v[51:52]
	v_add_f64 v[53:54], v[49:50], v[29:30]
	s_delay_alu instid0(VALU_DEP_2) | instskip(NEXT) | instid1(VALU_DEP_1)
	v_rcp_f64_e32 v[61:62], v[43:44]
	v_add_f64 v[63:64], v[31:32], -v[53:54]
	v_add_f64 v[49:50], v[53:54], -v[49:50]
	s_waitcnt_depctr 0xfff
	v_fma_f64 v[65:66], -v[43:44], v[61:62], 1.0
	v_add_f64 v[31:32], v[31:32], -v[63:64]
	v_add_f64 v[29:30], v[49:50], -v[29:30]
	s_delay_alu instid0(VALU_DEP_3) | instskip(NEXT) | instid1(VALU_DEP_3)
	v_fma_f64 v[61:62], v[61:62], v[65:66], v[61:62]
	v_add_f64 v[31:32], v[31:32], -v[53:54]
	s_delay_alu instid0(VALU_DEP_2) | instskip(NEXT) | instid1(VALU_DEP_2)
	v_fma_f64 v[53:54], -v[43:44], v[61:62], 1.0
	v_add_f64 v[5:6], v[5:6], v[31:32]
	v_div_scale_f64 v[31:32], vcc_lo, v[51:52], v[57:58], v[51:52]
	s_delay_alu instid0(VALU_DEP_3) | instskip(SKIP_1) | instid1(VALU_DEP_4)
	v_fma_f64 v[49:50], v[61:62], v[53:54], v[61:62]
	v_add_f64 v[53:54], v[45:46], v[47:48]
	v_add_f64 v[5:6], v[29:30], v[5:6]
	s_delay_alu instid0(VALU_DEP_3) | instskip(NEXT) | instid1(VALU_DEP_3)
	v_mul_f64 v[29:30], v[31:32], v[49:50]
	v_add_f64 v[45:46], v[53:54], -v[45:46]
	s_delay_alu instid0(VALU_DEP_3) | instskip(NEXT) | instid1(VALU_DEP_3)
	v_add_f64 v[5:6], v[63:64], v[5:6]
	v_fma_f64 v[31:32], -v[43:44], v[29:30], v[31:32]
	s_delay_alu instid0(VALU_DEP_3) | instskip(NEXT) | instid1(VALU_DEP_3)
	v_add_f64 v[43:44], v[47:48], -v[45:46]
	v_mul_f64 v[5:6], v[13:14], v[5:6]
	s_delay_alu instid0(VALU_DEP_3) | instskip(SKIP_1) | instid1(VALU_DEP_3)
	v_div_fmas_f64 v[13:14], v[31:32], v[49:50], v[29:30]
	v_cmp_eq_f64_e32 vcc_lo, 0x7ff00000, v[1:2]
	v_add_f64 v[5:6], v[43:44], v[5:6]
	s_delay_alu instid0(VALU_DEP_3) | instskip(NEXT) | instid1(VALU_DEP_2)
	v_div_fixup_f64 v[13:14], v[13:14], v[57:58], v[51:52]
	v_add_f64 v[29:30], v[53:54], v[5:6]
	s_delay_alu instid0(VALU_DEP_2) | instskip(NEXT) | instid1(VALU_DEP_2)
	v_mul_f64 v[31:32], v[13:14], v[13:14]
	v_mul_f64 v[43:44], v[29:30], v[29:30]
	s_delay_alu instid0(VALU_DEP_2) | instskip(NEXT) | instid1(VALU_DEP_2)
	v_fma_f64 v[45:46], v[31:32], s[50:51], s[48:49]
	v_fma_f64 v[47:48], v[43:44], s[30:31], s[28:29]
	v_mul_f64 v[49:50], v[29:30], v[43:44]
	s_delay_alu instid0(VALU_DEP_3) | instskip(NEXT) | instid1(VALU_DEP_3)
	v_fma_f64 v[45:46], v[31:32], v[45:46], s[52:53]
	v_fma_f64 v[47:48], v[43:44], v[47:48], s[36:37]
	s_delay_alu instid0(VALU_DEP_2) | instskip(NEXT) | instid1(VALU_DEP_2)
	v_fma_f64 v[45:46], v[31:32], v[45:46], s[54:55]
	v_fma_f64 v[47:48], v[43:44], v[47:48], s[38:39]
	s_delay_alu instid0(VALU_DEP_2) | instskip(NEXT) | instid1(VALU_DEP_2)
	;; [unrolled: 3-line block ×4, first 2 shown]
	v_fma_f64 v[45:46], v[31:32], v[45:46], s[60:61]
	v_fma_f64 v[43:44], v[43:44], v[47:48], s[98:99]
	v_ldexp_f64 v[47:48], v[29:30], 1
	v_add_f64 v[29:30], v[29:30], -v[53:54]
	s_delay_alu instid0(VALU_DEP_4) | instskip(NEXT) | instid1(VALU_DEP_4)
	v_fma_f64 v[45:46], v[31:32], v[45:46], s[62:63]
	v_mul_f64 v[43:44], v[49:50], v[43:44]
	v_cvt_f64_i32_e32 v[49:50], v3
	s_delay_alu instid0(VALU_DEP_4) | instskip(NEXT) | instid1(VALU_DEP_4)
	v_add_f64 v[5:6], v[5:6], -v[29:30]
	v_fma_f64 v[45:46], v[31:32], v[45:46], s[64:65]
	v_ashrrev_i32_e32 v3, 31, v10
	v_add_f64 v[51:52], v[47:48], v[43:44]
	v_mul_f64 v[53:54], v[49:50], s[44:45]
	v_ldexp_f64 v[5:6], v[5:6], 1
	v_fma_f64 v[45:46], v[31:32], v[45:46], s[66:67]
	s_delay_alu instid0(VALU_DEP_4) | instskip(NEXT) | instid1(VALU_DEP_4)
	v_add_f64 v[29:30], v[51:52], -v[47:48]
	v_fma_f64 v[47:48], v[49:50], s[44:45], -v[53:54]
	s_delay_alu instid0(VALU_DEP_3) | instskip(NEXT) | instid1(VALU_DEP_3)
	v_fma_f64 v[45:46], v[31:32], v[45:46], s[68:69]
	v_add_f64 v[29:30], v[43:44], -v[29:30]
	s_delay_alu instid0(VALU_DEP_2) | instskip(NEXT) | instid1(VALU_DEP_4)
	v_fma_f64 v[43:44], v[31:32], v[45:46], s[70:71]
	v_fma_f64 v[45:46], v[49:50], s[46:47], v[47:48]
	s_delay_alu instid0(VALU_DEP_3) | instskip(NEXT) | instid1(VALU_DEP_3)
	v_add_f64 v[5:6], v[5:6], v[29:30]
	v_fma_f64 v[29:30], v[31:32], v[43:44], s[72:73]
	s_delay_alu instid0(VALU_DEP_3) | instskip(NEXT) | instid1(VALU_DEP_3)
	v_add_f64 v[43:44], v[53:54], v[45:46]
	v_add_f64 v[47:48], v[51:52], v[5:6]
	s_delay_alu instid0(VALU_DEP_3) | instskip(NEXT) | instid1(VALU_DEP_3)
	v_fma_f64 v[29:30], v[31:32], v[29:30], s[74:75]
	v_add_f64 v[53:54], v[43:44], -v[53:54]
	s_delay_alu instid0(VALU_DEP_3) | instskip(SKIP_1) | instid1(VALU_DEP_4)
	v_add_f64 v[49:50], v[43:44], v[47:48]
	v_add_f64 v[51:52], v[47:48], -v[51:52]
	v_fma_f64 v[29:30], v[31:32], v[29:30], s[76:77]
	s_delay_alu instid0(VALU_DEP_4) | instskip(NEXT) | instid1(VALU_DEP_4)
	v_add_f64 v[45:46], v[45:46], -v[53:54]
	v_add_f64 v[55:56], v[49:50], -v[43:44]
	s_delay_alu instid0(VALU_DEP_4) | instskip(NEXT) | instid1(VALU_DEP_4)
	v_add_f64 v[5:6], v[5:6], -v[51:52]
	v_fma_f64 v[29:30], v[31:32], v[29:30], s[78:79]
	s_delay_alu instid0(VALU_DEP_3) | instskip(SKIP_1) | instid1(VALU_DEP_4)
	v_add_f64 v[57:58], v[49:50], -v[55:56]
	v_add_f64 v[47:48], v[47:48], -v[55:56]
	v_add_f64 v[51:52], v[45:46], v[5:6]
	s_delay_alu instid0(VALU_DEP_4) | instskip(NEXT) | instid1(VALU_DEP_4)
	v_fma_f64 v[29:30], v[31:32], v[29:30], s[80:81]
	v_add_f64 v[43:44], v[43:44], -v[57:58]
	s_delay_alu instid0(VALU_DEP_2) | instskip(NEXT) | instid1(VALU_DEP_2)
	v_fma_f64 v[29:30], v[31:32], v[29:30], s[82:83]
	v_add_f64 v[43:44], v[47:48], v[43:44]
	v_add_f64 v[47:48], v[51:52], -v[45:46]
	s_delay_alu instid0(VALU_DEP_3) | instskip(NEXT) | instid1(VALU_DEP_3)
	v_fma_f64 v[29:30], v[31:32], v[29:30], s[84:85]
	v_add_f64 v[43:44], v[51:52], v[43:44]
	s_delay_alu instid0(VALU_DEP_3) | instskip(SKIP_1) | instid1(VALU_DEP_4)
	v_add_f64 v[51:52], v[51:52], -v[47:48]
	v_add_f64 v[5:6], v[5:6], -v[47:48]
	v_fma_f64 v[29:30], v[31:32], v[29:30], s[86:87]
	s_delay_alu instid0(VALU_DEP_4) | instskip(NEXT) | instid1(VALU_DEP_2)
	v_add_f64 v[53:54], v[49:50], v[43:44]
	v_mul_f64 v[29:30], v[31:32], v[29:30]
	v_add_f64 v[31:32], v[45:46], -v[51:52]
	s_delay_alu instid0(VALU_DEP_3) | instskip(NEXT) | instid1(VALU_DEP_3)
	v_add_f64 v[45:46], v[53:54], -v[49:50]
	v_fma_f64 v[13:14], v[13:14], v[29:30], v[13:14]
	s_delay_alu instid0(VALU_DEP_3) | instskip(NEXT) | instid1(VALU_DEP_3)
	v_add_f64 v[5:6], v[5:6], v[31:32]
	v_add_f64 v[29:30], v[43:44], -v[45:46]
	s_delay_alu instid0(VALU_DEP_3) | instskip(NEXT) | instid1(VALU_DEP_2)
	v_add_f64 v[31:32], -v[13:14], s[88:89]
	v_add_f64 v[5:6], v[5:6], v[29:30]
	s_delay_alu instid0(VALU_DEP_2) | instskip(NEXT) | instid1(VALU_DEP_3)
	v_cndmask_b32_e64 v14, v14, v32, s6
	v_cndmask_b32_e64 v13, v13, v31, s6
	s_delay_alu instid0(VALU_DEP_1) | instskip(NEXT) | instid1(VALU_DEP_4)
	v_add_f64 v[29:30], -v[13:14], s[16:17]
	v_add_f64 v[5:6], v[53:54], v[5:6]
	v_and_b32_e32 v15, 0x54442d18, v3
	v_and_b32_e32 v3, 0x400921fb, v3
	s_delay_alu instid0(VALU_DEP_4) | instskip(SKIP_4) | instid1(VALU_DEP_2)
	v_cndmask_b32_e64 v13, v13, v29, s7
	v_cndmask_b32_e64 v10, v14, v30, s7
	v_cmp_nge_f64_e64 s7, -1.0, v[1:2]
	v_dual_cndmask_b32 v6, v6, v2 :: v_dual_cndmask_b32 v5, v5, v1
	v_cmp_eq_f64_e32 vcc_lo, 0, v[11:12]
	v_mul_f64 v[5:6], v[5:6], 0.5
	v_cndmask_b32_e32 v3, v10, v3, vcc_lo
	v_cndmask_b32_e32 v13, v13, v15, vcc_lo
	v_cmp_ngt_f64_e32 vcc_lo, -1.0, v[1:2]
	s_delay_alu instid0(VALU_DEP_4) | instskip(SKIP_4) | instid1(VALU_DEP_2)
	v_cndmask_b32_e64 v29, 0, v5, s7
	v_cmp_neq_f64_e64 s7, -1.0, v[1:2]
	v_cndmask_b32_e32 v6, 0x7ff80000, v6, vcc_lo
	s_and_b32 vcc_lo, s9, s10
	v_dual_cndmask_b32 v32, v3, v9 :: v_dual_cndmask_b32 v31, v13, v7
	v_cndmask_b32_e64 v30, 0xfff00000, v6, s7
                                        ; implicit-def: $vgpr5_vgpr6
                                        ; implicit-def: $vgpr13_vgpr14
.LBB174_125:                            ;   in Loop: Header=BB174_4 Depth=1
	s_and_not1_saveexec_b32 s23, s8
	s_cbranch_execz .LBB174_133
; %bb.126:                              ;   in Loop: Header=BB174_4 Depth=1
	v_mul_f64 v[1:2], v[5:6], v[5:6]
	s_mov_b32 s8, 0x66666666
	s_mov_b32 s9, 0x3fe66666
                                        ; implicit-def: $vgpr29_vgpr30
	s_mov_b32 s7, exec_lo
	s_delay_alu instid0(VALU_DEP_1) | instskip(NEXT) | instid1(VALU_DEP_1)
	v_fma_f64 v[1:2], v[13:14], v[13:14], v[1:2]
	v_cmpx_ge_f64_e32 s[8:9], v[1:2]
	s_xor_b32 s9, exec_lo, s7
	s_cbranch_execz .LBB174_128
; %bb.127:                              ;   in Loop: Header=BB174_4 Depth=1
	v_frexp_mant_f64_e32 v[5:6], v[1:2]
	v_max_f64 v[45:46], |v[9:10]|, |v[9:10]|
	s_mov_b32 s99, s27
	v_frexp_exp_i32_f64_e32 v3, v[1:2]
	s_mov_b32 s16, s88
	v_cmp_class_f64_e64 s10, v[11:12], 0x204
	v_cmp_class_f64_e64 s11, v[9:10], 0x204
	v_cmp_neq_f64_e64 s8, 0, v[1:2]
	v_cmp_gt_f64_e64 s7, s[26:27], v[5:6]
	s_delay_alu instid0(VALU_DEP_1) | instskip(NEXT) | instid1(VALU_DEP_1)
	v_cndmask_b32_e64 v34, 0x3ff00000, 2.0, s7
	v_mul_f64 v[5:6], v[5:6], v[33:34]
	s_delay_alu instid0(VALU_DEP_1) | instskip(SKIP_1) | instid1(VALU_DEP_2)
	v_add_f64 v[13:14], v[5:6], 1.0
	v_add_f64 v[43:44], v[5:6], -1.0
	v_rcp_f64_e32 v[29:30], v[13:14]
	s_waitcnt_depctr 0xfff
	v_fma_f64 v[31:32], -v[13:14], v[29:30], 1.0
	s_delay_alu instid0(VALU_DEP_1) | instskip(NEXT) | instid1(VALU_DEP_1)
	v_fma_f64 v[29:30], v[31:32], v[29:30], v[29:30]
	v_fma_f64 v[31:32], -v[13:14], v[29:30], 1.0
	s_delay_alu instid0(VALU_DEP_1) | instskip(SKIP_1) | instid1(VALU_DEP_2)
	v_fma_f64 v[29:30], v[31:32], v[29:30], v[29:30]
	v_max_f64 v[31:32], |v[11:12]|, |v[11:12]|
	v_mul_f64 v[47:48], v[43:44], v[29:30]
	s_delay_alu instid0(VALU_DEP_2) | instskip(SKIP_2) | instid1(VALU_DEP_4)
	v_max_f64 v[49:50], v[45:46], v[31:32]
	v_min_f64 v[31:32], v[45:46], v[31:32]
	v_add_f64 v[45:46], v[13:14], -1.0
	v_mul_f64 v[51:52], v[13:14], v[47:48]
	s_delay_alu instid0(VALU_DEP_3) | instskip(NEXT) | instid1(VALU_DEP_3)
	v_div_scale_f64 v[53:54], null, v[49:50], v[49:50], v[31:32]
	v_add_f64 v[5:6], v[5:6], -v[45:46]
	v_div_scale_f64 v[61:62], vcc_lo, v[31:32], v[49:50], v[31:32]
	s_delay_alu instid0(VALU_DEP_4) | instskip(NEXT) | instid1(VALU_DEP_4)
	v_fma_f64 v[13:14], v[47:48], v[13:14], -v[51:52]
	v_rcp_f64_e32 v[45:46], v[53:54]
	s_delay_alu instid0(VALU_DEP_1) | instskip(SKIP_3) | instid1(VALU_DEP_2)
	v_fma_f64 v[5:6], v[47:48], v[5:6], v[13:14]
	s_waitcnt_depctr 0xfff
	v_fma_f64 v[13:14], -v[53:54], v[45:46], 1.0
	v_add_f64 v[55:56], v[51:52], v[5:6]
	v_fma_f64 v[13:14], v[45:46], v[13:14], v[45:46]
	s_delay_alu instid0(VALU_DEP_2) | instskip(SKIP_1) | instid1(VALU_DEP_3)
	v_add_f64 v[45:46], v[43:44], -v[55:56]
	v_add_f64 v[51:52], v[55:56], -v[51:52]
	v_fma_f64 v[57:58], -v[53:54], v[13:14], 1.0
	s_delay_alu instid0(VALU_DEP_3) | instskip(NEXT) | instid1(VALU_DEP_3)
	v_add_f64 v[43:44], v[43:44], -v[45:46]
	v_add_f64 v[5:6], v[51:52], -v[5:6]
	s_delay_alu instid0(VALU_DEP_3) | instskip(NEXT) | instid1(VALU_DEP_3)
	v_fma_f64 v[13:14], v[13:14], v[57:58], v[13:14]
	v_add_f64 v[43:44], v[43:44], -v[55:56]
	s_delay_alu instid0(VALU_DEP_2) | instskip(NEXT) | instid1(VALU_DEP_2)
	v_mul_f64 v[51:52], v[61:62], v[13:14]
	v_add_f64 v[5:6], v[5:6], v[43:44]
	s_delay_alu instid0(VALU_DEP_2) | instskip(NEXT) | instid1(VALU_DEP_2)
	v_fma_f64 v[43:44], -v[53:54], v[51:52], v[61:62]
	v_add_f64 v[5:6], v[45:46], v[5:6]
	s_delay_alu instid0(VALU_DEP_2)
	v_div_fmas_f64 v[13:14], v[43:44], v[13:14], v[51:52]
	v_subrev_co_ci_u32_e64 v3, vcc_lo, 0, v3, s7
	v_cmp_eq_f64_e64 s7, 0, v[11:12]
	v_cmp_gt_i32_e32 vcc_lo, 0, v10
	v_cndmask_b32_e32 v1, 0x3fe921fb, v60, vcc_lo
	v_cndmask_b32_e32 v7, 0x54442d18, v59, vcc_lo
	s_delay_alu instid0(VALU_DEP_2) | instskip(SKIP_2) | instid1(VALU_DEP_2)
	v_bfi_b32 v1, 0x7fffffff, v1, v12
	v_mul_f64 v[5:6], v[29:30], v[5:6]
	v_div_fixup_f64 v[13:14], v[13:14], v[49:50], v[31:32]
	v_add_f64 v[29:30], v[47:48], v[5:6]
	s_delay_alu instid0(VALU_DEP_2) | instskip(NEXT) | instid1(VALU_DEP_2)
	v_mul_f64 v[31:32], v[13:14], v[13:14]
	v_mul_f64 v[43:44], v[29:30], v[29:30]
	s_delay_alu instid0(VALU_DEP_2) | instskip(NEXT) | instid1(VALU_DEP_2)
	v_fma_f64 v[45:46], v[31:32], s[50:51], s[48:49]
	v_fma_f64 v[49:50], v[43:44], s[30:31], s[28:29]
	v_mul_f64 v[51:52], v[29:30], v[43:44]
	s_delay_alu instid0(VALU_DEP_3) | instskip(NEXT) | instid1(VALU_DEP_3)
	v_fma_f64 v[45:46], v[31:32], v[45:46], s[52:53]
	v_fma_f64 v[49:50], v[43:44], v[49:50], s[36:37]
	s_delay_alu instid0(VALU_DEP_2) | instskip(NEXT) | instid1(VALU_DEP_2)
	v_fma_f64 v[45:46], v[31:32], v[45:46], s[54:55]
	v_fma_f64 v[49:50], v[43:44], v[49:50], s[38:39]
	s_delay_alu instid0(VALU_DEP_2) | instskip(NEXT) | instid1(VALU_DEP_2)
	;; [unrolled: 3-line block ×4, first 2 shown]
	v_fma_f64 v[45:46], v[31:32], v[45:46], s[60:61]
	v_fma_f64 v[43:44], v[43:44], v[49:50], s[98:99]
	v_ldexp_f64 v[49:50], v[29:30], 1
	v_add_f64 v[29:30], v[29:30], -v[47:48]
	s_delay_alu instid0(VALU_DEP_4) | instskip(NEXT) | instid1(VALU_DEP_4)
	v_fma_f64 v[45:46], v[31:32], v[45:46], s[62:63]
	v_mul_f64 v[43:44], v[51:52], v[43:44]
	v_cvt_f64_i32_e32 v[51:52], v3
	s_delay_alu instid0(VALU_DEP_4) | instskip(SKIP_2) | instid1(VALU_DEP_2)
	v_add_f64 v[5:6], v[5:6], -v[29:30]
	v_ashrrev_i32_e32 v3, 31, v10
	v_fma_f64 v[45:46], v[31:32], v[45:46], s[64:65]
	v_and_b32_e32 v15, 0x54442d18, v3
	v_and_b32_e32 v2, 0x400921fb, v3
	v_add_f64 v[47:48], v[49:50], v[43:44]
	v_mul_f64 v[53:54], v[51:52], s[44:45]
	v_ldexp_f64 v[5:6], v[5:6], 1
	v_fma_f64 v[45:46], v[31:32], v[45:46], s[66:67]
	s_delay_alu instid0(VALU_DEP_4) | instskip(NEXT) | instid1(VALU_DEP_4)
	v_add_f64 v[29:30], v[47:48], -v[49:50]
	v_fma_f64 v[49:50], v[51:52], s[44:45], -v[53:54]
	s_delay_alu instid0(VALU_DEP_3) | instskip(NEXT) | instid1(VALU_DEP_3)
	v_fma_f64 v[45:46], v[31:32], v[45:46], s[68:69]
	v_add_f64 v[29:30], v[43:44], -v[29:30]
	s_delay_alu instid0(VALU_DEP_2) | instskip(NEXT) | instid1(VALU_DEP_4)
	v_fma_f64 v[43:44], v[31:32], v[45:46], s[70:71]
	v_fma_f64 v[45:46], v[51:52], s[46:47], v[49:50]
	s_delay_alu instid0(VALU_DEP_3) | instskip(NEXT) | instid1(VALU_DEP_3)
	v_add_f64 v[5:6], v[5:6], v[29:30]
	v_fma_f64 v[29:30], v[31:32], v[43:44], s[72:73]
	s_delay_alu instid0(VALU_DEP_3) | instskip(NEXT) | instid1(VALU_DEP_3)
	v_add_f64 v[43:44], v[53:54], v[45:46]
	v_add_f64 v[49:50], v[47:48], v[5:6]
	s_delay_alu instid0(VALU_DEP_3) | instskip(NEXT) | instid1(VALU_DEP_3)
	v_fma_f64 v[29:30], v[31:32], v[29:30], s[74:75]
	v_add_f64 v[53:54], v[43:44], -v[53:54]
	s_delay_alu instid0(VALU_DEP_3) | instskip(SKIP_1) | instid1(VALU_DEP_4)
	v_add_f64 v[51:52], v[43:44], v[49:50]
	v_add_f64 v[47:48], v[49:50], -v[47:48]
	v_fma_f64 v[29:30], v[31:32], v[29:30], s[76:77]
	s_delay_alu instid0(VALU_DEP_4) | instskip(NEXT) | instid1(VALU_DEP_4)
	v_add_f64 v[45:46], v[45:46], -v[53:54]
	v_add_f64 v[55:56], v[51:52], -v[43:44]
	s_delay_alu instid0(VALU_DEP_4) | instskip(NEXT) | instid1(VALU_DEP_4)
	v_add_f64 v[5:6], v[5:6], -v[47:48]
	v_fma_f64 v[29:30], v[31:32], v[29:30], s[78:79]
	s_delay_alu instid0(VALU_DEP_3) | instskip(SKIP_1) | instid1(VALU_DEP_4)
	v_add_f64 v[57:58], v[51:52], -v[55:56]
	v_add_f64 v[47:48], v[49:50], -v[55:56]
	v_add_f64 v[49:50], v[45:46], v[5:6]
	s_delay_alu instid0(VALU_DEP_4) | instskip(NEXT) | instid1(VALU_DEP_4)
	v_fma_f64 v[29:30], v[31:32], v[29:30], s[80:81]
	v_add_f64 v[43:44], v[43:44], -v[57:58]
	s_delay_alu instid0(VALU_DEP_2) | instskip(NEXT) | instid1(VALU_DEP_2)
	v_fma_f64 v[29:30], v[31:32], v[29:30], s[82:83]
	v_add_f64 v[43:44], v[47:48], v[43:44]
	v_add_f64 v[47:48], v[49:50], -v[45:46]
	s_delay_alu instid0(VALU_DEP_3) | instskip(NEXT) | instid1(VALU_DEP_3)
	v_fma_f64 v[29:30], v[31:32], v[29:30], s[84:85]
	v_add_f64 v[43:44], v[49:50], v[43:44]
	s_delay_alu instid0(VALU_DEP_3) | instskip(SKIP_1) | instid1(VALU_DEP_4)
	v_add_f64 v[49:50], v[49:50], -v[47:48]
	v_add_f64 v[5:6], v[5:6], -v[47:48]
	v_fma_f64 v[29:30], v[31:32], v[29:30], s[86:87]
	s_delay_alu instid0(VALU_DEP_4) | instskip(NEXT) | instid1(VALU_DEP_2)
	v_add_f64 v[53:54], v[51:52], v[43:44]
	v_mul_f64 v[29:30], v[31:32], v[29:30]
	v_add_f64 v[31:32], v[45:46], -v[49:50]
	s_delay_alu instid0(VALU_DEP_3) | instskip(NEXT) | instid1(VALU_DEP_3)
	v_add_f64 v[45:46], v[53:54], -v[51:52]
	v_fma_f64 v[13:14], v[13:14], v[29:30], v[13:14]
	s_delay_alu instid0(VALU_DEP_3) | instskip(NEXT) | instid1(VALU_DEP_3)
	v_add_f64 v[5:6], v[5:6], v[31:32]
	v_add_f64 v[29:30], v[43:44], -v[45:46]
	s_delay_alu instid0(VALU_DEP_3) | instskip(NEXT) | instid1(VALU_DEP_2)
	v_add_f64 v[31:32], -v[13:14], s[88:89]
	v_add_f64 v[5:6], v[5:6], v[29:30]
	s_delay_alu instid0(VALU_DEP_2) | instskip(NEXT) | instid1(VALU_DEP_3)
	v_cndmask_b32_e64 v14, v14, v32, s6
	v_cndmask_b32_e64 v13, v13, v31, s6
	s_delay_alu instid0(VALU_DEP_1) | instskip(NEXT) | instid1(VALU_DEP_4)
	v_add_f64 v[29:30], -v[13:14], s[16:17]
	v_add_f64 v[5:6], v[53:54], v[5:6]
	s_delay_alu instid0(VALU_DEP_2) | instskip(NEXT) | instid1(VALU_DEP_3)
	v_cndmask_b32_e32 v13, v13, v29, vcc_lo
	v_cndmask_b32_e32 v3, v14, v30, vcc_lo
	s_and_b32 vcc_lo, s10, s11
	s_delay_alu instid0(VALU_DEP_1) | instskip(NEXT) | instid1(VALU_DEP_1)
	v_cndmask_b32_e64 v2, v3, v2, s7
	v_cndmask_b32_e32 v32, v2, v1, vcc_lo
	v_cndmask_b32_e64 v9, v13, v15, s7
                                        ; implicit-def: $vgpr13_vgpr14
	s_delay_alu instid0(VALU_DEP_1) | instskip(SKIP_1) | instid1(VALU_DEP_1)
	v_cndmask_b32_e32 v31, v9, v7, vcc_lo
	v_mul_f64 v[5:6], v[5:6], 0.5
	v_cndmask_b32_e64 v30, 0xfff00000, v6, s8
	s_delay_alu instid0(VALU_DEP_2)
	v_cndmask_b32_e64 v29, 0, v5, s8
                                        ; implicit-def: $vgpr5_vgpr6
.LBB174_128:                            ;   in Loop: Header=BB174_4 Depth=1
	s_and_not1_saveexec_b32 s24, s9
	s_cbranch_execz .LBB174_132
; %bb.129:                              ;   in Loop: Header=BB174_4 Depth=1
	v_dual_mov_b32 v29, v33 :: v_dual_and_b32 v34, 0x7ffffff8, v14
	v_dual_mov_b32 v31, v33 :: v_dual_and_b32 v30, 0x7ffffff8, v6
	s_mov_b32 s25, 0
	s_delay_alu instid0(VALU_DEP_2) | instskip(SKIP_1) | instid1(VALU_DEP_3)
	v_add_f64 v[1:2], v[13:14], -v[33:34]
	v_mov_b32_e32 v43, v33
	v_add_f64 v[5:6], v[5:6], -v[29:30]
	v_add_f64 v[45:46], v[33:34], v[33:34]
	v_add_f64 v[53:54], v[29:30], v[29:30]
	v_mul_f64 v[29:30], v[29:30], v[29:30]
	v_and_b32_e32 v32, -8, v2
	v_and_b32_e32 v44, -8, v6
	s_delay_alu instid0(VALU_DEP_2) | instskip(SKIP_1) | instid1(VALU_DEP_3)
	v_add_f64 v[55:56], v[1:2], -v[31:32]
	v_add_f64 v[61:62], v[31:32], v[31:32]
	v_add_f64 v[57:58], v[5:6], -v[43:44]
	v_add_f64 v[63:64], v[43:44], v[43:44]
	v_mul_f64 v[1:2], v[33:34], v[33:34]
	v_mul_f64 v[51:52], v[45:46], v[31:32]
	;; [unrolled: 1-line block ×11, first 2 shown]
.LBB174_130:                            ;   Parent Loop BB174_4 Depth=1
                                        ; =>  This Inner Loop Header: Depth=2
	v_cmp_nlt_f64_e32 vcc_lo, v[1:2], v[29:30]
	v_dual_cndmask_b32 v58, v2, v30 :: v_dual_cndmask_b32 v57, v1, v29
	v_dual_cndmask_b32 v2, v30, v2 :: v_dual_cndmask_b32 v1, v29, v1
	s_delay_alu instid0(VALU_DEP_2) | instskip(NEXT) | instid1(VALU_DEP_1)
	v_cmp_nlt_f64_e64 s7, v[57:58], v[51:52]
	v_cndmask_b32_e64 v62, v58, v52, s7
	v_cndmask_b32_e64 v61, v57, v51, s7
	;; [unrolled: 1-line block ×4, first 2 shown]
	s_and_b32 s7, vcc_lo, s7
	s_delay_alu instid0(VALU_DEP_3) | instskip(NEXT) | instid1(VALU_DEP_1)
	v_cmp_nlt_f64_e64 s8, v[61:62], v[13:14]
	v_cndmask_b32_e64 v58, v62, v14, s8
	v_cndmask_b32_e64 v57, v61, v13, s8
	;; [unrolled: 1-line block ×4, first 2 shown]
	s_delay_alu instid0(VALU_DEP_3) | instskip(NEXT) | instid1(VALU_DEP_1)
	v_cmp_nlt_f64_e64 s9, v[57:58], v[49:50]
	v_cndmask_b32_e64 v62, v58, v50, s9
	v_cndmask_b32_e64 v61, v57, v49, s9
	;; [unrolled: 1-line block ×4, first 2 shown]
	s_and_b32 s8, s8, s9
	s_delay_alu instid0(VALU_DEP_3) | instskip(NEXT) | instid1(VALU_DEP_1)
	v_cmp_nlt_f64_e64 s10, v[61:62], v[5:6]
	v_cndmask_b32_e64 v58, v62, v6, s10
	v_cndmask_b32_e64 v57, v61, v5, s10
	v_cndmask_b32_e64 v50, v6, v62, s10
	v_cndmask_b32_e64 v49, v5, v61, s10
	s_delay_alu instid0(VALU_DEP_3) | instskip(NEXT) | instid1(VALU_DEP_1)
	v_cmp_nlt_f64_e64 s11, v[57:58], v[47:48]
	v_cndmask_b32_e64 v62, v58, v48, s11
	v_cndmask_b32_e64 v61, v57, v47, s11
	v_cndmask_b32_e64 v6, v48, v58, s11
	v_cndmask_b32_e64 v5, v47, v57, s11
	s_and_b32 s9, s10, s11
	s_delay_alu instid0(VALU_DEP_3) | instskip(NEXT) | instid1(VALU_DEP_1)
	v_cmp_nlt_f64_e64 s12, v[61:62], v[45:46]
	v_cndmask_b32_e64 v58, v62, v46, s12
	v_cndmask_b32_e64 v57, v61, v45, s12
	v_cndmask_b32_e64 v48, v46, v62, s12
	v_cndmask_b32_e64 v47, v45, v61, s12
	s_and_b32 s9, s9, s12
	;; [unrolled: 7-line block ×4, first 2 shown]
	s_delay_alu instid0(VALU_DEP_3) | instskip(NEXT) | instid1(VALU_DEP_1)
	v_cmp_nlt_f64_e64 s15, v[57:58], v[53:54]
	v_cndmask_b32_e64 v62, v58, v54, s15
	v_cndmask_b32_e64 v61, v57, v53, s15
	s_and_b32 s9, s9, s15
	v_cndmask_b32_e64 v32, v54, v58, s15
	v_cndmask_b32_e64 v31, v53, v57, s15
	s_delay_alu instid0(VALU_DEP_3) | instskip(NEXT) | instid1(VALU_DEP_1)
	v_cmp_nlt_f64_e64 s16, v[61:62], v[55:56]
	v_cndmask_b32_e64 v58, v62, v56, s16
	v_cndmask_b32_e64 v57, v61, v55, s16
	s_and_b32 s9, s9, s16
	v_cndmask_b32_e64 v54, v56, v62, s16
	s_and_b32 s8, s9, s8
	;; [unrolled: 2-line block ×3, first 2 shown]
	v_dual_mov_b32 v55, v57 :: v_dual_mov_b32 v56, v58
	s_and_b32 s7, exec_lo, s7
	s_delay_alu instid0(SALU_CYCLE_1) | instskip(NEXT) | instid1(SALU_CYCLE_1)
	s_or_b32 s25, s7, s25
	s_and_not1_b32 exec_lo, exec_lo, s25
	s_cbranch_execnz .LBB174_130
; %bb.131:                              ;   in Loop: Header=BB174_4 Depth=1
	s_or_b32 exec_lo, exec_lo, s25
	v_add_f64 v[1:2], v[1:2], -1.0
	s_mov_b32 s99, s27
	s_mov_b32 s16, s88
	v_cmp_gt_i32_e64 s7, 0, v10
	v_cmp_class_f64_e64 s9, v[9:10], 0x204
	v_cmp_class_f64_e64 s8, v[11:12], 0x204
	s_mov_b32 s14, 0x4ad4b81f
	s_mov_b32 s15, 0x358dee7a
	s_delay_alu instid0(VALU_DEP_4) | instskip(NEXT) | instid1(VALU_DEP_1)
	v_add_f64 v[1:2], v[1:2], v[29:30]
	v_add_f64 v[1:2], v[1:2], v[51:52]
	s_delay_alu instid0(VALU_DEP_1) | instskip(NEXT) | instid1(VALU_DEP_1)
	v_add_f64 v[1:2], v[1:2], v[13:14]
	v_add_f64 v[1:2], v[1:2], v[49:50]
	s_delay_alu instid0(VALU_DEP_1) | instskip(NEXT) | instid1(VALU_DEP_1)
	;; [unrolled: 3-line block ×5, first 2 shown]
	v_add_f64 v[1:2], v[57:58], v[1:2]
	v_add_f64 v[5:6], v[1:2], 1.0
	s_delay_alu instid0(VALU_DEP_1) | instskip(SKIP_2) | instid1(VALU_DEP_3)
	v_frexp_mant_f64_e32 v[13:14], v[5:6]
	v_frexp_exp_i32_f64_e32 v3, v[5:6]
	v_add_f64 v[29:30], v[5:6], -1.0
	v_cmp_gt_f64_e32 vcc_lo, s[26:27], v[13:14]
	s_delay_alu instid0(VALU_DEP_2) | instskip(SKIP_2) | instid1(VALU_DEP_3)
	v_add_f64 v[13:14], v[29:30], -v[5:6]
	v_add_f64 v[29:30], v[1:2], -v[29:30]
	v_subrev_co_ci_u32_e32 v3, vcc_lo, 0, v3, vcc_lo
	v_add_f64 v[13:14], v[13:14], 1.0
	s_delay_alu instid0(VALU_DEP_2) | instskip(NEXT) | instid1(VALU_DEP_1)
	v_sub_nc_u32_e32 v7, 0, v3
	v_ldexp_f64 v[5:6], v[5:6], v7
	s_delay_alu instid0(VALU_DEP_3) | instskip(NEXT) | instid1(VALU_DEP_2)
	v_add_f64 v[13:14], v[29:30], v[13:14]
	v_add_f64 v[31:32], v[5:6], 1.0
	v_add_f64 v[47:48], v[5:6], -1.0
	s_delay_alu instid0(VALU_DEP_3) | instskip(SKIP_1) | instid1(VALU_DEP_4)
	v_ldexp_f64 v[13:14], v[13:14], v7
	v_cndmask_b32_e64 v7, 0x54442d18, v59, s7
	v_add_f64 v[29:30], v[31:32], -1.0
	s_delay_alu instid0(VALU_DEP_4) | instskip(NEXT) | instid1(VALU_DEP_2)
	v_add_f64 v[49:50], v[47:48], 1.0
	v_add_f64 v[29:30], v[5:6], -v[29:30]
	s_delay_alu instid0(VALU_DEP_2) | instskip(NEXT) | instid1(VALU_DEP_2)
	v_add_f64 v[5:6], v[5:6], -v[49:50]
	v_add_f64 v[29:30], v[13:14], v[29:30]
	s_delay_alu instid0(VALU_DEP_2) | instskip(NEXT) | instid1(VALU_DEP_2)
	v_add_f64 v[5:6], v[13:14], v[5:6]
	v_add_f64 v[43:44], v[31:32], v[29:30]
	s_delay_alu instid0(VALU_DEP_2) | instskip(NEXT) | instid1(VALU_DEP_2)
	v_add_f64 v[49:50], v[47:48], v[5:6]
	v_rcp_f64_e32 v[45:46], v[43:44]
	v_add_f64 v[31:32], v[43:44], -v[31:32]
	s_delay_alu instid0(VALU_DEP_2) | instskip(NEXT) | instid1(VALU_DEP_2)
	v_add_f64 v[47:48], v[49:50], -v[47:48]
	v_add_f64 v[29:30], v[29:30], -v[31:32]
	s_waitcnt_depctr 0xfff
	v_fma_f64 v[51:52], -v[43:44], v[45:46], 1.0
	v_add_f64 v[5:6], v[5:6], -v[47:48]
	s_delay_alu instid0(VALU_DEP_2) | instskip(NEXT) | instid1(VALU_DEP_1)
	v_fma_f64 v[45:46], v[51:52], v[45:46], v[45:46]
	v_fma_f64 v[13:14], -v[43:44], v[45:46], 1.0
	s_delay_alu instid0(VALU_DEP_1) | instskip(NEXT) | instid1(VALU_DEP_1)
	v_fma_f64 v[13:14], v[13:14], v[45:46], v[45:46]
	v_mul_f64 v[45:46], v[49:50], v[13:14]
	s_delay_alu instid0(VALU_DEP_1) | instskip(NEXT) | instid1(VALU_DEP_1)
	v_mul_f64 v[51:52], v[43:44], v[45:46]
	v_fma_f64 v[31:32], v[45:46], v[43:44], -v[51:52]
	s_delay_alu instid0(VALU_DEP_1) | instskip(NEXT) | instid1(VALU_DEP_1)
	v_fma_f64 v[31:32], v[45:46], v[29:30], v[31:32]
	v_add_f64 v[53:54], v[51:52], v[31:32]
	s_delay_alu instid0(VALU_DEP_1) | instskip(SKIP_2) | instid1(VALU_DEP_3)
	v_add_f64 v[55:56], v[49:50], -v[53:54]
	v_add_f64 v[47:48], v[53:54], -v[51:52]
	v_max_f64 v[51:52], |v[11:12]|, |v[11:12]|
	v_add_f64 v[49:50], v[49:50], -v[55:56]
	s_delay_alu instid0(VALU_DEP_3) | instskip(NEXT) | instid1(VALU_DEP_2)
	v_add_f64 v[31:32], v[47:48], -v[31:32]
	v_add_f64 v[49:50], v[49:50], -v[53:54]
	v_max_f64 v[53:54], |v[9:10]|, |v[9:10]|
	v_cndmask_b32_e64 v9, 0x3fe921fb, v60, s7
	s_delay_alu instid0(VALU_DEP_1) | instskip(NEXT) | instid1(VALU_DEP_4)
	v_bfi_b32 v9, 0x7fffffff, v9, v12
	v_add_f64 v[5:6], v[5:6], v[49:50]
	s_delay_alu instid0(VALU_DEP_4) | instskip(SKIP_1) | instid1(VALU_DEP_3)
	v_max_f64 v[57:58], v[53:54], v[51:52]
	v_min_f64 v[51:52], v[53:54], v[51:52]
	v_add_f64 v[5:6], v[31:32], v[5:6]
	s_delay_alu instid0(VALU_DEP_1) | instskip(NEXT) | instid1(VALU_DEP_1)
	v_add_f64 v[31:32], v[55:56], v[5:6]
	v_mul_f64 v[47:48], v[13:14], v[31:32]
	v_add_f64 v[55:56], v[55:56], -v[31:32]
	s_delay_alu instid0(VALU_DEP_2) | instskip(NEXT) | instid1(VALU_DEP_2)
	v_mul_f64 v[49:50], v[43:44], v[47:48]
	v_add_f64 v[5:6], v[5:6], v[55:56]
	s_delay_alu instid0(VALU_DEP_2) | instskip(NEXT) | instid1(VALU_DEP_1)
	v_fma_f64 v[43:44], v[47:48], v[43:44], -v[49:50]
	v_fma_f64 v[29:30], v[47:48], v[29:30], v[43:44]
	v_div_scale_f64 v[43:44], null, v[57:58], v[57:58], v[51:52]
	s_delay_alu instid0(VALU_DEP_2) | instskip(NEXT) | instid1(VALU_DEP_2)
	v_add_f64 v[53:54], v[49:50], v[29:30]
	v_rcp_f64_e32 v[61:62], v[43:44]
	s_delay_alu instid0(VALU_DEP_1)
	v_add_f64 v[63:64], v[31:32], -v[53:54]
	v_add_f64 v[49:50], v[53:54], -v[49:50]
	s_waitcnt_depctr 0xfff
	v_fma_f64 v[65:66], -v[43:44], v[61:62], 1.0
	v_add_f64 v[31:32], v[31:32], -v[63:64]
	v_add_f64 v[29:30], v[49:50], -v[29:30]
	s_delay_alu instid0(VALU_DEP_3) | instskip(NEXT) | instid1(VALU_DEP_3)
	v_fma_f64 v[61:62], v[61:62], v[65:66], v[61:62]
	v_add_f64 v[31:32], v[31:32], -v[53:54]
	s_delay_alu instid0(VALU_DEP_2) | instskip(NEXT) | instid1(VALU_DEP_2)
	v_fma_f64 v[53:54], -v[43:44], v[61:62], 1.0
	v_add_f64 v[5:6], v[5:6], v[31:32]
	v_div_scale_f64 v[31:32], vcc_lo, v[51:52], v[57:58], v[51:52]
	s_delay_alu instid0(VALU_DEP_3) | instskip(SKIP_1) | instid1(VALU_DEP_4)
	v_fma_f64 v[49:50], v[61:62], v[53:54], v[61:62]
	v_add_f64 v[53:54], v[45:46], v[47:48]
	v_add_f64 v[5:6], v[29:30], v[5:6]
	s_delay_alu instid0(VALU_DEP_3) | instskip(NEXT) | instid1(VALU_DEP_3)
	v_mul_f64 v[29:30], v[31:32], v[49:50]
	v_add_f64 v[45:46], v[53:54], -v[45:46]
	s_delay_alu instid0(VALU_DEP_3) | instskip(NEXT) | instid1(VALU_DEP_3)
	v_add_f64 v[5:6], v[63:64], v[5:6]
	v_fma_f64 v[31:32], -v[43:44], v[29:30], v[31:32]
	s_delay_alu instid0(VALU_DEP_3) | instskip(NEXT) | instid1(VALU_DEP_3)
	v_add_f64 v[43:44], v[47:48], -v[45:46]
	v_mul_f64 v[5:6], v[13:14], v[5:6]
	s_delay_alu instid0(VALU_DEP_3) | instskip(SKIP_1) | instid1(VALU_DEP_3)
	v_div_fmas_f64 v[13:14], v[31:32], v[49:50], v[29:30]
	v_cmp_eq_f64_e32 vcc_lo, 0x7ff00000, v[1:2]
	v_add_f64 v[5:6], v[43:44], v[5:6]
	s_delay_alu instid0(VALU_DEP_3) | instskip(NEXT) | instid1(VALU_DEP_2)
	v_div_fixup_f64 v[13:14], v[13:14], v[57:58], v[51:52]
	v_add_f64 v[29:30], v[53:54], v[5:6]
	s_delay_alu instid0(VALU_DEP_2) | instskip(NEXT) | instid1(VALU_DEP_2)
	v_mul_f64 v[31:32], v[13:14], v[13:14]
	v_mul_f64 v[43:44], v[29:30], v[29:30]
	s_delay_alu instid0(VALU_DEP_2) | instskip(NEXT) | instid1(VALU_DEP_2)
	v_fma_f64 v[45:46], v[31:32], s[50:51], s[48:49]
	v_fma_f64 v[47:48], v[43:44], s[30:31], s[28:29]
	v_mul_f64 v[49:50], v[29:30], v[43:44]
	s_delay_alu instid0(VALU_DEP_3) | instskip(NEXT) | instid1(VALU_DEP_3)
	v_fma_f64 v[45:46], v[31:32], v[45:46], s[52:53]
	v_fma_f64 v[47:48], v[43:44], v[47:48], s[36:37]
	s_delay_alu instid0(VALU_DEP_2) | instskip(NEXT) | instid1(VALU_DEP_2)
	v_fma_f64 v[45:46], v[31:32], v[45:46], s[54:55]
	v_fma_f64 v[47:48], v[43:44], v[47:48], s[38:39]
	s_delay_alu instid0(VALU_DEP_2) | instskip(NEXT) | instid1(VALU_DEP_2)
	;; [unrolled: 3-line block ×4, first 2 shown]
	v_fma_f64 v[45:46], v[31:32], v[45:46], s[60:61]
	v_fma_f64 v[43:44], v[43:44], v[47:48], s[98:99]
	v_ldexp_f64 v[47:48], v[29:30], 1
	v_add_f64 v[29:30], v[29:30], -v[53:54]
	s_delay_alu instid0(VALU_DEP_4) | instskip(NEXT) | instid1(VALU_DEP_4)
	v_fma_f64 v[45:46], v[31:32], v[45:46], s[62:63]
	v_mul_f64 v[43:44], v[49:50], v[43:44]
	v_cvt_f64_i32_e32 v[49:50], v3
	s_delay_alu instid0(VALU_DEP_4) | instskip(NEXT) | instid1(VALU_DEP_4)
	v_add_f64 v[5:6], v[5:6], -v[29:30]
	v_fma_f64 v[45:46], v[31:32], v[45:46], s[64:65]
	v_ashrrev_i32_e32 v3, 31, v10
	v_add_f64 v[51:52], v[47:48], v[43:44]
	v_mul_f64 v[53:54], v[49:50], s[44:45]
	v_ldexp_f64 v[5:6], v[5:6], 1
	v_fma_f64 v[45:46], v[31:32], v[45:46], s[66:67]
	s_delay_alu instid0(VALU_DEP_4) | instskip(NEXT) | instid1(VALU_DEP_4)
	v_add_f64 v[29:30], v[51:52], -v[47:48]
	v_fma_f64 v[47:48], v[49:50], s[44:45], -v[53:54]
	s_delay_alu instid0(VALU_DEP_3) | instskip(NEXT) | instid1(VALU_DEP_3)
	v_fma_f64 v[45:46], v[31:32], v[45:46], s[68:69]
	v_add_f64 v[29:30], v[43:44], -v[29:30]
	s_delay_alu instid0(VALU_DEP_2) | instskip(NEXT) | instid1(VALU_DEP_4)
	v_fma_f64 v[43:44], v[31:32], v[45:46], s[70:71]
	v_fma_f64 v[45:46], v[49:50], s[46:47], v[47:48]
	s_delay_alu instid0(VALU_DEP_3) | instskip(NEXT) | instid1(VALU_DEP_3)
	v_add_f64 v[5:6], v[5:6], v[29:30]
	v_fma_f64 v[29:30], v[31:32], v[43:44], s[72:73]
	s_delay_alu instid0(VALU_DEP_3) | instskip(NEXT) | instid1(VALU_DEP_3)
	v_add_f64 v[43:44], v[53:54], v[45:46]
	v_add_f64 v[47:48], v[51:52], v[5:6]
	s_delay_alu instid0(VALU_DEP_3) | instskip(NEXT) | instid1(VALU_DEP_3)
	v_fma_f64 v[29:30], v[31:32], v[29:30], s[74:75]
	v_add_f64 v[53:54], v[43:44], -v[53:54]
	s_delay_alu instid0(VALU_DEP_3) | instskip(SKIP_1) | instid1(VALU_DEP_4)
	v_add_f64 v[49:50], v[43:44], v[47:48]
	v_add_f64 v[51:52], v[47:48], -v[51:52]
	v_fma_f64 v[29:30], v[31:32], v[29:30], s[76:77]
	s_delay_alu instid0(VALU_DEP_4) | instskip(NEXT) | instid1(VALU_DEP_4)
	v_add_f64 v[45:46], v[45:46], -v[53:54]
	v_add_f64 v[55:56], v[49:50], -v[43:44]
	s_delay_alu instid0(VALU_DEP_4) | instskip(NEXT) | instid1(VALU_DEP_4)
	v_add_f64 v[5:6], v[5:6], -v[51:52]
	v_fma_f64 v[29:30], v[31:32], v[29:30], s[78:79]
	s_delay_alu instid0(VALU_DEP_3) | instskip(SKIP_1) | instid1(VALU_DEP_4)
	v_add_f64 v[57:58], v[49:50], -v[55:56]
	v_add_f64 v[47:48], v[47:48], -v[55:56]
	v_add_f64 v[51:52], v[45:46], v[5:6]
	s_delay_alu instid0(VALU_DEP_4) | instskip(NEXT) | instid1(VALU_DEP_4)
	v_fma_f64 v[29:30], v[31:32], v[29:30], s[80:81]
	v_add_f64 v[43:44], v[43:44], -v[57:58]
	s_delay_alu instid0(VALU_DEP_2) | instskip(NEXT) | instid1(VALU_DEP_2)
	v_fma_f64 v[29:30], v[31:32], v[29:30], s[82:83]
	v_add_f64 v[43:44], v[47:48], v[43:44]
	v_add_f64 v[47:48], v[51:52], -v[45:46]
	s_delay_alu instid0(VALU_DEP_3) | instskip(NEXT) | instid1(VALU_DEP_3)
	v_fma_f64 v[29:30], v[31:32], v[29:30], s[84:85]
	v_add_f64 v[43:44], v[51:52], v[43:44]
	s_delay_alu instid0(VALU_DEP_3) | instskip(SKIP_1) | instid1(VALU_DEP_4)
	v_add_f64 v[51:52], v[51:52], -v[47:48]
	v_add_f64 v[5:6], v[5:6], -v[47:48]
	v_fma_f64 v[29:30], v[31:32], v[29:30], s[86:87]
	s_delay_alu instid0(VALU_DEP_4) | instskip(NEXT) | instid1(VALU_DEP_2)
	v_add_f64 v[53:54], v[49:50], v[43:44]
	v_mul_f64 v[29:30], v[31:32], v[29:30]
	v_add_f64 v[31:32], v[45:46], -v[51:52]
	s_delay_alu instid0(VALU_DEP_3) | instskip(NEXT) | instid1(VALU_DEP_3)
	v_add_f64 v[45:46], v[53:54], -v[49:50]
	v_fma_f64 v[13:14], v[13:14], v[29:30], v[13:14]
	s_delay_alu instid0(VALU_DEP_3) | instskip(NEXT) | instid1(VALU_DEP_3)
	v_add_f64 v[5:6], v[5:6], v[31:32]
	v_add_f64 v[29:30], v[43:44], -v[45:46]
	s_delay_alu instid0(VALU_DEP_3) | instskip(NEXT) | instid1(VALU_DEP_2)
	v_add_f64 v[31:32], -v[13:14], s[88:89]
	v_add_f64 v[5:6], v[5:6], v[29:30]
	s_delay_alu instid0(VALU_DEP_2) | instskip(NEXT) | instid1(VALU_DEP_3)
	v_cndmask_b32_e64 v14, v14, v32, s6
	v_cndmask_b32_e64 v13, v13, v31, s6
	s_delay_alu instid0(VALU_DEP_1) | instskip(NEXT) | instid1(VALU_DEP_4)
	v_add_f64 v[29:30], -v[13:14], s[16:17]
	v_add_f64 v[5:6], v[53:54], v[5:6]
	v_and_b32_e32 v15, 0x54442d18, v3
	v_and_b32_e32 v3, 0x400921fb, v3
	s_delay_alu instid0(VALU_DEP_4) | instskip(SKIP_4) | instid1(VALU_DEP_2)
	v_cndmask_b32_e64 v13, v13, v29, s7
	v_cndmask_b32_e64 v10, v14, v30, s7
	v_cmp_nge_f64_e64 s7, -1.0, v[1:2]
	v_dual_cndmask_b32 v6, v6, v2 :: v_dual_cndmask_b32 v5, v5, v1
	v_cmp_eq_f64_e32 vcc_lo, 0, v[11:12]
	v_mul_f64 v[5:6], v[5:6], 0.5
	v_cndmask_b32_e32 v3, v10, v3, vcc_lo
	v_cndmask_b32_e32 v13, v13, v15, vcc_lo
	v_cmp_ngt_f64_e32 vcc_lo, -1.0, v[1:2]
	s_delay_alu instid0(VALU_DEP_4) | instskip(SKIP_4) | instid1(VALU_DEP_2)
	v_cndmask_b32_e64 v29, 0, v5, s7
	v_cmp_neq_f64_e64 s7, -1.0, v[1:2]
	v_cndmask_b32_e32 v6, 0x7ff80000, v6, vcc_lo
	s_and_b32 vcc_lo, s8, s9
	v_dual_cndmask_b32 v32, v3, v9 :: v_dual_cndmask_b32 v31, v13, v7
	v_cndmask_b32_e64 v30, 0xfff00000, v6, s7
.LBB174_132:                            ;   in Loop: Header=BB174_4 Depth=1
	s_or_b32 exec_lo, exec_lo, s24
.LBB174_133:                            ;   in Loop: Header=BB174_4 Depth=1
	s_delay_alu instid0(SALU_CYCLE_1)
	s_or_b32 exec_lo, exec_lo, s23
.LBB174_134:                            ;   in Loop: Header=BB174_4 Depth=1
	s_and_not1_saveexec_b32 s9, s22
	s_cbranch_execz .LBB174_136
; %bb.135:                              ;   in Loop: Header=BB174_4 Depth=1
	v_max_f64 v[1:2], |v[11:12]|, |v[11:12]|
	v_max_f64 v[5:6], |v[9:10]|, |v[9:10]|
	v_cmp_class_f64_e64 s10, v[9:10], 0x204
	v_cmp_class_f64_e64 s11, v[11:12], 0x204
	s_mov_b32 s99, s27
	s_mov_b32 s16, s88
	v_cmp_eq_f64_e64 s8, 0, v[11:12]
	s_delay_alu instid0(VALU_DEP_4) | instskip(SKIP_1) | instid1(VALU_DEP_4)
	v_max_f64 v[13:14], v[5:6], v[1:2]
	v_min_f64 v[1:2], v[5:6], v[1:2]
	s_or_b32 s12, s11, s10
	s_delay_alu instid0(VALU_DEP_2) | instskip(NEXT) | instid1(VALU_DEP_1)
	v_frexp_exp_i32_f64_e32 v3, v[13:14]
	v_sub_nc_u32_e32 v7, 0, v3
	s_delay_alu instid0(VALU_DEP_1) | instskip(SKIP_1) | instid1(VALU_DEP_2)
	v_ldexp_f64 v[29:30], |v[11:12]|, v7
	v_ldexp_f64 v[31:32], |v[9:10]|, v7
	v_mul_f64 v[29:30], v[29:30], v[29:30]
	s_delay_alu instid0(VALU_DEP_1) | instskip(NEXT) | instid1(VALU_DEP_1)
	v_fma_f64 v[29:30], v[31:32], v[31:32], v[29:30]
	v_rsq_f64_e32 v[31:32], v[29:30]
	v_cmp_eq_f64_e32 vcc_lo, 0, v[29:30]
	s_waitcnt_depctr 0xfff
	v_mul_f64 v[43:44], v[29:30], v[31:32]
	v_mul_f64 v[31:32], v[31:32], 0.5
	s_delay_alu instid0(VALU_DEP_1) | instskip(NEXT) | instid1(VALU_DEP_1)
	v_fma_f64 v[45:46], -v[31:32], v[43:44], 0.5
	v_fma_f64 v[43:44], v[43:44], v[45:46], v[43:44]
	v_fma_f64 v[31:32], v[31:32], v[45:46], v[31:32]
	s_delay_alu instid0(VALU_DEP_2) | instskip(NEXT) | instid1(VALU_DEP_1)
	v_fma_f64 v[45:46], -v[43:44], v[43:44], v[29:30]
	v_fma_f64 v[31:32], v[45:46], v[31:32], v[43:44]
	s_delay_alu instid0(VALU_DEP_1) | instskip(SKIP_1) | instid1(VALU_DEP_2)
	v_dual_cndmask_b32 v30, v32, v30 :: v_dual_cndmask_b32 v29, v31, v29
	v_div_scale_f64 v[63:64], vcc_lo, v[1:2], v[13:14], v[1:2]
	v_ldexp_f64 v[29:30], v[29:30], v3
	s_delay_alu instid0(VALU_DEP_1) | instskip(NEXT) | instid1(VALU_DEP_2)
	v_cndmask_b32_e64 v44, v30, 0x7ff00000, s12
	v_cndmask_b32_e64 v43, v29, 0, s12
	s_delay_alu instid0(VALU_DEP_1) | instskip(SKIP_1) | instid1(VALU_DEP_2)
	v_frexp_mant_f64_e32 v[31:32], v[43:44]
	v_frexp_exp_i32_f64_e32 v3, v[43:44]
	v_cmp_gt_f64_e64 s7, s[26:27], v[31:32]
	s_delay_alu instid0(VALU_DEP_1) | instskip(NEXT) | instid1(VALU_DEP_1)
	v_cndmask_b32_e64 v34, 0x3ff00000, 2.0, s7
	v_mul_f64 v[31:32], v[31:32], v[33:34]
	s_delay_alu instid0(VALU_DEP_1) | instskip(SKIP_1) | instid1(VALU_DEP_2)
	v_add_f64 v[45:46], v[31:32], 1.0
	v_add_f64 v[51:52], v[31:32], -1.0
	v_rcp_f64_e32 v[47:48], v[45:46]
	v_add_f64 v[53:54], v[45:46], -1.0
	s_delay_alu instid0(VALU_DEP_1) | instskip(SKIP_2) | instid1(VALU_DEP_1)
	v_add_f64 v[31:32], v[31:32], -v[53:54]
	s_waitcnt_depctr 0xfff
	v_fma_f64 v[49:50], -v[45:46], v[47:48], 1.0
	v_fma_f64 v[47:48], v[49:50], v[47:48], v[47:48]
	s_delay_alu instid0(VALU_DEP_1) | instskip(NEXT) | instid1(VALU_DEP_1)
	v_fma_f64 v[49:50], -v[45:46], v[47:48], 1.0
	v_fma_f64 v[47:48], v[49:50], v[47:48], v[47:48]
	v_div_scale_f64 v[49:50], null, v[13:14], v[13:14], v[1:2]
	s_delay_alu instid0(VALU_DEP_2) | instskip(NEXT) | instid1(VALU_DEP_2)
	v_mul_f64 v[5:6], v[51:52], v[47:48]
	v_rcp_f64_e32 v[57:58], v[49:50]
	s_delay_alu instid0(VALU_DEP_1) | instskip(SKIP_3) | instid1(VALU_DEP_1)
	v_mul_f64 v[55:56], v[45:46], v[5:6]
	s_waitcnt_depctr 0xfff
	v_fma_f64 v[53:54], -v[49:50], v[57:58], 1.0
	v_fma_f64 v[45:46], v[5:6], v[45:46], -v[55:56]
	v_fma_f64 v[31:32], v[5:6], v[31:32], v[45:46]
	s_delay_alu instid0(VALU_DEP_3) | instskip(NEXT) | instid1(VALU_DEP_2)
	v_fma_f64 v[45:46], v[57:58], v[53:54], v[57:58]
	v_add_f64 v[53:54], v[55:56], v[31:32]
	s_delay_alu instid0(VALU_DEP_2) | instskip(NEXT) | instid1(VALU_DEP_2)
	v_fma_f64 v[57:58], -v[49:50], v[45:46], 1.0
	v_add_f64 v[61:62], v[51:52], -v[53:54]
	s_delay_alu instid0(VALU_DEP_2) | instskip(SKIP_1) | instid1(VALU_DEP_3)
	v_fma_f64 v[45:46], v[45:46], v[57:58], v[45:46]
	v_add_f64 v[55:56], v[53:54], -v[55:56]
	v_add_f64 v[51:52], v[51:52], -v[61:62]
	s_delay_alu instid0(VALU_DEP_3) | instskip(NEXT) | instid1(VALU_DEP_3)
	v_mul_f64 v[57:58], v[63:64], v[45:46]
	v_add_f64 v[31:32], v[55:56], -v[31:32]
	s_delay_alu instid0(VALU_DEP_3) | instskip(NEXT) | instid1(VALU_DEP_3)
	v_add_f64 v[51:52], v[51:52], -v[53:54]
	v_fma_f64 v[49:50], -v[49:50], v[57:58], v[63:64]
	s_delay_alu instid0(VALU_DEP_2) | instskip(NEXT) | instid1(VALU_DEP_2)
	v_add_f64 v[31:32], v[31:32], v[51:52]
	v_div_fmas_f64 v[45:46], v[49:50], v[45:46], v[57:58]
	v_subrev_co_ci_u32_e64 v3, vcc_lo, 0, v3, s7
	v_cmp_class_f64_e64 s7, v[29:30], 0x204
	v_cmp_gt_i32_e32 vcc_lo, 0, v10
	v_cndmask_b32_e32 v7, 0x54442d18, v59, vcc_lo
	v_add_f64 v[31:32], v[61:62], v[31:32]
	v_div_fixup_f64 v[1:2], v[45:46], v[13:14], v[1:2]
	s_delay_alu instid0(VALU_DEP_2) | instskip(NEXT) | instid1(VALU_DEP_2)
	v_mul_f64 v[13:14], v[47:48], v[31:32]
	v_mul_f64 v[31:32], v[1:2], v[1:2]
	s_delay_alu instid0(VALU_DEP_2) | instskip(NEXT) | instid1(VALU_DEP_2)
	v_add_f64 v[45:46], v[5:6], v[13:14]
	v_fma_f64 v[47:48], v[31:32], s[50:51], s[48:49]
	s_delay_alu instid0(VALU_DEP_2) | instskip(NEXT) | instid1(VALU_DEP_2)
	v_mul_f64 v[49:50], v[45:46], v[45:46]
	v_fma_f64 v[47:48], v[31:32], v[47:48], s[52:53]
	v_add_f64 v[5:6], v[45:46], -v[5:6]
	s_delay_alu instid0(VALU_DEP_3) | instskip(NEXT) | instid1(VALU_DEP_3)
	v_fma_f64 v[51:52], v[49:50], s[30:31], s[28:29]
	v_fma_f64 v[47:48], v[31:32], v[47:48], s[54:55]
	v_mul_f64 v[53:54], v[45:46], v[49:50]
	s_delay_alu instid0(VALU_DEP_4) | instskip(NEXT) | instid1(VALU_DEP_4)
	v_add_f64 v[5:6], v[13:14], -v[5:6]
	v_fma_f64 v[51:52], v[49:50], v[51:52], s[36:37]
	s_delay_alu instid0(VALU_DEP_4) | instskip(NEXT) | instid1(VALU_DEP_3)
	v_fma_f64 v[47:48], v[31:32], v[47:48], s[56:57]
	v_ldexp_f64 v[5:6], v[5:6], 1
	s_delay_alu instid0(VALU_DEP_3) | instskip(NEXT) | instid1(VALU_DEP_3)
	v_fma_f64 v[51:52], v[49:50], v[51:52], s[38:39]
	v_fma_f64 v[47:48], v[31:32], v[47:48], s[58:59]
	s_delay_alu instid0(VALU_DEP_2) | instskip(NEXT) | instid1(VALU_DEP_2)
	v_fma_f64 v[51:52], v[49:50], v[51:52], s[40:41]
	v_fma_f64 v[47:48], v[31:32], v[47:48], s[60:61]
	s_delay_alu instid0(VALU_DEP_2) | instskip(NEXT) | instid1(VALU_DEP_2)
	;; [unrolled: 3-line block ×3, first 2 shown]
	v_fma_f64 v[49:50], v[49:50], v[51:52], s[98:99]
	v_fma_f64 v[47:48], v[31:32], v[47:48], s[64:65]
	v_ldexp_f64 v[51:52], v[45:46], 1
	s_delay_alu instid0(VALU_DEP_3) | instskip(NEXT) | instid1(VALU_DEP_3)
	v_mul_f64 v[49:50], v[53:54], v[49:50]
	v_fma_f64 v[47:48], v[31:32], v[47:48], s[66:67]
	v_cvt_f64_i32_e32 v[53:54], v3
	v_ashrrev_i32_e32 v3, 31, v10
	v_cndmask_b32_e32 v10, 0x3fe921fb, v60, vcc_lo
	s_delay_alu instid0(VALU_DEP_1) | instskip(SKIP_3) | instid1(VALU_DEP_3)
	v_bfi_b32 v10, 0x7fffffff, v10, v12
	v_add_f64 v[45:46], v[51:52], v[49:50]
	v_fma_f64 v[47:48], v[31:32], v[47:48], s[68:69]
	v_mul_f64 v[55:56], v[53:54], s[44:45]
	v_add_f64 v[13:14], v[45:46], -v[51:52]
	s_delay_alu instid0(VALU_DEP_3) | instskip(NEXT) | instid1(VALU_DEP_3)
	v_fma_f64 v[47:48], v[31:32], v[47:48], s[70:71]
	v_fma_f64 v[51:52], v[53:54], s[44:45], -v[55:56]
	s_delay_alu instid0(VALU_DEP_3) | instskip(NEXT) | instid1(VALU_DEP_3)
	v_add_f64 v[13:14], v[49:50], -v[13:14]
	v_fma_f64 v[47:48], v[31:32], v[47:48], s[72:73]
	s_delay_alu instid0(VALU_DEP_3) | instskip(NEXT) | instid1(VALU_DEP_3)
	v_fma_f64 v[49:50], v[53:54], s[46:47], v[51:52]
	v_add_f64 v[5:6], v[5:6], v[13:14]
	s_delay_alu instid0(VALU_DEP_3) | instskip(NEXT) | instid1(VALU_DEP_3)
	v_fma_f64 v[13:14], v[31:32], v[47:48], s[74:75]
	v_add_f64 v[47:48], v[55:56], v[49:50]
	s_delay_alu instid0(VALU_DEP_3) | instskip(NEXT) | instid1(VALU_DEP_3)
	v_add_f64 v[51:52], v[45:46], v[5:6]
	v_fma_f64 v[13:14], v[31:32], v[13:14], s[76:77]
	s_delay_alu instid0(VALU_DEP_3) | instskip(NEXT) | instid1(VALU_DEP_3)
	v_add_f64 v[55:56], v[47:48], -v[55:56]
	v_add_f64 v[53:54], v[47:48], v[51:52]
	s_delay_alu instid0(VALU_DEP_3) | instskip(SKIP_1) | instid1(VALU_DEP_4)
	v_fma_f64 v[13:14], v[31:32], v[13:14], s[78:79]
	v_add_f64 v[45:46], v[51:52], -v[45:46]
	v_add_f64 v[49:50], v[49:50], -v[55:56]
	s_delay_alu instid0(VALU_DEP_4) | instskip(NEXT) | instid1(VALU_DEP_4)
	v_add_f64 v[57:58], v[53:54], -v[47:48]
	v_fma_f64 v[13:14], v[31:32], v[13:14], s[80:81]
	s_delay_alu instid0(VALU_DEP_4) | instskip(NEXT) | instid1(VALU_DEP_3)
	v_add_f64 v[5:6], v[5:6], -v[45:46]
	v_add_f64 v[61:62], v[53:54], -v[57:58]
	s_delay_alu instid0(VALU_DEP_3) | instskip(SKIP_1) | instid1(VALU_DEP_4)
	v_fma_f64 v[13:14], v[31:32], v[13:14], s[82:83]
	v_add_f64 v[45:46], v[51:52], -v[57:58]
	v_add_f64 v[51:52], v[49:50], v[5:6]
	s_delay_alu instid0(VALU_DEP_4) | instskip(NEXT) | instid1(VALU_DEP_4)
	v_add_f64 v[47:48], v[47:48], -v[61:62]
	v_fma_f64 v[13:14], v[31:32], v[13:14], s[84:85]
	s_delay_alu instid0(VALU_DEP_2) | instskip(NEXT) | instid1(VALU_DEP_2)
	v_add_f64 v[45:46], v[45:46], v[47:48]
	v_fma_f64 v[13:14], v[31:32], v[13:14], s[86:87]
	v_add_f64 v[47:48], v[51:52], -v[49:50]
	s_delay_alu instid0(VALU_DEP_3) | instskip(NEXT) | instid1(VALU_DEP_3)
	v_add_f64 v[45:46], v[51:52], v[45:46]
	v_mul_f64 v[13:14], v[31:32], v[13:14]
	s_delay_alu instid0(VALU_DEP_3) | instskip(SKIP_1) | instid1(VALU_DEP_4)
	v_add_f64 v[31:32], v[51:52], -v[47:48]
	v_add_f64 v[5:6], v[5:6], -v[47:48]
	v_add_f64 v[51:52], v[53:54], v[45:46]
	s_delay_alu instid0(VALU_DEP_4) | instskip(NEXT) | instid1(VALU_DEP_4)
	v_fma_f64 v[1:2], v[1:2], v[13:14], v[1:2]
	v_add_f64 v[13:14], v[49:50], -v[31:32]
	s_delay_alu instid0(VALU_DEP_3) | instskip(NEXT) | instid1(VALU_DEP_3)
	v_add_f64 v[31:32], v[51:52], -v[53:54]
	v_add_f64 v[47:48], -v[1:2], s[88:89]
	s_delay_alu instid0(VALU_DEP_3) | instskip(NEXT) | instid1(VALU_DEP_3)
	v_add_f64 v[5:6], v[5:6], v[13:14]
	v_add_f64 v[13:14], v[45:46], -v[31:32]
	s_delay_alu instid0(VALU_DEP_3) | instskip(NEXT) | instid1(VALU_DEP_4)
	v_cndmask_b32_e64 v2, v2, v48, s6
	v_cndmask_b32_e64 v1, v1, v47, s6
	s_delay_alu instid0(VALU_DEP_3) | instskip(NEXT) | instid1(VALU_DEP_2)
	v_add_f64 v[5:6], v[5:6], v[13:14]
	v_add_f64 v[13:14], -v[1:2], s[16:17]
	v_and_b32_e32 v9, 0x54442d18, v3
	v_and_b32_e32 v3, 0x400921fb, v3
	s_delay_alu instid0(VALU_DEP_4) | instskip(NEXT) | instid1(VALU_DEP_4)
	v_add_f64 v[5:6], v[51:52], v[5:6]
	v_cndmask_b32_e32 v2, v2, v14, vcc_lo
	s_delay_alu instid0(VALU_DEP_1)
	v_cndmask_b32_e64 v2, v2, v3, s8
	v_cndmask_b32_e32 v1, v1, v13, vcc_lo
	v_cmp_ngt_f64_e32 vcc_lo, 0, v[43:44]
	v_cndmask_b32_e64 v6, v6, v30, s7
	v_cndmask_b32_e64 v5, v5, v29, s7
	v_cmp_nge_f64_e64 s7, 0, v[43:44]
	s_delay_alu instid0(VALU_DEP_3) | instskip(NEXT) | instid1(VALU_DEP_3)
	v_cndmask_b32_e64 v6, v6, 0x7ff00000, s12
	v_cndmask_b32_e64 v3, v5, 0, s12
	s_delay_alu instid0(VALU_DEP_2) | instskip(SKIP_3) | instid1(VALU_DEP_1)
	v_cndmask_b32_e32 v5, 0x7ff80000, v6, vcc_lo
	s_and_b32 vcc_lo, s11, s10
	v_cndmask_b32_e32 v32, v2, v10, vcc_lo
	v_cndmask_b32_e64 v1, v1, v9, s8
	v_cndmask_b32_e32 v31, v1, v7, vcc_lo
	v_cndmask_b32_e64 v29, 0, v3, s7
	v_cmp_neq_f64_e64 s7, 0, v[43:44]
	s_delay_alu instid0(VALU_DEP_1)
	v_cndmask_b32_e64 v30, 0xfff00000, v5, s7
.LBB174_136:                            ;   in Loop: Header=BB174_4 Depth=1
	s_or_b32 exec_lo, exec_lo, s9
                                        ; implicit-def: $vgpr5_vgpr6
.LBB174_137:                            ;   in Loop: Header=BB174_4 Depth=1
	s_and_not1_saveexec_b32 s9, s91
	s_cbranch_execz .LBB174_143
; %bb.138:                              ;   in Loop: Header=BB174_4 Depth=1
                                        ; implicit-def: $vgpr29_vgpr30
	s_mov_b32 s7, exec_lo
	v_cmpx_ngt_f64_e32 s[92:93], v[5:6]
	s_xor_b32 s10, exec_lo, s7
	s_cbranch_execz .LBB174_140
; %bb.139:                              ;   in Loop: Header=BB174_4 Depth=1
	v_mul_f64 v[1:2], v[5:6], v[5:6]
	s_mov_b32 s99, s27
	s_mov_b32 s16, s88
	v_cmp_eq_f64_e64 s8, 0, v[11:12]
	v_cmp_class_f64_e64 s11, v[11:12], 0x204
	v_cmp_class_f64_e64 s12, v[9:10], 0x204
	v_cmp_gt_i32_e64 s7, 0, v10
	v_add_f64 v[5:6], v[1:2], 1.0
	s_delay_alu instid0(VALU_DEP_1) | instskip(SKIP_2) | instid1(VALU_DEP_3)
	v_frexp_mant_f64_e32 v[13:14], v[5:6]
	v_frexp_exp_i32_f64_e32 v3, v[5:6]
	v_add_f64 v[29:30], v[5:6], -1.0
	v_cmp_gt_f64_e32 vcc_lo, s[26:27], v[13:14]
	s_delay_alu instid0(VALU_DEP_2) | instskip(SKIP_2) | instid1(VALU_DEP_3)
	v_add_f64 v[13:14], v[29:30], -v[5:6]
	v_add_f64 v[29:30], v[1:2], -v[29:30]
	v_subrev_co_ci_u32_e32 v3, vcc_lo, 0, v3, vcc_lo
	v_add_f64 v[13:14], v[13:14], 1.0
	s_delay_alu instid0(VALU_DEP_2) | instskip(NEXT) | instid1(VALU_DEP_1)
	v_sub_nc_u32_e32 v7, 0, v3
	v_ldexp_f64 v[5:6], v[5:6], v7
	s_delay_alu instid0(VALU_DEP_3) | instskip(NEXT) | instid1(VALU_DEP_2)
	v_add_f64 v[13:14], v[29:30], v[13:14]
	v_add_f64 v[31:32], v[5:6], 1.0
	v_add_f64 v[47:48], v[5:6], -1.0
	s_delay_alu instid0(VALU_DEP_3) | instskip(SKIP_1) | instid1(VALU_DEP_4)
	v_ldexp_f64 v[13:14], v[13:14], v7
	v_cndmask_b32_e64 v7, 0x54442d18, v59, s7
	v_add_f64 v[29:30], v[31:32], -1.0
	s_delay_alu instid0(VALU_DEP_4) | instskip(NEXT) | instid1(VALU_DEP_2)
	v_add_f64 v[49:50], v[47:48], 1.0
	v_add_f64 v[29:30], v[5:6], -v[29:30]
	s_delay_alu instid0(VALU_DEP_2) | instskip(NEXT) | instid1(VALU_DEP_2)
	v_add_f64 v[5:6], v[5:6], -v[49:50]
	v_add_f64 v[29:30], v[13:14], v[29:30]
	s_delay_alu instid0(VALU_DEP_2) | instskip(NEXT) | instid1(VALU_DEP_2)
	v_add_f64 v[5:6], v[13:14], v[5:6]
	v_add_f64 v[43:44], v[31:32], v[29:30]
	s_delay_alu instid0(VALU_DEP_2) | instskip(NEXT) | instid1(VALU_DEP_2)
	v_add_f64 v[49:50], v[47:48], v[5:6]
	v_rcp_f64_e32 v[45:46], v[43:44]
	v_add_f64 v[31:32], v[31:32], -v[43:44]
	s_delay_alu instid0(VALU_DEP_2) | instskip(NEXT) | instid1(VALU_DEP_2)
	v_add_f64 v[47:48], v[47:48], -v[49:50]
	v_add_f64 v[29:30], v[29:30], v[31:32]
	s_waitcnt_depctr 0xfff
	v_fma_f64 v[51:52], -v[43:44], v[45:46], 1.0
	v_add_f64 v[5:6], v[5:6], v[47:48]
	s_delay_alu instid0(VALU_DEP_2) | instskip(NEXT) | instid1(VALU_DEP_1)
	v_fma_f64 v[45:46], v[51:52], v[45:46], v[45:46]
	v_fma_f64 v[13:14], -v[43:44], v[45:46], 1.0
	s_delay_alu instid0(VALU_DEP_1) | instskip(NEXT) | instid1(VALU_DEP_1)
	v_fma_f64 v[13:14], v[13:14], v[45:46], v[45:46]
	v_mul_f64 v[45:46], v[49:50], v[13:14]
	s_delay_alu instid0(VALU_DEP_1) | instskip(NEXT) | instid1(VALU_DEP_1)
	v_mul_f64 v[51:52], v[43:44], v[45:46]
	v_fma_f64 v[31:32], v[45:46], v[43:44], -v[51:52]
	s_delay_alu instid0(VALU_DEP_1) | instskip(NEXT) | instid1(VALU_DEP_1)
	v_fma_f64 v[31:32], v[45:46], v[29:30], v[31:32]
	v_add_f64 v[53:54], v[51:52], v[31:32]
	s_delay_alu instid0(VALU_DEP_1) | instskip(SKIP_2) | instid1(VALU_DEP_3)
	v_add_f64 v[55:56], v[49:50], -v[53:54]
	v_add_f64 v[47:48], v[53:54], -v[51:52]
	v_max_f64 v[51:52], |v[11:12]|, |v[11:12]|
	v_add_f64 v[49:50], v[49:50], -v[55:56]
	s_delay_alu instid0(VALU_DEP_3) | instskip(NEXT) | instid1(VALU_DEP_2)
	v_add_f64 v[31:32], v[47:48], -v[31:32]
	v_add_f64 v[49:50], v[49:50], -v[53:54]
	v_max_f64 v[53:54], |v[9:10]|, |v[9:10]|
	s_delay_alu instid0(VALU_DEP_2) | instskip(NEXT) | instid1(VALU_DEP_2)
	v_add_f64 v[5:6], v[5:6], v[49:50]
	v_max_f64 v[57:58], v[53:54], v[51:52]
	v_min_f64 v[51:52], v[53:54], v[51:52]
	s_delay_alu instid0(VALU_DEP_3) | instskip(NEXT) | instid1(VALU_DEP_1)
	v_add_f64 v[5:6], v[31:32], v[5:6]
	v_add_f64 v[31:32], v[55:56], v[5:6]
	s_delay_alu instid0(VALU_DEP_1) | instskip(SKIP_1) | instid1(VALU_DEP_2)
	v_mul_f64 v[47:48], v[13:14], v[31:32]
	v_add_f64 v[55:56], v[55:56], -v[31:32]
	v_mul_f64 v[49:50], v[43:44], v[47:48]
	s_delay_alu instid0(VALU_DEP_2) | instskip(NEXT) | instid1(VALU_DEP_2)
	v_add_f64 v[5:6], v[5:6], v[55:56]
	v_fma_f64 v[43:44], v[47:48], v[43:44], -v[49:50]
	s_delay_alu instid0(VALU_DEP_1) | instskip(SKIP_1) | instid1(VALU_DEP_2)
	v_fma_f64 v[29:30], v[47:48], v[29:30], v[43:44]
	v_div_scale_f64 v[43:44], null, v[57:58], v[57:58], v[51:52]
	v_add_f64 v[53:54], v[49:50], v[29:30]
	s_delay_alu instid0(VALU_DEP_2) | instskip(NEXT) | instid1(VALU_DEP_1)
	v_rcp_f64_e32 v[61:62], v[43:44]
	v_add_f64 v[63:64], v[31:32], -v[53:54]
	v_add_f64 v[49:50], v[53:54], -v[49:50]
	s_waitcnt_depctr 0xfff
	v_fma_f64 v[65:66], -v[43:44], v[61:62], 1.0
	v_add_f64 v[31:32], v[31:32], -v[63:64]
	v_add_f64 v[29:30], v[49:50], -v[29:30]
	s_delay_alu instid0(VALU_DEP_3) | instskip(NEXT) | instid1(VALU_DEP_3)
	v_fma_f64 v[61:62], v[61:62], v[65:66], v[61:62]
	v_add_f64 v[31:32], v[31:32], -v[53:54]
	s_delay_alu instid0(VALU_DEP_2) | instskip(NEXT) | instid1(VALU_DEP_2)
	v_fma_f64 v[53:54], -v[43:44], v[61:62], 1.0
	v_add_f64 v[5:6], v[5:6], v[31:32]
	v_div_scale_f64 v[31:32], vcc_lo, v[51:52], v[57:58], v[51:52]
	s_delay_alu instid0(VALU_DEP_3) | instskip(SKIP_1) | instid1(VALU_DEP_4)
	v_fma_f64 v[49:50], v[61:62], v[53:54], v[61:62]
	v_add_f64 v[53:54], v[45:46], v[47:48]
	v_add_f64 v[5:6], v[29:30], v[5:6]
	s_delay_alu instid0(VALU_DEP_3) | instskip(NEXT) | instid1(VALU_DEP_3)
	v_mul_f64 v[29:30], v[31:32], v[49:50]
	v_add_f64 v[45:46], v[53:54], -v[45:46]
	s_delay_alu instid0(VALU_DEP_3) | instskip(NEXT) | instid1(VALU_DEP_3)
	v_add_f64 v[5:6], v[63:64], v[5:6]
	v_fma_f64 v[31:32], -v[43:44], v[29:30], v[31:32]
	s_delay_alu instid0(VALU_DEP_3) | instskip(NEXT) | instid1(VALU_DEP_3)
	v_add_f64 v[43:44], v[47:48], -v[45:46]
	v_mul_f64 v[5:6], v[13:14], v[5:6]
	s_delay_alu instid0(VALU_DEP_3) | instskip(SKIP_1) | instid1(VALU_DEP_3)
	v_div_fmas_f64 v[13:14], v[31:32], v[49:50], v[29:30]
	v_cmp_eq_f64_e32 vcc_lo, 0x7ff00000, v[1:2]
	v_add_f64 v[5:6], v[43:44], v[5:6]
	s_delay_alu instid0(VALU_DEP_3) | instskip(NEXT) | instid1(VALU_DEP_2)
	v_div_fixup_f64 v[13:14], v[13:14], v[57:58], v[51:52]
	v_add_f64 v[29:30], v[53:54], v[5:6]
	s_delay_alu instid0(VALU_DEP_2) | instskip(NEXT) | instid1(VALU_DEP_2)
	v_mul_f64 v[31:32], v[13:14], v[13:14]
	v_mul_f64 v[43:44], v[29:30], v[29:30]
	s_delay_alu instid0(VALU_DEP_2) | instskip(NEXT) | instid1(VALU_DEP_2)
	v_fma_f64 v[45:46], v[31:32], s[50:51], s[48:49]
	v_fma_f64 v[47:48], v[43:44], s[30:31], s[28:29]
	v_mul_f64 v[49:50], v[29:30], v[43:44]
	s_delay_alu instid0(VALU_DEP_3) | instskip(NEXT) | instid1(VALU_DEP_3)
	v_fma_f64 v[45:46], v[31:32], v[45:46], s[52:53]
	v_fma_f64 v[47:48], v[43:44], v[47:48], s[36:37]
	s_delay_alu instid0(VALU_DEP_2) | instskip(NEXT) | instid1(VALU_DEP_2)
	v_fma_f64 v[45:46], v[31:32], v[45:46], s[54:55]
	v_fma_f64 v[47:48], v[43:44], v[47:48], s[38:39]
	s_delay_alu instid0(VALU_DEP_2) | instskip(NEXT) | instid1(VALU_DEP_2)
	;; [unrolled: 3-line block ×4, first 2 shown]
	v_fma_f64 v[45:46], v[31:32], v[45:46], s[60:61]
	v_fma_f64 v[43:44], v[43:44], v[47:48], s[98:99]
	v_ldexp_f64 v[47:48], v[29:30], 1
	v_add_f64 v[29:30], v[29:30], -v[53:54]
	s_delay_alu instid0(VALU_DEP_4) | instskip(NEXT) | instid1(VALU_DEP_4)
	v_fma_f64 v[45:46], v[31:32], v[45:46], s[62:63]
	v_mul_f64 v[43:44], v[49:50], v[43:44]
	v_cvt_f64_i32_e32 v[49:50], v3
	s_delay_alu instid0(VALU_DEP_4) | instskip(NEXT) | instid1(VALU_DEP_4)
	v_add_f64 v[5:6], v[5:6], -v[29:30]
	v_fma_f64 v[45:46], v[31:32], v[45:46], s[64:65]
	v_ashrrev_i32_e32 v3, 31, v10
	v_add_f64 v[51:52], v[47:48], v[43:44]
	v_mul_f64 v[53:54], v[49:50], s[44:45]
	v_ldexp_f64 v[5:6], v[5:6], 1
	v_fma_f64 v[45:46], v[31:32], v[45:46], s[66:67]
	s_delay_alu instid0(VALU_DEP_4) | instskip(NEXT) | instid1(VALU_DEP_4)
	v_add_f64 v[29:30], v[51:52], -v[47:48]
	v_fma_f64 v[47:48], v[49:50], s[44:45], -v[53:54]
	s_delay_alu instid0(VALU_DEP_3) | instskip(NEXT) | instid1(VALU_DEP_3)
	v_fma_f64 v[45:46], v[31:32], v[45:46], s[68:69]
	v_add_f64 v[29:30], v[43:44], -v[29:30]
	s_delay_alu instid0(VALU_DEP_2) | instskip(NEXT) | instid1(VALU_DEP_4)
	v_fma_f64 v[43:44], v[31:32], v[45:46], s[70:71]
	v_fma_f64 v[45:46], v[49:50], s[46:47], v[47:48]
	s_delay_alu instid0(VALU_DEP_3) | instskip(NEXT) | instid1(VALU_DEP_3)
	v_add_f64 v[5:6], v[5:6], v[29:30]
	v_fma_f64 v[29:30], v[31:32], v[43:44], s[72:73]
	s_delay_alu instid0(VALU_DEP_3) | instskip(NEXT) | instid1(VALU_DEP_3)
	v_add_f64 v[43:44], v[53:54], v[45:46]
	v_add_f64 v[47:48], v[51:52], v[5:6]
	s_delay_alu instid0(VALU_DEP_3) | instskip(NEXT) | instid1(VALU_DEP_3)
	v_fma_f64 v[29:30], v[31:32], v[29:30], s[74:75]
	v_add_f64 v[53:54], v[43:44], -v[53:54]
	s_delay_alu instid0(VALU_DEP_3) | instskip(SKIP_1) | instid1(VALU_DEP_4)
	v_add_f64 v[49:50], v[43:44], v[47:48]
	v_add_f64 v[51:52], v[47:48], -v[51:52]
	v_fma_f64 v[29:30], v[31:32], v[29:30], s[76:77]
	s_delay_alu instid0(VALU_DEP_4) | instskip(NEXT) | instid1(VALU_DEP_4)
	v_add_f64 v[45:46], v[45:46], -v[53:54]
	v_add_f64 v[55:56], v[49:50], -v[43:44]
	s_delay_alu instid0(VALU_DEP_4) | instskip(NEXT) | instid1(VALU_DEP_4)
	v_add_f64 v[5:6], v[5:6], -v[51:52]
	v_fma_f64 v[29:30], v[31:32], v[29:30], s[78:79]
	s_delay_alu instid0(VALU_DEP_3) | instskip(SKIP_1) | instid1(VALU_DEP_4)
	v_add_f64 v[57:58], v[49:50], -v[55:56]
	v_add_f64 v[47:48], v[47:48], -v[55:56]
	v_add_f64 v[51:52], v[45:46], v[5:6]
	s_delay_alu instid0(VALU_DEP_4) | instskip(NEXT) | instid1(VALU_DEP_4)
	v_fma_f64 v[29:30], v[31:32], v[29:30], s[80:81]
	v_add_f64 v[43:44], v[43:44], -v[57:58]
	s_delay_alu instid0(VALU_DEP_2) | instskip(NEXT) | instid1(VALU_DEP_2)
	v_fma_f64 v[29:30], v[31:32], v[29:30], s[82:83]
	v_add_f64 v[43:44], v[47:48], v[43:44]
	v_add_f64 v[47:48], v[51:52], -v[45:46]
	s_delay_alu instid0(VALU_DEP_3) | instskip(NEXT) | instid1(VALU_DEP_3)
	v_fma_f64 v[29:30], v[31:32], v[29:30], s[84:85]
	v_add_f64 v[43:44], v[51:52], v[43:44]
	s_delay_alu instid0(VALU_DEP_3) | instskip(SKIP_1) | instid1(VALU_DEP_4)
	v_add_f64 v[51:52], v[51:52], -v[47:48]
	v_add_f64 v[5:6], v[5:6], -v[47:48]
	v_fma_f64 v[29:30], v[31:32], v[29:30], s[86:87]
	s_delay_alu instid0(VALU_DEP_4) | instskip(NEXT) | instid1(VALU_DEP_2)
	v_add_f64 v[53:54], v[49:50], v[43:44]
	v_mul_f64 v[29:30], v[31:32], v[29:30]
	v_add_f64 v[31:32], v[45:46], -v[51:52]
	s_delay_alu instid0(VALU_DEP_3) | instskip(NEXT) | instid1(VALU_DEP_3)
	v_add_f64 v[45:46], v[53:54], -v[49:50]
	v_fma_f64 v[13:14], v[13:14], v[29:30], v[13:14]
	s_delay_alu instid0(VALU_DEP_3) | instskip(NEXT) | instid1(VALU_DEP_3)
	v_add_f64 v[5:6], v[5:6], v[31:32]
	v_add_f64 v[29:30], v[43:44], -v[45:46]
	s_delay_alu instid0(VALU_DEP_3) | instskip(NEXT) | instid1(VALU_DEP_2)
	v_add_f64 v[31:32], -v[13:14], s[88:89]
	v_add_f64 v[5:6], v[5:6], v[29:30]
	s_delay_alu instid0(VALU_DEP_2) | instskip(NEXT) | instid1(VALU_DEP_3)
	v_cndmask_b32_e64 v14, v14, v32, s6
	v_cndmask_b32_e64 v13, v13, v31, s6
	s_delay_alu instid0(VALU_DEP_1) | instskip(NEXT) | instid1(VALU_DEP_4)
	v_add_f64 v[30:31], -v[13:14], s[16:17]
	v_add_f64 v[5:6], v[53:54], v[5:6]
	v_and_b32_e32 v15, 0x54442d18, v3
	s_delay_alu instid0(VALU_DEP_3) | instskip(NEXT) | instid1(VALU_DEP_3)
	v_cndmask_b32_e64 v13, v13, v30, s7
	v_dual_cndmask_b32 v2, v6, v2 :: v_dual_cndmask_b32 v1, v5, v1
	s_delay_alu instid0(VALU_DEP_2) | instskip(SKIP_1) | instid1(VALU_DEP_2)
	v_cndmask_b32_e64 v5, v13, v15, s8
	s_and_b32 vcc_lo, s11, s12
	v_mul_f64 v[29:30], v[1:2], 0.5
	v_and_b32_e32 v2, 0x400921fb, v3
	v_cndmask_b32_e64 v1, 0x3fe921fb, v60, s7
	v_cndmask_b32_e64 v3, v14, v31, s7
	v_cndmask_b32_e32 v31, v5, v7, vcc_lo
                                        ; implicit-def: $vgpr5_vgpr6
	s_delay_alu instid0(VALU_DEP_3) | instskip(NEXT) | instid1(VALU_DEP_3)
	v_bfi_b32 v1, 0x7fffffff, v1, v12
	v_cndmask_b32_e64 v2, v3, v2, s8
	s_delay_alu instid0(VALU_DEP_1)
	v_cndmask_b32_e32 v32, v2, v1, vcc_lo
.LBB174_140:                            ;   in Loop: Header=BB174_4 Depth=1
	s_and_not1_saveexec_b32 s8, s10
	s_cbranch_execz .LBB174_142
; %bb.141:                              ;   in Loop: Header=BB174_4 Depth=1
	v_max_f64 v[1:2], |v[11:12]|, |v[11:12]|
	v_max_f64 v[13:14], |v[9:10]|, |v[9:10]|
	s_mov_b32 s16, s88
	v_cmp_class_f64_e64 s10, v[11:12], 0x204
	v_cmp_class_f64_e64 s11, v[9:10], 0x204
	v_cmp_eq_f64_e64 s7, 0, v[11:12]
	v_ashrrev_i32_e32 v3, 31, v10
	v_max_f64 v[29:30], v[13:14], v[1:2]
	v_min_f64 v[1:2], v[13:14], v[1:2]
	s_delay_alu instid0(VALU_DEP_1) | instskip(SKIP_1) | instid1(VALU_DEP_2)
	v_div_scale_f64 v[13:14], null, v[29:30], v[29:30], v[1:2]
	v_div_scale_f64 v[45:46], vcc_lo, v[1:2], v[29:30], v[1:2]
	v_rcp_f64_e32 v[31:32], v[13:14]
	s_waitcnt_depctr 0xfff
	v_fma_f64 v[43:44], -v[13:14], v[31:32], 1.0
	s_delay_alu instid0(VALU_DEP_1) | instskip(NEXT) | instid1(VALU_DEP_1)
	v_fma_f64 v[31:32], v[31:32], v[43:44], v[31:32]
	v_fma_f64 v[43:44], -v[13:14], v[31:32], 1.0
	s_delay_alu instid0(VALU_DEP_1) | instskip(NEXT) | instid1(VALU_DEP_1)
	v_fma_f64 v[31:32], v[31:32], v[43:44], v[31:32]
	v_mul_f64 v[43:44], v[45:46], v[31:32]
	s_delay_alu instid0(VALU_DEP_1) | instskip(NEXT) | instid1(VALU_DEP_1)
	v_fma_f64 v[13:14], -v[13:14], v[43:44], v[45:46]
	v_div_fmas_f64 v[13:14], v[13:14], v[31:32], v[43:44]
	v_cmp_gt_i32_e32 vcc_lo, 0, v10
	v_cndmask_b32_e32 v7, 0x54442d18, v59, vcc_lo
	s_delay_alu instid0(VALU_DEP_3) | instskip(NEXT) | instid1(VALU_DEP_1)
	v_div_fixup_f64 v[1:2], v[13:14], v[29:30], v[1:2]
	v_mul_f64 v[13:14], v[1:2], v[1:2]
	s_delay_alu instid0(VALU_DEP_1) | instskip(NEXT) | instid1(VALU_DEP_1)
	v_fma_f64 v[29:30], v[13:14], s[50:51], s[48:49]
	v_fma_f64 v[29:30], v[13:14], v[29:30], s[52:53]
	s_delay_alu instid0(VALU_DEP_1) | instskip(NEXT) | instid1(VALU_DEP_1)
	v_fma_f64 v[29:30], v[13:14], v[29:30], s[54:55]
	v_fma_f64 v[29:30], v[13:14], v[29:30], s[56:57]
	;; [unrolled: 3-line block ×9, first 2 shown]
	s_delay_alu instid0(VALU_DEP_1) | instskip(NEXT) | instid1(VALU_DEP_1)
	v_fma_f64 v[29:30], v[13:14], v[29:30], s[86:87]
	v_mul_f64 v[13:14], v[13:14], v[29:30]
	v_mul_f64 v[29:30], v[5:6], 0.5
	s_delay_alu instid0(VALU_DEP_2) | instskip(NEXT) | instid1(VALU_DEP_2)
	v_fma_f64 v[1:2], v[1:2], v[13:14], v[1:2]
	v_mul_f64 v[29:30], v[5:6], v[29:30]
	v_cndmask_b32_e32 v5, 0x3fe921fb, v60, vcc_lo
	s_delay_alu instid0(VALU_DEP_1) | instskip(NEXT) | instid1(VALU_DEP_4)
	v_bfi_b32 v5, 0x7fffffff, v5, v12
	v_add_f64 v[13:14], -v[1:2], s[88:89]
	s_delay_alu instid0(VALU_DEP_1) | instskip(NEXT) | instid1(VALU_DEP_2)
	v_cndmask_b32_e64 v2, v2, v14, s6
	v_cndmask_b32_e64 v1, v1, v13, s6
	s_delay_alu instid0(VALU_DEP_1) | instskip(NEXT) | instid1(VALU_DEP_1)
	v_add_f64 v[13:14], -v[1:2], s[16:17]
	v_dual_cndmask_b32 v2, v2, v14 :: v_dual_and_b32 v15, 0x54442d18, v3
	s_delay_alu instid0(VALU_DEP_2) | instskip(SKIP_2) | instid1(VALU_DEP_2)
	v_cndmask_b32_e32 v1, v1, v13, vcc_lo
	s_and_b32 vcc_lo, s10, s11
	v_and_b32_e32 v3, 0x400921fb, v3
	v_cndmask_b32_e64 v1, v1, v15, s7
	s_delay_alu instid0(VALU_DEP_2) | instskip(NEXT) | instid1(VALU_DEP_1)
	v_cndmask_b32_e64 v2, v2, v3, s7
	v_dual_cndmask_b32 v31, v1, v7 :: v_dual_cndmask_b32 v32, v2, v5
.LBB174_142:                            ;   in Loop: Header=BB174_4 Depth=1
	s_or_b32 exec_lo, exec_lo, s8
.LBB174_143:                            ;   in Loop: Header=BB174_4 Depth=1
	s_delay_alu instid0(SALU_CYCLE_1)
	s_or_b32 exec_lo, exec_lo, s9
.LBB174_144:                            ;   in Loop: Header=BB174_4 Depth=1
	s_and_not1_saveexec_b32 s9, s90
	s_cbranch_execz .LBB174_146
; %bb.145:                              ;   in Loop: Header=BB174_4 Depth=1
	v_div_scale_f64 v[1:2], null, s[94:95], s[94:95], v[9:10]
	v_div_scale_f64 v[5:6], null, s[94:95], s[94:95], v[11:12]
	v_div_scale_f64 v[45:46], vcc_lo, v[9:10], s[94:95], v[9:10]
	v_max_f64 v[49:50], |v[9:10]|, |v[9:10]|
	s_mov_b32 s99, s27
	s_mov_b32 s16, s88
	s_delay_alu instid0(VALU_DEP_4) | instskip(NEXT) | instid1(VALU_DEP_3)
	v_rcp_f64_e32 v[13:14], v[1:2]
	v_rcp_f64_e32 v[29:30], v[5:6]
	s_waitcnt_depctr 0xfff
	v_fma_f64 v[31:32], -v[1:2], v[13:14], 1.0
	v_fma_f64 v[43:44], -v[5:6], v[29:30], 1.0
	s_delay_alu instid0(VALU_DEP_2) | instskip(NEXT) | instid1(VALU_DEP_2)
	v_fma_f64 v[13:14], v[13:14], v[31:32], v[13:14]
	v_fma_f64 v[29:30], v[29:30], v[43:44], v[29:30]
	s_delay_alu instid0(VALU_DEP_2) | instskip(NEXT) | instid1(VALU_DEP_2)
	v_fma_f64 v[31:32], -v[1:2], v[13:14], 1.0
	v_fma_f64 v[43:44], -v[5:6], v[29:30], 1.0
	s_delay_alu instid0(VALU_DEP_2) | instskip(SKIP_1) | instid1(VALU_DEP_3)
	v_fma_f64 v[13:14], v[13:14], v[31:32], v[13:14]
	v_div_scale_f64 v[31:32], s7, v[11:12], s[94:95], v[11:12]
	v_fma_f64 v[29:30], v[29:30], v[43:44], v[29:30]
	s_delay_alu instid0(VALU_DEP_3) | instskip(NEXT) | instid1(VALU_DEP_2)
	v_mul_f64 v[43:44], v[45:46], v[13:14]
	v_mul_f64 v[47:48], v[31:32], v[29:30]
	s_delay_alu instid0(VALU_DEP_2) | instskip(NEXT) | instid1(VALU_DEP_2)
	v_fma_f64 v[1:2], -v[1:2], v[43:44], v[45:46]
	v_fma_f64 v[5:6], -v[5:6], v[47:48], v[31:32]
	s_delay_alu instid0(VALU_DEP_2) | instskip(SKIP_1) | instid1(VALU_DEP_2)
	v_div_fmas_f64 v[1:2], v[1:2], v[13:14], v[43:44]
	s_mov_b32 vcc_lo, s7
	v_div_fmas_f64 v[5:6], v[5:6], v[29:30], v[47:48]
	s_delay_alu instid0(VALU_DEP_2) | instskip(NEXT) | instid1(VALU_DEP_2)
	v_div_fixup_f64 v[1:2], v[1:2], s[94:95], v[9:10]
	v_div_fixup_f64 v[5:6], v[5:6], s[94:95], v[11:12]
	s_delay_alu instid0(VALU_DEP_2) | instskip(NEXT) | instid1(VALU_DEP_2)
	v_cmp_class_f64_e64 s8, v[1:2], 0x204
	v_max_f64 v[13:14], |v[1:2]|, |v[5:6]|
	v_cmp_o_f64_e64 s7, v[1:2], v[5:6]
	v_cmp_class_f64_e64 s10, v[5:6], 0x204
	s_delay_alu instid0(VALU_DEP_3) | instskip(NEXT) | instid1(VALU_DEP_2)
	v_frexp_exp_i32_f64_e32 v3, v[13:14]
	s_or_b32 s10, s10, s8
	s_delay_alu instid0(VALU_DEP_1) | instskip(NEXT) | instid1(VALU_DEP_1)
	v_sub_nc_u32_e32 v7, 0, v3
	v_ldexp_f64 v[13:14], |v[5:6]|, v7
	v_ldexp_f64 v[29:30], |v[1:2]|, v7
	s_delay_alu instid0(VALU_DEP_2) | instskip(NEXT) | instid1(VALU_DEP_1)
	v_mul_f64 v[13:14], v[13:14], v[13:14]
	v_fma_f64 v[13:14], v[29:30], v[29:30], v[13:14]
	s_delay_alu instid0(VALU_DEP_1) | instskip(SKIP_4) | instid1(VALU_DEP_1)
	v_rsq_f64_e32 v[29:30], v[13:14]
	v_cmp_eq_f64_e32 vcc_lo, 0, v[13:14]
	s_waitcnt_depctr 0xfff
	v_mul_f64 v[31:32], v[13:14], v[29:30]
	v_mul_f64 v[29:30], v[29:30], 0.5
	v_fma_f64 v[43:44], -v[29:30], v[31:32], 0.5
	s_delay_alu instid0(VALU_DEP_1) | instskip(SKIP_1) | instid1(VALU_DEP_2)
	v_fma_f64 v[31:32], v[31:32], v[43:44], v[31:32]
	v_fma_f64 v[29:30], v[29:30], v[43:44], v[29:30]
	v_fma_f64 v[43:44], -v[31:32], v[31:32], v[13:14]
	s_delay_alu instid0(VALU_DEP_1) | instskip(NEXT) | instid1(VALU_DEP_1)
	v_fma_f64 v[29:30], v[43:44], v[29:30], v[31:32]
	v_dual_cndmask_b32 v14, v30, v14 :: v_dual_cndmask_b32 v13, v29, v13
	s_delay_alu instid0(VALU_DEP_1) | instskip(NEXT) | instid1(VALU_DEP_1)
	v_ldexp_f64 v[13:14], v[13:14], v3
	v_cndmask_b32_e64 v3, 0, v13, s7
	s_delay_alu instid0(VALU_DEP_2) | instskip(NEXT) | instid1(VALU_DEP_2)
	v_cndmask_b32_e64 v7, 0x7ff80000, v14, s7
	v_cndmask_b32_e64 v1, v3, 0, s10
	s_delay_alu instid0(VALU_DEP_2) | instskip(NEXT) | instid1(VALU_DEP_1)
	v_cndmask_b32_e64 v2, v7, 0x7ff00000, s10
	v_frexp_mant_f64_e32 v[5:6], v[1:2]
	v_frexp_exp_i32_f64_e32 v15, v[1:2]
	s_delay_alu instid0(VALU_DEP_2) | instskip(NEXT) | instid1(VALU_DEP_1)
	v_cmp_gt_f64_e64 s8, s[26:27], v[5:6]
	v_cndmask_b32_e64 v34, 0x3ff00000, 2.0, s8
	s_delay_alu instid0(VALU_DEP_1) | instskip(NEXT) | instid1(VALU_DEP_1)
	v_mul_f64 v[5:6], v[5:6], v[33:34]
	v_add_f64 v[29:30], v[5:6], 1.0
	v_add_f64 v[45:46], v[5:6], -1.0
	s_delay_alu instid0(VALU_DEP_2) | instskip(SKIP_1) | instid1(VALU_DEP_1)
	v_rcp_f64_e32 v[31:32], v[29:30]
	v_add_f64 v[51:52], v[29:30], -1.0
	v_add_f64 v[5:6], v[5:6], -v[51:52]
	s_waitcnt_depctr 0xfff
	v_fma_f64 v[43:44], -v[29:30], v[31:32], 1.0
	s_delay_alu instid0(VALU_DEP_1) | instskip(NEXT) | instid1(VALU_DEP_1)
	v_fma_f64 v[31:32], v[43:44], v[31:32], v[31:32]
	v_fma_f64 v[43:44], -v[29:30], v[31:32], 1.0
	s_delay_alu instid0(VALU_DEP_1) | instskip(SKIP_1) | instid1(VALU_DEP_2)
	v_fma_f64 v[31:32], v[43:44], v[31:32], v[31:32]
	v_max_f64 v[43:44], |v[11:12]|, |v[11:12]|
	v_mul_f64 v[47:48], v[45:46], v[31:32]
	s_delay_alu instid0(VALU_DEP_2) | instskip(SKIP_1) | instid1(VALU_DEP_3)
	v_max_f64 v[55:56], v[49:50], v[43:44]
	v_min_f64 v[43:44], v[49:50], v[43:44]
	v_mul_f64 v[53:54], v[29:30], v[47:48]
	s_delay_alu instid0(VALU_DEP_2) | instskip(NEXT) | instid1(VALU_DEP_2)
	v_div_scale_f64 v[49:50], null, v[55:56], v[55:56], v[43:44]
	v_fma_f64 v[29:30], v[47:48], v[29:30], -v[53:54]
	s_delay_alu instid0(VALU_DEP_1) | instskip(NEXT) | instid1(VALU_DEP_3)
	v_fma_f64 v[5:6], v[47:48], v[5:6], v[29:30]
	v_rcp_f64_e32 v[29:30], v[49:50]
	s_delay_alu instid0(VALU_DEP_1) | instskip(SKIP_4) | instid1(VALU_DEP_3)
	v_add_f64 v[51:52], v[53:54], v[5:6]
	s_waitcnt_depctr 0xfff
	v_fma_f64 v[57:58], -v[49:50], v[29:30], 1.0
	v_add_f64 v[61:62], v[45:46], -v[51:52]
	v_add_f64 v[53:54], v[51:52], -v[53:54]
	v_fma_f64 v[29:30], v[29:30], v[57:58], v[29:30]
	s_delay_alu instid0(VALU_DEP_3) | instskip(NEXT) | instid1(VALU_DEP_3)
	v_add_f64 v[45:46], v[45:46], -v[61:62]
	v_add_f64 v[5:6], v[53:54], -v[5:6]
	s_delay_alu instid0(VALU_DEP_3) | instskip(NEXT) | instid1(VALU_DEP_3)
	v_fma_f64 v[57:58], -v[49:50], v[29:30], 1.0
	v_add_f64 v[45:46], v[45:46], -v[51:52]
	v_div_scale_f64 v[51:52], vcc_lo, v[43:44], v[55:56], v[43:44]
	s_delay_alu instid0(VALU_DEP_3) | instskip(NEXT) | instid1(VALU_DEP_3)
	v_fma_f64 v[29:30], v[29:30], v[57:58], v[29:30]
	v_add_f64 v[5:6], v[5:6], v[45:46]
	s_delay_alu instid0(VALU_DEP_2) | instskip(NEXT) | instid1(VALU_DEP_2)
	v_mul_f64 v[45:46], v[51:52], v[29:30]
	v_add_f64 v[5:6], v[61:62], v[5:6]
	s_delay_alu instid0(VALU_DEP_2) | instskip(NEXT) | instid1(VALU_DEP_2)
	v_fma_f64 v[49:50], -v[49:50], v[45:46], v[51:52]
	v_mul_f64 v[5:6], v[31:32], v[5:6]
	s_delay_alu instid0(VALU_DEP_2) | instskip(SKIP_2) | instid1(VALU_DEP_4)
	v_div_fmas_f64 v[29:30], v[49:50], v[29:30], v[45:46]
	v_subrev_co_ci_u32_e64 v15, vcc_lo, 0, v15, s8
	v_cmp_class_f64_e64 s8, v[9:10], 0x204
	v_add_f64 v[31:32], v[47:48], v[5:6]
	s_delay_alu instid0(VALU_DEP_4) | instskip(NEXT) | instid1(VALU_DEP_2)
	v_div_fixup_f64 v[29:30], v[29:30], v[55:56], v[43:44]
	v_mul_f64 v[43:44], v[31:32], v[31:32]
	s_delay_alu instid0(VALU_DEP_2) | instskip(NEXT) | instid1(VALU_DEP_2)
	v_mul_f64 v[45:46], v[29:30], v[29:30]
	v_fma_f64 v[49:50], v[43:44], s[30:31], s[28:29]
	v_mul_f64 v[53:54], v[31:32], v[43:44]
	s_delay_alu instid0(VALU_DEP_3) | instskip(NEXT) | instid1(VALU_DEP_3)
	v_fma_f64 v[51:52], v[45:46], s[50:51], s[48:49]
	v_fma_f64 v[49:50], v[43:44], v[49:50], s[36:37]
	s_delay_alu instid0(VALU_DEP_2) | instskip(NEXT) | instid1(VALU_DEP_2)
	v_fma_f64 v[51:52], v[45:46], v[51:52], s[52:53]
	v_fma_f64 v[49:50], v[43:44], v[49:50], s[38:39]
	s_delay_alu instid0(VALU_DEP_2) | instskip(NEXT) | instid1(VALU_DEP_2)
	;; [unrolled: 3-line block ×4, first 2 shown]
	v_fma_f64 v[51:52], v[45:46], v[51:52], s[58:59]
	v_fma_f64 v[43:44], v[43:44], v[49:50], s[98:99]
	s_delay_alu instid0(VALU_DEP_2) | instskip(SKIP_2) | instid1(VALU_DEP_4)
	v_fma_f64 v[49:50], v[45:46], v[51:52], s[60:61]
	v_ldexp_f64 v[51:52], v[31:32], 1
	v_add_f64 v[31:32], v[31:32], -v[47:48]
	v_mul_f64 v[43:44], v[53:54], v[43:44]
	v_cvt_f64_i32_e32 v[53:54], v15
	v_ashrrev_i32_e32 v15, 31, v10
	v_fma_f64 v[49:50], v[45:46], v[49:50], s[62:63]
	v_add_f64 v[5:6], v[5:6], -v[31:32]
	v_add_f64 v[47:48], v[51:52], v[43:44]
	v_mul_f64 v[55:56], v[53:54], s[44:45]
	s_delay_alu instid0(VALU_DEP_4) | instskip(NEXT) | instid1(VALU_DEP_4)
	v_fma_f64 v[49:50], v[45:46], v[49:50], s[64:65]
	v_ldexp_f64 v[5:6], v[5:6], 1
	s_delay_alu instid0(VALU_DEP_4) | instskip(NEXT) | instid1(VALU_DEP_4)
	v_add_f64 v[31:32], v[47:48], -v[51:52]
	v_fma_f64 v[51:52], v[53:54], s[44:45], -v[55:56]
	s_delay_alu instid0(VALU_DEP_4) | instskip(NEXT) | instid1(VALU_DEP_3)
	v_fma_f64 v[49:50], v[45:46], v[49:50], s[66:67]
	v_add_f64 v[31:32], v[43:44], -v[31:32]
	s_delay_alu instid0(VALU_DEP_2) | instskip(NEXT) | instid1(VALU_DEP_4)
	v_fma_f64 v[43:44], v[45:46], v[49:50], s[68:69]
	v_fma_f64 v[49:50], v[53:54], s[46:47], v[51:52]
	s_delay_alu instid0(VALU_DEP_3) | instskip(NEXT) | instid1(VALU_DEP_3)
	v_add_f64 v[5:6], v[5:6], v[31:32]
	v_fma_f64 v[31:32], v[45:46], v[43:44], s[70:71]
	s_delay_alu instid0(VALU_DEP_3) | instskip(NEXT) | instid1(VALU_DEP_3)
	v_add_f64 v[43:44], v[55:56], v[49:50]
	v_add_f64 v[51:52], v[47:48], v[5:6]
	s_delay_alu instid0(VALU_DEP_3) | instskip(NEXT) | instid1(VALU_DEP_3)
	v_fma_f64 v[31:32], v[45:46], v[31:32], s[72:73]
	v_add_f64 v[55:56], v[43:44], -v[55:56]
	s_delay_alu instid0(VALU_DEP_3) | instskip(SKIP_1) | instid1(VALU_DEP_4)
	v_add_f64 v[53:54], v[43:44], v[51:52]
	v_add_f64 v[47:48], v[51:52], -v[47:48]
	v_fma_f64 v[31:32], v[45:46], v[31:32], s[74:75]
	s_delay_alu instid0(VALU_DEP_4) | instskip(NEXT) | instid1(VALU_DEP_4)
	v_add_f64 v[49:50], v[49:50], -v[55:56]
	v_add_f64 v[57:58], v[53:54], -v[43:44]
	s_delay_alu instid0(VALU_DEP_4) | instskip(NEXT) | instid1(VALU_DEP_4)
	v_add_f64 v[5:6], v[5:6], -v[47:48]
	v_fma_f64 v[31:32], v[45:46], v[31:32], s[76:77]
	s_delay_alu instid0(VALU_DEP_3) | instskip(SKIP_1) | instid1(VALU_DEP_4)
	v_add_f64 v[61:62], v[53:54], -v[57:58]
	v_add_f64 v[47:48], v[51:52], -v[57:58]
	v_add_f64 v[51:52], v[49:50], v[5:6]
	s_delay_alu instid0(VALU_DEP_4) | instskip(NEXT) | instid1(VALU_DEP_4)
	v_fma_f64 v[31:32], v[45:46], v[31:32], s[78:79]
	v_add_f64 v[43:44], v[43:44], -v[61:62]
	s_delay_alu instid0(VALU_DEP_2) | instskip(NEXT) | instid1(VALU_DEP_2)
	v_fma_f64 v[31:32], v[45:46], v[31:32], s[80:81]
	v_add_f64 v[43:44], v[47:48], v[43:44]
	v_add_f64 v[47:48], v[51:52], -v[49:50]
	s_delay_alu instid0(VALU_DEP_3) | instskip(NEXT) | instid1(VALU_DEP_3)
	v_fma_f64 v[31:32], v[45:46], v[31:32], s[82:83]
	v_add_f64 v[43:44], v[51:52], v[43:44]
	s_delay_alu instid0(VALU_DEP_3) | instskip(SKIP_1) | instid1(VALU_DEP_4)
	v_add_f64 v[51:52], v[51:52], -v[47:48]
	v_add_f64 v[5:6], v[5:6], -v[47:48]
	v_fma_f64 v[31:32], v[45:46], v[31:32], s[84:85]
	s_delay_alu instid0(VALU_DEP_4) | instskip(NEXT) | instid1(VALU_DEP_4)
	v_add_f64 v[55:56], v[53:54], v[43:44]
	v_add_f64 v[47:48], v[49:50], -v[51:52]
	s_delay_alu instid0(VALU_DEP_3) | instskip(NEXT) | instid1(VALU_DEP_3)
	v_fma_f64 v[31:32], v[45:46], v[31:32], s[86:87]
	v_add_f64 v[49:50], v[55:56], -v[53:54]
	s_delay_alu instid0(VALU_DEP_3) | instskip(NEXT) | instid1(VALU_DEP_3)
	v_add_f64 v[5:6], v[5:6], v[47:48]
	v_mul_f64 v[31:32], v[45:46], v[31:32]
	s_delay_alu instid0(VALU_DEP_3) | instskip(NEXT) | instid1(VALU_DEP_2)
	v_add_f64 v[43:44], v[43:44], -v[49:50]
	v_fma_f64 v[29:30], v[29:30], v[31:32], v[29:30]
	s_delay_alu instid0(VALU_DEP_2) | instskip(NEXT) | instid1(VALU_DEP_2)
	v_add_f64 v[5:6], v[5:6], v[43:44]
	v_add_f64 v[31:32], -v[29:30], s[88:89]
	s_delay_alu instid0(VALU_DEP_2) | instskip(SKIP_1) | instid1(VALU_DEP_1)
	v_add_f64 v[5:6], v[55:56], v[5:6]
	v_and_b32_e32 v14, 0x7fffffff, v14
	v_cmp_eq_f64_e32 vcc_lo, 0x7ff00000, v[13:14]
	s_delay_alu instid0(VALU_DEP_4) | instskip(SKIP_2) | instid1(VALU_DEP_2)
	v_cndmask_b32_e64 v14, v30, v32, s6
	v_cndmask_b32_e64 v13, v29, v31, s6
	v_cmp_eq_f64_e64 s6, 0, v[11:12]
	v_add_f64 v[29:30], -v[13:14], s[16:17]
	s_and_b32 vcc_lo, s7, vcc_lo
	v_cmp_class_f64_e64 s7, v[11:12], 0x204
	v_cndmask_b32_e32 v5, v5, v3, vcc_lo
	v_cndmask_b32_e32 v6, v6, v7, vcc_lo
	v_cmp_gt_i32_e32 vcc_lo, 0, v10
	v_and_b32_e32 v7, 0x54442d18, v15
	v_and_b32_e32 v10, 0x400921fb, v15
	v_dual_cndmask_b32 v14, v14, v30 :: v_dual_cndmask_b32 v13, v13, v29
	v_add_f64 v[5:6], v[5:6], 1.0
	v_cndmask_b32_e32 v3, 0x54442d18, v59, vcc_lo
	v_cndmask_b32_e32 v9, 0x3fe921fb, v60, vcc_lo
	s_delay_alu instid0(VALU_DEP_4)
	v_cndmask_b32_e64 v10, v14, v10, s6
	v_cndmask_b32_e64 v7, v13, v7, s6
	v_cmp_nge_f64_e64 s6, 0, v[1:2]
	v_cmp_ngt_f64_e32 vcc_lo, 0, v[1:2]
	v_bfi_b32 v9, 0x7fffffff, v9, v12
	v_cndmask_b32_e64 v5, v5, 0, s10
	v_cndmask_b32_e64 v6, v6, 0x7ff00000, s10
	s_delay_alu instid0(VALU_DEP_2) | instskip(SKIP_1) | instid1(VALU_DEP_3)
	v_cndmask_b32_e64 v29, 0, v5, s6
	v_cmp_neq_f64_e64 s6, 0, v[1:2]
	v_cndmask_b32_e32 v6, 0x7ff80000, v6, vcc_lo
	s_and_b32 vcc_lo, s7, s8
	v_dual_cndmask_b32 v32, v10, v9 :: v_dual_cndmask_b32 v31, v7, v3
	s_delay_alu instid0(VALU_DEP_2)
	v_cndmask_b32_e64 v30, 0xfff00000, v6, s6
.LBB174_146:                            ;   in Loop: Header=BB174_4 Depth=1
	s_or_b32 exec_lo, exec_lo, s9
	s_and_not1_saveexec_b32 s6, vcc_hi
	s_cbranch_execz .LBB174_116
.LBB174_147:                            ;   in Loop: Header=BB174_4 Depth=1
	v_cmp_ngt_f64_e64 s7, 0x20000000, |v[9:10]|
	v_cmp_ngt_f64_e64 s8, 0x20000000, |v[11:12]|
                                        ; implicit-def: $vgpr1_vgpr2
	s_delay_alu instid0(VALU_DEP_1) | instskip(NEXT) | instid1(SALU_CYCLE_1)
	s_or_b32 s7, s8, s7
	s_and_saveexec_b32 s8, s7
	s_delay_alu instid0(SALU_CYCLE_1)
	s_xor_b32 s7, exec_lo, s8
; %bb.148:                              ;   in Loop: Header=BB174_4 Depth=1
	v_mul_f64 v[1:2], v[9:10], v[9:10]
	s_delay_alu instid0(VALU_DEP_1)
	v_fma_f64 v[1:2], v[11:12], v[11:12], v[1:2]
; %bb.149:                              ;   in Loop: Header=BB174_4 Depth=1
	s_and_not1_saveexec_b32 s7, s7
; %bb.150:                              ;   in Loop: Header=BB174_4 Depth=1
	v_mul_f64 v[1:2], v[9:10], 4.0
	v_mul_f64 v[5:6], v[11:12], 4.0
	s_delay_alu instid0(VALU_DEP_2) | instskip(NEXT) | instid1(VALU_DEP_1)
	v_mul_f64 v[1:2], v[1:2], v[1:2]
	v_fma_f64 v[1:2], v[5:6], v[5:6], v[1:2]
	s_delay_alu instid0(VALU_DEP_1)
	v_ldexp_f64 v[1:2], v[1:2], -4
; %bb.151:                              ;   in Loop: Header=BB174_4 Depth=1
	s_or_b32 exec_lo, exec_lo, s7
	s_delay_alu instid0(VALU_DEP_1) | instskip(SKIP_2) | instid1(VALU_DEP_2)
	v_frexp_mant_f64_e32 v[5:6], v[1:2]
	s_mov_b32 s99, s27
	v_frexp_exp_i32_f64_e32 v3, v[1:2]
	v_cmp_gt_f64_e32 vcc_lo, s[26:27], v[5:6]
	v_cndmask_b32_e64 v34, 0x3ff00000, 2.0, vcc_lo
	s_delay_alu instid0(VALU_DEP_3) | instskip(SKIP_1) | instid1(VALU_DEP_3)
	v_subrev_co_ci_u32_e32 v3, vcc_lo, 0, v3, vcc_lo
	v_cmp_class_f64_e64 vcc_lo, v[1:2], 0x204
	v_mul_f64 v[5:6], v[5:6], v[33:34]
	s_delay_alu instid0(VALU_DEP_1) | instskip(SKIP_1) | instid1(VALU_DEP_2)
	v_add_f64 v[9:10], v[5:6], 1.0
	v_add_f64 v[31:32], v[5:6], -1.0
	v_rcp_f64_e32 v[13:14], v[9:10]
	v_add_f64 v[43:44], v[9:10], -1.0
	s_delay_alu instid0(VALU_DEP_1) | instskip(SKIP_2) | instid1(VALU_DEP_1)
	v_add_f64 v[5:6], v[5:6], -v[43:44]
	s_waitcnt_depctr 0xfff
	v_fma_f64 v[29:30], -v[9:10], v[13:14], 1.0
	v_fma_f64 v[13:14], v[29:30], v[13:14], v[13:14]
	s_delay_alu instid0(VALU_DEP_1) | instskip(NEXT) | instid1(VALU_DEP_1)
	v_fma_f64 v[29:30], -v[9:10], v[13:14], 1.0
	v_fma_f64 v[13:14], v[29:30], v[13:14], v[13:14]
	s_delay_alu instid0(VALU_DEP_1) | instskip(NEXT) | instid1(VALU_DEP_1)
	v_mul_f64 v[29:30], v[31:32], v[13:14]
	v_mul_f64 v[45:46], v[9:10], v[29:30]
	s_delay_alu instid0(VALU_DEP_1) | instskip(NEXT) | instid1(VALU_DEP_1)
	v_fma_f64 v[9:10], v[29:30], v[9:10], -v[45:46]
	v_fma_f64 v[5:6], v[29:30], v[5:6], v[9:10]
	s_delay_alu instid0(VALU_DEP_1) | instskip(NEXT) | instid1(VALU_DEP_1)
	v_add_f64 v[9:10], v[45:46], v[5:6]
	v_add_f64 v[43:44], v[31:32], -v[9:10]
	v_add_f64 v[45:46], v[9:10], -v[45:46]
	s_delay_alu instid0(VALU_DEP_2) | instskip(NEXT) | instid1(VALU_DEP_2)
	v_add_f64 v[31:32], v[31:32], -v[43:44]
	v_add_f64 v[5:6], v[45:46], -v[5:6]
	s_delay_alu instid0(VALU_DEP_2) | instskip(NEXT) | instid1(VALU_DEP_1)
	v_add_f64 v[9:10], v[31:32], -v[9:10]
	v_add_f64 v[5:6], v[5:6], v[9:10]
	s_delay_alu instid0(VALU_DEP_1) | instskip(NEXT) | instid1(VALU_DEP_1)
	v_add_f64 v[5:6], v[43:44], v[5:6]
	v_mul_f64 v[5:6], v[13:14], v[5:6]
	s_delay_alu instid0(VALU_DEP_1) | instskip(NEXT) | instid1(VALU_DEP_1)
	v_add_f64 v[9:10], v[29:30], v[5:6]
	v_mul_f64 v[13:14], v[9:10], v[9:10]
	s_delay_alu instid0(VALU_DEP_1) | instskip(SKIP_1) | instid1(VALU_DEP_2)
	v_fma_f64 v[31:32], v[13:14], s[30:31], s[28:29]
	v_mul_f64 v[43:44], v[9:10], v[13:14]
	v_fma_f64 v[31:32], v[13:14], v[31:32], s[36:37]
	s_delay_alu instid0(VALU_DEP_1) | instskip(NEXT) | instid1(VALU_DEP_1)
	v_fma_f64 v[31:32], v[13:14], v[31:32], s[38:39]
	v_fma_f64 v[31:32], v[13:14], v[31:32], s[40:41]
	s_delay_alu instid0(VALU_DEP_1) | instskip(NEXT) | instid1(VALU_DEP_1)
	v_fma_f64 v[31:32], v[13:14], v[31:32], s[42:43]
	v_fma_f64 v[13:14], v[13:14], v[31:32], s[98:99]
	v_ldexp_f64 v[31:32], v[9:10], 1
	v_add_f64 v[9:10], v[9:10], -v[29:30]
	s_delay_alu instid0(VALU_DEP_3) | instskip(SKIP_1) | instid1(VALU_DEP_3)
	v_mul_f64 v[13:14], v[43:44], v[13:14]
	v_cvt_f64_i32_e32 v[43:44], v3
	v_add_f64 v[5:6], v[5:6], -v[9:10]
	s_delay_alu instid0(VALU_DEP_3) | instskip(NEXT) | instid1(VALU_DEP_3)
	v_add_f64 v[29:30], v[31:32], v[13:14]
	v_mul_f64 v[45:46], v[43:44], s[44:45]
	s_delay_alu instid0(VALU_DEP_3) | instskip(NEXT) | instid1(VALU_DEP_3)
	v_ldexp_f64 v[5:6], v[5:6], 1
	v_add_f64 v[9:10], v[29:30], -v[31:32]
	s_delay_alu instid0(VALU_DEP_3) | instskip(NEXT) | instid1(VALU_DEP_2)
	v_fma_f64 v[31:32], v[43:44], s[44:45], -v[45:46]
	v_add_f64 v[9:10], v[13:14], -v[9:10]
	s_delay_alu instid0(VALU_DEP_2) | instskip(NEXT) | instid1(VALU_DEP_2)
	v_fma_f64 v[13:14], v[43:44], s[46:47], v[31:32]
	v_add_f64 v[5:6], v[5:6], v[9:10]
	s_delay_alu instid0(VALU_DEP_2) | instskip(NEXT) | instid1(VALU_DEP_2)
	v_add_f64 v[9:10], v[45:46], v[13:14]
	v_add_f64 v[31:32], v[29:30], v[5:6]
	s_delay_alu instid0(VALU_DEP_2) | instskip(NEXT) | instid1(VALU_DEP_2)
	v_add_f64 v[45:46], v[9:10], -v[45:46]
	v_add_f64 v[43:44], v[9:10], v[31:32]
	v_add_f64 v[29:30], v[31:32], -v[29:30]
	s_delay_alu instid0(VALU_DEP_3) | instskip(NEXT) | instid1(VALU_DEP_3)
	v_add_f64 v[13:14], v[13:14], -v[45:46]
	v_add_f64 v[47:48], v[43:44], -v[9:10]
	s_delay_alu instid0(VALU_DEP_3) | instskip(NEXT) | instid1(VALU_DEP_2)
	v_add_f64 v[5:6], v[5:6], -v[29:30]
	v_add_f64 v[49:50], v[43:44], -v[47:48]
	;; [unrolled: 1-line block ×3, first 2 shown]
	s_delay_alu instid0(VALU_DEP_3) | instskip(NEXT) | instid1(VALU_DEP_3)
	v_add_f64 v[31:32], v[13:14], v[5:6]
	v_add_f64 v[9:10], v[9:10], -v[49:50]
	s_delay_alu instid0(VALU_DEP_1) | instskip(NEXT) | instid1(VALU_DEP_3)
	v_add_f64 v[9:10], v[29:30], v[9:10]
	v_add_f64 v[29:30], v[31:32], -v[13:14]
	s_delay_alu instid0(VALU_DEP_2) | instskip(NEXT) | instid1(VALU_DEP_2)
	v_add_f64 v[9:10], v[31:32], v[9:10]
	v_add_f64 v[31:32], v[31:32], -v[29:30]
	v_add_f64 v[5:6], v[5:6], -v[29:30]
	s_delay_alu instid0(VALU_DEP_3) | instskip(NEXT) | instid1(VALU_DEP_3)
	v_add_f64 v[45:46], v[43:44], v[9:10]
	v_add_f64 v[13:14], v[13:14], -v[31:32]
	s_delay_alu instid0(VALU_DEP_2) | instskip(NEXT) | instid1(VALU_DEP_2)
	v_add_f64 v[29:30], v[45:46], -v[43:44]
	v_add_f64 v[5:6], v[5:6], v[13:14]
	s_delay_alu instid0(VALU_DEP_2) | instskip(NEXT) | instid1(VALU_DEP_1)
	v_add_f64 v[9:10], v[9:10], -v[29:30]
	v_add_f64 v[5:6], v[5:6], v[9:10]
	s_delay_alu instid0(VALU_DEP_1) | instskip(NEXT) | instid1(VALU_DEP_1)
	v_add_f64 v[5:6], v[45:46], v[5:6]
	v_cndmask_b32_e32 v3, v5, v1, vcc_lo
	s_delay_alu instid0(VALU_DEP_2) | instskip(SKIP_1) | instid1(VALU_DEP_2)
	v_cndmask_b32_e32 v5, v6, v2, vcc_lo
	v_cmp_ngt_f64_e32 vcc_lo, 0, v[1:2]
	v_cndmask_b32_e32 v5, 0x7ff80000, v5, vcc_lo
	v_cmp_nge_f64_e32 vcc_lo, 0, v[1:2]
	v_mov_b32_e32 v31, 0
	v_dual_mov_b32 v32, 0x7ff80000 :: v_dual_cndmask_b32 v29, 0, v3
	v_cmp_neq_f64_e32 vcc_lo, 0, v[1:2]
	v_cndmask_b32_e32 v30, 0xfff00000, v5, vcc_lo
	s_or_b32 exec_lo, exec_lo, s6
	s_and_saveexec_b32 s6, s2
	s_delay_alu instid0(SALU_CYCLE_1)
	s_xor_b32 s2, exec_lo, s6
	s_cbranch_execz .LBB174_117
.LBB174_152:                            ;   in Loop: Header=BB174_4 Depth=1
	v_add_co_u32 v1, vcc_lo, s33, v35
	v_bfi_b32 v20, 0x7fffffff, v20, v8
	v_add_co_ci_u32_e32 v2, vcc_lo, s100, v36, vcc_lo
	global_store_b128 v[1:2], v[17:20], off
	s_or_b32 exec_lo, exec_lo, s2
	s_and_saveexec_b32 s2, s3
	s_cbranch_execz .LBB174_118
.LBB174_153:                            ;   in Loop: Header=BB174_4 Depth=1
	v_add_co_u32 v1, vcc_lo, s33, v37
	v_bfi_b32 v24, 0x7fffffff, v24, v4
	v_add_co_ci_u32_e32 v2, vcc_lo, s100, v38, vcc_lo
	global_store_b128 v[1:2], v[21:24], off
	s_or_b32 exec_lo, exec_lo, s2
	s_and_saveexec_b32 s2, s4
	s_cbranch_execz .LBB174_119
.LBB174_154:                            ;   in Loop: Header=BB174_4 Depth=1
	v_add_co_u32 v1, vcc_lo, s33, v39
	v_bfi_b32 v28, 0x7fffffff, v28, v16
	v_add_co_ci_u32_e32 v2, vcc_lo, s100, v40, vcc_lo
	global_store_b128 v[1:2], v[25:28], off
	s_or_b32 exec_lo, exec_lo, s2
	s_and_saveexec_b32 s2, s5
	s_cbranch_execz .LBB174_3
.LBB174_155:                            ;   in Loop: Header=BB174_4 Depth=1
	v_add_co_u32 v1, vcc_lo, s33, v41
	v_bfi_b32 v32, 0x7fffffff, v32, v12
	v_add_co_ci_u32_e32 v2, vcc_lo, s100, v42, vcc_lo
	global_store_b128 v[1:2], v[29:32], off
	s_branch .LBB174_3
.LBB174_156:
	s_cbranch_execz .LBB174_158
	s_branch .LBB174_297
.LBB174_157:
.LBB174_158:
	v_dual_mov_b32 v34, 0 :: v_dual_lshlrev_b32 v1, 2, v0
	s_mov_b32 s90, 0
	s_mov_b32 s2, exec_lo
	s_delay_alu instid0(VALU_DEP_1) | instskip(NEXT) | instid1(VALU_DEP_1)
	v_mov_b32_e32 v2, v34
	v_cmpx_gt_i64_e64 s[18:19], v[1:2]
	s_cbranch_execz .LBB174_297
; %bb.159:
	s_load_b32 s0, s[0:1], 0xd3c
	v_dual_mov_b32 v1, v34 :: v_dual_mov_b32 v54, 0x7f3321d2
	v_mov_b32_e32 v55, 0x4002d97c
	s_mov_b32 s12, 0x85ebc8a0
	s_mov_b32 s14, 0x4ad4b81f
	s_mov_b32 s16, 0xc57e649a
	s_mov_b32 s20, 0x55555555
	s_mov_b32 s22, 0x6b47b09a
	s_mov_b32 s24, 0xbf559e2b
	s_mov_b32 s26, 0xd7f4df2e
	s_mov_b32 s28, 0x16291751
	s_mov_b32 s30, 0x9b27acf1
	s_mov_b32 s34, 0x998ef7b6
	s_mov_b32 s36, 0xfefa39ef
	s_mov_b32 s38, 0x3b39803f
	s_mov_b32 s40, 0xbd3237f4
	s_mov_b32 s42, 0xb5e68a13
	s_mov_b32 s44, 0x69efb384
	s_mov_b32 s46, 0xaf56de9b
	s_mov_b32 s48, 0xa595c56f
	s_mov_b32 s50, 0xa57d9582
	s_mov_b32 s52, 0x5f08b19f
	s_mov_b32 s54, 0xfc27006a
	s_mov_b32 s56, 0x5711927a
	s_mov_b32 s58, 0xe82d3ff0
	s_mov_b32 s60, 0x6ef28734
	s_mov_b32 s62, 0x6a214619
	s_mov_b32 s64, 0x8427b883
	s_mov_b32 s66, 0x8b207f05
	s_mov_b32 s68, 0x57b87036
	s_mov_b32 s70, 0x19378e4f
	s_mov_b32 s72, 0x17e1913c
	s_mov_b32 s74, 0x92376b7d
	s_mov_b32 s76, 0x999952cc
	s_mov_b32 s78, 0x55555523
	s_mov_b32 s80, 0x54442d18
	s_mov_b32 s82, 0x66666666
	s_mov_b32 s84, 0x6a3f9475
	s_mov_b32 s86, 0x8b145769
	s_mov_b32 s13, 0x7fd1ccf3
	s_mov_b32 s15, 0x358dee7a
	s_mov_b32 s17, 0x4a511b0e
	s_mov_b32 s21, 0x3fe55555
	s_mov_b32 s23, 0x3fc38538
	s_mov_b32 s25, 0x3fc3ab76
	s_mov_b32 s27, 0x3fc7474d
	s_mov_b32 s29, 0x3fcc71c0
	s_mov_b32 s31, 0x3fd24924
	s_mov_b32 s35, 0x3fd99999
	s_mov_b32 s37, 0x3fe62e42
	s_mov_b32 s39, 0x3c7abc9e
	s_mov_b32 s41, 0xbf23e260
	s_mov_b32 s43, 0x3eeba404
	s_mov_b32 s45, 0x3f4b2bb0
	s_mov_b32 s47, 0xbf67952d
	s_mov_b32 s49, 0x3f7d6d43
	s_mov_b32 s51, 0xbf8c6ea4
	s_mov_b32 s53, 0x3f967e29
	s_mov_b32 s55, 0xbf9e9ae6
	s_mov_b32 s57, 0x3fa2c15b
	s_mov_b32 s59, 0xbfa59976
	s_mov_b32 s61, 0x3fa82d5d
	s_mov_b32 s63, 0xbfaae5ce
	s_mov_b32 s65, 0x3fae1bb4
	s_mov_b32 s67, 0xbfb110e4
	s_mov_b32 s69, 0x3fb3b136
	s_mov_b32 s71, 0xbfb745d1
	s_mov_b32 s73, 0x3fbc71c7
	s_mov_b32 s75, 0xbfc24924
	s_mov_b32 s77, 0x3fc99999
	s_mov_b32 s79, 0xbfd55555
	s_mov_b32 s81, 0x3ff921fb
	s_mov_b32 s83, 0x3fe66666
	s_mov_b32 s85, 0x20ca2fe7
	s_mov_b32 s87, 0x4005bf0a
	s_waitcnt lgkmcnt(0)
	s_and_b32 s91, s0, 0xffff
	s_mov_b32 s88, 0x55555780
	s_mov_b32 s11, 0x400921fb
	s_branch .LBB174_162
.LBB174_160:                            ;   in Loop: Header=BB174_162 Depth=1
	s_or_b32 exec_lo, exec_lo, s1
	s_delay_alu instid0(VALU_DEP_1) | instskip(SKIP_2) | instid1(VALU_DEP_2)
	v_frexp_mant_f64_e32 v[2:3], v[6:7]
	s_mov_b32 s89, s21
	v_frexp_exp_i32_f64_e32 v4, v[6:7]
	v_cmp_gt_f64_e32 vcc_lo, s[20:21], v[2:3]
	v_cndmask_b32_e64 v35, 0x3ff00000, 2.0, vcc_lo
	s_delay_alu instid0(VALU_DEP_3) | instskip(SKIP_1) | instid1(VALU_DEP_3)
	v_subrev_co_ci_u32_e32 v4, vcc_lo, 0, v4, vcc_lo
	v_cmp_class_f64_e64 vcc_lo, v[6:7], 0x204
	v_mul_f64 v[2:3], v[2:3], v[34:35]
	s_delay_alu instid0(VALU_DEP_1) | instskip(SKIP_1) | instid1(VALU_DEP_2)
	v_add_f64 v[10:11], v[2:3], 1.0
	v_add_f64 v[32:33], v[2:3], -1.0
	v_rcp_f64_e32 v[14:15], v[10:11]
	v_add_f64 v[38:39], v[10:11], -1.0
	s_delay_alu instid0(VALU_DEP_1) | instskip(SKIP_2) | instid1(VALU_DEP_1)
	v_add_f64 v[2:3], v[2:3], -v[38:39]
	s_waitcnt_depctr 0xfff
	v_fma_f64 v[30:31], -v[10:11], v[14:15], 1.0
	v_fma_f64 v[14:15], v[30:31], v[14:15], v[14:15]
	s_delay_alu instid0(VALU_DEP_1) | instskip(NEXT) | instid1(VALU_DEP_1)
	v_fma_f64 v[30:31], -v[10:11], v[14:15], 1.0
	v_fma_f64 v[14:15], v[30:31], v[14:15], v[14:15]
	s_delay_alu instid0(VALU_DEP_1) | instskip(NEXT) | instid1(VALU_DEP_1)
	v_mul_f64 v[30:31], v[32:33], v[14:15]
	v_mul_f64 v[40:41], v[10:11], v[30:31]
	s_delay_alu instid0(VALU_DEP_1) | instskip(NEXT) | instid1(VALU_DEP_1)
	v_fma_f64 v[10:11], v[30:31], v[10:11], -v[40:41]
	v_fma_f64 v[2:3], v[30:31], v[2:3], v[10:11]
	s_delay_alu instid0(VALU_DEP_1) | instskip(NEXT) | instid1(VALU_DEP_1)
	v_add_f64 v[10:11], v[40:41], v[2:3]
	v_add_f64 v[38:39], v[32:33], -v[10:11]
	v_add_f64 v[40:41], v[10:11], -v[40:41]
	s_delay_alu instid0(VALU_DEP_2) | instskip(NEXT) | instid1(VALU_DEP_2)
	v_add_f64 v[32:33], v[32:33], -v[38:39]
	v_add_f64 v[2:3], v[40:41], -v[2:3]
	s_delay_alu instid0(VALU_DEP_2) | instskip(NEXT) | instid1(VALU_DEP_1)
	v_add_f64 v[10:11], v[32:33], -v[10:11]
	v_add_f64 v[2:3], v[2:3], v[10:11]
	s_delay_alu instid0(VALU_DEP_1) | instskip(NEXT) | instid1(VALU_DEP_1)
	v_add_f64 v[2:3], v[38:39], v[2:3]
	v_mul_f64 v[2:3], v[14:15], v[2:3]
	s_delay_alu instid0(VALU_DEP_1) | instskip(NEXT) | instid1(VALU_DEP_1)
	v_add_f64 v[10:11], v[30:31], v[2:3]
	v_mul_f64 v[14:15], v[10:11], v[10:11]
	s_delay_alu instid0(VALU_DEP_1) | instskip(SKIP_1) | instid1(VALU_DEP_2)
	v_fma_f64 v[32:33], v[14:15], s[24:25], s[22:23]
	v_mul_f64 v[38:39], v[10:11], v[14:15]
	v_fma_f64 v[32:33], v[14:15], v[32:33], s[26:27]
	s_delay_alu instid0(VALU_DEP_1) | instskip(NEXT) | instid1(VALU_DEP_1)
	v_fma_f64 v[32:33], v[14:15], v[32:33], s[28:29]
	v_fma_f64 v[32:33], v[14:15], v[32:33], s[30:31]
	s_delay_alu instid0(VALU_DEP_1) | instskip(NEXT) | instid1(VALU_DEP_1)
	v_fma_f64 v[32:33], v[14:15], v[32:33], s[34:35]
	v_fma_f64 v[14:15], v[14:15], v[32:33], s[88:89]
	v_ldexp_f64 v[32:33], v[10:11], 1
	v_add_f64 v[10:11], v[10:11], -v[30:31]
	s_delay_alu instid0(VALU_DEP_3) | instskip(SKIP_1) | instid1(VALU_DEP_3)
	v_mul_f64 v[14:15], v[38:39], v[14:15]
	v_cvt_f64_i32_e32 v[38:39], v4
	v_add_f64 v[2:3], v[2:3], -v[10:11]
	s_delay_alu instid0(VALU_DEP_3) | instskip(NEXT) | instid1(VALU_DEP_3)
	v_add_f64 v[30:31], v[32:33], v[14:15]
	v_mul_f64 v[40:41], v[38:39], s[36:37]
	s_delay_alu instid0(VALU_DEP_3) | instskip(NEXT) | instid1(VALU_DEP_3)
	v_ldexp_f64 v[2:3], v[2:3], 1
	v_add_f64 v[10:11], v[30:31], -v[32:33]
	s_delay_alu instid0(VALU_DEP_3) | instskip(NEXT) | instid1(VALU_DEP_2)
	v_fma_f64 v[32:33], v[38:39], s[36:37], -v[40:41]
	v_add_f64 v[10:11], v[14:15], -v[10:11]
	s_delay_alu instid0(VALU_DEP_2) | instskip(NEXT) | instid1(VALU_DEP_2)
	v_fma_f64 v[14:15], v[38:39], s[38:39], v[32:33]
	v_add_f64 v[2:3], v[2:3], v[10:11]
	s_delay_alu instid0(VALU_DEP_2) | instskip(NEXT) | instid1(VALU_DEP_2)
	v_add_f64 v[10:11], v[40:41], v[14:15]
	v_add_f64 v[32:33], v[30:31], v[2:3]
	s_delay_alu instid0(VALU_DEP_2) | instskip(NEXT) | instid1(VALU_DEP_2)
	v_add_f64 v[40:41], v[10:11], -v[40:41]
	v_add_f64 v[38:39], v[10:11], v[32:33]
	v_add_f64 v[30:31], v[32:33], -v[30:31]
	s_delay_alu instid0(VALU_DEP_3) | instskip(NEXT) | instid1(VALU_DEP_3)
	v_add_f64 v[14:15], v[14:15], -v[40:41]
	v_add_f64 v[42:43], v[38:39], -v[10:11]
	s_delay_alu instid0(VALU_DEP_3) | instskip(NEXT) | instid1(VALU_DEP_2)
	v_add_f64 v[2:3], v[2:3], -v[30:31]
	v_add_f64 v[44:45], v[38:39], -v[42:43]
	;; [unrolled: 1-line block ×3, first 2 shown]
	s_delay_alu instid0(VALU_DEP_3) | instskip(NEXT) | instid1(VALU_DEP_3)
	v_add_f64 v[32:33], v[14:15], v[2:3]
	v_add_f64 v[10:11], v[10:11], -v[44:45]
	s_delay_alu instid0(VALU_DEP_1) | instskip(NEXT) | instid1(VALU_DEP_3)
	v_add_f64 v[10:11], v[30:31], v[10:11]
	v_add_f64 v[30:31], v[32:33], -v[14:15]
	s_delay_alu instid0(VALU_DEP_2) | instskip(NEXT) | instid1(VALU_DEP_2)
	v_add_f64 v[10:11], v[32:33], v[10:11]
	v_add_f64 v[32:33], v[32:33], -v[30:31]
	v_add_f64 v[2:3], v[2:3], -v[30:31]
	s_delay_alu instid0(VALU_DEP_3) | instskip(NEXT) | instid1(VALU_DEP_3)
	v_add_f64 v[40:41], v[38:39], v[10:11]
	v_add_f64 v[14:15], v[14:15], -v[32:33]
	v_mov_b32_e32 v32, 0
	v_mov_b32_e32 v33, 0x7ff80000
	s_delay_alu instid0(VALU_DEP_4) | instskip(NEXT) | instid1(VALU_DEP_4)
	v_add_f64 v[30:31], v[40:41], -v[38:39]
	v_add_f64 v[2:3], v[2:3], v[14:15]
	s_delay_alu instid0(VALU_DEP_2) | instskip(NEXT) | instid1(VALU_DEP_1)
	v_add_f64 v[10:11], v[10:11], -v[30:31]
	v_add_f64 v[2:3], v[2:3], v[10:11]
	s_delay_alu instid0(VALU_DEP_1) | instskip(NEXT) | instid1(VALU_DEP_1)
	v_add_f64 v[2:3], v[40:41], v[2:3]
	v_dual_cndmask_b32 v2, v2, v6 :: v_dual_cndmask_b32 v3, v3, v7
	v_cmp_ngt_f64_e32 vcc_lo, 0, v[6:7]
	s_delay_alu instid0(VALU_DEP_2) | instskip(SKIP_1) | instid1(VALU_DEP_4)
	v_cndmask_b32_e32 v3, 0x7ff80000, v3, vcc_lo
	v_cmp_nge_f64_e32 vcc_lo, 0, v[6:7]
	v_cndmask_b32_e32 v30, 0, v2, vcc_lo
	v_cmp_neq_f64_e32 vcc_lo, 0, v[6:7]
	s_delay_alu instid0(VALU_DEP_4)
	v_cndmask_b32_e32 v31, 0xfff00000, v3, vcc_lo
.LBB174_161:                            ;   in Loop: Header=BB174_162 Depth=1
	s_or_b32 exec_lo, exec_lo, s0
	v_add_co_u32 v0, vcc_lo, v0, s91
	v_add_co_ci_u32_e32 v1, vcc_lo, 0, v1, vcc_lo
	v_bfi_b32 v29, 0x7fffffff, v29, v17
	v_bfi_b32 v21, 0x7fffffff, v21, v13
	;; [unrolled: 1-line block ×3, first 2 shown]
	s_delay_alu instid0(VALU_DEP_4)
	v_lshlrev_b64 v[2:3], 2, v[0:1]
	v_bfi_b32 v33, 0x7fffffff, v33, v5
	s_clause 0x3
	global_store_b128 v[36:37], v[18:21], off
	global_store_b128 v[36:37], v[22:25], off offset:16
	global_store_b128 v[36:37], v[26:29], off offset:32
	;; [unrolled: 1-line block ×3, first 2 shown]
	v_cmp_le_i64_e32 vcc_lo, s[18:19], v[2:3]
	v_cmp_lt_u64_e64 s0, 0xffff, v[2:3]
	s_delay_alu instid0(VALU_DEP_1) | instskip(NEXT) | instid1(SALU_CYCLE_1)
	s_or_b32 s0, vcc_lo, s0
	s_and_b32 s0, exec_lo, s0
	s_delay_alu instid0(SALU_CYCLE_1) | instskip(NEXT) | instid1(SALU_CYCLE_1)
	s_or_b32 s90, s0, s90
	s_and_not1_b32 exec_lo, exec_lo, s90
	s_cbranch_execz .LBB174_297
.LBB174_162:                            ; =>This Loop Header: Depth=1
                                        ;     Child Loop BB174_173 Depth 2
                                        ;     Child Loop BB174_207 Depth 2
	;; [unrolled: 1-line block ×4, first 2 shown]
	v_lshlrev_b64 v[2:3], 6, v[0:1]
                                        ; implicit-def: $vgpr18_vgpr19
	s_mov_b32 s0, exec_lo
	s_delay_alu instid0(VALU_DEP_1) | instskip(NEXT) | instid1(VALU_DEP_2)
	v_add_co_u32 v36, vcc_lo, s33, v2
	v_add_co_ci_u32_e32 v37, vcc_lo, s100, v3, vcc_lo
	s_clause 0x3
	global_load_b128 v[10:13], v[36:37], off
	global_load_b128 v[6:9], v[36:37], off offset:16
	global_load_b128 v[2:5], v[36:37], off offset:48
	;; [unrolled: 1-line block ×3, first 2 shown]
	s_waitcnt vmcnt(3)
	v_cmpx_o_f64_e32 v[10:11], v[12:13]
	s_xor_b32 s92, exec_lo, s0
	s_cbranch_execz .LBB174_190
; %bb.163:                              ;   in Loop: Header=BB174_162 Depth=1
	v_cmp_lt_f64_e64 s0, |v[10:11]|, |v[12:13]|
	v_and_b32_e32 v20, 0x7fffffff, v11
	v_dual_mov_b32 v24, v12 :: v_dual_and_b32 v21, 0x7fffffff, v13
                                        ; implicit-def: $vgpr18_vgpr19
	s_mov_b32 s1, exec_lo
	s_delay_alu instid0(VALU_DEP_1) | instskip(NEXT) | instid1(VALU_DEP_2)
	v_cndmask_b32_e64 v23, v21, v20, s0
	v_cndmask_b32_e64 v22, v24, v10, s0
	s_delay_alu instid0(VALU_DEP_1)
	v_cmpx_nlt_f64_e32 s[12:13], v[22:23]
	s_xor_b32 s93, exec_lo, s1
	s_cbranch_execz .LBB174_187
; %bb.164:                              ;   in Loop: Header=BB174_162 Depth=1
	v_cndmask_b32_e64 v25, v20, v21, s0
	v_cndmask_b32_e64 v24, v10, v24, s0
                                        ; implicit-def: $vgpr18_vgpr19
	s_mov_b32 s1, exec_lo
	s_delay_alu instid0(VALU_DEP_1)
	v_cmpx_neq_f64_e32 1.0, v[24:25]
	s_xor_b32 s94, exec_lo, s1
	s_cbranch_execz .LBB174_180
; %bb.165:                              ;   in Loop: Header=BB174_162 Depth=1
	v_max_f64 v[18:19], v[22:23], v[22:23]
	v_max_f64 v[20:21], v[24:25], v[24:25]
	s_delay_alu instid0(VALU_DEP_1) | instskip(SKIP_1) | instid1(VALU_DEP_2)
	v_min_f64 v[26:27], v[20:21], v[18:19]
	v_max_f64 v[18:19], v[20:21], v[18:19]
	v_cmp_ngt_f64_e32 vcc_lo, s[14:15], v[26:27]
	s_delay_alu instid0(VALU_DEP_2) | instskip(NEXT) | instid1(VALU_DEP_1)
	v_cmp_nlt_f64_e64 s1, s[16:17], v[18:19]
                                        ; implicit-def: $vgpr18_vgpr19
	s_and_b32 s1, s1, vcc_lo
	s_delay_alu instid0(SALU_CYCLE_1) | instskip(NEXT) | instid1(SALU_CYCLE_1)
	s_and_saveexec_b32 s2, s1
	s_xor_b32 s95, exec_lo, s2
	s_cbranch_execz .LBB174_177
; %bb.166:                              ;   in Loop: Header=BB174_162 Depth=1
                                        ; implicit-def: $vgpr18_vgpr19
	s_mov_b32 s1, exec_lo
	v_cmpx_le_f64_e32 1.0, v[24:25]
	s_xor_b32 s2, exec_lo, s1
	s_cbranch_execz .LBB174_168
; %bb.167:                              ;   in Loop: Header=BB174_162 Depth=1
	v_add_f64 v[18:19], v[24:25], -1.0
	v_add_f64 v[20:21], v[24:25], 1.0
	s_mov_b32 s89, s21
	s_mov_b32 s10, s80
	v_cmp_gt_i32_e64 s1, 0, v11
	v_cmp_class_f64_e64 s4, v[10:11], 0x204
	v_cmp_class_f64_e64 s3, v[12:13], 0x204
	s_delay_alu instid0(VALU_DEP_4) | instskip(NEXT) | instid1(VALU_DEP_1)
	v_mul_f64 v[18:19], v[18:19], v[20:21]
	v_fma_f64 v[19:20], v[22:23], v[22:23], v[18:19]
	s_delay_alu instid0(VALU_DEP_1) | instskip(NEXT) | instid1(VALU_DEP_1)
	v_add_f64 v[21:22], v[19:20], 1.0
	v_frexp_mant_f64_e32 v[23:24], v[21:22]
	v_frexp_exp_i32_f64_e32 v18, v[21:22]
	v_add_f64 v[25:26], v[21:22], -1.0
	s_delay_alu instid0(VALU_DEP_3) | instskip(NEXT) | instid1(VALU_DEP_2)
	v_cmp_gt_f64_e32 vcc_lo, s[20:21], v[23:24]
	v_add_f64 v[23:24], v[25:26], -v[21:22]
	v_add_f64 v[25:26], v[19:20], -v[25:26]
	v_subrev_co_ci_u32_e32 v18, vcc_lo, 0, v18, vcc_lo
	s_delay_alu instid0(VALU_DEP_3) | instskip(NEXT) | instid1(VALU_DEP_2)
	v_add_f64 v[23:24], v[23:24], 1.0
	v_sub_nc_u32_e32 v29, 0, v18
	s_delay_alu instid0(VALU_DEP_1) | instskip(NEXT) | instid1(VALU_DEP_3)
	v_ldexp_f64 v[21:22], v[21:22], v29
	v_add_f64 v[23:24], v[25:26], v[23:24]
	s_delay_alu instid0(VALU_DEP_2) | instskip(SKIP_1) | instid1(VALU_DEP_3)
	v_add_f64 v[27:28], v[21:22], 1.0
	v_add_f64 v[38:39], v[21:22], -1.0
	v_ldexp_f64 v[23:24], v[23:24], v29
	s_delay_alu instid0(VALU_DEP_3) | instskip(NEXT) | instid1(VALU_DEP_3)
	v_add_f64 v[25:26], v[27:28], -1.0
	v_add_f64 v[40:41], v[38:39], 1.0
	s_delay_alu instid0(VALU_DEP_2) | instskip(NEXT) | instid1(VALU_DEP_2)
	v_add_f64 v[25:26], v[21:22], -v[25:26]
	v_add_f64 v[21:22], v[21:22], -v[40:41]
	s_delay_alu instid0(VALU_DEP_2) | instskip(NEXT) | instid1(VALU_DEP_2)
	v_add_f64 v[25:26], v[23:24], v[25:26]
	v_add_f64 v[21:22], v[23:24], v[21:22]
	s_delay_alu instid0(VALU_DEP_2) | instskip(NEXT) | instid1(VALU_DEP_2)
	v_add_f64 v[29:30], v[27:28], v[25:26]
	v_add_f64 v[40:41], v[38:39], v[21:22]
	s_delay_alu instid0(VALU_DEP_2) | instskip(SKIP_1) | instid1(VALU_DEP_2)
	v_rcp_f64_e32 v[31:32], v[29:30]
	v_add_f64 v[27:28], v[29:30], -v[27:28]
	v_add_f64 v[38:39], v[40:41], -v[38:39]
	s_delay_alu instid0(VALU_DEP_2) | instskip(SKIP_3) | instid1(VALU_DEP_2)
	v_add_f64 v[25:26], v[25:26], -v[27:28]
	s_waitcnt_depctr 0xfff
	v_fma_f64 v[42:43], -v[29:30], v[31:32], 1.0
	v_add_f64 v[21:22], v[21:22], -v[38:39]
	v_fma_f64 v[31:32], v[42:43], v[31:32], v[31:32]
	s_delay_alu instid0(VALU_DEP_1) | instskip(NEXT) | instid1(VALU_DEP_1)
	v_fma_f64 v[23:24], -v[29:30], v[31:32], 1.0
	v_fma_f64 v[23:24], v[23:24], v[31:32], v[31:32]
	s_delay_alu instid0(VALU_DEP_1) | instskip(NEXT) | instid1(VALU_DEP_1)
	v_mul_f64 v[31:32], v[40:41], v[23:24]
	v_mul_f64 v[42:43], v[29:30], v[31:32]
	s_delay_alu instid0(VALU_DEP_1) | instskip(NEXT) | instid1(VALU_DEP_1)
	v_fma_f64 v[27:28], v[31:32], v[29:30], -v[42:43]
	v_fma_f64 v[27:28], v[31:32], v[25:26], v[27:28]
	s_delay_alu instid0(VALU_DEP_1) | instskip(NEXT) | instid1(VALU_DEP_1)
	v_add_f64 v[44:45], v[42:43], v[27:28]
	v_add_f64 v[46:47], v[40:41], -v[44:45]
	v_add_f64 v[38:39], v[44:45], -v[42:43]
	v_max_f64 v[42:43], |v[12:13]|, |v[12:13]|
	s_delay_alu instid0(VALU_DEP_3) | instskip(NEXT) | instid1(VALU_DEP_3)
	v_add_f64 v[40:41], v[40:41], -v[46:47]
	v_add_f64 v[27:28], v[38:39], -v[27:28]
	s_delay_alu instid0(VALU_DEP_2) | instskip(SKIP_2) | instid1(VALU_DEP_1)
	v_add_f64 v[40:41], v[40:41], -v[44:45]
	v_max_f64 v[44:45], |v[10:11]|, |v[10:11]|
	v_cndmask_b32_e64 v10, 0x3fe921fb, v55, s1
	v_bfi_b32 v10, 0x7fffffff, v10, v13
	s_delay_alu instid0(VALU_DEP_4) | instskip(NEXT) | instid1(VALU_DEP_4)
	v_add_f64 v[21:22], v[21:22], v[40:41]
	v_max_f64 v[48:49], v[44:45], v[42:43]
	v_min_f64 v[42:43], v[44:45], v[42:43]
	s_delay_alu instid0(VALU_DEP_3) | instskip(NEXT) | instid1(VALU_DEP_1)
	v_add_f64 v[21:22], v[27:28], v[21:22]
	v_add_f64 v[27:28], v[46:47], v[21:22]
	s_delay_alu instid0(VALU_DEP_1) | instskip(SKIP_1) | instid1(VALU_DEP_2)
	v_mul_f64 v[38:39], v[23:24], v[27:28]
	v_add_f64 v[46:47], v[46:47], -v[27:28]
	v_mul_f64 v[40:41], v[29:30], v[38:39]
	s_delay_alu instid0(VALU_DEP_2) | instskip(NEXT) | instid1(VALU_DEP_2)
	v_add_f64 v[21:22], v[21:22], v[46:47]
	v_fma_f64 v[29:30], v[38:39], v[29:30], -v[40:41]
	s_delay_alu instid0(VALU_DEP_1) | instskip(SKIP_1) | instid1(VALU_DEP_2)
	v_fma_f64 v[25:26], v[38:39], v[25:26], v[29:30]
	v_div_scale_f64 v[29:30], null, v[48:49], v[48:49], v[42:43]
	v_add_f64 v[44:45], v[40:41], v[25:26]
	s_delay_alu instid0(VALU_DEP_2) | instskip(NEXT) | instid1(VALU_DEP_1)
	v_rcp_f64_e32 v[50:51], v[29:30]
	v_add_f64 v[52:53], v[27:28], -v[44:45]
	v_add_f64 v[40:41], v[44:45], -v[40:41]
	s_waitcnt_depctr 0xfff
	v_fma_f64 v[56:57], -v[29:30], v[50:51], 1.0
	v_add_f64 v[27:28], v[27:28], -v[52:53]
	v_add_f64 v[25:26], v[40:41], -v[25:26]
	s_delay_alu instid0(VALU_DEP_3) | instskip(NEXT) | instid1(VALU_DEP_3)
	v_fma_f64 v[50:51], v[50:51], v[56:57], v[50:51]
	v_add_f64 v[27:28], v[27:28], -v[44:45]
	s_delay_alu instid0(VALU_DEP_2) | instskip(NEXT) | instid1(VALU_DEP_2)
	v_fma_f64 v[44:45], -v[29:30], v[50:51], 1.0
	v_add_f64 v[21:22], v[21:22], v[27:28]
	v_div_scale_f64 v[27:28], vcc_lo, v[42:43], v[48:49], v[42:43]
	s_delay_alu instid0(VALU_DEP_3) | instskip(SKIP_1) | instid1(VALU_DEP_4)
	v_fma_f64 v[40:41], v[50:51], v[44:45], v[50:51]
	v_add_f64 v[44:45], v[31:32], v[38:39]
	v_add_f64 v[21:22], v[25:26], v[21:22]
	s_delay_alu instid0(VALU_DEP_3) | instskip(NEXT) | instid1(VALU_DEP_3)
	v_mul_f64 v[25:26], v[27:28], v[40:41]
	v_add_f64 v[31:32], v[44:45], -v[31:32]
	s_delay_alu instid0(VALU_DEP_3) | instskip(NEXT) | instid1(VALU_DEP_3)
	v_add_f64 v[21:22], v[52:53], v[21:22]
	v_fma_f64 v[27:28], -v[29:30], v[25:26], v[27:28]
	s_delay_alu instid0(VALU_DEP_3) | instskip(NEXT) | instid1(VALU_DEP_3)
	v_add_f64 v[29:30], v[38:39], -v[31:32]
	v_mul_f64 v[21:22], v[23:24], v[21:22]
	s_delay_alu instid0(VALU_DEP_3) | instskip(SKIP_1) | instid1(VALU_DEP_3)
	v_div_fmas_f64 v[23:24], v[27:28], v[40:41], v[25:26]
	v_cmp_eq_f64_e32 vcc_lo, 0x7ff00000, v[19:20]
	v_add_f64 v[21:22], v[29:30], v[21:22]
	s_delay_alu instid0(VALU_DEP_3) | instskip(NEXT) | instid1(VALU_DEP_2)
	v_div_fixup_f64 v[23:24], v[23:24], v[48:49], v[42:43]
	v_add_f64 v[25:26], v[44:45], v[21:22]
	s_delay_alu instid0(VALU_DEP_2) | instskip(NEXT) | instid1(VALU_DEP_2)
	v_mul_f64 v[27:28], v[23:24], v[23:24]
	v_mul_f64 v[29:30], v[25:26], v[25:26]
	s_delay_alu instid0(VALU_DEP_2) | instskip(NEXT) | instid1(VALU_DEP_2)
	v_fma_f64 v[31:32], v[27:28], s[42:43], s[40:41]
	v_fma_f64 v[38:39], v[29:30], s[24:25], s[22:23]
	v_mul_f64 v[40:41], v[25:26], v[29:30]
	s_delay_alu instid0(VALU_DEP_3) | instskip(NEXT) | instid1(VALU_DEP_3)
	v_fma_f64 v[31:32], v[27:28], v[31:32], s[44:45]
	v_fma_f64 v[38:39], v[29:30], v[38:39], s[26:27]
	s_delay_alu instid0(VALU_DEP_2) | instskip(NEXT) | instid1(VALU_DEP_2)
	v_fma_f64 v[31:32], v[27:28], v[31:32], s[46:47]
	v_fma_f64 v[38:39], v[29:30], v[38:39], s[28:29]
	s_delay_alu instid0(VALU_DEP_2) | instskip(NEXT) | instid1(VALU_DEP_2)
	;; [unrolled: 3-line block ×4, first 2 shown]
	v_fma_f64 v[31:32], v[27:28], v[31:32], s[52:53]
	v_fma_f64 v[29:30], v[29:30], v[38:39], s[88:89]
	v_ldexp_f64 v[38:39], v[25:26], 1
	v_add_f64 v[25:26], v[25:26], -v[44:45]
	s_delay_alu instid0(VALU_DEP_4) | instskip(NEXT) | instid1(VALU_DEP_4)
	v_fma_f64 v[31:32], v[27:28], v[31:32], s[54:55]
	v_mul_f64 v[29:30], v[40:41], v[29:30]
	v_cvt_f64_i32_e32 v[40:41], v18
	s_delay_alu instid0(VALU_DEP_4) | instskip(NEXT) | instid1(VALU_DEP_4)
	v_add_f64 v[21:22], v[21:22], -v[25:26]
	v_fma_f64 v[31:32], v[27:28], v[31:32], s[56:57]
	v_ashrrev_i32_e32 v18, 31, v11
	s_delay_alu instid0(VALU_DEP_1) | instskip(SKIP_4) | instid1(VALU_DEP_4)
	v_and_b32_e32 v11, 0x400921fb, v18
	v_add_f64 v[42:43], v[38:39], v[29:30]
	v_mul_f64 v[44:45], v[40:41], s[36:37]
	v_ldexp_f64 v[21:22], v[21:22], 1
	v_fma_f64 v[31:32], v[27:28], v[31:32], s[58:59]
	v_add_f64 v[25:26], v[42:43], -v[38:39]
	s_delay_alu instid0(VALU_DEP_4) | instskip(NEXT) | instid1(VALU_DEP_3)
	v_fma_f64 v[38:39], v[40:41], s[36:37], -v[44:45]
	v_fma_f64 v[31:32], v[27:28], v[31:32], s[60:61]
	s_delay_alu instid0(VALU_DEP_3) | instskip(NEXT) | instid1(VALU_DEP_2)
	v_add_f64 v[25:26], v[29:30], -v[25:26]
	v_fma_f64 v[29:30], v[27:28], v[31:32], s[62:63]
	s_delay_alu instid0(VALU_DEP_4) | instskip(NEXT) | instid1(VALU_DEP_3)
	v_fma_f64 v[31:32], v[40:41], s[38:39], v[38:39]
	v_add_f64 v[21:22], v[21:22], v[25:26]
	s_delay_alu instid0(VALU_DEP_3) | instskip(NEXT) | instid1(VALU_DEP_3)
	v_fma_f64 v[25:26], v[27:28], v[29:30], s[64:65]
	v_add_f64 v[29:30], v[44:45], v[31:32]
	s_delay_alu instid0(VALU_DEP_3) | instskip(NEXT) | instid1(VALU_DEP_3)
	v_add_f64 v[38:39], v[42:43], v[21:22]
	v_fma_f64 v[25:26], v[27:28], v[25:26], s[66:67]
	s_delay_alu instid0(VALU_DEP_3) | instskip(NEXT) | instid1(VALU_DEP_3)
	v_add_f64 v[44:45], v[29:30], -v[44:45]
	v_add_f64 v[40:41], v[29:30], v[38:39]
	v_add_f64 v[42:43], v[38:39], -v[42:43]
	s_delay_alu instid0(VALU_DEP_4) | instskip(NEXT) | instid1(VALU_DEP_4)
	v_fma_f64 v[25:26], v[27:28], v[25:26], s[68:69]
	v_add_f64 v[31:32], v[31:32], -v[44:45]
	s_delay_alu instid0(VALU_DEP_4) | instskip(NEXT) | instid1(VALU_DEP_4)
	v_add_f64 v[46:47], v[40:41], -v[29:30]
	v_add_f64 v[21:22], v[21:22], -v[42:43]
	s_delay_alu instid0(VALU_DEP_4) | instskip(NEXT) | instid1(VALU_DEP_3)
	v_fma_f64 v[25:26], v[27:28], v[25:26], s[70:71]
	v_add_f64 v[48:49], v[40:41], -v[46:47]
	v_add_f64 v[38:39], v[38:39], -v[46:47]
	s_delay_alu instid0(VALU_DEP_4) | instskip(NEXT) | instid1(VALU_DEP_4)
	v_add_f64 v[42:43], v[31:32], v[21:22]
	v_fma_f64 v[25:26], v[27:28], v[25:26], s[72:73]
	s_delay_alu instid0(VALU_DEP_4) | instskip(NEXT) | instid1(VALU_DEP_2)
	v_add_f64 v[29:30], v[29:30], -v[48:49]
	v_fma_f64 v[25:26], v[27:28], v[25:26], s[74:75]
	s_delay_alu instid0(VALU_DEP_2) | instskip(SKIP_1) | instid1(VALU_DEP_3)
	v_add_f64 v[29:30], v[38:39], v[29:30]
	v_add_f64 v[38:39], v[42:43], -v[31:32]
	v_fma_f64 v[25:26], v[27:28], v[25:26], s[76:77]
	s_delay_alu instid0(VALU_DEP_3) | instskip(NEXT) | instid1(VALU_DEP_3)
	v_add_f64 v[29:30], v[42:43], v[29:30]
	v_add_f64 v[42:43], v[42:43], -v[38:39]
	v_add_f64 v[21:22], v[21:22], -v[38:39]
	s_delay_alu instid0(VALU_DEP_4) | instskip(NEXT) | instid1(VALU_DEP_4)
	v_fma_f64 v[25:26], v[27:28], v[25:26], s[78:79]
	v_add_f64 v[44:45], v[40:41], v[29:30]
	s_delay_alu instid0(VALU_DEP_2) | instskip(SKIP_1) | instid1(VALU_DEP_3)
	v_mul_f64 v[25:26], v[27:28], v[25:26]
	v_add_f64 v[27:28], v[31:32], -v[42:43]
	v_add_f64 v[31:32], v[44:45], -v[40:41]
	s_delay_alu instid0(VALU_DEP_3) | instskip(NEXT) | instid1(VALU_DEP_3)
	v_fma_f64 v[23:24], v[23:24], v[25:26], v[23:24]
	v_add_f64 v[21:22], v[21:22], v[27:28]
	s_delay_alu instid0(VALU_DEP_3) | instskip(NEXT) | instid1(VALU_DEP_3)
	v_add_f64 v[25:26], v[29:30], -v[31:32]
	v_add_f64 v[27:28], -v[23:24], s[80:81]
	s_delay_alu instid0(VALU_DEP_2) | instskip(NEXT) | instid1(VALU_DEP_2)
	v_add_f64 v[21:22], v[21:22], v[25:26]
	v_cndmask_b32_e64 v24, v24, v28, s0
	s_delay_alu instid0(VALU_DEP_3) | instskip(SKIP_1) | instid1(VALU_DEP_2)
	v_cndmask_b32_e64 v23, v23, v27, s0
	v_cndmask_b32_e64 v27, 0x54442d18, v54, s1
	v_add_f64 v[25:26], -v[23:24], s[10:11]
	v_add_f64 v[21:22], v[44:45], v[21:22]
	v_and_b32_e32 v28, 0x54442d18, v18
	s_delay_alu instid0(VALU_DEP_3) | instskip(NEXT) | instid1(VALU_DEP_4)
	v_cndmask_b32_e64 v25, v23, v25, s1
	v_cndmask_b32_e64 v18, v24, v26, s1
	v_cmp_nge_f64_e64 s1, -1.0, v[19:20]
	v_dual_cndmask_b32 v21, v21, v19 :: v_dual_cndmask_b32 v22, v22, v20
	v_cmp_eq_f64_e32 vcc_lo, 0, v[12:13]
	s_delay_alu instid0(VALU_DEP_2) | instskip(SKIP_2) | instid1(VALU_DEP_3)
	v_mul_f64 v[22:23], v[21:22], 0.5
	v_dual_cndmask_b32 v24, v25, v28 :: v_dual_cndmask_b32 v11, v18, v11
	v_cmp_ngt_f64_e32 vcc_lo, -1.0, v[19:20]
	v_cndmask_b32_e64 v18, 0, v22, s1
	v_cmp_neq_f64_e64 s1, -1.0, v[19:20]
	v_cndmask_b32_e32 v23, 0x7ff80000, v23, vcc_lo
	s_and_b32 vcc_lo, s4, s3
	v_dual_cndmask_b32 v21, v11, v10 :: v_dual_cndmask_b32 v20, v24, v27
	s_delay_alu instid0(VALU_DEP_2)
	v_cndmask_b32_e64 v19, 0xfff00000, v23, s1
                                        ; implicit-def: $vgpr22_vgpr23
                                        ; implicit-def: $vgpr24_vgpr25
.LBB174_168:                            ;   in Loop: Header=BB174_162 Depth=1
	s_and_not1_saveexec_b32 s96, s2
	s_cbranch_execz .LBB174_176
; %bb.169:                              ;   in Loop: Header=BB174_162 Depth=1
	v_mul_f64 v[18:19], v[22:23], v[22:23]
	s_mov_b32 s1, exec_lo
	s_delay_alu instid0(VALU_DEP_1) | instskip(NEXT) | instid1(VALU_DEP_1)
	v_fma_f64 v[20:21], v[24:25], v[24:25], v[18:19]
                                        ; implicit-def: $vgpr18_vgpr19
	v_cmpx_ge_f64_e32 s[82:83], v[20:21]
	s_xor_b32 s3, exec_lo, s1
	s_cbranch_execz .LBB174_171
; %bb.170:                              ;   in Loop: Header=BB174_162 Depth=1
	v_frexp_mant_f64_e32 v[18:19], v[20:21]
	v_max_f64 v[30:31], |v[10:11]|, |v[10:11]|
	s_mov_b32 s89, s21
	s_mov_b32 s10, s80
	v_cmp_class_f64_e64 s4, v[12:13], 0x204
	v_cmp_class_f64_e64 s5, v[10:11], 0x204
	v_cmp_neq_f64_e64 s2, 0, v[20:21]
	v_cmp_gt_f64_e64 s1, s[20:21], v[18:19]
	s_delay_alu instid0(VALU_DEP_1) | instskip(NEXT) | instid1(VALU_DEP_1)
	v_cndmask_b32_e64 v35, 0x3ff00000, 2.0, s1
	v_mul_f64 v[18:19], v[18:19], v[34:35]
	v_frexp_exp_i32_f64_e32 v35, v[20:21]
	s_delay_alu instid0(VALU_DEP_2) | instskip(SKIP_1) | instid1(VALU_DEP_2)
	v_add_f64 v[22:23], v[18:19], 1.0
	v_add_f64 v[28:29], v[18:19], -1.0
	v_rcp_f64_e32 v[24:25], v[22:23]
	s_waitcnt_depctr 0xfff
	v_fma_f64 v[26:27], -v[22:23], v[24:25], 1.0
	s_delay_alu instid0(VALU_DEP_1) | instskip(NEXT) | instid1(VALU_DEP_1)
	v_fma_f64 v[24:25], v[26:27], v[24:25], v[24:25]
	v_fma_f64 v[26:27], -v[22:23], v[24:25], 1.0
	s_delay_alu instid0(VALU_DEP_1) | instskip(SKIP_1) | instid1(VALU_DEP_2)
	v_fma_f64 v[24:25], v[26:27], v[24:25], v[24:25]
	v_max_f64 v[26:27], |v[12:13]|, |v[12:13]|
	v_mul_f64 v[32:33], v[28:29], v[24:25]
	s_delay_alu instid0(VALU_DEP_2) | instskip(SKIP_2) | instid1(VALU_DEP_4)
	v_max_f64 v[38:39], v[30:31], v[26:27]
	v_min_f64 v[26:27], v[30:31], v[26:27]
	v_add_f64 v[30:31], v[22:23], -1.0
	v_mul_f64 v[40:41], v[22:23], v[32:33]
	s_delay_alu instid0(VALU_DEP_3) | instskip(NEXT) | instid1(VALU_DEP_3)
	v_div_scale_f64 v[42:43], null, v[38:39], v[38:39], v[26:27]
	v_add_f64 v[18:19], v[18:19], -v[30:31]
	v_div_scale_f64 v[48:49], vcc_lo, v[26:27], v[38:39], v[26:27]
	s_delay_alu instid0(VALU_DEP_4) | instskip(NEXT) | instid1(VALU_DEP_4)
	v_fma_f64 v[22:23], v[32:33], v[22:23], -v[40:41]
	v_rcp_f64_e32 v[30:31], v[42:43]
	s_delay_alu instid0(VALU_DEP_1) | instskip(SKIP_3) | instid1(VALU_DEP_2)
	v_fma_f64 v[18:19], v[32:33], v[18:19], v[22:23]
	s_waitcnt_depctr 0xfff
	v_fma_f64 v[22:23], -v[42:43], v[30:31], 1.0
	v_add_f64 v[44:45], v[40:41], v[18:19]
	v_fma_f64 v[22:23], v[30:31], v[22:23], v[30:31]
	s_delay_alu instid0(VALU_DEP_2) | instskip(SKIP_1) | instid1(VALU_DEP_3)
	v_add_f64 v[30:31], v[28:29], -v[44:45]
	v_add_f64 v[40:41], v[44:45], -v[40:41]
	v_fma_f64 v[46:47], -v[42:43], v[22:23], 1.0
	s_delay_alu instid0(VALU_DEP_3) | instskip(NEXT) | instid1(VALU_DEP_3)
	v_add_f64 v[28:29], v[28:29], -v[30:31]
	v_add_f64 v[18:19], v[40:41], -v[18:19]
	s_delay_alu instid0(VALU_DEP_3) | instskip(NEXT) | instid1(VALU_DEP_3)
	v_fma_f64 v[22:23], v[22:23], v[46:47], v[22:23]
	v_add_f64 v[28:29], v[28:29], -v[44:45]
	s_delay_alu instid0(VALU_DEP_2) | instskip(NEXT) | instid1(VALU_DEP_2)
	v_mul_f64 v[40:41], v[48:49], v[22:23]
	v_add_f64 v[18:19], v[18:19], v[28:29]
	s_delay_alu instid0(VALU_DEP_2) | instskip(NEXT) | instid1(VALU_DEP_2)
	v_fma_f64 v[28:29], -v[42:43], v[40:41], v[48:49]
	v_add_f64 v[18:19], v[30:31], v[18:19]
	s_delay_alu instid0(VALU_DEP_2)
	v_div_fmas_f64 v[22:23], v[28:29], v[22:23], v[40:41]
	v_subrev_co_ci_u32_e64 v35, vcc_lo, 0, v35, s1
	v_cmp_eq_f64_e64 s1, 0, v[12:13]
	v_cmp_gt_i32_e32 vcc_lo, 0, v11
	v_mul_f64 v[18:19], v[24:25], v[18:19]
	v_div_fixup_f64 v[22:23], v[22:23], v[38:39], v[26:27]
	s_delay_alu instid0(VALU_DEP_2) | instskip(NEXT) | instid1(VALU_DEP_2)
	v_add_f64 v[24:25], v[32:33], v[18:19]
	v_mul_f64 v[26:27], v[22:23], v[22:23]
	s_delay_alu instid0(VALU_DEP_2) | instskip(NEXT) | instid1(VALU_DEP_2)
	v_mul_f64 v[28:29], v[24:25], v[24:25]
	v_fma_f64 v[30:31], v[26:27], s[42:43], s[40:41]
	s_delay_alu instid0(VALU_DEP_2) | instskip(SKIP_1) | instid1(VALU_DEP_3)
	v_fma_f64 v[38:39], v[28:29], s[24:25], s[22:23]
	v_mul_f64 v[40:41], v[24:25], v[28:29]
	v_fma_f64 v[30:31], v[26:27], v[30:31], s[44:45]
	s_delay_alu instid0(VALU_DEP_3) | instskip(NEXT) | instid1(VALU_DEP_2)
	v_fma_f64 v[38:39], v[28:29], v[38:39], s[26:27]
	v_fma_f64 v[30:31], v[26:27], v[30:31], s[46:47]
	s_delay_alu instid0(VALU_DEP_2) | instskip(NEXT) | instid1(VALU_DEP_2)
	v_fma_f64 v[38:39], v[28:29], v[38:39], s[28:29]
	v_fma_f64 v[30:31], v[26:27], v[30:31], s[48:49]
	s_delay_alu instid0(VALU_DEP_2) | instskip(NEXT) | instid1(VALU_DEP_2)
	;; [unrolled: 3-line block ×3, first 2 shown]
	v_fma_f64 v[38:39], v[28:29], v[38:39], s[34:35]
	v_fma_f64 v[30:31], v[26:27], v[30:31], s[52:53]
	s_delay_alu instid0(VALU_DEP_2) | instskip(SKIP_2) | instid1(VALU_DEP_4)
	v_fma_f64 v[28:29], v[28:29], v[38:39], s[88:89]
	v_ldexp_f64 v[38:39], v[24:25], 1
	v_add_f64 v[24:25], v[24:25], -v[32:33]
	v_fma_f64 v[30:31], v[26:27], v[30:31], s[54:55]
	s_delay_alu instid0(VALU_DEP_4) | instskip(SKIP_1) | instid1(VALU_DEP_4)
	v_mul_f64 v[28:29], v[40:41], v[28:29]
	v_cvt_f64_i32_e32 v[40:41], v35
	v_add_f64 v[18:19], v[18:19], -v[24:25]
	s_delay_alu instid0(VALU_DEP_4) | instskip(NEXT) | instid1(VALU_DEP_4)
	v_fma_f64 v[30:31], v[26:27], v[30:31], s[56:57]
	v_add_f64 v[32:33], v[38:39], v[28:29]
	s_delay_alu instid0(VALU_DEP_4) | instskip(NEXT) | instid1(VALU_DEP_4)
	v_mul_f64 v[42:43], v[40:41], s[36:37]
	v_ldexp_f64 v[18:19], v[18:19], 1
	s_delay_alu instid0(VALU_DEP_4) | instskip(NEXT) | instid1(VALU_DEP_4)
	v_fma_f64 v[30:31], v[26:27], v[30:31], s[58:59]
	v_add_f64 v[24:25], v[32:33], -v[38:39]
	s_delay_alu instid0(VALU_DEP_4) | instskip(NEXT) | instid1(VALU_DEP_3)
	v_fma_f64 v[38:39], v[40:41], s[36:37], -v[42:43]
	v_fma_f64 v[30:31], v[26:27], v[30:31], s[60:61]
	s_delay_alu instid0(VALU_DEP_3) | instskip(NEXT) | instid1(VALU_DEP_2)
	v_add_f64 v[24:25], v[28:29], -v[24:25]
	v_fma_f64 v[28:29], v[26:27], v[30:31], s[62:63]
	s_delay_alu instid0(VALU_DEP_4) | instskip(NEXT) | instid1(VALU_DEP_3)
	v_fma_f64 v[30:31], v[40:41], s[38:39], v[38:39]
	v_add_f64 v[18:19], v[18:19], v[24:25]
	s_delay_alu instid0(VALU_DEP_3) | instskip(NEXT) | instid1(VALU_DEP_3)
	v_fma_f64 v[24:25], v[26:27], v[28:29], s[64:65]
	v_add_f64 v[28:29], v[42:43], v[30:31]
	s_delay_alu instid0(VALU_DEP_3) | instskip(NEXT) | instid1(VALU_DEP_3)
	v_add_f64 v[38:39], v[32:33], v[18:19]
	v_fma_f64 v[24:25], v[26:27], v[24:25], s[66:67]
	s_delay_alu instid0(VALU_DEP_3) | instskip(NEXT) | instid1(VALU_DEP_3)
	v_add_f64 v[42:43], v[28:29], -v[42:43]
	v_add_f64 v[40:41], v[28:29], v[38:39]
	v_add_f64 v[32:33], v[38:39], -v[32:33]
	s_delay_alu instid0(VALU_DEP_4) | instskip(NEXT) | instid1(VALU_DEP_4)
	v_fma_f64 v[24:25], v[26:27], v[24:25], s[68:69]
	v_add_f64 v[30:31], v[30:31], -v[42:43]
	s_delay_alu instid0(VALU_DEP_4) | instskip(NEXT) | instid1(VALU_DEP_4)
	v_add_f64 v[44:45], v[40:41], -v[28:29]
	v_add_f64 v[18:19], v[18:19], -v[32:33]
	s_delay_alu instid0(VALU_DEP_4) | instskip(NEXT) | instid1(VALU_DEP_3)
	v_fma_f64 v[24:25], v[26:27], v[24:25], s[70:71]
	v_add_f64 v[46:47], v[40:41], -v[44:45]
	v_add_f64 v[32:33], v[38:39], -v[44:45]
	s_delay_alu instid0(VALU_DEP_4) | instskip(NEXT) | instid1(VALU_DEP_4)
	v_add_f64 v[38:39], v[30:31], v[18:19]
	v_fma_f64 v[24:25], v[26:27], v[24:25], s[72:73]
	s_delay_alu instid0(VALU_DEP_4) | instskip(NEXT) | instid1(VALU_DEP_2)
	v_add_f64 v[28:29], v[28:29], -v[46:47]
	v_fma_f64 v[24:25], v[26:27], v[24:25], s[74:75]
	s_delay_alu instid0(VALU_DEP_2) | instskip(SKIP_1) | instid1(VALU_DEP_3)
	v_add_f64 v[28:29], v[32:33], v[28:29]
	v_add_f64 v[32:33], v[38:39], -v[30:31]
	v_fma_f64 v[24:25], v[26:27], v[24:25], s[76:77]
	s_delay_alu instid0(VALU_DEP_3) | instskip(NEXT) | instid1(VALU_DEP_3)
	v_add_f64 v[28:29], v[38:39], v[28:29]
	v_add_f64 v[38:39], v[38:39], -v[32:33]
	v_add_f64 v[18:19], v[18:19], -v[32:33]
	s_delay_alu instid0(VALU_DEP_4) | instskip(NEXT) | instid1(VALU_DEP_4)
	v_fma_f64 v[24:25], v[26:27], v[24:25], s[78:79]
	v_add_f64 v[42:43], v[40:41], v[28:29]
	s_delay_alu instid0(VALU_DEP_2) | instskip(SKIP_1) | instid1(VALU_DEP_3)
	v_mul_f64 v[24:25], v[26:27], v[24:25]
	v_add_f64 v[26:27], v[30:31], -v[38:39]
	v_add_f64 v[30:31], v[42:43], -v[40:41]
	s_delay_alu instid0(VALU_DEP_3) | instskip(NEXT) | instid1(VALU_DEP_3)
	v_fma_f64 v[22:23], v[22:23], v[24:25], v[22:23]
	v_add_f64 v[18:19], v[18:19], v[26:27]
	s_delay_alu instid0(VALU_DEP_3) | instskip(NEXT) | instid1(VALU_DEP_3)
	v_add_f64 v[24:25], v[28:29], -v[30:31]
	v_add_f64 v[26:27], -v[22:23], s[80:81]
	s_delay_alu instid0(VALU_DEP_2) | instskip(NEXT) | instid1(VALU_DEP_2)
	v_add_f64 v[18:19], v[18:19], v[24:25]
	v_cndmask_b32_e64 v23, v23, v27, s0
	s_delay_alu instid0(VALU_DEP_3) | instskip(SKIP_2) | instid1(VALU_DEP_3)
	v_cndmask_b32_e64 v22, v22, v26, s0
	v_ashrrev_i32_e32 v26, 31, v11
	v_cndmask_b32_e32 v27, 0x54442d18, v54, vcc_lo
	v_add_f64 v[24:25], -v[22:23], s[10:11]
	s_delay_alu instid0(VALU_DEP_3) | instskip(SKIP_1) | instid1(VALU_DEP_3)
	v_and_b32_e32 v28, 0x54442d18, v26
	v_add_f64 v[18:19], v[42:43], v[18:19]
	v_cndmask_b32_e32 v22, v22, v24, vcc_lo
	s_delay_alu instid0(VALU_DEP_4) | instskip(NEXT) | instid1(VALU_DEP_3)
	v_cndmask_b32_e32 v20, v23, v25, vcc_lo
                                        ; implicit-def: $vgpr24_vgpr25
	v_mul_f64 v[10:11], v[18:19], 0.5
	v_and_b32_e32 v19, 0x400921fb, v26
	v_cndmask_b32_e32 v18, 0x3fe921fb, v55, vcc_lo
	v_cndmask_b32_e64 v22, v22, v28, s1
	s_and_b32 vcc_lo, s5, s4
	s_delay_alu instid0(VALU_DEP_3) | instskip(NEXT) | instid1(VALU_DEP_3)
	v_cndmask_b32_e64 v19, v20, v19, s1
	v_bfi_b32 v18, 0x7fffffff, v18, v13
	s_delay_alu instid0(VALU_DEP_3) | instskip(NEXT) | instid1(VALU_DEP_2)
	v_cndmask_b32_e32 v20, v22, v27, vcc_lo
                                        ; implicit-def: $vgpr22_vgpr23
	v_cndmask_b32_e32 v21, v19, v18, vcc_lo
	v_cndmask_b32_e64 v19, 0xfff00000, v11, s2
	v_cndmask_b32_e64 v18, 0, v10, s2
.LBB174_171:                            ;   in Loop: Header=BB174_162 Depth=1
	s_and_not1_saveexec_b32 s97, s3
	s_cbranch_execz .LBB174_175
; %bb.172:                              ;   in Loop: Header=BB174_162 Depth=1
	v_dual_mov_b32 v20, v34 :: v_dual_and_b32 v35, 0x7ffffff8, v25
	v_dual_mov_b32 v26, v34 :: v_dual_and_b32 v21, 0x7ffffff8, v23
	s_mov_b32 s89, 0
	s_delay_alu instid0(VALU_DEP_2) | instskip(SKIP_1) | instid1(VALU_DEP_3)
	v_add_f64 v[18:19], v[24:25], -v[34:35]
	v_mov_b32_e32 v28, v34
	v_add_f64 v[22:23], v[22:23], -v[20:21]
	v_add_f64 v[30:31], v[34:35], v[34:35]
	v_add_f64 v[42:43], v[20:21], v[20:21]
	v_mul_f64 v[24:25], v[20:21], v[20:21]
	v_and_b32_e32 v27, -8, v19
	v_and_b32_e32 v29, -8, v23
	s_delay_alu instid0(VALU_DEP_2) | instskip(SKIP_1) | instid1(VALU_DEP_3)
	v_add_f64 v[44:45], v[18:19], -v[26:27]
	v_add_f64 v[48:49], v[26:27], v[26:27]
	v_add_f64 v[46:47], v[22:23], -v[28:29]
	v_add_f64 v[50:51], v[28:29], v[28:29]
	v_mul_f64 v[18:19], v[34:35], v[34:35]
	v_mul_f64 v[40:41], v[30:31], v[26:27]
	;; [unrolled: 1-line block ×11, first 2 shown]
.LBB174_173:                            ;   Parent Loop BB174_162 Depth=1
                                        ; =>  This Inner Loop Header: Depth=2
	v_cmp_nlt_f64_e32 vcc_lo, v[18:19], v[24:25]
	v_dual_cndmask_b32 v47, v19, v25 :: v_dual_cndmask_b32 v46, v18, v24
	v_dual_cndmask_b32 v19, v25, v19 :: v_dual_cndmask_b32 v18, v24, v18
	s_delay_alu instid0(VALU_DEP_2) | instskip(NEXT) | instid1(VALU_DEP_1)
	v_cmp_nlt_f64_e64 s1, v[46:47], v[40:41]
	v_cndmask_b32_e64 v49, v47, v41, s1
	v_cndmask_b32_e64 v48, v46, v40, s1
	;; [unrolled: 1-line block ×4, first 2 shown]
	s_and_b32 s1, vcc_lo, s1
	s_delay_alu instid0(VALU_DEP_3) | instskip(NEXT) | instid1(VALU_DEP_1)
	v_cmp_nlt_f64_e64 s2, v[48:49], v[22:23]
	v_cndmask_b32_e64 v51, v49, v23, s2
	v_cndmask_b32_e64 v50, v48, v22, s2
	;; [unrolled: 1-line block ×4, first 2 shown]
	s_delay_alu instid0(VALU_DEP_3) | instskip(NEXT) | instid1(VALU_DEP_1)
	v_cmp_nlt_f64_e64 s3, v[50:51], v[38:39]
	v_cndmask_b32_e64 v53, v51, v39, s3
	v_cndmask_b32_e64 v52, v50, v38, s3
	;; [unrolled: 1-line block ×4, first 2 shown]
	s_and_b32 s2, s2, s3
	s_delay_alu instid0(VALU_DEP_3) | instskip(NEXT) | instid1(VALU_DEP_1)
	v_cmp_nlt_f64_e64 s4, v[52:53], v[20:21]
	v_cndmask_b32_e64 v57, v53, v21, s4
	v_cndmask_b32_e64 v56, v52, v20, s4
	;; [unrolled: 1-line block ×4, first 2 shown]
	s_delay_alu instid0(VALU_DEP_3) | instskip(NEXT) | instid1(VALU_DEP_1)
	v_cmp_nlt_f64_e64 s5, v[56:57], v[32:33]
	v_cndmask_b32_e64 v59, v57, v33, s5
	v_cndmask_b32_e64 v58, v56, v32, s5
	s_and_b32 s3, s4, s5
	v_cndmask_b32_e64 v21, v33, v57, s5
	v_cndmask_b32_e64 v20, v32, v56, s5
	s_delay_alu instid0(VALU_DEP_3) | instskip(NEXT) | instid1(VALU_DEP_1)
	v_cmp_nlt_f64_e64 s6, v[58:59], v[30:31]
	v_cndmask_b32_e64 v61, v59, v31, s6
	v_cndmask_b32_e64 v60, v58, v30, s6
	s_and_b32 s3, s3, s6
	v_cndmask_b32_e64 v33, v31, v59, s6
	v_cndmask_b32_e64 v32, v30, v58, s6
	;; [unrolled: 7-line block ×5, first 2 shown]
	s_delay_alu instid0(VALU_DEP_3) | instskip(NEXT) | instid1(VALU_DEP_1)
	v_cmp_nlt_f64_e64 s10, v[66:67], v[44:45]
	v_cndmask_b32_e64 v47, v67, v45, s10
	v_cndmask_b32_e64 v46, v66, v44, s10
	s_and_b32 s3, s3, s10
	v_cndmask_b32_e64 v43, v45, v67, s10
	s_and_b32 s2, s3, s2
	v_cndmask_b32_e64 v42, v44, v66, s10
	s_and_b32 s1, s2, s1
	v_dual_mov_b32 v44, v46 :: v_dual_mov_b32 v45, v47
	s_and_b32 s1, exec_lo, s1
	s_delay_alu instid0(SALU_CYCLE_1) | instskip(NEXT) | instid1(SALU_CYCLE_1)
	s_or_b32 s89, s1, s89
	s_and_not1_b32 exec_lo, exec_lo, s89
	s_cbranch_execnz .LBB174_173
; %bb.174:                              ;   in Loop: Header=BB174_162 Depth=1
	s_or_b32 exec_lo, exec_lo, s89
	v_add_f64 v[18:19], v[18:19], -1.0
	s_mov_b32 s89, s21
	s_mov_b32 s10, s80
	v_cmp_gt_i32_e64 s1, 0, v11
	v_cmp_class_f64_e64 s3, v[10:11], 0x204
	v_cmp_class_f64_e64 s2, v[12:13], 0x204
	s_delay_alu instid0(VALU_DEP_4) | instskip(NEXT) | instid1(VALU_DEP_1)
	v_add_f64 v[18:19], v[18:19], v[24:25]
	v_add_f64 v[18:19], v[18:19], v[40:41]
	s_delay_alu instid0(VALU_DEP_1) | instskip(NEXT) | instid1(VALU_DEP_1)
	v_add_f64 v[18:19], v[18:19], v[22:23]
	v_add_f64 v[18:19], v[18:19], v[38:39]
	s_delay_alu instid0(VALU_DEP_1) | instskip(NEXT) | instid1(VALU_DEP_1)
	;; [unrolled: 3-line block ×5, first 2 shown]
	v_add_f64 v[19:20], v[46:47], v[18:19]
	v_add_f64 v[21:22], v[19:20], 1.0
	s_delay_alu instid0(VALU_DEP_1) | instskip(SKIP_2) | instid1(VALU_DEP_3)
	v_frexp_mant_f64_e32 v[23:24], v[21:22]
	v_frexp_exp_i32_f64_e32 v18, v[21:22]
	v_add_f64 v[25:26], v[21:22], -1.0
	v_cmp_gt_f64_e32 vcc_lo, s[20:21], v[23:24]
	s_delay_alu instid0(VALU_DEP_2) | instskip(SKIP_2) | instid1(VALU_DEP_3)
	v_add_f64 v[23:24], v[25:26], -v[21:22]
	v_add_f64 v[25:26], v[19:20], -v[25:26]
	v_subrev_co_ci_u32_e32 v18, vcc_lo, 0, v18, vcc_lo
	v_add_f64 v[23:24], v[23:24], 1.0
	s_delay_alu instid0(VALU_DEP_2) | instskip(NEXT) | instid1(VALU_DEP_1)
	v_sub_nc_u32_e32 v29, 0, v18
	v_ldexp_f64 v[21:22], v[21:22], v29
	s_delay_alu instid0(VALU_DEP_3) | instskip(NEXT) | instid1(VALU_DEP_2)
	v_add_f64 v[23:24], v[25:26], v[23:24]
	v_add_f64 v[27:28], v[21:22], 1.0
	v_add_f64 v[38:39], v[21:22], -1.0
	s_delay_alu instid0(VALU_DEP_3) | instskip(NEXT) | instid1(VALU_DEP_3)
	v_ldexp_f64 v[23:24], v[23:24], v29
	v_add_f64 v[25:26], v[27:28], -1.0
	s_delay_alu instid0(VALU_DEP_3) | instskip(NEXT) | instid1(VALU_DEP_2)
	v_add_f64 v[40:41], v[38:39], 1.0
	v_add_f64 v[25:26], v[21:22], -v[25:26]
	s_delay_alu instid0(VALU_DEP_2) | instskip(NEXT) | instid1(VALU_DEP_2)
	v_add_f64 v[21:22], v[21:22], -v[40:41]
	v_add_f64 v[25:26], v[23:24], v[25:26]
	s_delay_alu instid0(VALU_DEP_2) | instskip(NEXT) | instid1(VALU_DEP_2)
	v_add_f64 v[21:22], v[23:24], v[21:22]
	v_add_f64 v[29:30], v[27:28], v[25:26]
	s_delay_alu instid0(VALU_DEP_2) | instskip(NEXT) | instid1(VALU_DEP_2)
	v_add_f64 v[40:41], v[38:39], v[21:22]
	v_rcp_f64_e32 v[31:32], v[29:30]
	v_add_f64 v[27:28], v[29:30], -v[27:28]
	s_delay_alu instid0(VALU_DEP_2) | instskip(NEXT) | instid1(VALU_DEP_2)
	v_add_f64 v[38:39], v[40:41], -v[38:39]
	v_add_f64 v[25:26], v[25:26], -v[27:28]
	s_waitcnt_depctr 0xfff
	v_fma_f64 v[42:43], -v[29:30], v[31:32], 1.0
	v_add_f64 v[21:22], v[21:22], -v[38:39]
	s_delay_alu instid0(VALU_DEP_2) | instskip(NEXT) | instid1(VALU_DEP_1)
	v_fma_f64 v[31:32], v[42:43], v[31:32], v[31:32]
	v_fma_f64 v[23:24], -v[29:30], v[31:32], 1.0
	s_delay_alu instid0(VALU_DEP_1) | instskip(NEXT) | instid1(VALU_DEP_1)
	v_fma_f64 v[23:24], v[23:24], v[31:32], v[31:32]
	v_mul_f64 v[31:32], v[40:41], v[23:24]
	s_delay_alu instid0(VALU_DEP_1) | instskip(NEXT) | instid1(VALU_DEP_1)
	v_mul_f64 v[42:43], v[29:30], v[31:32]
	v_fma_f64 v[27:28], v[31:32], v[29:30], -v[42:43]
	s_delay_alu instid0(VALU_DEP_1) | instskip(NEXT) | instid1(VALU_DEP_1)
	v_fma_f64 v[27:28], v[31:32], v[25:26], v[27:28]
	v_add_f64 v[44:45], v[42:43], v[27:28]
	s_delay_alu instid0(VALU_DEP_1) | instskip(SKIP_2) | instid1(VALU_DEP_3)
	v_add_f64 v[46:47], v[40:41], -v[44:45]
	v_add_f64 v[38:39], v[44:45], -v[42:43]
	v_max_f64 v[42:43], |v[12:13]|, |v[12:13]|
	v_add_f64 v[40:41], v[40:41], -v[46:47]
	s_delay_alu instid0(VALU_DEP_3) | instskip(NEXT) | instid1(VALU_DEP_2)
	v_add_f64 v[27:28], v[38:39], -v[27:28]
	v_add_f64 v[40:41], v[40:41], -v[44:45]
	v_max_f64 v[44:45], |v[10:11]|, |v[10:11]|
	v_cndmask_b32_e64 v10, 0x3fe921fb, v55, s1
	s_delay_alu instid0(VALU_DEP_1) | instskip(NEXT) | instid1(VALU_DEP_4)
	v_bfi_b32 v10, 0x7fffffff, v10, v13
	v_add_f64 v[21:22], v[21:22], v[40:41]
	s_delay_alu instid0(VALU_DEP_4) | instskip(SKIP_1) | instid1(VALU_DEP_3)
	v_max_f64 v[48:49], v[44:45], v[42:43]
	v_min_f64 v[42:43], v[44:45], v[42:43]
	v_add_f64 v[21:22], v[27:28], v[21:22]
	s_delay_alu instid0(VALU_DEP_1) | instskip(NEXT) | instid1(VALU_DEP_1)
	v_add_f64 v[27:28], v[46:47], v[21:22]
	v_mul_f64 v[38:39], v[23:24], v[27:28]
	v_add_f64 v[46:47], v[46:47], -v[27:28]
	s_delay_alu instid0(VALU_DEP_2) | instskip(NEXT) | instid1(VALU_DEP_2)
	v_mul_f64 v[40:41], v[29:30], v[38:39]
	v_add_f64 v[21:22], v[21:22], v[46:47]
	s_delay_alu instid0(VALU_DEP_2) | instskip(NEXT) | instid1(VALU_DEP_1)
	v_fma_f64 v[29:30], v[38:39], v[29:30], -v[40:41]
	v_fma_f64 v[25:26], v[38:39], v[25:26], v[29:30]
	v_div_scale_f64 v[29:30], null, v[48:49], v[48:49], v[42:43]
	s_delay_alu instid0(VALU_DEP_2) | instskip(NEXT) | instid1(VALU_DEP_2)
	v_add_f64 v[44:45], v[40:41], v[25:26]
	v_rcp_f64_e32 v[50:51], v[29:30]
	s_delay_alu instid0(VALU_DEP_1)
	v_add_f64 v[52:53], v[27:28], -v[44:45]
	v_add_f64 v[40:41], v[44:45], -v[40:41]
	s_waitcnt_depctr 0xfff
	v_fma_f64 v[56:57], -v[29:30], v[50:51], 1.0
	v_add_f64 v[27:28], v[27:28], -v[52:53]
	v_add_f64 v[25:26], v[40:41], -v[25:26]
	s_delay_alu instid0(VALU_DEP_3) | instskip(NEXT) | instid1(VALU_DEP_3)
	v_fma_f64 v[50:51], v[50:51], v[56:57], v[50:51]
	v_add_f64 v[27:28], v[27:28], -v[44:45]
	s_delay_alu instid0(VALU_DEP_2) | instskip(NEXT) | instid1(VALU_DEP_2)
	v_fma_f64 v[44:45], -v[29:30], v[50:51], 1.0
	v_add_f64 v[21:22], v[21:22], v[27:28]
	v_div_scale_f64 v[27:28], vcc_lo, v[42:43], v[48:49], v[42:43]
	s_delay_alu instid0(VALU_DEP_3) | instskip(SKIP_1) | instid1(VALU_DEP_4)
	v_fma_f64 v[40:41], v[50:51], v[44:45], v[50:51]
	v_add_f64 v[44:45], v[31:32], v[38:39]
	v_add_f64 v[21:22], v[25:26], v[21:22]
	s_delay_alu instid0(VALU_DEP_3) | instskip(NEXT) | instid1(VALU_DEP_3)
	v_mul_f64 v[25:26], v[27:28], v[40:41]
	v_add_f64 v[31:32], v[44:45], -v[31:32]
	s_delay_alu instid0(VALU_DEP_3) | instskip(NEXT) | instid1(VALU_DEP_3)
	v_add_f64 v[21:22], v[52:53], v[21:22]
	v_fma_f64 v[27:28], -v[29:30], v[25:26], v[27:28]
	s_delay_alu instid0(VALU_DEP_3) | instskip(NEXT) | instid1(VALU_DEP_3)
	v_add_f64 v[29:30], v[38:39], -v[31:32]
	v_mul_f64 v[21:22], v[23:24], v[21:22]
	s_delay_alu instid0(VALU_DEP_3) | instskip(SKIP_1) | instid1(VALU_DEP_3)
	v_div_fmas_f64 v[23:24], v[27:28], v[40:41], v[25:26]
	v_cmp_eq_f64_e32 vcc_lo, 0x7ff00000, v[19:20]
	v_add_f64 v[21:22], v[29:30], v[21:22]
	s_delay_alu instid0(VALU_DEP_3) | instskip(NEXT) | instid1(VALU_DEP_2)
	v_div_fixup_f64 v[23:24], v[23:24], v[48:49], v[42:43]
	v_add_f64 v[25:26], v[44:45], v[21:22]
	s_delay_alu instid0(VALU_DEP_2) | instskip(NEXT) | instid1(VALU_DEP_2)
	v_mul_f64 v[27:28], v[23:24], v[23:24]
	v_mul_f64 v[29:30], v[25:26], v[25:26]
	s_delay_alu instid0(VALU_DEP_2) | instskip(NEXT) | instid1(VALU_DEP_2)
	v_fma_f64 v[31:32], v[27:28], s[42:43], s[40:41]
	v_fma_f64 v[38:39], v[29:30], s[24:25], s[22:23]
	v_mul_f64 v[40:41], v[25:26], v[29:30]
	s_delay_alu instid0(VALU_DEP_3) | instskip(NEXT) | instid1(VALU_DEP_3)
	v_fma_f64 v[31:32], v[27:28], v[31:32], s[44:45]
	v_fma_f64 v[38:39], v[29:30], v[38:39], s[26:27]
	s_delay_alu instid0(VALU_DEP_2) | instskip(NEXT) | instid1(VALU_DEP_2)
	v_fma_f64 v[31:32], v[27:28], v[31:32], s[46:47]
	v_fma_f64 v[38:39], v[29:30], v[38:39], s[28:29]
	s_delay_alu instid0(VALU_DEP_2) | instskip(NEXT) | instid1(VALU_DEP_2)
	;; [unrolled: 3-line block ×4, first 2 shown]
	v_fma_f64 v[31:32], v[27:28], v[31:32], s[52:53]
	v_fma_f64 v[29:30], v[29:30], v[38:39], s[88:89]
	v_ldexp_f64 v[38:39], v[25:26], 1
	v_add_f64 v[25:26], v[25:26], -v[44:45]
	s_delay_alu instid0(VALU_DEP_4) | instskip(NEXT) | instid1(VALU_DEP_4)
	v_fma_f64 v[31:32], v[27:28], v[31:32], s[54:55]
	v_mul_f64 v[29:30], v[40:41], v[29:30]
	v_cvt_f64_i32_e32 v[40:41], v18
	s_delay_alu instid0(VALU_DEP_4) | instskip(NEXT) | instid1(VALU_DEP_4)
	v_add_f64 v[21:22], v[21:22], -v[25:26]
	v_fma_f64 v[31:32], v[27:28], v[31:32], s[56:57]
	v_ashrrev_i32_e32 v18, 31, v11
	s_delay_alu instid0(VALU_DEP_1) | instskip(SKIP_4) | instid1(VALU_DEP_4)
	v_and_b32_e32 v11, 0x400921fb, v18
	v_add_f64 v[42:43], v[38:39], v[29:30]
	v_mul_f64 v[44:45], v[40:41], s[36:37]
	v_ldexp_f64 v[21:22], v[21:22], 1
	v_fma_f64 v[31:32], v[27:28], v[31:32], s[58:59]
	v_add_f64 v[25:26], v[42:43], -v[38:39]
	s_delay_alu instid0(VALU_DEP_4) | instskip(NEXT) | instid1(VALU_DEP_3)
	v_fma_f64 v[38:39], v[40:41], s[36:37], -v[44:45]
	v_fma_f64 v[31:32], v[27:28], v[31:32], s[60:61]
	s_delay_alu instid0(VALU_DEP_3) | instskip(NEXT) | instid1(VALU_DEP_2)
	v_add_f64 v[25:26], v[29:30], -v[25:26]
	v_fma_f64 v[29:30], v[27:28], v[31:32], s[62:63]
	s_delay_alu instid0(VALU_DEP_4) | instskip(NEXT) | instid1(VALU_DEP_3)
	v_fma_f64 v[31:32], v[40:41], s[38:39], v[38:39]
	v_add_f64 v[21:22], v[21:22], v[25:26]
	s_delay_alu instid0(VALU_DEP_3) | instskip(NEXT) | instid1(VALU_DEP_3)
	v_fma_f64 v[25:26], v[27:28], v[29:30], s[64:65]
	v_add_f64 v[29:30], v[44:45], v[31:32]
	s_delay_alu instid0(VALU_DEP_3) | instskip(NEXT) | instid1(VALU_DEP_3)
	v_add_f64 v[38:39], v[42:43], v[21:22]
	v_fma_f64 v[25:26], v[27:28], v[25:26], s[66:67]
	s_delay_alu instid0(VALU_DEP_3) | instskip(NEXT) | instid1(VALU_DEP_3)
	v_add_f64 v[44:45], v[29:30], -v[44:45]
	v_add_f64 v[40:41], v[29:30], v[38:39]
	v_add_f64 v[42:43], v[38:39], -v[42:43]
	s_delay_alu instid0(VALU_DEP_4) | instskip(NEXT) | instid1(VALU_DEP_4)
	v_fma_f64 v[25:26], v[27:28], v[25:26], s[68:69]
	v_add_f64 v[31:32], v[31:32], -v[44:45]
	s_delay_alu instid0(VALU_DEP_4) | instskip(NEXT) | instid1(VALU_DEP_4)
	v_add_f64 v[46:47], v[40:41], -v[29:30]
	v_add_f64 v[21:22], v[21:22], -v[42:43]
	s_delay_alu instid0(VALU_DEP_4) | instskip(NEXT) | instid1(VALU_DEP_3)
	v_fma_f64 v[25:26], v[27:28], v[25:26], s[70:71]
	v_add_f64 v[48:49], v[40:41], -v[46:47]
	v_add_f64 v[38:39], v[38:39], -v[46:47]
	s_delay_alu instid0(VALU_DEP_4) | instskip(NEXT) | instid1(VALU_DEP_4)
	v_add_f64 v[42:43], v[31:32], v[21:22]
	v_fma_f64 v[25:26], v[27:28], v[25:26], s[72:73]
	s_delay_alu instid0(VALU_DEP_4) | instskip(NEXT) | instid1(VALU_DEP_2)
	v_add_f64 v[29:30], v[29:30], -v[48:49]
	v_fma_f64 v[25:26], v[27:28], v[25:26], s[74:75]
	s_delay_alu instid0(VALU_DEP_2) | instskip(SKIP_1) | instid1(VALU_DEP_3)
	v_add_f64 v[29:30], v[38:39], v[29:30]
	v_add_f64 v[38:39], v[42:43], -v[31:32]
	v_fma_f64 v[25:26], v[27:28], v[25:26], s[76:77]
	s_delay_alu instid0(VALU_DEP_3) | instskip(NEXT) | instid1(VALU_DEP_3)
	v_add_f64 v[29:30], v[42:43], v[29:30]
	v_add_f64 v[42:43], v[42:43], -v[38:39]
	v_add_f64 v[21:22], v[21:22], -v[38:39]
	s_delay_alu instid0(VALU_DEP_4) | instskip(NEXT) | instid1(VALU_DEP_4)
	v_fma_f64 v[25:26], v[27:28], v[25:26], s[78:79]
	v_add_f64 v[44:45], v[40:41], v[29:30]
	s_delay_alu instid0(VALU_DEP_2) | instskip(SKIP_1) | instid1(VALU_DEP_3)
	v_mul_f64 v[25:26], v[27:28], v[25:26]
	v_add_f64 v[27:28], v[31:32], -v[42:43]
	v_add_f64 v[31:32], v[44:45], -v[40:41]
	s_delay_alu instid0(VALU_DEP_3) | instskip(NEXT) | instid1(VALU_DEP_3)
	v_fma_f64 v[23:24], v[23:24], v[25:26], v[23:24]
	v_add_f64 v[21:22], v[21:22], v[27:28]
	s_delay_alu instid0(VALU_DEP_3) | instskip(NEXT) | instid1(VALU_DEP_3)
	v_add_f64 v[25:26], v[29:30], -v[31:32]
	v_add_f64 v[27:28], -v[23:24], s[80:81]
	s_delay_alu instid0(VALU_DEP_2) | instskip(NEXT) | instid1(VALU_DEP_2)
	v_add_f64 v[21:22], v[21:22], v[25:26]
	v_cndmask_b32_e64 v24, v24, v28, s0
	s_delay_alu instid0(VALU_DEP_3) | instskip(SKIP_1) | instid1(VALU_DEP_2)
	v_cndmask_b32_e64 v23, v23, v27, s0
	v_cndmask_b32_e64 v27, 0x54442d18, v54, s1
	v_add_f64 v[25:26], -v[23:24], s[10:11]
	v_add_f64 v[21:22], v[44:45], v[21:22]
	v_and_b32_e32 v28, 0x54442d18, v18
	s_delay_alu instid0(VALU_DEP_3) | instskip(NEXT) | instid1(VALU_DEP_4)
	v_cndmask_b32_e64 v25, v23, v25, s1
	v_cndmask_b32_e64 v18, v24, v26, s1
	v_cmp_nge_f64_e64 s1, -1.0, v[19:20]
	v_dual_cndmask_b32 v21, v21, v19 :: v_dual_cndmask_b32 v22, v22, v20
	v_cmp_eq_f64_e32 vcc_lo, 0, v[12:13]
	s_delay_alu instid0(VALU_DEP_2) | instskip(SKIP_2) | instid1(VALU_DEP_3)
	v_mul_f64 v[22:23], v[21:22], 0.5
	v_dual_cndmask_b32 v24, v25, v28 :: v_dual_cndmask_b32 v11, v18, v11
	v_cmp_ngt_f64_e32 vcc_lo, -1.0, v[19:20]
	v_cndmask_b32_e64 v18, 0, v22, s1
	v_cmp_neq_f64_e64 s1, -1.0, v[19:20]
	v_cndmask_b32_e32 v23, 0x7ff80000, v23, vcc_lo
	s_and_b32 vcc_lo, s3, s2
	v_dual_cndmask_b32 v21, v11, v10 :: v_dual_cndmask_b32 v20, v24, v27
	s_delay_alu instid0(VALU_DEP_2)
	v_cndmask_b32_e64 v19, 0xfff00000, v23, s1
.LBB174_175:                            ;   in Loop: Header=BB174_162 Depth=1
	s_or_b32 exec_lo, exec_lo, s97
.LBB174_176:                            ;   in Loop: Header=BB174_162 Depth=1
	s_delay_alu instid0(SALU_CYCLE_1)
	s_or_b32 exec_lo, exec_lo, s96
.LBB174_177:                            ;   in Loop: Header=BB174_162 Depth=1
	s_and_not1_saveexec_b32 s3, s95
	s_cbranch_execz .LBB174_179
; %bb.178:                              ;   in Loop: Header=BB174_162 Depth=1
	v_max_f64 v[18:19], |v[12:13]|, |v[12:13]|
	v_max_f64 v[20:21], |v[10:11]|, |v[10:11]|
	v_cmp_class_f64_e64 s4, v[10:11], 0x204
	v_cmp_class_f64_e64 s5, v[12:13], 0x204
	s_mov_b32 s89, s21
	s_mov_b32 s10, s80
	v_cmp_eq_f64_e64 s2, 0, v[12:13]
	s_delay_alu instid0(VALU_DEP_4) | instskip(SKIP_1) | instid1(VALU_DEP_4)
	v_max_f64 v[22:23], v[20:21], v[18:19]
	v_min_f64 v[18:19], v[20:21], v[18:19]
	s_or_b32 s6, s4, s5
	s_delay_alu instid0(VALU_DEP_2) | instskip(NEXT) | instid1(VALU_DEP_1)
	v_frexp_exp_i32_f64_e32 v32, v[22:23]
	v_sub_nc_u32_e32 v26, 0, v32
	s_delay_alu instid0(VALU_DEP_1) | instskip(SKIP_1) | instid1(VALU_DEP_2)
	v_ldexp_f64 v[24:25], |v[12:13]|, v26
	v_ldexp_f64 v[26:27], |v[10:11]|, v26
	v_mul_f64 v[24:25], v[24:25], v[24:25]
	s_delay_alu instid0(VALU_DEP_1) | instskip(NEXT) | instid1(VALU_DEP_1)
	v_fma_f64 v[24:25], v[26:27], v[26:27], v[24:25]
	v_rsq_f64_e32 v[26:27], v[24:25]
	v_cmp_eq_f64_e32 vcc_lo, 0, v[24:25]
	s_waitcnt_depctr 0xfff
	v_mul_f64 v[28:29], v[24:25], v[26:27]
	v_mul_f64 v[26:27], v[26:27], 0.5
	s_delay_alu instid0(VALU_DEP_1) | instskip(NEXT) | instid1(VALU_DEP_1)
	v_fma_f64 v[30:31], -v[26:27], v[28:29], 0.5
	v_fma_f64 v[28:29], v[28:29], v[30:31], v[28:29]
	v_fma_f64 v[26:27], v[26:27], v[30:31], v[26:27]
	s_delay_alu instid0(VALU_DEP_2) | instskip(NEXT) | instid1(VALU_DEP_1)
	v_fma_f64 v[30:31], -v[28:29], v[28:29], v[24:25]
	v_fma_f64 v[26:27], v[30:31], v[26:27], v[28:29]
	s_delay_alu instid0(VALU_DEP_1) | instskip(SKIP_1) | instid1(VALU_DEP_2)
	v_dual_cndmask_b32 v25, v27, v25 :: v_dual_cndmask_b32 v24, v26, v24
	v_div_scale_f64 v[50:51], vcc_lo, v[18:19], v[22:23], v[18:19]
	v_ldexp_f64 v[24:25], v[24:25], v32
	s_delay_alu instid0(VALU_DEP_1) | instskip(NEXT) | instid1(VALU_DEP_2)
	v_cndmask_b32_e64 v27, v25, 0x7ff00000, s6
	v_cndmask_b32_e64 v26, v24, 0, s6
	s_delay_alu instid0(VALU_DEP_1) | instskip(SKIP_1) | instid1(VALU_DEP_2)
	v_frexp_mant_f64_e32 v[28:29], v[26:27]
	v_frexp_exp_i32_f64_e32 v10, v[26:27]
	v_cmp_gt_f64_e64 s1, s[20:21], v[28:29]
	s_delay_alu instid0(VALU_DEP_1) | instskip(NEXT) | instid1(VALU_DEP_1)
	v_cndmask_b32_e64 v35, 0x3ff00000, 2.0, s1
	v_mul_f64 v[28:29], v[28:29], v[34:35]
	s_delay_alu instid0(VALU_DEP_1) | instskip(SKIP_1) | instid1(VALU_DEP_2)
	v_add_f64 v[30:31], v[28:29], 1.0
	v_add_f64 v[40:41], v[28:29], -1.0
	v_rcp_f64_e32 v[32:33], v[30:31]
	v_add_f64 v[42:43], v[30:31], -1.0
	s_delay_alu instid0(VALU_DEP_1) | instskip(SKIP_2) | instid1(VALU_DEP_1)
	v_add_f64 v[28:29], v[28:29], -v[42:43]
	s_waitcnt_depctr 0xfff
	v_fma_f64 v[38:39], -v[30:31], v[32:33], 1.0
	v_fma_f64 v[32:33], v[38:39], v[32:33], v[32:33]
	s_delay_alu instid0(VALU_DEP_1) | instskip(NEXT) | instid1(VALU_DEP_1)
	v_fma_f64 v[38:39], -v[30:31], v[32:33], 1.0
	v_fma_f64 v[32:33], v[38:39], v[32:33], v[32:33]
	v_div_scale_f64 v[38:39], null, v[22:23], v[22:23], v[18:19]
	s_delay_alu instid0(VALU_DEP_2) | instskip(NEXT) | instid1(VALU_DEP_2)
	v_mul_f64 v[20:21], v[40:41], v[32:33]
	v_rcp_f64_e32 v[46:47], v[38:39]
	s_delay_alu instid0(VALU_DEP_1) | instskip(SKIP_3) | instid1(VALU_DEP_1)
	v_mul_f64 v[44:45], v[30:31], v[20:21]
	s_waitcnt_depctr 0xfff
	v_fma_f64 v[42:43], -v[38:39], v[46:47], 1.0
	v_fma_f64 v[30:31], v[20:21], v[30:31], -v[44:45]
	v_fma_f64 v[28:29], v[20:21], v[28:29], v[30:31]
	s_delay_alu instid0(VALU_DEP_3) | instskip(NEXT) | instid1(VALU_DEP_2)
	v_fma_f64 v[30:31], v[46:47], v[42:43], v[46:47]
	v_add_f64 v[42:43], v[44:45], v[28:29]
	s_delay_alu instid0(VALU_DEP_2) | instskip(NEXT) | instid1(VALU_DEP_2)
	v_fma_f64 v[46:47], -v[38:39], v[30:31], 1.0
	v_add_f64 v[48:49], v[40:41], -v[42:43]
	s_delay_alu instid0(VALU_DEP_2) | instskip(SKIP_1) | instid1(VALU_DEP_3)
	v_fma_f64 v[30:31], v[30:31], v[46:47], v[30:31]
	v_add_f64 v[44:45], v[42:43], -v[44:45]
	v_add_f64 v[40:41], v[40:41], -v[48:49]
	s_delay_alu instid0(VALU_DEP_3) | instskip(NEXT) | instid1(VALU_DEP_3)
	v_mul_f64 v[46:47], v[50:51], v[30:31]
	v_add_f64 v[28:29], v[44:45], -v[28:29]
	s_delay_alu instid0(VALU_DEP_3) | instskip(NEXT) | instid1(VALU_DEP_3)
	v_add_f64 v[40:41], v[40:41], -v[42:43]
	v_fma_f64 v[38:39], -v[38:39], v[46:47], v[50:51]
	s_delay_alu instid0(VALU_DEP_2) | instskip(NEXT) | instid1(VALU_DEP_2)
	v_add_f64 v[28:29], v[28:29], v[40:41]
	v_div_fmas_f64 v[30:31], v[38:39], v[30:31], v[46:47]
	v_subrev_co_ci_u32_e64 v10, vcc_lo, 0, v10, s1
	v_cmp_class_f64_e64 s1, v[24:25], 0x204
	v_cmp_gt_i32_e32 vcc_lo, 0, v11
	v_add_f64 v[28:29], v[48:49], v[28:29]
	v_div_fixup_f64 v[18:19], v[30:31], v[22:23], v[18:19]
	s_delay_alu instid0(VALU_DEP_2) | instskip(NEXT) | instid1(VALU_DEP_2)
	v_mul_f64 v[22:23], v[32:33], v[28:29]
	v_mul_f64 v[28:29], v[18:19], v[18:19]
	s_delay_alu instid0(VALU_DEP_2) | instskip(NEXT) | instid1(VALU_DEP_2)
	v_add_f64 v[30:31], v[20:21], v[22:23]
	v_fma_f64 v[32:33], v[28:29], s[42:43], s[40:41]
	s_delay_alu instid0(VALU_DEP_2) | instskip(NEXT) | instid1(VALU_DEP_2)
	v_mul_f64 v[38:39], v[30:31], v[30:31]
	v_fma_f64 v[32:33], v[28:29], v[32:33], s[44:45]
	v_add_f64 v[20:21], v[30:31], -v[20:21]
	s_delay_alu instid0(VALU_DEP_3) | instskip(NEXT) | instid1(VALU_DEP_3)
	v_fma_f64 v[40:41], v[38:39], s[24:25], s[22:23]
	v_fma_f64 v[32:33], v[28:29], v[32:33], s[46:47]
	v_mul_f64 v[42:43], v[30:31], v[38:39]
	s_delay_alu instid0(VALU_DEP_4) | instskip(NEXT) | instid1(VALU_DEP_4)
	v_add_f64 v[20:21], v[22:23], -v[20:21]
	v_fma_f64 v[40:41], v[38:39], v[40:41], s[26:27]
	s_delay_alu instid0(VALU_DEP_4) | instskip(NEXT) | instid1(VALU_DEP_3)
	v_fma_f64 v[32:33], v[28:29], v[32:33], s[48:49]
	v_ldexp_f64 v[20:21], v[20:21], 1
	s_delay_alu instid0(VALU_DEP_3) | instskip(NEXT) | instid1(VALU_DEP_3)
	v_fma_f64 v[40:41], v[38:39], v[40:41], s[28:29]
	v_fma_f64 v[32:33], v[28:29], v[32:33], s[50:51]
	s_delay_alu instid0(VALU_DEP_2) | instskip(NEXT) | instid1(VALU_DEP_2)
	v_fma_f64 v[40:41], v[38:39], v[40:41], s[30:31]
	v_fma_f64 v[32:33], v[28:29], v[32:33], s[52:53]
	s_delay_alu instid0(VALU_DEP_2) | instskip(NEXT) | instid1(VALU_DEP_2)
	;; [unrolled: 3-line block ×3, first 2 shown]
	v_fma_f64 v[38:39], v[38:39], v[40:41], s[88:89]
	v_fma_f64 v[32:33], v[28:29], v[32:33], s[56:57]
	v_ldexp_f64 v[40:41], v[30:31], 1
	s_delay_alu instid0(VALU_DEP_3) | instskip(NEXT) | instid1(VALU_DEP_3)
	v_mul_f64 v[38:39], v[42:43], v[38:39]
	v_fma_f64 v[32:33], v[28:29], v[32:33], s[58:59]
	v_cvt_f64_i32_e32 v[42:43], v10
	v_ashrrev_i32_e32 v10, 31, v11
	v_cndmask_b32_e32 v11, 0x54442d18, v54, vcc_lo
	v_add_f64 v[30:31], v[40:41], v[38:39]
	v_fma_f64 v[32:33], v[28:29], v[32:33], s[60:61]
	v_mul_f64 v[44:45], v[42:43], s[36:37]
	s_delay_alu instid0(VALU_DEP_3) | instskip(NEXT) | instid1(VALU_DEP_3)
	v_add_f64 v[22:23], v[30:31], -v[40:41]
	v_fma_f64 v[32:33], v[28:29], v[32:33], s[62:63]
	s_delay_alu instid0(VALU_DEP_3) | instskip(NEXT) | instid1(VALU_DEP_3)
	v_fma_f64 v[40:41], v[42:43], s[36:37], -v[44:45]
	v_add_f64 v[22:23], v[38:39], -v[22:23]
	s_delay_alu instid0(VALU_DEP_3) | instskip(NEXT) | instid1(VALU_DEP_3)
	v_fma_f64 v[32:33], v[28:29], v[32:33], s[64:65]
	v_fma_f64 v[38:39], v[42:43], s[38:39], v[40:41]
	s_delay_alu instid0(VALU_DEP_3) | instskip(NEXT) | instid1(VALU_DEP_3)
	v_add_f64 v[20:21], v[20:21], v[22:23]
	v_fma_f64 v[22:23], v[28:29], v[32:33], s[66:67]
	s_delay_alu instid0(VALU_DEP_3) | instskip(NEXT) | instid1(VALU_DEP_3)
	v_add_f64 v[32:33], v[44:45], v[38:39]
	v_add_f64 v[40:41], v[30:31], v[20:21]
	s_delay_alu instid0(VALU_DEP_3) | instskip(NEXT) | instid1(VALU_DEP_3)
	v_fma_f64 v[22:23], v[28:29], v[22:23], s[68:69]
	v_add_f64 v[44:45], v[32:33], -v[44:45]
	s_delay_alu instid0(VALU_DEP_3) | instskip(NEXT) | instid1(VALU_DEP_3)
	v_add_f64 v[42:43], v[32:33], v[40:41]
	v_fma_f64 v[22:23], v[28:29], v[22:23], s[70:71]
	v_add_f64 v[30:31], v[40:41], -v[30:31]
	s_delay_alu instid0(VALU_DEP_4) | instskip(NEXT) | instid1(VALU_DEP_4)
	v_add_f64 v[38:39], v[38:39], -v[44:45]
	v_add_f64 v[46:47], v[42:43], -v[32:33]
	s_delay_alu instid0(VALU_DEP_4) | instskip(NEXT) | instid1(VALU_DEP_4)
	v_fma_f64 v[22:23], v[28:29], v[22:23], s[72:73]
	v_add_f64 v[20:21], v[20:21], -v[30:31]
	s_delay_alu instid0(VALU_DEP_3) | instskip(NEXT) | instid1(VALU_DEP_3)
	v_add_f64 v[48:49], v[42:43], -v[46:47]
	v_fma_f64 v[22:23], v[28:29], v[22:23], s[74:75]
	v_add_f64 v[30:31], v[40:41], -v[46:47]
	s_delay_alu instid0(VALU_DEP_4) | instskip(NEXT) | instid1(VALU_DEP_4)
	v_add_f64 v[40:41], v[38:39], v[20:21]
	v_add_f64 v[32:33], v[32:33], -v[48:49]
	s_delay_alu instid0(VALU_DEP_4) | instskip(NEXT) | instid1(VALU_DEP_2)
	v_fma_f64 v[22:23], v[28:29], v[22:23], s[76:77]
	v_add_f64 v[30:31], v[30:31], v[32:33]
	s_delay_alu instid0(VALU_DEP_2) | instskip(SKIP_1) | instid1(VALU_DEP_3)
	v_fma_f64 v[22:23], v[28:29], v[22:23], s[78:79]
	v_add_f64 v[32:33], v[40:41], -v[38:39]
	v_add_f64 v[30:31], v[40:41], v[30:31]
	s_delay_alu instid0(VALU_DEP_3) | instskip(NEXT) | instid1(VALU_DEP_3)
	v_mul_f64 v[22:23], v[28:29], v[22:23]
	v_add_f64 v[28:29], v[40:41], -v[32:33]
	v_add_f64 v[20:21], v[20:21], -v[32:33]
	s_delay_alu instid0(VALU_DEP_4) | instskip(NEXT) | instid1(VALU_DEP_4)
	v_add_f64 v[40:41], v[42:43], v[30:31]
	v_fma_f64 v[18:19], v[18:19], v[22:23], v[18:19]
	s_delay_alu instid0(VALU_DEP_4) | instskip(NEXT) | instid1(VALU_DEP_3)
	v_add_f64 v[22:23], v[38:39], -v[28:29]
	v_add_f64 v[28:29], v[40:41], -v[42:43]
	s_delay_alu instid0(VALU_DEP_3) | instskip(NEXT) | instid1(VALU_DEP_3)
	v_add_f64 v[32:33], -v[18:19], s[80:81]
	v_add_f64 v[20:21], v[20:21], v[22:23]
	s_delay_alu instid0(VALU_DEP_3) | instskip(NEXT) | instid1(VALU_DEP_3)
	v_add_f64 v[22:23], v[30:31], -v[28:29]
	v_cndmask_b32_e64 v19, v19, v33, s0
	s_delay_alu instid0(VALU_DEP_4) | instskip(NEXT) | instid1(VALU_DEP_3)
	v_cndmask_b32_e64 v18, v18, v32, s0
	v_add_f64 v[20:21], v[20:21], v[22:23]
	s_delay_alu instid0(VALU_DEP_2) | instskip(SKIP_2) | instid1(VALU_DEP_4)
	v_add_f64 v[22:23], -v[18:19], s[10:11]
	v_and_b32_e32 v28, 0x54442d18, v10
	v_and_b32_e32 v10, 0x400921fb, v10
	v_add_f64 v[20:21], v[40:41], v[20:21]
	s_delay_alu instid0(VALU_DEP_4) | instskip(SKIP_2) | instid1(VALU_DEP_3)
	v_dual_cndmask_b32 v19, v19, v23 :: v_dual_cndmask_b32 v18, v18, v22
	v_cndmask_b32_e32 v22, 0x3fe921fb, v55, vcc_lo
	v_cmp_ngt_f64_e32 vcc_lo, 0, v[26:27]
	v_cndmask_b32_e64 v10, v19, v10, s2
	s_delay_alu instid0(VALU_DEP_4) | instskip(NEXT) | instid1(VALU_DEP_4)
	v_cndmask_b32_e64 v23, v18, v28, s2
	v_bfi_b32 v22, 0x7fffffff, v22, v13
	v_cndmask_b32_e64 v21, v21, v25, s1
	v_cndmask_b32_e64 v20, v20, v24, s1
	v_cmp_nge_f64_e64 s1, 0, v[26:27]
	s_delay_alu instid0(VALU_DEP_3) | instskip(NEXT) | instid1(VALU_DEP_3)
	v_cndmask_b32_e64 v21, v21, 0x7ff00000, s6
	v_cndmask_b32_e64 v18, v20, 0, s6
	s_delay_alu instid0(VALU_DEP_2) | instskip(SKIP_2) | instid1(VALU_DEP_3)
	v_cndmask_b32_e32 v19, 0x7ff80000, v21, vcc_lo
	s_and_b32 vcc_lo, s4, s5
	v_dual_cndmask_b32 v21, v10, v22 :: v_dual_cndmask_b32 v20, v23, v11
	v_cndmask_b32_e64 v18, 0, v18, s1
	v_cmp_neq_f64_e64 s1, 0, v[26:27]
	s_delay_alu instid0(VALU_DEP_1)
	v_cndmask_b32_e64 v19, 0xfff00000, v19, s1
.LBB174_179:                            ;   in Loop: Header=BB174_162 Depth=1
	s_or_b32 exec_lo, exec_lo, s3
                                        ; implicit-def: $vgpr22_vgpr23
.LBB174_180:                            ;   in Loop: Header=BB174_162 Depth=1
	s_and_not1_saveexec_b32 s3, s94
	s_cbranch_execz .LBB174_186
; %bb.181:                              ;   in Loop: Header=BB174_162 Depth=1
                                        ; implicit-def: $vgpr18_vgpr19
	s_mov_b32 s1, exec_lo
	v_cmpx_ngt_f64_e32 s[84:85], v[22:23]
	s_xor_b32 s4, exec_lo, s1
	s_cbranch_execz .LBB174_183
; %bb.182:                              ;   in Loop: Header=BB174_162 Depth=1
	v_mul_f64 v[18:19], v[22:23], v[22:23]
	s_mov_b32 s89, s21
	s_mov_b32 s10, s80
	v_cmp_eq_f64_e64 s2, 0, v[12:13]
	v_cmp_class_f64_e64 s5, v[12:13], 0x204
	v_cmp_class_f64_e64 s6, v[10:11], 0x204
	v_cmp_gt_i32_e64 s1, 0, v11
	v_add_f64 v[20:21], v[18:19], 1.0
	s_delay_alu instid0(VALU_DEP_1) | instskip(SKIP_2) | instid1(VALU_DEP_3)
	v_frexp_mant_f64_e32 v[22:23], v[20:21]
	v_frexp_exp_i32_f64_e32 v26, v[20:21]
	v_add_f64 v[24:25], v[20:21], -1.0
	v_cmp_gt_f64_e32 vcc_lo, s[20:21], v[22:23]
	s_delay_alu instid0(VALU_DEP_2) | instskip(SKIP_2) | instid1(VALU_DEP_3)
	v_add_f64 v[22:23], v[24:25], -v[20:21]
	v_add_f64 v[24:25], v[18:19], -v[24:25]
	v_subrev_co_ci_u32_e32 v35, vcc_lo, 0, v26, vcc_lo
	v_add_f64 v[22:23], v[22:23], 1.0
	s_delay_alu instid0(VALU_DEP_2) | instskip(NEXT) | instid1(VALU_DEP_1)
	v_sub_nc_u32_e32 v28, 0, v35
	v_ldexp_f64 v[20:21], v[20:21], v28
	s_delay_alu instid0(VALU_DEP_3) | instskip(NEXT) | instid1(VALU_DEP_2)
	v_add_f64 v[22:23], v[24:25], v[22:23]
	v_add_f64 v[26:27], v[20:21], 1.0
	v_add_f64 v[32:33], v[20:21], -1.0
	s_delay_alu instid0(VALU_DEP_3) | instskip(NEXT) | instid1(VALU_DEP_3)
	v_ldexp_f64 v[22:23], v[22:23], v28
	v_add_f64 v[24:25], v[26:27], -1.0
	s_delay_alu instid0(VALU_DEP_3) | instskip(NEXT) | instid1(VALU_DEP_2)
	v_add_f64 v[38:39], v[32:33], 1.0
	v_add_f64 v[24:25], v[20:21], -v[24:25]
	s_delay_alu instid0(VALU_DEP_2) | instskip(NEXT) | instid1(VALU_DEP_2)
	v_add_f64 v[20:21], v[20:21], -v[38:39]
	v_add_f64 v[24:25], v[22:23], v[24:25]
	s_delay_alu instid0(VALU_DEP_2) | instskip(NEXT) | instid1(VALU_DEP_2)
	v_add_f64 v[20:21], v[22:23], v[20:21]
	v_add_f64 v[28:29], v[26:27], v[24:25]
	s_delay_alu instid0(VALU_DEP_2) | instskip(NEXT) | instid1(VALU_DEP_2)
	v_add_f64 v[38:39], v[32:33], v[20:21]
	v_rcp_f64_e32 v[30:31], v[28:29]
	v_add_f64 v[26:27], v[26:27], -v[28:29]
	s_delay_alu instid0(VALU_DEP_2) | instskip(NEXT) | instid1(VALU_DEP_2)
	v_add_f64 v[32:33], v[32:33], -v[38:39]
	v_add_f64 v[24:25], v[24:25], v[26:27]
	s_waitcnt_depctr 0xfff
	v_fma_f64 v[40:41], -v[28:29], v[30:31], 1.0
	v_add_f64 v[20:21], v[20:21], v[32:33]
	s_delay_alu instid0(VALU_DEP_2) | instskip(NEXT) | instid1(VALU_DEP_1)
	v_fma_f64 v[30:31], v[40:41], v[30:31], v[30:31]
	v_fma_f64 v[22:23], -v[28:29], v[30:31], 1.0
	s_delay_alu instid0(VALU_DEP_1) | instskip(NEXT) | instid1(VALU_DEP_1)
	v_fma_f64 v[22:23], v[22:23], v[30:31], v[30:31]
	v_mul_f64 v[30:31], v[38:39], v[22:23]
	s_delay_alu instid0(VALU_DEP_1) | instskip(NEXT) | instid1(VALU_DEP_1)
	v_mul_f64 v[40:41], v[28:29], v[30:31]
	v_fma_f64 v[26:27], v[30:31], v[28:29], -v[40:41]
	s_delay_alu instid0(VALU_DEP_1) | instskip(NEXT) | instid1(VALU_DEP_1)
	v_fma_f64 v[26:27], v[30:31], v[24:25], v[26:27]
	v_add_f64 v[42:43], v[40:41], v[26:27]
	s_delay_alu instid0(VALU_DEP_1) | instskip(SKIP_2) | instid1(VALU_DEP_3)
	v_add_f64 v[44:45], v[38:39], -v[42:43]
	v_add_f64 v[32:33], v[42:43], -v[40:41]
	v_max_f64 v[40:41], |v[12:13]|, |v[12:13]|
	v_add_f64 v[38:39], v[38:39], -v[44:45]
	s_delay_alu instid0(VALU_DEP_3) | instskip(NEXT) | instid1(VALU_DEP_2)
	v_add_f64 v[26:27], v[32:33], -v[26:27]
	v_add_f64 v[38:39], v[38:39], -v[42:43]
	v_max_f64 v[42:43], |v[10:11]|, |v[10:11]|
	s_delay_alu instid0(VALU_DEP_2) | instskip(NEXT) | instid1(VALU_DEP_2)
	v_add_f64 v[20:21], v[20:21], v[38:39]
	v_max_f64 v[46:47], v[42:43], v[40:41]
	v_min_f64 v[40:41], v[42:43], v[40:41]
	s_delay_alu instid0(VALU_DEP_3) | instskip(NEXT) | instid1(VALU_DEP_1)
	v_add_f64 v[20:21], v[26:27], v[20:21]
	v_add_f64 v[26:27], v[44:45], v[20:21]
	s_delay_alu instid0(VALU_DEP_1) | instskip(SKIP_1) | instid1(VALU_DEP_2)
	v_mul_f64 v[32:33], v[22:23], v[26:27]
	v_add_f64 v[44:45], v[44:45], -v[26:27]
	v_mul_f64 v[38:39], v[28:29], v[32:33]
	s_delay_alu instid0(VALU_DEP_2) | instskip(NEXT) | instid1(VALU_DEP_2)
	v_add_f64 v[20:21], v[20:21], v[44:45]
	v_fma_f64 v[28:29], v[32:33], v[28:29], -v[38:39]
	s_delay_alu instid0(VALU_DEP_1) | instskip(SKIP_1) | instid1(VALU_DEP_2)
	v_fma_f64 v[24:25], v[32:33], v[24:25], v[28:29]
	v_div_scale_f64 v[28:29], null, v[46:47], v[46:47], v[40:41]
	v_add_f64 v[42:43], v[38:39], v[24:25]
	s_delay_alu instid0(VALU_DEP_2) | instskip(NEXT) | instid1(VALU_DEP_1)
	v_rcp_f64_e32 v[48:49], v[28:29]
	v_add_f64 v[50:51], v[26:27], -v[42:43]
	v_add_f64 v[38:39], v[42:43], -v[38:39]
	s_waitcnt_depctr 0xfff
	v_fma_f64 v[52:53], -v[28:29], v[48:49], 1.0
	v_add_f64 v[26:27], v[26:27], -v[50:51]
	v_add_f64 v[24:25], v[38:39], -v[24:25]
	s_delay_alu instid0(VALU_DEP_3) | instskip(NEXT) | instid1(VALU_DEP_3)
	v_fma_f64 v[48:49], v[48:49], v[52:53], v[48:49]
	v_add_f64 v[26:27], v[26:27], -v[42:43]
	s_delay_alu instid0(VALU_DEP_2) | instskip(NEXT) | instid1(VALU_DEP_2)
	v_fma_f64 v[42:43], -v[28:29], v[48:49], 1.0
	v_add_f64 v[20:21], v[20:21], v[26:27]
	v_div_scale_f64 v[26:27], vcc_lo, v[40:41], v[46:47], v[40:41]
	s_delay_alu instid0(VALU_DEP_3) | instskip(SKIP_1) | instid1(VALU_DEP_4)
	v_fma_f64 v[38:39], v[48:49], v[42:43], v[48:49]
	v_add_f64 v[42:43], v[30:31], v[32:33]
	v_add_f64 v[20:21], v[24:25], v[20:21]
	s_delay_alu instid0(VALU_DEP_3) | instskip(NEXT) | instid1(VALU_DEP_3)
	v_mul_f64 v[24:25], v[26:27], v[38:39]
	v_add_f64 v[30:31], v[42:43], -v[30:31]
	s_delay_alu instid0(VALU_DEP_3) | instskip(NEXT) | instid1(VALU_DEP_3)
	v_add_f64 v[20:21], v[50:51], v[20:21]
	v_fma_f64 v[26:27], -v[28:29], v[24:25], v[26:27]
	s_delay_alu instid0(VALU_DEP_3) | instskip(NEXT) | instid1(VALU_DEP_3)
	v_add_f64 v[28:29], v[32:33], -v[30:31]
	v_mul_f64 v[20:21], v[22:23], v[20:21]
	s_delay_alu instid0(VALU_DEP_3) | instskip(SKIP_1) | instid1(VALU_DEP_3)
	v_div_fmas_f64 v[22:23], v[26:27], v[38:39], v[24:25]
	v_cmp_eq_f64_e32 vcc_lo, 0x7ff00000, v[18:19]
	v_add_f64 v[20:21], v[28:29], v[20:21]
	s_delay_alu instid0(VALU_DEP_3) | instskip(NEXT) | instid1(VALU_DEP_2)
	v_div_fixup_f64 v[22:23], v[22:23], v[46:47], v[40:41]
	v_add_f64 v[24:25], v[42:43], v[20:21]
	s_delay_alu instid0(VALU_DEP_2) | instskip(NEXT) | instid1(VALU_DEP_2)
	v_mul_f64 v[26:27], v[22:23], v[22:23]
	v_mul_f64 v[28:29], v[24:25], v[24:25]
	s_delay_alu instid0(VALU_DEP_2) | instskip(NEXT) | instid1(VALU_DEP_2)
	v_fma_f64 v[30:31], v[26:27], s[42:43], s[40:41]
	v_fma_f64 v[32:33], v[28:29], s[24:25], s[22:23]
	v_mul_f64 v[38:39], v[24:25], v[28:29]
	s_delay_alu instid0(VALU_DEP_3) | instskip(NEXT) | instid1(VALU_DEP_3)
	v_fma_f64 v[30:31], v[26:27], v[30:31], s[44:45]
	v_fma_f64 v[32:33], v[28:29], v[32:33], s[26:27]
	s_delay_alu instid0(VALU_DEP_2) | instskip(NEXT) | instid1(VALU_DEP_2)
	v_fma_f64 v[30:31], v[26:27], v[30:31], s[46:47]
	v_fma_f64 v[32:33], v[28:29], v[32:33], s[28:29]
	s_delay_alu instid0(VALU_DEP_2) | instskip(NEXT) | instid1(VALU_DEP_2)
	;; [unrolled: 3-line block ×4, first 2 shown]
	v_fma_f64 v[30:31], v[26:27], v[30:31], s[52:53]
	v_fma_f64 v[28:29], v[28:29], v[32:33], s[88:89]
	v_ldexp_f64 v[32:33], v[24:25], 1
	v_add_f64 v[24:25], v[24:25], -v[42:43]
	s_delay_alu instid0(VALU_DEP_4) | instskip(NEXT) | instid1(VALU_DEP_4)
	v_fma_f64 v[30:31], v[26:27], v[30:31], s[54:55]
	v_mul_f64 v[28:29], v[38:39], v[28:29]
	v_cvt_f64_i32_e32 v[38:39], v35
	s_delay_alu instid0(VALU_DEP_4) | instskip(NEXT) | instid1(VALU_DEP_4)
	v_add_f64 v[20:21], v[20:21], -v[24:25]
	v_fma_f64 v[30:31], v[26:27], v[30:31], s[56:57]
	s_delay_alu instid0(VALU_DEP_4) | instskip(NEXT) | instid1(VALU_DEP_4)
	v_add_f64 v[40:41], v[32:33], v[28:29]
	v_mul_f64 v[42:43], v[38:39], s[36:37]
	s_delay_alu instid0(VALU_DEP_4) | instskip(NEXT) | instid1(VALU_DEP_4)
	v_ldexp_f64 v[20:21], v[20:21], 1
	v_fma_f64 v[30:31], v[26:27], v[30:31], s[58:59]
	s_delay_alu instid0(VALU_DEP_4) | instskip(NEXT) | instid1(VALU_DEP_4)
	v_add_f64 v[24:25], v[40:41], -v[32:33]
	v_fma_f64 v[32:33], v[38:39], s[36:37], -v[42:43]
	s_delay_alu instid0(VALU_DEP_3) | instskip(NEXT) | instid1(VALU_DEP_3)
	v_fma_f64 v[30:31], v[26:27], v[30:31], s[60:61]
	v_add_f64 v[24:25], v[28:29], -v[24:25]
	s_delay_alu instid0(VALU_DEP_2) | instskip(NEXT) | instid1(VALU_DEP_4)
	v_fma_f64 v[28:29], v[26:27], v[30:31], s[62:63]
	v_fma_f64 v[30:31], v[38:39], s[38:39], v[32:33]
	s_delay_alu instid0(VALU_DEP_3) | instskip(NEXT) | instid1(VALU_DEP_3)
	v_add_f64 v[20:21], v[20:21], v[24:25]
	v_fma_f64 v[24:25], v[26:27], v[28:29], s[64:65]
	s_delay_alu instid0(VALU_DEP_3) | instskip(NEXT) | instid1(VALU_DEP_3)
	v_add_f64 v[28:29], v[42:43], v[30:31]
	v_add_f64 v[32:33], v[40:41], v[20:21]
	s_delay_alu instid0(VALU_DEP_3) | instskip(NEXT) | instid1(VALU_DEP_3)
	v_fma_f64 v[24:25], v[26:27], v[24:25], s[66:67]
	v_add_f64 v[42:43], v[28:29], -v[42:43]
	s_delay_alu instid0(VALU_DEP_3) | instskip(SKIP_1) | instid1(VALU_DEP_4)
	v_add_f64 v[38:39], v[28:29], v[32:33]
	v_add_f64 v[40:41], v[32:33], -v[40:41]
	v_fma_f64 v[24:25], v[26:27], v[24:25], s[68:69]
	s_delay_alu instid0(VALU_DEP_4) | instskip(NEXT) | instid1(VALU_DEP_4)
	v_add_f64 v[30:31], v[30:31], -v[42:43]
	v_add_f64 v[44:45], v[38:39], -v[28:29]
	s_delay_alu instid0(VALU_DEP_4) | instskip(NEXT) | instid1(VALU_DEP_4)
	v_add_f64 v[20:21], v[20:21], -v[40:41]
	v_fma_f64 v[24:25], v[26:27], v[24:25], s[70:71]
	s_delay_alu instid0(VALU_DEP_3) | instskip(SKIP_1) | instid1(VALU_DEP_4)
	v_add_f64 v[46:47], v[38:39], -v[44:45]
	v_add_f64 v[32:33], v[32:33], -v[44:45]
	v_add_f64 v[40:41], v[30:31], v[20:21]
	s_delay_alu instid0(VALU_DEP_4) | instskip(NEXT) | instid1(VALU_DEP_4)
	v_fma_f64 v[24:25], v[26:27], v[24:25], s[72:73]
	v_add_f64 v[28:29], v[28:29], -v[46:47]
	s_delay_alu instid0(VALU_DEP_2) | instskip(NEXT) | instid1(VALU_DEP_2)
	v_fma_f64 v[24:25], v[26:27], v[24:25], s[74:75]
	v_add_f64 v[28:29], v[32:33], v[28:29]
	v_add_f64 v[32:33], v[40:41], -v[30:31]
	s_delay_alu instid0(VALU_DEP_3) | instskip(NEXT) | instid1(VALU_DEP_3)
	v_fma_f64 v[24:25], v[26:27], v[24:25], s[76:77]
	v_add_f64 v[28:29], v[40:41], v[28:29]
	s_delay_alu instid0(VALU_DEP_3) | instskip(SKIP_1) | instid1(VALU_DEP_4)
	v_add_f64 v[40:41], v[40:41], -v[32:33]
	v_add_f64 v[20:21], v[20:21], -v[32:33]
	v_fma_f64 v[24:25], v[26:27], v[24:25], s[78:79]
	s_delay_alu instid0(VALU_DEP_4) | instskip(NEXT) | instid1(VALU_DEP_2)
	v_add_f64 v[42:43], v[38:39], v[28:29]
	v_mul_f64 v[24:25], v[26:27], v[24:25]
	v_add_f64 v[26:27], v[30:31], -v[40:41]
	s_delay_alu instid0(VALU_DEP_3) | instskip(NEXT) | instid1(VALU_DEP_3)
	v_add_f64 v[30:31], v[42:43], -v[38:39]
	v_fma_f64 v[22:23], v[22:23], v[24:25], v[22:23]
	s_delay_alu instid0(VALU_DEP_3) | instskip(NEXT) | instid1(VALU_DEP_3)
	v_add_f64 v[20:21], v[20:21], v[26:27]
	v_add_f64 v[24:25], v[28:29], -v[30:31]
	s_delay_alu instid0(VALU_DEP_3) | instskip(NEXT) | instid1(VALU_DEP_2)
	v_add_f64 v[26:27], -v[22:23], s[80:81]
	v_add_f64 v[20:21], v[20:21], v[24:25]
	s_delay_alu instid0(VALU_DEP_2) | instskip(NEXT) | instid1(VALU_DEP_3)
	v_cndmask_b32_e64 v23, v23, v27, s0
	v_cndmask_b32_e64 v22, v22, v26, s0
	v_ashrrev_i32_e32 v26, 31, v11
	v_cndmask_b32_e64 v27, 0x54442d18, v54, s1
	s_delay_alu instid0(VALU_DEP_3) | instskip(SKIP_1) | instid1(VALU_DEP_4)
	v_add_f64 v[24:25], -v[22:23], s[10:11]
	v_add_f64 v[20:21], v[42:43], v[20:21]
	v_and_b32_e32 v28, 0x54442d18, v26
	s_delay_alu instid0(VALU_DEP_3) | instskip(NEXT) | instid1(VALU_DEP_3)
	v_cndmask_b32_e64 v22, v22, v24, s1
	v_dual_cndmask_b32 v11, v21, v19 :: v_dual_cndmask_b32 v10, v20, v18
	v_cndmask_b32_e64 v20, v23, v25, s1
	s_delay_alu instid0(VALU_DEP_3) | instskip(SKIP_1) | instid1(VALU_DEP_3)
	v_cndmask_b32_e64 v22, v22, v28, s2
	s_and_b32 vcc_lo, s6, s5
	v_mul_f64 v[18:19], v[10:11], 0.5
	v_cndmask_b32_e64 v10, 0x3fe921fb, v55, s1
	v_and_b32_e32 v11, 0x400921fb, v26
	s_delay_alu instid0(VALU_DEP_2) | instskip(NEXT) | instid1(VALU_DEP_2)
	v_bfi_b32 v10, 0x7fffffff, v10, v13
	v_cndmask_b32_e64 v11, v20, v11, s2
	v_cndmask_b32_e32 v20, v22, v27, vcc_lo
                                        ; implicit-def: $vgpr22_vgpr23
	s_delay_alu instid0(VALU_DEP_2)
	v_cndmask_b32_e32 v21, v11, v10, vcc_lo
.LBB174_183:                            ;   in Loop: Header=BB174_162 Depth=1
	s_and_not1_saveexec_b32 s2, s4
	s_cbranch_execz .LBB174_185
; %bb.184:                              ;   in Loop: Header=BB174_162 Depth=1
	v_max_f64 v[18:19], |v[12:13]|, |v[12:13]|
	v_max_f64 v[20:21], |v[10:11]|, |v[10:11]|
	s_mov_b32 s10, s80
	v_cmp_eq_f64_e64 s1, 0, v[12:13]
	v_cmp_class_f64_e64 s4, v[12:13], 0x204
	v_cmp_class_f64_e64 s5, v[10:11], 0x204
	s_delay_alu instid0(VALU_DEP_4) | instskip(SKIP_1) | instid1(VALU_DEP_1)
	v_max_f64 v[24:25], v[20:21], v[18:19]
	v_min_f64 v[18:19], v[20:21], v[18:19]
	v_div_scale_f64 v[20:21], null, v[24:25], v[24:25], v[18:19]
	v_div_scale_f64 v[30:31], vcc_lo, v[18:19], v[24:25], v[18:19]
	s_delay_alu instid0(VALU_DEP_2) | instskip(SKIP_2) | instid1(VALU_DEP_1)
	v_rcp_f64_e32 v[26:27], v[20:21]
	s_waitcnt_depctr 0xfff
	v_fma_f64 v[28:29], -v[20:21], v[26:27], 1.0
	v_fma_f64 v[26:27], v[26:27], v[28:29], v[26:27]
	s_delay_alu instid0(VALU_DEP_1) | instskip(NEXT) | instid1(VALU_DEP_1)
	v_fma_f64 v[28:29], -v[20:21], v[26:27], 1.0
	v_fma_f64 v[26:27], v[26:27], v[28:29], v[26:27]
	s_delay_alu instid0(VALU_DEP_1) | instskip(NEXT) | instid1(VALU_DEP_1)
	v_mul_f64 v[28:29], v[30:31], v[26:27]
	v_fma_f64 v[20:21], -v[20:21], v[28:29], v[30:31]
	s_delay_alu instid0(VALU_DEP_1) | instskip(SKIP_2) | instid1(VALU_DEP_2)
	v_div_fmas_f64 v[20:21], v[20:21], v[26:27], v[28:29]
	v_ashrrev_i32_e32 v26, 31, v11
	v_cmp_gt_i32_e32 vcc_lo, 0, v11
	v_and_b32_e32 v11, 0x400921fb, v26
	v_cndmask_b32_e32 v10, 0x3fe921fb, v55, vcc_lo
	v_cndmask_b32_e32 v27, 0x54442d18, v54, vcc_lo
	s_delay_alu instid0(VALU_DEP_2) | instskip(SKIP_1) | instid1(VALU_DEP_1)
	v_bfi_b32 v10, 0x7fffffff, v10, v13
	v_div_fixup_f64 v[18:19], v[20:21], v[24:25], v[18:19]
	v_mul_f64 v[20:21], v[18:19], v[18:19]
	s_delay_alu instid0(VALU_DEP_1) | instskip(NEXT) | instid1(VALU_DEP_1)
	v_fma_f64 v[24:25], v[20:21], s[42:43], s[40:41]
	v_fma_f64 v[24:25], v[20:21], v[24:25], s[44:45]
	s_delay_alu instid0(VALU_DEP_1) | instskip(NEXT) | instid1(VALU_DEP_1)
	v_fma_f64 v[24:25], v[20:21], v[24:25], s[46:47]
	v_fma_f64 v[24:25], v[20:21], v[24:25], s[48:49]
	;; [unrolled: 3-line block ×9, first 2 shown]
	s_delay_alu instid0(VALU_DEP_1) | instskip(NEXT) | instid1(VALU_DEP_1)
	v_fma_f64 v[24:25], v[20:21], v[24:25], s[78:79]
	v_mul_f64 v[20:21], v[20:21], v[24:25]
	s_delay_alu instid0(VALU_DEP_1) | instskip(NEXT) | instid1(VALU_DEP_1)
	v_fma_f64 v[18:19], v[18:19], v[20:21], v[18:19]
	v_add_f64 v[20:21], -v[18:19], s[80:81]
	s_delay_alu instid0(VALU_DEP_1) | instskip(NEXT) | instid1(VALU_DEP_2)
	v_cndmask_b32_e64 v21, v19, v21, s0
	v_cndmask_b32_e64 v20, v18, v20, s0
	v_mul_f64 v[18:19], v[22:23], 0.5
	s_delay_alu instid0(VALU_DEP_2) | instskip(SKIP_1) | instid1(VALU_DEP_3)
	v_add_f64 v[24:25], -v[20:21], s[10:11]
	v_and_b32_e32 v28, 0x54442d18, v26
	v_mul_f64 v[18:19], v[22:23], v[18:19]
	s_delay_alu instid0(VALU_DEP_3) | instskip(SKIP_1) | instid1(VALU_DEP_1)
	v_dual_cndmask_b32 v21, v21, v25 :: v_dual_cndmask_b32 v20, v20, v24
	s_and_b32 vcc_lo, s5, s4
	v_cndmask_b32_e64 v11, v21, v11, s1
	s_delay_alu instid0(VALU_DEP_2) | instskip(NEXT) | instid1(VALU_DEP_1)
	v_cndmask_b32_e64 v20, v20, v28, s1
	v_dual_cndmask_b32 v21, v11, v10 :: v_dual_cndmask_b32 v20, v20, v27
.LBB174_185:                            ;   in Loop: Header=BB174_162 Depth=1
	s_or_b32 exec_lo, exec_lo, s2
.LBB174_186:                            ;   in Loop: Header=BB174_162 Depth=1
	s_delay_alu instid0(SALU_CYCLE_1)
	s_or_b32 exec_lo, exec_lo, s3
.LBB174_187:                            ;   in Loop: Header=BB174_162 Depth=1
	s_and_not1_saveexec_b32 s3, s93
	s_cbranch_execz .LBB174_189
; %bb.188:                              ;   in Loop: Header=BB174_162 Depth=1
	v_div_scale_f64 v[18:19], null, s[86:87], s[86:87], v[10:11]
	v_div_scale_f64 v[20:21], null, s[86:87], s[86:87], v[12:13]
	v_div_scale_f64 v[30:31], vcc_lo, v[10:11], s[86:87], v[10:11]
	v_max_f64 v[40:41], |v[10:11]|, |v[10:11]|
	s_mov_b32 s89, s21
	s_mov_b32 s10, s80
	s_delay_alu instid0(VALU_DEP_4) | instskip(NEXT) | instid1(VALU_DEP_3)
	v_rcp_f64_e32 v[22:23], v[18:19]
	v_rcp_f64_e32 v[24:25], v[20:21]
	s_waitcnt_depctr 0xfff
	v_fma_f64 v[26:27], -v[18:19], v[22:23], 1.0
	v_fma_f64 v[28:29], -v[20:21], v[24:25], 1.0
	s_delay_alu instid0(VALU_DEP_2) | instskip(NEXT) | instid1(VALU_DEP_2)
	v_fma_f64 v[22:23], v[22:23], v[26:27], v[22:23]
	v_fma_f64 v[24:25], v[24:25], v[28:29], v[24:25]
	s_delay_alu instid0(VALU_DEP_2) | instskip(NEXT) | instid1(VALU_DEP_2)
	v_fma_f64 v[26:27], -v[18:19], v[22:23], 1.0
	v_fma_f64 v[28:29], -v[20:21], v[24:25], 1.0
	s_delay_alu instid0(VALU_DEP_2) | instskip(SKIP_1) | instid1(VALU_DEP_3)
	v_fma_f64 v[22:23], v[22:23], v[26:27], v[22:23]
	v_div_scale_f64 v[26:27], s1, v[12:13], s[86:87], v[12:13]
	v_fma_f64 v[24:25], v[24:25], v[28:29], v[24:25]
	s_delay_alu instid0(VALU_DEP_3) | instskip(NEXT) | instid1(VALU_DEP_2)
	v_mul_f64 v[28:29], v[30:31], v[22:23]
	v_mul_f64 v[32:33], v[26:27], v[24:25]
	s_delay_alu instid0(VALU_DEP_2) | instskip(NEXT) | instid1(VALU_DEP_2)
	v_fma_f64 v[18:19], -v[18:19], v[28:29], v[30:31]
	v_fma_f64 v[20:21], -v[20:21], v[32:33], v[26:27]
	s_delay_alu instid0(VALU_DEP_2) | instskip(SKIP_1) | instid1(VALU_DEP_2)
	v_div_fmas_f64 v[18:19], v[18:19], v[22:23], v[28:29]
	s_mov_b32 vcc_lo, s1
	v_div_fmas_f64 v[20:21], v[20:21], v[24:25], v[32:33]
	s_delay_alu instid0(VALU_DEP_2) | instskip(NEXT) | instid1(VALU_DEP_2)
	v_div_fixup_f64 v[18:19], v[18:19], s[86:87], v[10:11]
	v_div_fixup_f64 v[20:21], v[20:21], s[86:87], v[12:13]
	s_delay_alu instid0(VALU_DEP_2) | instskip(NEXT) | instid1(VALU_DEP_2)
	v_cmp_class_f64_e64 s2, v[18:19], 0x204
	v_max_f64 v[22:23], |v[18:19]|, |v[20:21]|
	v_cmp_o_f64_e64 s1, v[18:19], v[20:21]
	v_cmp_class_f64_e64 s4, v[20:21], 0x204
	s_delay_alu instid0(VALU_DEP_3) | instskip(NEXT) | instid1(VALU_DEP_2)
	v_frexp_exp_i32_f64_e32 v30, v[22:23]
	s_or_b32 s4, s2, s4
	s_delay_alu instid0(VALU_DEP_1) | instskip(NEXT) | instid1(VALU_DEP_1)
	v_sub_nc_u32_e32 v24, 0, v30
	v_ldexp_f64 v[22:23], |v[20:21]|, v24
	v_ldexp_f64 v[24:25], |v[18:19]|, v24
	s_delay_alu instid0(VALU_DEP_2) | instskip(NEXT) | instid1(VALU_DEP_1)
	v_mul_f64 v[22:23], v[22:23], v[22:23]
	v_fma_f64 v[22:23], v[24:25], v[24:25], v[22:23]
	s_delay_alu instid0(VALU_DEP_1) | instskip(SKIP_4) | instid1(VALU_DEP_1)
	v_rsq_f64_e32 v[24:25], v[22:23]
	v_cmp_eq_f64_e32 vcc_lo, 0, v[22:23]
	s_waitcnt_depctr 0xfff
	v_mul_f64 v[26:27], v[22:23], v[24:25]
	v_mul_f64 v[24:25], v[24:25], 0.5
	v_fma_f64 v[28:29], -v[24:25], v[26:27], 0.5
	s_delay_alu instid0(VALU_DEP_1) | instskip(SKIP_1) | instid1(VALU_DEP_2)
	v_fma_f64 v[26:27], v[26:27], v[28:29], v[26:27]
	v_fma_f64 v[24:25], v[24:25], v[28:29], v[24:25]
	v_fma_f64 v[28:29], -v[26:27], v[26:27], v[22:23]
	s_delay_alu instid0(VALU_DEP_1) | instskip(NEXT) | instid1(VALU_DEP_1)
	v_fma_f64 v[24:25], v[28:29], v[24:25], v[26:27]
	v_dual_cndmask_b32 v23, v25, v23 :: v_dual_cndmask_b32 v22, v24, v22
	s_delay_alu instid0(VALU_DEP_1) | instskip(NEXT) | instid1(VALU_DEP_1)
	v_ldexp_f64 v[22:23], v[22:23], v30
	v_cndmask_b32_e64 v18, 0, v22, s1
	s_delay_alu instid0(VALU_DEP_2) | instskip(SKIP_1) | instid1(VALU_DEP_3)
	v_cndmask_b32_e64 v52, 0x7ff80000, v23, s1
	v_and_b32_e32 v23, 0x7fffffff, v23
	v_cndmask_b32_e64 v19, v18, 0, s4
	s_delay_alu instid0(VALU_DEP_3) | instskip(NEXT) | instid1(VALU_DEP_1)
	v_cndmask_b32_e64 v20, v52, 0x7ff00000, s4
	v_frexp_mant_f64_e32 v[24:25], v[19:20]
	v_frexp_exp_i32_f64_e32 v21, v[19:20]
	s_delay_alu instid0(VALU_DEP_2) | instskip(NEXT) | instid1(VALU_DEP_1)
	v_cmp_gt_f64_e64 s2, s[20:21], v[24:25]
	v_cndmask_b32_e64 v35, 0x3ff00000, 2.0, s2
	s_delay_alu instid0(VALU_DEP_1) | instskip(NEXT) | instid1(VALU_DEP_1)
	v_mul_f64 v[24:25], v[24:25], v[34:35]
	v_add_f64 v[26:27], v[24:25], 1.0
	v_add_f64 v[32:33], v[24:25], -1.0
	s_delay_alu instid0(VALU_DEP_2) | instskip(SKIP_1) | instid1(VALU_DEP_1)
	v_rcp_f64_e32 v[28:29], v[26:27]
	v_add_f64 v[42:43], v[26:27], -1.0
	v_add_f64 v[24:25], v[24:25], -v[42:43]
	s_waitcnt_depctr 0xfff
	v_fma_f64 v[30:31], -v[26:27], v[28:29], 1.0
	s_delay_alu instid0(VALU_DEP_1) | instskip(NEXT) | instid1(VALU_DEP_1)
	v_fma_f64 v[28:29], v[30:31], v[28:29], v[28:29]
	v_fma_f64 v[30:31], -v[26:27], v[28:29], 1.0
	s_delay_alu instid0(VALU_DEP_1) | instskip(SKIP_1) | instid1(VALU_DEP_2)
	v_fma_f64 v[28:29], v[30:31], v[28:29], v[28:29]
	v_max_f64 v[30:31], |v[12:13]|, |v[12:13]|
	v_mul_f64 v[38:39], v[32:33], v[28:29]
	s_delay_alu instid0(VALU_DEP_2) | instskip(SKIP_1) | instid1(VALU_DEP_3)
	v_max_f64 v[46:47], v[40:41], v[30:31]
	v_min_f64 v[30:31], v[40:41], v[30:31]
	v_mul_f64 v[44:45], v[26:27], v[38:39]
	s_delay_alu instid0(VALU_DEP_2) | instskip(NEXT) | instid1(VALU_DEP_2)
	v_div_scale_f64 v[40:41], null, v[46:47], v[46:47], v[30:31]
	v_fma_f64 v[26:27], v[38:39], v[26:27], -v[44:45]
	s_delay_alu instid0(VALU_DEP_1) | instskip(NEXT) | instid1(VALU_DEP_3)
	v_fma_f64 v[24:25], v[38:39], v[24:25], v[26:27]
	v_rcp_f64_e32 v[26:27], v[40:41]
	s_delay_alu instid0(VALU_DEP_1) | instskip(SKIP_4) | instid1(VALU_DEP_3)
	v_add_f64 v[42:43], v[44:45], v[24:25]
	s_waitcnt_depctr 0xfff
	v_fma_f64 v[48:49], -v[40:41], v[26:27], 1.0
	v_add_f64 v[50:51], v[32:33], -v[42:43]
	v_add_f64 v[44:45], v[42:43], -v[44:45]
	v_fma_f64 v[26:27], v[26:27], v[48:49], v[26:27]
	s_delay_alu instid0(VALU_DEP_3) | instskip(NEXT) | instid1(VALU_DEP_3)
	v_add_f64 v[32:33], v[32:33], -v[50:51]
	v_add_f64 v[24:25], v[44:45], -v[24:25]
	s_delay_alu instid0(VALU_DEP_3) | instskip(NEXT) | instid1(VALU_DEP_3)
	v_fma_f64 v[48:49], -v[40:41], v[26:27], 1.0
	v_add_f64 v[32:33], v[32:33], -v[42:43]
	v_div_scale_f64 v[42:43], vcc_lo, v[30:31], v[46:47], v[30:31]
	s_delay_alu instid0(VALU_DEP_3) | instskip(NEXT) | instid1(VALU_DEP_3)
	v_fma_f64 v[26:27], v[26:27], v[48:49], v[26:27]
	v_add_f64 v[24:25], v[24:25], v[32:33]
	s_delay_alu instid0(VALU_DEP_2) | instskip(NEXT) | instid1(VALU_DEP_2)
	v_mul_f64 v[32:33], v[42:43], v[26:27]
	v_add_f64 v[24:25], v[50:51], v[24:25]
	s_delay_alu instid0(VALU_DEP_2) | instskip(NEXT) | instid1(VALU_DEP_2)
	v_fma_f64 v[40:41], -v[40:41], v[32:33], v[42:43]
	v_mul_f64 v[24:25], v[28:29], v[24:25]
	s_delay_alu instid0(VALU_DEP_2)
	v_div_fmas_f64 v[26:27], v[40:41], v[26:27], v[32:33]
	v_subrev_co_ci_u32_e64 v21, vcc_lo, 0, v21, s2
	v_cmp_eq_f64_e32 vcc_lo, 0x7ff00000, v[22:23]
	v_cmp_class_f64_e64 s2, v[10:11], 0x204
	v_add_f64 v[28:29], v[38:39], v[24:25]
	v_div_fixup_f64 v[26:27], v[26:27], v[46:47], v[30:31]
	s_and_b32 vcc_lo, s1, vcc_lo
	v_cmp_class_f64_e64 s1, v[12:13], 0x204
	s_delay_alu instid0(VALU_DEP_3) | instskip(NEXT) | instid1(VALU_DEP_3)
	v_mul_f64 v[30:31], v[28:29], v[28:29]
	v_mul_f64 v[32:33], v[26:27], v[26:27]
	s_delay_alu instid0(VALU_DEP_2) | instskip(SKIP_1) | instid1(VALU_DEP_3)
	v_fma_f64 v[40:41], v[30:31], s[24:25], s[22:23]
	v_mul_f64 v[44:45], v[28:29], v[30:31]
	v_fma_f64 v[42:43], v[32:33], s[42:43], s[40:41]
	s_delay_alu instid0(VALU_DEP_3) | instskip(NEXT) | instid1(VALU_DEP_2)
	v_fma_f64 v[40:41], v[30:31], v[40:41], s[26:27]
	v_fma_f64 v[42:43], v[32:33], v[42:43], s[44:45]
	s_delay_alu instid0(VALU_DEP_2) | instskip(NEXT) | instid1(VALU_DEP_2)
	v_fma_f64 v[40:41], v[30:31], v[40:41], s[28:29]
	v_fma_f64 v[42:43], v[32:33], v[42:43], s[46:47]
	s_delay_alu instid0(VALU_DEP_2) | instskip(NEXT) | instid1(VALU_DEP_2)
	;; [unrolled: 3-line block ×4, first 2 shown]
	v_fma_f64 v[30:31], v[30:31], v[40:41], s[88:89]
	v_fma_f64 v[40:41], v[32:33], v[42:43], s[52:53]
	v_ldexp_f64 v[42:43], v[28:29], 1
	v_add_f64 v[28:29], v[28:29], -v[38:39]
	s_delay_alu instid0(VALU_DEP_4) | instskip(SKIP_2) | instid1(VALU_DEP_4)
	v_mul_f64 v[30:31], v[44:45], v[30:31]
	v_cvt_f64_i32_e32 v[44:45], v21
	v_fma_f64 v[40:41], v[32:33], v[40:41], s[54:55]
	v_add_f64 v[24:25], v[24:25], -v[28:29]
	s_delay_alu instid0(VALU_DEP_4) | instskip(NEXT) | instid1(VALU_DEP_4)
	v_add_f64 v[38:39], v[42:43], v[30:31]
	v_mul_f64 v[46:47], v[44:45], s[36:37]
	s_delay_alu instid0(VALU_DEP_4) | instskip(NEXT) | instid1(VALU_DEP_4)
	v_fma_f64 v[40:41], v[32:33], v[40:41], s[56:57]
	v_ldexp_f64 v[24:25], v[24:25], 1
	s_delay_alu instid0(VALU_DEP_4) | instskip(NEXT) | instid1(VALU_DEP_4)
	v_add_f64 v[28:29], v[38:39], -v[42:43]
	v_fma_f64 v[42:43], v[44:45], s[36:37], -v[46:47]
	s_delay_alu instid0(VALU_DEP_4) | instskip(NEXT) | instid1(VALU_DEP_3)
	v_fma_f64 v[40:41], v[32:33], v[40:41], s[58:59]
	v_add_f64 v[28:29], v[30:31], -v[28:29]
	s_delay_alu instid0(VALU_DEP_2) | instskip(NEXT) | instid1(VALU_DEP_4)
	v_fma_f64 v[30:31], v[32:33], v[40:41], s[60:61]
	v_fma_f64 v[40:41], v[44:45], s[38:39], v[42:43]
	s_delay_alu instid0(VALU_DEP_3) | instskip(NEXT) | instid1(VALU_DEP_3)
	v_add_f64 v[24:25], v[24:25], v[28:29]
	v_fma_f64 v[28:29], v[32:33], v[30:31], s[62:63]
	s_delay_alu instid0(VALU_DEP_3) | instskip(NEXT) | instid1(VALU_DEP_3)
	v_add_f64 v[30:31], v[46:47], v[40:41]
	v_add_f64 v[42:43], v[38:39], v[24:25]
	s_delay_alu instid0(VALU_DEP_3) | instskip(NEXT) | instid1(VALU_DEP_3)
	v_fma_f64 v[28:29], v[32:33], v[28:29], s[64:65]
	v_add_f64 v[46:47], v[30:31], -v[46:47]
	s_delay_alu instid0(VALU_DEP_3) | instskip(SKIP_1) | instid1(VALU_DEP_4)
	v_add_f64 v[44:45], v[30:31], v[42:43]
	v_add_f64 v[38:39], v[42:43], -v[38:39]
	v_fma_f64 v[28:29], v[32:33], v[28:29], s[66:67]
	s_delay_alu instid0(VALU_DEP_4) | instskip(NEXT) | instid1(VALU_DEP_4)
	v_add_f64 v[40:41], v[40:41], -v[46:47]
	v_add_f64 v[48:49], v[44:45], -v[30:31]
	s_delay_alu instid0(VALU_DEP_4) | instskip(NEXT) | instid1(VALU_DEP_4)
	v_add_f64 v[24:25], v[24:25], -v[38:39]
	v_fma_f64 v[28:29], v[32:33], v[28:29], s[68:69]
	s_delay_alu instid0(VALU_DEP_3) | instskip(SKIP_1) | instid1(VALU_DEP_4)
	v_add_f64 v[50:51], v[44:45], -v[48:49]
	v_add_f64 v[38:39], v[42:43], -v[48:49]
	v_add_f64 v[42:43], v[40:41], v[24:25]
	s_delay_alu instid0(VALU_DEP_4) | instskip(NEXT) | instid1(VALU_DEP_4)
	v_fma_f64 v[28:29], v[32:33], v[28:29], s[70:71]
	v_add_f64 v[30:31], v[30:31], -v[50:51]
	s_delay_alu instid0(VALU_DEP_2) | instskip(NEXT) | instid1(VALU_DEP_2)
	v_fma_f64 v[28:29], v[32:33], v[28:29], s[72:73]
	v_add_f64 v[30:31], v[38:39], v[30:31]
	v_add_f64 v[38:39], v[42:43], -v[40:41]
	s_delay_alu instid0(VALU_DEP_3) | instskip(NEXT) | instid1(VALU_DEP_3)
	v_fma_f64 v[28:29], v[32:33], v[28:29], s[74:75]
	v_add_f64 v[30:31], v[42:43], v[30:31]
	s_delay_alu instid0(VALU_DEP_3) | instskip(SKIP_1) | instid1(VALU_DEP_4)
	v_add_f64 v[42:43], v[42:43], -v[38:39]
	v_add_f64 v[24:25], v[24:25], -v[38:39]
	v_fma_f64 v[28:29], v[32:33], v[28:29], s[76:77]
	s_delay_alu instid0(VALU_DEP_4) | instskip(NEXT) | instid1(VALU_DEP_4)
	v_add_f64 v[46:47], v[44:45], v[30:31]
	v_add_f64 v[38:39], v[40:41], -v[42:43]
	s_delay_alu instid0(VALU_DEP_3) | instskip(NEXT) | instid1(VALU_DEP_3)
	v_fma_f64 v[28:29], v[32:33], v[28:29], s[78:79]
	v_add_f64 v[40:41], v[46:47], -v[44:45]
	s_delay_alu instid0(VALU_DEP_3) | instskip(NEXT) | instid1(VALU_DEP_3)
	v_add_f64 v[24:25], v[24:25], v[38:39]
	v_mul_f64 v[28:29], v[32:33], v[28:29]
	s_delay_alu instid0(VALU_DEP_3) | instskip(NEXT) | instid1(VALU_DEP_2)
	v_add_f64 v[30:31], v[30:31], -v[40:41]
	v_fma_f64 v[26:27], v[26:27], v[28:29], v[26:27]
	s_delay_alu instid0(VALU_DEP_2) | instskip(NEXT) | instid1(VALU_DEP_2)
	v_add_f64 v[24:25], v[24:25], v[30:31]
	v_add_f64 v[28:29], -v[26:27], s[80:81]
	s_delay_alu instid0(VALU_DEP_2) | instskip(NEXT) | instid1(VALU_DEP_2)
	v_add_f64 v[21:22], v[46:47], v[24:25]
	v_cndmask_b32_e64 v24, v27, v29, s0
	s_delay_alu instid0(VALU_DEP_3) | instskip(SKIP_2) | instid1(VALU_DEP_3)
	v_cndmask_b32_e64 v23, v26, v28, s0
	v_ashrrev_i32_e32 v27, 31, v11
	v_cmp_eq_f64_e64 s0, 0, v[12:13]
	v_add_f64 v[25:26], -v[23:24], s[10:11]
	v_dual_cndmask_b32 v22, v22, v52 :: v_dual_cndmask_b32 v21, v21, v18
	s_delay_alu instid0(VALU_DEP_4) | instskip(SKIP_1) | instid1(VALU_DEP_3)
	v_and_b32_e32 v18, 0x54442d18, v27
	v_cmp_gt_i32_e32 vcc_lo, 0, v11
	v_add_f64 v[21:22], v[21:22], 1.0
	v_cndmask_b32_e32 v28, 0x54442d18, v54, vcc_lo
	v_dual_cndmask_b32 v23, v23, v25 :: v_dual_cndmask_b32 v24, v24, v26
	v_cndmask_b32_e32 v10, 0x3fe921fb, v55, vcc_lo
	v_cmp_ngt_f64_e32 vcc_lo, 0, v[19:20]
	s_delay_alu instid0(VALU_DEP_3) | instskip(NEXT) | instid1(VALU_DEP_3)
	v_cndmask_b32_e64 v23, v23, v18, s0
	v_bfi_b32 v10, 0x7fffffff, v10, v13
	v_cndmask_b32_e64 v22, v22, 0x7ff00000, s4
	v_cndmask_b32_e64 v18, v21, 0, s4
	s_delay_alu instid0(VALU_DEP_2) | instskip(SKIP_2) | instid1(VALU_DEP_1)
	v_cndmask_b32_e32 v22, 0x7ff80000, v22, vcc_lo
	s_and_b32 vcc_lo, s2, s1
	v_and_b32_e32 v11, 0x400921fb, v27
	v_cndmask_b32_e64 v11, v24, v11, s0
	v_cmp_nge_f64_e64 s0, 0, v[19:20]
	s_delay_alu instid0(VALU_DEP_2) | instskip(NEXT) | instid1(VALU_DEP_2)
	v_cndmask_b32_e32 v21, v11, v10, vcc_lo
	v_cndmask_b32_e64 v18, 0, v18, s0
	v_cmp_neq_f64_e64 s0, 0, v[19:20]
	v_cndmask_b32_e32 v20, v23, v28, vcc_lo
	s_delay_alu instid0(VALU_DEP_2)
	v_cndmask_b32_e64 v19, 0xfff00000, v22, s0
.LBB174_189:                            ;   in Loop: Header=BB174_162 Depth=1
	s_or_b32 exec_lo, exec_lo, s3
.LBB174_190:                            ;   in Loop: Header=BB174_162 Depth=1
	s_and_not1_saveexec_b32 s0, s92
	s_cbranch_execz .LBB174_196
; %bb.191:                              ;   in Loop: Header=BB174_162 Depth=1
	v_cmp_ngt_f64_e64 s1, 0x20000000, |v[10:11]|
	v_cmp_ngt_f64_e64 s2, 0x20000000, |v[12:13]|
                                        ; implicit-def: $vgpr22_vgpr23
	s_delay_alu instid0(VALU_DEP_1) | instskip(NEXT) | instid1(SALU_CYCLE_1)
	s_or_b32 s1, s1, s2
	s_and_saveexec_b32 s2, s1
	s_delay_alu instid0(SALU_CYCLE_1)
	s_xor_b32 s1, exec_lo, s2
; %bb.192:                              ;   in Loop: Header=BB174_162 Depth=1
	v_mul_f64 v[18:19], v[12:13], v[12:13]
	s_delay_alu instid0(VALU_DEP_1)
	v_fma_f64 v[22:23], v[10:11], v[10:11], v[18:19]
; %bb.193:                              ;   in Loop: Header=BB174_162 Depth=1
	s_and_not1_saveexec_b32 s1, s1
; %bb.194:                              ;   in Loop: Header=BB174_162 Depth=1
	v_mul_f64 v[18:19], v[12:13], 4.0
	v_mul_f64 v[10:11], v[10:11], 4.0
	s_delay_alu instid0(VALU_DEP_2) | instskip(NEXT) | instid1(VALU_DEP_1)
	v_mul_f64 v[18:19], v[18:19], v[18:19]
	v_fma_f64 v[10:11], v[10:11], v[10:11], v[18:19]
	s_delay_alu instid0(VALU_DEP_1)
	v_ldexp_f64 v[22:23], v[10:11], -4
; %bb.195:                              ;   in Loop: Header=BB174_162 Depth=1
	s_or_b32 exec_lo, exec_lo, s1
	s_delay_alu instid0(VALU_DEP_1) | instskip(SKIP_2) | instid1(VALU_DEP_2)
	v_frexp_mant_f64_e32 v[10:11], v[22:23]
	s_mov_b32 s89, s21
	v_frexp_exp_i32_f64_e32 v12, v[22:23]
	v_cmp_gt_f64_e32 vcc_lo, s[20:21], v[10:11]
	v_cndmask_b32_e64 v35, 0x3ff00000, 2.0, vcc_lo
	s_delay_alu instid0(VALU_DEP_3) | instskip(SKIP_1) | instid1(VALU_DEP_3)
	v_subrev_co_ci_u32_e32 v12, vcc_lo, 0, v12, vcc_lo
	v_cmp_class_f64_e64 vcc_lo, v[22:23], 0x204
	v_mul_f64 v[10:11], v[10:11], v[34:35]
	s_delay_alu instid0(VALU_DEP_1) | instskip(SKIP_1) | instid1(VALU_DEP_2)
	v_add_f64 v[18:19], v[10:11], 1.0
	v_add_f64 v[26:27], v[10:11], -1.0
	v_rcp_f64_e32 v[20:21], v[18:19]
	v_add_f64 v[28:29], v[18:19], -1.0
	s_delay_alu instid0(VALU_DEP_1) | instskip(SKIP_2) | instid1(VALU_DEP_1)
	v_add_f64 v[10:11], v[10:11], -v[28:29]
	s_waitcnt_depctr 0xfff
	v_fma_f64 v[24:25], -v[18:19], v[20:21], 1.0
	v_fma_f64 v[20:21], v[24:25], v[20:21], v[20:21]
	s_delay_alu instid0(VALU_DEP_1) | instskip(NEXT) | instid1(VALU_DEP_1)
	v_fma_f64 v[24:25], -v[18:19], v[20:21], 1.0
	v_fma_f64 v[20:21], v[24:25], v[20:21], v[20:21]
	s_delay_alu instid0(VALU_DEP_1) | instskip(NEXT) | instid1(VALU_DEP_1)
	v_mul_f64 v[24:25], v[26:27], v[20:21]
	v_mul_f64 v[30:31], v[18:19], v[24:25]
	s_delay_alu instid0(VALU_DEP_1) | instskip(NEXT) | instid1(VALU_DEP_1)
	v_fma_f64 v[18:19], v[24:25], v[18:19], -v[30:31]
	v_fma_f64 v[10:11], v[24:25], v[10:11], v[18:19]
	s_delay_alu instid0(VALU_DEP_1) | instskip(NEXT) | instid1(VALU_DEP_1)
	v_add_f64 v[18:19], v[30:31], v[10:11]
	v_add_f64 v[28:29], v[26:27], -v[18:19]
	v_add_f64 v[30:31], v[18:19], -v[30:31]
	s_delay_alu instid0(VALU_DEP_2) | instskip(NEXT) | instid1(VALU_DEP_2)
	v_add_f64 v[26:27], v[26:27], -v[28:29]
	v_add_f64 v[10:11], v[30:31], -v[10:11]
	s_delay_alu instid0(VALU_DEP_2) | instskip(NEXT) | instid1(VALU_DEP_1)
	v_add_f64 v[18:19], v[26:27], -v[18:19]
	v_add_f64 v[10:11], v[10:11], v[18:19]
	s_delay_alu instid0(VALU_DEP_1) | instskip(NEXT) | instid1(VALU_DEP_1)
	v_add_f64 v[10:11], v[28:29], v[10:11]
	v_mul_f64 v[10:11], v[20:21], v[10:11]
	s_delay_alu instid0(VALU_DEP_1) | instskip(NEXT) | instid1(VALU_DEP_1)
	v_add_f64 v[18:19], v[24:25], v[10:11]
	v_mul_f64 v[20:21], v[18:19], v[18:19]
	s_delay_alu instid0(VALU_DEP_1) | instskip(SKIP_1) | instid1(VALU_DEP_2)
	v_fma_f64 v[26:27], v[20:21], s[24:25], s[22:23]
	v_mul_f64 v[28:29], v[18:19], v[20:21]
	v_fma_f64 v[26:27], v[20:21], v[26:27], s[26:27]
	s_delay_alu instid0(VALU_DEP_1) | instskip(NEXT) | instid1(VALU_DEP_1)
	v_fma_f64 v[26:27], v[20:21], v[26:27], s[28:29]
	v_fma_f64 v[26:27], v[20:21], v[26:27], s[30:31]
	s_delay_alu instid0(VALU_DEP_1) | instskip(NEXT) | instid1(VALU_DEP_1)
	v_fma_f64 v[26:27], v[20:21], v[26:27], s[34:35]
	v_fma_f64 v[20:21], v[20:21], v[26:27], s[88:89]
	v_ldexp_f64 v[26:27], v[18:19], 1
	v_add_f64 v[18:19], v[18:19], -v[24:25]
	s_delay_alu instid0(VALU_DEP_3) | instskip(SKIP_1) | instid1(VALU_DEP_3)
	v_mul_f64 v[20:21], v[28:29], v[20:21]
	v_cvt_f64_i32_e32 v[28:29], v12
	v_add_f64 v[10:11], v[10:11], -v[18:19]
	s_delay_alu instid0(VALU_DEP_3) | instskip(NEXT) | instid1(VALU_DEP_3)
	v_add_f64 v[24:25], v[26:27], v[20:21]
	v_mul_f64 v[30:31], v[28:29], s[36:37]
	s_delay_alu instid0(VALU_DEP_3) | instskip(NEXT) | instid1(VALU_DEP_3)
	v_ldexp_f64 v[10:11], v[10:11], 1
	v_add_f64 v[18:19], v[24:25], -v[26:27]
	s_delay_alu instid0(VALU_DEP_3) | instskip(NEXT) | instid1(VALU_DEP_2)
	v_fma_f64 v[26:27], v[28:29], s[36:37], -v[30:31]
	v_add_f64 v[18:19], v[20:21], -v[18:19]
	s_delay_alu instid0(VALU_DEP_2) | instskip(NEXT) | instid1(VALU_DEP_2)
	v_fma_f64 v[20:21], v[28:29], s[38:39], v[26:27]
	v_add_f64 v[10:11], v[10:11], v[18:19]
	s_delay_alu instid0(VALU_DEP_2) | instskip(NEXT) | instid1(VALU_DEP_2)
	v_add_f64 v[18:19], v[30:31], v[20:21]
	v_add_f64 v[26:27], v[24:25], v[10:11]
	s_delay_alu instid0(VALU_DEP_2) | instskip(NEXT) | instid1(VALU_DEP_2)
	v_add_f64 v[30:31], v[18:19], -v[30:31]
	v_add_f64 v[28:29], v[18:19], v[26:27]
	v_add_f64 v[24:25], v[26:27], -v[24:25]
	s_delay_alu instid0(VALU_DEP_3) | instskip(NEXT) | instid1(VALU_DEP_3)
	v_add_f64 v[20:21], v[20:21], -v[30:31]
	v_add_f64 v[32:33], v[28:29], -v[18:19]
	s_delay_alu instid0(VALU_DEP_3) | instskip(NEXT) | instid1(VALU_DEP_2)
	v_add_f64 v[10:11], v[10:11], -v[24:25]
	v_add_f64 v[38:39], v[28:29], -v[32:33]
	;; [unrolled: 1-line block ×3, first 2 shown]
	s_delay_alu instid0(VALU_DEP_3) | instskip(NEXT) | instid1(VALU_DEP_3)
	v_add_f64 v[26:27], v[20:21], v[10:11]
	v_add_f64 v[18:19], v[18:19], -v[38:39]
	s_delay_alu instid0(VALU_DEP_1) | instskip(NEXT) | instid1(VALU_DEP_3)
	v_add_f64 v[18:19], v[24:25], v[18:19]
	v_add_f64 v[24:25], v[26:27], -v[20:21]
	s_delay_alu instid0(VALU_DEP_2) | instskip(NEXT) | instid1(VALU_DEP_2)
	v_add_f64 v[18:19], v[26:27], v[18:19]
	v_add_f64 v[26:27], v[26:27], -v[24:25]
	v_add_f64 v[10:11], v[10:11], -v[24:25]
	s_delay_alu instid0(VALU_DEP_3) | instskip(NEXT) | instid1(VALU_DEP_3)
	v_add_f64 v[30:31], v[28:29], v[18:19]
	v_add_f64 v[20:21], v[20:21], -v[26:27]
	s_delay_alu instid0(VALU_DEP_2) | instskip(NEXT) | instid1(VALU_DEP_2)
	v_add_f64 v[24:25], v[30:31], -v[28:29]
	v_add_f64 v[10:11], v[10:11], v[20:21]
	v_mov_b32_e32 v20, 0
	v_mov_b32_e32 v21, 0x7ff80000
	s_delay_alu instid0(VALU_DEP_4) | instskip(NEXT) | instid1(VALU_DEP_1)
	v_add_f64 v[18:19], v[18:19], -v[24:25]
	v_add_f64 v[10:11], v[10:11], v[18:19]
	s_delay_alu instid0(VALU_DEP_1) | instskip(NEXT) | instid1(VALU_DEP_1)
	v_add_f64 v[10:11], v[30:31], v[10:11]
	v_dual_cndmask_b32 v10, v10, v22 :: v_dual_cndmask_b32 v11, v11, v23
	v_cmp_ngt_f64_e32 vcc_lo, 0, v[22:23]
	s_delay_alu instid0(VALU_DEP_2) | instskip(SKIP_1) | instid1(VALU_DEP_4)
	v_cndmask_b32_e32 v11, 0x7ff80000, v11, vcc_lo
	v_cmp_nge_f64_e32 vcc_lo, 0, v[22:23]
	v_cndmask_b32_e32 v18, 0, v10, vcc_lo
	v_cmp_neq_f64_e32 vcc_lo, 0, v[22:23]
	s_delay_alu instid0(VALU_DEP_4)
	v_cndmask_b32_e32 v19, 0xfff00000, v11, vcc_lo
.LBB174_196:                            ;   in Loop: Header=BB174_162 Depth=1
	s_or_b32 exec_lo, exec_lo, s0
                                        ; implicit-def: $vgpr22_vgpr23
	s_delay_alu instid0(SALU_CYCLE_1)
	s_mov_b32 s0, exec_lo
	s_waitcnt vmcnt(2)
	v_cmpx_o_f64_e32 v[6:7], v[8:9]
	s_xor_b32 s92, exec_lo, s0
	s_cbranch_execz .LBB174_224
; %bb.197:                              ;   in Loop: Header=BB174_162 Depth=1
	v_cmp_lt_f64_e64 s0, |v[6:7]|, |v[8:9]|
	v_and_b32_e32 v10, 0x7fffffff, v7
	v_dual_mov_b32 v12, v8 :: v_dual_and_b32 v11, 0x7fffffff, v9
                                        ; implicit-def: $vgpr22_vgpr23
	s_mov_b32 s1, exec_lo
	s_delay_alu instid0(VALU_DEP_1) | instskip(NEXT) | instid1(VALU_DEP_2)
	v_cndmask_b32_e64 v27, v11, v10, s0
	v_cndmask_b32_e64 v26, v12, v6, s0
	s_delay_alu instid0(VALU_DEP_1)
	v_cmpx_nlt_f64_e32 s[12:13], v[26:27]
	s_xor_b32 s93, exec_lo, s1
	s_cbranch_execz .LBB174_221
; %bb.198:                              ;   in Loop: Header=BB174_162 Depth=1
	v_cndmask_b32_e64 v29, v10, v11, s0
	v_cndmask_b32_e64 v28, v6, v12, s0
                                        ; implicit-def: $vgpr22_vgpr23
	s_mov_b32 s1, exec_lo
	s_delay_alu instid0(VALU_DEP_1)
	v_cmpx_neq_f64_e32 1.0, v[28:29]
	s_xor_b32 s94, exec_lo, s1
	s_cbranch_execz .LBB174_214
; %bb.199:                              ;   in Loop: Header=BB174_162 Depth=1
	v_max_f64 v[10:11], v[26:27], v[26:27]
	v_max_f64 v[22:23], v[28:29], v[28:29]
	s_delay_alu instid0(VALU_DEP_1) | instskip(SKIP_1) | instid1(VALU_DEP_2)
	v_min_f64 v[24:25], v[22:23], v[10:11]
	v_max_f64 v[10:11], v[22:23], v[10:11]
                                        ; implicit-def: $vgpr22_vgpr23
	v_cmp_ngt_f64_e32 vcc_lo, s[14:15], v[24:25]
	s_delay_alu instid0(VALU_DEP_2) | instskip(NEXT) | instid1(VALU_DEP_1)
	v_cmp_nlt_f64_e64 s1, s[16:17], v[10:11]
	s_and_b32 s1, s1, vcc_lo
	s_delay_alu instid0(SALU_CYCLE_1) | instskip(NEXT) | instid1(SALU_CYCLE_1)
	s_and_saveexec_b32 s2, s1
	s_xor_b32 s95, exec_lo, s2
	s_cbranch_execz .LBB174_211
; %bb.200:                              ;   in Loop: Header=BB174_162 Depth=1
                                        ; implicit-def: $vgpr22_vgpr23
	s_mov_b32 s1, exec_lo
	v_cmpx_le_f64_e32 1.0, v[28:29]
	s_xor_b32 s2, exec_lo, s1
	s_cbranch_execz .LBB174_202
; %bb.201:                              ;   in Loop: Header=BB174_162 Depth=1
	v_add_f64 v[10:11], v[28:29], -1.0
	v_add_f64 v[22:23], v[28:29], 1.0
	s_mov_b32 s89, s21
	s_mov_b32 s10, s80
	v_cmp_gt_i32_e64 s1, 0, v7
	v_cmp_class_f64_e64 s4, v[6:7], 0x204
	v_cmp_class_f64_e64 s3, v[8:9], 0x204
	s_delay_alu instid0(VALU_DEP_4) | instskip(NEXT) | instid1(VALU_DEP_1)
	v_mul_f64 v[10:11], v[10:11], v[22:23]
	v_fma_f64 v[10:11], v[26:27], v[26:27], v[10:11]
	s_delay_alu instid0(VALU_DEP_1) | instskip(NEXT) | instid1(VALU_DEP_1)
	v_add_f64 v[22:23], v[10:11], 1.0
	v_frexp_mant_f64_e32 v[24:25], v[22:23]
	v_frexp_exp_i32_f64_e32 v12, v[22:23]
	v_add_f64 v[26:27], v[22:23], -1.0
	s_delay_alu instid0(VALU_DEP_3) | instskip(NEXT) | instid1(VALU_DEP_2)
	v_cmp_gt_f64_e32 vcc_lo, s[20:21], v[24:25]
	v_add_f64 v[24:25], v[26:27], -v[22:23]
	v_add_f64 v[26:27], v[10:11], -v[26:27]
	v_subrev_co_ci_u32_e32 v12, vcc_lo, 0, v12, vcc_lo
	s_delay_alu instid0(VALU_DEP_3) | instskip(NEXT) | instid1(VALU_DEP_2)
	v_add_f64 v[24:25], v[24:25], 1.0
	v_sub_nc_u32_e32 v30, 0, v12
	s_delay_alu instid0(VALU_DEP_1) | instskip(NEXT) | instid1(VALU_DEP_3)
	v_ldexp_f64 v[22:23], v[22:23], v30
	v_add_f64 v[24:25], v[26:27], v[24:25]
	s_delay_alu instid0(VALU_DEP_2) | instskip(SKIP_1) | instid1(VALU_DEP_3)
	v_add_f64 v[28:29], v[22:23], 1.0
	v_add_f64 v[38:39], v[22:23], -1.0
	v_ldexp_f64 v[24:25], v[24:25], v30
	s_delay_alu instid0(VALU_DEP_3) | instskip(NEXT) | instid1(VALU_DEP_3)
	v_add_f64 v[26:27], v[28:29], -1.0
	v_add_f64 v[40:41], v[38:39], 1.0
	s_delay_alu instid0(VALU_DEP_2) | instskip(NEXT) | instid1(VALU_DEP_2)
	v_add_f64 v[26:27], v[22:23], -v[26:27]
	v_add_f64 v[22:23], v[22:23], -v[40:41]
	s_delay_alu instid0(VALU_DEP_2) | instskip(NEXT) | instid1(VALU_DEP_2)
	v_add_f64 v[26:27], v[24:25], v[26:27]
	v_add_f64 v[22:23], v[24:25], v[22:23]
	s_delay_alu instid0(VALU_DEP_2) | instskip(NEXT) | instid1(VALU_DEP_2)
	v_add_f64 v[30:31], v[28:29], v[26:27]
	v_add_f64 v[40:41], v[38:39], v[22:23]
	s_delay_alu instid0(VALU_DEP_2) | instskip(SKIP_1) | instid1(VALU_DEP_2)
	v_rcp_f64_e32 v[32:33], v[30:31]
	v_add_f64 v[28:29], v[30:31], -v[28:29]
	v_add_f64 v[38:39], v[40:41], -v[38:39]
	s_delay_alu instid0(VALU_DEP_2) | instskip(SKIP_3) | instid1(VALU_DEP_2)
	v_add_f64 v[26:27], v[26:27], -v[28:29]
	s_waitcnt_depctr 0xfff
	v_fma_f64 v[42:43], -v[30:31], v[32:33], 1.0
	v_add_f64 v[22:23], v[22:23], -v[38:39]
	v_fma_f64 v[32:33], v[42:43], v[32:33], v[32:33]
	s_delay_alu instid0(VALU_DEP_1) | instskip(NEXT) | instid1(VALU_DEP_1)
	v_fma_f64 v[24:25], -v[30:31], v[32:33], 1.0
	v_fma_f64 v[24:25], v[24:25], v[32:33], v[32:33]
	s_delay_alu instid0(VALU_DEP_1) | instskip(NEXT) | instid1(VALU_DEP_1)
	v_mul_f64 v[32:33], v[40:41], v[24:25]
	v_mul_f64 v[42:43], v[30:31], v[32:33]
	s_delay_alu instid0(VALU_DEP_1) | instskip(NEXT) | instid1(VALU_DEP_1)
	v_fma_f64 v[28:29], v[32:33], v[30:31], -v[42:43]
	v_fma_f64 v[28:29], v[32:33], v[26:27], v[28:29]
	s_delay_alu instid0(VALU_DEP_1) | instskip(NEXT) | instid1(VALU_DEP_1)
	v_add_f64 v[44:45], v[42:43], v[28:29]
	v_add_f64 v[46:47], v[40:41], -v[44:45]
	v_add_f64 v[38:39], v[44:45], -v[42:43]
	v_max_f64 v[42:43], |v[8:9]|, |v[8:9]|
	s_delay_alu instid0(VALU_DEP_3) | instskip(NEXT) | instid1(VALU_DEP_3)
	v_add_f64 v[40:41], v[40:41], -v[46:47]
	v_add_f64 v[28:29], v[38:39], -v[28:29]
	s_delay_alu instid0(VALU_DEP_2) | instskip(SKIP_2) | instid1(VALU_DEP_1)
	v_add_f64 v[40:41], v[40:41], -v[44:45]
	v_max_f64 v[44:45], |v[6:7]|, |v[6:7]|
	v_cndmask_b32_e64 v6, 0x3fe921fb, v55, s1
	v_bfi_b32 v6, 0x7fffffff, v6, v9
	s_delay_alu instid0(VALU_DEP_4) | instskip(NEXT) | instid1(VALU_DEP_4)
	v_add_f64 v[22:23], v[22:23], v[40:41]
	v_max_f64 v[48:49], v[44:45], v[42:43]
	v_min_f64 v[42:43], v[44:45], v[42:43]
	s_delay_alu instid0(VALU_DEP_3) | instskip(NEXT) | instid1(VALU_DEP_1)
	v_add_f64 v[22:23], v[28:29], v[22:23]
	v_add_f64 v[28:29], v[46:47], v[22:23]
	s_delay_alu instid0(VALU_DEP_1) | instskip(SKIP_1) | instid1(VALU_DEP_2)
	v_mul_f64 v[38:39], v[24:25], v[28:29]
	v_add_f64 v[46:47], v[46:47], -v[28:29]
	v_mul_f64 v[40:41], v[30:31], v[38:39]
	s_delay_alu instid0(VALU_DEP_2) | instskip(NEXT) | instid1(VALU_DEP_2)
	v_add_f64 v[22:23], v[22:23], v[46:47]
	v_fma_f64 v[30:31], v[38:39], v[30:31], -v[40:41]
	s_delay_alu instid0(VALU_DEP_1) | instskip(SKIP_1) | instid1(VALU_DEP_2)
	v_fma_f64 v[26:27], v[38:39], v[26:27], v[30:31]
	v_div_scale_f64 v[30:31], null, v[48:49], v[48:49], v[42:43]
	v_add_f64 v[44:45], v[40:41], v[26:27]
	s_delay_alu instid0(VALU_DEP_2) | instskip(NEXT) | instid1(VALU_DEP_1)
	v_rcp_f64_e32 v[50:51], v[30:31]
	v_add_f64 v[52:53], v[28:29], -v[44:45]
	v_add_f64 v[40:41], v[44:45], -v[40:41]
	s_waitcnt_depctr 0xfff
	v_fma_f64 v[56:57], -v[30:31], v[50:51], 1.0
	v_add_f64 v[28:29], v[28:29], -v[52:53]
	v_add_f64 v[26:27], v[40:41], -v[26:27]
	s_delay_alu instid0(VALU_DEP_3) | instskip(NEXT) | instid1(VALU_DEP_3)
	v_fma_f64 v[50:51], v[50:51], v[56:57], v[50:51]
	v_add_f64 v[28:29], v[28:29], -v[44:45]
	s_delay_alu instid0(VALU_DEP_2) | instskip(NEXT) | instid1(VALU_DEP_2)
	v_fma_f64 v[44:45], -v[30:31], v[50:51], 1.0
	v_add_f64 v[22:23], v[22:23], v[28:29]
	v_div_scale_f64 v[28:29], vcc_lo, v[42:43], v[48:49], v[42:43]
	s_delay_alu instid0(VALU_DEP_3) | instskip(SKIP_1) | instid1(VALU_DEP_4)
	v_fma_f64 v[40:41], v[50:51], v[44:45], v[50:51]
	v_add_f64 v[44:45], v[32:33], v[38:39]
	v_add_f64 v[22:23], v[26:27], v[22:23]
	s_delay_alu instid0(VALU_DEP_3) | instskip(NEXT) | instid1(VALU_DEP_3)
	v_mul_f64 v[26:27], v[28:29], v[40:41]
	v_add_f64 v[32:33], v[44:45], -v[32:33]
	s_delay_alu instid0(VALU_DEP_3) | instskip(NEXT) | instid1(VALU_DEP_3)
	v_add_f64 v[22:23], v[52:53], v[22:23]
	v_fma_f64 v[28:29], -v[30:31], v[26:27], v[28:29]
	s_delay_alu instid0(VALU_DEP_3) | instskip(NEXT) | instid1(VALU_DEP_3)
	v_add_f64 v[30:31], v[38:39], -v[32:33]
	v_mul_f64 v[22:23], v[24:25], v[22:23]
	s_delay_alu instid0(VALU_DEP_3) | instskip(SKIP_1) | instid1(VALU_DEP_3)
	v_div_fmas_f64 v[24:25], v[28:29], v[40:41], v[26:27]
	v_cmp_eq_f64_e32 vcc_lo, 0x7ff00000, v[10:11]
	v_add_f64 v[22:23], v[30:31], v[22:23]
	s_delay_alu instid0(VALU_DEP_3) | instskip(NEXT) | instid1(VALU_DEP_2)
	v_div_fixup_f64 v[24:25], v[24:25], v[48:49], v[42:43]
	v_add_f64 v[26:27], v[44:45], v[22:23]
	s_delay_alu instid0(VALU_DEP_2) | instskip(NEXT) | instid1(VALU_DEP_2)
	v_mul_f64 v[28:29], v[24:25], v[24:25]
	v_mul_f64 v[30:31], v[26:27], v[26:27]
	s_delay_alu instid0(VALU_DEP_2) | instskip(NEXT) | instid1(VALU_DEP_2)
	v_fma_f64 v[32:33], v[28:29], s[42:43], s[40:41]
	v_fma_f64 v[38:39], v[30:31], s[24:25], s[22:23]
	v_mul_f64 v[40:41], v[26:27], v[30:31]
	s_delay_alu instid0(VALU_DEP_3) | instskip(NEXT) | instid1(VALU_DEP_3)
	v_fma_f64 v[32:33], v[28:29], v[32:33], s[44:45]
	v_fma_f64 v[38:39], v[30:31], v[38:39], s[26:27]
	s_delay_alu instid0(VALU_DEP_2) | instskip(NEXT) | instid1(VALU_DEP_2)
	v_fma_f64 v[32:33], v[28:29], v[32:33], s[46:47]
	v_fma_f64 v[38:39], v[30:31], v[38:39], s[28:29]
	s_delay_alu instid0(VALU_DEP_2) | instskip(NEXT) | instid1(VALU_DEP_2)
	v_fma_f64 v[32:33], v[28:29], v[32:33], s[48:49]
	v_fma_f64 v[38:39], v[30:31], v[38:39], s[30:31]
	s_delay_alu instid0(VALU_DEP_2) | instskip(NEXT) | instid1(VALU_DEP_2)
	v_fma_f64 v[32:33], v[28:29], v[32:33], s[50:51]
	v_fma_f64 v[38:39], v[30:31], v[38:39], s[34:35]
	s_delay_alu instid0(VALU_DEP_2) | instskip(NEXT) | instid1(VALU_DEP_2)
	v_fma_f64 v[32:33], v[28:29], v[32:33], s[52:53]
	v_fma_f64 v[30:31], v[30:31], v[38:39], s[88:89]
	v_ldexp_f64 v[38:39], v[26:27], 1
	v_add_f64 v[26:27], v[26:27], -v[44:45]
	s_delay_alu instid0(VALU_DEP_4) | instskip(NEXT) | instid1(VALU_DEP_4)
	v_fma_f64 v[32:33], v[28:29], v[32:33], s[54:55]
	v_mul_f64 v[30:31], v[40:41], v[30:31]
	v_cvt_f64_i32_e32 v[40:41], v12
	s_delay_alu instid0(VALU_DEP_4) | instskip(NEXT) | instid1(VALU_DEP_4)
	v_add_f64 v[22:23], v[22:23], -v[26:27]
	v_fma_f64 v[32:33], v[28:29], v[32:33], s[56:57]
	v_ashrrev_i32_e32 v12, 31, v7
	s_delay_alu instid0(VALU_DEP_1) | instskip(SKIP_4) | instid1(VALU_DEP_4)
	v_and_b32_e32 v7, 0x400921fb, v12
	v_add_f64 v[42:43], v[38:39], v[30:31]
	v_mul_f64 v[44:45], v[40:41], s[36:37]
	v_ldexp_f64 v[22:23], v[22:23], 1
	v_fma_f64 v[32:33], v[28:29], v[32:33], s[58:59]
	v_add_f64 v[26:27], v[42:43], -v[38:39]
	s_delay_alu instid0(VALU_DEP_4) | instskip(NEXT) | instid1(VALU_DEP_3)
	v_fma_f64 v[38:39], v[40:41], s[36:37], -v[44:45]
	v_fma_f64 v[32:33], v[28:29], v[32:33], s[60:61]
	s_delay_alu instid0(VALU_DEP_3) | instskip(NEXT) | instid1(VALU_DEP_2)
	v_add_f64 v[26:27], v[30:31], -v[26:27]
	v_fma_f64 v[30:31], v[28:29], v[32:33], s[62:63]
	s_delay_alu instid0(VALU_DEP_4) | instskip(NEXT) | instid1(VALU_DEP_3)
	v_fma_f64 v[32:33], v[40:41], s[38:39], v[38:39]
	v_add_f64 v[22:23], v[22:23], v[26:27]
	s_delay_alu instid0(VALU_DEP_3) | instskip(NEXT) | instid1(VALU_DEP_3)
	v_fma_f64 v[26:27], v[28:29], v[30:31], s[64:65]
	v_add_f64 v[30:31], v[44:45], v[32:33]
	s_delay_alu instid0(VALU_DEP_3) | instskip(NEXT) | instid1(VALU_DEP_3)
	v_add_f64 v[38:39], v[42:43], v[22:23]
	v_fma_f64 v[26:27], v[28:29], v[26:27], s[66:67]
	s_delay_alu instid0(VALU_DEP_3) | instskip(NEXT) | instid1(VALU_DEP_3)
	v_add_f64 v[44:45], v[30:31], -v[44:45]
	v_add_f64 v[40:41], v[30:31], v[38:39]
	v_add_f64 v[42:43], v[38:39], -v[42:43]
	s_delay_alu instid0(VALU_DEP_4) | instskip(NEXT) | instid1(VALU_DEP_4)
	v_fma_f64 v[26:27], v[28:29], v[26:27], s[68:69]
	v_add_f64 v[32:33], v[32:33], -v[44:45]
	s_delay_alu instid0(VALU_DEP_4) | instskip(NEXT) | instid1(VALU_DEP_4)
	v_add_f64 v[46:47], v[40:41], -v[30:31]
	v_add_f64 v[22:23], v[22:23], -v[42:43]
	s_delay_alu instid0(VALU_DEP_4) | instskip(NEXT) | instid1(VALU_DEP_3)
	v_fma_f64 v[26:27], v[28:29], v[26:27], s[70:71]
	v_add_f64 v[48:49], v[40:41], -v[46:47]
	v_add_f64 v[38:39], v[38:39], -v[46:47]
	s_delay_alu instid0(VALU_DEP_4) | instskip(NEXT) | instid1(VALU_DEP_4)
	v_add_f64 v[42:43], v[32:33], v[22:23]
	v_fma_f64 v[26:27], v[28:29], v[26:27], s[72:73]
	s_delay_alu instid0(VALU_DEP_4) | instskip(NEXT) | instid1(VALU_DEP_2)
	v_add_f64 v[30:31], v[30:31], -v[48:49]
	v_fma_f64 v[26:27], v[28:29], v[26:27], s[74:75]
	s_delay_alu instid0(VALU_DEP_2) | instskip(SKIP_1) | instid1(VALU_DEP_3)
	v_add_f64 v[30:31], v[38:39], v[30:31]
	v_add_f64 v[38:39], v[42:43], -v[32:33]
	v_fma_f64 v[26:27], v[28:29], v[26:27], s[76:77]
	s_delay_alu instid0(VALU_DEP_3) | instskip(NEXT) | instid1(VALU_DEP_3)
	v_add_f64 v[30:31], v[42:43], v[30:31]
	v_add_f64 v[42:43], v[42:43], -v[38:39]
	v_add_f64 v[22:23], v[22:23], -v[38:39]
	s_delay_alu instid0(VALU_DEP_4) | instskip(NEXT) | instid1(VALU_DEP_4)
	v_fma_f64 v[26:27], v[28:29], v[26:27], s[78:79]
	v_add_f64 v[44:45], v[40:41], v[30:31]
	s_delay_alu instid0(VALU_DEP_2) | instskip(SKIP_1) | instid1(VALU_DEP_3)
	v_mul_f64 v[26:27], v[28:29], v[26:27]
	v_add_f64 v[28:29], v[32:33], -v[42:43]
	v_add_f64 v[32:33], v[44:45], -v[40:41]
	s_delay_alu instid0(VALU_DEP_3) | instskip(NEXT) | instid1(VALU_DEP_3)
	v_fma_f64 v[24:25], v[24:25], v[26:27], v[24:25]
	v_add_f64 v[22:23], v[22:23], v[28:29]
	s_delay_alu instid0(VALU_DEP_3) | instskip(NEXT) | instid1(VALU_DEP_3)
	v_add_f64 v[26:27], v[30:31], -v[32:33]
	v_add_f64 v[28:29], -v[24:25], s[80:81]
	s_delay_alu instid0(VALU_DEP_2) | instskip(NEXT) | instid1(VALU_DEP_2)
	v_add_f64 v[22:23], v[22:23], v[26:27]
	v_cndmask_b32_e64 v25, v25, v29, s0
	s_delay_alu instid0(VALU_DEP_3) | instskip(SKIP_1) | instid1(VALU_DEP_2)
	v_cndmask_b32_e64 v24, v24, v28, s0
	v_cndmask_b32_e64 v28, 0x54442d18, v54, s1
	v_add_f64 v[26:27], -v[24:25], s[10:11]
	v_add_f64 v[22:23], v[44:45], v[22:23]
	v_and_b32_e32 v29, 0x54442d18, v12
	s_delay_alu instid0(VALU_DEP_3) | instskip(NEXT) | instid1(VALU_DEP_4)
	v_cndmask_b32_e64 v24, v24, v26, s1
	v_cndmask_b32_e64 v12, v25, v27, s1
	v_cmp_nge_f64_e64 s1, -1.0, v[10:11]
                                        ; implicit-def: $vgpr26_vgpr27
	v_dual_cndmask_b32 v22, v22, v10 :: v_dual_cndmask_b32 v23, v23, v11
	v_cmp_eq_f64_e32 vcc_lo, 0, v[8:9]
	v_cndmask_b32_e32 v24, v24, v29, vcc_lo
	s_delay_alu instid0(VALU_DEP_3) | instskip(SKIP_2) | instid1(VALU_DEP_3)
	v_mul_f64 v[22:23], v[22:23], 0.5
	v_cndmask_b32_e32 v7, v12, v7, vcc_lo
	v_cmp_ngt_f64_e32 vcc_lo, -1.0, v[10:11]
	v_cndmask_b32_e64 v22, 0, v22, s1
	v_cmp_neq_f64_e64 s1, -1.0, v[10:11]
	v_cndmask_b32_e32 v12, 0x7ff80000, v23, vcc_lo
	s_and_b32 vcc_lo, s4, s3
	v_dual_cndmask_b32 v25, v7, v6 :: v_dual_cndmask_b32 v24, v24, v28
                                        ; implicit-def: $vgpr28_vgpr29
	s_delay_alu instid0(VALU_DEP_2)
	v_cndmask_b32_e64 v23, 0xfff00000, v12, s1
.LBB174_202:                            ;   in Loop: Header=BB174_162 Depth=1
	s_and_not1_saveexec_b32 s96, s2
	s_cbranch_execz .LBB174_210
; %bb.203:                              ;   in Loop: Header=BB174_162 Depth=1
	v_mul_f64 v[10:11], v[26:27], v[26:27]
                                        ; implicit-def: $vgpr22_vgpr23
	s_mov_b32 s1, exec_lo
	s_delay_alu instid0(VALU_DEP_1) | instskip(NEXT) | instid1(VALU_DEP_1)
	v_fma_f64 v[10:11], v[28:29], v[28:29], v[10:11]
	v_cmpx_ge_f64_e32 s[82:83], v[10:11]
	s_xor_b32 s3, exec_lo, s1
	s_cbranch_execz .LBB174_205
; %bb.204:                              ;   in Loop: Header=BB174_162 Depth=1
	v_frexp_mant_f64_e32 v[22:23], v[10:11]
	v_max_f64 v[32:33], |v[6:7]|, |v[6:7]|
	s_mov_b32 s89, s21
	v_frexp_exp_i32_f64_e32 v12, v[10:11]
	s_mov_b32 s10, s80
	v_cmp_class_f64_e64 s4, v[8:9], 0x204
	v_cmp_class_f64_e64 s5, v[6:7], 0x204
	v_cmp_neq_f64_e64 s2, 0, v[10:11]
	v_cmp_gt_f64_e64 s1, s[20:21], v[22:23]
	s_delay_alu instid0(VALU_DEP_1) | instskip(NEXT) | instid1(VALU_DEP_1)
	v_cndmask_b32_e64 v35, 0x3ff00000, 2.0, s1
	v_mul_f64 v[22:23], v[22:23], v[34:35]
	s_delay_alu instid0(VALU_DEP_1) | instskip(SKIP_1) | instid1(VALU_DEP_2)
	v_add_f64 v[24:25], v[22:23], 1.0
	v_add_f64 v[30:31], v[22:23], -1.0
	v_rcp_f64_e32 v[26:27], v[24:25]
	s_waitcnt_depctr 0xfff
	v_fma_f64 v[28:29], -v[24:25], v[26:27], 1.0
	s_delay_alu instid0(VALU_DEP_1) | instskip(NEXT) | instid1(VALU_DEP_1)
	v_fma_f64 v[26:27], v[28:29], v[26:27], v[26:27]
	v_fma_f64 v[28:29], -v[24:25], v[26:27], 1.0
	s_delay_alu instid0(VALU_DEP_1) | instskip(SKIP_1) | instid1(VALU_DEP_2)
	v_fma_f64 v[26:27], v[28:29], v[26:27], v[26:27]
	v_max_f64 v[28:29], |v[8:9]|, |v[8:9]|
	v_mul_f64 v[38:39], v[30:31], v[26:27]
	s_delay_alu instid0(VALU_DEP_2) | instskip(SKIP_2) | instid1(VALU_DEP_4)
	v_max_f64 v[40:41], v[32:33], v[28:29]
	v_min_f64 v[28:29], v[32:33], v[28:29]
	v_add_f64 v[32:33], v[24:25], -1.0
	v_mul_f64 v[42:43], v[24:25], v[38:39]
	s_delay_alu instid0(VALU_DEP_3) | instskip(NEXT) | instid1(VALU_DEP_3)
	v_div_scale_f64 v[44:45], null, v[40:41], v[40:41], v[28:29]
	v_add_f64 v[22:23], v[22:23], -v[32:33]
	v_div_scale_f64 v[50:51], vcc_lo, v[28:29], v[40:41], v[28:29]
	s_delay_alu instid0(VALU_DEP_4) | instskip(NEXT) | instid1(VALU_DEP_4)
	v_fma_f64 v[24:25], v[38:39], v[24:25], -v[42:43]
	v_rcp_f64_e32 v[32:33], v[44:45]
	s_delay_alu instid0(VALU_DEP_1) | instskip(SKIP_3) | instid1(VALU_DEP_2)
	v_fma_f64 v[22:23], v[38:39], v[22:23], v[24:25]
	s_waitcnt_depctr 0xfff
	v_fma_f64 v[24:25], -v[44:45], v[32:33], 1.0
	v_add_f64 v[46:47], v[42:43], v[22:23]
	v_fma_f64 v[24:25], v[32:33], v[24:25], v[32:33]
	s_delay_alu instid0(VALU_DEP_2) | instskip(SKIP_1) | instid1(VALU_DEP_3)
	v_add_f64 v[32:33], v[30:31], -v[46:47]
	v_add_f64 v[42:43], v[46:47], -v[42:43]
	v_fma_f64 v[48:49], -v[44:45], v[24:25], 1.0
	s_delay_alu instid0(VALU_DEP_3) | instskip(NEXT) | instid1(VALU_DEP_3)
	v_add_f64 v[30:31], v[30:31], -v[32:33]
	v_add_f64 v[22:23], v[42:43], -v[22:23]
	s_delay_alu instid0(VALU_DEP_3) | instskip(NEXT) | instid1(VALU_DEP_3)
	v_fma_f64 v[24:25], v[24:25], v[48:49], v[24:25]
	v_add_f64 v[30:31], v[30:31], -v[46:47]
	s_delay_alu instid0(VALU_DEP_2) | instskip(NEXT) | instid1(VALU_DEP_2)
	v_mul_f64 v[42:43], v[50:51], v[24:25]
	v_add_f64 v[22:23], v[22:23], v[30:31]
	s_delay_alu instid0(VALU_DEP_2) | instskip(NEXT) | instid1(VALU_DEP_2)
	v_fma_f64 v[30:31], -v[44:45], v[42:43], v[50:51]
	v_add_f64 v[22:23], v[32:33], v[22:23]
	s_delay_alu instid0(VALU_DEP_2) | instskip(SKIP_4) | instid1(VALU_DEP_1)
	v_div_fmas_f64 v[24:25], v[30:31], v[24:25], v[42:43]
	v_subrev_co_ci_u32_e64 v12, vcc_lo, 0, v12, s1
	v_cmp_eq_f64_e64 s1, 0, v[8:9]
	v_cmp_gt_i32_e32 vcc_lo, 0, v7
	v_cndmask_b32_e32 v10, 0x3fe921fb, v55, vcc_lo
	v_bfi_b32 v10, 0x7fffffff, v10, v9
	v_mul_f64 v[22:23], v[26:27], v[22:23]
	v_div_fixup_f64 v[24:25], v[24:25], v[40:41], v[28:29]
	s_delay_alu instid0(VALU_DEP_2) | instskip(NEXT) | instid1(VALU_DEP_2)
	v_add_f64 v[26:27], v[38:39], v[22:23]
	v_mul_f64 v[28:29], v[24:25], v[24:25]
	s_delay_alu instid0(VALU_DEP_2) | instskip(NEXT) | instid1(VALU_DEP_2)
	v_mul_f64 v[30:31], v[26:27], v[26:27]
	v_fma_f64 v[32:33], v[28:29], s[42:43], s[40:41]
	s_delay_alu instid0(VALU_DEP_2) | instskip(SKIP_1) | instid1(VALU_DEP_3)
	v_fma_f64 v[40:41], v[30:31], s[24:25], s[22:23]
	v_mul_f64 v[42:43], v[26:27], v[30:31]
	v_fma_f64 v[32:33], v[28:29], v[32:33], s[44:45]
	s_delay_alu instid0(VALU_DEP_3) | instskip(NEXT) | instid1(VALU_DEP_2)
	v_fma_f64 v[40:41], v[30:31], v[40:41], s[26:27]
	v_fma_f64 v[32:33], v[28:29], v[32:33], s[46:47]
	s_delay_alu instid0(VALU_DEP_2) | instskip(NEXT) | instid1(VALU_DEP_2)
	v_fma_f64 v[40:41], v[30:31], v[40:41], s[28:29]
	v_fma_f64 v[32:33], v[28:29], v[32:33], s[48:49]
	s_delay_alu instid0(VALU_DEP_2) | instskip(NEXT) | instid1(VALU_DEP_2)
	;; [unrolled: 3-line block ×3, first 2 shown]
	v_fma_f64 v[40:41], v[30:31], v[40:41], s[34:35]
	v_fma_f64 v[32:33], v[28:29], v[32:33], s[52:53]
	s_delay_alu instid0(VALU_DEP_2) | instskip(SKIP_2) | instid1(VALU_DEP_4)
	v_fma_f64 v[30:31], v[30:31], v[40:41], s[88:89]
	v_ldexp_f64 v[40:41], v[26:27], 1
	v_add_f64 v[26:27], v[26:27], -v[38:39]
	v_fma_f64 v[32:33], v[28:29], v[32:33], s[54:55]
	s_delay_alu instid0(VALU_DEP_4) | instskip(SKIP_1) | instid1(VALU_DEP_4)
	v_mul_f64 v[30:31], v[42:43], v[30:31]
	v_cvt_f64_i32_e32 v[42:43], v12
	v_add_f64 v[22:23], v[22:23], -v[26:27]
	v_ashrrev_i32_e32 v12, 31, v7
	v_fma_f64 v[32:33], v[28:29], v[32:33], s[56:57]
	s_delay_alu instid0(VALU_DEP_2) | instskip(SKIP_4) | instid1(VALU_DEP_4)
	v_and_b32_e32 v11, 0x400921fb, v12
	v_add_f64 v[38:39], v[40:41], v[30:31]
	v_mul_f64 v[44:45], v[42:43], s[36:37]
	v_ldexp_f64 v[22:23], v[22:23], 1
	v_fma_f64 v[32:33], v[28:29], v[32:33], s[58:59]
	v_add_f64 v[26:27], v[38:39], -v[40:41]
	s_delay_alu instid0(VALU_DEP_4) | instskip(NEXT) | instid1(VALU_DEP_3)
	v_fma_f64 v[40:41], v[42:43], s[36:37], -v[44:45]
	v_fma_f64 v[32:33], v[28:29], v[32:33], s[60:61]
	s_delay_alu instid0(VALU_DEP_3) | instskip(NEXT) | instid1(VALU_DEP_2)
	v_add_f64 v[26:27], v[30:31], -v[26:27]
	v_fma_f64 v[30:31], v[28:29], v[32:33], s[62:63]
	s_delay_alu instid0(VALU_DEP_4) | instskip(NEXT) | instid1(VALU_DEP_3)
	v_fma_f64 v[32:33], v[42:43], s[38:39], v[40:41]
	v_add_f64 v[22:23], v[22:23], v[26:27]
	s_delay_alu instid0(VALU_DEP_3) | instskip(NEXT) | instid1(VALU_DEP_3)
	v_fma_f64 v[26:27], v[28:29], v[30:31], s[64:65]
	v_add_f64 v[30:31], v[44:45], v[32:33]
	s_delay_alu instid0(VALU_DEP_3) | instskip(NEXT) | instid1(VALU_DEP_3)
	v_add_f64 v[40:41], v[38:39], v[22:23]
	v_fma_f64 v[26:27], v[28:29], v[26:27], s[66:67]
	s_delay_alu instid0(VALU_DEP_3) | instskip(NEXT) | instid1(VALU_DEP_3)
	v_add_f64 v[44:45], v[30:31], -v[44:45]
	v_add_f64 v[42:43], v[30:31], v[40:41]
	v_add_f64 v[38:39], v[40:41], -v[38:39]
	s_delay_alu instid0(VALU_DEP_4) | instskip(NEXT) | instid1(VALU_DEP_4)
	v_fma_f64 v[26:27], v[28:29], v[26:27], s[68:69]
	v_add_f64 v[32:33], v[32:33], -v[44:45]
	s_delay_alu instid0(VALU_DEP_4) | instskip(NEXT) | instid1(VALU_DEP_4)
	v_add_f64 v[46:47], v[42:43], -v[30:31]
	v_add_f64 v[22:23], v[22:23], -v[38:39]
	s_delay_alu instid0(VALU_DEP_4) | instskip(NEXT) | instid1(VALU_DEP_3)
	v_fma_f64 v[26:27], v[28:29], v[26:27], s[70:71]
	v_add_f64 v[48:49], v[42:43], -v[46:47]
	v_add_f64 v[38:39], v[40:41], -v[46:47]
	s_delay_alu instid0(VALU_DEP_4) | instskip(NEXT) | instid1(VALU_DEP_4)
	v_add_f64 v[40:41], v[32:33], v[22:23]
	v_fma_f64 v[26:27], v[28:29], v[26:27], s[72:73]
	s_delay_alu instid0(VALU_DEP_4) | instskip(NEXT) | instid1(VALU_DEP_2)
	v_add_f64 v[30:31], v[30:31], -v[48:49]
	v_fma_f64 v[26:27], v[28:29], v[26:27], s[74:75]
	s_delay_alu instid0(VALU_DEP_2) | instskip(SKIP_1) | instid1(VALU_DEP_3)
	v_add_f64 v[30:31], v[38:39], v[30:31]
	v_add_f64 v[38:39], v[40:41], -v[32:33]
	v_fma_f64 v[26:27], v[28:29], v[26:27], s[76:77]
	s_delay_alu instid0(VALU_DEP_3) | instskip(NEXT) | instid1(VALU_DEP_3)
	v_add_f64 v[30:31], v[40:41], v[30:31]
	v_add_f64 v[40:41], v[40:41], -v[38:39]
	v_add_f64 v[22:23], v[22:23], -v[38:39]
	s_delay_alu instid0(VALU_DEP_4) | instskip(NEXT) | instid1(VALU_DEP_4)
	v_fma_f64 v[26:27], v[28:29], v[26:27], s[78:79]
	v_add_f64 v[44:45], v[42:43], v[30:31]
	s_delay_alu instid0(VALU_DEP_2) | instskip(SKIP_1) | instid1(VALU_DEP_3)
	v_mul_f64 v[26:27], v[28:29], v[26:27]
	v_add_f64 v[28:29], v[32:33], -v[40:41]
	v_add_f64 v[32:33], v[44:45], -v[42:43]
	s_delay_alu instid0(VALU_DEP_3) | instskip(NEXT) | instid1(VALU_DEP_3)
	v_fma_f64 v[24:25], v[24:25], v[26:27], v[24:25]
	v_add_f64 v[22:23], v[22:23], v[28:29]
	s_delay_alu instid0(VALU_DEP_3) | instskip(NEXT) | instid1(VALU_DEP_3)
	v_add_f64 v[26:27], v[30:31], -v[32:33]
	v_add_f64 v[28:29], -v[24:25], s[80:81]
	s_delay_alu instid0(VALU_DEP_2) | instskip(NEXT) | instid1(VALU_DEP_2)
	v_add_f64 v[22:23], v[22:23], v[26:27]
	v_cndmask_b32_e64 v25, v25, v29, s0
	s_delay_alu instid0(VALU_DEP_3) | instskip(SKIP_1) | instid1(VALU_DEP_2)
	v_cndmask_b32_e64 v24, v24, v28, s0
	v_dual_cndmask_b32 v28, 0x54442d18, v54 :: v_dual_and_b32 v29, 0x54442d18, v12
	v_add_f64 v[26:27], -v[24:25], s[10:11]
	v_add_f64 v[22:23], v[44:45], v[22:23]
	s_delay_alu instid0(VALU_DEP_2) | instskip(NEXT) | instid1(VALU_DEP_3)
	v_cndmask_b32_e32 v24, v24, v26, vcc_lo
	v_cndmask_b32_e32 v12, v25, v27, vcc_lo
	s_and_b32 vcc_lo, s5, s4
                                        ; implicit-def: $vgpr26_vgpr27
	s_delay_alu instid0(VALU_DEP_2) | instskip(NEXT) | instid1(VALU_DEP_2)
	v_cndmask_b32_e64 v24, v24, v29, s1
	v_cndmask_b32_e64 v11, v12, v11, s1
	s_delay_alu instid0(VALU_DEP_1) | instskip(SKIP_1) | instid1(VALU_DEP_1)
	v_dual_cndmask_b32 v24, v24, v28 :: v_dual_cndmask_b32 v25, v11, v10
                                        ; implicit-def: $vgpr28_vgpr29
	v_mul_f64 v[6:7], v[22:23], 0.5
	v_cndmask_b32_e64 v23, 0xfff00000, v7, s2
	s_delay_alu instid0(VALU_DEP_2)
	v_cndmask_b32_e64 v22, 0, v6, s2
.LBB174_205:                            ;   in Loop: Header=BB174_162 Depth=1
	s_and_not1_saveexec_b32 s97, s3
	s_cbranch_execz .LBB174_209
; %bb.206:                              ;   in Loop: Header=BB174_162 Depth=1
	v_dual_mov_b32 v22, v34 :: v_dual_and_b32 v35, 0x7ffffff8, v29
	v_and_b32_e32 v23, 0x7ffffff8, v27
	s_mov_b32 s89, 0
	s_delay_alu instid0(VALU_DEP_2) | instskip(SKIP_1) | instid1(VALU_DEP_3)
	v_add_f64 v[10:11], v[28:29], -v[34:35]
	v_mov_b32_e32 v28, v34
	v_add_f64 v[24:25], v[26:27], -v[22:23]
	v_mov_b32_e32 v30, v34
	v_add_f64 v[32:33], v[34:35], v[34:35]
	v_add_f64 v[44:45], v[22:23], v[22:23]
	v_mul_f64 v[26:27], v[22:23], v[22:23]
	v_and_b32_e32 v29, -8, v11
	v_and_b32_e32 v31, -8, v25
	s_delay_alu instid0(VALU_DEP_2) | instskip(SKIP_1) | instid1(VALU_DEP_3)
	v_add_f64 v[46:47], v[10:11], -v[28:29]
	v_add_f64 v[50:51], v[28:29], v[28:29]
	v_add_f64 v[48:49], v[24:25], -v[30:31]
	v_add_f64 v[52:53], v[30:31], v[30:31]
	v_mul_f64 v[10:11], v[34:35], v[34:35]
	v_mul_f64 v[42:43], v[32:33], v[28:29]
	;; [unrolled: 1-line block ×11, first 2 shown]
.LBB174_207:                            ;   Parent Loop BB174_162 Depth=1
                                        ; =>  This Inner Loop Header: Depth=2
	v_cmp_nlt_f64_e32 vcc_lo, v[10:11], v[26:27]
	v_dual_cndmask_b32 v49, v11, v27 :: v_dual_cndmask_b32 v48, v10, v26
	v_dual_cndmask_b32 v11, v27, v11 :: v_dual_cndmask_b32 v10, v26, v10
	s_delay_alu instid0(VALU_DEP_2) | instskip(NEXT) | instid1(VALU_DEP_1)
	v_cmp_nlt_f64_e64 s1, v[48:49], v[42:43]
	v_cndmask_b32_e64 v51, v49, v43, s1
	v_cndmask_b32_e64 v50, v48, v42, s1
	v_cndmask_b32_e64 v27, v43, v49, s1
	v_cndmask_b32_e64 v26, v42, v48, s1
	s_and_b32 s1, vcc_lo, s1
	s_delay_alu instid0(VALU_DEP_3) | instskip(NEXT) | instid1(VALU_DEP_1)
	v_cmp_nlt_f64_e64 s2, v[50:51], v[24:25]
	v_cndmask_b32_e64 v53, v51, v25, s2
	v_cndmask_b32_e64 v52, v50, v24, s2
	;; [unrolled: 1-line block ×4, first 2 shown]
	s_delay_alu instid0(VALU_DEP_3) | instskip(NEXT) | instid1(VALU_DEP_1)
	v_cmp_nlt_f64_e64 s3, v[52:53], v[40:41]
	v_cndmask_b32_e64 v57, v53, v41, s3
	v_cndmask_b32_e64 v56, v52, v40, s3
	;; [unrolled: 1-line block ×4, first 2 shown]
	s_and_b32 s2, s2, s3
	s_delay_alu instid0(VALU_DEP_3) | instskip(NEXT) | instid1(VALU_DEP_1)
	v_cmp_nlt_f64_e64 s4, v[56:57], v[22:23]
	v_cndmask_b32_e64 v59, v57, v23, s4
	v_cndmask_b32_e64 v58, v56, v22, s4
	;; [unrolled: 1-line block ×4, first 2 shown]
	s_delay_alu instid0(VALU_DEP_3) | instskip(NEXT) | instid1(VALU_DEP_1)
	v_cmp_nlt_f64_e64 s5, v[58:59], v[38:39]
	v_cndmask_b32_e64 v61, v59, v39, s5
	v_cndmask_b32_e64 v60, v58, v38, s5
	s_and_b32 s3, s4, s5
	v_cndmask_b32_e64 v23, v39, v59, s5
	v_cndmask_b32_e64 v22, v38, v58, s5
	s_delay_alu instid0(VALU_DEP_3) | instskip(NEXT) | instid1(VALU_DEP_1)
	v_cmp_nlt_f64_e64 s6, v[60:61], v[32:33]
	v_cndmask_b32_e64 v63, v61, v33, s6
	v_cndmask_b32_e64 v62, v60, v32, s6
	s_and_b32 s3, s3, s6
	v_cndmask_b32_e64 v39, v33, v61, s6
	v_cndmask_b32_e64 v38, v32, v60, s6
	s_delay_alu instid0(VALU_DEP_3) | instskip(NEXT) | instid1(VALU_DEP_1)
	v_cmp_nlt_f64_e64 s7, v[62:63], v[30:31]
	v_cndmask_b32_e64 v65, v63, v31, s7
	v_cndmask_b32_e64 v64, v62, v30, s7
	s_and_b32 s3, s3, s7
	v_cndmask_b32_e64 v33, v31, v63, s7
	v_cndmask_b32_e64 v32, v30, v62, s7
	s_delay_alu instid0(VALU_DEP_3) | instskip(NEXT) | instid1(VALU_DEP_1)
	v_cmp_nlt_f64_e64 s8, v[64:65], v[28:29]
	v_cndmask_b32_e64 v67, v65, v29, s8
	v_cndmask_b32_e64 v66, v64, v28, s8
	s_and_b32 s3, s3, s8
	v_cndmask_b32_e64 v31, v29, v65, s8
	v_cndmask_b32_e64 v30, v28, v64, s8
	s_delay_alu instid0(VALU_DEP_3) | instskip(NEXT) | instid1(VALU_DEP_1)
	v_cmp_nlt_f64_e64 s9, v[66:67], v[44:45]
	v_cndmask_b32_e64 v69, v67, v45, s9
	v_cndmask_b32_e64 v68, v66, v44, s9
	s_and_b32 s3, s3, s9
	v_cndmask_b32_e64 v29, v45, v67, s9
	v_cndmask_b32_e64 v28, v44, v66, s9
	s_delay_alu instid0(VALU_DEP_3) | instskip(NEXT) | instid1(VALU_DEP_1)
	v_cmp_nlt_f64_e64 s10, v[68:69], v[46:47]
	v_cndmask_b32_e64 v49, v69, v47, s10
	v_cndmask_b32_e64 v48, v68, v46, s10
	s_and_b32 s3, s3, s10
	v_cndmask_b32_e64 v45, v47, v69, s10
	s_and_b32 s2, s3, s2
	;; [unrolled: 2-line block ×3, first 2 shown]
	v_dual_mov_b32 v46, v48 :: v_dual_mov_b32 v47, v49
	s_and_b32 s1, exec_lo, s1
	s_delay_alu instid0(SALU_CYCLE_1) | instskip(NEXT) | instid1(SALU_CYCLE_1)
	s_or_b32 s89, s1, s89
	s_and_not1_b32 exec_lo, exec_lo, s89
	s_cbranch_execnz .LBB174_207
; %bb.208:                              ;   in Loop: Header=BB174_162 Depth=1
	s_or_b32 exec_lo, exec_lo, s89
	v_add_f64 v[10:11], v[10:11], -1.0
	s_mov_b32 s89, s21
	s_mov_b32 s10, s80
	v_cmp_gt_i32_e64 s1, 0, v7
	v_cmp_class_f64_e64 s3, v[6:7], 0x204
	v_cmp_class_f64_e64 s2, v[8:9], 0x204
	s_delay_alu instid0(VALU_DEP_4) | instskip(NEXT) | instid1(VALU_DEP_1)
	v_add_f64 v[10:11], v[10:11], v[26:27]
	v_add_f64 v[10:11], v[10:11], v[42:43]
	s_delay_alu instid0(VALU_DEP_1) | instskip(NEXT) | instid1(VALU_DEP_1)
	v_add_f64 v[10:11], v[10:11], v[24:25]
	v_add_f64 v[10:11], v[10:11], v[40:41]
	s_delay_alu instid0(VALU_DEP_1) | instskip(NEXT) | instid1(VALU_DEP_1)
	;; [unrolled: 3-line block ×5, first 2 shown]
	v_add_f64 v[10:11], v[48:49], v[10:11]
	v_add_f64 v[22:23], v[10:11], 1.0
	s_delay_alu instid0(VALU_DEP_1) | instskip(SKIP_2) | instid1(VALU_DEP_3)
	v_frexp_mant_f64_e32 v[24:25], v[22:23]
	v_frexp_exp_i32_f64_e32 v12, v[22:23]
	v_add_f64 v[26:27], v[22:23], -1.0
	v_cmp_gt_f64_e32 vcc_lo, s[20:21], v[24:25]
	s_delay_alu instid0(VALU_DEP_2) | instskip(SKIP_2) | instid1(VALU_DEP_3)
	v_add_f64 v[24:25], v[26:27], -v[22:23]
	v_add_f64 v[26:27], v[10:11], -v[26:27]
	v_subrev_co_ci_u32_e32 v12, vcc_lo, 0, v12, vcc_lo
	v_add_f64 v[24:25], v[24:25], 1.0
	s_delay_alu instid0(VALU_DEP_2) | instskip(NEXT) | instid1(VALU_DEP_1)
	v_sub_nc_u32_e32 v30, 0, v12
	v_ldexp_f64 v[22:23], v[22:23], v30
	s_delay_alu instid0(VALU_DEP_3) | instskip(NEXT) | instid1(VALU_DEP_2)
	v_add_f64 v[24:25], v[26:27], v[24:25]
	v_add_f64 v[28:29], v[22:23], 1.0
	v_add_f64 v[38:39], v[22:23], -1.0
	s_delay_alu instid0(VALU_DEP_3) | instskip(NEXT) | instid1(VALU_DEP_3)
	v_ldexp_f64 v[24:25], v[24:25], v30
	v_add_f64 v[26:27], v[28:29], -1.0
	s_delay_alu instid0(VALU_DEP_3) | instskip(NEXT) | instid1(VALU_DEP_2)
	v_add_f64 v[40:41], v[38:39], 1.0
	v_add_f64 v[26:27], v[22:23], -v[26:27]
	s_delay_alu instid0(VALU_DEP_2) | instskip(NEXT) | instid1(VALU_DEP_2)
	v_add_f64 v[22:23], v[22:23], -v[40:41]
	v_add_f64 v[26:27], v[24:25], v[26:27]
	s_delay_alu instid0(VALU_DEP_2) | instskip(NEXT) | instid1(VALU_DEP_2)
	v_add_f64 v[22:23], v[24:25], v[22:23]
	v_add_f64 v[30:31], v[28:29], v[26:27]
	s_delay_alu instid0(VALU_DEP_2) | instskip(NEXT) | instid1(VALU_DEP_2)
	v_add_f64 v[40:41], v[38:39], v[22:23]
	v_rcp_f64_e32 v[32:33], v[30:31]
	v_add_f64 v[28:29], v[30:31], -v[28:29]
	s_delay_alu instid0(VALU_DEP_2) | instskip(NEXT) | instid1(VALU_DEP_2)
	v_add_f64 v[38:39], v[40:41], -v[38:39]
	v_add_f64 v[26:27], v[26:27], -v[28:29]
	s_waitcnt_depctr 0xfff
	v_fma_f64 v[42:43], -v[30:31], v[32:33], 1.0
	v_add_f64 v[22:23], v[22:23], -v[38:39]
	s_delay_alu instid0(VALU_DEP_2) | instskip(NEXT) | instid1(VALU_DEP_1)
	v_fma_f64 v[32:33], v[42:43], v[32:33], v[32:33]
	v_fma_f64 v[24:25], -v[30:31], v[32:33], 1.0
	s_delay_alu instid0(VALU_DEP_1) | instskip(NEXT) | instid1(VALU_DEP_1)
	v_fma_f64 v[24:25], v[24:25], v[32:33], v[32:33]
	v_mul_f64 v[32:33], v[40:41], v[24:25]
	s_delay_alu instid0(VALU_DEP_1) | instskip(NEXT) | instid1(VALU_DEP_1)
	v_mul_f64 v[42:43], v[30:31], v[32:33]
	v_fma_f64 v[28:29], v[32:33], v[30:31], -v[42:43]
	s_delay_alu instid0(VALU_DEP_1) | instskip(NEXT) | instid1(VALU_DEP_1)
	v_fma_f64 v[28:29], v[32:33], v[26:27], v[28:29]
	v_add_f64 v[44:45], v[42:43], v[28:29]
	s_delay_alu instid0(VALU_DEP_1) | instskip(SKIP_2) | instid1(VALU_DEP_3)
	v_add_f64 v[46:47], v[40:41], -v[44:45]
	v_add_f64 v[38:39], v[44:45], -v[42:43]
	v_max_f64 v[42:43], |v[8:9]|, |v[8:9]|
	v_add_f64 v[40:41], v[40:41], -v[46:47]
	s_delay_alu instid0(VALU_DEP_3) | instskip(NEXT) | instid1(VALU_DEP_2)
	v_add_f64 v[28:29], v[38:39], -v[28:29]
	v_add_f64 v[40:41], v[40:41], -v[44:45]
	v_max_f64 v[44:45], |v[6:7]|, |v[6:7]|
	v_cndmask_b32_e64 v6, 0x3fe921fb, v55, s1
	s_delay_alu instid0(VALU_DEP_1) | instskip(NEXT) | instid1(VALU_DEP_4)
	v_bfi_b32 v6, 0x7fffffff, v6, v9
	v_add_f64 v[22:23], v[22:23], v[40:41]
	s_delay_alu instid0(VALU_DEP_4) | instskip(SKIP_1) | instid1(VALU_DEP_3)
	v_max_f64 v[48:49], v[44:45], v[42:43]
	v_min_f64 v[42:43], v[44:45], v[42:43]
	v_add_f64 v[22:23], v[28:29], v[22:23]
	s_delay_alu instid0(VALU_DEP_1) | instskip(NEXT) | instid1(VALU_DEP_1)
	v_add_f64 v[28:29], v[46:47], v[22:23]
	v_mul_f64 v[38:39], v[24:25], v[28:29]
	v_add_f64 v[46:47], v[46:47], -v[28:29]
	s_delay_alu instid0(VALU_DEP_2) | instskip(NEXT) | instid1(VALU_DEP_2)
	v_mul_f64 v[40:41], v[30:31], v[38:39]
	v_add_f64 v[22:23], v[22:23], v[46:47]
	s_delay_alu instid0(VALU_DEP_2) | instskip(NEXT) | instid1(VALU_DEP_1)
	v_fma_f64 v[30:31], v[38:39], v[30:31], -v[40:41]
	v_fma_f64 v[26:27], v[38:39], v[26:27], v[30:31]
	v_div_scale_f64 v[30:31], null, v[48:49], v[48:49], v[42:43]
	s_delay_alu instid0(VALU_DEP_2) | instskip(NEXT) | instid1(VALU_DEP_2)
	v_add_f64 v[44:45], v[40:41], v[26:27]
	v_rcp_f64_e32 v[50:51], v[30:31]
	s_delay_alu instid0(VALU_DEP_1)
	v_add_f64 v[52:53], v[28:29], -v[44:45]
	v_add_f64 v[40:41], v[44:45], -v[40:41]
	s_waitcnt_depctr 0xfff
	v_fma_f64 v[56:57], -v[30:31], v[50:51], 1.0
	v_add_f64 v[28:29], v[28:29], -v[52:53]
	v_add_f64 v[26:27], v[40:41], -v[26:27]
	s_delay_alu instid0(VALU_DEP_3) | instskip(NEXT) | instid1(VALU_DEP_3)
	v_fma_f64 v[50:51], v[50:51], v[56:57], v[50:51]
	v_add_f64 v[28:29], v[28:29], -v[44:45]
	s_delay_alu instid0(VALU_DEP_2) | instskip(NEXT) | instid1(VALU_DEP_2)
	v_fma_f64 v[44:45], -v[30:31], v[50:51], 1.0
	v_add_f64 v[22:23], v[22:23], v[28:29]
	v_div_scale_f64 v[28:29], vcc_lo, v[42:43], v[48:49], v[42:43]
	s_delay_alu instid0(VALU_DEP_3) | instskip(SKIP_1) | instid1(VALU_DEP_4)
	v_fma_f64 v[40:41], v[50:51], v[44:45], v[50:51]
	v_add_f64 v[44:45], v[32:33], v[38:39]
	v_add_f64 v[22:23], v[26:27], v[22:23]
	s_delay_alu instid0(VALU_DEP_3) | instskip(NEXT) | instid1(VALU_DEP_3)
	v_mul_f64 v[26:27], v[28:29], v[40:41]
	v_add_f64 v[32:33], v[44:45], -v[32:33]
	s_delay_alu instid0(VALU_DEP_3) | instskip(NEXT) | instid1(VALU_DEP_3)
	v_add_f64 v[22:23], v[52:53], v[22:23]
	v_fma_f64 v[28:29], -v[30:31], v[26:27], v[28:29]
	s_delay_alu instid0(VALU_DEP_3) | instskip(NEXT) | instid1(VALU_DEP_3)
	v_add_f64 v[30:31], v[38:39], -v[32:33]
	v_mul_f64 v[22:23], v[24:25], v[22:23]
	s_delay_alu instid0(VALU_DEP_3) | instskip(SKIP_1) | instid1(VALU_DEP_3)
	v_div_fmas_f64 v[24:25], v[28:29], v[40:41], v[26:27]
	v_cmp_eq_f64_e32 vcc_lo, 0x7ff00000, v[10:11]
	v_add_f64 v[22:23], v[30:31], v[22:23]
	s_delay_alu instid0(VALU_DEP_3) | instskip(NEXT) | instid1(VALU_DEP_2)
	v_div_fixup_f64 v[24:25], v[24:25], v[48:49], v[42:43]
	v_add_f64 v[26:27], v[44:45], v[22:23]
	s_delay_alu instid0(VALU_DEP_2) | instskip(NEXT) | instid1(VALU_DEP_2)
	v_mul_f64 v[28:29], v[24:25], v[24:25]
	v_mul_f64 v[30:31], v[26:27], v[26:27]
	s_delay_alu instid0(VALU_DEP_2) | instskip(NEXT) | instid1(VALU_DEP_2)
	v_fma_f64 v[32:33], v[28:29], s[42:43], s[40:41]
	v_fma_f64 v[38:39], v[30:31], s[24:25], s[22:23]
	v_mul_f64 v[40:41], v[26:27], v[30:31]
	s_delay_alu instid0(VALU_DEP_3) | instskip(NEXT) | instid1(VALU_DEP_3)
	v_fma_f64 v[32:33], v[28:29], v[32:33], s[44:45]
	v_fma_f64 v[38:39], v[30:31], v[38:39], s[26:27]
	s_delay_alu instid0(VALU_DEP_2) | instskip(NEXT) | instid1(VALU_DEP_2)
	v_fma_f64 v[32:33], v[28:29], v[32:33], s[46:47]
	v_fma_f64 v[38:39], v[30:31], v[38:39], s[28:29]
	s_delay_alu instid0(VALU_DEP_2) | instskip(NEXT) | instid1(VALU_DEP_2)
	;; [unrolled: 3-line block ×4, first 2 shown]
	v_fma_f64 v[32:33], v[28:29], v[32:33], s[52:53]
	v_fma_f64 v[30:31], v[30:31], v[38:39], s[88:89]
	v_ldexp_f64 v[38:39], v[26:27], 1
	v_add_f64 v[26:27], v[26:27], -v[44:45]
	s_delay_alu instid0(VALU_DEP_4) | instskip(NEXT) | instid1(VALU_DEP_4)
	v_fma_f64 v[32:33], v[28:29], v[32:33], s[54:55]
	v_mul_f64 v[30:31], v[40:41], v[30:31]
	v_cvt_f64_i32_e32 v[40:41], v12
	s_delay_alu instid0(VALU_DEP_4) | instskip(NEXT) | instid1(VALU_DEP_4)
	v_add_f64 v[22:23], v[22:23], -v[26:27]
	v_fma_f64 v[32:33], v[28:29], v[32:33], s[56:57]
	v_ashrrev_i32_e32 v12, 31, v7
	s_delay_alu instid0(VALU_DEP_1) | instskip(SKIP_4) | instid1(VALU_DEP_4)
	v_and_b32_e32 v7, 0x400921fb, v12
	v_add_f64 v[42:43], v[38:39], v[30:31]
	v_mul_f64 v[44:45], v[40:41], s[36:37]
	v_ldexp_f64 v[22:23], v[22:23], 1
	v_fma_f64 v[32:33], v[28:29], v[32:33], s[58:59]
	v_add_f64 v[26:27], v[42:43], -v[38:39]
	s_delay_alu instid0(VALU_DEP_4) | instskip(NEXT) | instid1(VALU_DEP_3)
	v_fma_f64 v[38:39], v[40:41], s[36:37], -v[44:45]
	v_fma_f64 v[32:33], v[28:29], v[32:33], s[60:61]
	s_delay_alu instid0(VALU_DEP_3) | instskip(NEXT) | instid1(VALU_DEP_2)
	v_add_f64 v[26:27], v[30:31], -v[26:27]
	v_fma_f64 v[30:31], v[28:29], v[32:33], s[62:63]
	s_delay_alu instid0(VALU_DEP_4) | instskip(NEXT) | instid1(VALU_DEP_3)
	v_fma_f64 v[32:33], v[40:41], s[38:39], v[38:39]
	v_add_f64 v[22:23], v[22:23], v[26:27]
	s_delay_alu instid0(VALU_DEP_3) | instskip(NEXT) | instid1(VALU_DEP_3)
	v_fma_f64 v[26:27], v[28:29], v[30:31], s[64:65]
	v_add_f64 v[30:31], v[44:45], v[32:33]
	s_delay_alu instid0(VALU_DEP_3) | instskip(NEXT) | instid1(VALU_DEP_3)
	v_add_f64 v[38:39], v[42:43], v[22:23]
	v_fma_f64 v[26:27], v[28:29], v[26:27], s[66:67]
	s_delay_alu instid0(VALU_DEP_3) | instskip(NEXT) | instid1(VALU_DEP_3)
	v_add_f64 v[44:45], v[30:31], -v[44:45]
	v_add_f64 v[40:41], v[30:31], v[38:39]
	v_add_f64 v[42:43], v[38:39], -v[42:43]
	s_delay_alu instid0(VALU_DEP_4) | instskip(NEXT) | instid1(VALU_DEP_4)
	v_fma_f64 v[26:27], v[28:29], v[26:27], s[68:69]
	v_add_f64 v[32:33], v[32:33], -v[44:45]
	s_delay_alu instid0(VALU_DEP_4) | instskip(NEXT) | instid1(VALU_DEP_4)
	v_add_f64 v[46:47], v[40:41], -v[30:31]
	v_add_f64 v[22:23], v[22:23], -v[42:43]
	s_delay_alu instid0(VALU_DEP_4) | instskip(NEXT) | instid1(VALU_DEP_3)
	v_fma_f64 v[26:27], v[28:29], v[26:27], s[70:71]
	v_add_f64 v[48:49], v[40:41], -v[46:47]
	v_add_f64 v[38:39], v[38:39], -v[46:47]
	s_delay_alu instid0(VALU_DEP_4) | instskip(NEXT) | instid1(VALU_DEP_4)
	v_add_f64 v[42:43], v[32:33], v[22:23]
	v_fma_f64 v[26:27], v[28:29], v[26:27], s[72:73]
	s_delay_alu instid0(VALU_DEP_4) | instskip(NEXT) | instid1(VALU_DEP_2)
	v_add_f64 v[30:31], v[30:31], -v[48:49]
	v_fma_f64 v[26:27], v[28:29], v[26:27], s[74:75]
	s_delay_alu instid0(VALU_DEP_2) | instskip(SKIP_1) | instid1(VALU_DEP_3)
	v_add_f64 v[30:31], v[38:39], v[30:31]
	v_add_f64 v[38:39], v[42:43], -v[32:33]
	v_fma_f64 v[26:27], v[28:29], v[26:27], s[76:77]
	s_delay_alu instid0(VALU_DEP_3) | instskip(NEXT) | instid1(VALU_DEP_3)
	v_add_f64 v[30:31], v[42:43], v[30:31]
	v_add_f64 v[42:43], v[42:43], -v[38:39]
	v_add_f64 v[22:23], v[22:23], -v[38:39]
	s_delay_alu instid0(VALU_DEP_4) | instskip(NEXT) | instid1(VALU_DEP_4)
	v_fma_f64 v[26:27], v[28:29], v[26:27], s[78:79]
	v_add_f64 v[44:45], v[40:41], v[30:31]
	s_delay_alu instid0(VALU_DEP_2) | instskip(SKIP_1) | instid1(VALU_DEP_3)
	v_mul_f64 v[26:27], v[28:29], v[26:27]
	v_add_f64 v[28:29], v[32:33], -v[42:43]
	v_add_f64 v[32:33], v[44:45], -v[40:41]
	s_delay_alu instid0(VALU_DEP_3) | instskip(NEXT) | instid1(VALU_DEP_3)
	v_fma_f64 v[24:25], v[24:25], v[26:27], v[24:25]
	v_add_f64 v[22:23], v[22:23], v[28:29]
	s_delay_alu instid0(VALU_DEP_3) | instskip(NEXT) | instid1(VALU_DEP_3)
	v_add_f64 v[26:27], v[30:31], -v[32:33]
	v_add_f64 v[28:29], -v[24:25], s[80:81]
	s_delay_alu instid0(VALU_DEP_2) | instskip(NEXT) | instid1(VALU_DEP_2)
	v_add_f64 v[22:23], v[22:23], v[26:27]
	v_cndmask_b32_e64 v25, v25, v29, s0
	s_delay_alu instid0(VALU_DEP_3) | instskip(SKIP_1) | instid1(VALU_DEP_2)
	v_cndmask_b32_e64 v24, v24, v28, s0
	v_cndmask_b32_e64 v28, 0x54442d18, v54, s1
	v_add_f64 v[26:27], -v[24:25], s[10:11]
	v_add_f64 v[22:23], v[44:45], v[22:23]
	v_and_b32_e32 v29, 0x54442d18, v12
	s_delay_alu instid0(VALU_DEP_3) | instskip(NEXT) | instid1(VALU_DEP_4)
	v_cndmask_b32_e64 v24, v24, v26, s1
	v_cndmask_b32_e64 v12, v25, v27, s1
	v_cmp_nge_f64_e64 s1, -1.0, v[10:11]
	v_dual_cndmask_b32 v22, v22, v10 :: v_dual_cndmask_b32 v23, v23, v11
	v_cmp_eq_f64_e32 vcc_lo, 0, v[8:9]
	v_cndmask_b32_e32 v24, v24, v29, vcc_lo
	s_delay_alu instid0(VALU_DEP_3) | instskip(SKIP_2) | instid1(VALU_DEP_3)
	v_mul_f64 v[22:23], v[22:23], 0.5
	v_cndmask_b32_e32 v7, v12, v7, vcc_lo
	v_cmp_ngt_f64_e32 vcc_lo, -1.0, v[10:11]
	v_cndmask_b32_e64 v22, 0, v22, s1
	v_cmp_neq_f64_e64 s1, -1.0, v[10:11]
	v_cndmask_b32_e32 v12, 0x7ff80000, v23, vcc_lo
	s_and_b32 vcc_lo, s3, s2
	v_dual_cndmask_b32 v25, v7, v6 :: v_dual_cndmask_b32 v24, v24, v28
	s_delay_alu instid0(VALU_DEP_2)
	v_cndmask_b32_e64 v23, 0xfff00000, v12, s1
.LBB174_209:                            ;   in Loop: Header=BB174_162 Depth=1
	s_or_b32 exec_lo, exec_lo, s97
.LBB174_210:                            ;   in Loop: Header=BB174_162 Depth=1
	s_delay_alu instid0(SALU_CYCLE_1)
	s_or_b32 exec_lo, exec_lo, s96
.LBB174_211:                            ;   in Loop: Header=BB174_162 Depth=1
	s_and_not1_saveexec_b32 s3, s95
	s_cbranch_execz .LBB174_213
; %bb.212:                              ;   in Loop: Header=BB174_162 Depth=1
	v_max_f64 v[10:11], |v[8:9]|, |v[8:9]|
	v_max_f64 v[22:23], |v[6:7]|, |v[6:7]|
	v_cmp_class_f64_e64 s4, v[6:7], 0x204
	v_cmp_class_f64_e64 s5, v[8:9], 0x204
	s_mov_b32 s89, s21
	s_mov_b32 s10, s80
	v_cmp_eq_f64_e64 s2, 0, v[8:9]
	s_delay_alu instid0(VALU_DEP_4) | instskip(SKIP_1) | instid1(VALU_DEP_4)
	v_max_f64 v[24:25], v[22:23], v[10:11]
	v_min_f64 v[10:11], v[22:23], v[10:11]
	s_or_b32 s6, s4, s5
	s_delay_alu instid0(VALU_DEP_2) | instskip(NEXT) | instid1(VALU_DEP_1)
	v_frexp_exp_i32_f64_e32 v12, v[24:25]
	v_sub_nc_u32_e32 v28, 0, v12
	s_delay_alu instid0(VALU_DEP_1) | instskip(SKIP_1) | instid1(VALU_DEP_2)
	v_ldexp_f64 v[26:27], |v[8:9]|, v28
	v_ldexp_f64 v[28:29], |v[6:7]|, v28
	v_mul_f64 v[26:27], v[26:27], v[26:27]
	s_delay_alu instid0(VALU_DEP_1) | instskip(NEXT) | instid1(VALU_DEP_1)
	v_fma_f64 v[26:27], v[28:29], v[28:29], v[26:27]
	v_rsq_f64_e32 v[28:29], v[26:27]
	v_cmp_eq_f64_e32 vcc_lo, 0, v[26:27]
	s_waitcnt_depctr 0xfff
	v_mul_f64 v[30:31], v[26:27], v[28:29]
	v_mul_f64 v[28:29], v[28:29], 0.5
	s_delay_alu instid0(VALU_DEP_1) | instskip(NEXT) | instid1(VALU_DEP_1)
	v_fma_f64 v[32:33], -v[28:29], v[30:31], 0.5
	v_fma_f64 v[30:31], v[30:31], v[32:33], v[30:31]
	v_fma_f64 v[28:29], v[28:29], v[32:33], v[28:29]
	s_delay_alu instid0(VALU_DEP_2) | instskip(NEXT) | instid1(VALU_DEP_1)
	v_fma_f64 v[32:33], -v[30:31], v[30:31], v[26:27]
	v_fma_f64 v[28:29], v[32:33], v[28:29], v[30:31]
	s_delay_alu instid0(VALU_DEP_1) | instskip(SKIP_1) | instid1(VALU_DEP_2)
	v_dual_cndmask_b32 v27, v29, v27 :: v_dual_cndmask_b32 v26, v28, v26
	v_div_scale_f64 v[52:53], vcc_lo, v[10:11], v[24:25], v[10:11]
	v_ldexp_f64 v[26:27], v[26:27], v12
	s_delay_alu instid0(VALU_DEP_1) | instskip(NEXT) | instid1(VALU_DEP_2)
	v_cndmask_b32_e64 v29, v27, 0x7ff00000, s6
	v_cndmask_b32_e64 v28, v26, 0, s6
	s_delay_alu instid0(VALU_DEP_1) | instskip(SKIP_1) | instid1(VALU_DEP_2)
	v_frexp_mant_f64_e32 v[30:31], v[28:29]
	v_frexp_exp_i32_f64_e32 v6, v[28:29]
	v_cmp_gt_f64_e64 s1, s[20:21], v[30:31]
	s_delay_alu instid0(VALU_DEP_1) | instskip(NEXT) | instid1(VALU_DEP_1)
	v_cndmask_b32_e64 v35, 0x3ff00000, 2.0, s1
	v_mul_f64 v[30:31], v[30:31], v[34:35]
	s_delay_alu instid0(VALU_DEP_1) | instskip(SKIP_1) | instid1(VALU_DEP_2)
	v_add_f64 v[32:33], v[30:31], 1.0
	v_add_f64 v[42:43], v[30:31], -1.0
	v_rcp_f64_e32 v[38:39], v[32:33]
	v_add_f64 v[44:45], v[32:33], -1.0
	s_delay_alu instid0(VALU_DEP_1) | instskip(SKIP_2) | instid1(VALU_DEP_1)
	v_add_f64 v[30:31], v[30:31], -v[44:45]
	s_waitcnt_depctr 0xfff
	v_fma_f64 v[40:41], -v[32:33], v[38:39], 1.0
	v_fma_f64 v[38:39], v[40:41], v[38:39], v[38:39]
	s_delay_alu instid0(VALU_DEP_1) | instskip(NEXT) | instid1(VALU_DEP_1)
	v_fma_f64 v[40:41], -v[32:33], v[38:39], 1.0
	v_fma_f64 v[38:39], v[40:41], v[38:39], v[38:39]
	v_div_scale_f64 v[40:41], null, v[24:25], v[24:25], v[10:11]
	s_delay_alu instid0(VALU_DEP_2) | instskip(NEXT) | instid1(VALU_DEP_2)
	v_mul_f64 v[22:23], v[42:43], v[38:39]
	v_rcp_f64_e32 v[48:49], v[40:41]
	s_delay_alu instid0(VALU_DEP_1) | instskip(SKIP_3) | instid1(VALU_DEP_1)
	v_mul_f64 v[46:47], v[32:33], v[22:23]
	s_waitcnt_depctr 0xfff
	v_fma_f64 v[44:45], -v[40:41], v[48:49], 1.0
	v_fma_f64 v[32:33], v[22:23], v[32:33], -v[46:47]
	v_fma_f64 v[30:31], v[22:23], v[30:31], v[32:33]
	s_delay_alu instid0(VALU_DEP_3) | instskip(NEXT) | instid1(VALU_DEP_2)
	v_fma_f64 v[32:33], v[48:49], v[44:45], v[48:49]
	v_add_f64 v[44:45], v[46:47], v[30:31]
	s_delay_alu instid0(VALU_DEP_2) | instskip(NEXT) | instid1(VALU_DEP_2)
	v_fma_f64 v[48:49], -v[40:41], v[32:33], 1.0
	v_add_f64 v[50:51], v[42:43], -v[44:45]
	s_delay_alu instid0(VALU_DEP_2) | instskip(SKIP_1) | instid1(VALU_DEP_3)
	v_fma_f64 v[32:33], v[32:33], v[48:49], v[32:33]
	v_add_f64 v[46:47], v[44:45], -v[46:47]
	v_add_f64 v[42:43], v[42:43], -v[50:51]
	s_delay_alu instid0(VALU_DEP_3) | instskip(NEXT) | instid1(VALU_DEP_3)
	v_mul_f64 v[48:49], v[52:53], v[32:33]
	v_add_f64 v[30:31], v[46:47], -v[30:31]
	s_delay_alu instid0(VALU_DEP_3) | instskip(NEXT) | instid1(VALU_DEP_3)
	v_add_f64 v[42:43], v[42:43], -v[44:45]
	v_fma_f64 v[40:41], -v[40:41], v[48:49], v[52:53]
	s_delay_alu instid0(VALU_DEP_2) | instskip(NEXT) | instid1(VALU_DEP_2)
	v_add_f64 v[30:31], v[30:31], v[42:43]
	v_div_fmas_f64 v[32:33], v[40:41], v[32:33], v[48:49]
	v_subrev_co_ci_u32_e64 v6, vcc_lo, 0, v6, s1
	v_cmp_class_f64_e64 s1, v[26:27], 0x204
	v_cmp_gt_i32_e32 vcc_lo, 0, v7
	v_add_f64 v[30:31], v[50:51], v[30:31]
	v_div_fixup_f64 v[10:11], v[32:33], v[24:25], v[10:11]
	s_delay_alu instid0(VALU_DEP_2) | instskip(NEXT) | instid1(VALU_DEP_2)
	v_mul_f64 v[24:25], v[38:39], v[30:31]
	v_mul_f64 v[30:31], v[10:11], v[10:11]
	s_delay_alu instid0(VALU_DEP_2) | instskip(NEXT) | instid1(VALU_DEP_2)
	v_add_f64 v[32:33], v[22:23], v[24:25]
	v_fma_f64 v[38:39], v[30:31], s[42:43], s[40:41]
	s_delay_alu instid0(VALU_DEP_2) | instskip(NEXT) | instid1(VALU_DEP_2)
	v_mul_f64 v[40:41], v[32:33], v[32:33]
	v_fma_f64 v[38:39], v[30:31], v[38:39], s[44:45]
	v_add_f64 v[22:23], v[32:33], -v[22:23]
	s_delay_alu instid0(VALU_DEP_3) | instskip(NEXT) | instid1(VALU_DEP_3)
	v_fma_f64 v[42:43], v[40:41], s[24:25], s[22:23]
	v_fma_f64 v[38:39], v[30:31], v[38:39], s[46:47]
	v_mul_f64 v[44:45], v[32:33], v[40:41]
	s_delay_alu instid0(VALU_DEP_4) | instskip(NEXT) | instid1(VALU_DEP_4)
	v_add_f64 v[22:23], v[24:25], -v[22:23]
	v_fma_f64 v[42:43], v[40:41], v[42:43], s[26:27]
	s_delay_alu instid0(VALU_DEP_4) | instskip(NEXT) | instid1(VALU_DEP_3)
	v_fma_f64 v[38:39], v[30:31], v[38:39], s[48:49]
	v_ldexp_f64 v[22:23], v[22:23], 1
	s_delay_alu instid0(VALU_DEP_3) | instskip(NEXT) | instid1(VALU_DEP_3)
	v_fma_f64 v[42:43], v[40:41], v[42:43], s[28:29]
	v_fma_f64 v[38:39], v[30:31], v[38:39], s[50:51]
	s_delay_alu instid0(VALU_DEP_2) | instskip(NEXT) | instid1(VALU_DEP_2)
	v_fma_f64 v[42:43], v[40:41], v[42:43], s[30:31]
	v_fma_f64 v[38:39], v[30:31], v[38:39], s[52:53]
	s_delay_alu instid0(VALU_DEP_2) | instskip(NEXT) | instid1(VALU_DEP_2)
	;; [unrolled: 3-line block ×3, first 2 shown]
	v_fma_f64 v[40:41], v[40:41], v[42:43], s[88:89]
	v_fma_f64 v[38:39], v[30:31], v[38:39], s[56:57]
	v_ldexp_f64 v[42:43], v[32:33], 1
	s_delay_alu instid0(VALU_DEP_3) | instskip(NEXT) | instid1(VALU_DEP_3)
	v_mul_f64 v[40:41], v[44:45], v[40:41]
	v_fma_f64 v[38:39], v[30:31], v[38:39], s[58:59]
	v_cvt_f64_i32_e32 v[44:45], v6
	v_ashrrev_i32_e32 v6, 31, v7
	v_cndmask_b32_e32 v7, 0x54442d18, v54, vcc_lo
	v_add_f64 v[32:33], v[42:43], v[40:41]
	v_fma_f64 v[38:39], v[30:31], v[38:39], s[60:61]
	v_mul_f64 v[46:47], v[44:45], s[36:37]
	s_delay_alu instid0(VALU_DEP_3) | instskip(NEXT) | instid1(VALU_DEP_3)
	v_add_f64 v[24:25], v[32:33], -v[42:43]
	v_fma_f64 v[38:39], v[30:31], v[38:39], s[62:63]
	s_delay_alu instid0(VALU_DEP_3) | instskip(NEXT) | instid1(VALU_DEP_3)
	v_fma_f64 v[42:43], v[44:45], s[36:37], -v[46:47]
	v_add_f64 v[24:25], v[40:41], -v[24:25]
	s_delay_alu instid0(VALU_DEP_3) | instskip(NEXT) | instid1(VALU_DEP_3)
	v_fma_f64 v[38:39], v[30:31], v[38:39], s[64:65]
	v_fma_f64 v[40:41], v[44:45], s[38:39], v[42:43]
	s_delay_alu instid0(VALU_DEP_3) | instskip(NEXT) | instid1(VALU_DEP_3)
	v_add_f64 v[22:23], v[22:23], v[24:25]
	v_fma_f64 v[24:25], v[30:31], v[38:39], s[66:67]
	s_delay_alu instid0(VALU_DEP_3) | instskip(NEXT) | instid1(VALU_DEP_3)
	v_add_f64 v[38:39], v[46:47], v[40:41]
	v_add_f64 v[42:43], v[32:33], v[22:23]
	s_delay_alu instid0(VALU_DEP_3) | instskip(NEXT) | instid1(VALU_DEP_3)
	v_fma_f64 v[24:25], v[30:31], v[24:25], s[68:69]
	v_add_f64 v[46:47], v[38:39], -v[46:47]
	s_delay_alu instid0(VALU_DEP_3) | instskip(NEXT) | instid1(VALU_DEP_3)
	v_add_f64 v[44:45], v[38:39], v[42:43]
	v_fma_f64 v[24:25], v[30:31], v[24:25], s[70:71]
	v_add_f64 v[32:33], v[42:43], -v[32:33]
	s_delay_alu instid0(VALU_DEP_4) | instskip(NEXT) | instid1(VALU_DEP_4)
	v_add_f64 v[40:41], v[40:41], -v[46:47]
	v_add_f64 v[48:49], v[44:45], -v[38:39]
	s_delay_alu instid0(VALU_DEP_4) | instskip(NEXT) | instid1(VALU_DEP_4)
	v_fma_f64 v[24:25], v[30:31], v[24:25], s[72:73]
	v_add_f64 v[22:23], v[22:23], -v[32:33]
	s_delay_alu instid0(VALU_DEP_3) | instskip(NEXT) | instid1(VALU_DEP_3)
	v_add_f64 v[50:51], v[44:45], -v[48:49]
	v_fma_f64 v[24:25], v[30:31], v[24:25], s[74:75]
	v_add_f64 v[32:33], v[42:43], -v[48:49]
	s_delay_alu instid0(VALU_DEP_4) | instskip(NEXT) | instid1(VALU_DEP_4)
	v_add_f64 v[42:43], v[40:41], v[22:23]
	v_add_f64 v[38:39], v[38:39], -v[50:51]
	s_delay_alu instid0(VALU_DEP_4) | instskip(NEXT) | instid1(VALU_DEP_2)
	v_fma_f64 v[24:25], v[30:31], v[24:25], s[76:77]
	v_add_f64 v[32:33], v[32:33], v[38:39]
	s_delay_alu instid0(VALU_DEP_2) | instskip(SKIP_1) | instid1(VALU_DEP_3)
	v_fma_f64 v[24:25], v[30:31], v[24:25], s[78:79]
	v_add_f64 v[38:39], v[42:43], -v[40:41]
	v_add_f64 v[32:33], v[42:43], v[32:33]
	s_delay_alu instid0(VALU_DEP_3) | instskip(NEXT) | instid1(VALU_DEP_3)
	v_mul_f64 v[24:25], v[30:31], v[24:25]
	v_add_f64 v[30:31], v[42:43], -v[38:39]
	v_add_f64 v[22:23], v[22:23], -v[38:39]
	s_delay_alu instid0(VALU_DEP_4) | instskip(NEXT) | instid1(VALU_DEP_4)
	v_add_f64 v[42:43], v[44:45], v[32:33]
	v_fma_f64 v[10:11], v[10:11], v[24:25], v[10:11]
	s_delay_alu instid0(VALU_DEP_4) | instskip(NEXT) | instid1(VALU_DEP_3)
	v_add_f64 v[24:25], v[40:41], -v[30:31]
	v_add_f64 v[30:31], v[42:43], -v[44:45]
	s_delay_alu instid0(VALU_DEP_3) | instskip(NEXT) | instid1(VALU_DEP_3)
	v_add_f64 v[38:39], -v[10:11], s[80:81]
	v_add_f64 v[22:23], v[22:23], v[24:25]
	s_delay_alu instid0(VALU_DEP_3) | instskip(NEXT) | instid1(VALU_DEP_3)
	v_add_f64 v[24:25], v[32:33], -v[30:31]
	v_cndmask_b32_e64 v11, v11, v39, s0
	s_delay_alu instid0(VALU_DEP_4) | instskip(NEXT) | instid1(VALU_DEP_3)
	v_cndmask_b32_e64 v10, v10, v38, s0
	v_add_f64 v[22:23], v[22:23], v[24:25]
	s_delay_alu instid0(VALU_DEP_2) | instskip(SKIP_2) | instid1(VALU_DEP_4)
	v_add_f64 v[24:25], -v[10:11], s[10:11]
	v_and_b32_e32 v12, 0x54442d18, v6
	v_and_b32_e32 v6, 0x400921fb, v6
	v_add_f64 v[22:23], v[42:43], v[22:23]
	s_delay_alu instid0(VALU_DEP_4) | instskip(SKIP_2) | instid1(VALU_DEP_3)
	v_dual_cndmask_b32 v11, v11, v25 :: v_dual_cndmask_b32 v10, v10, v24
	v_cndmask_b32_e32 v24, 0x3fe921fb, v55, vcc_lo
	v_cmp_ngt_f64_e32 vcc_lo, 0, v[28:29]
	v_cndmask_b32_e64 v6, v11, v6, s2
	s_delay_alu instid0(VALU_DEP_4) | instskip(NEXT) | instid1(VALU_DEP_4)
	v_cndmask_b32_e64 v10, v10, v12, s2
	v_bfi_b32 v24, 0x7fffffff, v24, v9
	v_cndmask_b32_e64 v23, v23, v27, s1
	v_cndmask_b32_e64 v22, v22, v26, s1
	v_cmp_nge_f64_e64 s1, 0, v[28:29]
	s_delay_alu instid0(VALU_DEP_3) | instskip(NEXT) | instid1(VALU_DEP_3)
	v_cndmask_b32_e64 v23, v23, 0x7ff00000, s6
	v_cndmask_b32_e64 v11, v22, 0, s6
	s_delay_alu instid0(VALU_DEP_2)
	v_cndmask_b32_e32 v12, 0x7ff80000, v23, vcc_lo
	s_and_b32 vcc_lo, s4, s5
	v_cndmask_b32_e32 v25, v6, v24, vcc_lo
	v_cndmask_b32_e32 v24, v10, v7, vcc_lo
	v_cndmask_b32_e64 v22, 0, v11, s1
	v_cmp_neq_f64_e64 s1, 0, v[28:29]
	s_delay_alu instid0(VALU_DEP_1)
	v_cndmask_b32_e64 v23, 0xfff00000, v12, s1
.LBB174_213:                            ;   in Loop: Header=BB174_162 Depth=1
	s_or_b32 exec_lo, exec_lo, s3
                                        ; implicit-def: $vgpr26_vgpr27
.LBB174_214:                            ;   in Loop: Header=BB174_162 Depth=1
	s_and_not1_saveexec_b32 s3, s94
	s_cbranch_execz .LBB174_220
; %bb.215:                              ;   in Loop: Header=BB174_162 Depth=1
                                        ; implicit-def: $vgpr22_vgpr23
	s_mov_b32 s1, exec_lo
	v_cmpx_ngt_f64_e32 s[84:85], v[26:27]
	s_xor_b32 s4, exec_lo, s1
	s_cbranch_execz .LBB174_217
; %bb.216:                              ;   in Loop: Header=BB174_162 Depth=1
	v_mul_f64 v[10:11], v[26:27], v[26:27]
	s_mov_b32 s89, s21
	s_mov_b32 s10, s80
	v_cmp_eq_f64_e64 s2, 0, v[8:9]
	v_cmp_class_f64_e64 s5, v[8:9], 0x204
	v_cmp_class_f64_e64 s6, v[6:7], 0x204
	v_cmp_gt_i32_e64 s1, 0, v7
	v_add_f64 v[22:23], v[10:11], 1.0
	s_delay_alu instid0(VALU_DEP_1) | instskip(SKIP_2) | instid1(VALU_DEP_3)
	v_frexp_mant_f64_e32 v[24:25], v[22:23]
	v_frexp_exp_i32_f64_e32 v12, v[22:23]
	v_add_f64 v[26:27], v[22:23], -1.0
	v_cmp_gt_f64_e32 vcc_lo, s[20:21], v[24:25]
	s_delay_alu instid0(VALU_DEP_2) | instskip(SKIP_2) | instid1(VALU_DEP_3)
	v_add_f64 v[24:25], v[26:27], -v[22:23]
	v_add_f64 v[26:27], v[10:11], -v[26:27]
	v_subrev_co_ci_u32_e32 v12, vcc_lo, 0, v12, vcc_lo
	v_add_f64 v[24:25], v[24:25], 1.0
	s_delay_alu instid0(VALU_DEP_2) | instskip(NEXT) | instid1(VALU_DEP_1)
	v_sub_nc_u32_e32 v30, 0, v12
	v_ldexp_f64 v[22:23], v[22:23], v30
	s_delay_alu instid0(VALU_DEP_3) | instskip(NEXT) | instid1(VALU_DEP_2)
	v_add_f64 v[24:25], v[26:27], v[24:25]
	v_add_f64 v[28:29], v[22:23], 1.0
	v_add_f64 v[38:39], v[22:23], -1.0
	s_delay_alu instid0(VALU_DEP_3) | instskip(NEXT) | instid1(VALU_DEP_3)
	v_ldexp_f64 v[24:25], v[24:25], v30
	v_add_f64 v[26:27], v[28:29], -1.0
	s_delay_alu instid0(VALU_DEP_3) | instskip(NEXT) | instid1(VALU_DEP_2)
	v_add_f64 v[40:41], v[38:39], 1.0
	v_add_f64 v[26:27], v[22:23], -v[26:27]
	s_delay_alu instid0(VALU_DEP_2) | instskip(NEXT) | instid1(VALU_DEP_2)
	v_add_f64 v[22:23], v[22:23], -v[40:41]
	v_add_f64 v[26:27], v[24:25], v[26:27]
	s_delay_alu instid0(VALU_DEP_2) | instskip(NEXT) | instid1(VALU_DEP_2)
	v_add_f64 v[22:23], v[24:25], v[22:23]
	v_add_f64 v[30:31], v[28:29], v[26:27]
	s_delay_alu instid0(VALU_DEP_2) | instskip(NEXT) | instid1(VALU_DEP_2)
	v_add_f64 v[40:41], v[38:39], v[22:23]
	v_rcp_f64_e32 v[32:33], v[30:31]
	v_add_f64 v[28:29], v[28:29], -v[30:31]
	s_delay_alu instid0(VALU_DEP_2) | instskip(NEXT) | instid1(VALU_DEP_2)
	v_add_f64 v[38:39], v[38:39], -v[40:41]
	v_add_f64 v[26:27], v[26:27], v[28:29]
	s_waitcnt_depctr 0xfff
	v_fma_f64 v[42:43], -v[30:31], v[32:33], 1.0
	v_add_f64 v[22:23], v[22:23], v[38:39]
	s_delay_alu instid0(VALU_DEP_2) | instskip(NEXT) | instid1(VALU_DEP_1)
	v_fma_f64 v[32:33], v[42:43], v[32:33], v[32:33]
	v_fma_f64 v[24:25], -v[30:31], v[32:33], 1.0
	s_delay_alu instid0(VALU_DEP_1) | instskip(NEXT) | instid1(VALU_DEP_1)
	v_fma_f64 v[24:25], v[24:25], v[32:33], v[32:33]
	v_mul_f64 v[32:33], v[40:41], v[24:25]
	s_delay_alu instid0(VALU_DEP_1) | instskip(NEXT) | instid1(VALU_DEP_1)
	v_mul_f64 v[42:43], v[30:31], v[32:33]
	v_fma_f64 v[28:29], v[32:33], v[30:31], -v[42:43]
	s_delay_alu instid0(VALU_DEP_1) | instskip(NEXT) | instid1(VALU_DEP_1)
	v_fma_f64 v[28:29], v[32:33], v[26:27], v[28:29]
	v_add_f64 v[44:45], v[42:43], v[28:29]
	s_delay_alu instid0(VALU_DEP_1) | instskip(SKIP_2) | instid1(VALU_DEP_3)
	v_add_f64 v[46:47], v[40:41], -v[44:45]
	v_add_f64 v[38:39], v[44:45], -v[42:43]
	v_max_f64 v[42:43], |v[8:9]|, |v[8:9]|
	v_add_f64 v[40:41], v[40:41], -v[46:47]
	s_delay_alu instid0(VALU_DEP_3) | instskip(NEXT) | instid1(VALU_DEP_2)
	v_add_f64 v[28:29], v[38:39], -v[28:29]
	v_add_f64 v[40:41], v[40:41], -v[44:45]
	v_max_f64 v[44:45], |v[6:7]|, |v[6:7]|
	s_delay_alu instid0(VALU_DEP_2) | instskip(NEXT) | instid1(VALU_DEP_2)
	v_add_f64 v[22:23], v[22:23], v[40:41]
	v_max_f64 v[48:49], v[44:45], v[42:43]
	v_min_f64 v[42:43], v[44:45], v[42:43]
	s_delay_alu instid0(VALU_DEP_3) | instskip(NEXT) | instid1(VALU_DEP_1)
	v_add_f64 v[22:23], v[28:29], v[22:23]
	v_add_f64 v[28:29], v[46:47], v[22:23]
	s_delay_alu instid0(VALU_DEP_1) | instskip(SKIP_1) | instid1(VALU_DEP_2)
	v_mul_f64 v[38:39], v[24:25], v[28:29]
	v_add_f64 v[46:47], v[46:47], -v[28:29]
	v_mul_f64 v[40:41], v[30:31], v[38:39]
	s_delay_alu instid0(VALU_DEP_2) | instskip(NEXT) | instid1(VALU_DEP_2)
	v_add_f64 v[22:23], v[22:23], v[46:47]
	v_fma_f64 v[30:31], v[38:39], v[30:31], -v[40:41]
	s_delay_alu instid0(VALU_DEP_1) | instskip(SKIP_1) | instid1(VALU_DEP_2)
	v_fma_f64 v[26:27], v[38:39], v[26:27], v[30:31]
	v_div_scale_f64 v[30:31], null, v[48:49], v[48:49], v[42:43]
	v_add_f64 v[44:45], v[40:41], v[26:27]
	s_delay_alu instid0(VALU_DEP_2) | instskip(NEXT) | instid1(VALU_DEP_1)
	v_rcp_f64_e32 v[50:51], v[30:31]
	v_add_f64 v[52:53], v[28:29], -v[44:45]
	v_add_f64 v[40:41], v[44:45], -v[40:41]
	s_waitcnt_depctr 0xfff
	v_fma_f64 v[56:57], -v[30:31], v[50:51], 1.0
	v_add_f64 v[28:29], v[28:29], -v[52:53]
	v_add_f64 v[26:27], v[40:41], -v[26:27]
	s_delay_alu instid0(VALU_DEP_3) | instskip(NEXT) | instid1(VALU_DEP_3)
	v_fma_f64 v[50:51], v[50:51], v[56:57], v[50:51]
	v_add_f64 v[28:29], v[28:29], -v[44:45]
	s_delay_alu instid0(VALU_DEP_2) | instskip(NEXT) | instid1(VALU_DEP_2)
	v_fma_f64 v[44:45], -v[30:31], v[50:51], 1.0
	v_add_f64 v[22:23], v[22:23], v[28:29]
	v_div_scale_f64 v[28:29], vcc_lo, v[42:43], v[48:49], v[42:43]
	s_delay_alu instid0(VALU_DEP_3) | instskip(SKIP_1) | instid1(VALU_DEP_4)
	v_fma_f64 v[40:41], v[50:51], v[44:45], v[50:51]
	v_add_f64 v[44:45], v[32:33], v[38:39]
	v_add_f64 v[22:23], v[26:27], v[22:23]
	s_delay_alu instid0(VALU_DEP_3) | instskip(NEXT) | instid1(VALU_DEP_3)
	v_mul_f64 v[26:27], v[28:29], v[40:41]
	v_add_f64 v[32:33], v[44:45], -v[32:33]
	s_delay_alu instid0(VALU_DEP_3) | instskip(NEXT) | instid1(VALU_DEP_3)
	v_add_f64 v[22:23], v[52:53], v[22:23]
	v_fma_f64 v[28:29], -v[30:31], v[26:27], v[28:29]
	s_delay_alu instid0(VALU_DEP_3) | instskip(NEXT) | instid1(VALU_DEP_3)
	v_add_f64 v[30:31], v[38:39], -v[32:33]
	v_mul_f64 v[22:23], v[24:25], v[22:23]
	s_delay_alu instid0(VALU_DEP_3) | instskip(SKIP_1) | instid1(VALU_DEP_3)
	v_div_fmas_f64 v[24:25], v[28:29], v[40:41], v[26:27]
	v_cmp_eq_f64_e32 vcc_lo, 0x7ff00000, v[10:11]
	v_add_f64 v[22:23], v[30:31], v[22:23]
	s_delay_alu instid0(VALU_DEP_3) | instskip(NEXT) | instid1(VALU_DEP_2)
	v_div_fixup_f64 v[24:25], v[24:25], v[48:49], v[42:43]
	v_add_f64 v[26:27], v[44:45], v[22:23]
	s_delay_alu instid0(VALU_DEP_2) | instskip(NEXT) | instid1(VALU_DEP_2)
	v_mul_f64 v[28:29], v[24:25], v[24:25]
	v_mul_f64 v[30:31], v[26:27], v[26:27]
	s_delay_alu instid0(VALU_DEP_2) | instskip(NEXT) | instid1(VALU_DEP_2)
	v_fma_f64 v[32:33], v[28:29], s[42:43], s[40:41]
	v_fma_f64 v[38:39], v[30:31], s[24:25], s[22:23]
	v_mul_f64 v[40:41], v[26:27], v[30:31]
	s_delay_alu instid0(VALU_DEP_3) | instskip(NEXT) | instid1(VALU_DEP_3)
	v_fma_f64 v[32:33], v[28:29], v[32:33], s[44:45]
	v_fma_f64 v[38:39], v[30:31], v[38:39], s[26:27]
	s_delay_alu instid0(VALU_DEP_2) | instskip(NEXT) | instid1(VALU_DEP_2)
	v_fma_f64 v[32:33], v[28:29], v[32:33], s[46:47]
	v_fma_f64 v[38:39], v[30:31], v[38:39], s[28:29]
	s_delay_alu instid0(VALU_DEP_2) | instskip(NEXT) | instid1(VALU_DEP_2)
	;; [unrolled: 3-line block ×4, first 2 shown]
	v_fma_f64 v[32:33], v[28:29], v[32:33], s[52:53]
	v_fma_f64 v[30:31], v[30:31], v[38:39], s[88:89]
	v_ldexp_f64 v[38:39], v[26:27], 1
	v_add_f64 v[26:27], v[26:27], -v[44:45]
	s_delay_alu instid0(VALU_DEP_4) | instskip(NEXT) | instid1(VALU_DEP_4)
	v_fma_f64 v[32:33], v[28:29], v[32:33], s[54:55]
	v_mul_f64 v[30:31], v[40:41], v[30:31]
	v_cvt_f64_i32_e32 v[40:41], v12
	s_delay_alu instid0(VALU_DEP_4) | instskip(NEXT) | instid1(VALU_DEP_4)
	v_add_f64 v[22:23], v[22:23], -v[26:27]
	v_fma_f64 v[32:33], v[28:29], v[32:33], s[56:57]
	v_ashrrev_i32_e32 v12, 31, v7
	v_add_f64 v[42:43], v[38:39], v[30:31]
	v_mul_f64 v[44:45], v[40:41], s[36:37]
	v_ldexp_f64 v[22:23], v[22:23], 1
	v_fma_f64 v[32:33], v[28:29], v[32:33], s[58:59]
	s_delay_alu instid0(VALU_DEP_4) | instskip(NEXT) | instid1(VALU_DEP_4)
	v_add_f64 v[26:27], v[42:43], -v[38:39]
	v_fma_f64 v[38:39], v[40:41], s[36:37], -v[44:45]
	s_delay_alu instid0(VALU_DEP_3) | instskip(NEXT) | instid1(VALU_DEP_3)
	v_fma_f64 v[32:33], v[28:29], v[32:33], s[60:61]
	v_add_f64 v[26:27], v[30:31], -v[26:27]
	s_delay_alu instid0(VALU_DEP_2) | instskip(NEXT) | instid1(VALU_DEP_4)
	v_fma_f64 v[30:31], v[28:29], v[32:33], s[62:63]
	v_fma_f64 v[32:33], v[40:41], s[38:39], v[38:39]
	s_delay_alu instid0(VALU_DEP_3) | instskip(NEXT) | instid1(VALU_DEP_3)
	v_add_f64 v[22:23], v[22:23], v[26:27]
	v_fma_f64 v[26:27], v[28:29], v[30:31], s[64:65]
	s_delay_alu instid0(VALU_DEP_3) | instskip(NEXT) | instid1(VALU_DEP_3)
	v_add_f64 v[30:31], v[44:45], v[32:33]
	v_add_f64 v[38:39], v[42:43], v[22:23]
	s_delay_alu instid0(VALU_DEP_3) | instskip(NEXT) | instid1(VALU_DEP_3)
	v_fma_f64 v[26:27], v[28:29], v[26:27], s[66:67]
	v_add_f64 v[44:45], v[30:31], -v[44:45]
	s_delay_alu instid0(VALU_DEP_3) | instskip(SKIP_1) | instid1(VALU_DEP_4)
	v_add_f64 v[40:41], v[30:31], v[38:39]
	v_add_f64 v[42:43], v[38:39], -v[42:43]
	v_fma_f64 v[26:27], v[28:29], v[26:27], s[68:69]
	s_delay_alu instid0(VALU_DEP_4) | instskip(NEXT) | instid1(VALU_DEP_4)
	v_add_f64 v[32:33], v[32:33], -v[44:45]
	v_add_f64 v[46:47], v[40:41], -v[30:31]
	s_delay_alu instid0(VALU_DEP_4) | instskip(NEXT) | instid1(VALU_DEP_4)
	v_add_f64 v[22:23], v[22:23], -v[42:43]
	v_fma_f64 v[26:27], v[28:29], v[26:27], s[70:71]
	s_delay_alu instid0(VALU_DEP_3) | instskip(SKIP_1) | instid1(VALU_DEP_4)
	v_add_f64 v[48:49], v[40:41], -v[46:47]
	v_add_f64 v[38:39], v[38:39], -v[46:47]
	v_add_f64 v[42:43], v[32:33], v[22:23]
	s_delay_alu instid0(VALU_DEP_4) | instskip(NEXT) | instid1(VALU_DEP_4)
	v_fma_f64 v[26:27], v[28:29], v[26:27], s[72:73]
	v_add_f64 v[30:31], v[30:31], -v[48:49]
	s_delay_alu instid0(VALU_DEP_2) | instskip(NEXT) | instid1(VALU_DEP_2)
	v_fma_f64 v[26:27], v[28:29], v[26:27], s[74:75]
	v_add_f64 v[30:31], v[38:39], v[30:31]
	v_add_f64 v[38:39], v[42:43], -v[32:33]
	s_delay_alu instid0(VALU_DEP_3) | instskip(NEXT) | instid1(VALU_DEP_3)
	v_fma_f64 v[26:27], v[28:29], v[26:27], s[76:77]
	v_add_f64 v[30:31], v[42:43], v[30:31]
	s_delay_alu instid0(VALU_DEP_3) | instskip(SKIP_1) | instid1(VALU_DEP_4)
	v_add_f64 v[42:43], v[42:43], -v[38:39]
	v_add_f64 v[22:23], v[22:23], -v[38:39]
	v_fma_f64 v[26:27], v[28:29], v[26:27], s[78:79]
	s_delay_alu instid0(VALU_DEP_4) | instskip(NEXT) | instid1(VALU_DEP_2)
	v_add_f64 v[44:45], v[40:41], v[30:31]
	v_mul_f64 v[26:27], v[28:29], v[26:27]
	v_add_f64 v[28:29], v[32:33], -v[42:43]
	s_delay_alu instid0(VALU_DEP_3) | instskip(NEXT) | instid1(VALU_DEP_3)
	v_add_f64 v[32:33], v[44:45], -v[40:41]
	v_fma_f64 v[24:25], v[24:25], v[26:27], v[24:25]
	s_delay_alu instid0(VALU_DEP_3) | instskip(NEXT) | instid1(VALU_DEP_3)
	v_add_f64 v[22:23], v[22:23], v[28:29]
	v_add_f64 v[26:27], v[30:31], -v[32:33]
	s_delay_alu instid0(VALU_DEP_3) | instskip(NEXT) | instid1(VALU_DEP_2)
	v_add_f64 v[28:29], -v[24:25], s[80:81]
	v_add_f64 v[22:23], v[22:23], v[26:27]
	s_delay_alu instid0(VALU_DEP_2) | instskip(NEXT) | instid1(VALU_DEP_3)
	v_cndmask_b32_e64 v25, v25, v29, s0
	v_cndmask_b32_e64 v24, v24, v28, s0
	;; [unrolled: 1-line block ×3, first 2 shown]
	s_delay_alu instid0(VALU_DEP_2) | instskip(SKIP_2) | instid1(VALU_DEP_3)
	v_add_f64 v[26:27], -v[24:25], s[10:11]
	v_add_f64 v[22:23], v[44:45], v[22:23]
	v_and_b32_e32 v29, 0x54442d18, v12
	v_cndmask_b32_e64 v24, v24, v26, s1
	s_delay_alu instid0(VALU_DEP_3) | instskip(SKIP_1) | instid1(VALU_DEP_3)
	v_dual_cndmask_b32 v6, v22, v10 :: v_dual_cndmask_b32 v7, v23, v11
	v_cndmask_b32_e64 v10, v25, v27, s1
	v_cndmask_b32_e64 v11, v24, v29, s2
	s_and_b32 vcc_lo, s6, s5
                                        ; implicit-def: $vgpr26_vgpr27
	s_delay_alu instid0(VALU_DEP_3) | instskip(SKIP_3) | instid1(VALU_DEP_3)
	v_mul_f64 v[22:23], v[6:7], 0.5
	v_cndmask_b32_e64 v6, 0x3fe921fb, v55, s1
	v_and_b32_e32 v7, 0x400921fb, v12
	v_cndmask_b32_e32 v24, v11, v28, vcc_lo
	v_bfi_b32 v6, 0x7fffffff, v6, v9
	s_delay_alu instid0(VALU_DEP_3) | instskip(NEXT) | instid1(VALU_DEP_1)
	v_cndmask_b32_e64 v7, v10, v7, s2
	v_cndmask_b32_e32 v25, v7, v6, vcc_lo
.LBB174_217:                            ;   in Loop: Header=BB174_162 Depth=1
	s_and_not1_saveexec_b32 s2, s4
	s_cbranch_execz .LBB174_219
; %bb.218:                              ;   in Loop: Header=BB174_162 Depth=1
	v_max_f64 v[10:11], |v[8:9]|, |v[8:9]|
	v_max_f64 v[22:23], |v[6:7]|, |v[6:7]|
	s_mov_b32 s10, s80
	v_cmp_eq_f64_e64 s1, 0, v[8:9]
	v_cmp_class_f64_e64 s4, v[8:9], 0x204
	v_cmp_class_f64_e64 s5, v[6:7], 0x204
	v_ashrrev_i32_e32 v12, 31, v7
	v_max_f64 v[24:25], v[22:23], v[10:11]
	v_min_f64 v[10:11], v[22:23], v[10:11]
	s_delay_alu instid0(VALU_DEP_1) | instskip(SKIP_1) | instid1(VALU_DEP_2)
	v_div_scale_f64 v[22:23], null, v[24:25], v[24:25], v[10:11]
	v_div_scale_f64 v[32:33], vcc_lo, v[10:11], v[24:25], v[10:11]
	v_rcp_f64_e32 v[28:29], v[22:23]
	s_waitcnt_depctr 0xfff
	v_fma_f64 v[30:31], -v[22:23], v[28:29], 1.0
	s_delay_alu instid0(VALU_DEP_1) | instskip(NEXT) | instid1(VALU_DEP_1)
	v_fma_f64 v[28:29], v[28:29], v[30:31], v[28:29]
	v_fma_f64 v[30:31], -v[22:23], v[28:29], 1.0
	s_delay_alu instid0(VALU_DEP_1) | instskip(NEXT) | instid1(VALU_DEP_1)
	v_fma_f64 v[28:29], v[28:29], v[30:31], v[28:29]
	v_mul_f64 v[30:31], v[32:33], v[28:29]
	s_delay_alu instid0(VALU_DEP_1) | instskip(NEXT) | instid1(VALU_DEP_1)
	v_fma_f64 v[22:23], -v[22:23], v[30:31], v[32:33]
	v_div_fmas_f64 v[22:23], v[22:23], v[28:29], v[30:31]
	v_mul_f64 v[28:29], v[26:27], 0.5
	v_cmp_gt_i32_e32 vcc_lo, 0, v7
	v_and_b32_e32 v7, 0x400921fb, v12
	v_cndmask_b32_e32 v30, 0x54442d18, v54, vcc_lo
	v_cndmask_b32_e32 v6, 0x3fe921fb, v55, vcc_lo
	s_delay_alu instid0(VALU_DEP_1) | instskip(SKIP_1) | instid1(VALU_DEP_1)
	v_bfi_b32 v6, 0x7fffffff, v6, v9
	v_div_fixup_f64 v[10:11], v[22:23], v[24:25], v[10:11]
	v_mul_f64 v[22:23], v[10:11], v[10:11]
	s_delay_alu instid0(VALU_DEP_1) | instskip(NEXT) | instid1(VALU_DEP_1)
	v_fma_f64 v[24:25], v[22:23], s[42:43], s[40:41]
	v_fma_f64 v[24:25], v[22:23], v[24:25], s[44:45]
	s_delay_alu instid0(VALU_DEP_1) | instskip(NEXT) | instid1(VALU_DEP_1)
	v_fma_f64 v[24:25], v[22:23], v[24:25], s[46:47]
	v_fma_f64 v[24:25], v[22:23], v[24:25], s[48:49]
	;; [unrolled: 3-line block ×9, first 2 shown]
	s_delay_alu instid0(VALU_DEP_1) | instskip(NEXT) | instid1(VALU_DEP_1)
	v_fma_f64 v[24:25], v[22:23], v[24:25], s[78:79]
	v_mul_f64 v[22:23], v[22:23], v[24:25]
	v_and_b32_e32 v25, 0x54442d18, v12
	s_delay_alu instid0(VALU_DEP_2) | instskip(NEXT) | instid1(VALU_DEP_1)
	v_fma_f64 v[10:11], v[10:11], v[22:23], v[10:11]
	v_add_f64 v[22:23], -v[10:11], s[80:81]
	s_delay_alu instid0(VALU_DEP_1) | instskip(NEXT) | instid1(VALU_DEP_2)
	v_cndmask_b32_e64 v11, v11, v23, s0
	v_cndmask_b32_e64 v10, v10, v22, s0
	s_delay_alu instid0(VALU_DEP_1) | instskip(NEXT) | instid1(VALU_DEP_1)
	v_add_f64 v[23:24], -v[10:11], s[10:11]
	v_cndmask_b32_e32 v10, v10, v23, vcc_lo
	v_mul_f64 v[22:23], v[26:27], v[28:29]
	s_delay_alu instid0(VALU_DEP_2) | instskip(NEXT) | instid1(VALU_DEP_4)
	v_cndmask_b32_e64 v10, v10, v25, s1
	v_cndmask_b32_e32 v11, v11, v24, vcc_lo
	s_and_b32 vcc_lo, s5, s4
	s_delay_alu instid0(VALU_DEP_2) | instskip(NEXT) | instid1(VALU_DEP_2)
	v_cndmask_b32_e32 v24, v10, v30, vcc_lo
	v_cndmask_b32_e64 v7, v11, v7, s1
	s_delay_alu instid0(VALU_DEP_1)
	v_cndmask_b32_e32 v25, v7, v6, vcc_lo
.LBB174_219:                            ;   in Loop: Header=BB174_162 Depth=1
	s_or_b32 exec_lo, exec_lo, s2
.LBB174_220:                            ;   in Loop: Header=BB174_162 Depth=1
	s_delay_alu instid0(SALU_CYCLE_1)
	s_or_b32 exec_lo, exec_lo, s3
.LBB174_221:                            ;   in Loop: Header=BB174_162 Depth=1
	s_and_not1_saveexec_b32 s3, s93
	s_cbranch_execz .LBB174_223
; %bb.222:                              ;   in Loop: Header=BB174_162 Depth=1
	v_div_scale_f64 v[10:11], null, s[86:87], s[86:87], v[6:7]
	v_div_scale_f64 v[22:23], null, s[86:87], s[86:87], v[8:9]
	v_div_scale_f64 v[32:33], vcc_lo, v[6:7], s[86:87], v[6:7]
	v_max_f64 v[40:41], |v[6:7]|, |v[6:7]|
	s_mov_b32 s89, s21
	s_mov_b32 s10, s80
	s_delay_alu instid0(VALU_DEP_4) | instskip(NEXT) | instid1(VALU_DEP_3)
	v_rcp_f64_e32 v[24:25], v[10:11]
	v_rcp_f64_e32 v[26:27], v[22:23]
	s_waitcnt_depctr 0xfff
	v_fma_f64 v[28:29], -v[10:11], v[24:25], 1.0
	v_fma_f64 v[30:31], -v[22:23], v[26:27], 1.0
	s_delay_alu instid0(VALU_DEP_2) | instskip(NEXT) | instid1(VALU_DEP_2)
	v_fma_f64 v[24:25], v[24:25], v[28:29], v[24:25]
	v_fma_f64 v[26:27], v[26:27], v[30:31], v[26:27]
	s_delay_alu instid0(VALU_DEP_2) | instskip(NEXT) | instid1(VALU_DEP_2)
	v_fma_f64 v[28:29], -v[10:11], v[24:25], 1.0
	v_fma_f64 v[30:31], -v[22:23], v[26:27], 1.0
	s_delay_alu instid0(VALU_DEP_2) | instskip(SKIP_1) | instid1(VALU_DEP_3)
	v_fma_f64 v[24:25], v[24:25], v[28:29], v[24:25]
	v_div_scale_f64 v[28:29], s1, v[8:9], s[86:87], v[8:9]
	v_fma_f64 v[26:27], v[26:27], v[30:31], v[26:27]
	s_delay_alu instid0(VALU_DEP_3) | instskip(NEXT) | instid1(VALU_DEP_2)
	v_mul_f64 v[30:31], v[32:33], v[24:25]
	v_mul_f64 v[38:39], v[28:29], v[26:27]
	s_delay_alu instid0(VALU_DEP_2) | instskip(NEXT) | instid1(VALU_DEP_2)
	v_fma_f64 v[10:11], -v[10:11], v[30:31], v[32:33]
	v_fma_f64 v[22:23], -v[22:23], v[38:39], v[28:29]
	s_delay_alu instid0(VALU_DEP_2) | instskip(SKIP_1) | instid1(VALU_DEP_2)
	v_div_fmas_f64 v[10:11], v[10:11], v[24:25], v[30:31]
	s_mov_b32 vcc_lo, s1
	v_div_fmas_f64 v[22:23], v[22:23], v[26:27], v[38:39]
	s_delay_alu instid0(VALU_DEP_2) | instskip(NEXT) | instid1(VALU_DEP_2)
	v_div_fixup_f64 v[10:11], v[10:11], s[86:87], v[6:7]
	v_div_fixup_f64 v[22:23], v[22:23], s[86:87], v[8:9]
	s_delay_alu instid0(VALU_DEP_2) | instskip(NEXT) | instid1(VALU_DEP_2)
	v_cmp_class_f64_e64 s2, v[10:11], 0x204
	v_max_f64 v[24:25], |v[10:11]|, |v[22:23]|
	v_cmp_o_f64_e64 s1, v[10:11], v[22:23]
	v_cmp_class_f64_e64 s4, v[22:23], 0x204
	s_delay_alu instid0(VALU_DEP_3) | instskip(NEXT) | instid1(VALU_DEP_2)
	v_frexp_exp_i32_f64_e32 v12, v[24:25]
	s_or_b32 s4, s2, s4
	s_delay_alu instid0(VALU_DEP_1) | instskip(NEXT) | instid1(VALU_DEP_1)
	v_sub_nc_u32_e32 v26, 0, v12
	v_ldexp_f64 v[24:25], |v[22:23]|, v26
	v_ldexp_f64 v[26:27], |v[10:11]|, v26
	s_delay_alu instid0(VALU_DEP_2) | instskip(NEXT) | instid1(VALU_DEP_1)
	v_mul_f64 v[24:25], v[24:25], v[24:25]
	v_fma_f64 v[24:25], v[26:27], v[26:27], v[24:25]
	s_delay_alu instid0(VALU_DEP_1) | instskip(SKIP_4) | instid1(VALU_DEP_1)
	v_rsq_f64_e32 v[26:27], v[24:25]
	v_cmp_eq_f64_e32 vcc_lo, 0, v[24:25]
	s_waitcnt_depctr 0xfff
	v_mul_f64 v[28:29], v[24:25], v[26:27]
	v_mul_f64 v[26:27], v[26:27], 0.5
	v_fma_f64 v[30:31], -v[26:27], v[28:29], 0.5
	s_delay_alu instid0(VALU_DEP_1) | instskip(SKIP_1) | instid1(VALU_DEP_2)
	v_fma_f64 v[28:29], v[28:29], v[30:31], v[28:29]
	v_fma_f64 v[26:27], v[26:27], v[30:31], v[26:27]
	v_fma_f64 v[30:31], -v[28:29], v[28:29], v[24:25]
	s_delay_alu instid0(VALU_DEP_1) | instskip(NEXT) | instid1(VALU_DEP_1)
	v_fma_f64 v[26:27], v[30:31], v[26:27], v[28:29]
	v_dual_cndmask_b32 v25, v27, v25 :: v_dual_cndmask_b32 v24, v26, v24
	s_delay_alu instid0(VALU_DEP_1) | instskip(NEXT) | instid1(VALU_DEP_1)
	v_ldexp_f64 v[24:25], v[24:25], v12
	v_cndmask_b32_e64 v12, 0, v24, s1
	s_delay_alu instid0(VALU_DEP_2) | instskip(NEXT) | instid1(VALU_DEP_2)
	v_cndmask_b32_e64 v52, 0x7ff80000, v25, s1
	v_cndmask_b32_e64 v10, v12, 0, s4
	s_delay_alu instid0(VALU_DEP_2) | instskip(NEXT) | instid1(VALU_DEP_1)
	v_cndmask_b32_e64 v11, v52, 0x7ff00000, s4
	v_frexp_mant_f64_e32 v[22:23], v[10:11]
	s_delay_alu instid0(VALU_DEP_1) | instskip(NEXT) | instid1(VALU_DEP_1)
	v_cmp_gt_f64_e64 s2, s[20:21], v[22:23]
	v_cndmask_b32_e64 v35, 0x3ff00000, 2.0, s2
	s_delay_alu instid0(VALU_DEP_1) | instskip(SKIP_1) | instid1(VALU_DEP_2)
	v_mul_f64 v[22:23], v[22:23], v[34:35]
	v_frexp_exp_i32_f64_e32 v35, v[10:11]
	v_add_f64 v[26:27], v[22:23], 1.0
	v_add_f64 v[32:33], v[22:23], -1.0
	s_delay_alu instid0(VALU_DEP_2) | instskip(SKIP_1) | instid1(VALU_DEP_1)
	v_rcp_f64_e32 v[28:29], v[26:27]
	v_add_f64 v[42:43], v[26:27], -1.0
	v_add_f64 v[22:23], v[22:23], -v[42:43]
	s_waitcnt_depctr 0xfff
	v_fma_f64 v[30:31], -v[26:27], v[28:29], 1.0
	s_delay_alu instid0(VALU_DEP_1) | instskip(NEXT) | instid1(VALU_DEP_1)
	v_fma_f64 v[28:29], v[30:31], v[28:29], v[28:29]
	v_fma_f64 v[30:31], -v[26:27], v[28:29], 1.0
	s_delay_alu instid0(VALU_DEP_1) | instskip(SKIP_1) | instid1(VALU_DEP_2)
	v_fma_f64 v[28:29], v[30:31], v[28:29], v[28:29]
	v_max_f64 v[30:31], |v[8:9]|, |v[8:9]|
	v_mul_f64 v[38:39], v[32:33], v[28:29]
	s_delay_alu instid0(VALU_DEP_2) | instskip(SKIP_1) | instid1(VALU_DEP_3)
	v_max_f64 v[46:47], v[40:41], v[30:31]
	v_min_f64 v[30:31], v[40:41], v[30:31]
	v_mul_f64 v[44:45], v[26:27], v[38:39]
	s_delay_alu instid0(VALU_DEP_2) | instskip(NEXT) | instid1(VALU_DEP_2)
	v_div_scale_f64 v[40:41], null, v[46:47], v[46:47], v[30:31]
	v_fma_f64 v[26:27], v[38:39], v[26:27], -v[44:45]
	s_delay_alu instid0(VALU_DEP_1) | instskip(NEXT) | instid1(VALU_DEP_3)
	v_fma_f64 v[22:23], v[38:39], v[22:23], v[26:27]
	v_rcp_f64_e32 v[26:27], v[40:41]
	s_delay_alu instid0(VALU_DEP_1) | instskip(SKIP_4) | instid1(VALU_DEP_3)
	v_add_f64 v[42:43], v[44:45], v[22:23]
	s_waitcnt_depctr 0xfff
	v_fma_f64 v[48:49], -v[40:41], v[26:27], 1.0
	v_add_f64 v[50:51], v[32:33], -v[42:43]
	v_add_f64 v[44:45], v[42:43], -v[44:45]
	v_fma_f64 v[26:27], v[26:27], v[48:49], v[26:27]
	s_delay_alu instid0(VALU_DEP_3) | instskip(NEXT) | instid1(VALU_DEP_3)
	v_add_f64 v[32:33], v[32:33], -v[50:51]
	v_add_f64 v[22:23], v[44:45], -v[22:23]
	s_delay_alu instid0(VALU_DEP_3) | instskip(NEXT) | instid1(VALU_DEP_3)
	v_fma_f64 v[48:49], -v[40:41], v[26:27], 1.0
	v_add_f64 v[32:33], v[32:33], -v[42:43]
	v_div_scale_f64 v[42:43], vcc_lo, v[30:31], v[46:47], v[30:31]
	s_delay_alu instid0(VALU_DEP_3) | instskip(NEXT) | instid1(VALU_DEP_3)
	v_fma_f64 v[26:27], v[26:27], v[48:49], v[26:27]
	v_add_f64 v[22:23], v[22:23], v[32:33]
	s_delay_alu instid0(VALU_DEP_2) | instskip(NEXT) | instid1(VALU_DEP_2)
	v_mul_f64 v[32:33], v[42:43], v[26:27]
	v_add_f64 v[22:23], v[50:51], v[22:23]
	s_delay_alu instid0(VALU_DEP_2) | instskip(NEXT) | instid1(VALU_DEP_2)
	v_fma_f64 v[40:41], -v[40:41], v[32:33], v[42:43]
	v_mul_f64 v[22:23], v[28:29], v[22:23]
	s_delay_alu instid0(VALU_DEP_2) | instskip(SKIP_2) | instid1(VALU_DEP_4)
	v_div_fmas_f64 v[26:27], v[40:41], v[26:27], v[32:33]
	v_subrev_co_ci_u32_e64 v35, vcc_lo, 0, v35, s2
	v_cmp_class_f64_e64 s2, v[6:7], 0x204
	v_add_f64 v[28:29], v[38:39], v[22:23]
	s_delay_alu instid0(VALU_DEP_4) | instskip(NEXT) | instid1(VALU_DEP_2)
	v_div_fixup_f64 v[26:27], v[26:27], v[46:47], v[30:31]
	v_mul_f64 v[30:31], v[28:29], v[28:29]
	s_delay_alu instid0(VALU_DEP_2) | instskip(NEXT) | instid1(VALU_DEP_2)
	v_mul_f64 v[32:33], v[26:27], v[26:27]
	v_fma_f64 v[40:41], v[30:31], s[24:25], s[22:23]
	v_mul_f64 v[44:45], v[28:29], v[30:31]
	s_delay_alu instid0(VALU_DEP_3) | instskip(NEXT) | instid1(VALU_DEP_3)
	v_fma_f64 v[42:43], v[32:33], s[42:43], s[40:41]
	v_fma_f64 v[40:41], v[30:31], v[40:41], s[26:27]
	s_delay_alu instid0(VALU_DEP_2) | instskip(NEXT) | instid1(VALU_DEP_2)
	v_fma_f64 v[42:43], v[32:33], v[42:43], s[44:45]
	v_fma_f64 v[40:41], v[30:31], v[40:41], s[28:29]
	s_delay_alu instid0(VALU_DEP_2) | instskip(NEXT) | instid1(VALU_DEP_2)
	;; [unrolled: 3-line block ×4, first 2 shown]
	v_fma_f64 v[42:43], v[32:33], v[42:43], s[50:51]
	v_fma_f64 v[30:31], v[30:31], v[40:41], s[88:89]
	s_delay_alu instid0(VALU_DEP_2) | instskip(SKIP_2) | instid1(VALU_DEP_4)
	v_fma_f64 v[40:41], v[32:33], v[42:43], s[52:53]
	v_ldexp_f64 v[42:43], v[28:29], 1
	v_add_f64 v[28:29], v[28:29], -v[38:39]
	v_mul_f64 v[30:31], v[44:45], v[30:31]
	v_cvt_f64_i32_e32 v[44:45], v35
	v_fma_f64 v[40:41], v[32:33], v[40:41], s[54:55]
	s_delay_alu instid0(VALU_DEP_4) | instskip(NEXT) | instid1(VALU_DEP_4)
	v_add_f64 v[22:23], v[22:23], -v[28:29]
	v_add_f64 v[38:39], v[42:43], v[30:31]
	s_delay_alu instid0(VALU_DEP_4) | instskip(NEXT) | instid1(VALU_DEP_4)
	v_mul_f64 v[46:47], v[44:45], s[36:37]
	v_fma_f64 v[40:41], v[32:33], v[40:41], s[56:57]
	s_delay_alu instid0(VALU_DEP_4) | instskip(NEXT) | instid1(VALU_DEP_4)
	v_ldexp_f64 v[22:23], v[22:23], 1
	v_add_f64 v[28:29], v[38:39], -v[42:43]
	s_delay_alu instid0(VALU_DEP_4) | instskip(NEXT) | instid1(VALU_DEP_4)
	v_fma_f64 v[42:43], v[44:45], s[36:37], -v[46:47]
	v_fma_f64 v[40:41], v[32:33], v[40:41], s[58:59]
	s_delay_alu instid0(VALU_DEP_3) | instskip(NEXT) | instid1(VALU_DEP_2)
	v_add_f64 v[28:29], v[30:31], -v[28:29]
	v_fma_f64 v[30:31], v[32:33], v[40:41], s[60:61]
	s_delay_alu instid0(VALU_DEP_4) | instskip(NEXT) | instid1(VALU_DEP_3)
	v_fma_f64 v[40:41], v[44:45], s[38:39], v[42:43]
	v_add_f64 v[22:23], v[22:23], v[28:29]
	s_delay_alu instid0(VALU_DEP_3) | instskip(NEXT) | instid1(VALU_DEP_3)
	v_fma_f64 v[28:29], v[32:33], v[30:31], s[62:63]
	v_add_f64 v[30:31], v[46:47], v[40:41]
	s_delay_alu instid0(VALU_DEP_3) | instskip(NEXT) | instid1(VALU_DEP_3)
	v_add_f64 v[42:43], v[38:39], v[22:23]
	v_fma_f64 v[28:29], v[32:33], v[28:29], s[64:65]
	s_delay_alu instid0(VALU_DEP_3) | instskip(NEXT) | instid1(VALU_DEP_3)
	v_add_f64 v[46:47], v[30:31], -v[46:47]
	v_add_f64 v[44:45], v[30:31], v[42:43]
	v_add_f64 v[38:39], v[42:43], -v[38:39]
	s_delay_alu instid0(VALU_DEP_4) | instskip(NEXT) | instid1(VALU_DEP_4)
	v_fma_f64 v[28:29], v[32:33], v[28:29], s[66:67]
	v_add_f64 v[40:41], v[40:41], -v[46:47]
	s_delay_alu instid0(VALU_DEP_4) | instskip(NEXT) | instid1(VALU_DEP_4)
	v_add_f64 v[48:49], v[44:45], -v[30:31]
	v_add_f64 v[22:23], v[22:23], -v[38:39]
	s_delay_alu instid0(VALU_DEP_4) | instskip(NEXT) | instid1(VALU_DEP_3)
	v_fma_f64 v[28:29], v[32:33], v[28:29], s[68:69]
	v_add_f64 v[50:51], v[44:45], -v[48:49]
	v_add_f64 v[38:39], v[42:43], -v[48:49]
	s_delay_alu instid0(VALU_DEP_4) | instskip(NEXT) | instid1(VALU_DEP_4)
	v_add_f64 v[42:43], v[40:41], v[22:23]
	v_fma_f64 v[28:29], v[32:33], v[28:29], s[70:71]
	s_delay_alu instid0(VALU_DEP_4) | instskip(NEXT) | instid1(VALU_DEP_2)
	v_add_f64 v[30:31], v[30:31], -v[50:51]
	v_fma_f64 v[28:29], v[32:33], v[28:29], s[72:73]
	s_delay_alu instid0(VALU_DEP_2) | instskip(SKIP_1) | instid1(VALU_DEP_3)
	v_add_f64 v[30:31], v[38:39], v[30:31]
	v_add_f64 v[38:39], v[42:43], -v[40:41]
	v_fma_f64 v[28:29], v[32:33], v[28:29], s[74:75]
	s_delay_alu instid0(VALU_DEP_3) | instskip(NEXT) | instid1(VALU_DEP_3)
	v_add_f64 v[30:31], v[42:43], v[30:31]
	v_add_f64 v[42:43], v[42:43], -v[38:39]
	v_add_f64 v[22:23], v[22:23], -v[38:39]
	s_delay_alu instid0(VALU_DEP_4) | instskip(NEXT) | instid1(VALU_DEP_4)
	v_fma_f64 v[28:29], v[32:33], v[28:29], s[76:77]
	v_add_f64 v[46:47], v[44:45], v[30:31]
	s_delay_alu instid0(VALU_DEP_4) | instskip(NEXT) | instid1(VALU_DEP_3)
	v_add_f64 v[38:39], v[40:41], -v[42:43]
	v_fma_f64 v[28:29], v[32:33], v[28:29], s[78:79]
	s_delay_alu instid0(VALU_DEP_3) | instskip(NEXT) | instid1(VALU_DEP_3)
	v_add_f64 v[40:41], v[46:47], -v[44:45]
	v_add_f64 v[22:23], v[22:23], v[38:39]
	s_delay_alu instid0(VALU_DEP_3) | instskip(NEXT) | instid1(VALU_DEP_3)
	v_mul_f64 v[28:29], v[32:33], v[28:29]
	v_add_f64 v[30:31], v[30:31], -v[40:41]
	s_delay_alu instid0(VALU_DEP_2) | instskip(NEXT) | instid1(VALU_DEP_2)
	v_fma_f64 v[26:27], v[26:27], v[28:29], v[26:27]
	v_add_f64 v[22:23], v[22:23], v[30:31]
	s_delay_alu instid0(VALU_DEP_2) | instskip(NEXT) | instid1(VALU_DEP_2)
	v_add_f64 v[28:29], -v[26:27], s[80:81]
	v_add_f64 v[22:23], v[46:47], v[22:23]
	v_and_b32_e32 v25, 0x7fffffff, v25
	s_delay_alu instid0(VALU_DEP_1) | instskip(NEXT) | instid1(VALU_DEP_4)
	v_cmp_eq_f64_e32 vcc_lo, 0x7ff00000, v[24:25]
	v_cndmask_b32_e64 v25, v27, v29, s0
	v_cndmask_b32_e64 v24, v26, v28, s0
	v_cmp_eq_f64_e64 s0, 0, v[8:9]
	v_ashrrev_i32_e32 v28, 31, v7
	s_delay_alu instid0(VALU_DEP_3) | instskip(NEXT) | instid1(VALU_DEP_2)
	v_add_f64 v[26:27], -v[24:25], s[10:11]
	v_and_b32_e32 v29, 0x54442d18, v28
	s_and_b32 vcc_lo, s1, vcc_lo
	v_cmp_class_f64_e64 s1, v[8:9], 0x204
	v_cndmask_b32_e32 v22, v22, v12, vcc_lo
	v_cndmask_b32_e32 v23, v23, v52, vcc_lo
	v_cmp_gt_i32_e32 vcc_lo, 0, v7
	v_dual_cndmask_b32 v24, v24, v26 :: v_dual_and_b32 v7, 0x400921fb, v28
	v_cndmask_b32_e32 v12, 0x54442d18, v54, vcc_lo
	s_delay_alu instid0(VALU_DEP_4) | instskip(SKIP_1) | instid1(VALU_DEP_4)
	v_add_f64 v[22:23], v[22:23], 1.0
	v_cndmask_b32_e32 v6, 0x3fe921fb, v55, vcc_lo
	v_cndmask_b32_e64 v24, v24, v29, s0
	v_cndmask_b32_e32 v25, v25, v27, vcc_lo
	v_cmp_ngt_f64_e32 vcc_lo, 0, v[10:11]
	s_delay_alu instid0(VALU_DEP_4) | instskip(SKIP_2) | instid1(VALU_DEP_2)
	v_bfi_b32 v6, 0x7fffffff, v6, v9
	v_cndmask_b32_e64 v23, v23, 0x7ff00000, s4
	v_cndmask_b32_e64 v22, v22, 0, s4
	v_cndmask_b32_e32 v23, 0x7ff80000, v23, vcc_lo
	s_and_b32 vcc_lo, s2, s1
	v_cndmask_b32_e32 v24, v24, v12, vcc_lo
	v_cndmask_b32_e64 v7, v25, v7, s0
	v_cmp_nge_f64_e64 s0, 0, v[10:11]
	s_delay_alu instid0(VALU_DEP_2) | instskip(NEXT) | instid1(VALU_DEP_2)
	v_cndmask_b32_e32 v25, v7, v6, vcc_lo
	v_cndmask_b32_e64 v22, 0, v22, s0
	v_cmp_neq_f64_e64 s0, 0, v[10:11]
	s_delay_alu instid0(VALU_DEP_1)
	v_cndmask_b32_e64 v23, 0xfff00000, v23, s0
.LBB174_223:                            ;   in Loop: Header=BB174_162 Depth=1
	s_or_b32 exec_lo, exec_lo, s3
.LBB174_224:                            ;   in Loop: Header=BB174_162 Depth=1
	s_and_not1_saveexec_b32 s0, s92
	s_cbranch_execz .LBB174_230
; %bb.225:                              ;   in Loop: Header=BB174_162 Depth=1
	v_cmp_ngt_f64_e64 s1, 0x20000000, |v[6:7]|
	v_cmp_ngt_f64_e64 s2, 0x20000000, |v[8:9]|
                                        ; implicit-def: $vgpr10_vgpr11
	s_delay_alu instid0(VALU_DEP_1) | instskip(NEXT) | instid1(SALU_CYCLE_1)
	s_or_b32 s1, s1, s2
	s_and_saveexec_b32 s2, s1
	s_delay_alu instid0(SALU_CYCLE_1)
	s_xor_b32 s1, exec_lo, s2
; %bb.226:                              ;   in Loop: Header=BB174_162 Depth=1
	v_mul_f64 v[10:11], v[8:9], v[8:9]
	s_delay_alu instid0(VALU_DEP_1)
	v_fma_f64 v[10:11], v[6:7], v[6:7], v[10:11]
; %bb.227:                              ;   in Loop: Header=BB174_162 Depth=1
	s_and_not1_saveexec_b32 s1, s1
; %bb.228:                              ;   in Loop: Header=BB174_162 Depth=1
	v_mul_f64 v[10:11], v[8:9], 4.0
	v_mul_f64 v[6:7], v[6:7], 4.0
	s_delay_alu instid0(VALU_DEP_2) | instskip(NEXT) | instid1(VALU_DEP_1)
	v_mul_f64 v[10:11], v[10:11], v[10:11]
	v_fma_f64 v[6:7], v[6:7], v[6:7], v[10:11]
	s_delay_alu instid0(VALU_DEP_1)
	v_ldexp_f64 v[10:11], v[6:7], -4
; %bb.229:                              ;   in Loop: Header=BB174_162 Depth=1
	s_or_b32 exec_lo, exec_lo, s1
	s_delay_alu instid0(VALU_DEP_1) | instskip(SKIP_2) | instid1(VALU_DEP_2)
	v_frexp_mant_f64_e32 v[6:7], v[10:11]
	s_mov_b32 s89, s21
	v_frexp_exp_i32_f64_e32 v8, v[10:11]
	v_cmp_gt_f64_e32 vcc_lo, s[20:21], v[6:7]
	v_cndmask_b32_e64 v35, 0x3ff00000, 2.0, vcc_lo
	s_delay_alu instid0(VALU_DEP_3) | instskip(SKIP_1) | instid1(VALU_DEP_3)
	v_subrev_co_ci_u32_e32 v8, vcc_lo, 0, v8, vcc_lo
	v_cmp_class_f64_e64 vcc_lo, v[10:11], 0x204
	v_mul_f64 v[6:7], v[6:7], v[34:35]
	s_delay_alu instid0(VALU_DEP_1) | instskip(SKIP_1) | instid1(VALU_DEP_2)
	v_add_f64 v[22:23], v[6:7], 1.0
	v_add_f64 v[28:29], v[6:7], -1.0
	v_rcp_f64_e32 v[24:25], v[22:23]
	v_add_f64 v[30:31], v[22:23], -1.0
	s_delay_alu instid0(VALU_DEP_1) | instskip(SKIP_2) | instid1(VALU_DEP_1)
	v_add_f64 v[6:7], v[6:7], -v[30:31]
	s_waitcnt_depctr 0xfff
	v_fma_f64 v[26:27], -v[22:23], v[24:25], 1.0
	v_fma_f64 v[24:25], v[26:27], v[24:25], v[24:25]
	s_delay_alu instid0(VALU_DEP_1) | instskip(NEXT) | instid1(VALU_DEP_1)
	v_fma_f64 v[26:27], -v[22:23], v[24:25], 1.0
	v_fma_f64 v[24:25], v[26:27], v[24:25], v[24:25]
	s_delay_alu instid0(VALU_DEP_1) | instskip(NEXT) | instid1(VALU_DEP_1)
	v_mul_f64 v[26:27], v[28:29], v[24:25]
	v_mul_f64 v[32:33], v[22:23], v[26:27]
	s_delay_alu instid0(VALU_DEP_1) | instskip(NEXT) | instid1(VALU_DEP_1)
	v_fma_f64 v[22:23], v[26:27], v[22:23], -v[32:33]
	v_fma_f64 v[6:7], v[26:27], v[6:7], v[22:23]
	s_delay_alu instid0(VALU_DEP_1) | instskip(NEXT) | instid1(VALU_DEP_1)
	v_add_f64 v[22:23], v[32:33], v[6:7]
	v_add_f64 v[30:31], v[28:29], -v[22:23]
	v_add_f64 v[32:33], v[22:23], -v[32:33]
	s_delay_alu instid0(VALU_DEP_2) | instskip(NEXT) | instid1(VALU_DEP_2)
	v_add_f64 v[28:29], v[28:29], -v[30:31]
	v_add_f64 v[6:7], v[32:33], -v[6:7]
	s_delay_alu instid0(VALU_DEP_2) | instskip(NEXT) | instid1(VALU_DEP_1)
	v_add_f64 v[22:23], v[28:29], -v[22:23]
	v_add_f64 v[6:7], v[6:7], v[22:23]
	s_delay_alu instid0(VALU_DEP_1) | instskip(NEXT) | instid1(VALU_DEP_1)
	v_add_f64 v[6:7], v[30:31], v[6:7]
	v_mul_f64 v[6:7], v[24:25], v[6:7]
	s_delay_alu instid0(VALU_DEP_1) | instskip(NEXT) | instid1(VALU_DEP_1)
	v_add_f64 v[22:23], v[26:27], v[6:7]
	v_mul_f64 v[24:25], v[22:23], v[22:23]
	s_delay_alu instid0(VALU_DEP_1) | instskip(SKIP_1) | instid1(VALU_DEP_2)
	v_fma_f64 v[28:29], v[24:25], s[24:25], s[22:23]
	v_mul_f64 v[30:31], v[22:23], v[24:25]
	v_fma_f64 v[28:29], v[24:25], v[28:29], s[26:27]
	s_delay_alu instid0(VALU_DEP_1) | instskip(NEXT) | instid1(VALU_DEP_1)
	v_fma_f64 v[28:29], v[24:25], v[28:29], s[28:29]
	v_fma_f64 v[28:29], v[24:25], v[28:29], s[30:31]
	s_delay_alu instid0(VALU_DEP_1) | instskip(NEXT) | instid1(VALU_DEP_1)
	v_fma_f64 v[28:29], v[24:25], v[28:29], s[34:35]
	v_fma_f64 v[24:25], v[24:25], v[28:29], s[88:89]
	v_ldexp_f64 v[28:29], v[22:23], 1
	v_add_f64 v[22:23], v[22:23], -v[26:27]
	s_delay_alu instid0(VALU_DEP_3) | instskip(SKIP_1) | instid1(VALU_DEP_3)
	v_mul_f64 v[24:25], v[30:31], v[24:25]
	v_cvt_f64_i32_e32 v[30:31], v8
	v_add_f64 v[6:7], v[6:7], -v[22:23]
	s_delay_alu instid0(VALU_DEP_3) | instskip(NEXT) | instid1(VALU_DEP_3)
	v_add_f64 v[26:27], v[28:29], v[24:25]
	v_mul_f64 v[32:33], v[30:31], s[36:37]
	s_delay_alu instid0(VALU_DEP_3) | instskip(NEXT) | instid1(VALU_DEP_3)
	v_ldexp_f64 v[6:7], v[6:7], 1
	v_add_f64 v[22:23], v[26:27], -v[28:29]
	s_delay_alu instid0(VALU_DEP_3) | instskip(NEXT) | instid1(VALU_DEP_2)
	v_fma_f64 v[28:29], v[30:31], s[36:37], -v[32:33]
	v_add_f64 v[22:23], v[24:25], -v[22:23]
	s_delay_alu instid0(VALU_DEP_2) | instskip(NEXT) | instid1(VALU_DEP_2)
	v_fma_f64 v[24:25], v[30:31], s[38:39], v[28:29]
	v_add_f64 v[6:7], v[6:7], v[22:23]
	s_delay_alu instid0(VALU_DEP_2) | instskip(NEXT) | instid1(VALU_DEP_2)
	v_add_f64 v[22:23], v[32:33], v[24:25]
	v_add_f64 v[28:29], v[26:27], v[6:7]
	s_delay_alu instid0(VALU_DEP_2) | instskip(NEXT) | instid1(VALU_DEP_2)
	v_add_f64 v[32:33], v[22:23], -v[32:33]
	v_add_f64 v[30:31], v[22:23], v[28:29]
	v_add_f64 v[26:27], v[28:29], -v[26:27]
	s_delay_alu instid0(VALU_DEP_3) | instskip(NEXT) | instid1(VALU_DEP_3)
	v_add_f64 v[24:25], v[24:25], -v[32:33]
	v_add_f64 v[38:39], v[30:31], -v[22:23]
	s_delay_alu instid0(VALU_DEP_3) | instskip(NEXT) | instid1(VALU_DEP_2)
	v_add_f64 v[6:7], v[6:7], -v[26:27]
	v_add_f64 v[40:41], v[30:31], -v[38:39]
	;; [unrolled: 1-line block ×3, first 2 shown]
	s_delay_alu instid0(VALU_DEP_3) | instskip(NEXT) | instid1(VALU_DEP_3)
	v_add_f64 v[28:29], v[24:25], v[6:7]
	v_add_f64 v[22:23], v[22:23], -v[40:41]
	s_delay_alu instid0(VALU_DEP_1) | instskip(NEXT) | instid1(VALU_DEP_3)
	v_add_f64 v[22:23], v[26:27], v[22:23]
	v_add_f64 v[26:27], v[28:29], -v[24:25]
	s_delay_alu instid0(VALU_DEP_2) | instskip(NEXT) | instid1(VALU_DEP_2)
	v_add_f64 v[22:23], v[28:29], v[22:23]
	v_add_f64 v[28:29], v[28:29], -v[26:27]
	v_add_f64 v[6:7], v[6:7], -v[26:27]
	s_delay_alu instid0(VALU_DEP_3) | instskip(NEXT) | instid1(VALU_DEP_3)
	v_add_f64 v[32:33], v[30:31], v[22:23]
	v_add_f64 v[24:25], v[24:25], -v[28:29]
	s_delay_alu instid0(VALU_DEP_2) | instskip(NEXT) | instid1(VALU_DEP_2)
	v_add_f64 v[26:27], v[32:33], -v[30:31]
	v_add_f64 v[6:7], v[6:7], v[24:25]
	v_mov_b32_e32 v24, 0
	v_mov_b32_e32 v25, 0x7ff80000
	s_delay_alu instid0(VALU_DEP_4) | instskip(NEXT) | instid1(VALU_DEP_1)
	v_add_f64 v[22:23], v[22:23], -v[26:27]
	v_add_f64 v[6:7], v[6:7], v[22:23]
	s_delay_alu instid0(VALU_DEP_1) | instskip(NEXT) | instid1(VALU_DEP_1)
	v_add_f64 v[6:7], v[32:33], v[6:7]
	v_dual_cndmask_b32 v6, v6, v10 :: v_dual_cndmask_b32 v7, v7, v11
	v_cmp_ngt_f64_e32 vcc_lo, 0, v[10:11]
	s_delay_alu instid0(VALU_DEP_2) | instskip(SKIP_1) | instid1(VALU_DEP_4)
	v_cndmask_b32_e32 v7, 0x7ff80000, v7, vcc_lo
	v_cmp_nge_f64_e32 vcc_lo, 0, v[10:11]
	v_cndmask_b32_e32 v22, 0, v6, vcc_lo
	v_cmp_neq_f64_e32 vcc_lo, 0, v[10:11]
	s_delay_alu instid0(VALU_DEP_4)
	v_cndmask_b32_e32 v23, 0xfff00000, v7, vcc_lo
.LBB174_230:                            ;   in Loop: Header=BB174_162 Depth=1
	s_or_b32 exec_lo, exec_lo, s0
                                        ; implicit-def: $vgpr26_vgpr27
	s_delay_alu instid0(SALU_CYCLE_1)
	s_mov_b32 s0, exec_lo
	s_waitcnt vmcnt(0)
	v_cmpx_o_f64_e32 v[14:15], v[16:17]
	s_xor_b32 s92, exec_lo, s0
	s_cbranch_execz .LBB174_258
; %bb.231:                              ;   in Loop: Header=BB174_162 Depth=1
	v_cmp_lt_f64_e64 s0, |v[14:15]|, |v[16:17]|
	v_and_b32_e32 v6, 0x7fffffff, v15
	v_dual_mov_b32 v8, v16 :: v_dual_and_b32 v7, 0x7fffffff, v17
                                        ; implicit-def: $vgpr26_vgpr27
	s_mov_b32 s1, exec_lo
	s_delay_alu instid0(VALU_DEP_1) | instskip(NEXT) | instid1(VALU_DEP_2)
	v_cndmask_b32_e64 v11, v7, v6, s0
	v_cndmask_b32_e64 v10, v8, v14, s0
	s_delay_alu instid0(VALU_DEP_1)
	v_cmpx_nlt_f64_e32 s[12:13], v[10:11]
	s_xor_b32 s93, exec_lo, s1
	s_cbranch_execz .LBB174_255
; %bb.232:                              ;   in Loop: Header=BB174_162 Depth=1
	v_cndmask_b32_e64 v31, v6, v7, s0
	v_cndmask_b32_e64 v30, v14, v8, s0
                                        ; implicit-def: $vgpr26_vgpr27
	s_mov_b32 s1, exec_lo
	s_delay_alu instid0(VALU_DEP_1)
	v_cmpx_neq_f64_e32 1.0, v[30:31]
	s_xor_b32 s94, exec_lo, s1
	s_cbranch_execz .LBB174_248
; %bb.233:                              ;   in Loop: Header=BB174_162 Depth=1
	v_max_f64 v[6:7], v[10:11], v[10:11]
	v_max_f64 v[26:27], v[30:31], v[30:31]
	s_delay_alu instid0(VALU_DEP_1) | instskip(SKIP_1) | instid1(VALU_DEP_2)
	v_min_f64 v[28:29], v[26:27], v[6:7]
	v_max_f64 v[6:7], v[26:27], v[6:7]
                                        ; implicit-def: $vgpr26_vgpr27
	v_cmp_ngt_f64_e32 vcc_lo, s[14:15], v[28:29]
	s_delay_alu instid0(VALU_DEP_2) | instskip(NEXT) | instid1(VALU_DEP_1)
	v_cmp_nlt_f64_e64 s1, s[16:17], v[6:7]
	s_and_b32 s1, s1, vcc_lo
	s_delay_alu instid0(SALU_CYCLE_1) | instskip(NEXT) | instid1(SALU_CYCLE_1)
	s_and_saveexec_b32 s2, s1
	s_xor_b32 s95, exec_lo, s2
	s_cbranch_execz .LBB174_245
; %bb.234:                              ;   in Loop: Header=BB174_162 Depth=1
                                        ; implicit-def: $vgpr26_vgpr27
	s_mov_b32 s1, exec_lo
	v_cmpx_le_f64_e32 1.0, v[30:31]
	s_xor_b32 s2, exec_lo, s1
	s_cbranch_execz .LBB174_236
; %bb.235:                              ;   in Loop: Header=BB174_162 Depth=1
	v_add_f64 v[6:7], v[30:31], -1.0
	v_add_f64 v[26:27], v[30:31], 1.0
	s_mov_b32 s89, s21
	s_mov_b32 s10, s80
	v_cmp_gt_i32_e64 s1, 0, v15
	v_cmp_class_f64_e64 s4, v[14:15], 0x204
	v_cmp_class_f64_e64 s3, v[16:17], 0x204
	s_delay_alu instid0(VALU_DEP_4) | instskip(NEXT) | instid1(VALU_DEP_1)
	v_mul_f64 v[6:7], v[6:7], v[26:27]
	v_fma_f64 v[6:7], v[10:11], v[10:11], v[6:7]
	s_delay_alu instid0(VALU_DEP_1) | instskip(NEXT) | instid1(VALU_DEP_1)
	v_add_f64 v[10:11], v[6:7], 1.0
	v_frexp_mant_f64_e32 v[26:27], v[10:11]
	v_frexp_exp_i32_f64_e32 v8, v[10:11]
	v_add_f64 v[28:29], v[10:11], -1.0
	s_delay_alu instid0(VALU_DEP_3) | instskip(NEXT) | instid1(VALU_DEP_2)
	v_cmp_gt_f64_e32 vcc_lo, s[20:21], v[26:27]
	v_add_f64 v[26:27], v[28:29], -v[10:11]
	v_add_f64 v[28:29], v[6:7], -v[28:29]
	v_subrev_co_ci_u32_e32 v8, vcc_lo, 0, v8, vcc_lo
	s_delay_alu instid0(VALU_DEP_3) | instskip(NEXT) | instid1(VALU_DEP_2)
	v_add_f64 v[26:27], v[26:27], 1.0
	v_sub_nc_u32_e32 v12, 0, v8
	s_delay_alu instid0(VALU_DEP_1) | instskip(NEXT) | instid1(VALU_DEP_3)
	v_ldexp_f64 v[10:11], v[10:11], v12
	v_add_f64 v[26:27], v[28:29], v[26:27]
	s_delay_alu instid0(VALU_DEP_2) | instskip(SKIP_1) | instid1(VALU_DEP_3)
	v_add_f64 v[30:31], v[10:11], 1.0
	v_add_f64 v[40:41], v[10:11], -1.0
	v_ldexp_f64 v[26:27], v[26:27], v12
	v_cndmask_b32_e64 v12, 0x54442d18, v54, s1
	s_delay_alu instid0(VALU_DEP_4) | instskip(NEXT) | instid1(VALU_DEP_4)
	v_add_f64 v[28:29], v[30:31], -1.0
	v_add_f64 v[42:43], v[40:41], 1.0
	s_delay_alu instid0(VALU_DEP_2) | instskip(NEXT) | instid1(VALU_DEP_2)
	v_add_f64 v[28:29], v[10:11], -v[28:29]
	v_add_f64 v[10:11], v[10:11], -v[42:43]
	s_delay_alu instid0(VALU_DEP_2) | instskip(NEXT) | instid1(VALU_DEP_2)
	v_add_f64 v[28:29], v[26:27], v[28:29]
	v_add_f64 v[10:11], v[26:27], v[10:11]
	s_delay_alu instid0(VALU_DEP_2) | instskip(NEXT) | instid1(VALU_DEP_2)
	v_add_f64 v[32:33], v[30:31], v[28:29]
	v_add_f64 v[42:43], v[40:41], v[10:11]
	s_delay_alu instid0(VALU_DEP_2) | instskip(SKIP_1) | instid1(VALU_DEP_2)
	v_rcp_f64_e32 v[38:39], v[32:33]
	v_add_f64 v[30:31], v[32:33], -v[30:31]
	v_add_f64 v[40:41], v[42:43], -v[40:41]
	s_delay_alu instid0(VALU_DEP_2) | instskip(SKIP_3) | instid1(VALU_DEP_2)
	v_add_f64 v[28:29], v[28:29], -v[30:31]
	s_waitcnt_depctr 0xfff
	v_fma_f64 v[44:45], -v[32:33], v[38:39], 1.0
	v_add_f64 v[10:11], v[10:11], -v[40:41]
	v_fma_f64 v[38:39], v[44:45], v[38:39], v[38:39]
	s_delay_alu instid0(VALU_DEP_1) | instskip(NEXT) | instid1(VALU_DEP_1)
	v_fma_f64 v[26:27], -v[32:33], v[38:39], 1.0
	v_fma_f64 v[26:27], v[26:27], v[38:39], v[38:39]
	s_delay_alu instid0(VALU_DEP_1) | instskip(NEXT) | instid1(VALU_DEP_1)
	v_mul_f64 v[38:39], v[42:43], v[26:27]
	v_mul_f64 v[44:45], v[32:33], v[38:39]
	s_delay_alu instid0(VALU_DEP_1) | instskip(NEXT) | instid1(VALU_DEP_1)
	v_fma_f64 v[30:31], v[38:39], v[32:33], -v[44:45]
	v_fma_f64 v[30:31], v[38:39], v[28:29], v[30:31]
	s_delay_alu instid0(VALU_DEP_1) | instskip(NEXT) | instid1(VALU_DEP_1)
	v_add_f64 v[46:47], v[44:45], v[30:31]
	v_add_f64 v[48:49], v[42:43], -v[46:47]
	v_add_f64 v[40:41], v[46:47], -v[44:45]
	v_max_f64 v[44:45], |v[16:17]|, |v[16:17]|
	s_delay_alu instid0(VALU_DEP_3) | instskip(NEXT) | instid1(VALU_DEP_3)
	v_add_f64 v[42:43], v[42:43], -v[48:49]
	v_add_f64 v[30:31], v[40:41], -v[30:31]
	s_delay_alu instid0(VALU_DEP_2) | instskip(SKIP_2) | instid1(VALU_DEP_1)
	v_add_f64 v[42:43], v[42:43], -v[46:47]
	v_max_f64 v[46:47], |v[14:15]|, |v[14:15]|
	v_cndmask_b32_e64 v14, 0x3fe921fb, v55, s1
	v_bfi_b32 v14, 0x7fffffff, v14, v17
	s_delay_alu instid0(VALU_DEP_4) | instskip(NEXT) | instid1(VALU_DEP_4)
	v_add_f64 v[10:11], v[10:11], v[42:43]
	v_max_f64 v[50:51], v[46:47], v[44:45]
	v_min_f64 v[44:45], v[46:47], v[44:45]
	s_delay_alu instid0(VALU_DEP_3) | instskip(NEXT) | instid1(VALU_DEP_1)
	v_add_f64 v[10:11], v[30:31], v[10:11]
	v_add_f64 v[30:31], v[48:49], v[10:11]
	s_delay_alu instid0(VALU_DEP_1) | instskip(SKIP_1) | instid1(VALU_DEP_2)
	v_mul_f64 v[40:41], v[26:27], v[30:31]
	v_add_f64 v[48:49], v[48:49], -v[30:31]
	v_mul_f64 v[42:43], v[32:33], v[40:41]
	s_delay_alu instid0(VALU_DEP_2) | instskip(NEXT) | instid1(VALU_DEP_2)
	v_add_f64 v[10:11], v[10:11], v[48:49]
	v_fma_f64 v[32:33], v[40:41], v[32:33], -v[42:43]
	s_delay_alu instid0(VALU_DEP_1) | instskip(SKIP_1) | instid1(VALU_DEP_2)
	v_fma_f64 v[28:29], v[40:41], v[28:29], v[32:33]
	v_div_scale_f64 v[32:33], null, v[50:51], v[50:51], v[44:45]
	v_add_f64 v[46:47], v[42:43], v[28:29]
	s_delay_alu instid0(VALU_DEP_2) | instskip(NEXT) | instid1(VALU_DEP_1)
	v_rcp_f64_e32 v[52:53], v[32:33]
	v_add_f64 v[56:57], v[30:31], -v[46:47]
	v_add_f64 v[42:43], v[46:47], -v[42:43]
	s_waitcnt_depctr 0xfff
	v_fma_f64 v[58:59], -v[32:33], v[52:53], 1.0
	v_add_f64 v[30:31], v[30:31], -v[56:57]
	v_add_f64 v[28:29], v[42:43], -v[28:29]
	s_delay_alu instid0(VALU_DEP_3) | instskip(NEXT) | instid1(VALU_DEP_3)
	v_fma_f64 v[52:53], v[52:53], v[58:59], v[52:53]
	v_add_f64 v[30:31], v[30:31], -v[46:47]
	s_delay_alu instid0(VALU_DEP_2) | instskip(NEXT) | instid1(VALU_DEP_2)
	v_fma_f64 v[46:47], -v[32:33], v[52:53], 1.0
	v_add_f64 v[10:11], v[10:11], v[30:31]
	v_div_scale_f64 v[30:31], vcc_lo, v[44:45], v[50:51], v[44:45]
	s_delay_alu instid0(VALU_DEP_3) | instskip(SKIP_1) | instid1(VALU_DEP_4)
	v_fma_f64 v[42:43], v[52:53], v[46:47], v[52:53]
	v_add_f64 v[46:47], v[38:39], v[40:41]
	v_add_f64 v[10:11], v[28:29], v[10:11]
	s_delay_alu instid0(VALU_DEP_3) | instskip(NEXT) | instid1(VALU_DEP_3)
	v_mul_f64 v[28:29], v[30:31], v[42:43]
	v_add_f64 v[38:39], v[46:47], -v[38:39]
	s_delay_alu instid0(VALU_DEP_3) | instskip(NEXT) | instid1(VALU_DEP_3)
	v_add_f64 v[10:11], v[56:57], v[10:11]
	v_fma_f64 v[30:31], -v[32:33], v[28:29], v[30:31]
	s_delay_alu instid0(VALU_DEP_3) | instskip(NEXT) | instid1(VALU_DEP_3)
	v_add_f64 v[32:33], v[40:41], -v[38:39]
	v_mul_f64 v[10:11], v[26:27], v[10:11]
	s_delay_alu instid0(VALU_DEP_3) | instskip(SKIP_1) | instid1(VALU_DEP_3)
	v_div_fmas_f64 v[26:27], v[30:31], v[42:43], v[28:29]
	v_cmp_eq_f64_e32 vcc_lo, 0x7ff00000, v[6:7]
	v_add_f64 v[10:11], v[32:33], v[10:11]
	s_delay_alu instid0(VALU_DEP_3) | instskip(NEXT) | instid1(VALU_DEP_2)
	v_div_fixup_f64 v[26:27], v[26:27], v[50:51], v[44:45]
	v_add_f64 v[28:29], v[46:47], v[10:11]
	s_delay_alu instid0(VALU_DEP_2) | instskip(NEXT) | instid1(VALU_DEP_2)
	v_mul_f64 v[30:31], v[26:27], v[26:27]
	v_mul_f64 v[32:33], v[28:29], v[28:29]
	s_delay_alu instid0(VALU_DEP_2) | instskip(NEXT) | instid1(VALU_DEP_2)
	v_fma_f64 v[38:39], v[30:31], s[42:43], s[40:41]
	v_fma_f64 v[40:41], v[32:33], s[24:25], s[22:23]
	v_mul_f64 v[42:43], v[28:29], v[32:33]
	s_delay_alu instid0(VALU_DEP_3) | instskip(NEXT) | instid1(VALU_DEP_3)
	v_fma_f64 v[38:39], v[30:31], v[38:39], s[44:45]
	v_fma_f64 v[40:41], v[32:33], v[40:41], s[26:27]
	s_delay_alu instid0(VALU_DEP_2) | instskip(NEXT) | instid1(VALU_DEP_2)
	v_fma_f64 v[38:39], v[30:31], v[38:39], s[46:47]
	v_fma_f64 v[40:41], v[32:33], v[40:41], s[28:29]
	s_delay_alu instid0(VALU_DEP_2) | instskip(NEXT) | instid1(VALU_DEP_2)
	v_fma_f64 v[38:39], v[30:31], v[38:39], s[48:49]
	v_fma_f64 v[40:41], v[32:33], v[40:41], s[30:31]
	s_delay_alu instid0(VALU_DEP_2) | instskip(NEXT) | instid1(VALU_DEP_2)
	v_fma_f64 v[38:39], v[30:31], v[38:39], s[50:51]
	v_fma_f64 v[40:41], v[32:33], v[40:41], s[34:35]
	s_delay_alu instid0(VALU_DEP_2) | instskip(NEXT) | instid1(VALU_DEP_2)
	v_fma_f64 v[38:39], v[30:31], v[38:39], s[52:53]
	v_fma_f64 v[32:33], v[32:33], v[40:41], s[88:89]
	v_ldexp_f64 v[40:41], v[28:29], 1
	v_add_f64 v[28:29], v[28:29], -v[46:47]
	s_delay_alu instid0(VALU_DEP_4) | instskip(NEXT) | instid1(VALU_DEP_4)
	v_fma_f64 v[38:39], v[30:31], v[38:39], s[54:55]
	v_mul_f64 v[32:33], v[42:43], v[32:33]
	v_cvt_f64_i32_e32 v[42:43], v8
	s_delay_alu instid0(VALU_DEP_4) | instskip(NEXT) | instid1(VALU_DEP_4)
	v_add_f64 v[10:11], v[10:11], -v[28:29]
	v_fma_f64 v[38:39], v[30:31], v[38:39], s[56:57]
	v_ashrrev_i32_e32 v8, 31, v15
	v_add_f64 v[44:45], v[40:41], v[32:33]
	v_mul_f64 v[46:47], v[42:43], s[36:37]
	v_ldexp_f64 v[10:11], v[10:11], 1
	v_fma_f64 v[38:39], v[30:31], v[38:39], s[58:59]
	s_delay_alu instid0(VALU_DEP_4) | instskip(NEXT) | instid1(VALU_DEP_4)
	v_add_f64 v[28:29], v[44:45], -v[40:41]
	v_fma_f64 v[40:41], v[42:43], s[36:37], -v[46:47]
	s_delay_alu instid0(VALU_DEP_3) | instskip(NEXT) | instid1(VALU_DEP_3)
	v_fma_f64 v[38:39], v[30:31], v[38:39], s[60:61]
	v_add_f64 v[28:29], v[32:33], -v[28:29]
	s_delay_alu instid0(VALU_DEP_2) | instskip(NEXT) | instid1(VALU_DEP_4)
	v_fma_f64 v[32:33], v[30:31], v[38:39], s[62:63]
	v_fma_f64 v[38:39], v[42:43], s[38:39], v[40:41]
	s_delay_alu instid0(VALU_DEP_3) | instskip(NEXT) | instid1(VALU_DEP_3)
	v_add_f64 v[10:11], v[10:11], v[28:29]
	v_fma_f64 v[28:29], v[30:31], v[32:33], s[64:65]
	s_delay_alu instid0(VALU_DEP_3) | instskip(NEXT) | instid1(VALU_DEP_3)
	v_add_f64 v[32:33], v[46:47], v[38:39]
	v_add_f64 v[40:41], v[44:45], v[10:11]
	s_delay_alu instid0(VALU_DEP_3) | instskip(NEXT) | instid1(VALU_DEP_3)
	v_fma_f64 v[28:29], v[30:31], v[28:29], s[66:67]
	v_add_f64 v[46:47], v[32:33], -v[46:47]
	s_delay_alu instid0(VALU_DEP_3) | instskip(SKIP_1) | instid1(VALU_DEP_4)
	v_add_f64 v[42:43], v[32:33], v[40:41]
	v_add_f64 v[44:45], v[40:41], -v[44:45]
	v_fma_f64 v[28:29], v[30:31], v[28:29], s[68:69]
	s_delay_alu instid0(VALU_DEP_4) | instskip(NEXT) | instid1(VALU_DEP_4)
	v_add_f64 v[38:39], v[38:39], -v[46:47]
	v_add_f64 v[48:49], v[42:43], -v[32:33]
	s_delay_alu instid0(VALU_DEP_4) | instskip(NEXT) | instid1(VALU_DEP_4)
	v_add_f64 v[10:11], v[10:11], -v[44:45]
	v_fma_f64 v[28:29], v[30:31], v[28:29], s[70:71]
	s_delay_alu instid0(VALU_DEP_3) | instskip(SKIP_1) | instid1(VALU_DEP_4)
	v_add_f64 v[50:51], v[42:43], -v[48:49]
	v_add_f64 v[40:41], v[40:41], -v[48:49]
	v_add_f64 v[44:45], v[38:39], v[10:11]
	s_delay_alu instid0(VALU_DEP_4) | instskip(NEXT) | instid1(VALU_DEP_4)
	v_fma_f64 v[28:29], v[30:31], v[28:29], s[72:73]
	v_add_f64 v[32:33], v[32:33], -v[50:51]
	s_delay_alu instid0(VALU_DEP_2) | instskip(NEXT) | instid1(VALU_DEP_2)
	v_fma_f64 v[28:29], v[30:31], v[28:29], s[74:75]
	v_add_f64 v[32:33], v[40:41], v[32:33]
	v_add_f64 v[40:41], v[44:45], -v[38:39]
	s_delay_alu instid0(VALU_DEP_3) | instskip(NEXT) | instid1(VALU_DEP_3)
	v_fma_f64 v[28:29], v[30:31], v[28:29], s[76:77]
	v_add_f64 v[32:33], v[44:45], v[32:33]
	s_delay_alu instid0(VALU_DEP_3) | instskip(SKIP_1) | instid1(VALU_DEP_4)
	v_add_f64 v[44:45], v[44:45], -v[40:41]
	v_add_f64 v[10:11], v[10:11], -v[40:41]
	v_fma_f64 v[28:29], v[30:31], v[28:29], s[78:79]
	s_delay_alu instid0(VALU_DEP_4) | instskip(NEXT) | instid1(VALU_DEP_2)
	v_add_f64 v[46:47], v[42:43], v[32:33]
	v_mul_f64 v[28:29], v[30:31], v[28:29]
	v_add_f64 v[30:31], v[38:39], -v[44:45]
	s_delay_alu instid0(VALU_DEP_3) | instskip(NEXT) | instid1(VALU_DEP_3)
	v_add_f64 v[38:39], v[46:47], -v[42:43]
	v_fma_f64 v[26:27], v[26:27], v[28:29], v[26:27]
	s_delay_alu instid0(VALU_DEP_3) | instskip(NEXT) | instid1(VALU_DEP_3)
	v_add_f64 v[10:11], v[10:11], v[30:31]
	v_add_f64 v[28:29], v[32:33], -v[38:39]
	s_delay_alu instid0(VALU_DEP_3) | instskip(NEXT) | instid1(VALU_DEP_2)
	v_add_f64 v[30:31], -v[26:27], s[80:81]
	v_add_f64 v[10:11], v[10:11], v[28:29]
	s_delay_alu instid0(VALU_DEP_2) | instskip(NEXT) | instid1(VALU_DEP_3)
	v_cndmask_b32_e64 v27, v27, v31, s0
	v_cndmask_b32_e64 v26, v26, v30, s0
	s_delay_alu instid0(VALU_DEP_1) | instskip(NEXT) | instid1(VALU_DEP_4)
	v_add_f64 v[28:29], -v[26:27], s[10:11]
	v_add_f64 v[10:11], v[46:47], v[10:11]
	v_and_b32_e32 v30, 0x54442d18, v8
	v_and_b32_e32 v8, 0x400921fb, v8
	s_delay_alu instid0(VALU_DEP_4) | instskip(SKIP_4) | instid1(VALU_DEP_2)
	v_cndmask_b32_e64 v26, v26, v28, s1
	v_cndmask_b32_e64 v15, v27, v29, s1
	v_cmp_nge_f64_e64 s1, -1.0, v[6:7]
	v_dual_cndmask_b32 v11, v11, v7 :: v_dual_cndmask_b32 v10, v10, v6
	v_cmp_eq_f64_e32 vcc_lo, 0, v[16:17]
	v_mul_f64 v[10:11], v[10:11], 0.5
	v_cndmask_b32_e32 v28, v26, v30, vcc_lo
	v_cndmask_b32_e32 v8, v15, v8, vcc_lo
	v_cmp_ngt_f64_e32 vcc_lo, -1.0, v[6:7]
                                        ; implicit-def: $vgpr30_vgpr31
	s_delay_alu instid0(VALU_DEP_4)
	v_cndmask_b32_e64 v26, 0, v10, s1
	v_cmp_neq_f64_e64 s1, -1.0, v[6:7]
	v_cndmask_b32_e32 v11, 0x7ff80000, v11, vcc_lo
	s_and_b32 vcc_lo, s4, s3
	v_cndmask_b32_e32 v29, v8, v14, vcc_lo
	v_cndmask_b32_e32 v28, v28, v12, vcc_lo
	s_delay_alu instid0(VALU_DEP_3)
	v_cndmask_b32_e64 v27, 0xfff00000, v11, s1
                                        ; implicit-def: $vgpr10_vgpr11
.LBB174_236:                            ;   in Loop: Header=BB174_162 Depth=1
	s_and_not1_saveexec_b32 s96, s2
	s_cbranch_execz .LBB174_244
; %bb.237:                              ;   in Loop: Header=BB174_162 Depth=1
	v_mul_f64 v[6:7], v[10:11], v[10:11]
                                        ; implicit-def: $vgpr26_vgpr27
	s_mov_b32 s1, exec_lo
	s_delay_alu instid0(VALU_DEP_1) | instskip(NEXT) | instid1(VALU_DEP_1)
	v_fma_f64 v[6:7], v[30:31], v[30:31], v[6:7]
	v_cmpx_ge_f64_e32 s[82:83], v[6:7]
	s_xor_b32 s3, exec_lo, s1
	s_cbranch_execz .LBB174_239
; %bb.238:                              ;   in Loop: Header=BB174_162 Depth=1
	v_frexp_mant_f64_e32 v[10:11], v[6:7]
	v_max_f64 v[38:39], |v[14:15]|, |v[14:15]|
	s_mov_b32 s89, s21
	v_frexp_exp_i32_f64_e32 v8, v[6:7]
	s_mov_b32 s10, s80
	v_cmp_class_f64_e64 s4, v[16:17], 0x204
	v_cmp_class_f64_e64 s5, v[14:15], 0x204
	v_cmp_neq_f64_e64 s2, 0, v[6:7]
	v_cmp_gt_f64_e64 s1, s[20:21], v[10:11]
	s_delay_alu instid0(VALU_DEP_1) | instskip(NEXT) | instid1(VALU_DEP_1)
	v_cndmask_b32_e64 v35, 0x3ff00000, 2.0, s1
	v_mul_f64 v[10:11], v[10:11], v[34:35]
	s_delay_alu instid0(VALU_DEP_1) | instskip(SKIP_1) | instid1(VALU_DEP_2)
	v_add_f64 v[26:27], v[10:11], 1.0
	v_add_f64 v[32:33], v[10:11], -1.0
	v_rcp_f64_e32 v[28:29], v[26:27]
	s_waitcnt_depctr 0xfff
	v_fma_f64 v[30:31], -v[26:27], v[28:29], 1.0
	s_delay_alu instid0(VALU_DEP_1) | instskip(NEXT) | instid1(VALU_DEP_1)
	v_fma_f64 v[28:29], v[30:31], v[28:29], v[28:29]
	v_fma_f64 v[30:31], -v[26:27], v[28:29], 1.0
	s_delay_alu instid0(VALU_DEP_1) | instskip(SKIP_1) | instid1(VALU_DEP_2)
	v_fma_f64 v[28:29], v[30:31], v[28:29], v[28:29]
	v_max_f64 v[30:31], |v[16:17]|, |v[16:17]|
	v_mul_f64 v[40:41], v[32:33], v[28:29]
	s_delay_alu instid0(VALU_DEP_2) | instskip(SKIP_2) | instid1(VALU_DEP_4)
	v_max_f64 v[42:43], v[38:39], v[30:31]
	v_min_f64 v[30:31], v[38:39], v[30:31]
	v_add_f64 v[38:39], v[26:27], -1.0
	v_mul_f64 v[44:45], v[26:27], v[40:41]
	s_delay_alu instid0(VALU_DEP_3) | instskip(NEXT) | instid1(VALU_DEP_3)
	v_div_scale_f64 v[46:47], null, v[42:43], v[42:43], v[30:31]
	v_add_f64 v[10:11], v[10:11], -v[38:39]
	v_div_scale_f64 v[52:53], vcc_lo, v[30:31], v[42:43], v[30:31]
	s_delay_alu instid0(VALU_DEP_4) | instskip(NEXT) | instid1(VALU_DEP_4)
	v_fma_f64 v[26:27], v[40:41], v[26:27], -v[44:45]
	v_rcp_f64_e32 v[38:39], v[46:47]
	s_delay_alu instid0(VALU_DEP_1) | instskip(SKIP_3) | instid1(VALU_DEP_2)
	v_fma_f64 v[10:11], v[40:41], v[10:11], v[26:27]
	s_waitcnt_depctr 0xfff
	v_fma_f64 v[26:27], -v[46:47], v[38:39], 1.0
	v_add_f64 v[48:49], v[44:45], v[10:11]
	v_fma_f64 v[26:27], v[38:39], v[26:27], v[38:39]
	s_delay_alu instid0(VALU_DEP_2) | instskip(SKIP_1) | instid1(VALU_DEP_3)
	v_add_f64 v[38:39], v[32:33], -v[48:49]
	v_add_f64 v[44:45], v[48:49], -v[44:45]
	v_fma_f64 v[50:51], -v[46:47], v[26:27], 1.0
	s_delay_alu instid0(VALU_DEP_3) | instskip(NEXT) | instid1(VALU_DEP_3)
	v_add_f64 v[32:33], v[32:33], -v[38:39]
	v_add_f64 v[10:11], v[44:45], -v[10:11]
	s_delay_alu instid0(VALU_DEP_3) | instskip(NEXT) | instid1(VALU_DEP_3)
	v_fma_f64 v[26:27], v[26:27], v[50:51], v[26:27]
	v_add_f64 v[32:33], v[32:33], -v[48:49]
	s_delay_alu instid0(VALU_DEP_2) | instskip(NEXT) | instid1(VALU_DEP_2)
	v_mul_f64 v[44:45], v[52:53], v[26:27]
	v_add_f64 v[10:11], v[10:11], v[32:33]
	s_delay_alu instid0(VALU_DEP_2) | instskip(NEXT) | instid1(VALU_DEP_2)
	v_fma_f64 v[32:33], -v[46:47], v[44:45], v[52:53]
	v_add_f64 v[10:11], v[38:39], v[10:11]
	s_delay_alu instid0(VALU_DEP_2)
	v_div_fmas_f64 v[26:27], v[32:33], v[26:27], v[44:45]
	v_subrev_co_ci_u32_e64 v8, vcc_lo, 0, v8, s1
	v_cmp_eq_f64_e64 s1, 0, v[16:17]
	v_cmp_gt_i32_e32 vcc_lo, 0, v15
	v_cndmask_b32_e32 v6, 0x3fe921fb, v55, vcc_lo
	v_cndmask_b32_e32 v12, 0x54442d18, v54, vcc_lo
	s_delay_alu instid0(VALU_DEP_2) | instskip(SKIP_2) | instid1(VALU_DEP_2)
	v_bfi_b32 v6, 0x7fffffff, v6, v17
	v_mul_f64 v[10:11], v[28:29], v[10:11]
	v_div_fixup_f64 v[26:27], v[26:27], v[42:43], v[30:31]
	v_add_f64 v[28:29], v[40:41], v[10:11]
	s_delay_alu instid0(VALU_DEP_2) | instskip(NEXT) | instid1(VALU_DEP_2)
	v_mul_f64 v[30:31], v[26:27], v[26:27]
	v_mul_f64 v[32:33], v[28:29], v[28:29]
	s_delay_alu instid0(VALU_DEP_2) | instskip(NEXT) | instid1(VALU_DEP_2)
	v_fma_f64 v[38:39], v[30:31], s[42:43], s[40:41]
	v_fma_f64 v[42:43], v[32:33], s[24:25], s[22:23]
	v_mul_f64 v[44:45], v[28:29], v[32:33]
	s_delay_alu instid0(VALU_DEP_3) | instskip(NEXT) | instid1(VALU_DEP_3)
	v_fma_f64 v[38:39], v[30:31], v[38:39], s[44:45]
	v_fma_f64 v[42:43], v[32:33], v[42:43], s[26:27]
	s_delay_alu instid0(VALU_DEP_2) | instskip(NEXT) | instid1(VALU_DEP_2)
	v_fma_f64 v[38:39], v[30:31], v[38:39], s[46:47]
	v_fma_f64 v[42:43], v[32:33], v[42:43], s[28:29]
	s_delay_alu instid0(VALU_DEP_2) | instskip(NEXT) | instid1(VALU_DEP_2)
	;; [unrolled: 3-line block ×4, first 2 shown]
	v_fma_f64 v[38:39], v[30:31], v[38:39], s[52:53]
	v_fma_f64 v[32:33], v[32:33], v[42:43], s[88:89]
	v_ldexp_f64 v[42:43], v[28:29], 1
	v_add_f64 v[28:29], v[28:29], -v[40:41]
	s_delay_alu instid0(VALU_DEP_4) | instskip(NEXT) | instid1(VALU_DEP_4)
	v_fma_f64 v[38:39], v[30:31], v[38:39], s[54:55]
	v_mul_f64 v[32:33], v[44:45], v[32:33]
	v_cvt_f64_i32_e32 v[44:45], v8
	s_delay_alu instid0(VALU_DEP_4)
	v_add_f64 v[10:11], v[10:11], -v[28:29]
	v_ashrrev_i32_e32 v8, 31, v15
	v_fma_f64 v[38:39], v[30:31], v[38:39], s[56:57]
	v_add_f64 v[40:41], v[42:43], v[32:33]
	v_mul_f64 v[46:47], v[44:45], s[36:37]
	v_ldexp_f64 v[10:11], v[10:11], 1
	s_delay_alu instid0(VALU_DEP_4) | instskip(NEXT) | instid1(VALU_DEP_4)
	v_fma_f64 v[38:39], v[30:31], v[38:39], s[58:59]
	v_add_f64 v[28:29], v[40:41], -v[42:43]
	s_delay_alu instid0(VALU_DEP_4) | instskip(NEXT) | instid1(VALU_DEP_3)
	v_fma_f64 v[42:43], v[44:45], s[36:37], -v[46:47]
	v_fma_f64 v[38:39], v[30:31], v[38:39], s[60:61]
	s_delay_alu instid0(VALU_DEP_3) | instskip(NEXT) | instid1(VALU_DEP_2)
	v_add_f64 v[28:29], v[32:33], -v[28:29]
	v_fma_f64 v[32:33], v[30:31], v[38:39], s[62:63]
	s_delay_alu instid0(VALU_DEP_4) | instskip(NEXT) | instid1(VALU_DEP_3)
	v_fma_f64 v[38:39], v[44:45], s[38:39], v[42:43]
	v_add_f64 v[10:11], v[10:11], v[28:29]
	s_delay_alu instid0(VALU_DEP_3) | instskip(NEXT) | instid1(VALU_DEP_3)
	v_fma_f64 v[28:29], v[30:31], v[32:33], s[64:65]
	v_add_f64 v[32:33], v[46:47], v[38:39]
	s_delay_alu instid0(VALU_DEP_3) | instskip(NEXT) | instid1(VALU_DEP_3)
	v_add_f64 v[42:43], v[40:41], v[10:11]
	v_fma_f64 v[28:29], v[30:31], v[28:29], s[66:67]
	s_delay_alu instid0(VALU_DEP_3) | instskip(NEXT) | instid1(VALU_DEP_3)
	v_add_f64 v[46:47], v[32:33], -v[46:47]
	v_add_f64 v[44:45], v[32:33], v[42:43]
	v_add_f64 v[40:41], v[42:43], -v[40:41]
	s_delay_alu instid0(VALU_DEP_4) | instskip(NEXT) | instid1(VALU_DEP_4)
	v_fma_f64 v[28:29], v[30:31], v[28:29], s[68:69]
	v_add_f64 v[38:39], v[38:39], -v[46:47]
	s_delay_alu instid0(VALU_DEP_4) | instskip(NEXT) | instid1(VALU_DEP_4)
	v_add_f64 v[48:49], v[44:45], -v[32:33]
	v_add_f64 v[10:11], v[10:11], -v[40:41]
	s_delay_alu instid0(VALU_DEP_4) | instskip(NEXT) | instid1(VALU_DEP_3)
	v_fma_f64 v[28:29], v[30:31], v[28:29], s[70:71]
	v_add_f64 v[50:51], v[44:45], -v[48:49]
	v_add_f64 v[40:41], v[42:43], -v[48:49]
	s_delay_alu instid0(VALU_DEP_4) | instskip(NEXT) | instid1(VALU_DEP_4)
	v_add_f64 v[42:43], v[38:39], v[10:11]
	v_fma_f64 v[28:29], v[30:31], v[28:29], s[72:73]
	s_delay_alu instid0(VALU_DEP_4) | instskip(NEXT) | instid1(VALU_DEP_2)
	v_add_f64 v[32:33], v[32:33], -v[50:51]
	v_fma_f64 v[28:29], v[30:31], v[28:29], s[74:75]
	s_delay_alu instid0(VALU_DEP_2) | instskip(SKIP_1) | instid1(VALU_DEP_3)
	v_add_f64 v[32:33], v[40:41], v[32:33]
	v_add_f64 v[40:41], v[42:43], -v[38:39]
	v_fma_f64 v[28:29], v[30:31], v[28:29], s[76:77]
	s_delay_alu instid0(VALU_DEP_3) | instskip(NEXT) | instid1(VALU_DEP_3)
	v_add_f64 v[32:33], v[42:43], v[32:33]
	v_add_f64 v[42:43], v[42:43], -v[40:41]
	v_add_f64 v[10:11], v[10:11], -v[40:41]
	s_delay_alu instid0(VALU_DEP_4) | instskip(NEXT) | instid1(VALU_DEP_4)
	v_fma_f64 v[28:29], v[30:31], v[28:29], s[78:79]
	v_add_f64 v[46:47], v[44:45], v[32:33]
	s_delay_alu instid0(VALU_DEP_2) | instskip(SKIP_1) | instid1(VALU_DEP_3)
	v_mul_f64 v[28:29], v[30:31], v[28:29]
	v_add_f64 v[30:31], v[38:39], -v[42:43]
	v_add_f64 v[38:39], v[46:47], -v[44:45]
	s_delay_alu instid0(VALU_DEP_3) | instskip(NEXT) | instid1(VALU_DEP_3)
	v_fma_f64 v[26:27], v[26:27], v[28:29], v[26:27]
	v_add_f64 v[10:11], v[10:11], v[30:31]
	s_delay_alu instid0(VALU_DEP_3) | instskip(NEXT) | instid1(VALU_DEP_3)
	v_add_f64 v[28:29], v[32:33], -v[38:39]
	v_add_f64 v[30:31], -v[26:27], s[80:81]
	s_delay_alu instid0(VALU_DEP_2) | instskip(NEXT) | instid1(VALU_DEP_2)
	v_add_f64 v[10:11], v[10:11], v[28:29]
	v_cndmask_b32_e64 v27, v27, v31, s0
	s_delay_alu instid0(VALU_DEP_3) | instskip(SKIP_1) | instid1(VALU_DEP_2)
	v_cndmask_b32_e64 v26, v26, v30, s0
	v_and_b32_e32 v30, 0x54442d18, v8
	v_add_f64 v[28:29], -v[26:27], s[10:11]
	v_and_b32_e32 v7, 0x400921fb, v8
	v_add_f64 v[10:11], v[46:47], v[10:11]
	s_delay_alu instid0(VALU_DEP_3) | instskip(NEXT) | instid1(VALU_DEP_4)
	v_cndmask_b32_e32 v8, v27, v29, vcc_lo
	v_cndmask_b32_e32 v26, v26, v28, vcc_lo
	s_and_b32 vcc_lo, s5, s4
	s_delay_alu instid0(VALU_DEP_2) | instskip(NEXT) | instid1(VALU_DEP_1)
	v_cndmask_b32_e64 v7, v8, v7, s1
	v_cndmask_b32_e32 v29, v7, v6, vcc_lo
	s_delay_alu instid0(VALU_DEP_3) | instskip(NEXT) | instid1(VALU_DEP_1)
	v_cndmask_b32_e64 v14, v26, v30, s1
                                        ; implicit-def: $vgpr30_vgpr31
	v_cndmask_b32_e32 v28, v14, v12, vcc_lo
	v_mul_f64 v[10:11], v[10:11], 0.5
	s_delay_alu instid0(VALU_DEP_1) | instskip(NEXT) | instid1(VALU_DEP_2)
	v_cndmask_b32_e64 v27, 0xfff00000, v11, s2
	v_cndmask_b32_e64 v26, 0, v10, s2
                                        ; implicit-def: $vgpr10_vgpr11
.LBB174_239:                            ;   in Loop: Header=BB174_162 Depth=1
	s_and_not1_saveexec_b32 s97, s3
	s_cbranch_execz .LBB174_243
; %bb.240:                              ;   in Loop: Header=BB174_162 Depth=1
	v_dual_mov_b32 v26, v34 :: v_dual_and_b32 v35, 0x7ffffff8, v31
	v_and_b32_e32 v27, 0x7ffffff8, v11
	s_mov_b32 s89, 0
	s_delay_alu instid0(VALU_DEP_2) | instskip(SKIP_1) | instid1(VALU_DEP_3)
	v_add_f64 v[6:7], v[30:31], -v[34:35]
	v_mov_b32_e32 v30, v34
	v_add_f64 v[10:11], v[10:11], -v[26:27]
	v_mov_b32_e32 v32, v34
	v_add_f64 v[38:39], v[34:35], v[34:35]
	v_add_f64 v[46:47], v[26:27], v[26:27]
	v_mul_f64 v[28:29], v[26:27], v[26:27]
	v_and_b32_e32 v31, -8, v7
	v_and_b32_e32 v33, -8, v11
	s_delay_alu instid0(VALU_DEP_2) | instskip(SKIP_1) | instid1(VALU_DEP_3)
	v_add_f64 v[48:49], v[6:7], -v[30:31]
	v_add_f64 v[52:53], v[30:31], v[30:31]
	v_add_f64 v[50:51], v[10:11], -v[32:33]
	v_add_f64 v[56:57], v[32:33], v[32:33]
	v_mul_f64 v[6:7], v[34:35], v[34:35]
	v_mul_f64 v[44:45], v[38:39], v[30:31]
	;; [unrolled: 1-line block ×11, first 2 shown]
.LBB174_241:                            ;   Parent Loop BB174_162 Depth=1
                                        ; =>  This Inner Loop Header: Depth=2
	v_cmp_nlt_f64_e32 vcc_lo, v[6:7], v[28:29]
	v_dual_cndmask_b32 v51, v7, v29 :: v_dual_cndmask_b32 v50, v6, v28
	v_dual_cndmask_b32 v7, v29, v7 :: v_dual_cndmask_b32 v6, v28, v6
	s_delay_alu instid0(VALU_DEP_2) | instskip(NEXT) | instid1(VALU_DEP_1)
	v_cmp_nlt_f64_e64 s1, v[50:51], v[44:45]
	v_cndmask_b32_e64 v53, v51, v45, s1
	v_cndmask_b32_e64 v52, v50, v44, s1
	;; [unrolled: 1-line block ×4, first 2 shown]
	s_and_b32 s1, vcc_lo, s1
	s_delay_alu instid0(VALU_DEP_3) | instskip(NEXT) | instid1(VALU_DEP_1)
	v_cmp_nlt_f64_e64 s2, v[52:53], v[26:27]
	v_cndmask_b32_e64 v57, v53, v27, s2
	v_cndmask_b32_e64 v56, v52, v26, s2
	;; [unrolled: 1-line block ×4, first 2 shown]
	s_delay_alu instid0(VALU_DEP_3) | instskip(NEXT) | instid1(VALU_DEP_1)
	v_cmp_nlt_f64_e64 s3, v[56:57], v[42:43]
	v_cndmask_b32_e64 v59, v57, v43, s3
	v_cndmask_b32_e64 v58, v56, v42, s3
	;; [unrolled: 1-line block ×4, first 2 shown]
	s_and_b32 s2, s2, s3
	s_delay_alu instid0(VALU_DEP_3) | instskip(NEXT) | instid1(VALU_DEP_1)
	v_cmp_nlt_f64_e64 s4, v[58:59], v[10:11]
	v_cndmask_b32_e64 v61, v59, v11, s4
	v_cndmask_b32_e64 v60, v58, v10, s4
	;; [unrolled: 1-line block ×4, first 2 shown]
	s_delay_alu instid0(VALU_DEP_3) | instskip(NEXT) | instid1(VALU_DEP_1)
	v_cmp_nlt_f64_e64 s5, v[60:61], v[40:41]
	v_cndmask_b32_e64 v63, v61, v41, s5
	v_cndmask_b32_e64 v62, v60, v40, s5
	s_and_b32 s3, s4, s5
	v_cndmask_b32_e64 v11, v41, v61, s5
	v_cndmask_b32_e64 v10, v40, v60, s5
	s_delay_alu instid0(VALU_DEP_3) | instskip(NEXT) | instid1(VALU_DEP_1)
	v_cmp_nlt_f64_e64 s6, v[62:63], v[38:39]
	v_cndmask_b32_e64 v65, v63, v39, s6
	v_cndmask_b32_e64 v64, v62, v38, s6
	s_and_b32 s3, s3, s6
	v_cndmask_b32_e64 v41, v39, v63, s6
	v_cndmask_b32_e64 v40, v38, v62, s6
	;; [unrolled: 7-line block ×5, first 2 shown]
	s_delay_alu instid0(VALU_DEP_3) | instskip(NEXT) | instid1(VALU_DEP_1)
	v_cmp_nlt_f64_e64 s10, v[70:71], v[48:49]
	v_cndmask_b32_e64 v51, v71, v49, s10
	v_cndmask_b32_e64 v50, v70, v48, s10
	s_and_b32 s3, s3, s10
	v_cndmask_b32_e64 v47, v49, v71, s10
	s_and_b32 s2, s3, s2
	;; [unrolled: 2-line block ×3, first 2 shown]
	v_dual_mov_b32 v48, v50 :: v_dual_mov_b32 v49, v51
	s_and_b32 s1, exec_lo, s1
	s_delay_alu instid0(SALU_CYCLE_1) | instskip(NEXT) | instid1(SALU_CYCLE_1)
	s_or_b32 s89, s1, s89
	s_and_not1_b32 exec_lo, exec_lo, s89
	s_cbranch_execnz .LBB174_241
; %bb.242:                              ;   in Loop: Header=BB174_162 Depth=1
	s_or_b32 exec_lo, exec_lo, s89
	v_add_f64 v[6:7], v[6:7], -1.0
	s_mov_b32 s89, s21
	s_mov_b32 s10, s80
	v_cmp_gt_i32_e64 s1, 0, v15
	v_cmp_class_f64_e64 s3, v[14:15], 0x204
	v_cmp_class_f64_e64 s2, v[16:17], 0x204
	s_delay_alu instid0(VALU_DEP_4) | instskip(NEXT) | instid1(VALU_DEP_1)
	v_add_f64 v[6:7], v[6:7], v[28:29]
	v_add_f64 v[6:7], v[6:7], v[44:45]
	s_delay_alu instid0(VALU_DEP_1) | instskip(NEXT) | instid1(VALU_DEP_1)
	v_add_f64 v[6:7], v[6:7], v[26:27]
	v_add_f64 v[6:7], v[6:7], v[42:43]
	s_delay_alu instid0(VALU_DEP_1) | instskip(NEXT) | instid1(VALU_DEP_1)
	;; [unrolled: 3-line block ×5, first 2 shown]
	v_add_f64 v[6:7], v[50:51], v[6:7]
	v_add_f64 v[10:11], v[6:7], 1.0
	s_delay_alu instid0(VALU_DEP_1) | instskip(SKIP_2) | instid1(VALU_DEP_3)
	v_frexp_mant_f64_e32 v[26:27], v[10:11]
	v_frexp_exp_i32_f64_e32 v8, v[10:11]
	v_add_f64 v[28:29], v[10:11], -1.0
	v_cmp_gt_f64_e32 vcc_lo, s[20:21], v[26:27]
	s_delay_alu instid0(VALU_DEP_2) | instskip(SKIP_2) | instid1(VALU_DEP_3)
	v_add_f64 v[26:27], v[28:29], -v[10:11]
	v_add_f64 v[28:29], v[6:7], -v[28:29]
	v_subrev_co_ci_u32_e32 v8, vcc_lo, 0, v8, vcc_lo
	v_add_f64 v[26:27], v[26:27], 1.0
	s_delay_alu instid0(VALU_DEP_2) | instskip(NEXT) | instid1(VALU_DEP_1)
	v_sub_nc_u32_e32 v12, 0, v8
	v_ldexp_f64 v[10:11], v[10:11], v12
	s_delay_alu instid0(VALU_DEP_3) | instskip(NEXT) | instid1(VALU_DEP_2)
	v_add_f64 v[26:27], v[28:29], v[26:27]
	v_add_f64 v[30:31], v[10:11], 1.0
	v_add_f64 v[40:41], v[10:11], -1.0
	s_delay_alu instid0(VALU_DEP_3) | instskip(SKIP_1) | instid1(VALU_DEP_4)
	v_ldexp_f64 v[26:27], v[26:27], v12
	v_cndmask_b32_e64 v12, 0x54442d18, v54, s1
	v_add_f64 v[28:29], v[30:31], -1.0
	s_delay_alu instid0(VALU_DEP_4) | instskip(NEXT) | instid1(VALU_DEP_2)
	v_add_f64 v[42:43], v[40:41], 1.0
	v_add_f64 v[28:29], v[10:11], -v[28:29]
	s_delay_alu instid0(VALU_DEP_2) | instskip(NEXT) | instid1(VALU_DEP_2)
	v_add_f64 v[10:11], v[10:11], -v[42:43]
	v_add_f64 v[28:29], v[26:27], v[28:29]
	s_delay_alu instid0(VALU_DEP_2) | instskip(NEXT) | instid1(VALU_DEP_2)
	v_add_f64 v[10:11], v[26:27], v[10:11]
	v_add_f64 v[32:33], v[30:31], v[28:29]
	s_delay_alu instid0(VALU_DEP_2) | instskip(NEXT) | instid1(VALU_DEP_2)
	v_add_f64 v[42:43], v[40:41], v[10:11]
	v_rcp_f64_e32 v[38:39], v[32:33]
	v_add_f64 v[30:31], v[32:33], -v[30:31]
	s_delay_alu instid0(VALU_DEP_2) | instskip(NEXT) | instid1(VALU_DEP_2)
	v_add_f64 v[40:41], v[42:43], -v[40:41]
	v_add_f64 v[28:29], v[28:29], -v[30:31]
	s_waitcnt_depctr 0xfff
	v_fma_f64 v[44:45], -v[32:33], v[38:39], 1.0
	v_add_f64 v[10:11], v[10:11], -v[40:41]
	s_delay_alu instid0(VALU_DEP_2) | instskip(NEXT) | instid1(VALU_DEP_1)
	v_fma_f64 v[38:39], v[44:45], v[38:39], v[38:39]
	v_fma_f64 v[26:27], -v[32:33], v[38:39], 1.0
	s_delay_alu instid0(VALU_DEP_1) | instskip(NEXT) | instid1(VALU_DEP_1)
	v_fma_f64 v[26:27], v[26:27], v[38:39], v[38:39]
	v_mul_f64 v[38:39], v[42:43], v[26:27]
	s_delay_alu instid0(VALU_DEP_1) | instskip(NEXT) | instid1(VALU_DEP_1)
	v_mul_f64 v[44:45], v[32:33], v[38:39]
	v_fma_f64 v[30:31], v[38:39], v[32:33], -v[44:45]
	s_delay_alu instid0(VALU_DEP_1) | instskip(NEXT) | instid1(VALU_DEP_1)
	v_fma_f64 v[30:31], v[38:39], v[28:29], v[30:31]
	v_add_f64 v[46:47], v[44:45], v[30:31]
	s_delay_alu instid0(VALU_DEP_1) | instskip(SKIP_2) | instid1(VALU_DEP_3)
	v_add_f64 v[48:49], v[42:43], -v[46:47]
	v_add_f64 v[40:41], v[46:47], -v[44:45]
	v_max_f64 v[44:45], |v[16:17]|, |v[16:17]|
	v_add_f64 v[42:43], v[42:43], -v[48:49]
	s_delay_alu instid0(VALU_DEP_3) | instskip(NEXT) | instid1(VALU_DEP_2)
	v_add_f64 v[30:31], v[40:41], -v[30:31]
	v_add_f64 v[42:43], v[42:43], -v[46:47]
	v_max_f64 v[46:47], |v[14:15]|, |v[14:15]|
	v_cndmask_b32_e64 v14, 0x3fe921fb, v55, s1
	s_delay_alu instid0(VALU_DEP_1) | instskip(NEXT) | instid1(VALU_DEP_4)
	v_bfi_b32 v14, 0x7fffffff, v14, v17
	v_add_f64 v[10:11], v[10:11], v[42:43]
	s_delay_alu instid0(VALU_DEP_4) | instskip(SKIP_1) | instid1(VALU_DEP_3)
	v_max_f64 v[50:51], v[46:47], v[44:45]
	v_min_f64 v[44:45], v[46:47], v[44:45]
	v_add_f64 v[10:11], v[30:31], v[10:11]
	s_delay_alu instid0(VALU_DEP_1) | instskip(NEXT) | instid1(VALU_DEP_1)
	v_add_f64 v[30:31], v[48:49], v[10:11]
	v_mul_f64 v[40:41], v[26:27], v[30:31]
	v_add_f64 v[48:49], v[48:49], -v[30:31]
	s_delay_alu instid0(VALU_DEP_2) | instskip(NEXT) | instid1(VALU_DEP_2)
	v_mul_f64 v[42:43], v[32:33], v[40:41]
	v_add_f64 v[10:11], v[10:11], v[48:49]
	s_delay_alu instid0(VALU_DEP_2) | instskip(NEXT) | instid1(VALU_DEP_1)
	v_fma_f64 v[32:33], v[40:41], v[32:33], -v[42:43]
	v_fma_f64 v[28:29], v[40:41], v[28:29], v[32:33]
	v_div_scale_f64 v[32:33], null, v[50:51], v[50:51], v[44:45]
	s_delay_alu instid0(VALU_DEP_2) | instskip(NEXT) | instid1(VALU_DEP_2)
	v_add_f64 v[46:47], v[42:43], v[28:29]
	v_rcp_f64_e32 v[52:53], v[32:33]
	s_delay_alu instid0(VALU_DEP_1)
	v_add_f64 v[56:57], v[30:31], -v[46:47]
	v_add_f64 v[42:43], v[46:47], -v[42:43]
	s_waitcnt_depctr 0xfff
	v_fma_f64 v[58:59], -v[32:33], v[52:53], 1.0
	v_add_f64 v[30:31], v[30:31], -v[56:57]
	v_add_f64 v[28:29], v[42:43], -v[28:29]
	s_delay_alu instid0(VALU_DEP_3) | instskip(NEXT) | instid1(VALU_DEP_3)
	v_fma_f64 v[52:53], v[52:53], v[58:59], v[52:53]
	v_add_f64 v[30:31], v[30:31], -v[46:47]
	s_delay_alu instid0(VALU_DEP_2) | instskip(NEXT) | instid1(VALU_DEP_2)
	v_fma_f64 v[46:47], -v[32:33], v[52:53], 1.0
	v_add_f64 v[10:11], v[10:11], v[30:31]
	v_div_scale_f64 v[30:31], vcc_lo, v[44:45], v[50:51], v[44:45]
	s_delay_alu instid0(VALU_DEP_3) | instskip(SKIP_1) | instid1(VALU_DEP_4)
	v_fma_f64 v[42:43], v[52:53], v[46:47], v[52:53]
	v_add_f64 v[46:47], v[38:39], v[40:41]
	v_add_f64 v[10:11], v[28:29], v[10:11]
	s_delay_alu instid0(VALU_DEP_3) | instskip(NEXT) | instid1(VALU_DEP_3)
	v_mul_f64 v[28:29], v[30:31], v[42:43]
	v_add_f64 v[38:39], v[46:47], -v[38:39]
	s_delay_alu instid0(VALU_DEP_3) | instskip(NEXT) | instid1(VALU_DEP_3)
	v_add_f64 v[10:11], v[56:57], v[10:11]
	v_fma_f64 v[30:31], -v[32:33], v[28:29], v[30:31]
	s_delay_alu instid0(VALU_DEP_3) | instskip(NEXT) | instid1(VALU_DEP_3)
	v_add_f64 v[32:33], v[40:41], -v[38:39]
	v_mul_f64 v[10:11], v[26:27], v[10:11]
	s_delay_alu instid0(VALU_DEP_3) | instskip(SKIP_1) | instid1(VALU_DEP_3)
	v_div_fmas_f64 v[26:27], v[30:31], v[42:43], v[28:29]
	v_cmp_eq_f64_e32 vcc_lo, 0x7ff00000, v[6:7]
	v_add_f64 v[10:11], v[32:33], v[10:11]
	s_delay_alu instid0(VALU_DEP_3) | instskip(NEXT) | instid1(VALU_DEP_2)
	v_div_fixup_f64 v[26:27], v[26:27], v[50:51], v[44:45]
	v_add_f64 v[28:29], v[46:47], v[10:11]
	s_delay_alu instid0(VALU_DEP_2) | instskip(NEXT) | instid1(VALU_DEP_2)
	v_mul_f64 v[30:31], v[26:27], v[26:27]
	v_mul_f64 v[32:33], v[28:29], v[28:29]
	s_delay_alu instid0(VALU_DEP_2) | instskip(NEXT) | instid1(VALU_DEP_2)
	v_fma_f64 v[38:39], v[30:31], s[42:43], s[40:41]
	v_fma_f64 v[40:41], v[32:33], s[24:25], s[22:23]
	v_mul_f64 v[42:43], v[28:29], v[32:33]
	s_delay_alu instid0(VALU_DEP_3) | instskip(NEXT) | instid1(VALU_DEP_3)
	v_fma_f64 v[38:39], v[30:31], v[38:39], s[44:45]
	v_fma_f64 v[40:41], v[32:33], v[40:41], s[26:27]
	s_delay_alu instid0(VALU_DEP_2) | instskip(NEXT) | instid1(VALU_DEP_2)
	v_fma_f64 v[38:39], v[30:31], v[38:39], s[46:47]
	v_fma_f64 v[40:41], v[32:33], v[40:41], s[28:29]
	s_delay_alu instid0(VALU_DEP_2) | instskip(NEXT) | instid1(VALU_DEP_2)
	;; [unrolled: 3-line block ×4, first 2 shown]
	v_fma_f64 v[38:39], v[30:31], v[38:39], s[52:53]
	v_fma_f64 v[32:33], v[32:33], v[40:41], s[88:89]
	v_ldexp_f64 v[40:41], v[28:29], 1
	v_add_f64 v[28:29], v[28:29], -v[46:47]
	s_delay_alu instid0(VALU_DEP_4) | instskip(NEXT) | instid1(VALU_DEP_4)
	v_fma_f64 v[38:39], v[30:31], v[38:39], s[54:55]
	v_mul_f64 v[32:33], v[42:43], v[32:33]
	v_cvt_f64_i32_e32 v[42:43], v8
	s_delay_alu instid0(VALU_DEP_4) | instskip(NEXT) | instid1(VALU_DEP_4)
	v_add_f64 v[10:11], v[10:11], -v[28:29]
	v_fma_f64 v[38:39], v[30:31], v[38:39], s[56:57]
	v_ashrrev_i32_e32 v8, 31, v15
	v_add_f64 v[44:45], v[40:41], v[32:33]
	v_mul_f64 v[46:47], v[42:43], s[36:37]
	v_ldexp_f64 v[10:11], v[10:11], 1
	v_fma_f64 v[38:39], v[30:31], v[38:39], s[58:59]
	s_delay_alu instid0(VALU_DEP_4) | instskip(NEXT) | instid1(VALU_DEP_4)
	v_add_f64 v[28:29], v[44:45], -v[40:41]
	v_fma_f64 v[40:41], v[42:43], s[36:37], -v[46:47]
	s_delay_alu instid0(VALU_DEP_3) | instskip(NEXT) | instid1(VALU_DEP_3)
	v_fma_f64 v[38:39], v[30:31], v[38:39], s[60:61]
	v_add_f64 v[28:29], v[32:33], -v[28:29]
	s_delay_alu instid0(VALU_DEP_2) | instskip(NEXT) | instid1(VALU_DEP_4)
	v_fma_f64 v[32:33], v[30:31], v[38:39], s[62:63]
	v_fma_f64 v[38:39], v[42:43], s[38:39], v[40:41]
	s_delay_alu instid0(VALU_DEP_3) | instskip(NEXT) | instid1(VALU_DEP_3)
	v_add_f64 v[10:11], v[10:11], v[28:29]
	v_fma_f64 v[28:29], v[30:31], v[32:33], s[64:65]
	s_delay_alu instid0(VALU_DEP_3) | instskip(NEXT) | instid1(VALU_DEP_3)
	v_add_f64 v[32:33], v[46:47], v[38:39]
	v_add_f64 v[40:41], v[44:45], v[10:11]
	s_delay_alu instid0(VALU_DEP_3) | instskip(NEXT) | instid1(VALU_DEP_3)
	v_fma_f64 v[28:29], v[30:31], v[28:29], s[66:67]
	v_add_f64 v[46:47], v[32:33], -v[46:47]
	s_delay_alu instid0(VALU_DEP_3) | instskip(SKIP_1) | instid1(VALU_DEP_4)
	v_add_f64 v[42:43], v[32:33], v[40:41]
	v_add_f64 v[44:45], v[40:41], -v[44:45]
	v_fma_f64 v[28:29], v[30:31], v[28:29], s[68:69]
	s_delay_alu instid0(VALU_DEP_4) | instskip(NEXT) | instid1(VALU_DEP_4)
	v_add_f64 v[38:39], v[38:39], -v[46:47]
	v_add_f64 v[48:49], v[42:43], -v[32:33]
	s_delay_alu instid0(VALU_DEP_4) | instskip(NEXT) | instid1(VALU_DEP_4)
	v_add_f64 v[10:11], v[10:11], -v[44:45]
	v_fma_f64 v[28:29], v[30:31], v[28:29], s[70:71]
	s_delay_alu instid0(VALU_DEP_3) | instskip(SKIP_1) | instid1(VALU_DEP_4)
	v_add_f64 v[50:51], v[42:43], -v[48:49]
	v_add_f64 v[40:41], v[40:41], -v[48:49]
	v_add_f64 v[44:45], v[38:39], v[10:11]
	s_delay_alu instid0(VALU_DEP_4) | instskip(NEXT) | instid1(VALU_DEP_4)
	v_fma_f64 v[28:29], v[30:31], v[28:29], s[72:73]
	v_add_f64 v[32:33], v[32:33], -v[50:51]
	s_delay_alu instid0(VALU_DEP_2) | instskip(NEXT) | instid1(VALU_DEP_2)
	v_fma_f64 v[28:29], v[30:31], v[28:29], s[74:75]
	v_add_f64 v[32:33], v[40:41], v[32:33]
	v_add_f64 v[40:41], v[44:45], -v[38:39]
	s_delay_alu instid0(VALU_DEP_3) | instskip(NEXT) | instid1(VALU_DEP_3)
	v_fma_f64 v[28:29], v[30:31], v[28:29], s[76:77]
	v_add_f64 v[32:33], v[44:45], v[32:33]
	s_delay_alu instid0(VALU_DEP_3) | instskip(SKIP_1) | instid1(VALU_DEP_4)
	v_add_f64 v[44:45], v[44:45], -v[40:41]
	v_add_f64 v[10:11], v[10:11], -v[40:41]
	v_fma_f64 v[28:29], v[30:31], v[28:29], s[78:79]
	s_delay_alu instid0(VALU_DEP_4) | instskip(NEXT) | instid1(VALU_DEP_2)
	v_add_f64 v[46:47], v[42:43], v[32:33]
	v_mul_f64 v[28:29], v[30:31], v[28:29]
	v_add_f64 v[30:31], v[38:39], -v[44:45]
	s_delay_alu instid0(VALU_DEP_3) | instskip(NEXT) | instid1(VALU_DEP_3)
	v_add_f64 v[38:39], v[46:47], -v[42:43]
	v_fma_f64 v[26:27], v[26:27], v[28:29], v[26:27]
	s_delay_alu instid0(VALU_DEP_3) | instskip(NEXT) | instid1(VALU_DEP_3)
	v_add_f64 v[10:11], v[10:11], v[30:31]
	v_add_f64 v[28:29], v[32:33], -v[38:39]
	s_delay_alu instid0(VALU_DEP_3) | instskip(NEXT) | instid1(VALU_DEP_2)
	v_add_f64 v[30:31], -v[26:27], s[80:81]
	v_add_f64 v[10:11], v[10:11], v[28:29]
	s_delay_alu instid0(VALU_DEP_2) | instskip(NEXT) | instid1(VALU_DEP_3)
	v_cndmask_b32_e64 v27, v27, v31, s0
	v_cndmask_b32_e64 v26, v26, v30, s0
	s_delay_alu instid0(VALU_DEP_1) | instskip(NEXT) | instid1(VALU_DEP_4)
	v_add_f64 v[28:29], -v[26:27], s[10:11]
	v_add_f64 v[10:11], v[46:47], v[10:11]
	v_and_b32_e32 v30, 0x54442d18, v8
	v_and_b32_e32 v8, 0x400921fb, v8
	s_delay_alu instid0(VALU_DEP_4) | instskip(SKIP_4) | instid1(VALU_DEP_2)
	v_cndmask_b32_e64 v26, v26, v28, s1
	v_cndmask_b32_e64 v15, v27, v29, s1
	v_cmp_nge_f64_e64 s1, -1.0, v[6:7]
	v_dual_cndmask_b32 v11, v11, v7 :: v_dual_cndmask_b32 v10, v10, v6
	v_cmp_eq_f64_e32 vcc_lo, 0, v[16:17]
	v_mul_f64 v[10:11], v[10:11], 0.5
	v_cndmask_b32_e32 v28, v26, v30, vcc_lo
	v_cndmask_b32_e32 v8, v15, v8, vcc_lo
	v_cmp_ngt_f64_e32 vcc_lo, -1.0, v[6:7]
	s_delay_alu instid0(VALU_DEP_4)
	v_cndmask_b32_e64 v26, 0, v10, s1
	v_cmp_neq_f64_e64 s1, -1.0, v[6:7]
	v_cndmask_b32_e32 v11, 0x7ff80000, v11, vcc_lo
	s_and_b32 vcc_lo, s3, s2
	v_cndmask_b32_e32 v29, v8, v14, vcc_lo
	v_cndmask_b32_e32 v28, v28, v12, vcc_lo
	s_delay_alu instid0(VALU_DEP_3)
	v_cndmask_b32_e64 v27, 0xfff00000, v11, s1
.LBB174_243:                            ;   in Loop: Header=BB174_162 Depth=1
	s_or_b32 exec_lo, exec_lo, s97
.LBB174_244:                            ;   in Loop: Header=BB174_162 Depth=1
	s_delay_alu instid0(SALU_CYCLE_1)
	s_or_b32 exec_lo, exec_lo, s96
.LBB174_245:                            ;   in Loop: Header=BB174_162 Depth=1
	s_and_not1_saveexec_b32 s3, s95
	s_cbranch_execz .LBB174_247
; %bb.246:                              ;   in Loop: Header=BB174_162 Depth=1
	v_max_f64 v[6:7], |v[16:17]|, |v[16:17]|
	v_max_f64 v[10:11], |v[14:15]|, |v[14:15]|
	v_cmp_class_f64_e64 s4, v[14:15], 0x204
	v_cmp_class_f64_e64 s5, v[16:17], 0x204
	s_mov_b32 s89, s21
	s_mov_b32 s10, s80
	v_cmp_eq_f64_e64 s2, 0, v[16:17]
	s_delay_alu instid0(VALU_DEP_4) | instskip(SKIP_1) | instid1(VALU_DEP_4)
	v_max_f64 v[26:27], v[10:11], v[6:7]
	v_min_f64 v[6:7], v[10:11], v[6:7]
	s_or_b32 s6, s4, s5
	s_delay_alu instid0(VALU_DEP_2) | instskip(NEXT) | instid1(VALU_DEP_1)
	v_frexp_exp_i32_f64_e32 v8, v[26:27]
	v_sub_nc_u32_e32 v12, 0, v8
	s_delay_alu instid0(VALU_DEP_1) | instskip(SKIP_1) | instid1(VALU_DEP_2)
	v_ldexp_f64 v[28:29], |v[16:17]|, v12
	v_ldexp_f64 v[30:31], |v[14:15]|, v12
	v_mul_f64 v[28:29], v[28:29], v[28:29]
	s_delay_alu instid0(VALU_DEP_1) | instskip(NEXT) | instid1(VALU_DEP_1)
	v_fma_f64 v[28:29], v[30:31], v[30:31], v[28:29]
	v_rsq_f64_e32 v[30:31], v[28:29]
	v_cmp_eq_f64_e32 vcc_lo, 0, v[28:29]
	s_waitcnt_depctr 0xfff
	v_mul_f64 v[32:33], v[28:29], v[30:31]
	v_mul_f64 v[30:31], v[30:31], 0.5
	s_delay_alu instid0(VALU_DEP_1) | instskip(NEXT) | instid1(VALU_DEP_1)
	v_fma_f64 v[38:39], -v[30:31], v[32:33], 0.5
	v_fma_f64 v[32:33], v[32:33], v[38:39], v[32:33]
	v_fma_f64 v[30:31], v[30:31], v[38:39], v[30:31]
	s_delay_alu instid0(VALU_DEP_2) | instskip(NEXT) | instid1(VALU_DEP_1)
	v_fma_f64 v[38:39], -v[32:33], v[32:33], v[28:29]
	v_fma_f64 v[30:31], v[38:39], v[30:31], v[32:33]
	s_delay_alu instid0(VALU_DEP_1) | instskip(SKIP_1) | instid1(VALU_DEP_2)
	v_dual_cndmask_b32 v29, v31, v29 :: v_dual_cndmask_b32 v28, v30, v28
	v_div_scale_f64 v[56:57], vcc_lo, v[6:7], v[26:27], v[6:7]
	v_ldexp_f64 v[28:29], v[28:29], v8
	s_delay_alu instid0(VALU_DEP_1) | instskip(NEXT) | instid1(VALU_DEP_2)
	v_cndmask_b32_e64 v31, v29, 0x7ff00000, s6
	v_cndmask_b32_e64 v30, v28, 0, s6
	s_delay_alu instid0(VALU_DEP_1) | instskip(SKIP_1) | instid1(VALU_DEP_2)
	v_frexp_mant_f64_e32 v[32:33], v[30:31]
	v_frexp_exp_i32_f64_e32 v8, v[30:31]
	v_cmp_gt_f64_e64 s1, s[20:21], v[32:33]
	s_delay_alu instid0(VALU_DEP_1) | instskip(NEXT) | instid1(VALU_DEP_1)
	v_cndmask_b32_e64 v35, 0x3ff00000, 2.0, s1
	v_mul_f64 v[32:33], v[32:33], v[34:35]
	s_delay_alu instid0(VALU_DEP_1) | instskip(SKIP_1) | instid1(VALU_DEP_2)
	v_add_f64 v[38:39], v[32:33], 1.0
	v_add_f64 v[44:45], v[32:33], -1.0
	v_rcp_f64_e32 v[40:41], v[38:39]
	v_add_f64 v[46:47], v[38:39], -1.0
	s_delay_alu instid0(VALU_DEP_1) | instskip(SKIP_2) | instid1(VALU_DEP_1)
	v_add_f64 v[32:33], v[32:33], -v[46:47]
	s_waitcnt_depctr 0xfff
	v_fma_f64 v[42:43], -v[38:39], v[40:41], 1.0
	v_fma_f64 v[40:41], v[42:43], v[40:41], v[40:41]
	s_delay_alu instid0(VALU_DEP_1) | instskip(NEXT) | instid1(VALU_DEP_1)
	v_fma_f64 v[42:43], -v[38:39], v[40:41], 1.0
	v_fma_f64 v[40:41], v[42:43], v[40:41], v[40:41]
	v_div_scale_f64 v[42:43], null, v[26:27], v[26:27], v[6:7]
	s_delay_alu instid0(VALU_DEP_2) | instskip(NEXT) | instid1(VALU_DEP_2)
	v_mul_f64 v[10:11], v[44:45], v[40:41]
	v_rcp_f64_e32 v[50:51], v[42:43]
	s_delay_alu instid0(VALU_DEP_1) | instskip(SKIP_3) | instid1(VALU_DEP_1)
	v_mul_f64 v[48:49], v[38:39], v[10:11]
	s_waitcnt_depctr 0xfff
	v_fma_f64 v[46:47], -v[42:43], v[50:51], 1.0
	v_fma_f64 v[38:39], v[10:11], v[38:39], -v[48:49]
	v_fma_f64 v[32:33], v[10:11], v[32:33], v[38:39]
	s_delay_alu instid0(VALU_DEP_3) | instskip(NEXT) | instid1(VALU_DEP_2)
	v_fma_f64 v[38:39], v[50:51], v[46:47], v[50:51]
	v_add_f64 v[46:47], v[48:49], v[32:33]
	s_delay_alu instid0(VALU_DEP_2) | instskip(NEXT) | instid1(VALU_DEP_2)
	v_fma_f64 v[50:51], -v[42:43], v[38:39], 1.0
	v_add_f64 v[52:53], v[44:45], -v[46:47]
	s_delay_alu instid0(VALU_DEP_2) | instskip(SKIP_1) | instid1(VALU_DEP_3)
	v_fma_f64 v[38:39], v[38:39], v[50:51], v[38:39]
	v_add_f64 v[48:49], v[46:47], -v[48:49]
	v_add_f64 v[44:45], v[44:45], -v[52:53]
	s_delay_alu instid0(VALU_DEP_3) | instskip(NEXT) | instid1(VALU_DEP_3)
	v_mul_f64 v[50:51], v[56:57], v[38:39]
	v_add_f64 v[32:33], v[48:49], -v[32:33]
	s_delay_alu instid0(VALU_DEP_3) | instskip(NEXT) | instid1(VALU_DEP_3)
	v_add_f64 v[44:45], v[44:45], -v[46:47]
	v_fma_f64 v[42:43], -v[42:43], v[50:51], v[56:57]
	s_delay_alu instid0(VALU_DEP_2) | instskip(NEXT) | instid1(VALU_DEP_2)
	v_add_f64 v[32:33], v[32:33], v[44:45]
	v_div_fmas_f64 v[38:39], v[42:43], v[38:39], v[50:51]
	v_subrev_co_ci_u32_e64 v8, vcc_lo, 0, v8, s1
	v_cmp_class_f64_e64 s1, v[28:29], 0x204
	v_cmp_gt_i32_e32 vcc_lo, 0, v15
	v_cndmask_b32_e32 v12, 0x54442d18, v54, vcc_lo
	v_add_f64 v[32:33], v[52:53], v[32:33]
	v_div_fixup_f64 v[6:7], v[38:39], v[26:27], v[6:7]
	s_delay_alu instid0(VALU_DEP_2) | instskip(NEXT) | instid1(VALU_DEP_2)
	v_mul_f64 v[26:27], v[40:41], v[32:33]
	v_mul_f64 v[32:33], v[6:7], v[6:7]
	s_delay_alu instid0(VALU_DEP_2) | instskip(NEXT) | instid1(VALU_DEP_2)
	v_add_f64 v[38:39], v[10:11], v[26:27]
	v_fma_f64 v[40:41], v[32:33], s[42:43], s[40:41]
	s_delay_alu instid0(VALU_DEP_2) | instskip(NEXT) | instid1(VALU_DEP_2)
	v_mul_f64 v[42:43], v[38:39], v[38:39]
	v_fma_f64 v[40:41], v[32:33], v[40:41], s[44:45]
	v_add_f64 v[10:11], v[38:39], -v[10:11]
	s_delay_alu instid0(VALU_DEP_3) | instskip(NEXT) | instid1(VALU_DEP_3)
	v_fma_f64 v[44:45], v[42:43], s[24:25], s[22:23]
	v_fma_f64 v[40:41], v[32:33], v[40:41], s[46:47]
	v_mul_f64 v[46:47], v[38:39], v[42:43]
	s_delay_alu instid0(VALU_DEP_4) | instskip(NEXT) | instid1(VALU_DEP_4)
	v_add_f64 v[10:11], v[26:27], -v[10:11]
	v_fma_f64 v[44:45], v[42:43], v[44:45], s[26:27]
	s_delay_alu instid0(VALU_DEP_4) | instskip(NEXT) | instid1(VALU_DEP_3)
	v_fma_f64 v[40:41], v[32:33], v[40:41], s[48:49]
	v_ldexp_f64 v[10:11], v[10:11], 1
	s_delay_alu instid0(VALU_DEP_3) | instskip(NEXT) | instid1(VALU_DEP_3)
	v_fma_f64 v[44:45], v[42:43], v[44:45], s[28:29]
	v_fma_f64 v[40:41], v[32:33], v[40:41], s[50:51]
	s_delay_alu instid0(VALU_DEP_2) | instskip(NEXT) | instid1(VALU_DEP_2)
	v_fma_f64 v[44:45], v[42:43], v[44:45], s[30:31]
	v_fma_f64 v[40:41], v[32:33], v[40:41], s[52:53]
	s_delay_alu instid0(VALU_DEP_2) | instskip(NEXT) | instid1(VALU_DEP_2)
	;; [unrolled: 3-line block ×3, first 2 shown]
	v_fma_f64 v[42:43], v[42:43], v[44:45], s[88:89]
	v_fma_f64 v[40:41], v[32:33], v[40:41], s[56:57]
	v_ldexp_f64 v[44:45], v[38:39], 1
	s_delay_alu instid0(VALU_DEP_3) | instskip(NEXT) | instid1(VALU_DEP_3)
	v_mul_f64 v[42:43], v[46:47], v[42:43]
	v_fma_f64 v[40:41], v[32:33], v[40:41], s[58:59]
	v_cvt_f64_i32_e32 v[46:47], v8
	v_ashrrev_i32_e32 v8, 31, v15
	v_cndmask_b32_e32 v15, 0x3fe921fb, v55, vcc_lo
	s_delay_alu instid0(VALU_DEP_1) | instskip(SKIP_3) | instid1(VALU_DEP_3)
	v_bfi_b32 v15, 0x7fffffff, v15, v17
	v_add_f64 v[38:39], v[44:45], v[42:43]
	v_fma_f64 v[40:41], v[32:33], v[40:41], s[60:61]
	v_mul_f64 v[48:49], v[46:47], s[36:37]
	v_add_f64 v[26:27], v[38:39], -v[44:45]
	s_delay_alu instid0(VALU_DEP_3) | instskip(NEXT) | instid1(VALU_DEP_3)
	v_fma_f64 v[40:41], v[32:33], v[40:41], s[62:63]
	v_fma_f64 v[44:45], v[46:47], s[36:37], -v[48:49]
	s_delay_alu instid0(VALU_DEP_3) | instskip(NEXT) | instid1(VALU_DEP_3)
	v_add_f64 v[26:27], v[42:43], -v[26:27]
	v_fma_f64 v[40:41], v[32:33], v[40:41], s[64:65]
	s_delay_alu instid0(VALU_DEP_3) | instskip(NEXT) | instid1(VALU_DEP_3)
	v_fma_f64 v[42:43], v[46:47], s[38:39], v[44:45]
	v_add_f64 v[10:11], v[10:11], v[26:27]
	s_delay_alu instid0(VALU_DEP_3) | instskip(NEXT) | instid1(VALU_DEP_3)
	v_fma_f64 v[26:27], v[32:33], v[40:41], s[66:67]
	v_add_f64 v[40:41], v[48:49], v[42:43]
	s_delay_alu instid0(VALU_DEP_3) | instskip(NEXT) | instid1(VALU_DEP_3)
	v_add_f64 v[44:45], v[38:39], v[10:11]
	v_fma_f64 v[26:27], v[32:33], v[26:27], s[68:69]
	s_delay_alu instid0(VALU_DEP_3) | instskip(NEXT) | instid1(VALU_DEP_3)
	v_add_f64 v[48:49], v[40:41], -v[48:49]
	v_add_f64 v[46:47], v[40:41], v[44:45]
	s_delay_alu instid0(VALU_DEP_3) | instskip(SKIP_1) | instid1(VALU_DEP_4)
	v_fma_f64 v[26:27], v[32:33], v[26:27], s[70:71]
	v_add_f64 v[38:39], v[44:45], -v[38:39]
	v_add_f64 v[42:43], v[42:43], -v[48:49]
	s_delay_alu instid0(VALU_DEP_4) | instskip(NEXT) | instid1(VALU_DEP_4)
	v_add_f64 v[50:51], v[46:47], -v[40:41]
	v_fma_f64 v[26:27], v[32:33], v[26:27], s[72:73]
	s_delay_alu instid0(VALU_DEP_4) | instskip(NEXT) | instid1(VALU_DEP_3)
	v_add_f64 v[10:11], v[10:11], -v[38:39]
	v_add_f64 v[52:53], v[46:47], -v[50:51]
	s_delay_alu instid0(VALU_DEP_3) | instskip(SKIP_1) | instid1(VALU_DEP_4)
	v_fma_f64 v[26:27], v[32:33], v[26:27], s[74:75]
	v_add_f64 v[38:39], v[44:45], -v[50:51]
	v_add_f64 v[44:45], v[42:43], v[10:11]
	s_delay_alu instid0(VALU_DEP_4) | instskip(NEXT) | instid1(VALU_DEP_4)
	v_add_f64 v[40:41], v[40:41], -v[52:53]
	v_fma_f64 v[26:27], v[32:33], v[26:27], s[76:77]
	s_delay_alu instid0(VALU_DEP_2) | instskip(NEXT) | instid1(VALU_DEP_2)
	v_add_f64 v[38:39], v[38:39], v[40:41]
	v_fma_f64 v[26:27], v[32:33], v[26:27], s[78:79]
	v_add_f64 v[40:41], v[44:45], -v[42:43]
	s_delay_alu instid0(VALU_DEP_3) | instskip(NEXT) | instid1(VALU_DEP_3)
	v_add_f64 v[38:39], v[44:45], v[38:39]
	v_mul_f64 v[26:27], v[32:33], v[26:27]
	s_delay_alu instid0(VALU_DEP_3) | instskip(SKIP_1) | instid1(VALU_DEP_4)
	v_add_f64 v[32:33], v[44:45], -v[40:41]
	v_add_f64 v[10:11], v[10:11], -v[40:41]
	v_add_f64 v[44:45], v[46:47], v[38:39]
	s_delay_alu instid0(VALU_DEP_4) | instskip(NEXT) | instid1(VALU_DEP_4)
	v_fma_f64 v[6:7], v[6:7], v[26:27], v[6:7]
	v_add_f64 v[26:27], v[42:43], -v[32:33]
	s_delay_alu instid0(VALU_DEP_3) | instskip(NEXT) | instid1(VALU_DEP_3)
	v_add_f64 v[32:33], v[44:45], -v[46:47]
	v_add_f64 v[40:41], -v[6:7], s[80:81]
	s_delay_alu instid0(VALU_DEP_3) | instskip(NEXT) | instid1(VALU_DEP_3)
	v_add_f64 v[10:11], v[10:11], v[26:27]
	v_add_f64 v[26:27], v[38:39], -v[32:33]
	s_delay_alu instid0(VALU_DEP_3) | instskip(NEXT) | instid1(VALU_DEP_4)
	v_cndmask_b32_e64 v7, v7, v41, s0
	v_cndmask_b32_e64 v6, v6, v40, s0
	s_delay_alu instid0(VALU_DEP_3) | instskip(NEXT) | instid1(VALU_DEP_2)
	v_add_f64 v[10:11], v[10:11], v[26:27]
	v_add_f64 v[26:27], -v[6:7], s[10:11]
	v_and_b32_e32 v14, 0x54442d18, v8
	v_and_b32_e32 v8, 0x400921fb, v8
	s_delay_alu instid0(VALU_DEP_4) | instskip(NEXT) | instid1(VALU_DEP_4)
	v_add_f64 v[10:11], v[44:45], v[10:11]
	v_cndmask_b32_e32 v7, v7, v27, vcc_lo
	s_delay_alu instid0(VALU_DEP_1)
	v_cndmask_b32_e64 v7, v7, v8, s2
	v_cndmask_b32_e32 v6, v6, v26, vcc_lo
	v_cmp_ngt_f64_e32 vcc_lo, 0, v[30:31]
	v_cndmask_b32_e64 v11, v11, v29, s1
	v_cndmask_b32_e64 v10, v10, v28, s1
	v_cmp_nge_f64_e64 s1, 0, v[30:31]
	s_delay_alu instid0(VALU_DEP_3) | instskip(NEXT) | instid1(VALU_DEP_3)
	v_cndmask_b32_e64 v11, v11, 0x7ff00000, s6
	v_cndmask_b32_e64 v8, v10, 0, s6
	s_delay_alu instid0(VALU_DEP_2) | instskip(SKIP_3) | instid1(VALU_DEP_1)
	v_cndmask_b32_e32 v10, 0x7ff80000, v11, vcc_lo
	s_and_b32 vcc_lo, s4, s5
	v_cndmask_b32_e32 v29, v7, v15, vcc_lo
	v_cndmask_b32_e64 v6, v6, v14, s2
	v_cndmask_b32_e32 v28, v6, v12, vcc_lo
	v_cndmask_b32_e64 v26, 0, v8, s1
	v_cmp_neq_f64_e64 s1, 0, v[30:31]
	s_delay_alu instid0(VALU_DEP_1)
	v_cndmask_b32_e64 v27, 0xfff00000, v10, s1
.LBB174_247:                            ;   in Loop: Header=BB174_162 Depth=1
	s_or_b32 exec_lo, exec_lo, s3
                                        ; implicit-def: $vgpr10_vgpr11
.LBB174_248:                            ;   in Loop: Header=BB174_162 Depth=1
	s_and_not1_saveexec_b32 s3, s94
	s_cbranch_execz .LBB174_254
; %bb.249:                              ;   in Loop: Header=BB174_162 Depth=1
                                        ; implicit-def: $vgpr26_vgpr27
	s_mov_b32 s1, exec_lo
	v_cmpx_ngt_f64_e32 s[84:85], v[10:11]
	s_xor_b32 s4, exec_lo, s1
	s_cbranch_execz .LBB174_251
; %bb.250:                              ;   in Loop: Header=BB174_162 Depth=1
	v_mul_f64 v[6:7], v[10:11], v[10:11]
	s_mov_b32 s89, s21
	s_mov_b32 s10, s80
	v_cmp_eq_f64_e64 s2, 0, v[16:17]
	v_cmp_gt_i32_e64 s1, 0, v15
	v_cmp_class_f64_e64 s5, v[16:17], 0x204
	v_cmp_class_f64_e64 s6, v[14:15], 0x204
	v_add_f64 v[10:11], v[6:7], 1.0
	s_delay_alu instid0(VALU_DEP_1) | instskip(SKIP_2) | instid1(VALU_DEP_3)
	v_frexp_mant_f64_e32 v[26:27], v[10:11]
	v_frexp_exp_i32_f64_e32 v8, v[10:11]
	v_add_f64 v[28:29], v[10:11], -1.0
	v_cmp_gt_f64_e32 vcc_lo, s[20:21], v[26:27]
	s_delay_alu instid0(VALU_DEP_2) | instskip(SKIP_2) | instid1(VALU_DEP_3)
	v_add_f64 v[26:27], v[28:29], -v[10:11]
	v_add_f64 v[28:29], v[6:7], -v[28:29]
	v_subrev_co_ci_u32_e32 v8, vcc_lo, 0, v8, vcc_lo
	v_add_f64 v[26:27], v[26:27], 1.0
	s_delay_alu instid0(VALU_DEP_2) | instskip(NEXT) | instid1(VALU_DEP_1)
	v_sub_nc_u32_e32 v12, 0, v8
	v_ldexp_f64 v[10:11], v[10:11], v12
	s_delay_alu instid0(VALU_DEP_3) | instskip(NEXT) | instid1(VALU_DEP_2)
	v_add_f64 v[26:27], v[28:29], v[26:27]
	v_add_f64 v[30:31], v[10:11], 1.0
	v_add_f64 v[40:41], v[10:11], -1.0
	s_delay_alu instid0(VALU_DEP_3) | instskip(SKIP_1) | instid1(VALU_DEP_4)
	v_ldexp_f64 v[26:27], v[26:27], v12
	v_cndmask_b32_e64 v12, 0x54442d18, v54, s1
	v_add_f64 v[28:29], v[30:31], -1.0
	s_delay_alu instid0(VALU_DEP_4) | instskip(NEXT) | instid1(VALU_DEP_2)
	v_add_f64 v[42:43], v[40:41], 1.0
	v_add_f64 v[28:29], v[10:11], -v[28:29]
	s_delay_alu instid0(VALU_DEP_2) | instskip(NEXT) | instid1(VALU_DEP_2)
	v_add_f64 v[10:11], v[10:11], -v[42:43]
	v_add_f64 v[28:29], v[26:27], v[28:29]
	s_delay_alu instid0(VALU_DEP_2) | instskip(NEXT) | instid1(VALU_DEP_2)
	v_add_f64 v[10:11], v[26:27], v[10:11]
	v_add_f64 v[32:33], v[30:31], v[28:29]
	s_delay_alu instid0(VALU_DEP_2) | instskip(NEXT) | instid1(VALU_DEP_2)
	v_add_f64 v[42:43], v[40:41], v[10:11]
	v_rcp_f64_e32 v[38:39], v[32:33]
	v_add_f64 v[30:31], v[30:31], -v[32:33]
	s_delay_alu instid0(VALU_DEP_2) | instskip(NEXT) | instid1(VALU_DEP_2)
	v_add_f64 v[40:41], v[40:41], -v[42:43]
	v_add_f64 v[28:29], v[28:29], v[30:31]
	s_waitcnt_depctr 0xfff
	v_fma_f64 v[44:45], -v[32:33], v[38:39], 1.0
	v_add_f64 v[10:11], v[10:11], v[40:41]
	s_delay_alu instid0(VALU_DEP_2) | instskip(NEXT) | instid1(VALU_DEP_1)
	v_fma_f64 v[38:39], v[44:45], v[38:39], v[38:39]
	v_fma_f64 v[26:27], -v[32:33], v[38:39], 1.0
	s_delay_alu instid0(VALU_DEP_1) | instskip(NEXT) | instid1(VALU_DEP_1)
	v_fma_f64 v[26:27], v[26:27], v[38:39], v[38:39]
	v_mul_f64 v[38:39], v[42:43], v[26:27]
	s_delay_alu instid0(VALU_DEP_1) | instskip(NEXT) | instid1(VALU_DEP_1)
	v_mul_f64 v[44:45], v[32:33], v[38:39]
	v_fma_f64 v[30:31], v[38:39], v[32:33], -v[44:45]
	s_delay_alu instid0(VALU_DEP_1) | instskip(NEXT) | instid1(VALU_DEP_1)
	v_fma_f64 v[30:31], v[38:39], v[28:29], v[30:31]
	v_add_f64 v[46:47], v[44:45], v[30:31]
	s_delay_alu instid0(VALU_DEP_1) | instskip(SKIP_2) | instid1(VALU_DEP_3)
	v_add_f64 v[48:49], v[42:43], -v[46:47]
	v_add_f64 v[40:41], v[46:47], -v[44:45]
	v_max_f64 v[44:45], |v[16:17]|, |v[16:17]|
	v_add_f64 v[42:43], v[42:43], -v[48:49]
	s_delay_alu instid0(VALU_DEP_3) | instskip(NEXT) | instid1(VALU_DEP_2)
	v_add_f64 v[30:31], v[40:41], -v[30:31]
	v_add_f64 v[42:43], v[42:43], -v[46:47]
	v_max_f64 v[46:47], |v[14:15]|, |v[14:15]|
	s_delay_alu instid0(VALU_DEP_2) | instskip(NEXT) | instid1(VALU_DEP_2)
	v_add_f64 v[10:11], v[10:11], v[42:43]
	v_max_f64 v[50:51], v[46:47], v[44:45]
	v_min_f64 v[44:45], v[46:47], v[44:45]
	s_delay_alu instid0(VALU_DEP_3) | instskip(NEXT) | instid1(VALU_DEP_1)
	v_add_f64 v[10:11], v[30:31], v[10:11]
	v_add_f64 v[30:31], v[48:49], v[10:11]
	s_delay_alu instid0(VALU_DEP_1) | instskip(SKIP_1) | instid1(VALU_DEP_2)
	v_mul_f64 v[40:41], v[26:27], v[30:31]
	v_add_f64 v[48:49], v[48:49], -v[30:31]
	v_mul_f64 v[42:43], v[32:33], v[40:41]
	s_delay_alu instid0(VALU_DEP_2) | instskip(NEXT) | instid1(VALU_DEP_2)
	v_add_f64 v[10:11], v[10:11], v[48:49]
	v_fma_f64 v[32:33], v[40:41], v[32:33], -v[42:43]
	s_delay_alu instid0(VALU_DEP_1) | instskip(SKIP_1) | instid1(VALU_DEP_2)
	v_fma_f64 v[28:29], v[40:41], v[28:29], v[32:33]
	v_div_scale_f64 v[32:33], null, v[50:51], v[50:51], v[44:45]
	v_add_f64 v[46:47], v[42:43], v[28:29]
	s_delay_alu instid0(VALU_DEP_2) | instskip(NEXT) | instid1(VALU_DEP_1)
	v_rcp_f64_e32 v[52:53], v[32:33]
	v_add_f64 v[56:57], v[30:31], -v[46:47]
	v_add_f64 v[42:43], v[46:47], -v[42:43]
	s_waitcnt_depctr 0xfff
	v_fma_f64 v[58:59], -v[32:33], v[52:53], 1.0
	v_add_f64 v[30:31], v[30:31], -v[56:57]
	v_add_f64 v[28:29], v[42:43], -v[28:29]
	s_delay_alu instid0(VALU_DEP_3) | instskip(NEXT) | instid1(VALU_DEP_3)
	v_fma_f64 v[52:53], v[52:53], v[58:59], v[52:53]
	v_add_f64 v[30:31], v[30:31], -v[46:47]
	s_delay_alu instid0(VALU_DEP_2) | instskip(NEXT) | instid1(VALU_DEP_2)
	v_fma_f64 v[46:47], -v[32:33], v[52:53], 1.0
	v_add_f64 v[10:11], v[10:11], v[30:31]
	v_div_scale_f64 v[30:31], vcc_lo, v[44:45], v[50:51], v[44:45]
	s_delay_alu instid0(VALU_DEP_3) | instskip(SKIP_1) | instid1(VALU_DEP_4)
	v_fma_f64 v[42:43], v[52:53], v[46:47], v[52:53]
	v_add_f64 v[46:47], v[38:39], v[40:41]
	v_add_f64 v[10:11], v[28:29], v[10:11]
	s_delay_alu instid0(VALU_DEP_3) | instskip(NEXT) | instid1(VALU_DEP_3)
	v_mul_f64 v[28:29], v[30:31], v[42:43]
	v_add_f64 v[38:39], v[46:47], -v[38:39]
	s_delay_alu instid0(VALU_DEP_3) | instskip(NEXT) | instid1(VALU_DEP_3)
	v_add_f64 v[10:11], v[56:57], v[10:11]
	v_fma_f64 v[30:31], -v[32:33], v[28:29], v[30:31]
	s_delay_alu instid0(VALU_DEP_3) | instskip(NEXT) | instid1(VALU_DEP_3)
	v_add_f64 v[32:33], v[40:41], -v[38:39]
	v_mul_f64 v[10:11], v[26:27], v[10:11]
	s_delay_alu instid0(VALU_DEP_3) | instskip(SKIP_1) | instid1(VALU_DEP_3)
	v_div_fmas_f64 v[26:27], v[30:31], v[42:43], v[28:29]
	v_cmp_eq_f64_e32 vcc_lo, 0x7ff00000, v[6:7]
	v_add_f64 v[10:11], v[32:33], v[10:11]
	s_delay_alu instid0(VALU_DEP_3) | instskip(NEXT) | instid1(VALU_DEP_2)
	v_div_fixup_f64 v[26:27], v[26:27], v[50:51], v[44:45]
	v_add_f64 v[28:29], v[46:47], v[10:11]
	s_delay_alu instid0(VALU_DEP_2) | instskip(NEXT) | instid1(VALU_DEP_2)
	v_mul_f64 v[30:31], v[26:27], v[26:27]
	v_mul_f64 v[32:33], v[28:29], v[28:29]
	s_delay_alu instid0(VALU_DEP_2) | instskip(NEXT) | instid1(VALU_DEP_2)
	v_fma_f64 v[38:39], v[30:31], s[42:43], s[40:41]
	v_fma_f64 v[40:41], v[32:33], s[24:25], s[22:23]
	v_mul_f64 v[42:43], v[28:29], v[32:33]
	s_delay_alu instid0(VALU_DEP_3) | instskip(NEXT) | instid1(VALU_DEP_3)
	v_fma_f64 v[38:39], v[30:31], v[38:39], s[44:45]
	v_fma_f64 v[40:41], v[32:33], v[40:41], s[26:27]
	s_delay_alu instid0(VALU_DEP_2) | instskip(NEXT) | instid1(VALU_DEP_2)
	v_fma_f64 v[38:39], v[30:31], v[38:39], s[46:47]
	v_fma_f64 v[40:41], v[32:33], v[40:41], s[28:29]
	s_delay_alu instid0(VALU_DEP_2) | instskip(NEXT) | instid1(VALU_DEP_2)
	v_fma_f64 v[38:39], v[30:31], v[38:39], s[48:49]
	v_fma_f64 v[40:41], v[32:33], v[40:41], s[30:31]
	s_delay_alu instid0(VALU_DEP_2) | instskip(NEXT) | instid1(VALU_DEP_2)
	v_fma_f64 v[38:39], v[30:31], v[38:39], s[50:51]
	v_fma_f64 v[40:41], v[32:33], v[40:41], s[34:35]
	s_delay_alu instid0(VALU_DEP_2) | instskip(NEXT) | instid1(VALU_DEP_2)
	v_fma_f64 v[38:39], v[30:31], v[38:39], s[52:53]
	v_fma_f64 v[32:33], v[32:33], v[40:41], s[88:89]
	v_ldexp_f64 v[40:41], v[28:29], 1
	v_add_f64 v[28:29], v[28:29], -v[46:47]
	s_delay_alu instid0(VALU_DEP_4) | instskip(NEXT) | instid1(VALU_DEP_4)
	v_fma_f64 v[38:39], v[30:31], v[38:39], s[54:55]
	v_mul_f64 v[32:33], v[42:43], v[32:33]
	v_cvt_f64_i32_e32 v[42:43], v8
	s_delay_alu instid0(VALU_DEP_4) | instskip(NEXT) | instid1(VALU_DEP_4)
	v_add_f64 v[10:11], v[10:11], -v[28:29]
	v_fma_f64 v[38:39], v[30:31], v[38:39], s[56:57]
	v_ashrrev_i32_e32 v8, 31, v15
	v_add_f64 v[44:45], v[40:41], v[32:33]
	v_mul_f64 v[46:47], v[42:43], s[36:37]
	v_ldexp_f64 v[10:11], v[10:11], 1
	v_fma_f64 v[38:39], v[30:31], v[38:39], s[58:59]
	s_delay_alu instid0(VALU_DEP_4) | instskip(NEXT) | instid1(VALU_DEP_4)
	v_add_f64 v[28:29], v[44:45], -v[40:41]
	v_fma_f64 v[40:41], v[42:43], s[36:37], -v[46:47]
	s_delay_alu instid0(VALU_DEP_3) | instskip(NEXT) | instid1(VALU_DEP_3)
	v_fma_f64 v[38:39], v[30:31], v[38:39], s[60:61]
	v_add_f64 v[28:29], v[32:33], -v[28:29]
	s_delay_alu instid0(VALU_DEP_2) | instskip(NEXT) | instid1(VALU_DEP_4)
	v_fma_f64 v[32:33], v[30:31], v[38:39], s[62:63]
	v_fma_f64 v[38:39], v[42:43], s[38:39], v[40:41]
	s_delay_alu instid0(VALU_DEP_3) | instskip(NEXT) | instid1(VALU_DEP_3)
	v_add_f64 v[10:11], v[10:11], v[28:29]
	v_fma_f64 v[28:29], v[30:31], v[32:33], s[64:65]
	s_delay_alu instid0(VALU_DEP_3) | instskip(NEXT) | instid1(VALU_DEP_3)
	v_add_f64 v[32:33], v[46:47], v[38:39]
	v_add_f64 v[40:41], v[44:45], v[10:11]
	s_delay_alu instid0(VALU_DEP_3) | instskip(NEXT) | instid1(VALU_DEP_3)
	v_fma_f64 v[28:29], v[30:31], v[28:29], s[66:67]
	v_add_f64 v[46:47], v[32:33], -v[46:47]
	s_delay_alu instid0(VALU_DEP_3) | instskip(SKIP_1) | instid1(VALU_DEP_4)
	v_add_f64 v[42:43], v[32:33], v[40:41]
	v_add_f64 v[44:45], v[40:41], -v[44:45]
	v_fma_f64 v[28:29], v[30:31], v[28:29], s[68:69]
	s_delay_alu instid0(VALU_DEP_4) | instskip(NEXT) | instid1(VALU_DEP_4)
	v_add_f64 v[38:39], v[38:39], -v[46:47]
	v_add_f64 v[48:49], v[42:43], -v[32:33]
	s_delay_alu instid0(VALU_DEP_4) | instskip(NEXT) | instid1(VALU_DEP_4)
	v_add_f64 v[10:11], v[10:11], -v[44:45]
	v_fma_f64 v[28:29], v[30:31], v[28:29], s[70:71]
	s_delay_alu instid0(VALU_DEP_3) | instskip(SKIP_1) | instid1(VALU_DEP_4)
	v_add_f64 v[50:51], v[42:43], -v[48:49]
	v_add_f64 v[40:41], v[40:41], -v[48:49]
	v_add_f64 v[44:45], v[38:39], v[10:11]
	s_delay_alu instid0(VALU_DEP_4) | instskip(NEXT) | instid1(VALU_DEP_4)
	v_fma_f64 v[28:29], v[30:31], v[28:29], s[72:73]
	v_add_f64 v[32:33], v[32:33], -v[50:51]
	s_delay_alu instid0(VALU_DEP_2) | instskip(NEXT) | instid1(VALU_DEP_2)
	v_fma_f64 v[28:29], v[30:31], v[28:29], s[74:75]
	v_add_f64 v[32:33], v[40:41], v[32:33]
	v_add_f64 v[40:41], v[44:45], -v[38:39]
	s_delay_alu instid0(VALU_DEP_3) | instskip(NEXT) | instid1(VALU_DEP_3)
	v_fma_f64 v[28:29], v[30:31], v[28:29], s[76:77]
	v_add_f64 v[32:33], v[44:45], v[32:33]
	s_delay_alu instid0(VALU_DEP_3) | instskip(SKIP_1) | instid1(VALU_DEP_4)
	v_add_f64 v[44:45], v[44:45], -v[40:41]
	v_add_f64 v[10:11], v[10:11], -v[40:41]
	v_fma_f64 v[28:29], v[30:31], v[28:29], s[78:79]
	s_delay_alu instid0(VALU_DEP_4) | instskip(NEXT) | instid1(VALU_DEP_2)
	v_add_f64 v[46:47], v[42:43], v[32:33]
	v_mul_f64 v[28:29], v[30:31], v[28:29]
	v_add_f64 v[30:31], v[38:39], -v[44:45]
	s_delay_alu instid0(VALU_DEP_3) | instskip(NEXT) | instid1(VALU_DEP_3)
	v_add_f64 v[38:39], v[46:47], -v[42:43]
	v_fma_f64 v[26:27], v[26:27], v[28:29], v[26:27]
	s_delay_alu instid0(VALU_DEP_3) | instskip(NEXT) | instid1(VALU_DEP_3)
	v_add_f64 v[10:11], v[10:11], v[30:31]
	v_add_f64 v[28:29], v[32:33], -v[38:39]
	s_delay_alu instid0(VALU_DEP_3) | instskip(NEXT) | instid1(VALU_DEP_2)
	v_add_f64 v[30:31], -v[26:27], s[80:81]
	v_add_f64 v[10:11], v[10:11], v[28:29]
	s_delay_alu instid0(VALU_DEP_2) | instskip(NEXT) | instid1(VALU_DEP_3)
	v_cndmask_b32_e64 v28, v27, v31, s0
	v_cndmask_b32_e64 v27, v26, v30, s0
	s_delay_alu instid0(VALU_DEP_1) | instskip(NEXT) | instid1(VALU_DEP_4)
	v_add_f64 v[29:30], -v[27:28], s[10:11]
	v_add_f64 v[10:11], v[46:47], v[10:11]
	v_and_b32_e32 v31, 0x54442d18, v8
	s_delay_alu instid0(VALU_DEP_3) | instskip(NEXT) | instid1(VALU_DEP_3)
	v_cndmask_b32_e64 v29, v27, v29, s1
	v_cndmask_b32_e32 v6, v10, v6, vcc_lo
	s_delay_alu instid0(VALU_DEP_2) | instskip(SKIP_2) | instid1(VALU_DEP_1)
	v_cndmask_b32_e64 v10, v29, v31, s2
	v_cndmask_b32_e32 v7, v11, v7, vcc_lo
	s_and_b32 vcc_lo, s6, s5
	v_mul_f64 v[26:27], v[6:7], 0.5
	v_cndmask_b32_e64 v6, 0x3fe921fb, v55, s1
	v_and_b32_e32 v7, 0x400921fb, v8
	v_cndmask_b32_e64 v8, v28, v30, s1
	v_cndmask_b32_e32 v28, v10, v12, vcc_lo
                                        ; implicit-def: $vgpr10_vgpr11
	s_delay_alu instid0(VALU_DEP_4) | instskip(NEXT) | instid1(VALU_DEP_3)
	v_bfi_b32 v6, 0x7fffffff, v6, v17
	v_cndmask_b32_e64 v7, v8, v7, s2
	s_delay_alu instid0(VALU_DEP_1)
	v_cndmask_b32_e32 v29, v7, v6, vcc_lo
.LBB174_251:                            ;   in Loop: Header=BB174_162 Depth=1
	s_and_not1_saveexec_b32 s2, s4
	s_cbranch_execz .LBB174_253
; %bb.252:                              ;   in Loop: Header=BB174_162 Depth=1
	v_max_f64 v[6:7], |v[16:17]|, |v[16:17]|
	v_max_f64 v[26:27], |v[14:15]|, |v[14:15]|
	s_mov_b32 s10, s80
	v_cmp_class_f64_e64 s4, v[16:17], 0x204
	v_cmp_class_f64_e64 s5, v[14:15], 0x204
	v_cmp_eq_f64_e64 s1, 0, v[16:17]
	v_ashrrev_i32_e32 v8, 31, v15
	v_max_f64 v[28:29], v[26:27], v[6:7]
	v_min_f64 v[6:7], v[26:27], v[6:7]
	s_delay_alu instid0(VALU_DEP_1) | instskip(SKIP_1) | instid1(VALU_DEP_2)
	v_div_scale_f64 v[26:27], null, v[28:29], v[28:29], v[6:7]
	v_div_scale_f64 v[38:39], vcc_lo, v[6:7], v[28:29], v[6:7]
	v_rcp_f64_e32 v[30:31], v[26:27]
	s_waitcnt_depctr 0xfff
	v_fma_f64 v[32:33], -v[26:27], v[30:31], 1.0
	s_delay_alu instid0(VALU_DEP_1) | instskip(NEXT) | instid1(VALU_DEP_1)
	v_fma_f64 v[30:31], v[30:31], v[32:33], v[30:31]
	v_fma_f64 v[32:33], -v[26:27], v[30:31], 1.0
	s_delay_alu instid0(VALU_DEP_1) | instskip(NEXT) | instid1(VALU_DEP_1)
	v_fma_f64 v[30:31], v[30:31], v[32:33], v[30:31]
	v_mul_f64 v[32:33], v[38:39], v[30:31]
	s_delay_alu instid0(VALU_DEP_1) | instskip(NEXT) | instid1(VALU_DEP_1)
	v_fma_f64 v[26:27], -v[26:27], v[32:33], v[38:39]
	v_div_fmas_f64 v[26:27], v[26:27], v[30:31], v[32:33]
	v_cmp_gt_i32_e32 vcc_lo, 0, v15
	v_dual_cndmask_b32 v12, 0x54442d18, v54 :: v_dual_and_b32 v31, 0x54442d18, v8
	s_delay_alu instid0(VALU_DEP_3) | instskip(NEXT) | instid1(VALU_DEP_1)
	v_div_fixup_f64 v[6:7], v[26:27], v[28:29], v[6:7]
	v_mul_f64 v[26:27], v[6:7], v[6:7]
	s_delay_alu instid0(VALU_DEP_1) | instskip(NEXT) | instid1(VALU_DEP_1)
	v_fma_f64 v[28:29], v[26:27], s[42:43], s[40:41]
	v_fma_f64 v[28:29], v[26:27], v[28:29], s[44:45]
	s_delay_alu instid0(VALU_DEP_1) | instskip(NEXT) | instid1(VALU_DEP_1)
	v_fma_f64 v[28:29], v[26:27], v[28:29], s[46:47]
	v_fma_f64 v[28:29], v[26:27], v[28:29], s[48:49]
	s_delay_alu instid0(VALU_DEP_1) | instskip(NEXT) | instid1(VALU_DEP_1)
	v_fma_f64 v[28:29], v[26:27], v[28:29], s[50:51]
	v_fma_f64 v[28:29], v[26:27], v[28:29], s[52:53]
	s_delay_alu instid0(VALU_DEP_1) | instskip(NEXT) | instid1(VALU_DEP_1)
	v_fma_f64 v[28:29], v[26:27], v[28:29], s[54:55]
	v_fma_f64 v[28:29], v[26:27], v[28:29], s[56:57]
	s_delay_alu instid0(VALU_DEP_1) | instskip(NEXT) | instid1(VALU_DEP_1)
	v_fma_f64 v[28:29], v[26:27], v[28:29], s[58:59]
	v_fma_f64 v[28:29], v[26:27], v[28:29], s[60:61]
	s_delay_alu instid0(VALU_DEP_1) | instskip(NEXT) | instid1(VALU_DEP_1)
	v_fma_f64 v[28:29], v[26:27], v[28:29], s[62:63]
	v_fma_f64 v[28:29], v[26:27], v[28:29], s[64:65]
	s_delay_alu instid0(VALU_DEP_1) | instskip(NEXT) | instid1(VALU_DEP_1)
	v_fma_f64 v[28:29], v[26:27], v[28:29], s[66:67]
	v_fma_f64 v[28:29], v[26:27], v[28:29], s[68:69]
	s_delay_alu instid0(VALU_DEP_1) | instskip(NEXT) | instid1(VALU_DEP_1)
	v_fma_f64 v[28:29], v[26:27], v[28:29], s[70:71]
	v_fma_f64 v[28:29], v[26:27], v[28:29], s[72:73]
	s_delay_alu instid0(VALU_DEP_1) | instskip(NEXT) | instid1(VALU_DEP_1)
	v_fma_f64 v[28:29], v[26:27], v[28:29], s[74:75]
	v_fma_f64 v[28:29], v[26:27], v[28:29], s[76:77]
	s_delay_alu instid0(VALU_DEP_1) | instskip(NEXT) | instid1(VALU_DEP_1)
	v_fma_f64 v[28:29], v[26:27], v[28:29], s[78:79]
	v_mul_f64 v[26:27], v[26:27], v[28:29]
	v_mul_f64 v[29:30], v[10:11], 0.5
	s_delay_alu instid0(VALU_DEP_2) | instskip(NEXT) | instid1(VALU_DEP_1)
	v_fma_f64 v[6:7], v[6:7], v[26:27], v[6:7]
	v_add_f64 v[26:27], -v[6:7], s[80:81]
	s_delay_alu instid0(VALU_DEP_1) | instskip(NEXT) | instid1(VALU_DEP_2)
	v_cndmask_b32_e64 v7, v7, v27, s0
	v_cndmask_b32_e64 v6, v6, v26, s0
	s_delay_alu instid0(VALU_DEP_1) | instskip(NEXT) | instid1(VALU_DEP_1)
	v_add_f64 v[27:28], -v[6:7], s[10:11]
	v_dual_cndmask_b32 v6, v6, v27 :: v_dual_cndmask_b32 v7, v7, v28
	v_mul_f64 v[26:27], v[10:11], v[29:30]
	v_cndmask_b32_e32 v10, 0x3fe921fb, v55, vcc_lo
	s_and_b32 vcc_lo, s5, s4
	s_delay_alu instid0(VALU_DEP_3) | instskip(NEXT) | instid1(VALU_DEP_2)
	v_cndmask_b32_e64 v6, v6, v31, s1
	v_bfi_b32 v10, 0x7fffffff, v10, v17
	v_and_b32_e32 v8, 0x400921fb, v8
	s_delay_alu instid0(VALU_DEP_3) | instskip(NEXT) | instid1(VALU_DEP_2)
	v_cndmask_b32_e32 v28, v6, v12, vcc_lo
	v_cndmask_b32_e64 v7, v7, v8, s1
	s_delay_alu instid0(VALU_DEP_1)
	v_cndmask_b32_e32 v29, v7, v10, vcc_lo
.LBB174_253:                            ;   in Loop: Header=BB174_162 Depth=1
	s_or_b32 exec_lo, exec_lo, s2
.LBB174_254:                            ;   in Loop: Header=BB174_162 Depth=1
	s_delay_alu instid0(SALU_CYCLE_1)
	s_or_b32 exec_lo, exec_lo, s3
.LBB174_255:                            ;   in Loop: Header=BB174_162 Depth=1
	s_and_not1_saveexec_b32 s3, s93
	s_cbranch_execz .LBB174_257
; %bb.256:                              ;   in Loop: Header=BB174_162 Depth=1
	v_div_scale_f64 v[6:7], null, s[86:87], s[86:87], v[14:15]
	v_div_scale_f64 v[10:11], null, s[86:87], s[86:87], v[16:17]
	v_div_scale_f64 v[38:39], vcc_lo, v[14:15], s[86:87], v[14:15]
	v_max_f64 v[42:43], |v[14:15]|, |v[14:15]|
	s_mov_b32 s89, s21
	s_mov_b32 s10, s80
	s_delay_alu instid0(VALU_DEP_4) | instskip(NEXT) | instid1(VALU_DEP_3)
	v_rcp_f64_e32 v[26:27], v[6:7]
	v_rcp_f64_e32 v[28:29], v[10:11]
	s_waitcnt_depctr 0xfff
	v_fma_f64 v[30:31], -v[6:7], v[26:27], 1.0
	v_fma_f64 v[32:33], -v[10:11], v[28:29], 1.0
	s_delay_alu instid0(VALU_DEP_2) | instskip(NEXT) | instid1(VALU_DEP_2)
	v_fma_f64 v[26:27], v[26:27], v[30:31], v[26:27]
	v_fma_f64 v[28:29], v[28:29], v[32:33], v[28:29]
	s_delay_alu instid0(VALU_DEP_2) | instskip(NEXT) | instid1(VALU_DEP_2)
	v_fma_f64 v[30:31], -v[6:7], v[26:27], 1.0
	v_fma_f64 v[32:33], -v[10:11], v[28:29], 1.0
	s_delay_alu instid0(VALU_DEP_2) | instskip(SKIP_1) | instid1(VALU_DEP_3)
	v_fma_f64 v[26:27], v[26:27], v[30:31], v[26:27]
	v_div_scale_f64 v[30:31], s1, v[16:17], s[86:87], v[16:17]
	v_fma_f64 v[28:29], v[28:29], v[32:33], v[28:29]
	s_delay_alu instid0(VALU_DEP_3) | instskip(NEXT) | instid1(VALU_DEP_2)
	v_mul_f64 v[32:33], v[38:39], v[26:27]
	v_mul_f64 v[40:41], v[30:31], v[28:29]
	s_delay_alu instid0(VALU_DEP_2) | instskip(NEXT) | instid1(VALU_DEP_2)
	v_fma_f64 v[6:7], -v[6:7], v[32:33], v[38:39]
	v_fma_f64 v[10:11], -v[10:11], v[40:41], v[30:31]
	s_delay_alu instid0(VALU_DEP_2) | instskip(SKIP_1) | instid1(VALU_DEP_2)
	v_div_fmas_f64 v[6:7], v[6:7], v[26:27], v[32:33]
	s_mov_b32 vcc_lo, s1
	v_div_fmas_f64 v[10:11], v[10:11], v[28:29], v[40:41]
	s_delay_alu instid0(VALU_DEP_2) | instskip(NEXT) | instid1(VALU_DEP_2)
	v_div_fixup_f64 v[6:7], v[6:7], s[86:87], v[14:15]
	v_div_fixup_f64 v[10:11], v[10:11], s[86:87], v[16:17]
	s_delay_alu instid0(VALU_DEP_2) | instskip(NEXT) | instid1(VALU_DEP_2)
	v_cmp_class_f64_e64 s2, v[6:7], 0x204
	v_max_f64 v[26:27], |v[6:7]|, |v[10:11]|
	v_cmp_o_f64_e64 s1, v[6:7], v[10:11]
	v_cmp_class_f64_e64 s4, v[10:11], 0x204
	s_delay_alu instid0(VALU_DEP_3) | instskip(NEXT) | instid1(VALU_DEP_2)
	v_frexp_exp_i32_f64_e32 v8, v[26:27]
	s_or_b32 s4, s2, s4
	s_delay_alu instid0(VALU_DEP_1) | instskip(NEXT) | instid1(VALU_DEP_1)
	v_sub_nc_u32_e32 v12, 0, v8
	v_ldexp_f64 v[26:27], |v[10:11]|, v12
	v_ldexp_f64 v[28:29], |v[6:7]|, v12
	s_delay_alu instid0(VALU_DEP_2) | instskip(NEXT) | instid1(VALU_DEP_1)
	v_mul_f64 v[26:27], v[26:27], v[26:27]
	v_fma_f64 v[26:27], v[28:29], v[28:29], v[26:27]
	s_delay_alu instid0(VALU_DEP_1) | instskip(SKIP_4) | instid1(VALU_DEP_1)
	v_rsq_f64_e32 v[28:29], v[26:27]
	v_cmp_eq_f64_e32 vcc_lo, 0, v[26:27]
	s_waitcnt_depctr 0xfff
	v_mul_f64 v[30:31], v[26:27], v[28:29]
	v_mul_f64 v[28:29], v[28:29], 0.5
	v_fma_f64 v[32:33], -v[28:29], v[30:31], 0.5
	s_delay_alu instid0(VALU_DEP_1) | instskip(SKIP_1) | instid1(VALU_DEP_2)
	v_fma_f64 v[30:31], v[30:31], v[32:33], v[30:31]
	v_fma_f64 v[28:29], v[28:29], v[32:33], v[28:29]
	v_fma_f64 v[32:33], -v[30:31], v[30:31], v[26:27]
	s_delay_alu instid0(VALU_DEP_1) | instskip(NEXT) | instid1(VALU_DEP_1)
	v_fma_f64 v[28:29], v[32:33], v[28:29], v[30:31]
	v_dual_cndmask_b32 v27, v29, v27 :: v_dual_cndmask_b32 v26, v28, v26
	s_delay_alu instid0(VALU_DEP_1) | instskip(NEXT) | instid1(VALU_DEP_1)
	v_ldexp_f64 v[26:27], v[26:27], v8
	v_cndmask_b32_e64 v8, 0, v26, s1
	s_delay_alu instid0(VALU_DEP_2) | instskip(NEXT) | instid1(VALU_DEP_2)
	v_cndmask_b32_e64 v12, 0x7ff80000, v27, s1
	v_cndmask_b32_e64 v6, v8, 0, s4
	s_delay_alu instid0(VALU_DEP_2) | instskip(NEXT) | instid1(VALU_DEP_1)
	v_cndmask_b32_e64 v7, v12, 0x7ff00000, s4
	v_frexp_mant_f64_e32 v[10:11], v[6:7]
	s_delay_alu instid0(VALU_DEP_1) | instskip(NEXT) | instid1(VALU_DEP_1)
	v_cmp_gt_f64_e64 s2, s[20:21], v[10:11]
	v_cndmask_b32_e64 v35, 0x3ff00000, 2.0, s2
	s_delay_alu instid0(VALU_DEP_1) | instskip(SKIP_1) | instid1(VALU_DEP_2)
	v_mul_f64 v[10:11], v[10:11], v[34:35]
	v_frexp_exp_i32_f64_e32 v35, v[6:7]
	v_add_f64 v[28:29], v[10:11], 1.0
	v_add_f64 v[38:39], v[10:11], -1.0
	s_delay_alu instid0(VALU_DEP_2) | instskip(SKIP_1) | instid1(VALU_DEP_1)
	v_rcp_f64_e32 v[30:31], v[28:29]
	v_add_f64 v[44:45], v[28:29], -1.0
	v_add_f64 v[10:11], v[10:11], -v[44:45]
	s_waitcnt_depctr 0xfff
	v_fma_f64 v[32:33], -v[28:29], v[30:31], 1.0
	s_delay_alu instid0(VALU_DEP_1) | instskip(NEXT) | instid1(VALU_DEP_1)
	v_fma_f64 v[30:31], v[32:33], v[30:31], v[30:31]
	v_fma_f64 v[32:33], -v[28:29], v[30:31], 1.0
	s_delay_alu instid0(VALU_DEP_1) | instskip(SKIP_1) | instid1(VALU_DEP_2)
	v_fma_f64 v[30:31], v[32:33], v[30:31], v[30:31]
	v_max_f64 v[32:33], |v[16:17]|, |v[16:17]|
	v_mul_f64 v[40:41], v[38:39], v[30:31]
	s_delay_alu instid0(VALU_DEP_2) | instskip(SKIP_1) | instid1(VALU_DEP_3)
	v_max_f64 v[48:49], v[42:43], v[32:33]
	v_min_f64 v[32:33], v[42:43], v[32:33]
	v_mul_f64 v[46:47], v[28:29], v[40:41]
	s_delay_alu instid0(VALU_DEP_2) | instskip(NEXT) | instid1(VALU_DEP_2)
	v_div_scale_f64 v[42:43], null, v[48:49], v[48:49], v[32:33]
	v_fma_f64 v[28:29], v[40:41], v[28:29], -v[46:47]
	s_delay_alu instid0(VALU_DEP_1) | instskip(NEXT) | instid1(VALU_DEP_3)
	v_fma_f64 v[10:11], v[40:41], v[10:11], v[28:29]
	v_rcp_f64_e32 v[28:29], v[42:43]
	s_delay_alu instid0(VALU_DEP_1) | instskip(SKIP_4) | instid1(VALU_DEP_3)
	v_add_f64 v[44:45], v[46:47], v[10:11]
	s_waitcnt_depctr 0xfff
	v_fma_f64 v[50:51], -v[42:43], v[28:29], 1.0
	v_add_f64 v[52:53], v[38:39], -v[44:45]
	v_add_f64 v[46:47], v[44:45], -v[46:47]
	v_fma_f64 v[28:29], v[28:29], v[50:51], v[28:29]
	s_delay_alu instid0(VALU_DEP_3) | instskip(NEXT) | instid1(VALU_DEP_3)
	v_add_f64 v[38:39], v[38:39], -v[52:53]
	v_add_f64 v[10:11], v[46:47], -v[10:11]
	s_delay_alu instid0(VALU_DEP_3) | instskip(NEXT) | instid1(VALU_DEP_3)
	v_fma_f64 v[50:51], -v[42:43], v[28:29], 1.0
	v_add_f64 v[38:39], v[38:39], -v[44:45]
	v_div_scale_f64 v[44:45], vcc_lo, v[32:33], v[48:49], v[32:33]
	s_delay_alu instid0(VALU_DEP_3) | instskip(NEXT) | instid1(VALU_DEP_3)
	v_fma_f64 v[28:29], v[28:29], v[50:51], v[28:29]
	v_add_f64 v[10:11], v[10:11], v[38:39]
	s_delay_alu instid0(VALU_DEP_2) | instskip(NEXT) | instid1(VALU_DEP_2)
	v_mul_f64 v[38:39], v[44:45], v[28:29]
	v_add_f64 v[10:11], v[52:53], v[10:11]
	s_delay_alu instid0(VALU_DEP_2) | instskip(NEXT) | instid1(VALU_DEP_2)
	v_fma_f64 v[42:43], -v[42:43], v[38:39], v[44:45]
	v_mul_f64 v[10:11], v[30:31], v[10:11]
	s_delay_alu instid0(VALU_DEP_2) | instskip(SKIP_2) | instid1(VALU_DEP_4)
	v_div_fmas_f64 v[28:29], v[42:43], v[28:29], v[38:39]
	v_subrev_co_ci_u32_e64 v35, vcc_lo, 0, v35, s2
	v_cmp_class_f64_e64 s2, v[14:15], 0x204
	v_add_f64 v[30:31], v[40:41], v[10:11]
	s_delay_alu instid0(VALU_DEP_4) | instskip(NEXT) | instid1(VALU_DEP_2)
	v_div_fixup_f64 v[28:29], v[28:29], v[48:49], v[32:33]
	v_mul_f64 v[32:33], v[30:31], v[30:31]
	s_delay_alu instid0(VALU_DEP_2) | instskip(NEXT) | instid1(VALU_DEP_2)
	v_mul_f64 v[38:39], v[28:29], v[28:29]
	v_fma_f64 v[42:43], v[32:33], s[24:25], s[22:23]
	v_mul_f64 v[46:47], v[30:31], v[32:33]
	s_delay_alu instid0(VALU_DEP_3) | instskip(NEXT) | instid1(VALU_DEP_3)
	v_fma_f64 v[44:45], v[38:39], s[42:43], s[40:41]
	v_fma_f64 v[42:43], v[32:33], v[42:43], s[26:27]
	s_delay_alu instid0(VALU_DEP_2) | instskip(NEXT) | instid1(VALU_DEP_2)
	v_fma_f64 v[44:45], v[38:39], v[44:45], s[44:45]
	v_fma_f64 v[42:43], v[32:33], v[42:43], s[28:29]
	s_delay_alu instid0(VALU_DEP_2) | instskip(NEXT) | instid1(VALU_DEP_2)
	;; [unrolled: 3-line block ×4, first 2 shown]
	v_fma_f64 v[44:45], v[38:39], v[44:45], s[50:51]
	v_fma_f64 v[32:33], v[32:33], v[42:43], s[88:89]
	s_delay_alu instid0(VALU_DEP_2) | instskip(SKIP_2) | instid1(VALU_DEP_4)
	v_fma_f64 v[42:43], v[38:39], v[44:45], s[52:53]
	v_ldexp_f64 v[44:45], v[30:31], 1
	v_add_f64 v[30:31], v[30:31], -v[40:41]
	v_mul_f64 v[32:33], v[46:47], v[32:33]
	v_cvt_f64_i32_e32 v[46:47], v35
	v_fma_f64 v[42:43], v[38:39], v[42:43], s[54:55]
	s_delay_alu instid0(VALU_DEP_4) | instskip(NEXT) | instid1(VALU_DEP_4)
	v_add_f64 v[10:11], v[10:11], -v[30:31]
	v_add_f64 v[40:41], v[44:45], v[32:33]
	s_delay_alu instid0(VALU_DEP_4) | instskip(NEXT) | instid1(VALU_DEP_4)
	v_mul_f64 v[48:49], v[46:47], s[36:37]
	v_fma_f64 v[42:43], v[38:39], v[42:43], s[56:57]
	s_delay_alu instid0(VALU_DEP_4) | instskip(NEXT) | instid1(VALU_DEP_4)
	v_ldexp_f64 v[10:11], v[10:11], 1
	v_add_f64 v[30:31], v[40:41], -v[44:45]
	s_delay_alu instid0(VALU_DEP_4) | instskip(NEXT) | instid1(VALU_DEP_4)
	v_fma_f64 v[44:45], v[46:47], s[36:37], -v[48:49]
	v_fma_f64 v[42:43], v[38:39], v[42:43], s[58:59]
	s_delay_alu instid0(VALU_DEP_3) | instskip(NEXT) | instid1(VALU_DEP_2)
	v_add_f64 v[30:31], v[32:33], -v[30:31]
	v_fma_f64 v[32:33], v[38:39], v[42:43], s[60:61]
	s_delay_alu instid0(VALU_DEP_4) | instskip(NEXT) | instid1(VALU_DEP_3)
	v_fma_f64 v[42:43], v[46:47], s[38:39], v[44:45]
	v_add_f64 v[10:11], v[10:11], v[30:31]
	s_delay_alu instid0(VALU_DEP_3) | instskip(NEXT) | instid1(VALU_DEP_3)
	v_fma_f64 v[30:31], v[38:39], v[32:33], s[62:63]
	v_add_f64 v[32:33], v[48:49], v[42:43]
	s_delay_alu instid0(VALU_DEP_3) | instskip(NEXT) | instid1(VALU_DEP_3)
	v_add_f64 v[44:45], v[40:41], v[10:11]
	v_fma_f64 v[30:31], v[38:39], v[30:31], s[64:65]
	s_delay_alu instid0(VALU_DEP_3) | instskip(NEXT) | instid1(VALU_DEP_3)
	v_add_f64 v[48:49], v[32:33], -v[48:49]
	v_add_f64 v[46:47], v[32:33], v[44:45]
	v_add_f64 v[40:41], v[44:45], -v[40:41]
	s_delay_alu instid0(VALU_DEP_4) | instskip(NEXT) | instid1(VALU_DEP_4)
	v_fma_f64 v[30:31], v[38:39], v[30:31], s[66:67]
	v_add_f64 v[42:43], v[42:43], -v[48:49]
	s_delay_alu instid0(VALU_DEP_4) | instskip(NEXT) | instid1(VALU_DEP_4)
	v_add_f64 v[50:51], v[46:47], -v[32:33]
	v_add_f64 v[10:11], v[10:11], -v[40:41]
	s_delay_alu instid0(VALU_DEP_4) | instskip(NEXT) | instid1(VALU_DEP_3)
	v_fma_f64 v[30:31], v[38:39], v[30:31], s[68:69]
	v_add_f64 v[52:53], v[46:47], -v[50:51]
	v_add_f64 v[40:41], v[44:45], -v[50:51]
	s_delay_alu instid0(VALU_DEP_4) | instskip(NEXT) | instid1(VALU_DEP_4)
	v_add_f64 v[44:45], v[42:43], v[10:11]
	v_fma_f64 v[30:31], v[38:39], v[30:31], s[70:71]
	s_delay_alu instid0(VALU_DEP_4) | instskip(NEXT) | instid1(VALU_DEP_2)
	v_add_f64 v[32:33], v[32:33], -v[52:53]
	v_fma_f64 v[30:31], v[38:39], v[30:31], s[72:73]
	s_delay_alu instid0(VALU_DEP_2) | instskip(SKIP_1) | instid1(VALU_DEP_3)
	v_add_f64 v[32:33], v[40:41], v[32:33]
	v_add_f64 v[40:41], v[44:45], -v[42:43]
	v_fma_f64 v[30:31], v[38:39], v[30:31], s[74:75]
	s_delay_alu instid0(VALU_DEP_3) | instskip(NEXT) | instid1(VALU_DEP_3)
	v_add_f64 v[32:33], v[44:45], v[32:33]
	v_add_f64 v[44:45], v[44:45], -v[40:41]
	v_add_f64 v[10:11], v[10:11], -v[40:41]
	s_delay_alu instid0(VALU_DEP_4) | instskip(NEXT) | instid1(VALU_DEP_4)
	v_fma_f64 v[30:31], v[38:39], v[30:31], s[76:77]
	v_add_f64 v[48:49], v[46:47], v[32:33]
	s_delay_alu instid0(VALU_DEP_4) | instskip(NEXT) | instid1(VALU_DEP_3)
	v_add_f64 v[40:41], v[42:43], -v[44:45]
	v_fma_f64 v[30:31], v[38:39], v[30:31], s[78:79]
	s_delay_alu instid0(VALU_DEP_3) | instskip(NEXT) | instid1(VALU_DEP_3)
	v_add_f64 v[42:43], v[48:49], -v[46:47]
	v_add_f64 v[10:11], v[10:11], v[40:41]
	s_delay_alu instid0(VALU_DEP_3) | instskip(NEXT) | instid1(VALU_DEP_3)
	v_mul_f64 v[30:31], v[38:39], v[30:31]
	v_add_f64 v[32:33], v[32:33], -v[42:43]
	s_delay_alu instid0(VALU_DEP_2) | instskip(NEXT) | instid1(VALU_DEP_2)
	v_fma_f64 v[28:29], v[28:29], v[30:31], v[28:29]
	v_add_f64 v[10:11], v[10:11], v[32:33]
	s_delay_alu instid0(VALU_DEP_2) | instskip(NEXT) | instid1(VALU_DEP_2)
	v_add_f64 v[30:31], -v[28:29], s[80:81]
	v_add_f64 v[10:11], v[48:49], v[10:11]
	v_and_b32_e32 v27, 0x7fffffff, v27
	s_delay_alu instid0(VALU_DEP_1) | instskip(NEXT) | instid1(VALU_DEP_4)
	v_cmp_eq_f64_e32 vcc_lo, 0x7ff00000, v[26:27]
	v_cndmask_b32_e64 v27, v29, v31, s0
	v_cndmask_b32_e64 v26, v28, v30, s0
	v_cmp_eq_f64_e64 s0, 0, v[16:17]
	v_ashrrev_i32_e32 v30, 31, v15
	s_delay_alu instid0(VALU_DEP_3)
	v_add_f64 v[28:29], -v[26:27], s[10:11]
	s_and_b32 vcc_lo, s1, vcc_lo
	v_cmp_class_f64_e64 s1, v[16:17], 0x204
	v_cndmask_b32_e32 v10, v10, v8, vcc_lo
	v_dual_cndmask_b32 v11, v11, v12 :: v_dual_and_b32 v12, 0x54442d18, v30
	v_cmp_gt_i32_e32 vcc_lo, 0, v15
	v_and_b32_e32 v15, 0x400921fb, v30
	s_delay_alu instid0(VALU_DEP_3) | instskip(SKIP_3) | instid1(VALU_DEP_3)
	v_add_f64 v[10:11], v[10:11], 1.0
	v_cndmask_b32_e32 v26, v26, v28, vcc_lo
	v_cndmask_b32_e32 v8, 0x54442d18, v54, vcc_lo
	;; [unrolled: 1-line block ×3, first 2 shown]
	v_cndmask_b32_e64 v12, v26, v12, s0
	v_cndmask_b32_e32 v27, v27, v29, vcc_lo
	v_cmp_ngt_f64_e32 vcc_lo, 0, v[6:7]
	s_delay_alu instid0(VALU_DEP_4) | instskip(SKIP_2) | instid1(VALU_DEP_2)
	v_bfi_b32 v14, 0x7fffffff, v14, v17
	v_cndmask_b32_e64 v11, v11, 0x7ff00000, s4
	v_cndmask_b32_e64 v10, v10, 0, s4
	v_cndmask_b32_e32 v11, 0x7ff80000, v11, vcc_lo
	s_and_b32 vcc_lo, s2, s1
	v_cndmask_b32_e32 v28, v12, v8, vcc_lo
	v_cndmask_b32_e64 v15, v27, v15, s0
	v_cmp_nge_f64_e64 s0, 0, v[6:7]
	s_delay_alu instid0(VALU_DEP_2) | instskip(NEXT) | instid1(VALU_DEP_2)
	v_cndmask_b32_e32 v29, v15, v14, vcc_lo
	v_cndmask_b32_e64 v26, 0, v10, s0
	v_cmp_neq_f64_e64 s0, 0, v[6:7]
	s_delay_alu instid0(VALU_DEP_1)
	v_cndmask_b32_e64 v27, 0xfff00000, v11, s0
.LBB174_257:                            ;   in Loop: Header=BB174_162 Depth=1
	s_or_b32 exec_lo, exec_lo, s3
.LBB174_258:                            ;   in Loop: Header=BB174_162 Depth=1
	s_and_not1_saveexec_b32 s0, s92
	s_cbranch_execz .LBB174_264
; %bb.259:                              ;   in Loop: Header=BB174_162 Depth=1
	v_cmp_ngt_f64_e64 s1, 0x20000000, |v[14:15]|
	v_cmp_ngt_f64_e64 s2, 0x20000000, |v[16:17]|
                                        ; implicit-def: $vgpr6_vgpr7
	s_delay_alu instid0(VALU_DEP_1) | instskip(NEXT) | instid1(SALU_CYCLE_1)
	s_or_b32 s1, s1, s2
	s_and_saveexec_b32 s2, s1
	s_delay_alu instid0(SALU_CYCLE_1)
	s_xor_b32 s1, exec_lo, s2
; %bb.260:                              ;   in Loop: Header=BB174_162 Depth=1
	v_mul_f64 v[6:7], v[16:17], v[16:17]
	s_delay_alu instid0(VALU_DEP_1)
	v_fma_f64 v[6:7], v[14:15], v[14:15], v[6:7]
; %bb.261:                              ;   in Loop: Header=BB174_162 Depth=1
	s_and_not1_saveexec_b32 s1, s1
; %bb.262:                              ;   in Loop: Header=BB174_162 Depth=1
	v_mul_f64 v[6:7], v[16:17], 4.0
	v_mul_f64 v[10:11], v[14:15], 4.0
	s_delay_alu instid0(VALU_DEP_2) | instskip(NEXT) | instid1(VALU_DEP_1)
	v_mul_f64 v[6:7], v[6:7], v[6:7]
	v_fma_f64 v[6:7], v[10:11], v[10:11], v[6:7]
	s_delay_alu instid0(VALU_DEP_1)
	v_ldexp_f64 v[6:7], v[6:7], -4
; %bb.263:                              ;   in Loop: Header=BB174_162 Depth=1
	s_or_b32 exec_lo, exec_lo, s1
	s_delay_alu instid0(VALU_DEP_1) | instskip(SKIP_2) | instid1(VALU_DEP_2)
	v_frexp_mant_f64_e32 v[10:11], v[6:7]
	s_mov_b32 s89, s21
	v_frexp_exp_i32_f64_e32 v8, v[6:7]
	v_cmp_gt_f64_e32 vcc_lo, s[20:21], v[10:11]
	v_cndmask_b32_e64 v35, 0x3ff00000, 2.0, vcc_lo
	s_delay_alu instid0(VALU_DEP_3) | instskip(SKIP_1) | instid1(VALU_DEP_3)
	v_subrev_co_ci_u32_e32 v8, vcc_lo, 0, v8, vcc_lo
	v_cmp_class_f64_e64 vcc_lo, v[6:7], 0x204
	v_mul_f64 v[10:11], v[10:11], v[34:35]
	s_delay_alu instid0(VALU_DEP_1) | instskip(SKIP_1) | instid1(VALU_DEP_2)
	v_add_f64 v[14:15], v[10:11], 1.0
	v_add_f64 v[30:31], v[10:11], -1.0
	v_rcp_f64_e32 v[26:27], v[14:15]
	v_add_f64 v[32:33], v[14:15], -1.0
	s_delay_alu instid0(VALU_DEP_1) | instskip(SKIP_2) | instid1(VALU_DEP_1)
	v_add_f64 v[10:11], v[10:11], -v[32:33]
	s_waitcnt_depctr 0xfff
	v_fma_f64 v[28:29], -v[14:15], v[26:27], 1.0
	v_fma_f64 v[26:27], v[28:29], v[26:27], v[26:27]
	s_delay_alu instid0(VALU_DEP_1) | instskip(NEXT) | instid1(VALU_DEP_1)
	v_fma_f64 v[28:29], -v[14:15], v[26:27], 1.0
	v_fma_f64 v[26:27], v[28:29], v[26:27], v[26:27]
	s_delay_alu instid0(VALU_DEP_1) | instskip(NEXT) | instid1(VALU_DEP_1)
	v_mul_f64 v[28:29], v[30:31], v[26:27]
	v_mul_f64 v[38:39], v[14:15], v[28:29]
	s_delay_alu instid0(VALU_DEP_1) | instskip(NEXT) | instid1(VALU_DEP_1)
	v_fma_f64 v[14:15], v[28:29], v[14:15], -v[38:39]
	v_fma_f64 v[10:11], v[28:29], v[10:11], v[14:15]
	s_delay_alu instid0(VALU_DEP_1) | instskip(NEXT) | instid1(VALU_DEP_1)
	v_add_f64 v[14:15], v[38:39], v[10:11]
	v_add_f64 v[32:33], v[30:31], -v[14:15]
	v_add_f64 v[38:39], v[14:15], -v[38:39]
	s_delay_alu instid0(VALU_DEP_2) | instskip(NEXT) | instid1(VALU_DEP_2)
	v_add_f64 v[30:31], v[30:31], -v[32:33]
	v_add_f64 v[10:11], v[38:39], -v[10:11]
	s_delay_alu instid0(VALU_DEP_2) | instskip(NEXT) | instid1(VALU_DEP_1)
	v_add_f64 v[14:15], v[30:31], -v[14:15]
	v_add_f64 v[10:11], v[10:11], v[14:15]
	s_delay_alu instid0(VALU_DEP_1) | instskip(NEXT) | instid1(VALU_DEP_1)
	v_add_f64 v[10:11], v[32:33], v[10:11]
	v_mul_f64 v[10:11], v[26:27], v[10:11]
	s_delay_alu instid0(VALU_DEP_1) | instskip(NEXT) | instid1(VALU_DEP_1)
	v_add_f64 v[14:15], v[28:29], v[10:11]
	v_mul_f64 v[26:27], v[14:15], v[14:15]
	s_delay_alu instid0(VALU_DEP_1) | instskip(SKIP_1) | instid1(VALU_DEP_2)
	v_fma_f64 v[30:31], v[26:27], s[24:25], s[22:23]
	v_mul_f64 v[32:33], v[14:15], v[26:27]
	v_fma_f64 v[30:31], v[26:27], v[30:31], s[26:27]
	s_delay_alu instid0(VALU_DEP_1) | instskip(NEXT) | instid1(VALU_DEP_1)
	v_fma_f64 v[30:31], v[26:27], v[30:31], s[28:29]
	v_fma_f64 v[30:31], v[26:27], v[30:31], s[30:31]
	s_delay_alu instid0(VALU_DEP_1) | instskip(NEXT) | instid1(VALU_DEP_1)
	v_fma_f64 v[30:31], v[26:27], v[30:31], s[34:35]
	v_fma_f64 v[26:27], v[26:27], v[30:31], s[88:89]
	v_ldexp_f64 v[30:31], v[14:15], 1
	v_add_f64 v[14:15], v[14:15], -v[28:29]
	s_delay_alu instid0(VALU_DEP_3) | instskip(SKIP_1) | instid1(VALU_DEP_3)
	v_mul_f64 v[26:27], v[32:33], v[26:27]
	v_cvt_f64_i32_e32 v[32:33], v8
	v_add_f64 v[10:11], v[10:11], -v[14:15]
	s_delay_alu instid0(VALU_DEP_3) | instskip(NEXT) | instid1(VALU_DEP_3)
	v_add_f64 v[28:29], v[30:31], v[26:27]
	v_mul_f64 v[38:39], v[32:33], s[36:37]
	s_delay_alu instid0(VALU_DEP_3) | instskip(NEXT) | instid1(VALU_DEP_3)
	v_ldexp_f64 v[10:11], v[10:11], 1
	v_add_f64 v[14:15], v[28:29], -v[30:31]
	s_delay_alu instid0(VALU_DEP_3) | instskip(NEXT) | instid1(VALU_DEP_2)
	v_fma_f64 v[30:31], v[32:33], s[36:37], -v[38:39]
	v_add_f64 v[14:15], v[26:27], -v[14:15]
	s_delay_alu instid0(VALU_DEP_2) | instskip(NEXT) | instid1(VALU_DEP_2)
	v_fma_f64 v[26:27], v[32:33], s[38:39], v[30:31]
	v_add_f64 v[10:11], v[10:11], v[14:15]
	s_delay_alu instid0(VALU_DEP_2) | instskip(NEXT) | instid1(VALU_DEP_2)
	v_add_f64 v[14:15], v[38:39], v[26:27]
	v_add_f64 v[30:31], v[28:29], v[10:11]
	s_delay_alu instid0(VALU_DEP_2) | instskip(NEXT) | instid1(VALU_DEP_2)
	v_add_f64 v[38:39], v[14:15], -v[38:39]
	v_add_f64 v[32:33], v[14:15], v[30:31]
	v_add_f64 v[28:29], v[30:31], -v[28:29]
	s_delay_alu instid0(VALU_DEP_3) | instskip(NEXT) | instid1(VALU_DEP_3)
	v_add_f64 v[26:27], v[26:27], -v[38:39]
	v_add_f64 v[40:41], v[32:33], -v[14:15]
	s_delay_alu instid0(VALU_DEP_3) | instskip(NEXT) | instid1(VALU_DEP_2)
	v_add_f64 v[10:11], v[10:11], -v[28:29]
	v_add_f64 v[42:43], v[32:33], -v[40:41]
	;; [unrolled: 1-line block ×3, first 2 shown]
	s_delay_alu instid0(VALU_DEP_3) | instskip(NEXT) | instid1(VALU_DEP_3)
	v_add_f64 v[30:31], v[26:27], v[10:11]
	v_add_f64 v[14:15], v[14:15], -v[42:43]
	s_delay_alu instid0(VALU_DEP_1) | instskip(NEXT) | instid1(VALU_DEP_3)
	v_add_f64 v[14:15], v[28:29], v[14:15]
	v_add_f64 v[28:29], v[30:31], -v[26:27]
	s_delay_alu instid0(VALU_DEP_2) | instskip(NEXT) | instid1(VALU_DEP_2)
	v_add_f64 v[14:15], v[30:31], v[14:15]
	v_add_f64 v[30:31], v[30:31], -v[28:29]
	v_add_f64 v[10:11], v[10:11], -v[28:29]
	s_delay_alu instid0(VALU_DEP_3) | instskip(NEXT) | instid1(VALU_DEP_3)
	v_add_f64 v[38:39], v[32:33], v[14:15]
	v_add_f64 v[26:27], v[26:27], -v[30:31]
	s_delay_alu instid0(VALU_DEP_2) | instskip(NEXT) | instid1(VALU_DEP_2)
	v_add_f64 v[28:29], v[38:39], -v[32:33]
	v_add_f64 v[10:11], v[10:11], v[26:27]
	s_delay_alu instid0(VALU_DEP_2) | instskip(NEXT) | instid1(VALU_DEP_1)
	v_add_f64 v[14:15], v[14:15], -v[28:29]
	v_add_f64 v[10:11], v[10:11], v[14:15]
	s_delay_alu instid0(VALU_DEP_1) | instskip(NEXT) | instid1(VALU_DEP_1)
	v_add_f64 v[10:11], v[38:39], v[10:11]
	v_cndmask_b32_e32 v8, v10, v6, vcc_lo
	s_delay_alu instid0(VALU_DEP_2) | instskip(SKIP_1) | instid1(VALU_DEP_2)
	v_cndmask_b32_e32 v10, v11, v7, vcc_lo
	v_cmp_ngt_f64_e32 vcc_lo, 0, v[6:7]
	v_cndmask_b32_e32 v10, 0x7ff80000, v10, vcc_lo
	v_cmp_nge_f64_e32 vcc_lo, 0, v[6:7]
	v_mov_b32_e32 v28, 0
	v_dual_mov_b32 v29, 0x7ff80000 :: v_dual_cndmask_b32 v26, 0, v8
	v_cmp_neq_f64_e32 vcc_lo, 0, v[6:7]
	v_cndmask_b32_e32 v27, 0xfff00000, v10, vcc_lo
.LBB174_264:                            ;   in Loop: Header=BB174_162 Depth=1
	s_or_b32 exec_lo, exec_lo, s0
                                        ; implicit-def: $vgpr30_vgpr31
	s_delay_alu instid0(SALU_CYCLE_1)
	s_mov_b32 s0, exec_lo
	v_cmpx_o_f64_e32 v[2:3], v[4:5]
	s_xor_b32 s92, exec_lo, s0
	s_cbranch_execz .LBB174_292
; %bb.265:                              ;   in Loop: Header=BB174_162 Depth=1
	v_cmp_lt_f64_e64 s0, |v[2:3]|, |v[4:5]|
	v_and_b32_e32 v6, 0x7fffffff, v3
	v_dual_mov_b32 v8, v4 :: v_dual_and_b32 v7, 0x7fffffff, v5
                                        ; implicit-def: $vgpr30_vgpr31
	s_mov_b32 s1, exec_lo
	s_delay_alu instid0(VALU_DEP_1) | instskip(NEXT) | instid1(VALU_DEP_2)
	v_cndmask_b32_e64 v11, v7, v6, s0
	v_cndmask_b32_e64 v10, v8, v2, s0
	s_delay_alu instid0(VALU_DEP_1)
	v_cmpx_nlt_f64_e32 s[12:13], v[10:11]
	s_xor_b32 s93, exec_lo, s1
	s_cbranch_execz .LBB174_289
; %bb.266:                              ;   in Loop: Header=BB174_162 Depth=1
	v_cndmask_b32_e64 v15, v6, v7, s0
	v_cndmask_b32_e64 v14, v2, v8, s0
                                        ; implicit-def: $vgpr30_vgpr31
	s_mov_b32 s1, exec_lo
	s_delay_alu instid0(VALU_DEP_1)
	v_cmpx_neq_f64_e32 1.0, v[14:15]
	s_xor_b32 s94, exec_lo, s1
	s_cbranch_execz .LBB174_282
; %bb.267:                              ;   in Loop: Header=BB174_162 Depth=1
	v_max_f64 v[6:7], v[10:11], v[10:11]
	v_max_f64 v[30:31], v[14:15], v[14:15]
	s_delay_alu instid0(VALU_DEP_1) | instskip(SKIP_1) | instid1(VALU_DEP_2)
	v_min_f64 v[32:33], v[30:31], v[6:7]
	v_max_f64 v[6:7], v[30:31], v[6:7]
                                        ; implicit-def: $vgpr30_vgpr31
	v_cmp_ngt_f64_e32 vcc_lo, s[14:15], v[32:33]
	s_delay_alu instid0(VALU_DEP_2) | instskip(NEXT) | instid1(VALU_DEP_1)
	v_cmp_nlt_f64_e64 s1, s[16:17], v[6:7]
	s_and_b32 s1, s1, vcc_lo
	s_delay_alu instid0(SALU_CYCLE_1) | instskip(NEXT) | instid1(SALU_CYCLE_1)
	s_and_saveexec_b32 s2, s1
	s_xor_b32 s95, exec_lo, s2
	s_cbranch_execz .LBB174_279
; %bb.268:                              ;   in Loop: Header=BB174_162 Depth=1
                                        ; implicit-def: $vgpr30_vgpr31
	s_mov_b32 s1, exec_lo
	v_cmpx_le_f64_e32 1.0, v[14:15]
	s_xor_b32 s2, exec_lo, s1
	s_cbranch_execz .LBB174_270
; %bb.269:                              ;   in Loop: Header=BB174_162 Depth=1
	v_add_f64 v[6:7], v[14:15], -1.0
	v_add_f64 v[14:15], v[14:15], 1.0
	s_mov_b32 s89, s21
	s_mov_b32 s10, s80
	v_cmp_gt_i32_e64 s1, 0, v3
	v_cmp_class_f64_e64 s4, v[2:3], 0x204
	v_cmp_class_f64_e64 s3, v[4:5], 0x204
	s_delay_alu instid0(VALU_DEP_4) | instskip(NEXT) | instid1(VALU_DEP_1)
	v_mul_f64 v[6:7], v[6:7], v[14:15]
	v_fma_f64 v[6:7], v[10:11], v[10:11], v[6:7]
	s_delay_alu instid0(VALU_DEP_1) | instskip(NEXT) | instid1(VALU_DEP_1)
	v_add_f64 v[10:11], v[6:7], 1.0
	v_frexp_mant_f64_e32 v[14:15], v[10:11]
	v_frexp_exp_i32_f64_e32 v8, v[10:11]
	v_add_f64 v[30:31], v[10:11], -1.0
	s_delay_alu instid0(VALU_DEP_3) | instskip(NEXT) | instid1(VALU_DEP_2)
	v_cmp_gt_f64_e32 vcc_lo, s[20:21], v[14:15]
	v_add_f64 v[14:15], v[30:31], -v[10:11]
	v_add_f64 v[30:31], v[6:7], -v[30:31]
	v_subrev_co_ci_u32_e32 v8, vcc_lo, 0, v8, vcc_lo
	s_delay_alu instid0(VALU_DEP_3) | instskip(NEXT) | instid1(VALU_DEP_2)
	v_add_f64 v[14:15], v[14:15], 1.0
	v_sub_nc_u32_e32 v12, 0, v8
	s_delay_alu instid0(VALU_DEP_1) | instskip(NEXT) | instid1(VALU_DEP_3)
	v_ldexp_f64 v[10:11], v[10:11], v12
	v_add_f64 v[14:15], v[30:31], v[14:15]
	s_delay_alu instid0(VALU_DEP_2) | instskip(SKIP_1) | instid1(VALU_DEP_3)
	v_add_f64 v[32:33], v[10:11], 1.0
	v_add_f64 v[42:43], v[10:11], -1.0
	v_ldexp_f64 v[14:15], v[14:15], v12
	v_cndmask_b32_e64 v12, 0x54442d18, v54, s1
	s_delay_alu instid0(VALU_DEP_4) | instskip(NEXT) | instid1(VALU_DEP_4)
	v_add_f64 v[30:31], v[32:33], -1.0
	v_add_f64 v[44:45], v[42:43], 1.0
	s_delay_alu instid0(VALU_DEP_2) | instskip(NEXT) | instid1(VALU_DEP_2)
	v_add_f64 v[30:31], v[10:11], -v[30:31]
	v_add_f64 v[10:11], v[10:11], -v[44:45]
	s_delay_alu instid0(VALU_DEP_2) | instskip(NEXT) | instid1(VALU_DEP_2)
	v_add_f64 v[30:31], v[14:15], v[30:31]
	v_add_f64 v[10:11], v[14:15], v[10:11]
	s_delay_alu instid0(VALU_DEP_2) | instskip(NEXT) | instid1(VALU_DEP_2)
	v_add_f64 v[38:39], v[32:33], v[30:31]
	v_add_f64 v[44:45], v[42:43], v[10:11]
	s_delay_alu instid0(VALU_DEP_2) | instskip(SKIP_1) | instid1(VALU_DEP_2)
	v_rcp_f64_e32 v[40:41], v[38:39]
	v_add_f64 v[32:33], v[38:39], -v[32:33]
	v_add_f64 v[42:43], v[44:45], -v[42:43]
	s_delay_alu instid0(VALU_DEP_2) | instskip(SKIP_3) | instid1(VALU_DEP_2)
	v_add_f64 v[30:31], v[30:31], -v[32:33]
	s_waitcnt_depctr 0xfff
	v_fma_f64 v[46:47], -v[38:39], v[40:41], 1.0
	v_add_f64 v[10:11], v[10:11], -v[42:43]
	v_fma_f64 v[40:41], v[46:47], v[40:41], v[40:41]
	s_delay_alu instid0(VALU_DEP_1) | instskip(NEXT) | instid1(VALU_DEP_1)
	v_fma_f64 v[14:15], -v[38:39], v[40:41], 1.0
	v_fma_f64 v[14:15], v[14:15], v[40:41], v[40:41]
	s_delay_alu instid0(VALU_DEP_1) | instskip(NEXT) | instid1(VALU_DEP_1)
	v_mul_f64 v[40:41], v[44:45], v[14:15]
	v_mul_f64 v[46:47], v[38:39], v[40:41]
	s_delay_alu instid0(VALU_DEP_1) | instskip(NEXT) | instid1(VALU_DEP_1)
	v_fma_f64 v[32:33], v[40:41], v[38:39], -v[46:47]
	v_fma_f64 v[32:33], v[40:41], v[30:31], v[32:33]
	s_delay_alu instid0(VALU_DEP_1) | instskip(NEXT) | instid1(VALU_DEP_1)
	v_add_f64 v[48:49], v[46:47], v[32:33]
	v_add_f64 v[50:51], v[44:45], -v[48:49]
	v_add_f64 v[42:43], v[48:49], -v[46:47]
	v_max_f64 v[46:47], |v[4:5]|, |v[4:5]|
	s_delay_alu instid0(VALU_DEP_3) | instskip(NEXT) | instid1(VALU_DEP_3)
	v_add_f64 v[44:45], v[44:45], -v[50:51]
	v_add_f64 v[32:33], v[42:43], -v[32:33]
	s_delay_alu instid0(VALU_DEP_2) | instskip(SKIP_2) | instid1(VALU_DEP_1)
	v_add_f64 v[44:45], v[44:45], -v[48:49]
	v_max_f64 v[48:49], |v[2:3]|, |v[2:3]|
	v_cndmask_b32_e64 v2, 0x3fe921fb, v55, s1
	v_bfi_b32 v2, 0x7fffffff, v2, v5
	s_delay_alu instid0(VALU_DEP_4) | instskip(NEXT) | instid1(VALU_DEP_4)
	v_add_f64 v[10:11], v[10:11], v[44:45]
	v_max_f64 v[52:53], v[48:49], v[46:47]
	v_min_f64 v[46:47], v[48:49], v[46:47]
	s_delay_alu instid0(VALU_DEP_3) | instskip(NEXT) | instid1(VALU_DEP_1)
	v_add_f64 v[10:11], v[32:33], v[10:11]
	v_add_f64 v[32:33], v[50:51], v[10:11]
	s_delay_alu instid0(VALU_DEP_1) | instskip(SKIP_1) | instid1(VALU_DEP_2)
	v_mul_f64 v[42:43], v[14:15], v[32:33]
	v_add_f64 v[50:51], v[50:51], -v[32:33]
	v_mul_f64 v[44:45], v[38:39], v[42:43]
	s_delay_alu instid0(VALU_DEP_2) | instskip(NEXT) | instid1(VALU_DEP_2)
	v_add_f64 v[10:11], v[10:11], v[50:51]
	v_fma_f64 v[38:39], v[42:43], v[38:39], -v[44:45]
	s_delay_alu instid0(VALU_DEP_1) | instskip(SKIP_1) | instid1(VALU_DEP_2)
	v_fma_f64 v[30:31], v[42:43], v[30:31], v[38:39]
	v_div_scale_f64 v[38:39], null, v[52:53], v[52:53], v[46:47]
	v_add_f64 v[48:49], v[44:45], v[30:31]
	s_delay_alu instid0(VALU_DEP_2) | instskip(NEXT) | instid1(VALU_DEP_1)
	v_rcp_f64_e32 v[56:57], v[38:39]
	v_add_f64 v[58:59], v[32:33], -v[48:49]
	v_add_f64 v[44:45], v[48:49], -v[44:45]
	s_waitcnt_depctr 0xfff
	v_fma_f64 v[60:61], -v[38:39], v[56:57], 1.0
	v_add_f64 v[32:33], v[32:33], -v[58:59]
	v_add_f64 v[30:31], v[44:45], -v[30:31]
	s_delay_alu instid0(VALU_DEP_3) | instskip(NEXT) | instid1(VALU_DEP_3)
	v_fma_f64 v[56:57], v[56:57], v[60:61], v[56:57]
	v_add_f64 v[32:33], v[32:33], -v[48:49]
	s_delay_alu instid0(VALU_DEP_2) | instskip(NEXT) | instid1(VALU_DEP_2)
	v_fma_f64 v[48:49], -v[38:39], v[56:57], 1.0
	v_add_f64 v[10:11], v[10:11], v[32:33]
	v_div_scale_f64 v[32:33], vcc_lo, v[46:47], v[52:53], v[46:47]
	s_delay_alu instid0(VALU_DEP_3) | instskip(SKIP_1) | instid1(VALU_DEP_4)
	v_fma_f64 v[44:45], v[56:57], v[48:49], v[56:57]
	v_add_f64 v[48:49], v[40:41], v[42:43]
	v_add_f64 v[10:11], v[30:31], v[10:11]
	s_delay_alu instid0(VALU_DEP_3) | instskip(NEXT) | instid1(VALU_DEP_3)
	v_mul_f64 v[30:31], v[32:33], v[44:45]
	v_add_f64 v[40:41], v[48:49], -v[40:41]
	s_delay_alu instid0(VALU_DEP_3) | instskip(NEXT) | instid1(VALU_DEP_3)
	v_add_f64 v[10:11], v[58:59], v[10:11]
	v_fma_f64 v[32:33], -v[38:39], v[30:31], v[32:33]
	s_delay_alu instid0(VALU_DEP_3) | instskip(NEXT) | instid1(VALU_DEP_3)
	v_add_f64 v[38:39], v[42:43], -v[40:41]
	v_mul_f64 v[10:11], v[14:15], v[10:11]
	s_delay_alu instid0(VALU_DEP_3) | instskip(SKIP_1) | instid1(VALU_DEP_3)
	v_div_fmas_f64 v[14:15], v[32:33], v[44:45], v[30:31]
	v_cmp_eq_f64_e32 vcc_lo, 0x7ff00000, v[6:7]
	v_add_f64 v[10:11], v[38:39], v[10:11]
	s_delay_alu instid0(VALU_DEP_3) | instskip(NEXT) | instid1(VALU_DEP_2)
	v_div_fixup_f64 v[14:15], v[14:15], v[52:53], v[46:47]
	v_add_f64 v[30:31], v[48:49], v[10:11]
	s_delay_alu instid0(VALU_DEP_2) | instskip(NEXT) | instid1(VALU_DEP_2)
	v_mul_f64 v[32:33], v[14:15], v[14:15]
	v_mul_f64 v[38:39], v[30:31], v[30:31]
	s_delay_alu instid0(VALU_DEP_2) | instskip(NEXT) | instid1(VALU_DEP_2)
	v_fma_f64 v[40:41], v[32:33], s[42:43], s[40:41]
	v_fma_f64 v[42:43], v[38:39], s[24:25], s[22:23]
	v_mul_f64 v[44:45], v[30:31], v[38:39]
	s_delay_alu instid0(VALU_DEP_3) | instskip(NEXT) | instid1(VALU_DEP_3)
	v_fma_f64 v[40:41], v[32:33], v[40:41], s[44:45]
	v_fma_f64 v[42:43], v[38:39], v[42:43], s[26:27]
	s_delay_alu instid0(VALU_DEP_2) | instskip(NEXT) | instid1(VALU_DEP_2)
	v_fma_f64 v[40:41], v[32:33], v[40:41], s[46:47]
	v_fma_f64 v[42:43], v[38:39], v[42:43], s[28:29]
	s_delay_alu instid0(VALU_DEP_2) | instskip(NEXT) | instid1(VALU_DEP_2)
	;; [unrolled: 3-line block ×4, first 2 shown]
	v_fma_f64 v[40:41], v[32:33], v[40:41], s[52:53]
	v_fma_f64 v[38:39], v[38:39], v[42:43], s[88:89]
	v_ldexp_f64 v[42:43], v[30:31], 1
	v_add_f64 v[30:31], v[30:31], -v[48:49]
	s_delay_alu instid0(VALU_DEP_4) | instskip(NEXT) | instid1(VALU_DEP_4)
	v_fma_f64 v[40:41], v[32:33], v[40:41], s[54:55]
	v_mul_f64 v[38:39], v[44:45], v[38:39]
	v_cvt_f64_i32_e32 v[44:45], v8
	s_delay_alu instid0(VALU_DEP_4) | instskip(NEXT) | instid1(VALU_DEP_4)
	v_add_f64 v[10:11], v[10:11], -v[30:31]
	v_fma_f64 v[40:41], v[32:33], v[40:41], s[56:57]
	v_ashrrev_i32_e32 v8, 31, v3
	s_delay_alu instid0(VALU_DEP_1) | instskip(SKIP_4) | instid1(VALU_DEP_4)
	v_and_b32_e32 v3, 0x400921fb, v8
	v_add_f64 v[46:47], v[42:43], v[38:39]
	v_mul_f64 v[48:49], v[44:45], s[36:37]
	v_ldexp_f64 v[10:11], v[10:11], 1
	v_fma_f64 v[40:41], v[32:33], v[40:41], s[58:59]
	v_add_f64 v[30:31], v[46:47], -v[42:43]
	s_delay_alu instid0(VALU_DEP_4) | instskip(NEXT) | instid1(VALU_DEP_3)
	v_fma_f64 v[42:43], v[44:45], s[36:37], -v[48:49]
	v_fma_f64 v[40:41], v[32:33], v[40:41], s[60:61]
	s_delay_alu instid0(VALU_DEP_3) | instskip(NEXT) | instid1(VALU_DEP_2)
	v_add_f64 v[30:31], v[38:39], -v[30:31]
	v_fma_f64 v[38:39], v[32:33], v[40:41], s[62:63]
	s_delay_alu instid0(VALU_DEP_4) | instskip(NEXT) | instid1(VALU_DEP_3)
	v_fma_f64 v[40:41], v[44:45], s[38:39], v[42:43]
	v_add_f64 v[10:11], v[10:11], v[30:31]
	s_delay_alu instid0(VALU_DEP_3) | instskip(NEXT) | instid1(VALU_DEP_3)
	v_fma_f64 v[30:31], v[32:33], v[38:39], s[64:65]
	v_add_f64 v[38:39], v[48:49], v[40:41]
	s_delay_alu instid0(VALU_DEP_3) | instskip(NEXT) | instid1(VALU_DEP_3)
	v_add_f64 v[42:43], v[46:47], v[10:11]
	v_fma_f64 v[30:31], v[32:33], v[30:31], s[66:67]
	s_delay_alu instid0(VALU_DEP_3) | instskip(NEXT) | instid1(VALU_DEP_3)
	v_add_f64 v[48:49], v[38:39], -v[48:49]
	v_add_f64 v[44:45], v[38:39], v[42:43]
	v_add_f64 v[46:47], v[42:43], -v[46:47]
	s_delay_alu instid0(VALU_DEP_4) | instskip(NEXT) | instid1(VALU_DEP_4)
	v_fma_f64 v[30:31], v[32:33], v[30:31], s[68:69]
	v_add_f64 v[40:41], v[40:41], -v[48:49]
	s_delay_alu instid0(VALU_DEP_4) | instskip(NEXT) | instid1(VALU_DEP_4)
	v_add_f64 v[50:51], v[44:45], -v[38:39]
	v_add_f64 v[10:11], v[10:11], -v[46:47]
	s_delay_alu instid0(VALU_DEP_4) | instskip(NEXT) | instid1(VALU_DEP_3)
	v_fma_f64 v[30:31], v[32:33], v[30:31], s[70:71]
	v_add_f64 v[52:53], v[44:45], -v[50:51]
	v_add_f64 v[42:43], v[42:43], -v[50:51]
	s_delay_alu instid0(VALU_DEP_4) | instskip(NEXT) | instid1(VALU_DEP_4)
	v_add_f64 v[46:47], v[40:41], v[10:11]
	v_fma_f64 v[30:31], v[32:33], v[30:31], s[72:73]
	s_delay_alu instid0(VALU_DEP_4) | instskip(NEXT) | instid1(VALU_DEP_2)
	v_add_f64 v[38:39], v[38:39], -v[52:53]
	v_fma_f64 v[30:31], v[32:33], v[30:31], s[74:75]
	s_delay_alu instid0(VALU_DEP_2) | instskip(SKIP_1) | instid1(VALU_DEP_3)
	v_add_f64 v[38:39], v[42:43], v[38:39]
	v_add_f64 v[42:43], v[46:47], -v[40:41]
	v_fma_f64 v[30:31], v[32:33], v[30:31], s[76:77]
	s_delay_alu instid0(VALU_DEP_3) | instskip(NEXT) | instid1(VALU_DEP_3)
	v_add_f64 v[38:39], v[46:47], v[38:39]
	v_add_f64 v[46:47], v[46:47], -v[42:43]
	v_add_f64 v[10:11], v[10:11], -v[42:43]
	s_delay_alu instid0(VALU_DEP_4) | instskip(NEXT) | instid1(VALU_DEP_4)
	v_fma_f64 v[30:31], v[32:33], v[30:31], s[78:79]
	v_add_f64 v[48:49], v[44:45], v[38:39]
	s_delay_alu instid0(VALU_DEP_2) | instskip(SKIP_1) | instid1(VALU_DEP_3)
	v_mul_f64 v[30:31], v[32:33], v[30:31]
	v_add_f64 v[32:33], v[40:41], -v[46:47]
	v_add_f64 v[40:41], v[48:49], -v[44:45]
	s_delay_alu instid0(VALU_DEP_3) | instskip(NEXT) | instid1(VALU_DEP_3)
	v_fma_f64 v[14:15], v[14:15], v[30:31], v[14:15]
	v_add_f64 v[10:11], v[10:11], v[32:33]
	s_delay_alu instid0(VALU_DEP_3) | instskip(NEXT) | instid1(VALU_DEP_3)
	v_add_f64 v[30:31], v[38:39], -v[40:41]
	v_add_f64 v[32:33], -v[14:15], s[80:81]
	s_delay_alu instid0(VALU_DEP_2) | instskip(NEXT) | instid1(VALU_DEP_2)
	v_add_f64 v[10:11], v[10:11], v[30:31]
	v_cndmask_b32_e64 v15, v15, v33, s0
	s_delay_alu instid0(VALU_DEP_3) | instskip(NEXT) | instid1(VALU_DEP_1)
	v_cndmask_b32_e64 v14, v14, v32, s0
	v_add_f64 v[30:31], -v[14:15], s[10:11]
	s_delay_alu instid0(VALU_DEP_4) | instskip(SKIP_1) | instid1(VALU_DEP_3)
	v_add_f64 v[10:11], v[48:49], v[10:11]
	v_and_b32_e32 v16, 0x54442d18, v8
	v_cndmask_b32_e64 v14, v14, v30, s1
	s_delay_alu instid0(VALU_DEP_4) | instskip(SKIP_3) | instid1(VALU_DEP_2)
	v_cndmask_b32_e64 v8, v15, v31, s1
	v_cmp_nge_f64_e64 s1, -1.0, v[6:7]
	v_dual_cndmask_b32 v11, v11, v7 :: v_dual_cndmask_b32 v10, v10, v6
	v_cmp_eq_f64_e32 vcc_lo, 0, v[4:5]
	v_mul_f64 v[10:11], v[10:11], 0.5
	v_dual_cndmask_b32 v14, v14, v16 :: v_dual_cndmask_b32 v3, v8, v3
	v_cmp_ngt_f64_e32 vcc_lo, -1.0, v[6:7]
	s_delay_alu instid0(VALU_DEP_3) | instskip(SKIP_4) | instid1(VALU_DEP_2)
	v_cndmask_b32_e64 v30, 0, v10, s1
	v_cmp_neq_f64_e64 s1, -1.0, v[6:7]
	v_cndmask_b32_e32 v8, 0x7ff80000, v11, vcc_lo
	s_and_b32 vcc_lo, s4, s3
                                        ; implicit-def: $vgpr10_vgpr11
	v_dual_cndmask_b32 v33, v3, v2 :: v_dual_cndmask_b32 v32, v14, v12
	v_cndmask_b32_e64 v31, 0xfff00000, v8, s1
                                        ; implicit-def: $vgpr14_vgpr15
.LBB174_270:                            ;   in Loop: Header=BB174_162 Depth=1
	s_and_not1_saveexec_b32 s96, s2
	s_cbranch_execz .LBB174_278
; %bb.271:                              ;   in Loop: Header=BB174_162 Depth=1
	v_mul_f64 v[6:7], v[10:11], v[10:11]
                                        ; implicit-def: $vgpr30_vgpr31
	s_mov_b32 s1, exec_lo
	s_delay_alu instid0(VALU_DEP_1) | instskip(NEXT) | instid1(VALU_DEP_1)
	v_fma_f64 v[6:7], v[14:15], v[14:15], v[6:7]
	v_cmpx_ge_f64_e32 s[82:83], v[6:7]
	s_xor_b32 s3, exec_lo, s1
	s_cbranch_execz .LBB174_273
; %bb.272:                              ;   in Loop: Header=BB174_162 Depth=1
	v_frexp_mant_f64_e32 v[10:11], v[6:7]
	v_max_f64 v[40:41], |v[2:3]|, |v[2:3]|
	s_mov_b32 s89, s21
	v_frexp_exp_i32_f64_e32 v8, v[6:7]
	s_mov_b32 s10, s80
	v_cmp_class_f64_e64 s4, v[4:5], 0x204
	v_cmp_class_f64_e64 s5, v[2:3], 0x204
	v_cmp_neq_f64_e64 s2, 0, v[6:7]
	v_cmp_gt_f64_e64 s1, s[20:21], v[10:11]
	s_delay_alu instid0(VALU_DEP_1) | instskip(NEXT) | instid1(VALU_DEP_1)
	v_cndmask_b32_e64 v35, 0x3ff00000, 2.0, s1
	v_mul_f64 v[10:11], v[10:11], v[34:35]
	s_delay_alu instid0(VALU_DEP_1) | instskip(SKIP_1) | instid1(VALU_DEP_2)
	v_add_f64 v[14:15], v[10:11], 1.0
	v_add_f64 v[38:39], v[10:11], -1.0
	v_rcp_f64_e32 v[30:31], v[14:15]
	s_waitcnt_depctr 0xfff
	v_fma_f64 v[32:33], -v[14:15], v[30:31], 1.0
	s_delay_alu instid0(VALU_DEP_1) | instskip(NEXT) | instid1(VALU_DEP_1)
	v_fma_f64 v[30:31], v[32:33], v[30:31], v[30:31]
	v_fma_f64 v[32:33], -v[14:15], v[30:31], 1.0
	s_delay_alu instid0(VALU_DEP_1) | instskip(SKIP_1) | instid1(VALU_DEP_2)
	v_fma_f64 v[30:31], v[32:33], v[30:31], v[30:31]
	v_max_f64 v[32:33], |v[4:5]|, |v[4:5]|
	v_mul_f64 v[42:43], v[38:39], v[30:31]
	s_delay_alu instid0(VALU_DEP_2) | instskip(SKIP_2) | instid1(VALU_DEP_4)
	v_max_f64 v[44:45], v[40:41], v[32:33]
	v_min_f64 v[32:33], v[40:41], v[32:33]
	v_add_f64 v[40:41], v[14:15], -1.0
	v_mul_f64 v[46:47], v[14:15], v[42:43]
	s_delay_alu instid0(VALU_DEP_3) | instskip(NEXT) | instid1(VALU_DEP_3)
	v_div_scale_f64 v[48:49], null, v[44:45], v[44:45], v[32:33]
	v_add_f64 v[10:11], v[10:11], -v[40:41]
	v_div_scale_f64 v[56:57], vcc_lo, v[32:33], v[44:45], v[32:33]
	s_delay_alu instid0(VALU_DEP_4) | instskip(NEXT) | instid1(VALU_DEP_4)
	v_fma_f64 v[14:15], v[42:43], v[14:15], -v[46:47]
	v_rcp_f64_e32 v[40:41], v[48:49]
	s_delay_alu instid0(VALU_DEP_1) | instskip(SKIP_3) | instid1(VALU_DEP_2)
	v_fma_f64 v[10:11], v[42:43], v[10:11], v[14:15]
	s_waitcnt_depctr 0xfff
	v_fma_f64 v[14:15], -v[48:49], v[40:41], 1.0
	v_add_f64 v[50:51], v[46:47], v[10:11]
	v_fma_f64 v[14:15], v[40:41], v[14:15], v[40:41]
	s_delay_alu instid0(VALU_DEP_2) | instskip(SKIP_1) | instid1(VALU_DEP_3)
	v_add_f64 v[40:41], v[38:39], -v[50:51]
	v_add_f64 v[46:47], v[50:51], -v[46:47]
	v_fma_f64 v[52:53], -v[48:49], v[14:15], 1.0
	s_delay_alu instid0(VALU_DEP_3) | instskip(NEXT) | instid1(VALU_DEP_3)
	v_add_f64 v[38:39], v[38:39], -v[40:41]
	v_add_f64 v[10:11], v[46:47], -v[10:11]
	s_delay_alu instid0(VALU_DEP_3) | instskip(NEXT) | instid1(VALU_DEP_3)
	v_fma_f64 v[14:15], v[14:15], v[52:53], v[14:15]
	v_add_f64 v[38:39], v[38:39], -v[50:51]
	s_delay_alu instid0(VALU_DEP_2) | instskip(NEXT) | instid1(VALU_DEP_2)
	v_mul_f64 v[46:47], v[56:57], v[14:15]
	v_add_f64 v[10:11], v[10:11], v[38:39]
	s_delay_alu instid0(VALU_DEP_2) | instskip(NEXT) | instid1(VALU_DEP_2)
	v_fma_f64 v[38:39], -v[48:49], v[46:47], v[56:57]
	v_add_f64 v[10:11], v[40:41], v[10:11]
	s_delay_alu instid0(VALU_DEP_2)
	v_div_fmas_f64 v[14:15], v[38:39], v[14:15], v[46:47]
	v_subrev_co_ci_u32_e64 v8, vcc_lo, 0, v8, s1
	v_cmp_eq_f64_e64 s1, 0, v[4:5]
	v_cmp_gt_i32_e32 vcc_lo, 0, v3
	v_cndmask_b32_e32 v6, 0x3fe921fb, v55, vcc_lo
	v_cndmask_b32_e32 v12, 0x54442d18, v54, vcc_lo
	s_delay_alu instid0(VALU_DEP_2) | instskip(SKIP_2) | instid1(VALU_DEP_2)
	v_bfi_b32 v6, 0x7fffffff, v6, v5
	v_mul_f64 v[10:11], v[30:31], v[10:11]
	v_div_fixup_f64 v[14:15], v[14:15], v[44:45], v[32:33]
	v_add_f64 v[30:31], v[42:43], v[10:11]
	s_delay_alu instid0(VALU_DEP_2) | instskip(NEXT) | instid1(VALU_DEP_2)
	v_mul_f64 v[32:33], v[14:15], v[14:15]
	v_mul_f64 v[38:39], v[30:31], v[30:31]
	s_delay_alu instid0(VALU_DEP_2) | instskip(NEXT) | instid1(VALU_DEP_2)
	v_fma_f64 v[40:41], v[32:33], s[42:43], s[40:41]
	v_fma_f64 v[44:45], v[38:39], s[24:25], s[22:23]
	v_mul_f64 v[46:47], v[30:31], v[38:39]
	s_delay_alu instid0(VALU_DEP_3) | instskip(NEXT) | instid1(VALU_DEP_3)
	v_fma_f64 v[40:41], v[32:33], v[40:41], s[44:45]
	v_fma_f64 v[44:45], v[38:39], v[44:45], s[26:27]
	s_delay_alu instid0(VALU_DEP_2) | instskip(NEXT) | instid1(VALU_DEP_2)
	v_fma_f64 v[40:41], v[32:33], v[40:41], s[46:47]
	v_fma_f64 v[44:45], v[38:39], v[44:45], s[28:29]
	s_delay_alu instid0(VALU_DEP_2) | instskip(NEXT) | instid1(VALU_DEP_2)
	;; [unrolled: 3-line block ×4, first 2 shown]
	v_fma_f64 v[40:41], v[32:33], v[40:41], s[52:53]
	v_fma_f64 v[38:39], v[38:39], v[44:45], s[88:89]
	v_ldexp_f64 v[44:45], v[30:31], 1
	v_add_f64 v[30:31], v[30:31], -v[42:43]
	s_delay_alu instid0(VALU_DEP_4) | instskip(NEXT) | instid1(VALU_DEP_4)
	v_fma_f64 v[40:41], v[32:33], v[40:41], s[54:55]
	v_mul_f64 v[38:39], v[46:47], v[38:39]
	v_cvt_f64_i32_e32 v[46:47], v8
	s_delay_alu instid0(VALU_DEP_4) | instskip(SKIP_2) | instid1(VALU_DEP_2)
	v_add_f64 v[10:11], v[10:11], -v[30:31]
	v_ashrrev_i32_e32 v8, 31, v3
	v_fma_f64 v[40:41], v[32:33], v[40:41], s[56:57]
	v_and_b32_e32 v16, 0x54442d18, v8
	v_and_b32_e32 v7, 0x400921fb, v8
	v_add_f64 v[42:43], v[44:45], v[38:39]
	v_mul_f64 v[48:49], v[46:47], s[36:37]
	v_ldexp_f64 v[10:11], v[10:11], 1
	v_fma_f64 v[40:41], v[32:33], v[40:41], s[58:59]
	s_delay_alu instid0(VALU_DEP_4) | instskip(NEXT) | instid1(VALU_DEP_4)
	v_add_f64 v[30:31], v[42:43], -v[44:45]
	v_fma_f64 v[44:45], v[46:47], s[36:37], -v[48:49]
	s_delay_alu instid0(VALU_DEP_3) | instskip(NEXT) | instid1(VALU_DEP_3)
	v_fma_f64 v[40:41], v[32:33], v[40:41], s[60:61]
	v_add_f64 v[30:31], v[38:39], -v[30:31]
	s_delay_alu instid0(VALU_DEP_2) | instskip(NEXT) | instid1(VALU_DEP_4)
	v_fma_f64 v[38:39], v[32:33], v[40:41], s[62:63]
	v_fma_f64 v[40:41], v[46:47], s[38:39], v[44:45]
	s_delay_alu instid0(VALU_DEP_3) | instskip(NEXT) | instid1(VALU_DEP_3)
	v_add_f64 v[10:11], v[10:11], v[30:31]
	v_fma_f64 v[30:31], v[32:33], v[38:39], s[64:65]
	s_delay_alu instid0(VALU_DEP_3) | instskip(NEXT) | instid1(VALU_DEP_3)
	v_add_f64 v[38:39], v[48:49], v[40:41]
	v_add_f64 v[44:45], v[42:43], v[10:11]
	s_delay_alu instid0(VALU_DEP_3) | instskip(NEXT) | instid1(VALU_DEP_3)
	v_fma_f64 v[30:31], v[32:33], v[30:31], s[66:67]
	v_add_f64 v[48:49], v[38:39], -v[48:49]
	s_delay_alu instid0(VALU_DEP_3) | instskip(SKIP_1) | instid1(VALU_DEP_4)
	v_add_f64 v[46:47], v[38:39], v[44:45]
	v_add_f64 v[42:43], v[44:45], -v[42:43]
	v_fma_f64 v[30:31], v[32:33], v[30:31], s[68:69]
	s_delay_alu instid0(VALU_DEP_4) | instskip(NEXT) | instid1(VALU_DEP_4)
	v_add_f64 v[40:41], v[40:41], -v[48:49]
	v_add_f64 v[50:51], v[46:47], -v[38:39]
	s_delay_alu instid0(VALU_DEP_4) | instskip(NEXT) | instid1(VALU_DEP_4)
	v_add_f64 v[10:11], v[10:11], -v[42:43]
	v_fma_f64 v[30:31], v[32:33], v[30:31], s[70:71]
	s_delay_alu instid0(VALU_DEP_3) | instskip(SKIP_1) | instid1(VALU_DEP_4)
	v_add_f64 v[52:53], v[46:47], -v[50:51]
	v_add_f64 v[42:43], v[44:45], -v[50:51]
	v_add_f64 v[44:45], v[40:41], v[10:11]
	s_delay_alu instid0(VALU_DEP_4) | instskip(NEXT) | instid1(VALU_DEP_4)
	v_fma_f64 v[30:31], v[32:33], v[30:31], s[72:73]
	v_add_f64 v[38:39], v[38:39], -v[52:53]
	s_delay_alu instid0(VALU_DEP_2) | instskip(NEXT) | instid1(VALU_DEP_2)
	v_fma_f64 v[30:31], v[32:33], v[30:31], s[74:75]
	v_add_f64 v[38:39], v[42:43], v[38:39]
	v_add_f64 v[42:43], v[44:45], -v[40:41]
	s_delay_alu instid0(VALU_DEP_3) | instskip(NEXT) | instid1(VALU_DEP_3)
	v_fma_f64 v[30:31], v[32:33], v[30:31], s[76:77]
	v_add_f64 v[38:39], v[44:45], v[38:39]
	s_delay_alu instid0(VALU_DEP_3) | instskip(SKIP_1) | instid1(VALU_DEP_4)
	v_add_f64 v[44:45], v[44:45], -v[42:43]
	v_add_f64 v[10:11], v[10:11], -v[42:43]
	v_fma_f64 v[30:31], v[32:33], v[30:31], s[78:79]
	s_delay_alu instid0(VALU_DEP_4) | instskip(NEXT) | instid1(VALU_DEP_2)
	v_add_f64 v[48:49], v[46:47], v[38:39]
	v_mul_f64 v[30:31], v[32:33], v[30:31]
	v_add_f64 v[32:33], v[40:41], -v[44:45]
	s_delay_alu instid0(VALU_DEP_3) | instskip(NEXT) | instid1(VALU_DEP_3)
	v_add_f64 v[40:41], v[48:49], -v[46:47]
	v_fma_f64 v[14:15], v[14:15], v[30:31], v[14:15]
	s_delay_alu instid0(VALU_DEP_3) | instskip(NEXT) | instid1(VALU_DEP_3)
	v_add_f64 v[10:11], v[10:11], v[32:33]
	v_add_f64 v[30:31], v[38:39], -v[40:41]
	s_delay_alu instid0(VALU_DEP_3) | instskip(NEXT) | instid1(VALU_DEP_2)
	v_add_f64 v[32:33], -v[14:15], s[80:81]
	v_add_f64 v[10:11], v[10:11], v[30:31]
	s_delay_alu instid0(VALU_DEP_2) | instskip(NEXT) | instid1(VALU_DEP_3)
	v_cndmask_b32_e64 v15, v15, v33, s0
	v_cndmask_b32_e64 v14, v14, v32, s0
	s_delay_alu instid0(VALU_DEP_1) | instskip(NEXT) | instid1(VALU_DEP_4)
	v_add_f64 v[30:31], -v[14:15], s[10:11]
	v_add_f64 v[10:11], v[48:49], v[10:11]
	s_delay_alu instid0(VALU_DEP_2) | instskip(NEXT) | instid1(VALU_DEP_3)
	v_cndmask_b32_e32 v14, v14, v30, vcc_lo
	v_cndmask_b32_e32 v8, v15, v31, vcc_lo
	s_and_b32 vcc_lo, s5, s4
	s_delay_alu instid0(VALU_DEP_1) | instskip(NEXT) | instid1(VALU_DEP_1)
	v_cndmask_b32_e64 v7, v8, v7, s1
	v_cndmask_b32_e32 v33, v7, v6, vcc_lo
	v_mul_f64 v[2:3], v[10:11], 0.5
	v_cndmask_b32_e64 v10, v14, v16, s1
                                        ; implicit-def: $vgpr14_vgpr15
	s_delay_alu instid0(VALU_DEP_1) | instskip(NEXT) | instid1(VALU_DEP_3)
	v_cndmask_b32_e32 v32, v10, v12, vcc_lo
                                        ; implicit-def: $vgpr10_vgpr11
	v_cndmask_b32_e64 v31, 0xfff00000, v3, s2
	s_delay_alu instid0(VALU_DEP_4)
	v_cndmask_b32_e64 v30, 0, v2, s2
.LBB174_273:                            ;   in Loop: Header=BB174_162 Depth=1
	s_and_not1_saveexec_b32 s97, s3
	s_cbranch_execz .LBB174_277
; %bb.274:                              ;   in Loop: Header=BB174_162 Depth=1
	v_dual_mov_b32 v30, v34 :: v_dual_and_b32 v35, 0x7ffffff8, v15
	v_dual_mov_b32 v32, v34 :: v_dual_and_b32 v31, 0x7ffffff8, v11
	s_mov_b32 s89, 0
	s_delay_alu instid0(VALU_DEP_2) | instskip(SKIP_1) | instid1(VALU_DEP_3)
	v_add_f64 v[6:7], v[14:15], -v[34:35]
	v_mov_b32_e32 v38, v34
	v_add_f64 v[10:11], v[10:11], -v[30:31]
	v_add_f64 v[40:41], v[34:35], v[34:35]
	v_add_f64 v[48:49], v[30:31], v[30:31]
	v_mul_f64 v[30:31], v[30:31], v[30:31]
	v_and_b32_e32 v33, -8, v7
	v_and_b32_e32 v39, -8, v11
	s_delay_alu instid0(VALU_DEP_2) | instskip(SKIP_1) | instid1(VALU_DEP_3)
	v_add_f64 v[50:51], v[6:7], -v[32:33]
	v_add_f64 v[56:57], v[32:33], v[32:33]
	v_add_f64 v[52:53], v[10:11], -v[38:39]
	v_add_f64 v[58:59], v[38:39], v[38:39]
	v_mul_f64 v[6:7], v[34:35], v[34:35]
	v_mul_f64 v[46:47], v[40:41], v[32:33]
	;; [unrolled: 1-line block ×11, first 2 shown]
.LBB174_275:                            ;   Parent Loop BB174_162 Depth=1
                                        ; =>  This Inner Loop Header: Depth=2
	v_cmp_nlt_f64_e32 vcc_lo, v[6:7], v[30:31]
	v_dual_cndmask_b32 v53, v7, v31 :: v_dual_cndmask_b32 v52, v6, v30
	v_dual_cndmask_b32 v7, v31, v7 :: v_dual_cndmask_b32 v6, v30, v6
	s_delay_alu instid0(VALU_DEP_2) | instskip(NEXT) | instid1(VALU_DEP_1)
	v_cmp_nlt_f64_e64 s1, v[52:53], v[46:47]
	v_cndmask_b32_e64 v57, v53, v47, s1
	v_cndmask_b32_e64 v56, v52, v46, s1
	;; [unrolled: 1-line block ×4, first 2 shown]
	s_and_b32 s1, vcc_lo, s1
	s_delay_alu instid0(VALU_DEP_3) | instskip(NEXT) | instid1(VALU_DEP_1)
	v_cmp_nlt_f64_e64 s2, v[56:57], v[14:15]
	v_cndmask_b32_e64 v59, v57, v15, s2
	v_cndmask_b32_e64 v58, v56, v14, s2
	;; [unrolled: 1-line block ×4, first 2 shown]
	s_delay_alu instid0(VALU_DEP_3) | instskip(NEXT) | instid1(VALU_DEP_1)
	v_cmp_nlt_f64_e64 s3, v[58:59], v[44:45]
	v_cndmask_b32_e64 v61, v59, v45, s3
	v_cndmask_b32_e64 v60, v58, v44, s3
	;; [unrolled: 1-line block ×4, first 2 shown]
	s_and_b32 s2, s2, s3
	s_delay_alu instid0(VALU_DEP_3) | instskip(NEXT) | instid1(VALU_DEP_1)
	v_cmp_nlt_f64_e64 s4, v[60:61], v[10:11]
	v_cndmask_b32_e64 v63, v61, v11, s4
	v_cndmask_b32_e64 v62, v60, v10, s4
	;; [unrolled: 1-line block ×4, first 2 shown]
	s_delay_alu instid0(VALU_DEP_3) | instskip(NEXT) | instid1(VALU_DEP_1)
	v_cmp_nlt_f64_e64 s5, v[62:63], v[42:43]
	v_cndmask_b32_e64 v65, v63, v43, s5
	v_cndmask_b32_e64 v64, v62, v42, s5
	s_and_b32 s3, s4, s5
	v_cndmask_b32_e64 v11, v43, v63, s5
	v_cndmask_b32_e64 v10, v42, v62, s5
	s_delay_alu instid0(VALU_DEP_3) | instskip(NEXT) | instid1(VALU_DEP_1)
	v_cmp_nlt_f64_e64 s6, v[64:65], v[40:41]
	v_cndmask_b32_e64 v67, v65, v41, s6
	v_cndmask_b32_e64 v66, v64, v40, s6
	s_and_b32 s3, s3, s6
	v_cndmask_b32_e64 v43, v41, v65, s6
	v_cndmask_b32_e64 v42, v40, v64, s6
	;; [unrolled: 7-line block ×5, first 2 shown]
	s_delay_alu instid0(VALU_DEP_3) | instskip(NEXT) | instid1(VALU_DEP_1)
	v_cmp_nlt_f64_e64 s10, v[72:73], v[50:51]
	v_cndmask_b32_e64 v53, v73, v51, s10
	v_cndmask_b32_e64 v52, v72, v50, s10
	s_and_b32 s3, s3, s10
	v_cndmask_b32_e64 v49, v51, v73, s10
	s_and_b32 s2, s3, s2
	;; [unrolled: 2-line block ×3, first 2 shown]
	v_dual_mov_b32 v50, v52 :: v_dual_mov_b32 v51, v53
	s_and_b32 s1, exec_lo, s1
	s_delay_alu instid0(SALU_CYCLE_1) | instskip(NEXT) | instid1(SALU_CYCLE_1)
	s_or_b32 s89, s1, s89
	s_and_not1_b32 exec_lo, exec_lo, s89
	s_cbranch_execnz .LBB174_275
; %bb.276:                              ;   in Loop: Header=BB174_162 Depth=1
	s_or_b32 exec_lo, exec_lo, s89
	v_add_f64 v[6:7], v[6:7], -1.0
	s_mov_b32 s89, s21
	s_mov_b32 s10, s80
	v_cmp_gt_i32_e64 s1, 0, v3
	v_cmp_class_f64_e64 s3, v[2:3], 0x204
	v_cmp_class_f64_e64 s2, v[4:5], 0x204
	s_delay_alu instid0(VALU_DEP_4) | instskip(NEXT) | instid1(VALU_DEP_1)
	v_add_f64 v[6:7], v[6:7], v[30:31]
	v_add_f64 v[6:7], v[6:7], v[46:47]
	s_delay_alu instid0(VALU_DEP_1) | instskip(NEXT) | instid1(VALU_DEP_1)
	v_add_f64 v[6:7], v[6:7], v[14:15]
	v_add_f64 v[6:7], v[6:7], v[44:45]
	s_delay_alu instid0(VALU_DEP_1) | instskip(NEXT) | instid1(VALU_DEP_1)
	;; [unrolled: 3-line block ×5, first 2 shown]
	v_add_f64 v[6:7], v[52:53], v[6:7]
	v_add_f64 v[10:11], v[6:7], 1.0
	s_delay_alu instid0(VALU_DEP_1) | instskip(SKIP_2) | instid1(VALU_DEP_3)
	v_frexp_mant_f64_e32 v[14:15], v[10:11]
	v_frexp_exp_i32_f64_e32 v8, v[10:11]
	v_add_f64 v[30:31], v[10:11], -1.0
	v_cmp_gt_f64_e32 vcc_lo, s[20:21], v[14:15]
	s_delay_alu instid0(VALU_DEP_2) | instskip(SKIP_2) | instid1(VALU_DEP_3)
	v_add_f64 v[14:15], v[30:31], -v[10:11]
	v_add_f64 v[30:31], v[6:7], -v[30:31]
	v_subrev_co_ci_u32_e32 v8, vcc_lo, 0, v8, vcc_lo
	v_add_f64 v[14:15], v[14:15], 1.0
	s_delay_alu instid0(VALU_DEP_2) | instskip(NEXT) | instid1(VALU_DEP_1)
	v_sub_nc_u32_e32 v12, 0, v8
	v_ldexp_f64 v[10:11], v[10:11], v12
	s_delay_alu instid0(VALU_DEP_3) | instskip(NEXT) | instid1(VALU_DEP_2)
	v_add_f64 v[14:15], v[30:31], v[14:15]
	v_add_f64 v[32:33], v[10:11], 1.0
	v_add_f64 v[42:43], v[10:11], -1.0
	s_delay_alu instid0(VALU_DEP_3) | instskip(SKIP_1) | instid1(VALU_DEP_4)
	v_ldexp_f64 v[14:15], v[14:15], v12
	v_cndmask_b32_e64 v12, 0x54442d18, v54, s1
	v_add_f64 v[30:31], v[32:33], -1.0
	s_delay_alu instid0(VALU_DEP_4) | instskip(NEXT) | instid1(VALU_DEP_2)
	v_add_f64 v[44:45], v[42:43], 1.0
	v_add_f64 v[30:31], v[10:11], -v[30:31]
	s_delay_alu instid0(VALU_DEP_2) | instskip(NEXT) | instid1(VALU_DEP_2)
	v_add_f64 v[10:11], v[10:11], -v[44:45]
	v_add_f64 v[30:31], v[14:15], v[30:31]
	s_delay_alu instid0(VALU_DEP_2) | instskip(NEXT) | instid1(VALU_DEP_2)
	v_add_f64 v[10:11], v[14:15], v[10:11]
	v_add_f64 v[38:39], v[32:33], v[30:31]
	s_delay_alu instid0(VALU_DEP_2) | instskip(NEXT) | instid1(VALU_DEP_2)
	v_add_f64 v[44:45], v[42:43], v[10:11]
	v_rcp_f64_e32 v[40:41], v[38:39]
	v_add_f64 v[32:33], v[38:39], -v[32:33]
	s_delay_alu instid0(VALU_DEP_2) | instskip(NEXT) | instid1(VALU_DEP_2)
	v_add_f64 v[42:43], v[44:45], -v[42:43]
	v_add_f64 v[30:31], v[30:31], -v[32:33]
	s_waitcnt_depctr 0xfff
	v_fma_f64 v[46:47], -v[38:39], v[40:41], 1.0
	v_add_f64 v[10:11], v[10:11], -v[42:43]
	s_delay_alu instid0(VALU_DEP_2) | instskip(NEXT) | instid1(VALU_DEP_1)
	v_fma_f64 v[40:41], v[46:47], v[40:41], v[40:41]
	v_fma_f64 v[14:15], -v[38:39], v[40:41], 1.0
	s_delay_alu instid0(VALU_DEP_1) | instskip(NEXT) | instid1(VALU_DEP_1)
	v_fma_f64 v[14:15], v[14:15], v[40:41], v[40:41]
	v_mul_f64 v[40:41], v[44:45], v[14:15]
	s_delay_alu instid0(VALU_DEP_1) | instskip(NEXT) | instid1(VALU_DEP_1)
	v_mul_f64 v[46:47], v[38:39], v[40:41]
	v_fma_f64 v[32:33], v[40:41], v[38:39], -v[46:47]
	s_delay_alu instid0(VALU_DEP_1) | instskip(NEXT) | instid1(VALU_DEP_1)
	v_fma_f64 v[32:33], v[40:41], v[30:31], v[32:33]
	v_add_f64 v[48:49], v[46:47], v[32:33]
	s_delay_alu instid0(VALU_DEP_1) | instskip(SKIP_2) | instid1(VALU_DEP_3)
	v_add_f64 v[50:51], v[44:45], -v[48:49]
	v_add_f64 v[42:43], v[48:49], -v[46:47]
	v_max_f64 v[46:47], |v[4:5]|, |v[4:5]|
	v_add_f64 v[44:45], v[44:45], -v[50:51]
	s_delay_alu instid0(VALU_DEP_3) | instskip(NEXT) | instid1(VALU_DEP_2)
	v_add_f64 v[32:33], v[42:43], -v[32:33]
	v_add_f64 v[44:45], v[44:45], -v[48:49]
	v_max_f64 v[48:49], |v[2:3]|, |v[2:3]|
	v_cndmask_b32_e64 v2, 0x3fe921fb, v55, s1
	s_delay_alu instid0(VALU_DEP_1) | instskip(NEXT) | instid1(VALU_DEP_4)
	v_bfi_b32 v2, 0x7fffffff, v2, v5
	v_add_f64 v[10:11], v[10:11], v[44:45]
	s_delay_alu instid0(VALU_DEP_4) | instskip(SKIP_1) | instid1(VALU_DEP_3)
	v_max_f64 v[52:53], v[48:49], v[46:47]
	v_min_f64 v[46:47], v[48:49], v[46:47]
	v_add_f64 v[10:11], v[32:33], v[10:11]
	s_delay_alu instid0(VALU_DEP_1) | instskip(NEXT) | instid1(VALU_DEP_1)
	v_add_f64 v[32:33], v[50:51], v[10:11]
	v_mul_f64 v[42:43], v[14:15], v[32:33]
	v_add_f64 v[50:51], v[50:51], -v[32:33]
	s_delay_alu instid0(VALU_DEP_2) | instskip(NEXT) | instid1(VALU_DEP_2)
	v_mul_f64 v[44:45], v[38:39], v[42:43]
	v_add_f64 v[10:11], v[10:11], v[50:51]
	s_delay_alu instid0(VALU_DEP_2) | instskip(NEXT) | instid1(VALU_DEP_1)
	v_fma_f64 v[38:39], v[42:43], v[38:39], -v[44:45]
	v_fma_f64 v[30:31], v[42:43], v[30:31], v[38:39]
	v_div_scale_f64 v[38:39], null, v[52:53], v[52:53], v[46:47]
	s_delay_alu instid0(VALU_DEP_2) | instskip(NEXT) | instid1(VALU_DEP_2)
	v_add_f64 v[48:49], v[44:45], v[30:31]
	v_rcp_f64_e32 v[56:57], v[38:39]
	s_delay_alu instid0(VALU_DEP_1)
	v_add_f64 v[58:59], v[32:33], -v[48:49]
	v_add_f64 v[44:45], v[48:49], -v[44:45]
	s_waitcnt_depctr 0xfff
	v_fma_f64 v[60:61], -v[38:39], v[56:57], 1.0
	v_add_f64 v[32:33], v[32:33], -v[58:59]
	v_add_f64 v[30:31], v[44:45], -v[30:31]
	s_delay_alu instid0(VALU_DEP_3) | instskip(NEXT) | instid1(VALU_DEP_3)
	v_fma_f64 v[56:57], v[56:57], v[60:61], v[56:57]
	v_add_f64 v[32:33], v[32:33], -v[48:49]
	s_delay_alu instid0(VALU_DEP_2) | instskip(NEXT) | instid1(VALU_DEP_2)
	v_fma_f64 v[48:49], -v[38:39], v[56:57], 1.0
	v_add_f64 v[10:11], v[10:11], v[32:33]
	v_div_scale_f64 v[32:33], vcc_lo, v[46:47], v[52:53], v[46:47]
	s_delay_alu instid0(VALU_DEP_3) | instskip(SKIP_1) | instid1(VALU_DEP_4)
	v_fma_f64 v[44:45], v[56:57], v[48:49], v[56:57]
	v_add_f64 v[48:49], v[40:41], v[42:43]
	v_add_f64 v[10:11], v[30:31], v[10:11]
	s_delay_alu instid0(VALU_DEP_3) | instskip(NEXT) | instid1(VALU_DEP_3)
	v_mul_f64 v[30:31], v[32:33], v[44:45]
	v_add_f64 v[40:41], v[48:49], -v[40:41]
	s_delay_alu instid0(VALU_DEP_3) | instskip(NEXT) | instid1(VALU_DEP_3)
	v_add_f64 v[10:11], v[58:59], v[10:11]
	v_fma_f64 v[32:33], -v[38:39], v[30:31], v[32:33]
	s_delay_alu instid0(VALU_DEP_3) | instskip(NEXT) | instid1(VALU_DEP_3)
	v_add_f64 v[38:39], v[42:43], -v[40:41]
	v_mul_f64 v[10:11], v[14:15], v[10:11]
	s_delay_alu instid0(VALU_DEP_3) | instskip(SKIP_1) | instid1(VALU_DEP_3)
	v_div_fmas_f64 v[14:15], v[32:33], v[44:45], v[30:31]
	v_cmp_eq_f64_e32 vcc_lo, 0x7ff00000, v[6:7]
	v_add_f64 v[10:11], v[38:39], v[10:11]
	s_delay_alu instid0(VALU_DEP_3) | instskip(NEXT) | instid1(VALU_DEP_2)
	v_div_fixup_f64 v[14:15], v[14:15], v[52:53], v[46:47]
	v_add_f64 v[30:31], v[48:49], v[10:11]
	s_delay_alu instid0(VALU_DEP_2) | instskip(NEXT) | instid1(VALU_DEP_2)
	v_mul_f64 v[32:33], v[14:15], v[14:15]
	v_mul_f64 v[38:39], v[30:31], v[30:31]
	s_delay_alu instid0(VALU_DEP_2) | instskip(NEXT) | instid1(VALU_DEP_2)
	v_fma_f64 v[40:41], v[32:33], s[42:43], s[40:41]
	v_fma_f64 v[42:43], v[38:39], s[24:25], s[22:23]
	v_mul_f64 v[44:45], v[30:31], v[38:39]
	s_delay_alu instid0(VALU_DEP_3) | instskip(NEXT) | instid1(VALU_DEP_3)
	v_fma_f64 v[40:41], v[32:33], v[40:41], s[44:45]
	v_fma_f64 v[42:43], v[38:39], v[42:43], s[26:27]
	s_delay_alu instid0(VALU_DEP_2) | instskip(NEXT) | instid1(VALU_DEP_2)
	v_fma_f64 v[40:41], v[32:33], v[40:41], s[46:47]
	v_fma_f64 v[42:43], v[38:39], v[42:43], s[28:29]
	s_delay_alu instid0(VALU_DEP_2) | instskip(NEXT) | instid1(VALU_DEP_2)
	;; [unrolled: 3-line block ×4, first 2 shown]
	v_fma_f64 v[40:41], v[32:33], v[40:41], s[52:53]
	v_fma_f64 v[38:39], v[38:39], v[42:43], s[88:89]
	v_ldexp_f64 v[42:43], v[30:31], 1
	v_add_f64 v[30:31], v[30:31], -v[48:49]
	s_delay_alu instid0(VALU_DEP_4) | instskip(NEXT) | instid1(VALU_DEP_4)
	v_fma_f64 v[40:41], v[32:33], v[40:41], s[54:55]
	v_mul_f64 v[38:39], v[44:45], v[38:39]
	v_cvt_f64_i32_e32 v[44:45], v8
	s_delay_alu instid0(VALU_DEP_4) | instskip(NEXT) | instid1(VALU_DEP_4)
	v_add_f64 v[10:11], v[10:11], -v[30:31]
	v_fma_f64 v[40:41], v[32:33], v[40:41], s[56:57]
	v_ashrrev_i32_e32 v8, 31, v3
	s_delay_alu instid0(VALU_DEP_1) | instskip(SKIP_4) | instid1(VALU_DEP_4)
	v_and_b32_e32 v3, 0x400921fb, v8
	v_add_f64 v[46:47], v[42:43], v[38:39]
	v_mul_f64 v[48:49], v[44:45], s[36:37]
	v_ldexp_f64 v[10:11], v[10:11], 1
	v_fma_f64 v[40:41], v[32:33], v[40:41], s[58:59]
	v_add_f64 v[30:31], v[46:47], -v[42:43]
	s_delay_alu instid0(VALU_DEP_4) | instskip(NEXT) | instid1(VALU_DEP_3)
	v_fma_f64 v[42:43], v[44:45], s[36:37], -v[48:49]
	v_fma_f64 v[40:41], v[32:33], v[40:41], s[60:61]
	s_delay_alu instid0(VALU_DEP_3) | instskip(NEXT) | instid1(VALU_DEP_2)
	v_add_f64 v[30:31], v[38:39], -v[30:31]
	v_fma_f64 v[38:39], v[32:33], v[40:41], s[62:63]
	s_delay_alu instid0(VALU_DEP_4) | instskip(NEXT) | instid1(VALU_DEP_3)
	v_fma_f64 v[40:41], v[44:45], s[38:39], v[42:43]
	v_add_f64 v[10:11], v[10:11], v[30:31]
	s_delay_alu instid0(VALU_DEP_3) | instskip(NEXT) | instid1(VALU_DEP_3)
	v_fma_f64 v[30:31], v[32:33], v[38:39], s[64:65]
	v_add_f64 v[38:39], v[48:49], v[40:41]
	s_delay_alu instid0(VALU_DEP_3) | instskip(NEXT) | instid1(VALU_DEP_3)
	v_add_f64 v[42:43], v[46:47], v[10:11]
	v_fma_f64 v[30:31], v[32:33], v[30:31], s[66:67]
	s_delay_alu instid0(VALU_DEP_3) | instskip(NEXT) | instid1(VALU_DEP_3)
	v_add_f64 v[48:49], v[38:39], -v[48:49]
	v_add_f64 v[44:45], v[38:39], v[42:43]
	v_add_f64 v[46:47], v[42:43], -v[46:47]
	s_delay_alu instid0(VALU_DEP_4) | instskip(NEXT) | instid1(VALU_DEP_4)
	v_fma_f64 v[30:31], v[32:33], v[30:31], s[68:69]
	v_add_f64 v[40:41], v[40:41], -v[48:49]
	s_delay_alu instid0(VALU_DEP_4) | instskip(NEXT) | instid1(VALU_DEP_4)
	v_add_f64 v[50:51], v[44:45], -v[38:39]
	v_add_f64 v[10:11], v[10:11], -v[46:47]
	s_delay_alu instid0(VALU_DEP_4) | instskip(NEXT) | instid1(VALU_DEP_3)
	v_fma_f64 v[30:31], v[32:33], v[30:31], s[70:71]
	v_add_f64 v[52:53], v[44:45], -v[50:51]
	v_add_f64 v[42:43], v[42:43], -v[50:51]
	s_delay_alu instid0(VALU_DEP_4) | instskip(NEXT) | instid1(VALU_DEP_4)
	v_add_f64 v[46:47], v[40:41], v[10:11]
	v_fma_f64 v[30:31], v[32:33], v[30:31], s[72:73]
	s_delay_alu instid0(VALU_DEP_4) | instskip(NEXT) | instid1(VALU_DEP_2)
	v_add_f64 v[38:39], v[38:39], -v[52:53]
	v_fma_f64 v[30:31], v[32:33], v[30:31], s[74:75]
	s_delay_alu instid0(VALU_DEP_2) | instskip(SKIP_1) | instid1(VALU_DEP_3)
	v_add_f64 v[38:39], v[42:43], v[38:39]
	v_add_f64 v[42:43], v[46:47], -v[40:41]
	v_fma_f64 v[30:31], v[32:33], v[30:31], s[76:77]
	s_delay_alu instid0(VALU_DEP_3) | instskip(NEXT) | instid1(VALU_DEP_3)
	v_add_f64 v[38:39], v[46:47], v[38:39]
	v_add_f64 v[46:47], v[46:47], -v[42:43]
	v_add_f64 v[10:11], v[10:11], -v[42:43]
	s_delay_alu instid0(VALU_DEP_4) | instskip(NEXT) | instid1(VALU_DEP_4)
	v_fma_f64 v[30:31], v[32:33], v[30:31], s[78:79]
	v_add_f64 v[48:49], v[44:45], v[38:39]
	s_delay_alu instid0(VALU_DEP_2) | instskip(SKIP_1) | instid1(VALU_DEP_3)
	v_mul_f64 v[30:31], v[32:33], v[30:31]
	v_add_f64 v[32:33], v[40:41], -v[46:47]
	v_add_f64 v[40:41], v[48:49], -v[44:45]
	s_delay_alu instid0(VALU_DEP_3) | instskip(NEXT) | instid1(VALU_DEP_3)
	v_fma_f64 v[14:15], v[14:15], v[30:31], v[14:15]
	v_add_f64 v[10:11], v[10:11], v[32:33]
	s_delay_alu instid0(VALU_DEP_3) | instskip(NEXT) | instid1(VALU_DEP_3)
	v_add_f64 v[30:31], v[38:39], -v[40:41]
	v_add_f64 v[32:33], -v[14:15], s[80:81]
	s_delay_alu instid0(VALU_DEP_2) | instskip(NEXT) | instid1(VALU_DEP_2)
	v_add_f64 v[10:11], v[10:11], v[30:31]
	v_cndmask_b32_e64 v15, v15, v33, s0
	s_delay_alu instid0(VALU_DEP_3) | instskip(NEXT) | instid1(VALU_DEP_1)
	v_cndmask_b32_e64 v14, v14, v32, s0
	v_add_f64 v[30:31], -v[14:15], s[10:11]
	s_delay_alu instid0(VALU_DEP_4) | instskip(SKIP_1) | instid1(VALU_DEP_3)
	v_add_f64 v[10:11], v[48:49], v[10:11]
	v_and_b32_e32 v16, 0x54442d18, v8
	v_cndmask_b32_e64 v14, v14, v30, s1
	s_delay_alu instid0(VALU_DEP_4) | instskip(SKIP_3) | instid1(VALU_DEP_2)
	v_cndmask_b32_e64 v8, v15, v31, s1
	v_cmp_nge_f64_e64 s1, -1.0, v[6:7]
	v_dual_cndmask_b32 v11, v11, v7 :: v_dual_cndmask_b32 v10, v10, v6
	v_cmp_eq_f64_e32 vcc_lo, 0, v[4:5]
	v_mul_f64 v[10:11], v[10:11], 0.5
	v_dual_cndmask_b32 v14, v14, v16 :: v_dual_cndmask_b32 v3, v8, v3
	v_cmp_ngt_f64_e32 vcc_lo, -1.0, v[6:7]
	s_delay_alu instid0(VALU_DEP_3) | instskip(SKIP_4) | instid1(VALU_DEP_2)
	v_cndmask_b32_e64 v30, 0, v10, s1
	v_cmp_neq_f64_e64 s1, -1.0, v[6:7]
	v_cndmask_b32_e32 v8, 0x7ff80000, v11, vcc_lo
	s_and_b32 vcc_lo, s3, s2
	v_dual_cndmask_b32 v33, v3, v2 :: v_dual_cndmask_b32 v32, v14, v12
	v_cndmask_b32_e64 v31, 0xfff00000, v8, s1
.LBB174_277:                            ;   in Loop: Header=BB174_162 Depth=1
	s_or_b32 exec_lo, exec_lo, s97
.LBB174_278:                            ;   in Loop: Header=BB174_162 Depth=1
	s_delay_alu instid0(SALU_CYCLE_1)
	s_or_b32 exec_lo, exec_lo, s96
.LBB174_279:                            ;   in Loop: Header=BB174_162 Depth=1
	s_and_not1_saveexec_b32 s3, s95
	s_cbranch_execz .LBB174_281
; %bb.280:                              ;   in Loop: Header=BB174_162 Depth=1
	v_max_f64 v[6:7], |v[4:5]|, |v[4:5]|
	v_max_f64 v[10:11], |v[2:3]|, |v[2:3]|
	v_cmp_class_f64_e64 s4, v[2:3], 0x204
	v_cmp_class_f64_e64 s5, v[4:5], 0x204
	s_mov_b32 s89, s21
	s_mov_b32 s10, s80
	v_cmp_eq_f64_e64 s2, 0, v[4:5]
	s_delay_alu instid0(VALU_DEP_4) | instskip(SKIP_1) | instid1(VALU_DEP_4)
	v_max_f64 v[14:15], v[10:11], v[6:7]
	v_min_f64 v[6:7], v[10:11], v[6:7]
	s_or_b32 s6, s4, s5
	s_delay_alu instid0(VALU_DEP_2) | instskip(NEXT) | instid1(VALU_DEP_1)
	v_frexp_exp_i32_f64_e32 v8, v[14:15]
	v_sub_nc_u32_e32 v12, 0, v8
	s_delay_alu instid0(VALU_DEP_1) | instskip(SKIP_1) | instid1(VALU_DEP_2)
	v_ldexp_f64 v[30:31], |v[4:5]|, v12
	v_ldexp_f64 v[32:33], |v[2:3]|, v12
	v_mul_f64 v[30:31], v[30:31], v[30:31]
	s_delay_alu instid0(VALU_DEP_1) | instskip(NEXT) | instid1(VALU_DEP_1)
	v_fma_f64 v[30:31], v[32:33], v[32:33], v[30:31]
	v_rsq_f64_e32 v[32:33], v[30:31]
	v_cmp_eq_f64_e32 vcc_lo, 0, v[30:31]
	s_waitcnt_depctr 0xfff
	v_mul_f64 v[38:39], v[30:31], v[32:33]
	v_mul_f64 v[32:33], v[32:33], 0.5
	s_delay_alu instid0(VALU_DEP_1) | instskip(NEXT) | instid1(VALU_DEP_1)
	v_fma_f64 v[40:41], -v[32:33], v[38:39], 0.5
	v_fma_f64 v[38:39], v[38:39], v[40:41], v[38:39]
	v_fma_f64 v[32:33], v[32:33], v[40:41], v[32:33]
	s_delay_alu instid0(VALU_DEP_2) | instskip(NEXT) | instid1(VALU_DEP_1)
	v_fma_f64 v[40:41], -v[38:39], v[38:39], v[30:31]
	v_fma_f64 v[32:33], v[40:41], v[32:33], v[38:39]
	s_delay_alu instid0(VALU_DEP_1) | instskip(SKIP_1) | instid1(VALU_DEP_2)
	v_dual_cndmask_b32 v31, v33, v31 :: v_dual_cndmask_b32 v30, v32, v30
	v_div_scale_f64 v[58:59], vcc_lo, v[6:7], v[14:15], v[6:7]
	v_ldexp_f64 v[30:31], v[30:31], v8
	s_delay_alu instid0(VALU_DEP_1) | instskip(NEXT) | instid1(VALU_DEP_2)
	v_cndmask_b32_e64 v39, v31, 0x7ff00000, s6
	v_cndmask_b32_e64 v38, v30, 0, s6
	s_delay_alu instid0(VALU_DEP_1) | instskip(SKIP_1) | instid1(VALU_DEP_2)
	v_frexp_mant_f64_e32 v[32:33], v[38:39]
	v_frexp_exp_i32_f64_e32 v2, v[38:39]
	v_cmp_gt_f64_e64 s1, s[20:21], v[32:33]
	s_delay_alu instid0(VALU_DEP_1) | instskip(NEXT) | instid1(VALU_DEP_1)
	v_cndmask_b32_e64 v35, 0x3ff00000, 2.0, s1
	v_mul_f64 v[32:33], v[32:33], v[34:35]
	s_delay_alu instid0(VALU_DEP_1) | instskip(SKIP_1) | instid1(VALU_DEP_2)
	v_add_f64 v[40:41], v[32:33], 1.0
	v_add_f64 v[46:47], v[32:33], -1.0
	v_rcp_f64_e32 v[42:43], v[40:41]
	v_add_f64 v[48:49], v[40:41], -1.0
	s_delay_alu instid0(VALU_DEP_1) | instskip(SKIP_2) | instid1(VALU_DEP_1)
	v_add_f64 v[32:33], v[32:33], -v[48:49]
	s_waitcnt_depctr 0xfff
	v_fma_f64 v[44:45], -v[40:41], v[42:43], 1.0
	v_fma_f64 v[42:43], v[44:45], v[42:43], v[42:43]
	s_delay_alu instid0(VALU_DEP_1) | instskip(NEXT) | instid1(VALU_DEP_1)
	v_fma_f64 v[44:45], -v[40:41], v[42:43], 1.0
	v_fma_f64 v[42:43], v[44:45], v[42:43], v[42:43]
	v_div_scale_f64 v[44:45], null, v[14:15], v[14:15], v[6:7]
	s_delay_alu instid0(VALU_DEP_2) | instskip(NEXT) | instid1(VALU_DEP_2)
	v_mul_f64 v[10:11], v[46:47], v[42:43]
	v_rcp_f64_e32 v[52:53], v[44:45]
	s_delay_alu instid0(VALU_DEP_1) | instskip(SKIP_3) | instid1(VALU_DEP_1)
	v_mul_f64 v[50:51], v[40:41], v[10:11]
	s_waitcnt_depctr 0xfff
	v_fma_f64 v[48:49], -v[44:45], v[52:53], 1.0
	v_fma_f64 v[40:41], v[10:11], v[40:41], -v[50:51]
	v_fma_f64 v[32:33], v[10:11], v[32:33], v[40:41]
	s_delay_alu instid0(VALU_DEP_3) | instskip(NEXT) | instid1(VALU_DEP_2)
	v_fma_f64 v[40:41], v[52:53], v[48:49], v[52:53]
	v_add_f64 v[48:49], v[50:51], v[32:33]
	s_delay_alu instid0(VALU_DEP_2) | instskip(NEXT) | instid1(VALU_DEP_2)
	v_fma_f64 v[52:53], -v[44:45], v[40:41], 1.0
	v_add_f64 v[56:57], v[46:47], -v[48:49]
	s_delay_alu instid0(VALU_DEP_2) | instskip(SKIP_1) | instid1(VALU_DEP_3)
	v_fma_f64 v[40:41], v[40:41], v[52:53], v[40:41]
	v_add_f64 v[50:51], v[48:49], -v[50:51]
	v_add_f64 v[46:47], v[46:47], -v[56:57]
	s_delay_alu instid0(VALU_DEP_3) | instskip(NEXT) | instid1(VALU_DEP_3)
	v_mul_f64 v[52:53], v[58:59], v[40:41]
	v_add_f64 v[32:33], v[50:51], -v[32:33]
	s_delay_alu instid0(VALU_DEP_3) | instskip(NEXT) | instid1(VALU_DEP_3)
	v_add_f64 v[46:47], v[46:47], -v[48:49]
	v_fma_f64 v[44:45], -v[44:45], v[52:53], v[58:59]
	s_delay_alu instid0(VALU_DEP_2) | instskip(NEXT) | instid1(VALU_DEP_2)
	v_add_f64 v[32:33], v[32:33], v[46:47]
	v_div_fmas_f64 v[40:41], v[44:45], v[40:41], v[52:53]
	v_subrev_co_ci_u32_e64 v2, vcc_lo, 0, v2, s1
	v_cmp_class_f64_e64 s1, v[30:31], 0x204
	v_cmp_gt_i32_e32 vcc_lo, 0, v3
	v_cndmask_b32_e32 v12, 0x3fe921fb, v55, vcc_lo
	s_delay_alu instid0(VALU_DEP_1) | instskip(SKIP_2) | instid1(VALU_DEP_2)
	v_bfi_b32 v12, 0x7fffffff, v12, v5
	v_add_f64 v[32:33], v[56:57], v[32:33]
	v_div_fixup_f64 v[6:7], v[40:41], v[14:15], v[6:7]
	v_mul_f64 v[14:15], v[42:43], v[32:33]
	s_delay_alu instid0(VALU_DEP_2) | instskip(NEXT) | instid1(VALU_DEP_2)
	v_mul_f64 v[32:33], v[6:7], v[6:7]
	v_add_f64 v[40:41], v[10:11], v[14:15]
	s_delay_alu instid0(VALU_DEP_2) | instskip(NEXT) | instid1(VALU_DEP_2)
	v_fma_f64 v[42:43], v[32:33], s[42:43], s[40:41]
	v_mul_f64 v[44:45], v[40:41], v[40:41]
	s_delay_alu instid0(VALU_DEP_2) | instskip(SKIP_1) | instid1(VALU_DEP_3)
	v_fma_f64 v[42:43], v[32:33], v[42:43], s[44:45]
	v_add_f64 v[10:11], v[40:41], -v[10:11]
	v_fma_f64 v[46:47], v[44:45], s[24:25], s[22:23]
	s_delay_alu instid0(VALU_DEP_3) | instskip(SKIP_1) | instid1(VALU_DEP_4)
	v_fma_f64 v[42:43], v[32:33], v[42:43], s[46:47]
	v_mul_f64 v[48:49], v[40:41], v[44:45]
	v_add_f64 v[10:11], v[14:15], -v[10:11]
	s_delay_alu instid0(VALU_DEP_4) | instskip(NEXT) | instid1(VALU_DEP_4)
	v_fma_f64 v[46:47], v[44:45], v[46:47], s[26:27]
	v_fma_f64 v[42:43], v[32:33], v[42:43], s[48:49]
	s_delay_alu instid0(VALU_DEP_3) | instskip(NEXT) | instid1(VALU_DEP_3)
	v_ldexp_f64 v[10:11], v[10:11], 1
	v_fma_f64 v[46:47], v[44:45], v[46:47], s[28:29]
	s_delay_alu instid0(VALU_DEP_3) | instskip(NEXT) | instid1(VALU_DEP_2)
	v_fma_f64 v[42:43], v[32:33], v[42:43], s[50:51]
	v_fma_f64 v[46:47], v[44:45], v[46:47], s[30:31]
	s_delay_alu instid0(VALU_DEP_2) | instskip(NEXT) | instid1(VALU_DEP_2)
	v_fma_f64 v[42:43], v[32:33], v[42:43], s[52:53]
	v_fma_f64 v[46:47], v[44:45], v[46:47], s[34:35]
	s_delay_alu instid0(VALU_DEP_2) | instskip(NEXT) | instid1(VALU_DEP_2)
	v_fma_f64 v[42:43], v[32:33], v[42:43], s[54:55]
	v_fma_f64 v[44:45], v[44:45], v[46:47], s[88:89]
	s_delay_alu instid0(VALU_DEP_2) | instskip(SKIP_1) | instid1(VALU_DEP_3)
	v_fma_f64 v[42:43], v[32:33], v[42:43], s[56:57]
	v_ldexp_f64 v[46:47], v[40:41], 1
	v_mul_f64 v[44:45], v[48:49], v[44:45]
	s_delay_alu instid0(VALU_DEP_3)
	v_fma_f64 v[42:43], v[32:33], v[42:43], s[58:59]
	v_cvt_f64_i32_e32 v[48:49], v2
	v_ashrrev_i32_e32 v2, 31, v3
	v_cndmask_b32_e32 v3, 0x54442d18, v54, vcc_lo
	v_add_f64 v[40:41], v[46:47], v[44:45]
	v_fma_f64 v[42:43], v[32:33], v[42:43], s[60:61]
	v_mul_f64 v[50:51], v[48:49], s[36:37]
	s_delay_alu instid0(VALU_DEP_3) | instskip(NEXT) | instid1(VALU_DEP_3)
	v_add_f64 v[14:15], v[40:41], -v[46:47]
	v_fma_f64 v[42:43], v[32:33], v[42:43], s[62:63]
	s_delay_alu instid0(VALU_DEP_3) | instskip(NEXT) | instid1(VALU_DEP_3)
	v_fma_f64 v[46:47], v[48:49], s[36:37], -v[50:51]
	v_add_f64 v[14:15], v[44:45], -v[14:15]
	s_delay_alu instid0(VALU_DEP_3) | instskip(NEXT) | instid1(VALU_DEP_3)
	v_fma_f64 v[42:43], v[32:33], v[42:43], s[64:65]
	v_fma_f64 v[44:45], v[48:49], s[38:39], v[46:47]
	s_delay_alu instid0(VALU_DEP_3) | instskip(NEXT) | instid1(VALU_DEP_3)
	v_add_f64 v[10:11], v[10:11], v[14:15]
	v_fma_f64 v[14:15], v[32:33], v[42:43], s[66:67]
	s_delay_alu instid0(VALU_DEP_3) | instskip(NEXT) | instid1(VALU_DEP_3)
	v_add_f64 v[42:43], v[50:51], v[44:45]
	v_add_f64 v[46:47], v[40:41], v[10:11]
	s_delay_alu instid0(VALU_DEP_3) | instskip(NEXT) | instid1(VALU_DEP_3)
	v_fma_f64 v[14:15], v[32:33], v[14:15], s[68:69]
	v_add_f64 v[50:51], v[42:43], -v[50:51]
	s_delay_alu instid0(VALU_DEP_3) | instskip(NEXT) | instid1(VALU_DEP_3)
	v_add_f64 v[48:49], v[42:43], v[46:47]
	v_fma_f64 v[14:15], v[32:33], v[14:15], s[70:71]
	v_add_f64 v[40:41], v[46:47], -v[40:41]
	s_delay_alu instid0(VALU_DEP_4) | instskip(NEXT) | instid1(VALU_DEP_4)
	v_add_f64 v[44:45], v[44:45], -v[50:51]
	v_add_f64 v[52:53], v[48:49], -v[42:43]
	s_delay_alu instid0(VALU_DEP_4) | instskip(NEXT) | instid1(VALU_DEP_4)
	v_fma_f64 v[14:15], v[32:33], v[14:15], s[72:73]
	v_add_f64 v[10:11], v[10:11], -v[40:41]
	s_delay_alu instid0(VALU_DEP_3) | instskip(NEXT) | instid1(VALU_DEP_3)
	v_add_f64 v[56:57], v[48:49], -v[52:53]
	v_fma_f64 v[14:15], v[32:33], v[14:15], s[74:75]
	v_add_f64 v[40:41], v[46:47], -v[52:53]
	s_delay_alu instid0(VALU_DEP_4) | instskip(NEXT) | instid1(VALU_DEP_4)
	v_add_f64 v[46:47], v[44:45], v[10:11]
	v_add_f64 v[42:43], v[42:43], -v[56:57]
	s_delay_alu instid0(VALU_DEP_4) | instskip(NEXT) | instid1(VALU_DEP_2)
	v_fma_f64 v[14:15], v[32:33], v[14:15], s[76:77]
	v_add_f64 v[40:41], v[40:41], v[42:43]
	s_delay_alu instid0(VALU_DEP_2) | instskip(SKIP_1) | instid1(VALU_DEP_3)
	v_fma_f64 v[14:15], v[32:33], v[14:15], s[78:79]
	v_add_f64 v[42:43], v[46:47], -v[44:45]
	v_add_f64 v[40:41], v[46:47], v[40:41]
	s_delay_alu instid0(VALU_DEP_3) | instskip(NEXT) | instid1(VALU_DEP_3)
	v_mul_f64 v[14:15], v[32:33], v[14:15]
	v_add_f64 v[32:33], v[46:47], -v[42:43]
	v_add_f64 v[10:11], v[10:11], -v[42:43]
	s_delay_alu instid0(VALU_DEP_4) | instskip(NEXT) | instid1(VALU_DEP_4)
	v_add_f64 v[46:47], v[48:49], v[40:41]
	v_fma_f64 v[6:7], v[6:7], v[14:15], v[6:7]
	s_delay_alu instid0(VALU_DEP_4) | instskip(NEXT) | instid1(VALU_DEP_3)
	v_add_f64 v[14:15], v[44:45], -v[32:33]
	v_add_f64 v[32:33], v[46:47], -v[48:49]
	s_delay_alu instid0(VALU_DEP_3) | instskip(NEXT) | instid1(VALU_DEP_3)
	v_add_f64 v[42:43], -v[6:7], s[80:81]
	v_add_f64 v[10:11], v[10:11], v[14:15]
	s_delay_alu instid0(VALU_DEP_3) | instskip(NEXT) | instid1(VALU_DEP_3)
	v_add_f64 v[14:15], v[40:41], -v[32:33]
	v_cndmask_b32_e64 v7, v7, v43, s0
	s_delay_alu instid0(VALU_DEP_4) | instskip(NEXT) | instid1(VALU_DEP_3)
	v_cndmask_b32_e64 v6, v6, v42, s0
	v_add_f64 v[10:11], v[10:11], v[14:15]
	s_delay_alu instid0(VALU_DEP_2) | instskip(SKIP_2) | instid1(VALU_DEP_4)
	v_add_f64 v[14:15], -v[6:7], s[10:11]
	v_and_b32_e32 v8, 0x54442d18, v2
	v_and_b32_e32 v2, 0x400921fb, v2
	v_add_f64 v[10:11], v[46:47], v[10:11]
	s_delay_alu instid0(VALU_DEP_4) | instskip(SKIP_1) | instid1(VALU_DEP_2)
	v_dual_cndmask_b32 v7, v7, v15 :: v_dual_cndmask_b32 v6, v6, v14
	v_cmp_ngt_f64_e32 vcc_lo, 0, v[38:39]
	v_cndmask_b32_e64 v2, v7, v2, s2
	s_delay_alu instid0(VALU_DEP_3) | instskip(SKIP_3) | instid1(VALU_DEP_3)
	v_cndmask_b32_e64 v6, v6, v8, s2
	v_cndmask_b32_e64 v11, v11, v31, s1
	;; [unrolled: 1-line block ×3, first 2 shown]
	v_cmp_nge_f64_e64 s1, 0, v[38:39]
	v_cndmask_b32_e64 v11, v11, 0x7ff00000, s6
	s_delay_alu instid0(VALU_DEP_3) | instskip(NEXT) | instid1(VALU_DEP_2)
	v_cndmask_b32_e64 v7, v10, 0, s6
	v_cndmask_b32_e32 v8, 0x7ff80000, v11, vcc_lo
	s_and_b32 vcc_lo, s4, s5
	v_cndmask_b32_e32 v33, v2, v12, vcc_lo
	v_cndmask_b32_e32 v32, v6, v3, vcc_lo
	v_cndmask_b32_e64 v30, 0, v7, s1
	v_cmp_neq_f64_e64 s1, 0, v[38:39]
	s_delay_alu instid0(VALU_DEP_1)
	v_cndmask_b32_e64 v31, 0xfff00000, v8, s1
.LBB174_281:                            ;   in Loop: Header=BB174_162 Depth=1
	s_or_b32 exec_lo, exec_lo, s3
                                        ; implicit-def: $vgpr10_vgpr11
.LBB174_282:                            ;   in Loop: Header=BB174_162 Depth=1
	s_and_not1_saveexec_b32 s3, s94
	s_cbranch_execz .LBB174_288
; %bb.283:                              ;   in Loop: Header=BB174_162 Depth=1
                                        ; implicit-def: $vgpr30_vgpr31
	s_mov_b32 s1, exec_lo
	v_cmpx_ngt_f64_e32 s[84:85], v[10:11]
	s_xor_b32 s4, exec_lo, s1
	s_cbranch_execz .LBB174_285
; %bb.284:                              ;   in Loop: Header=BB174_162 Depth=1
	v_mul_f64 v[6:7], v[10:11], v[10:11]
	s_mov_b32 s89, s21
	s_mov_b32 s10, s80
	v_cmp_eq_f64_e64 s2, 0, v[4:5]
	v_cmp_class_f64_e64 s5, v[4:5], 0x204
	v_cmp_class_f64_e64 s6, v[2:3], 0x204
	v_cmp_gt_i32_e64 s1, 0, v3
	v_add_f64 v[10:11], v[6:7], 1.0
	s_delay_alu instid0(VALU_DEP_1) | instskip(SKIP_2) | instid1(VALU_DEP_3)
	v_frexp_mant_f64_e32 v[14:15], v[10:11]
	v_frexp_exp_i32_f64_e32 v8, v[10:11]
	v_add_f64 v[30:31], v[10:11], -1.0
	v_cmp_gt_f64_e32 vcc_lo, s[20:21], v[14:15]
	s_delay_alu instid0(VALU_DEP_2) | instskip(SKIP_2) | instid1(VALU_DEP_3)
	v_add_f64 v[14:15], v[30:31], -v[10:11]
	v_add_f64 v[30:31], v[6:7], -v[30:31]
	v_subrev_co_ci_u32_e32 v8, vcc_lo, 0, v8, vcc_lo
	v_add_f64 v[14:15], v[14:15], 1.0
	s_delay_alu instid0(VALU_DEP_2) | instskip(NEXT) | instid1(VALU_DEP_1)
	v_sub_nc_u32_e32 v12, 0, v8
	v_ldexp_f64 v[10:11], v[10:11], v12
	s_delay_alu instid0(VALU_DEP_3) | instskip(NEXT) | instid1(VALU_DEP_2)
	v_add_f64 v[14:15], v[30:31], v[14:15]
	v_add_f64 v[32:33], v[10:11], 1.0
	v_add_f64 v[42:43], v[10:11], -1.0
	s_delay_alu instid0(VALU_DEP_3) | instskip(SKIP_1) | instid1(VALU_DEP_4)
	v_ldexp_f64 v[14:15], v[14:15], v12
	v_cndmask_b32_e64 v12, 0x54442d18, v54, s1
	v_add_f64 v[30:31], v[32:33], -1.0
	s_delay_alu instid0(VALU_DEP_4) | instskip(NEXT) | instid1(VALU_DEP_2)
	v_add_f64 v[44:45], v[42:43], 1.0
	v_add_f64 v[30:31], v[10:11], -v[30:31]
	s_delay_alu instid0(VALU_DEP_2) | instskip(NEXT) | instid1(VALU_DEP_2)
	v_add_f64 v[10:11], v[10:11], -v[44:45]
	v_add_f64 v[30:31], v[14:15], v[30:31]
	s_delay_alu instid0(VALU_DEP_2) | instskip(NEXT) | instid1(VALU_DEP_2)
	v_add_f64 v[10:11], v[14:15], v[10:11]
	v_add_f64 v[38:39], v[32:33], v[30:31]
	s_delay_alu instid0(VALU_DEP_2) | instskip(NEXT) | instid1(VALU_DEP_2)
	v_add_f64 v[44:45], v[42:43], v[10:11]
	v_rcp_f64_e32 v[40:41], v[38:39]
	v_add_f64 v[32:33], v[32:33], -v[38:39]
	s_delay_alu instid0(VALU_DEP_2) | instskip(NEXT) | instid1(VALU_DEP_2)
	v_add_f64 v[42:43], v[42:43], -v[44:45]
	v_add_f64 v[30:31], v[30:31], v[32:33]
	s_waitcnt_depctr 0xfff
	v_fma_f64 v[46:47], -v[38:39], v[40:41], 1.0
	v_add_f64 v[10:11], v[10:11], v[42:43]
	s_delay_alu instid0(VALU_DEP_2) | instskip(NEXT) | instid1(VALU_DEP_1)
	v_fma_f64 v[40:41], v[46:47], v[40:41], v[40:41]
	v_fma_f64 v[14:15], -v[38:39], v[40:41], 1.0
	s_delay_alu instid0(VALU_DEP_1) | instskip(NEXT) | instid1(VALU_DEP_1)
	v_fma_f64 v[14:15], v[14:15], v[40:41], v[40:41]
	v_mul_f64 v[40:41], v[44:45], v[14:15]
	s_delay_alu instid0(VALU_DEP_1) | instskip(NEXT) | instid1(VALU_DEP_1)
	v_mul_f64 v[46:47], v[38:39], v[40:41]
	v_fma_f64 v[32:33], v[40:41], v[38:39], -v[46:47]
	s_delay_alu instid0(VALU_DEP_1) | instskip(NEXT) | instid1(VALU_DEP_1)
	v_fma_f64 v[32:33], v[40:41], v[30:31], v[32:33]
	v_add_f64 v[48:49], v[46:47], v[32:33]
	s_delay_alu instid0(VALU_DEP_1) | instskip(SKIP_2) | instid1(VALU_DEP_3)
	v_add_f64 v[50:51], v[44:45], -v[48:49]
	v_add_f64 v[42:43], v[48:49], -v[46:47]
	v_max_f64 v[46:47], |v[4:5]|, |v[4:5]|
	v_add_f64 v[44:45], v[44:45], -v[50:51]
	s_delay_alu instid0(VALU_DEP_3) | instskip(NEXT) | instid1(VALU_DEP_2)
	v_add_f64 v[32:33], v[42:43], -v[32:33]
	v_add_f64 v[44:45], v[44:45], -v[48:49]
	v_max_f64 v[48:49], |v[2:3]|, |v[2:3]|
	s_delay_alu instid0(VALU_DEP_2) | instskip(NEXT) | instid1(VALU_DEP_2)
	v_add_f64 v[10:11], v[10:11], v[44:45]
	v_max_f64 v[52:53], v[48:49], v[46:47]
	v_min_f64 v[46:47], v[48:49], v[46:47]
	s_delay_alu instid0(VALU_DEP_3) | instskip(NEXT) | instid1(VALU_DEP_1)
	v_add_f64 v[10:11], v[32:33], v[10:11]
	v_add_f64 v[32:33], v[50:51], v[10:11]
	s_delay_alu instid0(VALU_DEP_1) | instskip(SKIP_1) | instid1(VALU_DEP_2)
	v_mul_f64 v[42:43], v[14:15], v[32:33]
	v_add_f64 v[50:51], v[50:51], -v[32:33]
	v_mul_f64 v[44:45], v[38:39], v[42:43]
	s_delay_alu instid0(VALU_DEP_2) | instskip(NEXT) | instid1(VALU_DEP_2)
	v_add_f64 v[10:11], v[10:11], v[50:51]
	v_fma_f64 v[38:39], v[42:43], v[38:39], -v[44:45]
	s_delay_alu instid0(VALU_DEP_1) | instskip(SKIP_1) | instid1(VALU_DEP_2)
	v_fma_f64 v[30:31], v[42:43], v[30:31], v[38:39]
	v_div_scale_f64 v[38:39], null, v[52:53], v[52:53], v[46:47]
	v_add_f64 v[48:49], v[44:45], v[30:31]
	s_delay_alu instid0(VALU_DEP_2) | instskip(NEXT) | instid1(VALU_DEP_1)
	v_rcp_f64_e32 v[56:57], v[38:39]
	v_add_f64 v[58:59], v[32:33], -v[48:49]
	v_add_f64 v[44:45], v[48:49], -v[44:45]
	s_waitcnt_depctr 0xfff
	v_fma_f64 v[60:61], -v[38:39], v[56:57], 1.0
	v_add_f64 v[32:33], v[32:33], -v[58:59]
	v_add_f64 v[30:31], v[44:45], -v[30:31]
	s_delay_alu instid0(VALU_DEP_3) | instskip(NEXT) | instid1(VALU_DEP_3)
	v_fma_f64 v[56:57], v[56:57], v[60:61], v[56:57]
	v_add_f64 v[32:33], v[32:33], -v[48:49]
	s_delay_alu instid0(VALU_DEP_2) | instskip(NEXT) | instid1(VALU_DEP_2)
	v_fma_f64 v[48:49], -v[38:39], v[56:57], 1.0
	v_add_f64 v[10:11], v[10:11], v[32:33]
	v_div_scale_f64 v[32:33], vcc_lo, v[46:47], v[52:53], v[46:47]
	s_delay_alu instid0(VALU_DEP_3) | instskip(SKIP_1) | instid1(VALU_DEP_4)
	v_fma_f64 v[44:45], v[56:57], v[48:49], v[56:57]
	v_add_f64 v[48:49], v[40:41], v[42:43]
	v_add_f64 v[10:11], v[30:31], v[10:11]
	s_delay_alu instid0(VALU_DEP_3) | instskip(NEXT) | instid1(VALU_DEP_3)
	v_mul_f64 v[30:31], v[32:33], v[44:45]
	v_add_f64 v[40:41], v[48:49], -v[40:41]
	s_delay_alu instid0(VALU_DEP_3) | instskip(NEXT) | instid1(VALU_DEP_3)
	v_add_f64 v[10:11], v[58:59], v[10:11]
	v_fma_f64 v[32:33], -v[38:39], v[30:31], v[32:33]
	s_delay_alu instid0(VALU_DEP_3) | instskip(NEXT) | instid1(VALU_DEP_3)
	v_add_f64 v[38:39], v[42:43], -v[40:41]
	v_mul_f64 v[10:11], v[14:15], v[10:11]
	s_delay_alu instid0(VALU_DEP_3) | instskip(SKIP_1) | instid1(VALU_DEP_3)
	v_div_fmas_f64 v[14:15], v[32:33], v[44:45], v[30:31]
	v_cmp_eq_f64_e32 vcc_lo, 0x7ff00000, v[6:7]
	v_add_f64 v[10:11], v[38:39], v[10:11]
	s_delay_alu instid0(VALU_DEP_3) | instskip(NEXT) | instid1(VALU_DEP_2)
	v_div_fixup_f64 v[14:15], v[14:15], v[52:53], v[46:47]
	v_add_f64 v[30:31], v[48:49], v[10:11]
	s_delay_alu instid0(VALU_DEP_2) | instskip(NEXT) | instid1(VALU_DEP_2)
	v_mul_f64 v[32:33], v[14:15], v[14:15]
	v_mul_f64 v[38:39], v[30:31], v[30:31]
	s_delay_alu instid0(VALU_DEP_2) | instskip(NEXT) | instid1(VALU_DEP_2)
	v_fma_f64 v[40:41], v[32:33], s[42:43], s[40:41]
	v_fma_f64 v[42:43], v[38:39], s[24:25], s[22:23]
	v_mul_f64 v[44:45], v[30:31], v[38:39]
	s_delay_alu instid0(VALU_DEP_3) | instskip(NEXT) | instid1(VALU_DEP_3)
	v_fma_f64 v[40:41], v[32:33], v[40:41], s[44:45]
	v_fma_f64 v[42:43], v[38:39], v[42:43], s[26:27]
	s_delay_alu instid0(VALU_DEP_2) | instskip(NEXT) | instid1(VALU_DEP_2)
	v_fma_f64 v[40:41], v[32:33], v[40:41], s[46:47]
	v_fma_f64 v[42:43], v[38:39], v[42:43], s[28:29]
	s_delay_alu instid0(VALU_DEP_2) | instskip(NEXT) | instid1(VALU_DEP_2)
	;; [unrolled: 3-line block ×4, first 2 shown]
	v_fma_f64 v[40:41], v[32:33], v[40:41], s[52:53]
	v_fma_f64 v[38:39], v[38:39], v[42:43], s[88:89]
	v_ldexp_f64 v[42:43], v[30:31], 1
	v_add_f64 v[30:31], v[30:31], -v[48:49]
	s_delay_alu instid0(VALU_DEP_4) | instskip(NEXT) | instid1(VALU_DEP_4)
	v_fma_f64 v[40:41], v[32:33], v[40:41], s[54:55]
	v_mul_f64 v[38:39], v[44:45], v[38:39]
	v_cvt_f64_i32_e32 v[44:45], v8
	s_delay_alu instid0(VALU_DEP_4) | instskip(NEXT) | instid1(VALU_DEP_4)
	v_add_f64 v[10:11], v[10:11], -v[30:31]
	v_fma_f64 v[40:41], v[32:33], v[40:41], s[56:57]
	v_ashrrev_i32_e32 v8, 31, v3
	v_add_f64 v[46:47], v[42:43], v[38:39]
	v_mul_f64 v[48:49], v[44:45], s[36:37]
	v_ldexp_f64 v[10:11], v[10:11], 1
	v_fma_f64 v[40:41], v[32:33], v[40:41], s[58:59]
	s_delay_alu instid0(VALU_DEP_4) | instskip(NEXT) | instid1(VALU_DEP_4)
	v_add_f64 v[30:31], v[46:47], -v[42:43]
	v_fma_f64 v[42:43], v[44:45], s[36:37], -v[48:49]
	s_delay_alu instid0(VALU_DEP_3) | instskip(NEXT) | instid1(VALU_DEP_3)
	v_fma_f64 v[40:41], v[32:33], v[40:41], s[60:61]
	v_add_f64 v[30:31], v[38:39], -v[30:31]
	s_delay_alu instid0(VALU_DEP_2) | instskip(NEXT) | instid1(VALU_DEP_4)
	v_fma_f64 v[38:39], v[32:33], v[40:41], s[62:63]
	v_fma_f64 v[40:41], v[44:45], s[38:39], v[42:43]
	s_delay_alu instid0(VALU_DEP_3) | instskip(NEXT) | instid1(VALU_DEP_3)
	v_add_f64 v[10:11], v[10:11], v[30:31]
	v_fma_f64 v[30:31], v[32:33], v[38:39], s[64:65]
	s_delay_alu instid0(VALU_DEP_3) | instskip(NEXT) | instid1(VALU_DEP_3)
	v_add_f64 v[38:39], v[48:49], v[40:41]
	v_add_f64 v[42:43], v[46:47], v[10:11]
	s_delay_alu instid0(VALU_DEP_3) | instskip(NEXT) | instid1(VALU_DEP_3)
	v_fma_f64 v[30:31], v[32:33], v[30:31], s[66:67]
	v_add_f64 v[48:49], v[38:39], -v[48:49]
	s_delay_alu instid0(VALU_DEP_3) | instskip(SKIP_1) | instid1(VALU_DEP_4)
	v_add_f64 v[44:45], v[38:39], v[42:43]
	v_add_f64 v[46:47], v[42:43], -v[46:47]
	v_fma_f64 v[30:31], v[32:33], v[30:31], s[68:69]
	s_delay_alu instid0(VALU_DEP_4) | instskip(NEXT) | instid1(VALU_DEP_4)
	v_add_f64 v[40:41], v[40:41], -v[48:49]
	v_add_f64 v[50:51], v[44:45], -v[38:39]
	s_delay_alu instid0(VALU_DEP_4) | instskip(NEXT) | instid1(VALU_DEP_4)
	v_add_f64 v[10:11], v[10:11], -v[46:47]
	v_fma_f64 v[30:31], v[32:33], v[30:31], s[70:71]
	s_delay_alu instid0(VALU_DEP_3) | instskip(SKIP_1) | instid1(VALU_DEP_4)
	v_add_f64 v[52:53], v[44:45], -v[50:51]
	v_add_f64 v[42:43], v[42:43], -v[50:51]
	v_add_f64 v[46:47], v[40:41], v[10:11]
	s_delay_alu instid0(VALU_DEP_4) | instskip(NEXT) | instid1(VALU_DEP_4)
	v_fma_f64 v[30:31], v[32:33], v[30:31], s[72:73]
	v_add_f64 v[38:39], v[38:39], -v[52:53]
	s_delay_alu instid0(VALU_DEP_2) | instskip(NEXT) | instid1(VALU_DEP_2)
	v_fma_f64 v[30:31], v[32:33], v[30:31], s[74:75]
	v_add_f64 v[38:39], v[42:43], v[38:39]
	v_add_f64 v[42:43], v[46:47], -v[40:41]
	s_delay_alu instid0(VALU_DEP_3) | instskip(NEXT) | instid1(VALU_DEP_3)
	v_fma_f64 v[30:31], v[32:33], v[30:31], s[76:77]
	v_add_f64 v[38:39], v[46:47], v[38:39]
	s_delay_alu instid0(VALU_DEP_3) | instskip(SKIP_1) | instid1(VALU_DEP_4)
	v_add_f64 v[46:47], v[46:47], -v[42:43]
	v_add_f64 v[10:11], v[10:11], -v[42:43]
	v_fma_f64 v[30:31], v[32:33], v[30:31], s[78:79]
	s_delay_alu instid0(VALU_DEP_4) | instskip(NEXT) | instid1(VALU_DEP_2)
	v_add_f64 v[48:49], v[44:45], v[38:39]
	v_mul_f64 v[30:31], v[32:33], v[30:31]
	v_add_f64 v[32:33], v[40:41], -v[46:47]
	s_delay_alu instid0(VALU_DEP_3) | instskip(NEXT) | instid1(VALU_DEP_3)
	v_add_f64 v[40:41], v[48:49], -v[44:45]
	v_fma_f64 v[14:15], v[14:15], v[30:31], v[14:15]
	s_delay_alu instid0(VALU_DEP_3) | instskip(NEXT) | instid1(VALU_DEP_3)
	v_add_f64 v[10:11], v[10:11], v[32:33]
	v_add_f64 v[30:31], v[38:39], -v[40:41]
	s_delay_alu instid0(VALU_DEP_3) | instskip(NEXT) | instid1(VALU_DEP_2)
	v_add_f64 v[32:33], -v[14:15], s[80:81]
	v_add_f64 v[10:11], v[10:11], v[30:31]
	s_delay_alu instid0(VALU_DEP_2) | instskip(NEXT) | instid1(VALU_DEP_3)
	v_cndmask_b32_e64 v15, v15, v33, s0
	v_cndmask_b32_e64 v14, v14, v32, s0
	s_delay_alu instid0(VALU_DEP_1) | instskip(NEXT) | instid1(VALU_DEP_4)
	v_add_f64 v[31:32], -v[14:15], s[10:11]
	v_add_f64 v[10:11], v[48:49], v[10:11]
	v_and_b32_e32 v16, 0x54442d18, v8
	s_delay_alu instid0(VALU_DEP_3) | instskip(NEXT) | instid1(VALU_DEP_3)
	v_cndmask_b32_e64 v14, v14, v31, s1
	v_dual_cndmask_b32 v3, v11, v7 :: v_dual_cndmask_b32 v2, v10, v6
	v_cndmask_b32_e64 v6, v15, v32, s1
	s_delay_alu instid0(VALU_DEP_3) | instskip(SKIP_1) | instid1(VALU_DEP_3)
	v_cndmask_b32_e64 v7, v14, v16, s2
	s_and_b32 vcc_lo, s6, s5
                                        ; implicit-def: $vgpr10_vgpr11
	v_mul_f64 v[30:31], v[2:3], 0.5
	v_and_b32_e32 v3, 0x400921fb, v8
	v_cndmask_b32_e64 v2, 0x3fe921fb, v55, s1
	v_cndmask_b32_e32 v32, v7, v12, vcc_lo
	s_delay_alu instid0(VALU_DEP_3) | instskip(NEXT) | instid1(VALU_DEP_3)
	v_cndmask_b32_e64 v3, v6, v3, s2
	v_bfi_b32 v2, 0x7fffffff, v2, v5
	s_delay_alu instid0(VALU_DEP_1)
	v_cndmask_b32_e32 v33, v3, v2, vcc_lo
.LBB174_285:                            ;   in Loop: Header=BB174_162 Depth=1
	s_and_not1_saveexec_b32 s2, s4
	s_cbranch_execz .LBB174_287
; %bb.286:                              ;   in Loop: Header=BB174_162 Depth=1
	v_max_f64 v[6:7], |v[4:5]|, |v[4:5]|
	v_max_f64 v[14:15], |v[2:3]|, |v[2:3]|
	s_mov_b32 s10, s80
	v_cmp_eq_f64_e64 s1, 0, v[4:5]
	v_cmp_class_f64_e64 s4, v[4:5], 0x204
	v_cmp_class_f64_e64 s5, v[2:3], 0x204
	v_ashrrev_i32_e32 v8, 31, v3
	v_max_f64 v[30:31], v[14:15], v[6:7]
	v_min_f64 v[6:7], v[14:15], v[6:7]
	s_delay_alu instid0(VALU_DEP_1) | instskip(SKIP_1) | instid1(VALU_DEP_2)
	v_div_scale_f64 v[14:15], null, v[30:31], v[30:31], v[6:7]
	v_div_scale_f64 v[40:41], vcc_lo, v[6:7], v[30:31], v[6:7]
	v_rcp_f64_e32 v[32:33], v[14:15]
	s_waitcnt_depctr 0xfff
	v_fma_f64 v[38:39], -v[14:15], v[32:33], 1.0
	s_delay_alu instid0(VALU_DEP_1) | instskip(NEXT) | instid1(VALU_DEP_1)
	v_fma_f64 v[32:33], v[32:33], v[38:39], v[32:33]
	v_fma_f64 v[38:39], -v[14:15], v[32:33], 1.0
	s_delay_alu instid0(VALU_DEP_1) | instskip(NEXT) | instid1(VALU_DEP_1)
	v_fma_f64 v[32:33], v[32:33], v[38:39], v[32:33]
	v_mul_f64 v[38:39], v[40:41], v[32:33]
	s_delay_alu instid0(VALU_DEP_1) | instskip(NEXT) | instid1(VALU_DEP_1)
	v_fma_f64 v[14:15], -v[14:15], v[38:39], v[40:41]
	v_div_fmas_f64 v[14:15], v[14:15], v[32:33], v[38:39]
	v_cmp_gt_i32_e32 vcc_lo, 0, v3
	v_and_b32_e32 v3, 0x400921fb, v8
	v_cndmask_b32_e32 v2, 0x3fe921fb, v55, vcc_lo
	v_cndmask_b32_e32 v12, 0x54442d18, v54, vcc_lo
	s_delay_alu instid0(VALU_DEP_2) | instskip(SKIP_1) | instid1(VALU_DEP_1)
	v_bfi_b32 v2, 0x7fffffff, v2, v5
	v_div_fixup_f64 v[6:7], v[14:15], v[30:31], v[6:7]
	v_mul_f64 v[14:15], v[6:7], v[6:7]
	s_delay_alu instid0(VALU_DEP_1) | instskip(NEXT) | instid1(VALU_DEP_1)
	v_fma_f64 v[30:31], v[14:15], s[42:43], s[40:41]
	v_fma_f64 v[30:31], v[14:15], v[30:31], s[44:45]
	s_delay_alu instid0(VALU_DEP_1) | instskip(NEXT) | instid1(VALU_DEP_1)
	v_fma_f64 v[30:31], v[14:15], v[30:31], s[46:47]
	v_fma_f64 v[30:31], v[14:15], v[30:31], s[48:49]
	;; [unrolled: 3-line block ×9, first 2 shown]
	s_delay_alu instid0(VALU_DEP_1) | instskip(NEXT) | instid1(VALU_DEP_1)
	v_fma_f64 v[30:31], v[14:15], v[30:31], s[78:79]
	v_mul_f64 v[14:15], v[14:15], v[30:31]
	v_mul_f64 v[30:31], v[10:11], 0.5
	s_delay_alu instid0(VALU_DEP_2) | instskip(NEXT) | instid1(VALU_DEP_2)
	v_fma_f64 v[6:7], v[6:7], v[14:15], v[6:7]
	v_mul_f64 v[30:31], v[10:11], v[30:31]
	s_delay_alu instid0(VALU_DEP_2) | instskip(NEXT) | instid1(VALU_DEP_1)
	v_add_f64 v[14:15], -v[6:7], s[80:81]
	v_cndmask_b32_e64 v7, v7, v15, s0
	s_delay_alu instid0(VALU_DEP_2) | instskip(NEXT) | instid1(VALU_DEP_1)
	v_cndmask_b32_e64 v6, v6, v14, s0
	v_add_f64 v[14:15], -v[6:7], s[10:11]
	s_delay_alu instid0(VALU_DEP_1) | instskip(NEXT) | instid1(VALU_DEP_2)
	v_dual_cndmask_b32 v7, v7, v15 :: v_dual_and_b32 v16, 0x54442d18, v8
	v_cndmask_b32_e32 v6, v6, v14, vcc_lo
	s_and_b32 vcc_lo, s5, s4
	s_delay_alu instid0(VALU_DEP_2) | instskip(NEXT) | instid1(VALU_DEP_2)
	v_cndmask_b32_e64 v3, v7, v3, s1
	v_cndmask_b32_e64 v6, v6, v16, s1
	s_delay_alu instid0(VALU_DEP_1)
	v_dual_cndmask_b32 v33, v3, v2 :: v_dual_cndmask_b32 v32, v6, v12
.LBB174_287:                            ;   in Loop: Header=BB174_162 Depth=1
	s_or_b32 exec_lo, exec_lo, s2
.LBB174_288:                            ;   in Loop: Header=BB174_162 Depth=1
	s_delay_alu instid0(SALU_CYCLE_1)
	s_or_b32 exec_lo, exec_lo, s3
.LBB174_289:                            ;   in Loop: Header=BB174_162 Depth=1
	s_and_not1_saveexec_b32 s3, s93
	s_cbranch_execz .LBB174_291
; %bb.290:                              ;   in Loop: Header=BB174_162 Depth=1
	v_div_scale_f64 v[6:7], null, s[86:87], s[86:87], v[2:3]
	v_div_scale_f64 v[10:11], null, s[86:87], s[86:87], v[4:5]
	v_div_scale_f64 v[40:41], vcc_lo, v[2:3], s[86:87], v[2:3]
	v_max_f64 v[44:45], |v[2:3]|, |v[2:3]|
	s_mov_b32 s89, s21
	s_mov_b32 s10, s80
	s_delay_alu instid0(VALU_DEP_4) | instskip(NEXT) | instid1(VALU_DEP_3)
	v_rcp_f64_e32 v[14:15], v[6:7]
	v_rcp_f64_e32 v[30:31], v[10:11]
	s_waitcnt_depctr 0xfff
	v_fma_f64 v[32:33], -v[6:7], v[14:15], 1.0
	v_fma_f64 v[38:39], -v[10:11], v[30:31], 1.0
	s_delay_alu instid0(VALU_DEP_2) | instskip(NEXT) | instid1(VALU_DEP_2)
	v_fma_f64 v[14:15], v[14:15], v[32:33], v[14:15]
	v_fma_f64 v[30:31], v[30:31], v[38:39], v[30:31]
	s_delay_alu instid0(VALU_DEP_2) | instskip(NEXT) | instid1(VALU_DEP_2)
	v_fma_f64 v[32:33], -v[6:7], v[14:15], 1.0
	v_fma_f64 v[38:39], -v[10:11], v[30:31], 1.0
	s_delay_alu instid0(VALU_DEP_2) | instskip(SKIP_1) | instid1(VALU_DEP_3)
	v_fma_f64 v[14:15], v[14:15], v[32:33], v[14:15]
	v_div_scale_f64 v[32:33], s1, v[4:5], s[86:87], v[4:5]
	v_fma_f64 v[30:31], v[30:31], v[38:39], v[30:31]
	s_delay_alu instid0(VALU_DEP_3) | instskip(NEXT) | instid1(VALU_DEP_2)
	v_mul_f64 v[38:39], v[40:41], v[14:15]
	v_mul_f64 v[42:43], v[32:33], v[30:31]
	s_delay_alu instid0(VALU_DEP_2) | instskip(NEXT) | instid1(VALU_DEP_2)
	v_fma_f64 v[6:7], -v[6:7], v[38:39], v[40:41]
	v_fma_f64 v[10:11], -v[10:11], v[42:43], v[32:33]
	s_delay_alu instid0(VALU_DEP_2) | instskip(SKIP_1) | instid1(VALU_DEP_2)
	v_div_fmas_f64 v[6:7], v[6:7], v[14:15], v[38:39]
	s_mov_b32 vcc_lo, s1
	v_div_fmas_f64 v[10:11], v[10:11], v[30:31], v[42:43]
	s_delay_alu instid0(VALU_DEP_2) | instskip(NEXT) | instid1(VALU_DEP_2)
	v_div_fixup_f64 v[6:7], v[6:7], s[86:87], v[2:3]
	v_div_fixup_f64 v[10:11], v[10:11], s[86:87], v[4:5]
	s_delay_alu instid0(VALU_DEP_2) | instskip(NEXT) | instid1(VALU_DEP_2)
	v_cmp_class_f64_e64 s2, v[6:7], 0x204
	v_max_f64 v[14:15], |v[6:7]|, |v[10:11]|
	v_cmp_o_f64_e64 s1, v[6:7], v[10:11]
	v_cmp_class_f64_e64 s4, v[10:11], 0x204
	s_delay_alu instid0(VALU_DEP_3) | instskip(NEXT) | instid1(VALU_DEP_2)
	v_frexp_exp_i32_f64_e32 v8, v[14:15]
	s_or_b32 s4, s2, s4
	s_delay_alu instid0(VALU_DEP_1) | instskip(NEXT) | instid1(VALU_DEP_1)
	v_sub_nc_u32_e32 v12, 0, v8
	v_ldexp_f64 v[14:15], |v[10:11]|, v12
	v_ldexp_f64 v[30:31], |v[6:7]|, v12
	s_delay_alu instid0(VALU_DEP_2) | instskip(NEXT) | instid1(VALU_DEP_1)
	v_mul_f64 v[14:15], v[14:15], v[14:15]
	v_fma_f64 v[14:15], v[30:31], v[30:31], v[14:15]
	s_delay_alu instid0(VALU_DEP_1) | instskip(SKIP_4) | instid1(VALU_DEP_1)
	v_rsq_f64_e32 v[30:31], v[14:15]
	v_cmp_eq_f64_e32 vcc_lo, 0, v[14:15]
	s_waitcnt_depctr 0xfff
	v_mul_f64 v[32:33], v[14:15], v[30:31]
	v_mul_f64 v[30:31], v[30:31], 0.5
	v_fma_f64 v[38:39], -v[30:31], v[32:33], 0.5
	s_delay_alu instid0(VALU_DEP_1) | instskip(SKIP_1) | instid1(VALU_DEP_2)
	v_fma_f64 v[32:33], v[32:33], v[38:39], v[32:33]
	v_fma_f64 v[30:31], v[30:31], v[38:39], v[30:31]
	v_fma_f64 v[38:39], -v[32:33], v[32:33], v[14:15]
	s_delay_alu instid0(VALU_DEP_1) | instskip(NEXT) | instid1(VALU_DEP_1)
	v_fma_f64 v[30:31], v[38:39], v[30:31], v[32:33]
	v_dual_cndmask_b32 v15, v31, v15 :: v_dual_cndmask_b32 v14, v30, v14
	s_delay_alu instid0(VALU_DEP_1) | instskip(NEXT) | instid1(VALU_DEP_1)
	v_ldexp_f64 v[14:15], v[14:15], v8
	v_cndmask_b32_e64 v8, 0, v14, s1
	s_delay_alu instid0(VALU_DEP_2) | instskip(NEXT) | instid1(VALU_DEP_2)
	v_cndmask_b32_e64 v12, 0x7ff80000, v15, s1
	v_cndmask_b32_e64 v6, v8, 0, s4
	s_delay_alu instid0(VALU_DEP_2) | instskip(NEXT) | instid1(VALU_DEP_1)
	v_cndmask_b32_e64 v7, v12, 0x7ff00000, s4
	v_frexp_mant_f64_e32 v[10:11], v[6:7]
	v_frexp_exp_i32_f64_e32 v16, v[6:7]
	s_delay_alu instid0(VALU_DEP_2) | instskip(NEXT) | instid1(VALU_DEP_1)
	v_cmp_gt_f64_e64 s2, s[20:21], v[10:11]
	v_cndmask_b32_e64 v35, 0x3ff00000, 2.0, s2
	s_delay_alu instid0(VALU_DEP_1) | instskip(NEXT) | instid1(VALU_DEP_1)
	v_mul_f64 v[10:11], v[10:11], v[34:35]
	v_add_f64 v[30:31], v[10:11], 1.0
	v_add_f64 v[40:41], v[10:11], -1.0
	s_delay_alu instid0(VALU_DEP_2) | instskip(SKIP_1) | instid1(VALU_DEP_1)
	v_rcp_f64_e32 v[32:33], v[30:31]
	v_add_f64 v[46:47], v[30:31], -1.0
	v_add_f64 v[10:11], v[10:11], -v[46:47]
	s_waitcnt_depctr 0xfff
	v_fma_f64 v[38:39], -v[30:31], v[32:33], 1.0
	s_delay_alu instid0(VALU_DEP_1) | instskip(NEXT) | instid1(VALU_DEP_1)
	v_fma_f64 v[32:33], v[38:39], v[32:33], v[32:33]
	v_fma_f64 v[38:39], -v[30:31], v[32:33], 1.0
	s_delay_alu instid0(VALU_DEP_1) | instskip(SKIP_1) | instid1(VALU_DEP_2)
	v_fma_f64 v[32:33], v[38:39], v[32:33], v[32:33]
	v_max_f64 v[38:39], |v[4:5]|, |v[4:5]|
	v_mul_f64 v[42:43], v[40:41], v[32:33]
	s_delay_alu instid0(VALU_DEP_2) | instskip(SKIP_1) | instid1(VALU_DEP_3)
	v_max_f64 v[50:51], v[44:45], v[38:39]
	v_min_f64 v[38:39], v[44:45], v[38:39]
	v_mul_f64 v[48:49], v[30:31], v[42:43]
	s_delay_alu instid0(VALU_DEP_2) | instskip(NEXT) | instid1(VALU_DEP_2)
	v_div_scale_f64 v[44:45], null, v[50:51], v[50:51], v[38:39]
	v_fma_f64 v[30:31], v[42:43], v[30:31], -v[48:49]
	s_delay_alu instid0(VALU_DEP_1) | instskip(NEXT) | instid1(VALU_DEP_3)
	v_fma_f64 v[10:11], v[42:43], v[10:11], v[30:31]
	v_rcp_f64_e32 v[30:31], v[44:45]
	s_delay_alu instid0(VALU_DEP_1) | instskip(SKIP_4) | instid1(VALU_DEP_3)
	v_add_f64 v[46:47], v[48:49], v[10:11]
	s_waitcnt_depctr 0xfff
	v_fma_f64 v[52:53], -v[44:45], v[30:31], 1.0
	v_add_f64 v[56:57], v[40:41], -v[46:47]
	v_add_f64 v[48:49], v[46:47], -v[48:49]
	v_fma_f64 v[30:31], v[30:31], v[52:53], v[30:31]
	s_delay_alu instid0(VALU_DEP_3) | instskip(NEXT) | instid1(VALU_DEP_3)
	v_add_f64 v[40:41], v[40:41], -v[56:57]
	v_add_f64 v[10:11], v[48:49], -v[10:11]
	s_delay_alu instid0(VALU_DEP_3) | instskip(NEXT) | instid1(VALU_DEP_3)
	v_fma_f64 v[52:53], -v[44:45], v[30:31], 1.0
	v_add_f64 v[40:41], v[40:41], -v[46:47]
	v_div_scale_f64 v[46:47], vcc_lo, v[38:39], v[50:51], v[38:39]
	s_delay_alu instid0(VALU_DEP_3) | instskip(NEXT) | instid1(VALU_DEP_3)
	v_fma_f64 v[30:31], v[30:31], v[52:53], v[30:31]
	v_add_f64 v[10:11], v[10:11], v[40:41]
	s_delay_alu instid0(VALU_DEP_2) | instskip(NEXT) | instid1(VALU_DEP_2)
	v_mul_f64 v[40:41], v[46:47], v[30:31]
	v_add_f64 v[10:11], v[56:57], v[10:11]
	s_delay_alu instid0(VALU_DEP_2) | instskip(NEXT) | instid1(VALU_DEP_2)
	v_fma_f64 v[44:45], -v[44:45], v[40:41], v[46:47]
	v_mul_f64 v[10:11], v[32:33], v[10:11]
	s_delay_alu instid0(VALU_DEP_2) | instskip(SKIP_2) | instid1(VALU_DEP_4)
	v_div_fmas_f64 v[30:31], v[44:45], v[30:31], v[40:41]
	v_subrev_co_ci_u32_e64 v16, vcc_lo, 0, v16, s2
	v_cmp_class_f64_e64 s2, v[2:3], 0x204
	v_add_f64 v[32:33], v[42:43], v[10:11]
	s_delay_alu instid0(VALU_DEP_4) | instskip(NEXT) | instid1(VALU_DEP_2)
	v_div_fixup_f64 v[30:31], v[30:31], v[50:51], v[38:39]
	v_mul_f64 v[38:39], v[32:33], v[32:33]
	s_delay_alu instid0(VALU_DEP_2) | instskip(NEXT) | instid1(VALU_DEP_2)
	v_mul_f64 v[40:41], v[30:31], v[30:31]
	v_fma_f64 v[44:45], v[38:39], s[24:25], s[22:23]
	v_mul_f64 v[48:49], v[32:33], v[38:39]
	s_delay_alu instid0(VALU_DEP_3) | instskip(NEXT) | instid1(VALU_DEP_3)
	v_fma_f64 v[46:47], v[40:41], s[42:43], s[40:41]
	v_fma_f64 v[44:45], v[38:39], v[44:45], s[26:27]
	s_delay_alu instid0(VALU_DEP_2) | instskip(NEXT) | instid1(VALU_DEP_2)
	v_fma_f64 v[46:47], v[40:41], v[46:47], s[44:45]
	v_fma_f64 v[44:45], v[38:39], v[44:45], s[28:29]
	s_delay_alu instid0(VALU_DEP_2) | instskip(NEXT) | instid1(VALU_DEP_2)
	;; [unrolled: 3-line block ×4, first 2 shown]
	v_fma_f64 v[46:47], v[40:41], v[46:47], s[50:51]
	v_fma_f64 v[38:39], v[38:39], v[44:45], s[88:89]
	s_delay_alu instid0(VALU_DEP_2) | instskip(SKIP_2) | instid1(VALU_DEP_4)
	v_fma_f64 v[44:45], v[40:41], v[46:47], s[52:53]
	v_ldexp_f64 v[46:47], v[32:33], 1
	v_add_f64 v[32:33], v[32:33], -v[42:43]
	v_mul_f64 v[38:39], v[48:49], v[38:39]
	v_cvt_f64_i32_e32 v[48:49], v16
	v_ashrrev_i32_e32 v16, 31, v3
	v_fma_f64 v[44:45], v[40:41], v[44:45], s[54:55]
	v_add_f64 v[10:11], v[10:11], -v[32:33]
	v_add_f64 v[42:43], v[46:47], v[38:39]
	v_mul_f64 v[50:51], v[48:49], s[36:37]
	s_delay_alu instid0(VALU_DEP_4) | instskip(NEXT) | instid1(VALU_DEP_4)
	v_fma_f64 v[44:45], v[40:41], v[44:45], s[56:57]
	v_ldexp_f64 v[10:11], v[10:11], 1
	s_delay_alu instid0(VALU_DEP_4) | instskip(NEXT) | instid1(VALU_DEP_4)
	v_add_f64 v[32:33], v[42:43], -v[46:47]
	v_fma_f64 v[46:47], v[48:49], s[36:37], -v[50:51]
	s_delay_alu instid0(VALU_DEP_4) | instskip(NEXT) | instid1(VALU_DEP_3)
	v_fma_f64 v[44:45], v[40:41], v[44:45], s[58:59]
	v_add_f64 v[32:33], v[38:39], -v[32:33]
	s_delay_alu instid0(VALU_DEP_2) | instskip(NEXT) | instid1(VALU_DEP_4)
	v_fma_f64 v[38:39], v[40:41], v[44:45], s[60:61]
	v_fma_f64 v[44:45], v[48:49], s[38:39], v[46:47]
	s_delay_alu instid0(VALU_DEP_3) | instskip(NEXT) | instid1(VALU_DEP_3)
	v_add_f64 v[10:11], v[10:11], v[32:33]
	v_fma_f64 v[32:33], v[40:41], v[38:39], s[62:63]
	s_delay_alu instid0(VALU_DEP_3) | instskip(NEXT) | instid1(VALU_DEP_3)
	v_add_f64 v[38:39], v[50:51], v[44:45]
	v_add_f64 v[46:47], v[42:43], v[10:11]
	s_delay_alu instid0(VALU_DEP_3) | instskip(NEXT) | instid1(VALU_DEP_3)
	v_fma_f64 v[32:33], v[40:41], v[32:33], s[64:65]
	v_add_f64 v[50:51], v[38:39], -v[50:51]
	s_delay_alu instid0(VALU_DEP_3) | instskip(SKIP_1) | instid1(VALU_DEP_4)
	v_add_f64 v[48:49], v[38:39], v[46:47]
	v_add_f64 v[42:43], v[46:47], -v[42:43]
	v_fma_f64 v[32:33], v[40:41], v[32:33], s[66:67]
	s_delay_alu instid0(VALU_DEP_4) | instskip(NEXT) | instid1(VALU_DEP_4)
	v_add_f64 v[44:45], v[44:45], -v[50:51]
	v_add_f64 v[52:53], v[48:49], -v[38:39]
	s_delay_alu instid0(VALU_DEP_4) | instskip(NEXT) | instid1(VALU_DEP_4)
	v_add_f64 v[10:11], v[10:11], -v[42:43]
	v_fma_f64 v[32:33], v[40:41], v[32:33], s[68:69]
	s_delay_alu instid0(VALU_DEP_3) | instskip(SKIP_1) | instid1(VALU_DEP_4)
	v_add_f64 v[56:57], v[48:49], -v[52:53]
	v_add_f64 v[42:43], v[46:47], -v[52:53]
	v_add_f64 v[46:47], v[44:45], v[10:11]
	s_delay_alu instid0(VALU_DEP_4) | instskip(NEXT) | instid1(VALU_DEP_4)
	v_fma_f64 v[32:33], v[40:41], v[32:33], s[70:71]
	v_add_f64 v[38:39], v[38:39], -v[56:57]
	s_delay_alu instid0(VALU_DEP_2) | instskip(NEXT) | instid1(VALU_DEP_2)
	v_fma_f64 v[32:33], v[40:41], v[32:33], s[72:73]
	v_add_f64 v[38:39], v[42:43], v[38:39]
	v_add_f64 v[42:43], v[46:47], -v[44:45]
	s_delay_alu instid0(VALU_DEP_3) | instskip(NEXT) | instid1(VALU_DEP_3)
	v_fma_f64 v[32:33], v[40:41], v[32:33], s[74:75]
	v_add_f64 v[38:39], v[46:47], v[38:39]
	s_delay_alu instid0(VALU_DEP_3) | instskip(SKIP_1) | instid1(VALU_DEP_4)
	v_add_f64 v[46:47], v[46:47], -v[42:43]
	v_add_f64 v[10:11], v[10:11], -v[42:43]
	v_fma_f64 v[32:33], v[40:41], v[32:33], s[76:77]
	s_delay_alu instid0(VALU_DEP_4) | instskip(NEXT) | instid1(VALU_DEP_4)
	v_add_f64 v[50:51], v[48:49], v[38:39]
	v_add_f64 v[42:43], v[44:45], -v[46:47]
	s_delay_alu instid0(VALU_DEP_3) | instskip(NEXT) | instid1(VALU_DEP_3)
	v_fma_f64 v[32:33], v[40:41], v[32:33], s[78:79]
	v_add_f64 v[44:45], v[50:51], -v[48:49]
	s_delay_alu instid0(VALU_DEP_3) | instskip(NEXT) | instid1(VALU_DEP_3)
	v_add_f64 v[10:11], v[10:11], v[42:43]
	v_mul_f64 v[32:33], v[40:41], v[32:33]
	s_delay_alu instid0(VALU_DEP_3) | instskip(NEXT) | instid1(VALU_DEP_2)
	v_add_f64 v[38:39], v[38:39], -v[44:45]
	v_fma_f64 v[30:31], v[30:31], v[32:33], v[30:31]
	s_delay_alu instid0(VALU_DEP_2) | instskip(NEXT) | instid1(VALU_DEP_2)
	v_add_f64 v[10:11], v[10:11], v[38:39]
	v_add_f64 v[32:33], -v[30:31], s[80:81]
	s_delay_alu instid0(VALU_DEP_2) | instskip(SKIP_1) | instid1(VALU_DEP_1)
	v_add_f64 v[10:11], v[50:51], v[10:11]
	v_and_b32_e32 v15, 0x7fffffff, v15
	v_cmp_eq_f64_e32 vcc_lo, 0x7ff00000, v[14:15]
	s_delay_alu instid0(VALU_DEP_4) | instskip(SKIP_2) | instid1(VALU_DEP_2)
	v_cndmask_b32_e64 v15, v31, v33, s0
	v_cndmask_b32_e64 v14, v30, v32, s0
	v_cmp_eq_f64_e64 s0, 0, v[4:5]
	v_add_f64 v[30:31], -v[14:15], s[10:11]
	s_and_b32 vcc_lo, s1, vcc_lo
	v_cmp_class_f64_e64 s1, v[4:5], 0x204
	v_cndmask_b32_e32 v10, v10, v8, vcc_lo
	v_cndmask_b32_e32 v11, v11, v12, vcc_lo
	v_cmp_gt_i32_e32 vcc_lo, 0, v3
	v_and_b32_e32 v12, 0x54442d18, v16
	v_and_b32_e32 v3, 0x400921fb, v16
	v_dual_cndmask_b32 v15, v15, v31 :: v_dual_cndmask_b32 v14, v14, v30
	v_add_f64 v[10:11], v[10:11], 1.0
	v_cndmask_b32_e32 v8, 0x54442d18, v54, vcc_lo
	v_cndmask_b32_e32 v2, 0x3fe921fb, v55, vcc_lo
	s_delay_alu instid0(VALU_DEP_4)
	v_cndmask_b32_e64 v3, v15, v3, s0
	v_cndmask_b32_e64 v12, v14, v12, s0
	v_cmp_nge_f64_e64 s0, 0, v[6:7]
	v_cmp_ngt_f64_e32 vcc_lo, 0, v[6:7]
	v_bfi_b32 v2, 0x7fffffff, v2, v5
	v_cndmask_b32_e64 v10, v10, 0, s4
	v_cndmask_b32_e64 v11, v11, 0x7ff00000, s4
	s_delay_alu instid0(VALU_DEP_2) | instskip(SKIP_1) | instid1(VALU_DEP_3)
	v_cndmask_b32_e64 v30, 0, v10, s0
	v_cmp_neq_f64_e64 s0, 0, v[6:7]
	v_cndmask_b32_e32 v11, 0x7ff80000, v11, vcc_lo
	s_and_b32 vcc_lo, s2, s1
	v_dual_cndmask_b32 v33, v3, v2 :: v_dual_cndmask_b32 v32, v12, v8
	s_delay_alu instid0(VALU_DEP_2)
	v_cndmask_b32_e64 v31, 0xfff00000, v11, s0
.LBB174_291:                            ;   in Loop: Header=BB174_162 Depth=1
	s_or_b32 exec_lo, exec_lo, s3
.LBB174_292:                            ;   in Loop: Header=BB174_162 Depth=1
	s_and_not1_saveexec_b32 s0, s92
	s_cbranch_execz .LBB174_161
; %bb.293:                              ;   in Loop: Header=BB174_162 Depth=1
	v_cmp_ngt_f64_e64 s1, 0x20000000, |v[2:3]|
	v_cmp_ngt_f64_e64 s2, 0x20000000, |v[4:5]|
                                        ; implicit-def: $vgpr6_vgpr7
	s_delay_alu instid0(VALU_DEP_1) | instskip(NEXT) | instid1(SALU_CYCLE_1)
	s_or_b32 s1, s1, s2
	s_and_saveexec_b32 s2, s1
	s_delay_alu instid0(SALU_CYCLE_1)
	s_xor_b32 s1, exec_lo, s2
; %bb.294:                              ;   in Loop: Header=BB174_162 Depth=1
	v_mul_f64 v[6:7], v[4:5], v[4:5]
	s_delay_alu instid0(VALU_DEP_1)
	v_fma_f64 v[6:7], v[2:3], v[2:3], v[6:7]
; %bb.295:                              ;   in Loop: Header=BB174_162 Depth=1
	s_and_not1_saveexec_b32 s1, s1
	s_cbranch_execz .LBB174_160
; %bb.296:                              ;   in Loop: Header=BB174_162 Depth=1
	v_mul_f64 v[6:7], v[4:5], 4.0
	v_mul_f64 v[2:3], v[2:3], 4.0
	s_delay_alu instid0(VALU_DEP_2) | instskip(NEXT) | instid1(VALU_DEP_1)
	v_mul_f64 v[6:7], v[6:7], v[6:7]
	v_fma_f64 v[2:3], v[2:3], v[2:3], v[6:7]
	s_delay_alu instid0(VALU_DEP_1)
	v_ldexp_f64 v[6:7], v[2:3], -4
	s_branch .LBB174_160
.LBB174_297:
	s_nop 0
	s_sendmsg sendmsg(MSG_DEALLOC_VGPRS)
	s_endpgm
	.section	.rodata,"a",@progbits
	.p2align	6, 0x0
	.amdhsa_kernel _ZN2at6native12_GLOBAL__N_125multi_tensor_apply_kernelINS1_18TensorListMetadataILi1EEENS1_14UnaryOpFunctorIN3c107complexIdEELi1ELi1ELi0EEEJNS0_3LogIS8_EEEEEvT_T0_DpT1_
		.amdhsa_group_segment_fixed_size 0
		.amdhsa_private_segment_fixed_size 0
		.amdhsa_kernarg_size 3632
		.amdhsa_user_sgpr_count 15
		.amdhsa_user_sgpr_dispatch_ptr 0
		.amdhsa_user_sgpr_queue_ptr 0
		.amdhsa_user_sgpr_kernarg_segment_ptr 1
		.amdhsa_user_sgpr_dispatch_id 0
		.amdhsa_user_sgpr_private_segment_size 0
		.amdhsa_wavefront_size32 1
		.amdhsa_uses_dynamic_stack 0
		.amdhsa_enable_private_segment 0
		.amdhsa_system_sgpr_workgroup_id_x 1
		.amdhsa_system_sgpr_workgroup_id_y 0
		.amdhsa_system_sgpr_workgroup_id_z 0
		.amdhsa_system_sgpr_workgroup_info 0
		.amdhsa_system_vgpr_workitem_id 0
		.amdhsa_next_free_vgpr 74
		.amdhsa_next_free_sgpr 105
		.amdhsa_reserve_vcc 1
		.amdhsa_float_round_mode_32 0
		.amdhsa_float_round_mode_16_64 0
		.amdhsa_float_denorm_mode_32 3
		.amdhsa_float_denorm_mode_16_64 3
		.amdhsa_dx10_clamp 1
		.amdhsa_ieee_mode 1
		.amdhsa_fp16_overflow 0
		.amdhsa_workgroup_processor_mode 1
		.amdhsa_memory_ordered 1
		.amdhsa_forward_progress 0
		.amdhsa_shared_vgpr_count 0
		.amdhsa_exception_fp_ieee_invalid_op 0
		.amdhsa_exception_fp_denorm_src 0
		.amdhsa_exception_fp_ieee_div_zero 0
		.amdhsa_exception_fp_ieee_overflow 0
		.amdhsa_exception_fp_ieee_underflow 0
		.amdhsa_exception_fp_ieee_inexact 0
		.amdhsa_exception_int_div_zero 0
	.end_amdhsa_kernel
	.section	.text._ZN2at6native12_GLOBAL__N_125multi_tensor_apply_kernelINS1_18TensorListMetadataILi1EEENS1_14UnaryOpFunctorIN3c107complexIdEELi1ELi1ELi0EEEJNS0_3LogIS8_EEEEEvT_T0_DpT1_,"axG",@progbits,_ZN2at6native12_GLOBAL__N_125multi_tensor_apply_kernelINS1_18TensorListMetadataILi1EEENS1_14UnaryOpFunctorIN3c107complexIdEELi1ELi1ELi0EEEJNS0_3LogIS8_EEEEEvT_T0_DpT1_,comdat
.Lfunc_end174:
	.size	_ZN2at6native12_GLOBAL__N_125multi_tensor_apply_kernelINS1_18TensorListMetadataILi1EEENS1_14UnaryOpFunctorIN3c107complexIdEELi1ELi1ELi0EEEJNS0_3LogIS8_EEEEEvT_T0_DpT1_, .Lfunc_end174-_ZN2at6native12_GLOBAL__N_125multi_tensor_apply_kernelINS1_18TensorListMetadataILi1EEENS1_14UnaryOpFunctorIN3c107complexIdEELi1ELi1ELi0EEEJNS0_3LogIS8_EEEEEvT_T0_DpT1_
                                        ; -- End function
	.section	.AMDGPU.csdata,"",@progbits
; Kernel info:
; codeLenInByte = 100220
; NumSgprs: 107
; NumVgprs: 74
; ScratchSize: 0
; MemoryBound: 1
; FloatMode: 240
; IeeeMode: 1
; LDSByteSize: 0 bytes/workgroup (compile time only)
; SGPRBlocks: 13
; VGPRBlocks: 9
; NumSGPRsForWavesPerEU: 107
; NumVGPRsForWavesPerEU: 74
; Occupancy: 16
; WaveLimiterHint : 0
; COMPUTE_PGM_RSRC2:SCRATCH_EN: 0
; COMPUTE_PGM_RSRC2:USER_SGPR: 15
; COMPUTE_PGM_RSRC2:TRAP_HANDLER: 0
; COMPUTE_PGM_RSRC2:TGID_X_EN: 1
; COMPUTE_PGM_RSRC2:TGID_Y_EN: 0
; COMPUTE_PGM_RSRC2:TGID_Z_EN: 0
; COMPUTE_PGM_RSRC2:TIDIG_COMP_CNT: 0
	.section	.text._ZN2at6native12_GLOBAL__N_125multi_tensor_apply_kernelINS1_18TensorListMetadataILi1EEENS1_14UnaryOpFunctorIN3c107complexIfEELi1ELi1ELi0EEEJNS0_3LogIS8_EEEEEvT_T0_DpT1_,"axG",@progbits,_ZN2at6native12_GLOBAL__N_125multi_tensor_apply_kernelINS1_18TensorListMetadataILi1EEENS1_14UnaryOpFunctorIN3c107complexIfEELi1ELi1ELi0EEEJNS0_3LogIS8_EEEEEvT_T0_DpT1_,comdat
	.globl	_ZN2at6native12_GLOBAL__N_125multi_tensor_apply_kernelINS1_18TensorListMetadataILi1EEENS1_14UnaryOpFunctorIN3c107complexIfEELi1ELi1ELi0EEEJNS0_3LogIS8_EEEEEvT_T0_DpT1_ ; -- Begin function _ZN2at6native12_GLOBAL__N_125multi_tensor_apply_kernelINS1_18TensorListMetadataILi1EEENS1_14UnaryOpFunctorIN3c107complexIfEELi1ELi1ELi0EEEJNS0_3LogIS8_EEEEEvT_T0_DpT1_
	.p2align	8
	.type	_ZN2at6native12_GLOBAL__N_125multi_tensor_apply_kernelINS1_18TensorListMetadataILi1EEENS1_14UnaryOpFunctorIN3c107complexIfEELi1ELi1ELi0EEEJNS0_3LogIS8_EEEEEvT_T0_DpT1_,@function
_ZN2at6native12_GLOBAL__N_125multi_tensor_apply_kernelINS1_18TensorListMetadataILi1EEENS1_14UnaryOpFunctorIN3c107complexIfEELi1ELi1ELi0EEEJNS0_3LogIS8_EEEEEvT_T0_DpT1_: ; @_ZN2at6native12_GLOBAL__N_125multi_tensor_apply_kernelINS1_18TensorListMetadataILi1EEENS1_14UnaryOpFunctorIN3c107complexIfEELi1ELi1ELi0EEEJNS0_3LogIS8_EEEEEvT_T0_DpT1_
; %bb.0:
	v_mov_b32_e32 v1, s15
	s_add_u32 s2, s0, s15
	s_mul_hi_u32 s3, s15, 3
	s_mul_i32 s15, s15, 3
	s_addc_u32 s4, s1, 0
	global_load_u8 v1, v1, s[0:1] offset:1760
	s_add_u32 s2, s2, s15
	s_addc_u32 s3, s4, s3
	s_mov_b32 s11, 0
	s_load_b32 s2, s[2:3], 0x820
	s_waitcnt vmcnt(0)
	v_readfirstlane_b32 s5, v1
	s_delay_alu instid0(VALU_DEP_1)
	s_lshl_b32 s3, s5, 3
	s_clause 0x1
	s_load_b64 s[4:5], s[0:1], s3 offset:0x0
	s_load_b64 s[6:7], s[0:1], s3 offset:0x370
	s_waitcnt lgkmcnt(0)
	s_ashr_i32 s3, s2, 31
	s_delay_alu instid0(SALU_CYCLE_1) | instskip(NEXT) | instid1(SALU_CYCLE_1)
	s_lshl_b64 s[8:9], s[2:3], 19
	s_add_u32 s13, s4, s8
	s_addc_u32 s20, s5, s9
	s_lshl_b64 s[2:3], s[2:3], 16
	s_and_b32 s10, s13, 31
	s_sub_u32 s14, s6, s2
	s_subb_u32 s15, s7, s3
	s_and_b32 s2, s6, 3
	s_mov_b32 s3, s11
	s_delay_alu instid0(SALU_CYCLE_1) | instskip(NEXT) | instid1(SALU_CYCLE_1)
	s_or_b64 s[2:3], s[10:11], s[2:3]
	s_cmp_eq_u64 s[2:3], 0
	s_cbranch_scc1 .LBB175_157
; %bb.1:
	v_cmp_lt_i64_e64 s2, s[14:15], 1
	s_delay_alu instid0(VALU_DEP_1)
	s_and_b32 vcc_lo, exec_lo, s2
	s_cbranch_vccnz .LBB175_156
; %bb.2:
	s_load_b32 s2, s[0:1], 0xd3c
	v_cmp_gt_u64_e64 s3, 0x10000, s[14:15]
	v_mov_b32_e32 v19, 0x4016cbe4
	s_mov_b64 s[16:17], 0
	s_mov_b32 s21, 0x3e9b6dac
	s_mov_b32 s26, 0x3b2d2a58
	s_waitcnt lgkmcnt(0)
	s_and_b32 s22, s2, 0xffff
	s_and_b32 s2, s3, exec_lo
	s_cselect_b32 s19, s15, 0
	s_cselect_b32 s18, s14, 0x10000
	s_lshl_b32 s23, s22, 1
	s_mul_i32 s24, s22, 3
	s_lshl_b32 s25, s22, 2
	s_branch .LBB175_4
.LBB175_3:                              ;   in Loop: Header=BB175_4 Depth=1
	s_or_b32 exec_lo, exec_lo, s2
	s_add_u32 s16, s16, s25
	s_addc_u32 s17, s17, 0
	s_delay_alu instid0(SALU_CYCLE_1) | instskip(SKIP_1) | instid1(VALU_DEP_1)
	v_cmp_ge_i64_e64 s2, s[16:17], s[14:15]
	v_cmp_lt_u64_e64 s3, 0xffff, s[16:17]
	s_or_b32 s2, s2, s3
	s_delay_alu instid0(SALU_CYCLE_1)
	s_and_b32 vcc_lo, exec_lo, s2
	s_cbranch_vccnz .LBB175_156
.LBB175_4:                              ; =>This Loop Header: Depth=1
                                        ;     Child Loop BB175_23 Depth 2
                                        ;     Child Loop BB175_57 Depth 2
	;; [unrolled: 1-line block ×4, first 2 shown]
	v_add_co_u32 v13, s2, s16, v0
	s_delay_alu instid0(VALU_DEP_1) | instskip(SKIP_1) | instid1(VALU_DEP_2)
	v_add_co_ci_u32_e64 v14, null, s17, 0, s2
	v_dual_mov_b32 v6, 0 :: v_dual_mov_b32 v5, 0
	v_cmp_gt_u64_e64 s2, s[18:19], v[13:14]
	v_lshlrev_b64 v[1:2], 3, v[13:14]
	s_delay_alu instid0(VALU_DEP_2)
	s_and_saveexec_b32 s3, s2
	s_cbranch_execz .LBB175_6
; %bb.5:                                ;   in Loop: Header=BB175_4 Depth=1
	s_delay_alu instid0(VALU_DEP_1) | instskip(NEXT) | instid1(VALU_DEP_2)
	v_add_co_u32 v3, vcc_lo, s13, v1
	v_add_co_ci_u32_e32 v4, vcc_lo, s20, v2, vcc_lo
	global_load_b64 v[5:6], v[3:4], off
.LBB175_6:                              ;   in Loop: Header=BB175_4 Depth=1
	s_or_b32 exec_lo, exec_lo, s3
	v_add_co_u32 v7, vcc_lo, v13, s22
	v_add_co_ci_u32_e32 v8, vcc_lo, 0, v14, vcc_lo
	v_dual_mov_b32 v4, 0 :: v_dual_mov_b32 v9, 0
	v_mov_b32_e32 v10, 0
	s_delay_alu instid0(VALU_DEP_3) | instskip(SKIP_1) | instid1(VALU_DEP_2)
	v_cmp_gt_u64_e64 s3, s[18:19], v[7:8]
	v_lshlrev_b64 v[7:8], 3, v[7:8]
	s_and_saveexec_b32 s4, s3
	s_cbranch_execz .LBB175_8
; %bb.7:                                ;   in Loop: Header=BB175_4 Depth=1
	s_delay_alu instid0(VALU_DEP_1) | instskip(NEXT) | instid1(VALU_DEP_2)
	v_add_co_u32 v9, vcc_lo, s13, v7
	v_add_co_ci_u32_e32 v10, vcc_lo, s20, v8, vcc_lo
	global_load_b64 v[9:10], v[9:10], off
.LBB175_8:                              ;   in Loop: Header=BB175_4 Depth=1
	s_or_b32 exec_lo, exec_lo, s4
	v_add_co_u32 v11, vcc_lo, v13, s23
	v_add_co_ci_u32_e32 v12, vcc_lo, 0, v14, vcc_lo
	v_mov_b32_e32 v3, 0
	s_delay_alu instid0(VALU_DEP_2) | instskip(SKIP_1) | instid1(VALU_DEP_2)
	v_cmp_gt_u64_e64 s4, s[18:19], v[11:12]
	v_lshlrev_b64 v[11:12], 3, v[11:12]
	s_and_saveexec_b32 s5, s4
	s_cbranch_execz .LBB175_10
; %bb.9:                                ;   in Loop: Header=BB175_4 Depth=1
	s_delay_alu instid0(VALU_DEP_1) | instskip(NEXT) | instid1(VALU_DEP_2)
	v_add_co_u32 v3, vcc_lo, s13, v11
	v_add_co_ci_u32_e32 v4, vcc_lo, s20, v12, vcc_lo
	global_load_b64 v[3:4], v[3:4], off
.LBB175_10:                             ;   in Loop: Header=BB175_4 Depth=1
	s_or_b32 exec_lo, exec_lo, s5
	v_add_co_u32 v13, vcc_lo, v13, s24
	v_add_co_ci_u32_e32 v14, vcc_lo, 0, v14, vcc_lo
	v_dual_mov_b32 v16, 0 :: v_dual_mov_b32 v15, 0
	s_delay_alu instid0(VALU_DEP_2) | instskip(SKIP_1) | instid1(VALU_DEP_2)
	v_cmp_gt_u64_e64 s5, s[18:19], v[13:14]
	v_lshlrev_b64 v[13:14], 3, v[13:14]
	s_and_saveexec_b32 s6, s5
	s_cbranch_execz .LBB175_12
; %bb.11:                               ;   in Loop: Header=BB175_4 Depth=1
	s_delay_alu instid0(VALU_DEP_1) | instskip(NEXT) | instid1(VALU_DEP_2)
	v_add_co_u32 v15, vcc_lo, s13, v13
	v_add_co_ci_u32_e32 v16, vcc_lo, s20, v14, vcc_lo
	global_load_b64 v[15:16], v[15:16], off
.LBB175_12:                             ;   in Loop: Header=BB175_4 Depth=1
	s_or_b32 exec_lo, exec_lo, s6
                                        ; implicit-def: $vgpr17
                                        ; implicit-def: $vgpr18
	s_delay_alu instid0(SALU_CYCLE_1)
	s_mov_b32 s6, exec_lo
	s_waitcnt vmcnt(0)
	v_cmpx_o_f32_e32 v6, v5
	s_xor_b32 s27, exec_lo, s6
	s_cbranch_execz .LBB175_40
; %bb.13:                               ;   in Loop: Header=BB175_4 Depth=1
	v_cmp_lt_f32_e64 s6, |v5|, |v6|
                                        ; implicit-def: $vgpr17
                                        ; implicit-def: $vgpr18
	s_mov_b32 s7, exec_lo
	s_delay_alu instid0(VALU_DEP_1) | instskip(NEXT) | instid1(VALU_DEP_1)
	v_cndmask_b32_e64 v20, |v6|, |v5|, s6
	v_cmpx_nlt_f32_e32 0x77f684df, v20
	s_xor_b32 s28, exec_lo, s7
	s_cbranch_execz .LBB175_37
; %bb.14:                               ;   in Loop: Header=BB175_4 Depth=1
	v_and_b32_e32 v17, 0x7fffffff, v6
                                        ; implicit-def: $vgpr18
	s_mov_b32 s7, exec_lo
	s_delay_alu instid0(VALU_DEP_1) | instskip(NEXT) | instid1(VALU_DEP_1)
	v_cndmask_b32_e64 v21, |v5|, v17, s6
                                        ; implicit-def: $vgpr17
	v_cmpx_neq_f32_e32 1.0, v21
	s_xor_b32 s29, exec_lo, s7
	s_cbranch_execz .LBB175_30
; %bb.15:                               ;   in Loop: Header=BB175_4 Depth=1
	v_dual_max_f32 v17, v20, v20 :: v_dual_max_f32 v18, v21, v21
	s_delay_alu instid0(VALU_DEP_1) | instskip(SKIP_1) | instid1(VALU_DEP_2)
	v_min_f32_e32 v22, v18, v17
	v_max_f32_e32 v17, v18, v17
                                        ; implicit-def: $vgpr18
	v_cmp_ngt_f32_e32 vcc_lo, 0x358637bd, v22
	s_delay_alu instid0(VALU_DEP_2) | instskip(NEXT) | instid1(VALU_DEP_1)
	v_cmp_nlt_f32_e64 s7, 0x49742400, v17
                                        ; implicit-def: $vgpr17
	s_and_b32 s7, s7, vcc_lo
	s_delay_alu instid0(SALU_CYCLE_1) | instskip(NEXT) | instid1(SALU_CYCLE_1)
	s_and_saveexec_b32 s8, s7
	s_xor_b32 s30, exec_lo, s8
	s_cbranch_execz .LBB175_27
; %bb.16:                               ;   in Loop: Header=BB175_4 Depth=1
                                        ; implicit-def: $vgpr17
                                        ; implicit-def: $vgpr18
	s_mov_b32 s7, exec_lo
	v_cmpx_le_f32_e32 1.0, v21
	s_xor_b32 s8, exec_lo, s7
	s_cbranch_execz .LBB175_18
; %bb.17:                               ;   in Loop: Header=BB175_4 Depth=1
	v_add_f32_e32 v17, -1.0, v21
	v_add_f32_e32 v18, 1.0, v21
	v_cmp_class_f32_e64 s9, v5, 0x204
	s_delay_alu instid0(VALU_DEP_2) | instskip(NEXT) | instid1(VALU_DEP_1)
	v_mul_f32_e32 v21, v17, v18
	v_fmac_f32_e32 v21, v20, v20
	s_delay_alu instid0(VALU_DEP_1) | instskip(SKIP_1) | instid1(VALU_DEP_2)
	v_add_f32_e32 v20, 1.0, v21
	v_cmp_neq_f32_e64 s7, -1.0, v21
	v_cvt_f64_f32_e32 v[17:18], v20
	s_delay_alu instid0(VALU_DEP_1) | instskip(SKIP_1) | instid1(VALU_DEP_1)
	v_frexp_exp_i32_f64_e32 v17, v[17:18]
	v_frexp_mant_f32_e32 v18, v20
	v_cmp_gt_f32_e32 vcc_lo, 0x3f2aaaab, v18
	v_add_f32_e32 v18, -1.0, v20
	s_delay_alu instid0(VALU_DEP_1) | instskip(NEXT) | instid1(VALU_DEP_1)
	v_dual_sub_f32 v23, v18, v20 :: v_dual_sub_f32 v18, v21, v18
	v_add_f32_e32 v23, 1.0, v23
	v_subrev_co_ci_u32_e32 v17, vcc_lo, 0, v17, vcc_lo
	v_cmp_eq_f32_e32 vcc_lo, 0x7f800000, v21
	s_delay_alu instid0(VALU_DEP_2) | instskip(SKIP_1) | instid1(VALU_DEP_2)
	v_sub_nc_u32_e32 v22, 0, v17
	v_cvt_f32_i32_e32 v17, v17
	v_ldexp_f32 v20, v20, v22
	s_delay_alu instid0(VALU_DEP_1) | instskip(NEXT) | instid1(VALU_DEP_1)
	v_add_f32_e32 v24, 1.0, v20
	v_dual_add_f32 v18, v18, v23 :: v_dual_add_f32 v23, -1.0, v24
	s_delay_alu instid0(VALU_DEP_1) | instskip(NEXT) | instid1(VALU_DEP_2)
	v_ldexp_f32 v18, v18, v22
	v_dual_add_f32 v22, -1.0, v20 :: v_dual_sub_f32 v23, v20, v23
	s_delay_alu instid0(VALU_DEP_1) | instskip(NEXT) | instid1(VALU_DEP_1)
	v_add_f32_e32 v25, 1.0, v22
	v_dual_add_f32 v23, v18, v23 :: v_dual_sub_f32 v20, v20, v25
	s_delay_alu instid0(VALU_DEP_1) | instskip(NEXT) | instid1(VALU_DEP_1)
	v_dual_add_f32 v18, v18, v20 :: v_dual_add_f32 v25, v24, v23
	v_add_f32_e32 v26, v22, v18
	s_delay_alu instid0(VALU_DEP_2) | instskip(SKIP_1) | instid1(VALU_DEP_1)
	v_rcp_f32_e32 v20, v25
	v_sub_f32_e32 v24, v25, v24
	v_dual_sub_f32 v22, v26, v22 :: v_dual_sub_f32 v23, v23, v24
	s_delay_alu instid0(VALU_DEP_1) | instskip(SKIP_2) | instid1(VALU_DEP_1)
	v_sub_f32_e32 v18, v18, v22
	s_waitcnt_depctr 0xfff
	v_mul_f32_e32 v27, v26, v20
	v_mul_f32_e32 v28, v25, v27
	s_delay_alu instid0(VALU_DEP_1) | instskip(NEXT) | instid1(VALU_DEP_1)
	v_fma_f32 v24, v27, v25, -v28
	v_fmac_f32_e32 v24, v27, v23
	s_delay_alu instid0(VALU_DEP_1) | instskip(NEXT) | instid1(VALU_DEP_1)
	v_add_f32_e32 v29, v28, v24
	v_sub_f32_e32 v30, v26, v29
	v_sub_f32_e32 v22, v29, v28
	s_delay_alu instid0(VALU_DEP_2) | instskip(NEXT) | instid1(VALU_DEP_2)
	v_sub_f32_e32 v26, v26, v30
	v_sub_f32_e32 v22, v22, v24
	s_delay_alu instid0(VALU_DEP_2) | instskip(NEXT) | instid1(VALU_DEP_1)
	v_sub_f32_e32 v26, v26, v29
	v_add_f32_e32 v18, v18, v26
	s_delay_alu instid0(VALU_DEP_1) | instskip(NEXT) | instid1(VALU_DEP_1)
	v_add_f32_e32 v18, v22, v18
	v_add_f32_e32 v22, v30, v18
	s_delay_alu instid0(VALU_DEP_1) | instskip(NEXT) | instid1(VALU_DEP_1)
	v_mul_f32_e32 v24, v20, v22
	v_mul_f32_e32 v26, v25, v24
	s_delay_alu instid0(VALU_DEP_1) | instskip(NEXT) | instid1(VALU_DEP_1)
	v_fma_f32 v25, v24, v25, -v26
	v_fmac_f32_e32 v25, v24, v23
	v_sub_f32_e32 v29, v30, v22
	s_delay_alu instid0(VALU_DEP_2) | instskip(NEXT) | instid1(VALU_DEP_2)
	v_add_f32_e32 v23, v26, v25
	v_add_f32_e32 v18, v18, v29
	s_delay_alu instid0(VALU_DEP_2) | instskip(SKIP_1) | instid1(VALU_DEP_2)
	v_sub_f32_e32 v28, v22, v23
	v_sub_f32_e32 v26, v23, v26
	;; [unrolled: 1-line block ×3, first 2 shown]
	s_delay_alu instid0(VALU_DEP_1) | instskip(NEXT) | instid1(VALU_DEP_3)
	v_sub_f32_e32 v22, v22, v23
	v_sub_f32_e32 v23, v26, v25
	v_max_f32_e64 v25, |v6|, |v6|
	s_delay_alu instid0(VALU_DEP_3) | instskip(SKIP_1) | instid1(VALU_DEP_1)
	v_add_f32_e32 v18, v18, v22
	v_add_f32_e32 v22, v27, v24
	v_dual_add_f32 v18, v23, v18 :: v_dual_sub_f32 v23, v22, v27
	s_delay_alu instid0(VALU_DEP_1) | instskip(NEXT) | instid1(VALU_DEP_2)
	v_add_f32_e32 v18, v28, v18
	v_dual_sub_f32 v23, v24, v23 :: v_dual_mul_f32 v28, 0x3f317218, v17
	s_delay_alu instid0(VALU_DEP_2) | instskip(NEXT) | instid1(VALU_DEP_2)
	v_mul_f32_e32 v18, v20, v18
	v_fma_f32 v29, 0x3f317218, v17, -v28
	s_delay_alu instid0(VALU_DEP_1) | instskip(NEXT) | instid1(VALU_DEP_1)
	v_dual_add_f32 v18, v23, v18 :: v_dual_fmac_f32 v29, 0xb102e308, v17
	v_add_f32_e32 v20, v22, v18
	s_delay_alu instid0(VALU_DEP_1) | instskip(SKIP_1) | instid1(VALU_DEP_2)
	v_mul_f32_e32 v23, v20, v20
	v_ldexp_f32 v27, v20, 1
	v_fmaak_f32 v24, s21, v23, 0x3ecc95a3
	s_delay_alu instid0(VALU_DEP_1) | instskip(SKIP_1) | instid1(VALU_DEP_1)
	v_dual_mul_f32 v26, v20, v23 :: v_dual_fmaak_f32 v23, v23, v24, 0x3f2aaada
	v_max_f32_e64 v24, |v5|, |v5|
	v_dual_mul_f32 v23, v26, v23 :: v_dual_max_f32 v26, v24, v25
	v_sub_f32_e32 v20, v20, v22
	v_min_f32_e32 v24, v24, v25
	s_delay_alu instid0(VALU_DEP_3) | instskip(NEXT) | instid1(VALU_DEP_4)
	v_add_f32_e32 v22, v27, v23
	v_frexp_mant_f32_e32 v25, v26
	s_delay_alu instid0(VALU_DEP_4) | instskip(SKIP_1) | instid1(VALU_DEP_4)
	v_sub_f32_e32 v18, v18, v20
	v_frexp_exp_i32_f32_e32 v26, v26
	v_sub_f32_e32 v20, v22, v27
	s_delay_alu instid0(VALU_DEP_4) | instskip(NEXT) | instid1(VALU_DEP_3)
	v_rcp_f32_e32 v25, v25
	v_ldexp_f32 v18, v18, 1
	v_frexp_exp_i32_f32_e32 v27, v24
	s_delay_alu instid0(VALU_DEP_3) | instskip(SKIP_1) | instid1(VALU_DEP_3)
	v_sub_f32_e32 v20, v23, v20
	v_frexp_mant_f32_e32 v23, v24
	v_sub_nc_u32_e32 v24, v27, v26
	s_waitcnt_depctr 0xfff
	v_dual_add_f32 v17, v18, v20 :: v_dual_mul_f32 v18, v23, v25
	v_add_f32_e32 v20, v28, v29
	s_delay_alu instid0(VALU_DEP_2) | instskip(NEXT) | instid1(VALU_DEP_3)
	v_add_f32_e32 v23, v22, v17
	v_ldexp_f32 v18, v18, v24
	s_delay_alu instid0(VALU_DEP_3) | instskip(NEXT) | instid1(VALU_DEP_2)
	v_sub_f32_e32 v28, v20, v28
	v_dual_add_f32 v24, v20, v23 :: v_dual_mul_f32 v25, v18, v18
	v_sub_f32_e32 v22, v23, v22
	s_delay_alu instid0(VALU_DEP_3) | instskip(NEXT) | instid1(VALU_DEP_3)
	v_sub_f32_e32 v28, v29, v28
	v_dual_sub_f32 v26, v24, v20 :: v_dual_fmaak_f32 v27, s26, v25, 0xbc7a590c
	s_delay_alu instid0(VALU_DEP_3) | instskip(NEXT) | instid1(VALU_DEP_2)
	v_sub_f32_e32 v17, v17, v22
	v_dual_sub_f32 v30, v24, v26 :: v_dual_fmaak_f32 v27, v25, v27, 0x3d29fb3f
	v_sub_f32_e32 v22, v23, v26
	s_delay_alu instid0(VALU_DEP_3) | instskip(NEXT) | instid1(VALU_DEP_3)
	v_add_f32_e32 v26, v28, v17
	v_dual_sub_f32 v20, v20, v30 :: v_dual_fmaak_f32 v23, v25, v27, 0xbd97d4d7
	s_delay_alu instid0(VALU_DEP_1) | instskip(NEXT) | instid1(VALU_DEP_2)
	v_add_f32_e32 v20, v22, v20
	v_dual_fmaak_f32 v22, v25, v23, 0x3dd931b2 :: v_dual_sub_f32 v23, v26, v28
	s_delay_alu instid0(VALU_DEP_2) | instskip(NEXT) | instid1(VALU_DEP_2)
	v_add_f32_e32 v20, v26, v20
	v_fmaak_f32 v22, v25, v22, 0xbe1160e6
	s_delay_alu instid0(VALU_DEP_3) | instskip(SKIP_1) | instid1(VALU_DEP_3)
	v_sub_f32_e32 v26, v26, v23
	v_sub_f32_e32 v17, v17, v23
	v_dual_add_f32 v27, v24, v20 :: v_dual_fmaak_f32 v22, v25, v22, 0x3e4cb8bf
	s_delay_alu instid0(VALU_DEP_1) | instskip(NEXT) | instid1(VALU_DEP_2)
	v_dual_sub_f32 v23, v28, v26 :: v_dual_sub_f32 v24, v27, v24
	v_fmaak_f32 v22, v25, v22, 0xbeaaaa62
	s_delay_alu instid0(VALU_DEP_2) | instskip(NEXT) | instid1(VALU_DEP_2)
	v_dual_add_f32 v17, v17, v23 :: v_dual_sub_f32 v20, v20, v24
	v_mul_f32_e32 v22, v25, v22
	s_delay_alu instid0(VALU_DEP_1) | instskip(NEXT) | instid1(VALU_DEP_1)
	v_dual_add_f32 v17, v17, v20 :: v_dual_fmac_f32 v18, v18, v22
	v_dual_add_f32 v17, v27, v17 :: v_dual_sub_f32 v20, 0x3fc90fdb, v18
	s_delay_alu instid0(VALU_DEP_1) | instskip(SKIP_1) | instid1(VALU_DEP_3)
	v_cndmask_b32_e32 v17, v17, v21, vcc_lo
	v_cmp_gt_i32_e32 vcc_lo, 0, v5
	v_cndmask_b32_e64 v18, v18, v20, s6
	v_cndmask_b32_e64 v20, 0, 0x40490fdb, vcc_lo
	v_cmp_ngt_f32_e32 vcc_lo, -1.0, v21
	s_delay_alu instid0(VALU_DEP_3) | instskip(SKIP_2) | instid1(VALU_DEP_2)
	v_sub_f32_e32 v22, 0x40490fdb, v18
	v_cndmask_b32_e32 v17, 0x7fc00000, v17, vcc_lo
	v_cmp_gt_f32_e32 vcc_lo, 0, v5
	v_cndmask_b32_e64 v5, 0xff800000, v17, s7
	s_delay_alu instid0(VALU_DEP_4)
	v_cndmask_b32_e32 v17, v18, v22, vcc_lo
	v_cndmask_b32_e32 v18, 0x3f490fdb, v19, vcc_lo
	v_cmp_gt_f32_e64 vcc_lo, 0x33800000, |v21|
	v_cmp_class_f32_e64 s7, v6, 0x204
	v_cndmask_b32_e32 v5, v5, v21, vcc_lo
	v_cmp_eq_f32_e32 vcc_lo, 0, v6
                                        ; implicit-def: $vgpr21
	s_delay_alu instid0(VALU_DEP_2) | instskip(NEXT) | instid1(VALU_DEP_4)
	v_dual_cndmask_b32 v20, v17, v20 :: v_dual_mul_f32 v17, 0.5, v5
	s_and_b32 vcc_lo, s7, s9
	s_delay_alu instid0(VALU_DEP_1)
	v_cndmask_b32_e32 v18, v20, v18, vcc_lo
                                        ; implicit-def: $vgpr20
.LBB175_18:                             ;   in Loop: Header=BB175_4 Depth=1
	s_and_not1_saveexec_b32 s31, s8
	s_cbranch_execz .LBB175_26
; %bb.19:                               ;   in Loop: Header=BB175_4 Depth=1
	v_mul_f32_e32 v22, v20, v20
                                        ; implicit-def: $vgpr17
                                        ; implicit-def: $vgpr18
	s_mov_b32 s7, exec_lo
	s_delay_alu instid0(VALU_DEP_1) | instskip(NEXT) | instid1(VALU_DEP_1)
	v_fmac_f32_e32 v22, v21, v21
	v_cmpx_ge_f32_e32 0x3f333333, v22
	s_xor_b32 s8, exec_lo, s7
	s_cbranch_execz .LBB175_21
; %bb.20:                               ;   in Loop: Header=BB175_4 Depth=1
	v_max_f32_e64 v17, |v6|, |v6|
	v_max_f32_e64 v18, |v5|, |v5|
	v_cmp_gt_f32_e32 vcc_lo, 0x800000, v22
	v_cmp_gt_i32_e64 s7, 0, v5
	v_cmp_class_f32_e64 s9, v5, 0x204
	v_cmp_class_f32_e64 s10, v6, 0x204
	v_max_f32_e32 v20, v18, v17
	v_min_f32_e32 v17, v18, v17
	v_cndmask_b32_e64 v23, 0, 0x41b17218, vcc_lo
	s_delay_alu instid0(VALU_DEP_3) | instskip(NEXT) | instid1(VALU_DEP_1)
	v_frexp_mant_f32_e32 v21, v20
	v_rcp_f32_e32 v18, v21
	s_delay_alu instid0(VALU_DEP_3) | instskip(SKIP_4) | instid1(VALU_DEP_1)
	v_frexp_exp_i32_f32_e32 v21, v17
	v_frexp_mant_f32_e32 v17, v17
	s_waitcnt_depctr 0xfff
	v_mul_f32_e32 v17, v17, v18
	v_frexp_exp_i32_f32_e32 v20, v20
	v_sub_nc_u32_e32 v20, v21, v20
	v_cndmask_b32_e64 v21, 1.0, 0x4f800000, vcc_lo
	s_delay_alu instid0(VALU_DEP_2) | instskip(NEXT) | instid1(VALU_DEP_2)
	v_ldexp_f32 v17, v17, v20
	v_mul_f32_e32 v21, v22, v21
	s_delay_alu instid0(VALU_DEP_2) | instskip(NEXT) | instid1(VALU_DEP_2)
	v_mul_f32_e32 v18, v17, v17
	v_log_f32_e32 v21, v21
	s_delay_alu instid0(VALU_DEP_1) | instskip(NEXT) | instid1(VALU_DEP_1)
	v_fmaak_f32 v20, s26, v18, 0xbc7a590c
	v_fmaak_f32 v20, v18, v20, 0x3d29fb3f
	s_waitcnt_depctr 0xfff
	v_cmp_gt_f32_e64 vcc_lo, 0x7f800000, |v21|
	v_fmaak_f32 v20, v18, v20, 0xbd97d4d7
	s_delay_alu instid0(VALU_DEP_1) | instskip(NEXT) | instid1(VALU_DEP_1)
	v_fmaak_f32 v20, v18, v20, 0x3dd931b2
	v_fmaak_f32 v20, v18, v20, 0xbe1160e6
	s_delay_alu instid0(VALU_DEP_1) | instskip(NEXT) | instid1(VALU_DEP_1)
	v_fmaak_f32 v20, v18, v20, 0x3e4cb8bf
	v_fmaak_f32 v20, v18, v20, 0xbeaaaa62
	s_delay_alu instid0(VALU_DEP_1) | instskip(NEXT) | instid1(VALU_DEP_1)
	v_mul_f32_e32 v18, v18, v20
	v_dual_mul_f32 v20, 0x3f317217, v21 :: v_dual_fmac_f32 v17, v17, v18
	s_delay_alu instid0(VALU_DEP_1) | instskip(NEXT) | instid1(VALU_DEP_2)
	v_fma_f32 v18, 0x3f317217, v21, -v20
	v_sub_f32_e32 v22, 0x3fc90fdb, v17
	s_delay_alu instid0(VALU_DEP_2) | instskip(NEXT) | instid1(VALU_DEP_2)
	v_fmac_f32_e32 v18, 0x3377d1cf, v21
	v_cndmask_b32_e64 v17, v17, v22, s6
	s_delay_alu instid0(VALU_DEP_2) | instskip(SKIP_2) | instid1(VALU_DEP_4)
	v_add_f32_e32 v18, v20, v18
	v_cndmask_b32_e64 v20, 0, 0x40490fdb, s7
	v_cmp_eq_f32_e64 s7, 0, v6
	v_sub_f32_e32 v22, 0x40490fdb, v17
	s_delay_alu instid0(VALU_DEP_4) | instskip(SKIP_1) | instid1(VALU_DEP_2)
	v_cndmask_b32_e32 v18, v21, v18, vcc_lo
	v_cmp_gt_f32_e32 vcc_lo, 0, v5
                                        ; implicit-def: $vgpr21
	v_sub_f32_e32 v5, v18, v23
	s_delay_alu instid0(VALU_DEP_4) | instskip(NEXT) | instid1(VALU_DEP_1)
	v_cndmask_b32_e32 v17, v17, v22, vcc_lo
	v_cndmask_b32_e64 v18, v17, v20, s7
	v_cndmask_b32_e32 v20, 0x3f490fdb, v19, vcc_lo
	s_and_b32 vcc_lo, s10, s9
	s_delay_alu instid0(VALU_DEP_1)
	v_dual_mul_f32 v17, 0.5, v5 :: v_dual_cndmask_b32 v18, v18, v20
                                        ; implicit-def: $vgpr20
.LBB175_21:                             ;   in Loop: Header=BB175_4 Depth=1
	s_and_not1_saveexec_b32 s33, s8
	s_cbranch_execz .LBB175_25
; %bb.22:                               ;   in Loop: Header=BB175_4 Depth=1
	v_and_b32_e32 v22, 0x7fff0000, v20
	v_and_b32_e32 v18, 0x7fff0000, v21
	s_mov_b32 s34, 0
	s_delay_alu instid0(VALU_DEP_2) | instskip(NEXT) | instid1(VALU_DEP_2)
	v_sub_f32_e32 v23, v20, v22
	v_sub_f32_e32 v21, v21, v18
	v_mul_f32_e32 v17, v18, v18
	s_delay_alu instid0(VALU_DEP_3) | instskip(NEXT) | instid1(VALU_DEP_3)
	v_dual_add_f32 v26, v18, v18 :: v_dual_and_b32 v25, 0xffff0000, v23
	v_dual_add_f32 v29, v22, v22 :: v_dual_and_b32 v24, 0xffff0000, v21
	v_mul_f32_e32 v20, v22, v22
	s_delay_alu instid0(VALU_DEP_2) | instskip(SKIP_3) | instid1(VALU_DEP_3)
	v_dual_sub_f32 v30, v23, v25 :: v_dual_add_f32 v23, v24, v24
	v_sub_f32_e32 v22, v21, v24
	v_dual_mul_f32 v28, v26, v24 :: v_dual_add_f32 v31, v25, v25
	v_dual_mul_f32 v18, v29, v25 :: v_dual_mul_f32 v21, v24, v24
	v_dual_mul_f32 v27, v25, v25 :: v_dual_mul_f32 v24, v26, v22
	v_mul_f32_e32 v26, v29, v30
	v_mul_f32_e32 v25, v23, v22
	;; [unrolled: 1-line block ×5, first 2 shown]
.LBB175_23:                             ;   Parent Loop BB175_4 Depth=1
                                        ; =>  This Inner Loop Header: Depth=2
	v_cmp_nlt_f32_e32 vcc_lo, v17, v20
	s_delay_alu instid0(VALU_DEP_2) | instskip(SKIP_1) | instid1(VALU_DEP_1)
	v_mov_b32_e32 v31, v29
	v_dual_cndmask_b32 v30, v17, v20 :: v_dual_cndmask_b32 v17, v20, v17
	v_cmp_nlt_f32_e64 s7, v30, v28
	s_delay_alu instid0(VALU_DEP_1) | instskip(SKIP_2) | instid1(VALU_DEP_2)
	v_cndmask_b32_e64 v29, v30, v28, s7
	v_cndmask_b32_e64 v20, v28, v30, s7
	s_and_b32 s35, vcc_lo, s7
	v_cmp_nlt_f32_e64 s8, v29, v18
	s_delay_alu instid0(VALU_DEP_1) | instskip(SKIP_1) | instid1(VALU_DEP_2)
	v_cndmask_b32_e64 v32, v29, v18, s8
	v_cndmask_b32_e64 v28, v18, v29, s8
	v_cmp_nlt_f32_e64 s9, v32, v21
	s_delay_alu instid0(VALU_DEP_1) | instskip(SKIP_2) | instid1(VALU_DEP_2)
	v_cndmask_b32_e64 v30, v32, v21, s9
	v_cndmask_b32_e64 v18, v21, v32, s9
	s_and_b32 s36, s8, s9
	v_cmp_nlt_f32_e64 s10, v30, v27
	s_delay_alu instid0(VALU_DEP_1) | instskip(SKIP_1) | instid1(VALU_DEP_2)
	v_cndmask_b32_e64 v33, v30, v27, s10
	v_cndmask_b32_e64 v21, v27, v30, s10
	v_cmp_nlt_f32_e64 s11, v33, v24
	s_delay_alu instid0(VALU_DEP_1) | instskip(SKIP_2) | instid1(VALU_DEP_2)
	v_cndmask_b32_e64 v34, v33, v24, s11
	s_and_b32 s9, s10, s11
	v_cndmask_b32_e64 v27, v24, v33, s11
	v_cmp_nlt_f32_e64 s12, v34, v26
	s_delay_alu instid0(VALU_DEP_1) | instskip(SKIP_2) | instid1(VALU_DEP_2)
	v_cndmask_b32_e64 v35, v34, v26, s12
	s_and_b32 s9, s9, s12
	v_cndmask_b32_e64 v24, v26, v34, s12
	v_cmp_nlt_f32_e32 vcc_lo, v35, v25
	v_cndmask_b32_e32 v36, v35, v25, vcc_lo
	s_and_b32 s10, s9, vcc_lo
	v_cndmask_b32_e32 v26, v25, v35, vcc_lo
	s_delay_alu instid0(VALU_DEP_2) | instskip(NEXT) | instid1(VALU_DEP_1)
	v_cmp_nlt_f32_e64 s7, v36, v23
	v_cndmask_b32_e64 v32, v36, v23, s7
	s_and_b32 s10, s10, s7
	v_cndmask_b32_e64 v25, v23, v36, s7
	s_delay_alu instid0(VALU_DEP_2) | instskip(NEXT) | instid1(VALU_DEP_1)
	v_cmp_nlt_f32_e64 s8, v32, v22
	v_cndmask_b32_e64 v30, v32, v22, s8
	s_and_b32 s10, s10, s8
	v_cndmask_b32_e64 v23, v22, v32, s8
	s_delay_alu instid0(VALU_DEP_2) | instskip(NEXT) | instid1(VALU_DEP_1)
	v_cmp_nlt_f32_e64 s9, v30, v31
	s_and_b32 s10, s10, s9
	v_cndmask_b32_e64 v29, v30, v31, s9
	s_and_b32 s7, s10, s36
	v_cndmask_b32_e64 v22, v31, v30, s9
	s_and_b32 s7, s7, s35
	s_delay_alu instid0(SALU_CYCLE_1) | instskip(NEXT) | instid1(SALU_CYCLE_1)
	s_and_b32 s7, exec_lo, s7
	s_or_b32 s34, s7, s34
	s_delay_alu instid0(SALU_CYCLE_1)
	s_and_not1_b32 exec_lo, exec_lo, s34
	s_cbranch_execnz .LBB175_23
; %bb.24:                               ;   in Loop: Header=BB175_4 Depth=1
	s_or_b32 exec_lo, exec_lo, s34
	v_add_f32_e32 v17, -1.0, v17
	v_cmp_class_f32_e64 s8, v5, 0x204
	s_delay_alu instid0(VALU_DEP_2) | instskip(NEXT) | instid1(VALU_DEP_1)
	v_add_f32_e32 v17, v17, v20
	v_add_f32_e32 v17, v17, v28
	s_delay_alu instid0(VALU_DEP_1) | instskip(NEXT) | instid1(VALU_DEP_1)
	v_add_f32_e32 v17, v17, v18
	v_add_f32_e32 v17, v17, v21
	s_delay_alu instid0(VALU_DEP_1) | instskip(NEXT) | instid1(VALU_DEP_1)
	v_add_f32_e32 v17, v17, v27
	v_add_f32_e32 v17, v17, v24
	s_delay_alu instid0(VALU_DEP_1) | instskip(NEXT) | instid1(VALU_DEP_1)
	v_add_f32_e32 v17, v17, v26
	v_add_f32_e32 v17, v17, v25
	s_delay_alu instid0(VALU_DEP_1) | instskip(NEXT) | instid1(VALU_DEP_1)
	v_add_f32_e32 v17, v17, v23
	v_add_f32_e32 v17, v17, v22
	s_delay_alu instid0(VALU_DEP_1) | instskip(NEXT) | instid1(VALU_DEP_1)
	v_add_f32_e32 v20, v29, v17
	v_add_f32_e32 v21, 1.0, v20
	s_delay_alu instid0(VALU_DEP_1) | instskip(NEXT) | instid1(VALU_DEP_1)
	v_cvt_f64_f32_e32 v[17:18], v21
	v_frexp_exp_i32_f64_e32 v17, v[17:18]
	v_frexp_mant_f32_e32 v18, v21
	s_delay_alu instid0(VALU_DEP_1) | instskip(SKIP_1) | instid1(VALU_DEP_1)
	v_cmp_gt_f32_e32 vcc_lo, 0x3f2aaaab, v18
	v_add_f32_e32 v18, -1.0, v21
	v_sub_f32_e32 v23, v18, v21
	s_delay_alu instid0(VALU_DEP_1) | instskip(SKIP_1) | instid1(VALU_DEP_2)
	v_dual_add_f32 v23, 1.0, v23 :: v_dual_sub_f32 v18, v20, v18
	v_cmp_neq_f32_e64 s7, -1.0, v20
	v_add_f32_e32 v18, v18, v23
	v_subrev_co_ci_u32_e32 v17, vcc_lo, 0, v17, vcc_lo
	v_cmp_eq_f32_e32 vcc_lo, 0x7f800000, v20
	s_delay_alu instid0(VALU_DEP_2) | instskip(SKIP_1) | instid1(VALU_DEP_2)
	v_sub_nc_u32_e32 v22, 0, v17
	v_cvt_f32_i32_e32 v17, v17
	v_ldexp_f32 v21, v21, v22
	v_ldexp_f32 v18, v18, v22
	s_delay_alu instid0(VALU_DEP_2) | instskip(NEXT) | instid1(VALU_DEP_1)
	v_add_f32_e32 v24, 1.0, v21
	v_dual_add_f32 v22, -1.0, v21 :: v_dual_add_f32 v23, -1.0, v24
	s_delay_alu instid0(VALU_DEP_1) | instskip(NEXT) | instid1(VALU_DEP_2)
	v_add_f32_e32 v25, 1.0, v22
	v_sub_f32_e32 v23, v21, v23
	s_delay_alu instid0(VALU_DEP_2) | instskip(NEXT) | instid1(VALU_DEP_2)
	v_sub_f32_e32 v21, v21, v25
	v_add_f32_e32 v23, v18, v23
	s_delay_alu instid0(VALU_DEP_2) | instskip(NEXT) | instid1(VALU_DEP_1)
	v_add_f32_e32 v18, v18, v21
	v_add_f32_e32 v26, v22, v18
	s_delay_alu instid0(VALU_DEP_1) | instskip(NEXT) | instid1(VALU_DEP_1)
	v_sub_f32_e32 v22, v26, v22
	v_dual_sub_f32 v18, v18, v22 :: v_dual_add_f32 v25, v24, v23
	s_delay_alu instid0(VALU_DEP_1) | instskip(SKIP_1) | instid1(VALU_DEP_1)
	v_rcp_f32_e32 v21, v25
	v_sub_f32_e32 v24, v25, v24
	v_sub_f32_e32 v23, v23, v24
	s_waitcnt_depctr 0xfff
	v_mul_f32_e32 v27, v26, v21
	s_delay_alu instid0(VALU_DEP_1) | instskip(NEXT) | instid1(VALU_DEP_1)
	v_mul_f32_e32 v28, v25, v27
	v_fma_f32 v24, v27, v25, -v28
	s_delay_alu instid0(VALU_DEP_1) | instskip(NEXT) | instid1(VALU_DEP_1)
	v_fmac_f32_e32 v24, v27, v23
	v_add_f32_e32 v29, v28, v24
	s_delay_alu instid0(VALU_DEP_1) | instskip(SKIP_1) | instid1(VALU_DEP_2)
	v_sub_f32_e32 v30, v26, v29
	v_sub_f32_e32 v22, v29, v28
	;; [unrolled: 1-line block ×3, first 2 shown]
	s_delay_alu instid0(VALU_DEP_2) | instskip(NEXT) | instid1(VALU_DEP_2)
	v_sub_f32_e32 v22, v22, v24
	v_sub_f32_e32 v26, v26, v29
	s_delay_alu instid0(VALU_DEP_1) | instskip(NEXT) | instid1(VALU_DEP_1)
	v_add_f32_e32 v18, v18, v26
	v_add_f32_e32 v18, v22, v18
	s_delay_alu instid0(VALU_DEP_1) | instskip(NEXT) | instid1(VALU_DEP_1)
	v_add_f32_e32 v22, v30, v18
	v_mul_f32_e32 v24, v21, v22
	s_delay_alu instid0(VALU_DEP_1) | instskip(NEXT) | instid1(VALU_DEP_1)
	v_dual_sub_f32 v29, v30, v22 :: v_dual_mul_f32 v26, v25, v24
	v_add_f32_e32 v18, v18, v29
	s_delay_alu instid0(VALU_DEP_2) | instskip(NEXT) | instid1(VALU_DEP_1)
	v_fma_f32 v25, v24, v25, -v26
	v_fmac_f32_e32 v25, v24, v23
	s_delay_alu instid0(VALU_DEP_1) | instskip(NEXT) | instid1(VALU_DEP_1)
	v_add_f32_e32 v23, v26, v25
	v_sub_f32_e32 v28, v22, v23
	s_delay_alu instid0(VALU_DEP_1) | instskip(NEXT) | instid1(VALU_DEP_1)
	v_sub_f32_e32 v22, v22, v28
	v_sub_f32_e32 v22, v22, v23
	s_delay_alu instid0(VALU_DEP_1) | instskip(SKIP_2) | instid1(VALU_DEP_1)
	v_add_f32_e32 v18, v18, v22
	v_add_f32_e32 v22, v27, v24
	v_sub_f32_e32 v26, v23, v26
	v_sub_f32_e32 v23, v26, v25
	v_max_f32_e64 v25, |v6|, |v6|
	s_delay_alu instid0(VALU_DEP_2) | instskip(NEXT) | instid1(VALU_DEP_1)
	v_dual_add_f32 v18, v23, v18 :: v_dual_sub_f32 v23, v22, v27
	v_add_f32_e32 v18, v28, v18
	s_delay_alu instid0(VALU_DEP_2) | instskip(NEXT) | instid1(VALU_DEP_2)
	v_dual_sub_f32 v23, v24, v23 :: v_dual_mul_f32 v28, 0x3f317218, v17
	v_mul_f32_e32 v18, v21, v18
	s_delay_alu instid0(VALU_DEP_2) | instskip(NEXT) | instid1(VALU_DEP_1)
	v_fma_f32 v29, 0x3f317218, v17, -v28
	v_dual_add_f32 v18, v23, v18 :: v_dual_fmac_f32 v29, 0xb102e308, v17
	s_delay_alu instid0(VALU_DEP_1) | instskip(NEXT) | instid1(VALU_DEP_1)
	v_add_f32_e32 v21, v22, v18
	v_mul_f32_e32 v23, v21, v21
	s_delay_alu instid0(VALU_DEP_1) | instskip(NEXT) | instid1(VALU_DEP_1)
	v_fmaak_f32 v24, s21, v23, 0x3ecc95a3
	v_dual_mul_f32 v26, v21, v23 :: v_dual_fmaak_f32 v23, v23, v24, 0x3f2aaada
	v_max_f32_e64 v24, |v5|, |v5|
	s_delay_alu instid0(VALU_DEP_1) | instskip(SKIP_2) | instid1(VALU_DEP_3)
	v_dual_mul_f32 v23, v26, v23 :: v_dual_max_f32 v26, v24, v25
	v_ldexp_f32 v27, v21, 1
	v_dual_min_f32 v24, v24, v25 :: v_dual_sub_f32 v21, v21, v22
	v_frexp_mant_f32_e32 v25, v26
	s_delay_alu instid0(VALU_DEP_3) | instskip(SKIP_1) | instid1(VALU_DEP_4)
	v_add_f32_e32 v22, v27, v23
	v_frexp_exp_i32_f32_e32 v26, v26
	v_sub_f32_e32 v18, v18, v21
	s_delay_alu instid0(VALU_DEP_4) | instskip(NEXT) | instid1(VALU_DEP_3)
	v_rcp_f32_e32 v25, v25
	v_sub_f32_e32 v21, v22, v27
	v_frexp_exp_i32_f32_e32 v27, v24
	s_delay_alu instid0(VALU_DEP_3) | instskip(NEXT) | instid1(VALU_DEP_3)
	v_ldexp_f32 v18, v18, 1
	v_sub_f32_e32 v21, v23, v21
	v_frexp_mant_f32_e32 v23, v24
	s_delay_alu instid0(VALU_DEP_4) | instskip(NEXT) | instid1(VALU_DEP_3)
	v_sub_nc_u32_e32 v24, v27, v26
	v_add_f32_e32 v17, v18, v21
	s_delay_alu instid0(TRANS32_DEP_1) | instid1(VALU_DEP_3)
	v_mul_f32_e32 v18, v23, v25
	s_delay_alu instid0(VALU_DEP_1) | instskip(NEXT) | instid1(VALU_DEP_1)
	v_ldexp_f32 v18, v18, v24
	v_mul_f32_e32 v25, v18, v18
	v_add_f32_e32 v21, v28, v29
	v_add_f32_e32 v23, v22, v17
	s_delay_alu instid0(VALU_DEP_2) | instskip(NEXT) | instid1(VALU_DEP_2)
	v_dual_fmaak_f32 v27, s26, v25, 0xbc7a590c :: v_dual_sub_f32 v28, v21, v28
	v_add_f32_e32 v24, v21, v23
	s_delay_alu instid0(VALU_DEP_2) | instskip(NEXT) | instid1(VALU_DEP_1)
	v_dual_fmaak_f32 v27, v25, v27, 0x3d29fb3f :: v_dual_sub_f32 v22, v23, v22
	v_dual_sub_f32 v26, v24, v21 :: v_dual_sub_f32 v17, v17, v22
	s_delay_alu instid0(VALU_DEP_1) | instskip(NEXT) | instid1(VALU_DEP_1)
	v_sub_f32_e32 v30, v24, v26
	v_sub_f32_e32 v21, v21, v30
	s_delay_alu instid0(VALU_DEP_4) | instskip(NEXT) | instid1(VALU_DEP_1)
	v_dual_sub_f32 v22, v23, v26 :: v_dual_fmaak_f32 v23, v25, v27, 0xbd97d4d7
	v_dual_add_f32 v21, v22, v21 :: v_dual_sub_f32 v28, v29, v28
	s_delay_alu instid0(VALU_DEP_1) | instskip(NEXT) | instid1(VALU_DEP_1)
	v_add_f32_e32 v26, v28, v17
	v_dual_add_f32 v21, v26, v21 :: v_dual_fmaak_f32 v22, v25, v23, 0x3dd931b2
	v_sub_f32_e32 v23, v26, v28
	s_delay_alu instid0(VALU_DEP_2) | instskip(NEXT) | instid1(VALU_DEP_1)
	v_add_f32_e32 v27, v24, v21
	v_dual_sub_f32 v17, v17, v23 :: v_dual_sub_f32 v24, v27, v24
	s_delay_alu instid0(VALU_DEP_1) | instskip(NEXT) | instid1(VALU_DEP_1)
	v_dual_sub_f32 v26, v26, v23 :: v_dual_sub_f32 v21, v21, v24
	v_sub_f32_e32 v23, v28, v26
	s_delay_alu instid0(VALU_DEP_1) | instskip(NEXT) | instid1(VALU_DEP_1)
	v_add_f32_e32 v17, v17, v23
	v_add_f32_e32 v17, v17, v21
	s_delay_alu instid0(VALU_DEP_1) | instskip(NEXT) | instid1(VALU_DEP_1)
	v_dual_fmaak_f32 v22, v25, v22, 0xbe1160e6 :: v_dual_add_f32 v17, v27, v17
	v_fmaak_f32 v22, v25, v22, 0x3e4cb8bf
	s_delay_alu instid0(VALU_DEP_2) | instskip(NEXT) | instid1(VALU_DEP_2)
	v_cndmask_b32_e32 v17, v17, v20, vcc_lo
	v_fmaak_f32 v22, v25, v22, 0xbeaaaa62
	v_cmp_gt_i32_e32 vcc_lo, 0, v5
	s_delay_alu instid0(VALU_DEP_2) | instskip(NEXT) | instid1(VALU_DEP_1)
	v_mul_f32_e32 v22, v25, v22
	v_fmac_f32_e32 v18, v18, v22
	s_delay_alu instid0(VALU_DEP_1) | instskip(NEXT) | instid1(VALU_DEP_1)
	v_sub_f32_e32 v21, 0x3fc90fdb, v18
	v_cndmask_b32_e64 v18, v18, v21, s6
	v_cndmask_b32_e64 v21, 0, 0x40490fdb, vcc_lo
	v_cmp_ngt_f32_e32 vcc_lo, -1.0, v20
	s_delay_alu instid0(VALU_DEP_3) | instskip(SKIP_2) | instid1(VALU_DEP_2)
	v_sub_f32_e32 v22, 0x40490fdb, v18
	v_cndmask_b32_e32 v17, 0x7fc00000, v17, vcc_lo
	v_cmp_gt_f32_e32 vcc_lo, 0, v5
	v_cndmask_b32_e64 v5, 0xff800000, v17, s7
	s_delay_alu instid0(VALU_DEP_4)
	v_cndmask_b32_e32 v17, v18, v22, vcc_lo
	v_cndmask_b32_e32 v18, 0x3f490fdb, v19, vcc_lo
	v_cmp_gt_f32_e64 vcc_lo, 0x33800000, |v20|
	v_cmp_class_f32_e64 s7, v6, 0x204
	v_cndmask_b32_e32 v5, v5, v20, vcc_lo
	v_cmp_eq_f32_e32 vcc_lo, 0, v6
	v_cndmask_b32_e32 v20, v17, v21, vcc_lo
	s_delay_alu instid0(VALU_DEP_4) | instskip(NEXT) | instid1(VALU_DEP_1)
	s_and_b32 vcc_lo, s7, s8
	v_dual_cndmask_b32 v18, v20, v18 :: v_dual_mul_f32 v17, 0.5, v5
.LBB175_25:                             ;   in Loop: Header=BB175_4 Depth=1
	s_or_b32 exec_lo, exec_lo, s33
.LBB175_26:                             ;   in Loop: Header=BB175_4 Depth=1
	s_delay_alu instid0(SALU_CYCLE_1)
	s_or_b32 exec_lo, exec_lo, s31
.LBB175_27:                             ;   in Loop: Header=BB175_4 Depth=1
	s_and_not1_saveexec_b32 s8, s30
	s_cbranch_execz .LBB175_29
; %bb.28:                               ;   in Loop: Header=BB175_4 Depth=1
	v_max_f32_e64 v20, |v6|, |v6|
	v_max_f32_e64 v21, |v5|, |v5|
	v_cmp_gt_i32_e64 s7, 0, v5
	v_cmp_class_f32_e64 s9, v5, 0x204
	v_cmp_class_f32_e64 s10, v6, 0x204
	s_delay_alu instid0(VALU_DEP_4) | instskip(SKIP_1) | instid1(VALU_DEP_2)
	v_max_f32_e32 v22, v21, v20
	v_min_f32_e32 v20, v21, v20
	v_cvt_f64_f32_e32 v[17:18], v22
	v_frexp_exp_i32_f32_e32 v21, v22
	s_delay_alu instid0(VALU_DEP_3) | instskip(SKIP_1) | instid1(VALU_DEP_2)
	v_frexp_exp_i32_f32_e32 v23, v20
	v_frexp_mant_f32_e32 v20, v20
	v_sub_nc_u32_e32 v21, v23, v21
	v_frexp_exp_i32_f64_e32 v17, v[17:18]
	v_frexp_mant_f32_e32 v18, v22
	s_delay_alu instid0(VALU_DEP_1) | instskip(SKIP_2) | instid1(VALU_DEP_1)
	v_rcp_f32_e32 v18, v18
	s_waitcnt_depctr 0xfff
	v_mul_f32_e32 v18, v20, v18
	v_ldexp_f32 v18, v18, v21
	s_delay_alu instid0(VALU_DEP_1) | instskip(SKIP_2) | instid1(VALU_DEP_1)
	v_mul_f32_e32 v23, v18, v18
	v_cmp_neq_f32_e32 vcc_lo, 0x7f800000, v22
	v_sub_nc_u32_e32 v24, 0, v17
	v_ldexp_f32 v20, |v6|, v24
	v_ldexp_f32 v21, |v5|, v24
	s_delay_alu instid0(VALU_DEP_2) | instskip(NEXT) | instid1(VALU_DEP_1)
	v_mul_f32_e32 v20, v20, v20
	v_dual_fmac_f32 v20, v21, v21 :: v_dual_fmaak_f32 v21, s26, v23, 0xbc7a590c
	s_delay_alu instid0(VALU_DEP_1) | instskip(NEXT) | instid1(VALU_DEP_1)
	v_sqrt_f32_e32 v20, v20
	v_fmaak_f32 v21, v23, v21, 0x3d29fb3f
	s_delay_alu instid0(VALU_DEP_1) | instskip(SKIP_3) | instid1(VALU_DEP_1)
	v_fmaak_f32 v21, v23, v21, 0xbd97d4d7
	s_waitcnt_depctr 0xfff
	v_ldexp_f32 v17, v20, v17
	v_fmaak_f32 v20, v23, v21, 0x3dd931b2
	v_fmaak_f32 v20, v23, v20, 0xbe1160e6
	s_delay_alu instid0(VALU_DEP_1) | instskip(NEXT) | instid1(VALU_DEP_1)
	v_fmaak_f32 v20, v23, v20, 0x3e4cb8bf
	v_fmaak_f32 v20, v23, v20, 0xbeaaaa62
	s_delay_alu instid0(VALU_DEP_1) | instskip(NEXT) | instid1(VALU_DEP_1)
	v_dual_cndmask_b32 v17, 0x7f800000, v17 :: v_dual_mul_f32 v20, v23, v20
	v_cmp_gt_f32_e32 vcc_lo, 0x800000, v17
	s_delay_alu instid0(VALU_DEP_2) | instskip(SKIP_1) | instid1(VALU_DEP_1)
	v_fmac_f32_e32 v18, v18, v20
	v_cndmask_b32_e64 v21, 1.0, 0x4f800000, vcc_lo
	v_mul_f32_e32 v17, v17, v21
	s_delay_alu instid0(VALU_DEP_3) | instskip(NEXT) | instid1(VALU_DEP_2)
	v_sub_f32_e32 v21, 0x3fc90fdb, v18
	v_log_f32_e32 v17, v17
	s_delay_alu instid0(VALU_DEP_1) | instskip(SKIP_4) | instid1(VALU_DEP_1)
	v_cndmask_b32_e64 v18, v18, v21, s6
	v_cndmask_b32_e64 v21, 0, 0x40490fdb, s7
	v_cmp_gt_f32_e64 s7, 0, v5
	s_waitcnt_depctr 0xfff
	v_mul_f32_e32 v20, 0x3f317217, v17
	v_fma_f32 v22, 0x3f317217, v17, -v20
	s_delay_alu instid0(VALU_DEP_1) | instskip(NEXT) | instid1(VALU_DEP_1)
	v_fmac_f32_e32 v22, 0x3377d1cf, v17
	v_add_f32_e32 v5, v20, v22
	v_cndmask_b32_e64 v22, 0, 0x41b17218, vcc_lo
	v_cmp_gt_f32_e64 vcc_lo, 0x7f800000, |v17|
	v_cndmask_b32_e64 v20, 0x3f490fdb, v19, s7
	s_delay_alu instid0(VALU_DEP_4) | instskip(SKIP_2) | instid1(VALU_DEP_3)
	v_cndmask_b32_e32 v5, v17, v5, vcc_lo
	v_cmp_eq_f32_e32 vcc_lo, 0, v6
	v_sub_f32_e32 v23, 0x40490fdb, v18
	v_sub_f32_e32 v17, v5, v22
	s_delay_alu instid0(VALU_DEP_2) | instskip(NEXT) | instid1(VALU_DEP_1)
	v_cndmask_b32_e64 v18, v18, v23, s7
	v_cndmask_b32_e32 v18, v18, v21, vcc_lo
	s_and_b32 vcc_lo, s10, s9
	s_delay_alu instid0(VALU_DEP_1)
	v_cndmask_b32_e32 v18, v18, v20, vcc_lo
.LBB175_29:                             ;   in Loop: Header=BB175_4 Depth=1
	s_or_b32 exec_lo, exec_lo, s8
                                        ; implicit-def: $vgpr20
.LBB175_30:                             ;   in Loop: Header=BB175_4 Depth=1
	s_and_not1_saveexec_b32 s8, s29
	s_cbranch_execz .LBB175_36
; %bb.31:                               ;   in Loop: Header=BB175_4 Depth=1
                                        ; implicit-def: $vgpr17
                                        ; implicit-def: $vgpr18
	s_mov_b32 s7, exec_lo
	v_cmpx_ngt_f32_e32 0x1fec1e4a, v20
	s_xor_b32 s9, exec_lo, s7
	s_cbranch_execz .LBB175_33
; %bb.32:                               ;   in Loop: Header=BB175_4 Depth=1
	v_mul_f32_e32 v20, v20, v20
	v_cmp_class_f32_e64 s10, v5, 0x204
	v_cmp_gt_f32_e64 s7, 0, v5
	v_cmp_class_f32_e64 s12, v6, 0x204
	s_delay_alu instid0(VALU_DEP_4) | instskip(NEXT) | instid1(VALU_DEP_1)
	v_add_f32_e32 v21, 1.0, v20
	v_cvt_f64_f32_e32 v[17:18], v21
	s_delay_alu instid0(VALU_DEP_1) | instskip(SKIP_1) | instid1(VALU_DEP_1)
	v_frexp_exp_i32_f64_e32 v17, v[17:18]
	v_frexp_mant_f32_e32 v18, v21
	v_cmp_gt_f32_e32 vcc_lo, 0x3f2aaaab, v18
	v_add_f32_e32 v18, -1.0, v21
	s_delay_alu instid0(VALU_DEP_1) | instskip(SKIP_1) | instid1(VALU_DEP_2)
	v_sub_f32_e32 v23, v18, v21
	v_cmp_gt_f32_e64 s11, 0x33800000, |v20|
	v_dual_add_f32 v23, 1.0, v23 :: v_dual_sub_f32 v18, v20, v18
	v_subrev_co_ci_u32_e32 v17, vcc_lo, 0, v17, vcc_lo
	v_cmp_gt_i32_e32 vcc_lo, 0, v5
	s_delay_alu instid0(VALU_DEP_2) | instskip(SKIP_1) | instid1(VALU_DEP_2)
	v_sub_nc_u32_e32 v22, 0, v17
	v_cvt_f32_i32_e32 v17, v17
	v_ldexp_f32 v21, v21, v22
	s_delay_alu instid0(VALU_DEP_1) | instskip(NEXT) | instid1(VALU_DEP_1)
	v_add_f32_e32 v24, 1.0, v21
	v_dual_add_f32 v18, v18, v23 :: v_dual_add_f32 v23, -1.0, v24
	s_delay_alu instid0(VALU_DEP_1) | instskip(NEXT) | instid1(VALU_DEP_2)
	v_ldexp_f32 v18, v18, v22
	v_dual_sub_f32 v23, v21, v23 :: v_dual_add_f32 v22, -1.0, v21
	s_delay_alu instid0(VALU_DEP_1) | instskip(NEXT) | instid1(VALU_DEP_2)
	v_add_f32_e32 v23, v18, v23
	v_add_f32_e32 v25, 1.0, v22
	s_delay_alu instid0(VALU_DEP_1) | instskip(NEXT) | instid1(VALU_DEP_1)
	v_sub_f32_e32 v21, v21, v25
	v_add_f32_e32 v18, v18, v21
	s_delay_alu instid0(VALU_DEP_1) | instskip(NEXT) | instid1(VALU_DEP_1)
	v_dual_add_f32 v26, v22, v18 :: v_dual_add_f32 v25, v24, v23
	v_sub_f32_e32 v22, v22, v26
	s_delay_alu instid0(VALU_DEP_2) | instskip(SKIP_1) | instid1(VALU_DEP_1)
	v_rcp_f32_e32 v21, v25
	v_sub_f32_e32 v24, v24, v25
	v_dual_add_f32 v18, v18, v22 :: v_dual_add_f32 v23, v23, v24
	s_waitcnt_depctr 0xfff
	v_mul_f32_e32 v27, v26, v21
	s_delay_alu instid0(VALU_DEP_1) | instskip(NEXT) | instid1(VALU_DEP_1)
	v_mul_f32_e32 v28, v25, v27
	v_fma_f32 v24, v27, v25, -v28
	s_delay_alu instid0(VALU_DEP_1) | instskip(NEXT) | instid1(VALU_DEP_1)
	v_fmac_f32_e32 v24, v27, v23
	v_add_f32_e32 v29, v28, v24
	s_delay_alu instid0(VALU_DEP_1) | instskip(SKIP_1) | instid1(VALU_DEP_2)
	v_sub_f32_e32 v30, v26, v29
	v_sub_f32_e32 v22, v29, v28
	;; [unrolled: 1-line block ×3, first 2 shown]
	s_delay_alu instid0(VALU_DEP_2) | instskip(NEXT) | instid1(VALU_DEP_2)
	v_sub_f32_e32 v22, v22, v24
	v_sub_f32_e32 v26, v26, v29
	s_delay_alu instid0(VALU_DEP_1) | instskip(NEXT) | instid1(VALU_DEP_1)
	v_add_f32_e32 v18, v18, v26
	v_add_f32_e32 v18, v22, v18
	s_delay_alu instid0(VALU_DEP_1) | instskip(NEXT) | instid1(VALU_DEP_1)
	v_add_f32_e32 v22, v30, v18
	v_mul_f32_e32 v24, v21, v22
	s_delay_alu instid0(VALU_DEP_1) | instskip(NEXT) | instid1(VALU_DEP_1)
	v_dual_sub_f32 v29, v30, v22 :: v_dual_mul_f32 v26, v25, v24
	v_add_f32_e32 v18, v18, v29
	s_delay_alu instid0(VALU_DEP_2) | instskip(NEXT) | instid1(VALU_DEP_1)
	v_fma_f32 v25, v24, v25, -v26
	v_fmac_f32_e32 v25, v24, v23
	s_delay_alu instid0(VALU_DEP_1) | instskip(NEXT) | instid1(VALU_DEP_1)
	v_add_f32_e32 v23, v26, v25
	v_sub_f32_e32 v28, v22, v23
	v_sub_f32_e32 v26, v23, v26
	s_delay_alu instid0(VALU_DEP_2) | instskip(NEXT) | instid1(VALU_DEP_1)
	v_sub_f32_e32 v22, v22, v28
	v_sub_f32_e32 v22, v22, v23
	s_delay_alu instid0(VALU_DEP_3) | instskip(NEXT) | instid1(VALU_DEP_2)
	v_sub_f32_e32 v23, v26, v25
	v_add_f32_e32 v18, v18, v22
	v_add_f32_e32 v22, v27, v24
	s_delay_alu instid0(VALU_DEP_1) | instskip(NEXT) | instid1(VALU_DEP_1)
	v_dual_add_f32 v18, v23, v18 :: v_dual_sub_f32 v23, v22, v27
	v_add_f32_e32 v18, v28, v18
	s_delay_alu instid0(VALU_DEP_2) | instskip(SKIP_1) | instid1(VALU_DEP_3)
	v_sub_f32_e32 v23, v24, v23
	v_max_f32_e64 v24, |v5|, |v5|
	v_mul_f32_e32 v18, v21, v18
	v_max_f32_e64 v21, |v6|, |v6|
	s_delay_alu instid0(VALU_DEP_2) | instskip(NEXT) | instid1(VALU_DEP_2)
	v_add_f32_e32 v18, v23, v18
	v_max_f32_e32 v26, v24, v21
	v_min_f32_e32 v21, v24, v21
	s_delay_alu instid0(VALU_DEP_3) | instskip(NEXT) | instid1(VALU_DEP_3)
	v_add_f32_e32 v23, v22, v18
	v_frexp_mant_f32_e32 v28, v26
	v_frexp_exp_i32_f32_e32 v24, v26
	s_delay_alu instid0(VALU_DEP_3) | instskip(SKIP_1) | instid1(VALU_DEP_2)
	v_mul_f32_e32 v25, v23, v23
	v_ldexp_f32 v29, v23, 1
	v_fmaak_f32 v27, s21, v25, 0x3ecc95a3
	s_delay_alu instid0(VALU_DEP_1) | instskip(SKIP_3) | instid1(VALU_DEP_3)
	v_dual_mul_f32 v26, v23, v25 :: v_dual_fmaak_f32 v25, v25, v27, 0x3f2aaada
	v_rcp_f32_e32 v27, v28
	v_frexp_exp_i32_f32_e32 v28, v21
	v_frexp_mant_f32_e32 v21, v21
	v_dual_mul_f32 v25, v26, v25 :: v_dual_sub_f32 v22, v23, v22
	s_delay_alu instid0(VALU_DEP_3) | instskip(NEXT) | instid1(VALU_DEP_2)
	v_sub_nc_u32_e32 v24, v28, v24
	v_add_f32_e32 v23, v29, v25
	s_waitcnt_depctr 0xfff
	v_dual_mul_f32 v21, v21, v27 :: v_dual_sub_f32 v18, v18, v22
	v_sub_f32_e32 v22, v23, v29
	s_delay_alu instid0(VALU_DEP_2) | instskip(SKIP_1) | instid1(VALU_DEP_4)
	v_ldexp_f32 v21, v21, v24
	v_mul_f32_e32 v26, 0x3f317218, v17
	v_ldexp_f32 v18, v18, 1
	s_delay_alu instid0(VALU_DEP_4) | instskip(NEXT) | instid1(VALU_DEP_4)
	v_sub_f32_e32 v22, v25, v22
	v_mul_f32_e32 v25, v21, v21
	s_delay_alu instid0(VALU_DEP_4) | instskip(NEXT) | instid1(VALU_DEP_1)
	v_fma_f32 v24, 0x3f317218, v17, -v26
	v_dual_fmac_f32 v24, 0xb102e308, v17 :: v_dual_add_f32 v17, v18, v22
	s_delay_alu instid0(VALU_DEP_3) | instskip(NEXT) | instid1(VALU_DEP_1)
	v_fmaak_f32 v18, s26, v25, 0xbc7a590c
	v_dual_add_f32 v27, v23, v17 :: v_dual_fmaak_f32 v18, v25, v18, 0x3d29fb3f
	s_delay_alu instid0(VALU_DEP_1) | instskip(NEXT) | instid1(VALU_DEP_1)
	v_dual_sub_f32 v23, v27, v23 :: v_dual_fmaak_f32 v18, v25, v18, 0xbd97d4d7
	v_sub_f32_e32 v17, v17, v23
	s_delay_alu instid0(VALU_DEP_2) | instskip(NEXT) | instid1(VALU_DEP_1)
	v_fmaak_f32 v18, v25, v18, 0x3dd931b2
	v_fmaak_f32 v18, v25, v18, 0xbe1160e6
	s_delay_alu instid0(VALU_DEP_1) | instskip(NEXT) | instid1(VALU_DEP_1)
	v_fmaak_f32 v18, v25, v18, 0x3e4cb8bf
	v_fmaak_f32 v18, v25, v18, 0xbeaaaa62
	s_delay_alu instid0(VALU_DEP_1) | instskip(NEXT) | instid1(VALU_DEP_1)
	v_mul_f32_e32 v18, v25, v18
	v_dual_fmac_f32 v21, v21, v18 :: v_dual_add_f32 v22, v26, v24
	s_delay_alu instid0(VALU_DEP_1) | instskip(SKIP_1) | instid1(VALU_DEP_2)
	v_add_f32_e32 v28, v22, v27
	v_sub_f32_e32 v26, v22, v26
	v_sub_f32_e32 v29, v28, v22
	s_delay_alu instid0(VALU_DEP_2) | instskip(NEXT) | instid1(VALU_DEP_2)
	v_sub_f32_e32 v24, v24, v26
	v_sub_f32_e32 v30, v28, v29
	;; [unrolled: 1-line block ×3, first 2 shown]
	s_delay_alu instid0(VALU_DEP_3) | instskip(NEXT) | instid1(VALU_DEP_3)
	v_add_f32_e32 v26, v24, v17
	v_sub_f32_e32 v22, v22, v30
	s_delay_alu instid0(VALU_DEP_1) | instskip(NEXT) | instid1(VALU_DEP_1)
	v_dual_add_f32 v22, v23, v22 :: v_dual_sub_f32 v23, v26, v24
	v_add_f32_e32 v22, v26, v22
	s_delay_alu instid0(VALU_DEP_2) | instskip(NEXT) | instid1(VALU_DEP_2)
	v_sub_f32_e32 v25, v26, v23
	v_dual_sub_f32 v17, v17, v23 :: v_dual_add_f32 v26, v28, v22
	s_delay_alu instid0(VALU_DEP_2) | instskip(NEXT) | instid1(VALU_DEP_2)
	v_sub_f32_e32 v18, v24, v25
	v_dual_sub_f32 v24, 0x3fc90fdb, v21 :: v_dual_sub_f32 v23, v26, v28
	s_delay_alu instid0(VALU_DEP_2) | instskip(NEXT) | instid1(VALU_DEP_2)
	v_add_f32_e32 v17, v17, v18
	v_cndmask_b32_e64 v21, v21, v24, s6
	s_delay_alu instid0(VALU_DEP_3) | instskip(SKIP_2) | instid1(VALU_DEP_3)
	v_sub_f32_e32 v18, v22, v23
	v_cndmask_b32_e64 v22, 0, 0x40490fdb, vcc_lo
	v_cmp_eq_f32_e32 vcc_lo, 0x7f800000, v20
	v_dual_add_f32 v17, v17, v18 :: v_dual_sub_f32 v18, 0x40490fdb, v21
	s_or_b32 vcc_lo, vcc_lo, s11
	s_delay_alu instid0(VALU_DEP_1) | instskip(NEXT) | instid1(VALU_DEP_2)
	v_add_f32_e32 v5, v26, v17
	v_cndmask_b32_e64 v17, v21, v18, s7
	v_cndmask_b32_e64 v18, 0x3f490fdb, v19, s7
	s_delay_alu instid0(VALU_DEP_3) | instskip(SKIP_1) | instid1(VALU_DEP_2)
	v_cndmask_b32_e32 v5, v5, v20, vcc_lo
	v_cmp_eq_f32_e32 vcc_lo, 0, v6
	v_dual_cndmask_b32 v20, v17, v22 :: v_dual_mul_f32 v17, 0.5, v5
	s_and_b32 vcc_lo, s12, s10
	s_delay_alu instid0(VALU_DEP_1)
	v_cndmask_b32_e32 v18, v20, v18, vcc_lo
                                        ; implicit-def: $vgpr20
.LBB175_33:                             ;   in Loop: Header=BB175_4 Depth=1
	s_and_not1_saveexec_b32 s9, s9
	s_cbranch_execz .LBB175_35
; %bb.34:                               ;   in Loop: Header=BB175_4 Depth=1
	v_max_f32_e64 v17, |v6|, |v6|
	v_max_f32_e64 v18, |v5|, |v5|
	v_cmp_gt_i32_e32 vcc_lo, 0, v5
	v_cmp_eq_f32_e64 s7, 0, v6
	v_cmp_class_f32_e64 s10, v5, 0x204
	v_cmp_class_f32_e64 s11, v6, 0x204
	v_max_f32_e32 v21, v18, v17
	v_min_f32_e32 v17, v18, v17
	s_delay_alu instid0(VALU_DEP_2) | instskip(SKIP_1) | instid1(VALU_DEP_2)
	v_frexp_mant_f32_e32 v22, v21
	v_frexp_exp_i32_f32_e32 v21, v21
	v_rcp_f32_e32 v18, v22
	s_delay_alu instid0(VALU_DEP_3) | instskip(SKIP_1) | instid1(VALU_DEP_2)
	v_frexp_exp_i32_f32_e32 v22, v17
	v_frexp_mant_f32_e32 v17, v17
	v_sub_nc_u32_e32 v21, v22, v21
	s_waitcnt_depctr 0xfff
	v_mul_f32_e32 v17, v17, v18
	s_delay_alu instid0(VALU_DEP_1) | instskip(NEXT) | instid1(VALU_DEP_1)
	v_ldexp_f32 v17, v17, v21
	v_mul_f32_e32 v18, v17, v17
	s_delay_alu instid0(VALU_DEP_1) | instskip(NEXT) | instid1(VALU_DEP_1)
	v_fmaak_f32 v21, s26, v18, 0xbc7a590c
	v_fmaak_f32 v21, v18, v21, 0x3d29fb3f
	s_delay_alu instid0(VALU_DEP_1) | instskip(NEXT) | instid1(VALU_DEP_1)
	v_fmaak_f32 v21, v18, v21, 0xbd97d4d7
	v_fmaak_f32 v21, v18, v21, 0x3dd931b2
	;; [unrolled: 3-line block ×3, first 2 shown]
	s_delay_alu instid0(VALU_DEP_1) | instskip(NEXT) | instid1(VALU_DEP_1)
	v_fmaak_f32 v21, v18, v21, 0xbeaaaa62
	v_mul_f32_e32 v18, v18, v21
	v_cndmask_b32_e64 v21, 0, 0x40490fdb, vcc_lo
	v_cmp_gt_f32_e32 vcc_lo, 0, v5
	s_delay_alu instid0(VALU_DEP_3) | instskip(NEXT) | instid1(VALU_DEP_1)
	v_fmac_f32_e32 v17, v17, v18
	v_sub_f32_e32 v18, 0x3fc90fdb, v17
	s_delay_alu instid0(VALU_DEP_1) | instskip(NEXT) | instid1(VALU_DEP_1)
	v_cndmask_b32_e64 v17, v17, v18, s6
	v_sub_f32_e32 v18, 0x40490fdb, v17
	s_delay_alu instid0(VALU_DEP_1) | instskip(NEXT) | instid1(VALU_DEP_1)
	v_dual_cndmask_b32 v17, v17, v18 :: v_dual_mul_f32 v18, 0.5, v20
	v_cndmask_b32_e64 v5, v17, v21, s7
	v_cndmask_b32_e32 v21, 0x3f490fdb, v19, vcc_lo
	s_and_b32 vcc_lo, s11, s10
	s_delay_alu instid0(VALU_DEP_1)
	v_dual_mul_f32 v17, v20, v18 :: v_dual_cndmask_b32 v18, v5, v21
.LBB175_35:                             ;   in Loop: Header=BB175_4 Depth=1
	s_or_b32 exec_lo, exec_lo, s9
.LBB175_36:                             ;   in Loop: Header=BB175_4 Depth=1
	s_delay_alu instid0(SALU_CYCLE_1)
	s_or_b32 exec_lo, exec_lo, s8
.LBB175_37:                             ;   in Loop: Header=BB175_4 Depth=1
	s_and_not1_saveexec_b32 s8, s28
	s_cbranch_execz .LBB175_39
; %bb.38:                               ;   in Loop: Header=BB175_4 Depth=1
	v_div_scale_f32 v17, null, 0x402df854, 0x402df854, v5
	v_div_scale_f32 v18, null, 0x402df854, 0x402df854, v6
	v_div_scale_f32 v24, vcc_lo, v5, 0x402df854, v5
	s_delay_alu instid0(VALU_DEP_3) | instskip(NEXT) | instid1(VALU_DEP_2)
	v_rcp_f32_e32 v20, v17
	v_rcp_f32_e32 v21, v18
	v_cmp_class_f32_e64 s9, v6, 0x204
	s_waitcnt_depctr 0xfff
	v_fma_f32 v22, -v17, v20, 1.0
	v_fma_f32 v23, -v18, v21, 1.0
	s_delay_alu instid0(VALU_DEP_1) | instskip(SKIP_1) | instid1(VALU_DEP_2)
	v_dual_fmac_f32 v20, v22, v20 :: v_dual_fmac_f32 v21, v23, v21
	v_div_scale_f32 v22, s7, v6, 0x402df854, v6
	v_mul_f32_e32 v23, v24, v20
	s_delay_alu instid0(VALU_DEP_1) | instskip(NEXT) | instid1(VALU_DEP_1)
	v_fma_f32 v26, -v17, v23, v24
	v_fmac_f32_e32 v23, v26, v20
	s_delay_alu instid0(VALU_DEP_1) | instskip(NEXT) | instid1(VALU_DEP_1)
	v_fma_f32 v17, -v17, v23, v24
	v_div_fmas_f32 v17, v17, v20, v23
	v_max_f32_e64 v23, |v5|, |v5|
	v_mul_f32_e32 v25, v22, v21
	s_mov_b32 vcc_lo, s7
	v_cmp_class_f32_e64 s7, v5, 0x204
	v_div_fixup_f32 v20, v17, 0x402df854, v5
	s_delay_alu instid0(VALU_DEP_3) | instskip(NEXT) | instid1(VALU_DEP_1)
	v_fma_f32 v27, -v18, v25, v22
	v_fmac_f32_e32 v25, v27, v21
	s_delay_alu instid0(VALU_DEP_1) | instskip(NEXT) | instid1(VALU_DEP_1)
	v_fma_f32 v18, -v18, v25, v22
	v_div_fmas_f32 v18, v18, v21, v25
	s_delay_alu instid0(VALU_DEP_1) | instskip(NEXT) | instid1(VALU_DEP_1)
	v_div_fixup_f32 v21, v18, 0x402df854, v6
	v_max_f32_e64 v22, |v20|, |v21|
	s_delay_alu instid0(VALU_DEP_1) | instskip(SKIP_1) | instid1(VALU_DEP_2)
	v_cvt_f64_f32_e32 v[17:18], v22
	v_cmp_neq_f32_e32 vcc_lo, 0x7f800000, v22
	v_frexp_exp_i32_f64_e32 v17, v[17:18]
	v_max_f32_e64 v18, |v6|, |v6|
	s_delay_alu instid0(VALU_DEP_1) | instskip(SKIP_1) | instid1(VALU_DEP_2)
	v_max_f32_e32 v24, v23, v18
	v_min_f32_e32 v18, v23, v18
	v_frexp_mant_f32_e32 v25, v24
	v_frexp_exp_i32_f32_e32 v24, v24
	s_delay_alu instid0(VALU_DEP_2) | instskip(SKIP_1) | instid1(VALU_DEP_1)
	v_rcp_f32_e32 v23, v25
	v_sub_nc_u32_e32 v25, 0, v17
	v_ldexp_f32 v21, |v21|, v25
	v_ldexp_f32 v20, |v20|, v25
	s_delay_alu instid0(VALU_DEP_2) | instskip(SKIP_2) | instid1(VALU_DEP_3)
	v_mul_f32_e32 v21, v21, v21
	v_frexp_exp_i32_f32_e32 v26, v18
	v_frexp_mant_f32_e32 v18, v18
	v_fmac_f32_e32 v21, v20, v20
	s_delay_alu instid0(VALU_DEP_3)
	v_sub_nc_u32_e32 v24, v26, v24
	s_delay_alu instid0(TRANS32_DEP_1) | instid1(VALU_DEP_3)
	v_mul_f32_e32 v18, v18, v23
	s_delay_alu instid0(VALU_DEP_3) | instskip(NEXT) | instid1(VALU_DEP_1)
	v_sqrt_f32_e32 v21, v21
	v_ldexp_f32 v18, v18, v24
	s_delay_alu instid0(VALU_DEP_1) | instskip(SKIP_3) | instid1(VALU_DEP_2)
	v_mul_f32_e32 v20, v18, v18
	s_waitcnt_depctr 0xfff
	v_ldexp_f32 v17, v21, v17
	v_fmaak_f32 v23, s26, v20, 0xbc7a590c
	v_cndmask_b32_e32 v17, 0x7f800000, v17, vcc_lo
	s_delay_alu instid0(VALU_DEP_2) | instskip(NEXT) | instid1(VALU_DEP_2)
	v_fmaak_f32 v23, v20, v23, 0x3d29fb3f
	v_cmp_gt_f32_e32 vcc_lo, 0x800000, v17
	s_delay_alu instid0(VALU_DEP_2) | instskip(SKIP_2) | instid1(VALU_DEP_3)
	v_fmaak_f32 v21, v20, v23, 0xbd97d4d7
	v_cndmask_b32_e64 v22, 1.0, 0x4f800000, vcc_lo
	v_cndmask_b32_e64 v23, 0, 0x41b17218, vcc_lo
	v_fmaak_f32 v21, v20, v21, 0x3dd931b2
	s_delay_alu instid0(VALU_DEP_3) | instskip(NEXT) | instid1(VALU_DEP_2)
	v_mul_f32_e32 v17, v17, v22
	v_fmaak_f32 v21, v20, v21, 0xbe1160e6
	s_delay_alu instid0(VALU_DEP_2) | instskip(NEXT) | instid1(VALU_DEP_1)
	v_log_f32_e32 v17, v17
	v_fmaak_f32 v21, v20, v21, 0x3e4cb8bf
	s_delay_alu instid0(VALU_DEP_1) | instskip(SKIP_3) | instid1(VALU_DEP_1)
	v_fmaak_f32 v21, v20, v21, 0xbeaaaa62
	s_waitcnt_depctr 0xfff
	v_cmp_gt_f32_e64 vcc_lo, 0x7f800000, |v17|
	v_mul_f32_e32 v20, v20, v21
	v_dual_mul_f32 v21, 0x3f317217, v17 :: v_dual_fmac_f32 v18, v18, v20
	s_delay_alu instid0(VALU_DEP_1) | instskip(NEXT) | instid1(VALU_DEP_2)
	v_fma_f32 v20, 0x3f317217, v17, -v21
	v_sub_f32_e32 v22, 0x3fc90fdb, v18
	s_delay_alu instid0(VALU_DEP_2) | instskip(NEXT) | instid1(VALU_DEP_2)
	v_fmac_f32_e32 v20, 0x3377d1cf, v17
	v_cndmask_b32_e64 v18, v18, v22, s6
	v_cmp_gt_i32_e64 s6, 0, v5
	s_delay_alu instid0(VALU_DEP_2) | instskip(NEXT) | instid1(VALU_DEP_2)
	v_dual_add_f32 v20, v21, v20 :: v_dual_sub_f32 v21, 0x40490fdb, v18
	v_cndmask_b32_e64 v22, 0, 0x40490fdb, s6
	v_cmp_gt_f32_e64 s6, 0, v5
	s_delay_alu instid0(VALU_DEP_3) | instskip(SKIP_1) | instid1(VALU_DEP_3)
	v_cndmask_b32_e32 v17, v17, v20, vcc_lo
	v_cmp_eq_f32_e32 vcc_lo, 0, v6
	v_cndmask_b32_e64 v5, v18, v21, s6
	s_delay_alu instid0(VALU_DEP_3) | instskip(SKIP_1) | instid1(VALU_DEP_3)
	v_sub_f32_e32 v17, v17, v23
	v_cndmask_b32_e64 v18, 0x3f490fdb, v19, s6
	v_cndmask_b32_e32 v5, v5, v22, vcc_lo
	s_and_b32 vcc_lo, s9, s7
	s_delay_alu instid0(VALU_DEP_1)
	v_dual_add_f32 v17, 1.0, v17 :: v_dual_cndmask_b32 v18, v5, v18
.LBB175_39:                             ;   in Loop: Header=BB175_4 Depth=1
	s_or_b32 exec_lo, exec_lo, s8
.LBB175_40:                             ;   in Loop: Header=BB175_4 Depth=1
	s_and_not1_saveexec_b32 s6, s27
	s_cbranch_execz .LBB175_46
; %bb.41:                               ;   in Loop: Header=BB175_4 Depth=1
	v_cmp_ngt_f32_e64 s7, 0x20000000, |v5|
	v_cmp_ngt_f32_e64 s8, 0x20000000, |v6|
                                        ; implicit-def: $vgpr17
	s_delay_alu instid0(VALU_DEP_1) | instskip(NEXT) | instid1(SALU_CYCLE_1)
	s_or_b32 s7, s8, s7
	s_and_saveexec_b32 s8, s7
	s_delay_alu instid0(SALU_CYCLE_1)
	s_xor_b32 s7, exec_lo, s8
; %bb.42:                               ;   in Loop: Header=BB175_4 Depth=1
	v_mul_f32_e32 v17, v5, v5
	s_delay_alu instid0(VALU_DEP_1)
	v_fmac_f32_e32 v17, v6, v6
; %bb.43:                               ;   in Loop: Header=BB175_4 Depth=1
	s_and_not1_saveexec_b32 s7, s7
; %bb.44:                               ;   in Loop: Header=BB175_4 Depth=1
	v_mul_f32_e32 v5, 4.0, v5
	v_mul_f32_e32 v17, 4.0, v6
	s_delay_alu instid0(VALU_DEP_2) | instskip(NEXT) | instid1(VALU_DEP_1)
	v_mul_f32_e32 v5, v5, v5
	v_fmac_f32_e32 v5, v17, v17
	s_delay_alu instid0(VALU_DEP_1)
	v_mul_f32_e32 v17, 0x3d800000, v5
; %bb.45:                               ;   in Loop: Header=BB175_4 Depth=1
	s_or_b32 exec_lo, exec_lo, s7
	s_delay_alu instid0(VALU_DEP_1) | instskip(SKIP_1) | instid1(VALU_DEP_1)
	v_cmp_gt_f32_e32 vcc_lo, 0x800000, v17
	v_cndmask_b32_e64 v5, 1.0, 0x4f800000, vcc_lo
	v_mul_f32_e32 v5, v17, v5
	s_delay_alu instid0(VALU_DEP_1) | instskip(SKIP_2) | instid1(VALU_DEP_1)
	v_log_f32_e32 v5, v5
	s_waitcnt_depctr 0xfff
	v_mul_f32_e32 v17, 0x3f317217, v5
	v_fma_f32 v18, 0x3f317217, v5, -v17
	s_delay_alu instid0(VALU_DEP_1) | instskip(NEXT) | instid1(VALU_DEP_1)
	v_fmac_f32_e32 v18, 0x3377d1cf, v5
	v_add_f32_e32 v17, v17, v18
	v_cndmask_b32_e64 v18, 0, 0x41b17218, vcc_lo
	v_cmp_gt_f32_e64 vcc_lo, 0x7f800000, |v5|
	s_delay_alu instid0(VALU_DEP_3) | instskip(NEXT) | instid1(VALU_DEP_1)
	v_cndmask_b32_e32 v5, v5, v17, vcc_lo
	v_dual_sub_f32 v17, v5, v18 :: v_dual_mov_b32 v18, 0x7fc00000
.LBB175_46:                             ;   in Loop: Header=BB175_4 Depth=1
	s_or_b32 exec_lo, exec_lo, s6
                                        ; implicit-def: $vgpr5
                                        ; implicit-def: $vgpr20
	s_delay_alu instid0(SALU_CYCLE_1)
	s_mov_b32 s6, exec_lo
	v_cmpx_o_f32_e32 v10, v9
	s_xor_b32 s27, exec_lo, s6
	s_cbranch_execz .LBB175_74
; %bb.47:                               ;   in Loop: Header=BB175_4 Depth=1
	v_cmp_lt_f32_e64 s6, |v9|, |v10|
                                        ; implicit-def: $vgpr5
                                        ; implicit-def: $vgpr20
	s_mov_b32 s7, exec_lo
	s_delay_alu instid0(VALU_DEP_1) | instskip(NEXT) | instid1(VALU_DEP_1)
	v_cndmask_b32_e64 v21, |v10|, |v9|, s6
	v_cmpx_nlt_f32_e32 0x77f684df, v21
	s_xor_b32 s28, exec_lo, s7
	s_cbranch_execz .LBB175_71
; %bb.48:                               ;   in Loop: Header=BB175_4 Depth=1
	v_and_b32_e32 v5, 0x7fffffff, v10
                                        ; implicit-def: $vgpr20
	s_mov_b32 s7, exec_lo
	s_delay_alu instid0(VALU_DEP_1) | instskip(NEXT) | instid1(VALU_DEP_1)
	v_cndmask_b32_e64 v22, |v9|, v5, s6
                                        ; implicit-def: $vgpr5
	v_cmpx_neq_f32_e32 1.0, v22
	s_xor_b32 s29, exec_lo, s7
	s_cbranch_execz .LBB175_64
; %bb.49:                               ;   in Loop: Header=BB175_4 Depth=1
	v_dual_max_f32 v5, v21, v21 :: v_dual_max_f32 v20, v22, v22
	s_delay_alu instid0(VALU_DEP_1) | instskip(SKIP_1) | instid1(VALU_DEP_2)
	v_min_f32_e32 v23, v20, v5
	v_max_f32_e32 v5, v20, v5
                                        ; implicit-def: $vgpr20
	v_cmp_ngt_f32_e32 vcc_lo, 0x358637bd, v23
	s_delay_alu instid0(VALU_DEP_2) | instskip(NEXT) | instid1(VALU_DEP_1)
	v_cmp_nlt_f32_e64 s7, 0x49742400, v5
                                        ; implicit-def: $vgpr5
	s_and_b32 s7, s7, vcc_lo
	s_delay_alu instid0(SALU_CYCLE_1) | instskip(NEXT) | instid1(SALU_CYCLE_1)
	s_and_saveexec_b32 s8, s7
	s_xor_b32 s30, exec_lo, s8
	s_cbranch_execz .LBB175_61
; %bb.50:                               ;   in Loop: Header=BB175_4 Depth=1
                                        ; implicit-def: $vgpr5
                                        ; implicit-def: $vgpr20
	s_mov_b32 s7, exec_lo
	v_cmpx_le_f32_e32 1.0, v22
	s_xor_b32 s8, exec_lo, s7
	s_cbranch_execz .LBB175_52
; %bb.51:                               ;   in Loop: Header=BB175_4 Depth=1
	v_add_f32_e32 v5, -1.0, v22
	v_add_f32_e32 v20, 1.0, v22
	v_cmp_class_f32_e64 s9, v9, 0x204
	s_delay_alu instid0(VALU_DEP_2) | instskip(NEXT) | instid1(VALU_DEP_1)
	v_mul_f32_e32 v5, v5, v20
	v_fmac_f32_e32 v5, v21, v21
	s_delay_alu instid0(VALU_DEP_1) | instskip(SKIP_1) | instid1(VALU_DEP_2)
	v_add_f32_e32 v22, 1.0, v5
	v_cmp_neq_f32_e64 s7, -1.0, v5
	v_cvt_f64_f32_e32 v[20:21], v22
	s_delay_alu instid0(VALU_DEP_1) | instskip(SKIP_1) | instid1(VALU_DEP_1)
	v_frexp_exp_i32_f64_e32 v20, v[20:21]
	v_frexp_mant_f32_e32 v21, v22
	v_cmp_gt_f32_e32 vcc_lo, 0x3f2aaaab, v21
	v_add_f32_e32 v21, -1.0, v22
	s_delay_alu instid0(VALU_DEP_1) | instskip(NEXT) | instid1(VALU_DEP_1)
	v_sub_f32_e32 v24, v21, v22
	v_dual_sub_f32 v21, v5, v21 :: v_dual_add_f32 v24, 1.0, v24
	s_delay_alu instid0(VALU_DEP_1) | instskip(SKIP_2) | instid1(VALU_DEP_2)
	v_add_f32_e32 v21, v21, v24
	v_subrev_co_ci_u32_e32 v20, vcc_lo, 0, v20, vcc_lo
	v_cmp_eq_f32_e32 vcc_lo, 0x7f800000, v5
	v_sub_nc_u32_e32 v23, 0, v20
	v_cvt_f32_i32_e32 v20, v20
	s_delay_alu instid0(VALU_DEP_2) | instskip(SKIP_1) | instid1(VALU_DEP_2)
	v_ldexp_f32 v22, v22, v23
	v_ldexp_f32 v21, v21, v23
	v_add_f32_e32 v25, 1.0, v22
	s_delay_alu instid0(VALU_DEP_1) | instskip(NEXT) | instid1(VALU_DEP_1)
	v_add_f32_e32 v24, -1.0, v25
	v_sub_f32_e32 v24, v22, v24
	s_delay_alu instid0(VALU_DEP_1) | instskip(NEXT) | instid1(VALU_DEP_1)
	v_dual_add_f32 v24, v21, v24 :: v_dual_add_f32 v23, -1.0, v22
	v_add_f32_e32 v26, 1.0, v23
	s_delay_alu instid0(VALU_DEP_1) | instskip(NEXT) | instid1(VALU_DEP_3)
	v_sub_f32_e32 v22, v22, v26
	v_add_f32_e32 v26, v25, v24
	s_delay_alu instid0(VALU_DEP_1) | instskip(NEXT) | instid1(VALU_DEP_3)
	v_sub_f32_e32 v25, v26, v25
	v_add_f32_e32 v21, v21, v22
	v_rcp_f32_e32 v22, v26
	s_delay_alu instid0(VALU_DEP_2) | instskip(NEXT) | instid1(VALU_DEP_2)
	v_sub_f32_e32 v24, v24, v25
	v_add_f32_e32 v27, v23, v21
	s_delay_alu instid0(VALU_DEP_1) | instskip(SKIP_2) | instid1(VALU_DEP_1)
	v_sub_f32_e32 v23, v27, v23
	s_waitcnt_depctr 0xfff
	v_dual_mul_f32 v28, v27, v22 :: v_dual_sub_f32 v21, v21, v23
	v_mul_f32_e32 v29, v26, v28
	s_delay_alu instid0(VALU_DEP_1) | instskip(NEXT) | instid1(VALU_DEP_1)
	v_fma_f32 v25, v28, v26, -v29
	v_fmac_f32_e32 v25, v28, v24
	s_delay_alu instid0(VALU_DEP_1) | instskip(NEXT) | instid1(VALU_DEP_1)
	v_add_f32_e32 v30, v29, v25
	v_sub_f32_e32 v31, v27, v30
	s_delay_alu instid0(VALU_DEP_1) | instskip(SKIP_1) | instid1(VALU_DEP_2)
	v_sub_f32_e32 v27, v27, v31
	v_sub_f32_e32 v23, v30, v29
	;; [unrolled: 1-line block ×3, first 2 shown]
	s_delay_alu instid0(VALU_DEP_2) | instskip(NEXT) | instid1(VALU_DEP_2)
	v_sub_f32_e32 v23, v23, v25
	v_add_f32_e32 v21, v21, v27
	s_delay_alu instid0(VALU_DEP_1) | instskip(NEXT) | instid1(VALU_DEP_1)
	v_add_f32_e32 v21, v23, v21
	v_add_f32_e32 v23, v31, v21
	s_delay_alu instid0(VALU_DEP_1) | instskip(NEXT) | instid1(VALU_DEP_1)
	v_mul_f32_e32 v25, v22, v23
	v_mul_f32_e32 v27, v26, v25
	s_delay_alu instid0(VALU_DEP_1) | instskip(NEXT) | instid1(VALU_DEP_1)
	v_fma_f32 v26, v25, v26, -v27
	v_fmac_f32_e32 v26, v25, v24
	v_sub_f32_e32 v30, v31, v23
	s_delay_alu instid0(VALU_DEP_2) | instskip(NEXT) | instid1(VALU_DEP_2)
	v_add_f32_e32 v24, v27, v26
	v_add_f32_e32 v21, v21, v30
	s_delay_alu instid0(VALU_DEP_2) | instskip(SKIP_1) | instid1(VALU_DEP_2)
	v_sub_f32_e32 v29, v23, v24
	v_sub_f32_e32 v27, v24, v27
	;; [unrolled: 1-line block ×3, first 2 shown]
	s_delay_alu instid0(VALU_DEP_1) | instskip(NEXT) | instid1(VALU_DEP_3)
	v_sub_f32_e32 v23, v23, v24
	v_sub_f32_e32 v24, v27, v26
	v_max_f32_e64 v26, |v10|, |v10|
	s_delay_alu instid0(VALU_DEP_3) | instskip(SKIP_1) | instid1(VALU_DEP_1)
	v_add_f32_e32 v21, v21, v23
	v_add_f32_e32 v23, v28, v25
	v_dual_add_f32 v21, v24, v21 :: v_dual_sub_f32 v24, v23, v28
	s_delay_alu instid0(VALU_DEP_1) | instskip(NEXT) | instid1(VALU_DEP_2)
	v_add_f32_e32 v21, v29, v21
	v_sub_f32_e32 v24, v25, v24
	v_mul_f32_e32 v29, 0x3f317218, v20
	s_delay_alu instid0(VALU_DEP_3) | instskip(NEXT) | instid1(VALU_DEP_2)
	v_mul_f32_e32 v21, v22, v21
	v_fma_f32 v30, 0x3f317218, v20, -v29
	s_delay_alu instid0(VALU_DEP_1) | instskip(NEXT) | instid1(VALU_DEP_1)
	v_dual_add_f32 v21, v24, v21 :: v_dual_fmac_f32 v30, 0xb102e308, v20
	v_add_f32_e32 v22, v23, v21
	s_delay_alu instid0(VALU_DEP_1) | instskip(SKIP_1) | instid1(VALU_DEP_2)
	v_mul_f32_e32 v24, v22, v22
	v_ldexp_f32 v28, v22, 1
	v_fmaak_f32 v25, s21, v24, 0x3ecc95a3
	v_mul_f32_e32 v27, v22, v24
	v_sub_f32_e32 v22, v22, v23
	s_delay_alu instid0(VALU_DEP_3) | instskip(SKIP_1) | instid1(VALU_DEP_2)
	v_fmaak_f32 v24, v24, v25, 0x3f2aaada
	v_max_f32_e64 v25, |v9|, |v9|
	v_dual_sub_f32 v21, v21, v22 :: v_dual_mul_f32 v24, v27, v24
	s_delay_alu instid0(VALU_DEP_2) | instskip(SKIP_1) | instid1(VALU_DEP_3)
	v_max_f32_e32 v27, v25, v26
	v_min_f32_e32 v25, v25, v26
	v_ldexp_f32 v21, v21, 1
	s_delay_alu instid0(VALU_DEP_4) | instskip(NEXT) | instid1(VALU_DEP_4)
	v_add_f32_e32 v23, v28, v24
	v_frexp_mant_f32_e32 v26, v27
	v_frexp_exp_i32_f32_e32 v27, v27
	s_delay_alu instid0(VALU_DEP_3) | instskip(NEXT) | instid1(VALU_DEP_3)
	v_sub_f32_e32 v22, v23, v28
	v_rcp_f32_e32 v26, v26
	v_frexp_exp_i32_f32_e32 v28, v25
	s_delay_alu instid0(VALU_DEP_2) | instskip(SKIP_1) | instid1(VALU_DEP_3)
	v_sub_f32_e32 v22, v24, v22
	v_frexp_mant_f32_e32 v24, v25
	v_sub_nc_u32_e32 v25, v28, v27
	s_delay_alu instid0(VALU_DEP_3) | instskip(SKIP_1) | instid1(VALU_DEP_1)
	v_add_f32_e32 v20, v21, v22
	v_add_f32_e32 v22, v29, v30
	v_sub_f32_e32 v29, v22, v29
	s_delay_alu instid0(VALU_DEP_1)
	v_sub_f32_e32 v29, v30, v29
	s_delay_alu instid0(TRANS32_DEP_1) | instid1(VALU_DEP_4)
	v_dual_mul_f32 v21, v24, v26 :: v_dual_add_f32 v24, v23, v20
	s_delay_alu instid0(VALU_DEP_1) | instskip(NEXT) | instid1(VALU_DEP_2)
	v_ldexp_f32 v21, v21, v25
	v_add_f32_e32 v25, v22, v24
	s_delay_alu instid0(VALU_DEP_2) | instskip(NEXT) | instid1(VALU_DEP_1)
	v_dual_sub_f32 v23, v24, v23 :: v_dual_mul_f32 v26, v21, v21
	v_dual_sub_f32 v27, v25, v22 :: v_dual_sub_f32 v20, v20, v23
	s_delay_alu instid0(VALU_DEP_1) | instskip(SKIP_1) | instid1(VALU_DEP_3)
	v_dual_fmaak_f32 v28, s26, v26, 0xbc7a590c :: v_dual_sub_f32 v31, v25, v27
	v_sub_f32_e32 v23, v24, v27
	v_add_f32_e32 v27, v29, v20
	s_delay_alu instid0(VALU_DEP_3) | instskip(NEXT) | instid1(VALU_DEP_4)
	v_fmaak_f32 v28, v26, v28, 0x3d29fb3f
	v_sub_f32_e32 v22, v22, v31
	s_delay_alu instid0(VALU_DEP_2) | instskip(NEXT) | instid1(VALU_DEP_1)
	v_fmaak_f32 v24, v26, v28, 0xbd97d4d7
	v_dual_add_f32 v22, v23, v22 :: v_dual_fmaak_f32 v23, v26, v24, 0x3dd931b2
	v_sub_f32_e32 v24, v27, v29
	s_delay_alu instid0(VALU_DEP_2) | instskip(NEXT) | instid1(VALU_DEP_1)
	v_dual_add_f32 v22, v27, v22 :: v_dual_fmaak_f32 v23, v26, v23, 0xbe1160e6
	v_dual_sub_f32 v27, v27, v24 :: v_dual_add_f32 v28, v25, v22
	s_delay_alu instid0(VALU_DEP_2) | instskip(NEXT) | instid1(VALU_DEP_2)
	v_dual_sub_f32 v20, v20, v24 :: v_dual_fmaak_f32 v23, v26, v23, 0x3e4cb8bf
	v_dual_sub_f32 v24, v29, v27 :: v_dual_sub_f32 v25, v28, v25
	s_delay_alu instid0(VALU_DEP_1) | instskip(NEXT) | instid1(VALU_DEP_2)
	v_dual_fmaak_f32 v23, v26, v23, 0xbeaaaa62 :: v_dual_add_f32 v20, v20, v24
	v_sub_f32_e32 v22, v22, v25
	s_delay_alu instid0(VALU_DEP_1) | instskip(NEXT) | instid1(VALU_DEP_1)
	v_dual_mul_f32 v23, v26, v23 :: v_dual_add_f32 v20, v20, v22
	v_dual_fmac_f32 v21, v21, v23 :: v_dual_add_f32 v20, v28, v20
	s_delay_alu instid0(VALU_DEP_1) | instskip(NEXT) | instid1(VALU_DEP_2)
	v_sub_f32_e32 v22, 0x3fc90fdb, v21
	v_cndmask_b32_e32 v20, v20, v5, vcc_lo
	v_cmp_gt_i32_e32 vcc_lo, 0, v9
	s_delay_alu instid0(VALU_DEP_3) | instskip(SKIP_2) | instid1(VALU_DEP_3)
	v_cndmask_b32_e64 v21, v21, v22, s6
	v_cndmask_b32_e64 v22, 0, 0x40490fdb, vcc_lo
	v_cmp_ngt_f32_e32 vcc_lo, -1.0, v5
	v_sub_f32_e32 v23, 0x40490fdb, v21
	v_cndmask_b32_e32 v20, 0x7fc00000, v20, vcc_lo
	v_cmp_gt_f32_e32 vcc_lo, 0, v9
	s_delay_alu instid0(VALU_DEP_2) | instskip(NEXT) | instid1(VALU_DEP_4)
	v_cndmask_b32_e64 v9, 0xff800000, v20, s7
	v_cndmask_b32_e32 v20, v21, v23, vcc_lo
	v_cndmask_b32_e32 v21, 0x3f490fdb, v19, vcc_lo
	v_cmp_gt_f32_e64 vcc_lo, 0x33800000, |v5|
	v_cmp_class_f32_e64 s7, v10, 0x204
	v_cndmask_b32_e32 v5, v9, v5, vcc_lo
	v_cmp_eq_f32_e32 vcc_lo, 0, v10
	s_delay_alu instid0(VALU_DEP_2) | instskip(SKIP_2) | instid1(VALU_DEP_1)
	v_mul_f32_e32 v5, 0.5, v5
	v_cndmask_b32_e32 v9, v20, v22, vcc_lo
	s_and_b32 vcc_lo, s7, s9
                                        ; implicit-def: $vgpr22
	v_cndmask_b32_e32 v20, v9, v21, vcc_lo
                                        ; implicit-def: $vgpr21
.LBB175_52:                             ;   in Loop: Header=BB175_4 Depth=1
	s_and_not1_saveexec_b32 s31, s8
	s_cbranch_execz .LBB175_60
; %bb.53:                               ;   in Loop: Header=BB175_4 Depth=1
	v_mul_f32_e32 v23, v21, v21
                                        ; implicit-def: $vgpr5
                                        ; implicit-def: $vgpr20
	s_mov_b32 s7, exec_lo
	s_delay_alu instid0(VALU_DEP_1) | instskip(NEXT) | instid1(VALU_DEP_1)
	v_fmac_f32_e32 v23, v22, v22
	v_cmpx_ge_f32_e32 0x3f333333, v23
	s_xor_b32 s8, exec_lo, s7
	s_cbranch_execz .LBB175_55
; %bb.54:                               ;   in Loop: Header=BB175_4 Depth=1
	v_max_f32_e64 v5, |v10|, |v10|
	v_max_f32_e64 v20, |v9|, |v9|
	v_cmp_gt_f32_e32 vcc_lo, 0x800000, v23
	v_cmp_gt_i32_e64 s7, 0, v9
	v_cmp_class_f32_e64 s9, v9, 0x204
	v_cmp_class_f32_e64 s10, v10, 0x204
	v_max_f32_e32 v21, v20, v5
	v_min_f32_e32 v5, v20, v5
	v_cndmask_b32_e64 v24, 0, 0x41b17218, vcc_lo
	s_delay_alu instid0(VALU_DEP_3) | instskip(SKIP_1) | instid1(VALU_DEP_2)
	v_frexp_mant_f32_e32 v22, v21
	v_frexp_exp_i32_f32_e32 v21, v21
	v_rcp_f32_e32 v20, v22
	v_frexp_exp_i32_f32_e32 v22, v5
	v_frexp_mant_f32_e32 v5, v5
	s_delay_alu instid0(VALU_DEP_2) | instskip(SKIP_3) | instid1(VALU_DEP_1)
	v_sub_nc_u32_e32 v21, v22, v21
	v_cndmask_b32_e64 v22, 1.0, 0x4f800000, vcc_lo
	s_waitcnt_depctr 0xfff
	v_dual_mul_f32 v5, v5, v20 :: v_dual_mul_f32 v22, v23, v22
	v_ldexp_f32 v5, v5, v21
	s_delay_alu instid0(VALU_DEP_2) | instskip(NEXT) | instid1(VALU_DEP_1)
	v_log_f32_e32 v22, v22
	v_mul_f32_e32 v20, v5, v5
	s_delay_alu instid0(VALU_DEP_1) | instskip(SKIP_3) | instid1(VALU_DEP_1)
	v_fmaak_f32 v21, s26, v20, 0xbc7a590c
	s_waitcnt_depctr 0xfff
	v_cmp_gt_f32_e64 vcc_lo, 0x7f800000, |v22|
	v_fmaak_f32 v21, v20, v21, 0x3d29fb3f
	v_fmaak_f32 v21, v20, v21, 0xbd97d4d7
	s_delay_alu instid0(VALU_DEP_1) | instskip(NEXT) | instid1(VALU_DEP_1)
	v_fmaak_f32 v21, v20, v21, 0x3dd931b2
	v_fmaak_f32 v21, v20, v21, 0xbe1160e6
	s_delay_alu instid0(VALU_DEP_1) | instskip(NEXT) | instid1(VALU_DEP_1)
	;; [unrolled: 3-line block ×3, first 2 shown]
	v_dual_mul_f32 v20, v20, v21 :: v_dual_mul_f32 v21, 0x3f317217, v22
	v_fmac_f32_e32 v5, v5, v20
	s_delay_alu instid0(VALU_DEP_2) | instskip(NEXT) | instid1(VALU_DEP_1)
	v_fma_f32 v20, 0x3f317217, v22, -v21
	v_fmac_f32_e32 v20, 0x3377d1cf, v22
	s_delay_alu instid0(VALU_DEP_1) | instskip(NEXT) | instid1(VALU_DEP_1)
	v_dual_sub_f32 v23, 0x3fc90fdb, v5 :: v_dual_add_f32 v20, v21, v20
	v_cndmask_b32_e64 v5, v5, v23, s6
	v_cndmask_b32_e64 v21, 0, 0x40490fdb, s7
	v_cmp_eq_f32_e64 s7, 0, v10
	s_delay_alu instid0(VALU_DEP_3) | instskip(SKIP_1) | instid1(VALU_DEP_2)
	v_dual_cndmask_b32 v20, v22, v20 :: v_dual_sub_f32 v23, 0x40490fdb, v5
	v_cmp_gt_f32_e32 vcc_lo, 0, v9
                                        ; implicit-def: $vgpr22
	v_sub_f32_e32 v9, v20, v24
	s_delay_alu instid0(VALU_DEP_3) | instskip(NEXT) | instid1(VALU_DEP_1)
	v_cndmask_b32_e32 v5, v5, v23, vcc_lo
	v_cndmask_b32_e64 v20, v5, v21, s7
	v_cndmask_b32_e32 v21, 0x3f490fdb, v19, vcc_lo
	s_and_b32 vcc_lo, s10, s9
	v_mul_f32_e32 v5, 0.5, v9
	s_delay_alu instid0(VALU_DEP_2)
	v_cndmask_b32_e32 v20, v20, v21, vcc_lo
                                        ; implicit-def: $vgpr21
.LBB175_55:                             ;   in Loop: Header=BB175_4 Depth=1
	s_and_not1_saveexec_b32 s33, s8
	s_cbranch_execz .LBB175_59
; %bb.56:                               ;   in Loop: Header=BB175_4 Depth=1
	v_and_b32_e32 v23, 0x7fff0000, v21
	v_and_b32_e32 v20, 0x7fff0000, v22
	s_mov_b32 s34, 0
	s_delay_alu instid0(VALU_DEP_2) | instskip(SKIP_1) | instid1(VALU_DEP_3)
	v_sub_f32_e32 v24, v21, v23
	v_mul_f32_e32 v21, v23, v23
	v_mul_f32_e32 v5, v20, v20
	v_sub_f32_e32 v22, v22, v20
	s_delay_alu instid0(VALU_DEP_1) | instskip(NEXT) | instid1(VALU_DEP_1)
	v_dual_add_f32 v30, v23, v23 :: v_dual_and_b32 v25, 0xffff0000, v22
	v_dual_sub_f32 v23, v22, v25 :: v_dual_and_b32 v26, 0xffff0000, v24
	s_delay_alu instid0(VALU_DEP_1) | instskip(SKIP_2) | instid1(VALU_DEP_3)
	v_dual_add_f32 v27, v20, v20 :: v_dual_mul_f32 v20, v30, v26
	v_dual_sub_f32 v31, v24, v26 :: v_dual_mul_f32 v22, v25, v25
	v_add_f32_e32 v24, v25, v25
	v_dual_mul_f32 v29, v27, v25 :: v_dual_add_f32 v32, v26, v26
	v_dual_mul_f32 v28, v26, v26 :: v_dual_mul_f32 v25, v27, v23
	s_delay_alu instid0(VALU_DEP_4) | instskip(NEXT) | instid1(VALU_DEP_4)
	v_mul_f32_e32 v27, v30, v31
	v_mul_f32_e32 v26, v24, v23
	;; [unrolled: 1-line block ×5, first 2 shown]
.LBB175_57:                             ;   Parent Loop BB175_4 Depth=1
                                        ; =>  This Inner Loop Header: Depth=2
	v_cmp_nlt_f32_e32 vcc_lo, v5, v21
	s_delay_alu instid0(VALU_DEP_2) | instskip(SKIP_1) | instid1(VALU_DEP_2)
	v_dual_mov_b32 v32, v30 :: v_dual_cndmask_b32 v31, v5, v21
	v_cndmask_b32_e32 v5, v21, v5, vcc_lo
	v_cmp_nlt_f32_e64 s7, v31, v29
	s_delay_alu instid0(VALU_DEP_1) | instskip(SKIP_2) | instid1(VALU_DEP_2)
	v_cndmask_b32_e64 v30, v31, v29, s7
	v_cndmask_b32_e64 v21, v29, v31, s7
	s_and_b32 s35, vcc_lo, s7
	v_cmp_nlt_f32_e64 s8, v30, v20
	s_delay_alu instid0(VALU_DEP_1) | instskip(SKIP_1) | instid1(VALU_DEP_2)
	v_cndmask_b32_e64 v33, v30, v20, s8
	v_cndmask_b32_e64 v29, v20, v30, s8
	v_cmp_nlt_f32_e64 s9, v33, v22
	s_delay_alu instid0(VALU_DEP_1) | instskip(SKIP_2) | instid1(VALU_DEP_2)
	v_cndmask_b32_e64 v31, v33, v22, s9
	v_cndmask_b32_e64 v20, v22, v33, s9
	s_and_b32 s36, s8, s9
	v_cmp_nlt_f32_e64 s10, v31, v28
	s_delay_alu instid0(VALU_DEP_1) | instskip(SKIP_1) | instid1(VALU_DEP_2)
	v_cndmask_b32_e64 v34, v31, v28, s10
	v_cndmask_b32_e64 v22, v28, v31, s10
	v_cmp_nlt_f32_e64 s11, v34, v25
	s_delay_alu instid0(VALU_DEP_1) | instskip(SKIP_2) | instid1(VALU_DEP_2)
	v_cndmask_b32_e64 v35, v34, v25, s11
	s_and_b32 s9, s10, s11
	v_cndmask_b32_e64 v28, v25, v34, s11
	v_cmp_nlt_f32_e64 s12, v35, v27
	s_delay_alu instid0(VALU_DEP_1) | instskip(SKIP_2) | instid1(VALU_DEP_2)
	v_cndmask_b32_e64 v36, v35, v27, s12
	s_and_b32 s9, s9, s12
	v_cndmask_b32_e64 v25, v27, v35, s12
	v_cmp_nlt_f32_e32 vcc_lo, v36, v26
	v_cndmask_b32_e32 v37, v36, v26, vcc_lo
	s_and_b32 s10, s9, vcc_lo
	v_cndmask_b32_e32 v27, v26, v36, vcc_lo
	s_delay_alu instid0(VALU_DEP_2) | instskip(NEXT) | instid1(VALU_DEP_1)
	v_cmp_nlt_f32_e64 s7, v37, v24
	v_cndmask_b32_e64 v33, v37, v24, s7
	s_and_b32 s10, s10, s7
	v_cndmask_b32_e64 v26, v24, v37, s7
	s_delay_alu instid0(VALU_DEP_2) | instskip(NEXT) | instid1(VALU_DEP_1)
	v_cmp_nlt_f32_e64 s8, v33, v23
	v_cndmask_b32_e64 v31, v33, v23, s8
	s_and_b32 s10, s10, s8
	v_cndmask_b32_e64 v24, v23, v33, s8
	s_delay_alu instid0(VALU_DEP_2) | instskip(NEXT) | instid1(VALU_DEP_1)
	v_cmp_nlt_f32_e64 s9, v31, v32
	s_and_b32 s10, s10, s9
	v_cndmask_b32_e64 v30, v31, v32, s9
	s_and_b32 s7, s10, s36
	v_cndmask_b32_e64 v23, v32, v31, s9
	s_and_b32 s7, s7, s35
	s_delay_alu instid0(SALU_CYCLE_1) | instskip(NEXT) | instid1(SALU_CYCLE_1)
	s_and_b32 s7, exec_lo, s7
	s_or_b32 s34, s7, s34
	s_delay_alu instid0(SALU_CYCLE_1)
	s_and_not1_b32 exec_lo, exec_lo, s34
	s_cbranch_execnz .LBB175_57
; %bb.58:                               ;   in Loop: Header=BB175_4 Depth=1
	s_or_b32 exec_lo, exec_lo, s34
	v_add_f32_e32 v5, -1.0, v5
	v_cmp_class_f32_e64 s8, v9, 0x204
	s_delay_alu instid0(VALU_DEP_2) | instskip(NEXT) | instid1(VALU_DEP_1)
	v_add_f32_e32 v5, v5, v21
	v_add_f32_e32 v5, v5, v29
	s_delay_alu instid0(VALU_DEP_1) | instskip(NEXT) | instid1(VALU_DEP_1)
	v_add_f32_e32 v5, v5, v20
	v_add_f32_e32 v5, v5, v22
	s_delay_alu instid0(VALU_DEP_1) | instskip(NEXT) | instid1(VALU_DEP_1)
	;; [unrolled: 3-line block ×5, first 2 shown]
	v_add_f32_e32 v5, v30, v5
	v_add_f32_e32 v22, 1.0, v5
	s_delay_alu instid0(VALU_DEP_1) | instskip(NEXT) | instid1(VALU_DEP_1)
	v_cvt_f64_f32_e32 v[20:21], v22
	v_frexp_exp_i32_f64_e32 v20, v[20:21]
	v_frexp_mant_f32_e32 v21, v22
	s_delay_alu instid0(VALU_DEP_1) | instskip(SKIP_1) | instid1(VALU_DEP_1)
	v_cmp_gt_f32_e32 vcc_lo, 0x3f2aaaab, v21
	v_add_f32_e32 v21, -1.0, v22
	v_sub_f32_e32 v24, v21, v22
	s_delay_alu instid0(VALU_DEP_1) | instskip(NEXT) | instid1(VALU_DEP_1)
	v_dual_sub_f32 v21, v5, v21 :: v_dual_add_f32 v24, 1.0, v24
	v_add_f32_e32 v21, v21, v24
	v_subrev_co_ci_u32_e32 v20, vcc_lo, 0, v20, vcc_lo
	s_delay_alu instid0(VALU_DEP_1) | instskip(SKIP_1) | instid1(VALU_DEP_2)
	v_sub_nc_u32_e32 v23, 0, v20
	v_cvt_f32_i32_e32 v20, v20
	v_ldexp_f32 v22, v22, v23
	v_ldexp_f32 v21, v21, v23
	s_delay_alu instid0(VALU_DEP_2) | instskip(NEXT) | instid1(VALU_DEP_1)
	v_add_f32_e32 v25, 1.0, v22
	v_dual_add_f32 v23, -1.0, v22 :: v_dual_add_f32 v24, -1.0, v25
	s_delay_alu instid0(VALU_DEP_1) | instskip(NEXT) | instid1(VALU_DEP_2)
	v_add_f32_e32 v26, 1.0, v23
	v_sub_f32_e32 v24, v22, v24
	s_delay_alu instid0(VALU_DEP_2) | instskip(NEXT) | instid1(VALU_DEP_2)
	v_sub_f32_e32 v22, v22, v26
	v_add_f32_e32 v24, v21, v24
	s_delay_alu instid0(VALU_DEP_2) | instskip(SKIP_2) | instid1(VALU_DEP_4)
	v_add_f32_e32 v21, v21, v22
	v_cmp_eq_f32_e32 vcc_lo, 0x7f800000, v5
	v_cmp_neq_f32_e64 s7, -1.0, v5
	v_add_f32_e32 v26, v25, v24
	s_delay_alu instid0(VALU_DEP_1) | instskip(SKIP_1) | instid1(VALU_DEP_1)
	v_rcp_f32_e32 v22, v26
	v_sub_f32_e32 v25, v26, v25
	v_sub_f32_e32 v24, v24, v25
	v_add_f32_e32 v27, v23, v21
	s_waitcnt_depctr 0xfff
	v_mul_f32_e32 v28, v27, v22
	s_delay_alu instid0(VALU_DEP_1) | instskip(NEXT) | instid1(VALU_DEP_1)
	v_mul_f32_e32 v29, v26, v28
	v_fma_f32 v25, v28, v26, -v29
	s_delay_alu instid0(VALU_DEP_1) | instskip(NEXT) | instid1(VALU_DEP_1)
	v_fmac_f32_e32 v25, v28, v24
	v_dual_add_f32 v30, v29, v25 :: v_dual_sub_f32 v23, v27, v23
	s_delay_alu instid0(VALU_DEP_1) | instskip(NEXT) | instid1(VALU_DEP_2)
	v_sub_f32_e32 v31, v27, v30
	v_sub_f32_e32 v21, v21, v23
	;; [unrolled: 1-line block ×3, first 2 shown]
	s_delay_alu instid0(VALU_DEP_3) | instskip(NEXT) | instid1(VALU_DEP_2)
	v_sub_f32_e32 v27, v27, v31
	v_sub_f32_e32 v23, v23, v25
	s_delay_alu instid0(VALU_DEP_2) | instskip(NEXT) | instid1(VALU_DEP_1)
	v_sub_f32_e32 v27, v27, v30
	v_add_f32_e32 v21, v21, v27
	s_delay_alu instid0(VALU_DEP_1) | instskip(NEXT) | instid1(VALU_DEP_1)
	v_add_f32_e32 v21, v23, v21
	v_add_f32_e32 v23, v31, v21
	s_delay_alu instid0(VALU_DEP_1) | instskip(NEXT) | instid1(VALU_DEP_1)
	v_mul_f32_e32 v25, v22, v23
	v_dual_sub_f32 v30, v31, v23 :: v_dual_mul_f32 v27, v26, v25
	s_delay_alu instid0(VALU_DEP_1) | instskip(NEXT) | instid1(VALU_DEP_2)
	v_add_f32_e32 v21, v21, v30
	v_fma_f32 v26, v25, v26, -v27
	s_delay_alu instid0(VALU_DEP_1) | instskip(NEXT) | instid1(VALU_DEP_1)
	v_fmac_f32_e32 v26, v25, v24
	v_add_f32_e32 v24, v27, v26
	s_delay_alu instid0(VALU_DEP_1) | instskip(SKIP_1) | instid1(VALU_DEP_2)
	v_sub_f32_e32 v29, v23, v24
	v_sub_f32_e32 v27, v24, v27
	;; [unrolled: 1-line block ×3, first 2 shown]
	s_delay_alu instid0(VALU_DEP_1) | instskip(NEXT) | instid1(VALU_DEP_3)
	v_sub_f32_e32 v23, v23, v24
	v_sub_f32_e32 v24, v27, v26
	v_max_f32_e64 v26, |v10|, |v10|
	s_delay_alu instid0(VALU_DEP_3) | instskip(SKIP_1) | instid1(VALU_DEP_1)
	v_add_f32_e32 v21, v21, v23
	v_add_f32_e32 v23, v28, v25
	v_dual_add_f32 v21, v24, v21 :: v_dual_sub_f32 v24, v23, v28
	s_delay_alu instid0(VALU_DEP_1) | instskip(NEXT) | instid1(VALU_DEP_2)
	v_add_f32_e32 v21, v29, v21
	v_sub_f32_e32 v24, v25, v24
	v_mul_f32_e32 v29, 0x3f317218, v20
	s_delay_alu instid0(VALU_DEP_3) | instskip(NEXT) | instid1(VALU_DEP_2)
	v_mul_f32_e32 v21, v22, v21
	v_fma_f32 v30, 0x3f317218, v20, -v29
	s_delay_alu instid0(VALU_DEP_1) | instskip(NEXT) | instid1(VALU_DEP_1)
	v_dual_add_f32 v21, v24, v21 :: v_dual_fmac_f32 v30, 0xb102e308, v20
	v_add_f32_e32 v22, v23, v21
	s_delay_alu instid0(VALU_DEP_1) | instskip(SKIP_1) | instid1(VALU_DEP_2)
	v_mul_f32_e32 v24, v22, v22
	v_ldexp_f32 v28, v22, 1
	v_fmaak_f32 v25, s21, v24, 0x3ecc95a3
	v_mul_f32_e32 v27, v22, v24
	v_sub_f32_e32 v22, v22, v23
	s_delay_alu instid0(VALU_DEP_3) | instskip(SKIP_1) | instid1(VALU_DEP_2)
	v_fmaak_f32 v24, v24, v25, 0x3f2aaada
	v_max_f32_e64 v25, |v9|, |v9|
	v_dual_sub_f32 v21, v21, v22 :: v_dual_mul_f32 v24, v27, v24
	s_delay_alu instid0(VALU_DEP_2) | instskip(SKIP_1) | instid1(VALU_DEP_3)
	v_max_f32_e32 v27, v25, v26
	v_min_f32_e32 v25, v25, v26
	v_ldexp_f32 v21, v21, 1
	s_delay_alu instid0(VALU_DEP_4) | instskip(NEXT) | instid1(VALU_DEP_4)
	v_add_f32_e32 v23, v28, v24
	v_frexp_mant_f32_e32 v26, v27
	v_frexp_exp_i32_f32_e32 v27, v27
	s_delay_alu instid0(VALU_DEP_3) | instskip(NEXT) | instid1(VALU_DEP_3)
	v_sub_f32_e32 v22, v23, v28
	v_rcp_f32_e32 v26, v26
	v_frexp_exp_i32_f32_e32 v28, v25
	s_delay_alu instid0(VALU_DEP_2) | instskip(SKIP_1) | instid1(VALU_DEP_3)
	v_sub_f32_e32 v22, v24, v22
	v_frexp_mant_f32_e32 v24, v25
	v_sub_nc_u32_e32 v25, v28, v27
	s_delay_alu instid0(VALU_DEP_3) | instskip(SKIP_4) | instid1(VALU_DEP_3)
	v_add_f32_e32 v20, v21, v22
	s_waitcnt_depctr 0xfff
	v_mul_f32_e32 v21, v24, v26
	v_add_f32_e32 v22, v29, v30
	v_add_f32_e32 v24, v23, v20
	v_ldexp_f32 v21, v21, v25
	s_delay_alu instid0(VALU_DEP_3) | instskip(NEXT) | instid1(VALU_DEP_2)
	v_sub_f32_e32 v29, v22, v29
	v_dual_add_f32 v25, v22, v24 :: v_dual_mul_f32 v26, v21, v21
	v_sub_f32_e32 v23, v24, v23
	s_delay_alu instid0(VALU_DEP_3) | instskip(NEXT) | instid1(VALU_DEP_3)
	v_sub_f32_e32 v29, v30, v29
	v_sub_f32_e32 v27, v25, v22
	s_delay_alu instid0(VALU_DEP_4) | instskip(NEXT) | instid1(VALU_DEP_4)
	v_fmaak_f32 v28, s26, v26, 0xbc7a590c
	v_sub_f32_e32 v20, v20, v23
	s_delay_alu instid0(VALU_DEP_2) | instskip(SKIP_1) | instid1(VALU_DEP_2)
	v_dual_sub_f32 v31, v25, v27 :: v_dual_fmaak_f32 v28, v26, v28, 0x3d29fb3f
	v_sub_f32_e32 v23, v24, v27
	v_dual_add_f32 v27, v29, v20 :: v_dual_sub_f32 v22, v22, v31
	s_delay_alu instid0(VALU_DEP_3) | instskip(NEXT) | instid1(VALU_DEP_1)
	v_fmaak_f32 v24, v26, v28, 0xbd97d4d7
	v_dual_add_f32 v22, v23, v22 :: v_dual_fmaak_f32 v23, v26, v24, 0x3dd931b2
	s_delay_alu instid0(VALU_DEP_3) | instskip(NEXT) | instid1(VALU_DEP_2)
	v_sub_f32_e32 v24, v27, v29
	v_dual_add_f32 v22, v27, v22 :: v_dual_fmaak_f32 v23, v26, v23, 0xbe1160e6
	s_delay_alu instid0(VALU_DEP_2) | instskip(SKIP_1) | instid1(VALU_DEP_3)
	v_sub_f32_e32 v27, v27, v24
	v_sub_f32_e32 v20, v20, v24
	v_dual_add_f32 v28, v25, v22 :: v_dual_fmaak_f32 v23, v26, v23, 0x3e4cb8bf
	s_delay_alu instid0(VALU_DEP_1) | instskip(NEXT) | instid1(VALU_DEP_1)
	v_dual_sub_f32 v24, v29, v27 :: v_dual_sub_f32 v25, v28, v25
	v_dual_fmaak_f32 v23, v26, v23, 0xbeaaaa62 :: v_dual_add_f32 v20, v20, v24
	s_delay_alu instid0(VALU_DEP_2) | instskip(NEXT) | instid1(VALU_DEP_1)
	v_sub_f32_e32 v22, v22, v25
	v_dual_mul_f32 v23, v26, v23 :: v_dual_add_f32 v20, v20, v22
	s_delay_alu instid0(VALU_DEP_1) | instskip(NEXT) | instid1(VALU_DEP_1)
	v_dual_fmac_f32 v21, v21, v23 :: v_dual_add_f32 v20, v28, v20
	v_sub_f32_e32 v22, 0x3fc90fdb, v21
	s_delay_alu instid0(VALU_DEP_2) | instskip(SKIP_1) | instid1(VALU_DEP_3)
	v_cndmask_b32_e32 v20, v20, v5, vcc_lo
	v_cmp_gt_i32_e32 vcc_lo, 0, v9
	v_cndmask_b32_e64 v21, v21, v22, s6
	v_cndmask_b32_e64 v22, 0, 0x40490fdb, vcc_lo
	v_cmp_ngt_f32_e32 vcc_lo, -1.0, v5
	s_delay_alu instid0(VALU_DEP_3) | instskip(SKIP_2) | instid1(VALU_DEP_2)
	v_sub_f32_e32 v23, 0x40490fdb, v21
	v_cndmask_b32_e32 v20, 0x7fc00000, v20, vcc_lo
	v_cmp_gt_f32_e32 vcc_lo, 0, v9
	v_cndmask_b32_e64 v9, 0xff800000, v20, s7
	s_delay_alu instid0(VALU_DEP_4)
	v_cndmask_b32_e32 v20, v21, v23, vcc_lo
	v_cndmask_b32_e32 v21, 0x3f490fdb, v19, vcc_lo
	v_cmp_gt_f32_e64 vcc_lo, 0x33800000, |v5|
	v_cmp_class_f32_e64 s7, v10, 0x204
	v_cndmask_b32_e32 v5, v9, v5, vcc_lo
	v_cmp_eq_f32_e32 vcc_lo, 0, v10
	s_delay_alu instid0(VALU_DEP_2) | instskip(SKIP_2) | instid1(VALU_DEP_1)
	v_mul_f32_e32 v5, 0.5, v5
	v_cndmask_b32_e32 v9, v20, v22, vcc_lo
	s_and_b32 vcc_lo, s7, s8
	v_cndmask_b32_e32 v20, v9, v21, vcc_lo
.LBB175_59:                             ;   in Loop: Header=BB175_4 Depth=1
	s_or_b32 exec_lo, exec_lo, s33
.LBB175_60:                             ;   in Loop: Header=BB175_4 Depth=1
	s_delay_alu instid0(SALU_CYCLE_1)
	s_or_b32 exec_lo, exec_lo, s31
.LBB175_61:                             ;   in Loop: Header=BB175_4 Depth=1
	s_and_not1_saveexec_b32 s8, s30
	s_cbranch_execz .LBB175_63
; %bb.62:                               ;   in Loop: Header=BB175_4 Depth=1
	v_max_f32_e64 v5, |v10|, |v10|
	v_max_f32_e64 v22, |v9|, |v9|
	v_cmp_gt_i32_e64 s7, 0, v9
	v_cmp_class_f32_e64 s9, v9, 0x204
	v_cmp_class_f32_e64 s10, v10, 0x204
	s_delay_alu instid0(VALU_DEP_4) | instskip(SKIP_1) | instid1(VALU_DEP_2)
	v_max_f32_e32 v23, v22, v5
	v_min_f32_e32 v5, v22, v5
	v_cvt_f64_f32_e32 v[20:21], v23
	v_frexp_exp_i32_f32_e32 v22, v23
	s_delay_alu instid0(VALU_DEP_3) | instskip(SKIP_1) | instid1(VALU_DEP_2)
	v_frexp_exp_i32_f32_e32 v24, v5
	v_frexp_mant_f32_e32 v5, v5
	v_sub_nc_u32_e32 v22, v24, v22
	v_frexp_exp_i32_f64_e32 v20, v[20:21]
	v_frexp_mant_f32_e32 v21, v23
	s_delay_alu instid0(VALU_DEP_1) | instskip(SKIP_2) | instid1(VALU_DEP_1)
	v_rcp_f32_e32 v21, v21
	s_waitcnt_depctr 0xfff
	v_mul_f32_e32 v5, v5, v21
	v_ldexp_f32 v5, v5, v22
	v_sub_nc_u32_e32 v25, 0, v20
	s_delay_alu instid0(VALU_DEP_1) | instskip(SKIP_1) | instid1(VALU_DEP_2)
	v_ldexp_f32 v21, |v10|, v25
	v_ldexp_f32 v22, |v9|, v25
	v_mul_f32_e32 v21, v21, v21
	s_delay_alu instid0(VALU_DEP_1) | instskip(NEXT) | instid1(VALU_DEP_1)
	v_dual_mul_f32 v24, v5, v5 :: v_dual_fmac_f32 v21, v22, v22
	v_fmaak_f32 v22, s26, v24, 0xbc7a590c
	v_cmp_neq_f32_e32 vcc_lo, 0x7f800000, v23
	s_delay_alu instid0(VALU_DEP_3) | instskip(NEXT) | instid1(VALU_DEP_2)
	v_sqrt_f32_e32 v21, v21
	v_fmaak_f32 v22, v24, v22, 0x3d29fb3f
	s_delay_alu instid0(VALU_DEP_1) | instskip(SKIP_3) | instid1(VALU_DEP_2)
	v_fmaak_f32 v22, v24, v22, 0xbd97d4d7
	s_waitcnt_depctr 0xfff
	v_ldexp_f32 v20, v21, v20
	v_fmaak_f32 v21, v24, v22, 0x3dd931b2
	v_cndmask_b32_e32 v20, 0x7f800000, v20, vcc_lo
	s_delay_alu instid0(VALU_DEP_2) | instskip(NEXT) | instid1(VALU_DEP_2)
	v_fmaak_f32 v21, v24, v21, 0xbe1160e6
	v_cmp_gt_f32_e32 vcc_lo, 0x800000, v20
	s_delay_alu instid0(VALU_DEP_2) | instskip(SKIP_1) | instid1(VALU_DEP_2)
	v_fmaak_f32 v21, v24, v21, 0x3e4cb8bf
	v_cndmask_b32_e64 v22, 1.0, 0x4f800000, vcc_lo
	v_fmaak_f32 v21, v24, v21, 0xbeaaaa62
	s_delay_alu instid0(VALU_DEP_1) | instskip(NEXT) | instid1(VALU_DEP_1)
	v_mul_f32_e32 v21, v24, v21
	v_dual_mul_f32 v20, v20, v22 :: v_dual_fmac_f32 v5, v5, v21
	s_delay_alu instid0(VALU_DEP_1) | instskip(SKIP_2) | instid1(VALU_DEP_1)
	v_log_f32_e32 v20, v20
	s_waitcnt_depctr 0xfff
	v_mul_f32_e32 v21, 0x3f317217, v20
	v_fma_f32 v23, 0x3f317217, v20, -v21
	s_delay_alu instid0(VALU_DEP_1) | instskip(SKIP_1) | instid1(VALU_DEP_1)
	v_fmac_f32_e32 v23, 0x3377d1cf, v20
	v_sub_f32_e32 v22, 0x3fc90fdb, v5
	v_cndmask_b32_e64 v5, v5, v22, s6
	v_cndmask_b32_e64 v22, 0, 0x40490fdb, s7
	v_cmp_gt_f32_e64 s7, 0, v9
	v_add_f32_e32 v9, v21, v23
	v_cndmask_b32_e64 v23, 0, 0x41b17218, vcc_lo
	v_cmp_gt_f32_e64 vcc_lo, 0x7f800000, |v20|
	s_delay_alu instid0(VALU_DEP_4) | instskip(NEXT) | instid1(VALU_DEP_4)
	v_cndmask_b32_e64 v21, 0x3f490fdb, v19, s7
	v_cndmask_b32_e32 v9, v20, v9, vcc_lo
	v_sub_f32_e32 v24, 0x40490fdb, v5
	v_cmp_eq_f32_e32 vcc_lo, 0, v10
	s_delay_alu instid0(VALU_DEP_2) | instskip(NEXT) | instid1(VALU_DEP_1)
	v_cndmask_b32_e64 v5, v5, v24, s7
	v_cndmask_b32_e32 v20, v5, v22, vcc_lo
	v_sub_f32_e32 v5, v9, v23
	s_and_b32 vcc_lo, s10, s9
	s_delay_alu instid0(VALU_DEP_2)
	v_cndmask_b32_e32 v20, v20, v21, vcc_lo
.LBB175_63:                             ;   in Loop: Header=BB175_4 Depth=1
	s_or_b32 exec_lo, exec_lo, s8
                                        ; implicit-def: $vgpr21
.LBB175_64:                             ;   in Loop: Header=BB175_4 Depth=1
	s_and_not1_saveexec_b32 s8, s29
	s_cbranch_execz .LBB175_70
; %bb.65:                               ;   in Loop: Header=BB175_4 Depth=1
                                        ; implicit-def: $vgpr5
                                        ; implicit-def: $vgpr20
	s_mov_b32 s7, exec_lo
	v_cmpx_ngt_f32_e32 0x1fec1e4a, v21
	s_xor_b32 s9, exec_lo, s7
	s_cbranch_execz .LBB175_67
; %bb.66:                               ;   in Loop: Header=BB175_4 Depth=1
	v_mul_f32_e32 v5, v21, v21
	v_cmp_class_f32_e64 s10, v9, 0x204
	v_cmp_gt_f32_e64 s7, 0, v9
	v_cmp_class_f32_e64 s12, v10, 0x204
	s_delay_alu instid0(VALU_DEP_4) | instskip(NEXT) | instid1(VALU_DEP_1)
	v_add_f32_e32 v22, 1.0, v5
	v_cvt_f64_f32_e32 v[20:21], v22
	s_delay_alu instid0(VALU_DEP_1) | instskip(SKIP_1) | instid1(VALU_DEP_1)
	v_frexp_exp_i32_f64_e32 v20, v[20:21]
	v_frexp_mant_f32_e32 v21, v22
	v_cmp_gt_f32_e32 vcc_lo, 0x3f2aaaab, v21
	v_add_f32_e32 v21, -1.0, v22
	s_delay_alu instid0(VALU_DEP_1) | instskip(NEXT) | instid1(VALU_DEP_1)
	v_sub_f32_e32 v24, v21, v22
	v_dual_add_f32 v24, 1.0, v24 :: v_dual_sub_f32 v21, v5, v21
	v_cmp_gt_f32_e64 s11, 0x33800000, |v5|
	s_delay_alu instid0(VALU_DEP_2) | instskip(SKIP_2) | instid1(VALU_DEP_2)
	v_add_f32_e32 v21, v21, v24
	v_subrev_co_ci_u32_e32 v20, vcc_lo, 0, v20, vcc_lo
	v_cmp_gt_i32_e32 vcc_lo, 0, v9
	v_sub_nc_u32_e32 v23, 0, v20
	v_cvt_f32_i32_e32 v20, v20
	s_delay_alu instid0(VALU_DEP_2) | instskip(SKIP_1) | instid1(VALU_DEP_2)
	v_ldexp_f32 v22, v22, v23
	v_ldexp_f32 v21, v21, v23
	v_add_f32_e32 v23, -1.0, v22
	s_delay_alu instid0(VALU_DEP_1) | instskip(NEXT) | instid1(VALU_DEP_1)
	v_dual_add_f32 v25, 1.0, v22 :: v_dual_add_f32 v26, 1.0, v23
	v_add_f32_e32 v24, -1.0, v25
	s_delay_alu instid0(VALU_DEP_1) | instskip(NEXT) | instid1(VALU_DEP_3)
	v_sub_f32_e32 v24, v22, v24
	v_sub_f32_e32 v22, v22, v26
	s_delay_alu instid0(VALU_DEP_2) | instskip(NEXT) | instid1(VALU_DEP_2)
	v_add_f32_e32 v24, v21, v24
	v_add_f32_e32 v21, v21, v22
	s_delay_alu instid0(VALU_DEP_1) | instskip(NEXT) | instid1(VALU_DEP_1)
	v_dual_add_f32 v27, v23, v21 :: v_dual_add_f32 v26, v25, v24
	v_rcp_f32_e32 v22, v26
	v_sub_f32_e32 v25, v25, v26
	s_delay_alu instid0(VALU_DEP_1) | instskip(SKIP_2) | instid1(VALU_DEP_1)
	v_dual_add_f32 v24, v24, v25 :: v_dual_sub_f32 v23, v23, v27
	s_waitcnt_depctr 0xfff
	v_dual_mul_f32 v28, v27, v22 :: v_dual_add_f32 v21, v21, v23
	v_mul_f32_e32 v29, v26, v28
	s_delay_alu instid0(VALU_DEP_1) | instskip(NEXT) | instid1(VALU_DEP_1)
	v_fma_f32 v25, v28, v26, -v29
	v_fmac_f32_e32 v25, v28, v24
	s_delay_alu instid0(VALU_DEP_1) | instskip(NEXT) | instid1(VALU_DEP_1)
	v_add_f32_e32 v30, v29, v25
	v_sub_f32_e32 v31, v27, v30
	s_delay_alu instid0(VALU_DEP_1) | instskip(SKIP_1) | instid1(VALU_DEP_2)
	v_sub_f32_e32 v27, v27, v31
	v_sub_f32_e32 v23, v30, v29
	;; [unrolled: 1-line block ×3, first 2 shown]
	s_delay_alu instid0(VALU_DEP_2) | instskip(NEXT) | instid1(VALU_DEP_2)
	v_sub_f32_e32 v23, v23, v25
	v_add_f32_e32 v21, v21, v27
	s_delay_alu instid0(VALU_DEP_1) | instskip(NEXT) | instid1(VALU_DEP_1)
	v_add_f32_e32 v21, v23, v21
	v_add_f32_e32 v23, v31, v21
	s_delay_alu instid0(VALU_DEP_1) | instskip(NEXT) | instid1(VALU_DEP_1)
	v_mul_f32_e32 v25, v22, v23
	v_dual_sub_f32 v30, v31, v23 :: v_dual_mul_f32 v27, v26, v25
	s_delay_alu instid0(VALU_DEP_1) | instskip(NEXT) | instid1(VALU_DEP_2)
	v_add_f32_e32 v21, v21, v30
	v_fma_f32 v26, v25, v26, -v27
	s_delay_alu instid0(VALU_DEP_1) | instskip(NEXT) | instid1(VALU_DEP_1)
	v_fmac_f32_e32 v26, v25, v24
	v_add_f32_e32 v24, v27, v26
	s_delay_alu instid0(VALU_DEP_1) | instskip(SKIP_1) | instid1(VALU_DEP_2)
	v_sub_f32_e32 v29, v23, v24
	v_sub_f32_e32 v27, v24, v27
	;; [unrolled: 1-line block ×3, first 2 shown]
	s_delay_alu instid0(VALU_DEP_1) | instskip(NEXT) | instid1(VALU_DEP_1)
	v_sub_f32_e32 v23, v23, v24
	v_dual_sub_f32 v24, v27, v26 :: v_dual_add_f32 v21, v21, v23
	v_add_f32_e32 v23, v28, v25
	s_delay_alu instid0(VALU_DEP_1) | instskip(NEXT) | instid1(VALU_DEP_1)
	v_dual_add_f32 v21, v24, v21 :: v_dual_sub_f32 v24, v23, v28
	v_add_f32_e32 v21, v29, v21
	s_delay_alu instid0(VALU_DEP_2) | instskip(SKIP_1) | instid1(VALU_DEP_3)
	v_sub_f32_e32 v24, v25, v24
	v_max_f32_e64 v25, |v9|, |v9|
	v_mul_f32_e32 v21, v22, v21
	v_max_f32_e64 v22, |v10|, |v10|
	s_delay_alu instid0(VALU_DEP_2) | instskip(NEXT) | instid1(VALU_DEP_2)
	v_add_f32_e32 v21, v24, v21
	v_max_f32_e32 v27, v25, v22
	v_min_f32_e32 v22, v25, v22
	s_delay_alu instid0(VALU_DEP_3) | instskip(NEXT) | instid1(VALU_DEP_3)
	v_add_f32_e32 v24, v23, v21
	v_frexp_mant_f32_e32 v29, v27
	v_frexp_exp_i32_f32_e32 v25, v27
	s_delay_alu instid0(VALU_DEP_3) | instskip(SKIP_1) | instid1(VALU_DEP_2)
	v_mul_f32_e32 v26, v24, v24
	v_ldexp_f32 v30, v24, 1
	v_dual_sub_f32 v23, v24, v23 :: v_dual_fmaak_f32 v28, s21, v26, 0x3ecc95a3
	v_mul_f32_e32 v27, v24, v26
	s_delay_alu instid0(VALU_DEP_2) | instskip(SKIP_3) | instid1(VALU_DEP_3)
	v_dual_sub_f32 v21, v21, v23 :: v_dual_fmaak_f32 v26, v26, v28, 0x3f2aaada
	v_rcp_f32_e32 v28, v29
	v_frexp_exp_i32_f32_e32 v29, v22
	v_frexp_mant_f32_e32 v22, v22
	v_ldexp_f32 v21, v21, 1
	v_dual_mul_f32 v26, v27, v26 :: v_dual_mul_f32 v27, 0x3f317218, v20
	s_delay_alu instid0(VALU_DEP_4) | instskip(NEXT) | instid1(VALU_DEP_2)
	v_sub_nc_u32_e32 v25, v29, v25
	v_add_f32_e32 v24, v30, v26
	s_delay_alu instid0(TRANS32_DEP_1) | instid1(VALU_DEP_1)
	v_dual_mul_f32 v22, v22, v28 :: v_dual_sub_f32 v23, v24, v30
	s_delay_alu instid0(VALU_DEP_1) | instskip(SKIP_1) | instid1(VALU_DEP_3)
	v_ldexp_f32 v22, v22, v25
	v_fma_f32 v25, 0x3f317218, v20, -v27
	v_sub_f32_e32 v23, v26, v23
	s_delay_alu instid0(VALU_DEP_2) | instskip(NEXT) | instid1(VALU_DEP_1)
	v_dual_mul_f32 v26, v22, v22 :: v_dual_fmac_f32 v25, 0xb102e308, v20
	v_dual_add_f32 v20, v21, v23 :: v_dual_fmaak_f32 v21, s26, v26, 0xbc7a590c
	s_delay_alu instid0(VALU_DEP_1) | instskip(NEXT) | instid1(VALU_DEP_2)
	v_dual_add_f32 v23, v27, v25 :: v_dual_add_f32 v28, v24, v20
	v_fmaak_f32 v21, v26, v21, 0x3d29fb3f
	s_delay_alu instid0(VALU_DEP_2) | instskip(NEXT) | instid1(VALU_DEP_3)
	v_sub_f32_e32 v27, v23, v27
	v_add_f32_e32 v29, v23, v28
	s_delay_alu instid0(VALU_DEP_3) | instskip(NEXT) | instid1(VALU_DEP_3)
	v_dual_fmaak_f32 v21, v26, v21, 0xbd97d4d7 :: v_dual_sub_f32 v24, v28, v24
	v_sub_f32_e32 v25, v25, v27
	s_delay_alu instid0(VALU_DEP_2) | instskip(NEXT) | instid1(VALU_DEP_1)
	v_dual_sub_f32 v30, v29, v23 :: v_dual_fmaak_f32 v21, v26, v21, 0x3dd931b2
	v_dual_sub_f32 v20, v20, v24 :: v_dual_sub_f32 v31, v29, v30
	s_delay_alu instid0(VALU_DEP_2) | instskip(NEXT) | instid1(VALU_DEP_2)
	v_dual_fmaak_f32 v21, v26, v21, 0xbe1160e6 :: v_dual_sub_f32 v24, v28, v30
	v_add_f32_e32 v27, v25, v20
	s_delay_alu instid0(VALU_DEP_3) | instskip(NEXT) | instid1(VALU_DEP_3)
	v_sub_f32_e32 v23, v23, v31
	v_fmaak_f32 v21, v26, v21, 0x3e4cb8bf
	s_delay_alu instid0(VALU_DEP_2) | instskip(NEXT) | instid1(VALU_DEP_2)
	v_add_f32_e32 v23, v24, v23
	v_fmaak_f32 v21, v26, v21, 0xbeaaaa62
	v_sub_f32_e32 v24, v27, v25
	s_delay_alu instid0(VALU_DEP_3) | instskip(NEXT) | instid1(VALU_DEP_2)
	v_add_f32_e32 v23, v27, v23
	v_dual_mul_f32 v21, v26, v21 :: v_dual_sub_f32 v26, v27, v24
	s_delay_alu instid0(VALU_DEP_2) | instskip(NEXT) | instid1(VALU_DEP_2)
	v_dual_sub_f32 v20, v20, v24 :: v_dual_add_f32 v27, v29, v23
	v_dual_fmac_f32 v22, v22, v21 :: v_dual_sub_f32 v21, v25, v26
	s_delay_alu instid0(VALU_DEP_1) | instskip(NEXT) | instid1(VALU_DEP_1)
	v_dual_sub_f32 v24, v27, v29 :: v_dual_sub_f32 v25, 0x3fc90fdb, v22
	v_dual_add_f32 v20, v20, v21 :: v_dual_sub_f32 v21, v23, v24
	s_delay_alu instid0(VALU_DEP_2) | instskip(SKIP_2) | instid1(VALU_DEP_3)
	v_cndmask_b32_e64 v22, v22, v25, s6
	v_cndmask_b32_e64 v23, 0, 0x40490fdb, vcc_lo
	v_cmp_eq_f32_e32 vcc_lo, 0x7f800000, v5
	v_dual_add_f32 v20, v20, v21 :: v_dual_sub_f32 v21, 0x40490fdb, v22
	s_or_b32 vcc_lo, vcc_lo, s11
	s_delay_alu instid0(VALU_DEP_1) | instskip(NEXT) | instid1(VALU_DEP_2)
	v_add_f32_e32 v9, v27, v20
	v_cndmask_b32_e64 v20, v22, v21, s7
	v_cndmask_b32_e64 v21, 0x3f490fdb, v19, s7
	s_delay_alu instid0(VALU_DEP_3) | instskip(SKIP_1) | instid1(VALU_DEP_2)
	v_cndmask_b32_e32 v5, v9, v5, vcc_lo
	v_cmp_eq_f32_e32 vcc_lo, 0, v10
	v_mul_f32_e32 v5, 0.5, v5
	v_cndmask_b32_e32 v9, v20, v23, vcc_lo
	s_and_b32 vcc_lo, s12, s10
	s_delay_alu instid0(VALU_DEP_1)
	v_cndmask_b32_e32 v20, v9, v21, vcc_lo
                                        ; implicit-def: $vgpr21
.LBB175_67:                             ;   in Loop: Header=BB175_4 Depth=1
	s_and_not1_saveexec_b32 s9, s9
	s_cbranch_execz .LBB175_69
; %bb.68:                               ;   in Loop: Header=BB175_4 Depth=1
	v_max_f32_e64 v5, |v10|, |v10|
	v_max_f32_e64 v20, |v9|, |v9|
	v_cmp_gt_i32_e32 vcc_lo, 0, v9
	v_cmp_eq_f32_e64 s7, 0, v10
	v_cmp_class_f32_e64 s10, v9, 0x204
	v_cmp_class_f32_e64 s11, v10, 0x204
	v_max_f32_e32 v22, v20, v5
	v_min_f32_e32 v5, v20, v5
	s_delay_alu instid0(VALU_DEP_2) | instskip(NEXT) | instid1(VALU_DEP_1)
	v_frexp_mant_f32_e32 v23, v22
	v_rcp_f32_e32 v20, v23
	s_delay_alu instid0(VALU_DEP_2) | instskip(SKIP_4) | instid1(VALU_DEP_1)
	v_frexp_exp_i32_f32_e32 v23, v5
	v_frexp_mant_f32_e32 v5, v5
	s_waitcnt_depctr 0xfff
	v_mul_f32_e32 v5, v5, v20
	v_frexp_exp_i32_f32_e32 v22, v22
	v_sub_nc_u32_e32 v22, v23, v22
	s_delay_alu instid0(VALU_DEP_1) | instskip(NEXT) | instid1(VALU_DEP_1)
	v_ldexp_f32 v5, v5, v22
	v_mul_f32_e32 v20, v5, v5
	s_delay_alu instid0(VALU_DEP_1) | instskip(NEXT) | instid1(VALU_DEP_1)
	v_fmaak_f32 v22, s26, v20, 0xbc7a590c
	v_fmaak_f32 v22, v20, v22, 0x3d29fb3f
	s_delay_alu instid0(VALU_DEP_1) | instskip(NEXT) | instid1(VALU_DEP_1)
	v_fmaak_f32 v22, v20, v22, 0xbd97d4d7
	v_fmaak_f32 v22, v20, v22, 0x3dd931b2
	;; [unrolled: 3-line block ×3, first 2 shown]
	s_delay_alu instid0(VALU_DEP_1) | instskip(NEXT) | instid1(VALU_DEP_1)
	v_fmaak_f32 v22, v20, v22, 0xbeaaaa62
	v_mul_f32_e32 v20, v20, v22
	v_cndmask_b32_e64 v22, 0, 0x40490fdb, vcc_lo
	v_cmp_gt_f32_e32 vcc_lo, 0, v9
	s_delay_alu instid0(VALU_DEP_3) | instskip(NEXT) | instid1(VALU_DEP_1)
	v_fmac_f32_e32 v5, v5, v20
	v_sub_f32_e32 v20, 0x3fc90fdb, v5
	s_delay_alu instid0(VALU_DEP_1) | instskip(NEXT) | instid1(VALU_DEP_1)
	v_cndmask_b32_e64 v5, v5, v20, s6
	v_sub_f32_e32 v20, 0x40490fdb, v5
	s_delay_alu instid0(VALU_DEP_1) | instskip(NEXT) | instid1(VALU_DEP_1)
	v_dual_cndmask_b32 v5, v5, v20 :: v_dual_mul_f32 v20, 0.5, v21
	v_cndmask_b32_e64 v9, v5, v22, s7
	s_delay_alu instid0(VALU_DEP_2) | instskip(SKIP_1) | instid1(VALU_DEP_1)
	v_dual_mul_f32 v5, v21, v20 :: v_dual_cndmask_b32 v22, 0x3f490fdb, v19
	s_and_b32 vcc_lo, s11, s10
	v_cndmask_b32_e32 v20, v9, v22, vcc_lo
.LBB175_69:                             ;   in Loop: Header=BB175_4 Depth=1
	s_or_b32 exec_lo, exec_lo, s9
.LBB175_70:                             ;   in Loop: Header=BB175_4 Depth=1
	s_delay_alu instid0(SALU_CYCLE_1)
	s_or_b32 exec_lo, exec_lo, s8
.LBB175_71:                             ;   in Loop: Header=BB175_4 Depth=1
	s_and_not1_saveexec_b32 s8, s28
	s_cbranch_execz .LBB175_73
; %bb.72:                               ;   in Loop: Header=BB175_4 Depth=1
	v_div_scale_f32 v5, null, 0x402df854, 0x402df854, v9
	v_div_scale_f32 v20, null, 0x402df854, 0x402df854, v10
	v_div_scale_f32 v25, vcc_lo, v9, 0x402df854, v9
	s_delay_alu instid0(VALU_DEP_3) | instskip(NEXT) | instid1(VALU_DEP_2)
	v_rcp_f32_e32 v21, v5
	v_rcp_f32_e32 v22, v20
	v_cmp_class_f32_e64 s9, v10, 0x204
	s_waitcnt_depctr 0xfff
	v_fma_f32 v23, -v5, v21, 1.0
	v_fma_f32 v24, -v20, v22, 1.0
	s_delay_alu instid0(VALU_DEP_1) | instskip(SKIP_1) | instid1(VALU_DEP_2)
	v_dual_fmac_f32 v21, v23, v21 :: v_dual_fmac_f32 v22, v24, v22
	v_div_scale_f32 v23, s7, v10, 0x402df854, v10
	v_mul_f32_e32 v24, v25, v21
	s_delay_alu instid0(VALU_DEP_1) | instskip(NEXT) | instid1(VALU_DEP_1)
	v_fma_f32 v27, -v5, v24, v25
	v_fmac_f32_e32 v24, v27, v21
	s_delay_alu instid0(VALU_DEP_1) | instskip(NEXT) | instid1(VALU_DEP_1)
	v_fma_f32 v5, -v5, v24, v25
	v_div_fmas_f32 v5, v5, v21, v24
	v_max_f32_e64 v24, |v9|, |v9|
	v_mul_f32_e32 v26, v23, v22
	s_mov_b32 vcc_lo, s7
	v_cmp_class_f32_e64 s7, v9, 0x204
	v_div_fixup_f32 v5, v5, 0x402df854, v9
	s_delay_alu instid0(VALU_DEP_3) | instskip(NEXT) | instid1(VALU_DEP_1)
	v_fma_f32 v28, -v20, v26, v23
	v_fmac_f32_e32 v26, v28, v22
	s_delay_alu instid0(VALU_DEP_1) | instskip(NEXT) | instid1(VALU_DEP_1)
	v_fma_f32 v20, -v20, v26, v23
	v_div_fmas_f32 v20, v20, v22, v26
	s_delay_alu instid0(VALU_DEP_1) | instskip(NEXT) | instid1(VALU_DEP_1)
	v_div_fixup_f32 v22, v20, 0x402df854, v10
	v_max_f32_e64 v23, |v5|, |v22|
	s_delay_alu instid0(VALU_DEP_1) | instskip(SKIP_1) | instid1(VALU_DEP_2)
	v_cvt_f64_f32_e32 v[20:21], v23
	v_cmp_neq_f32_e32 vcc_lo, 0x7f800000, v23
	v_frexp_exp_i32_f64_e32 v20, v[20:21]
	v_max_f32_e64 v21, |v10|, |v10|
	s_delay_alu instid0(VALU_DEP_1) | instskip(SKIP_1) | instid1(VALU_DEP_2)
	v_max_f32_e32 v25, v24, v21
	v_min_f32_e32 v21, v24, v21
	v_frexp_mant_f32_e32 v26, v25
	v_frexp_exp_i32_f32_e32 v25, v25
	s_delay_alu instid0(VALU_DEP_2) | instskip(SKIP_1) | instid1(VALU_DEP_1)
	v_rcp_f32_e32 v24, v26
	v_sub_nc_u32_e32 v26, 0, v20
	v_ldexp_f32 v22, |v22|, v26
	v_ldexp_f32 v5, |v5|, v26
	s_delay_alu instid0(VALU_DEP_2) | instskip(SKIP_2) | instid1(VALU_DEP_3)
	v_mul_f32_e32 v22, v22, v22
	v_frexp_exp_i32_f32_e32 v27, v21
	v_frexp_mant_f32_e32 v21, v21
	v_fmac_f32_e32 v22, v5, v5
	s_delay_alu instid0(VALU_DEP_3)
	v_sub_nc_u32_e32 v25, v27, v25
	s_delay_alu instid0(TRANS32_DEP_1) | instid1(VALU_DEP_3)
	v_mul_f32_e32 v21, v21, v24
	s_delay_alu instid0(VALU_DEP_3) | instskip(NEXT) | instid1(VALU_DEP_1)
	v_sqrt_f32_e32 v22, v22
	v_ldexp_f32 v21, v21, v25
	s_waitcnt_depctr 0xfff
	v_ldexp_f32 v20, v22, v20
	s_delay_alu instid0(VALU_DEP_1) | instskip(NEXT) | instid1(VALU_DEP_1)
	v_dual_mul_f32 v5, v21, v21 :: v_dual_cndmask_b32 v20, 0x7f800000, v20
	v_fmaak_f32 v24, s26, v5, 0xbc7a590c
	s_delay_alu instid0(VALU_DEP_2) | instskip(NEXT) | instid1(VALU_DEP_2)
	v_cmp_gt_f32_e32 vcc_lo, 0x800000, v20
	v_fmaak_f32 v24, v5, v24, 0x3d29fb3f
	v_cndmask_b32_e64 v23, 1.0, 0x4f800000, vcc_lo
	s_delay_alu instid0(VALU_DEP_1) | instskip(NEXT) | instid1(VALU_DEP_1)
	v_mul_f32_e32 v20, v20, v23
	v_log_f32_e32 v20, v20
	s_delay_alu instid0(VALU_DEP_3) | instskip(SKIP_1) | instid1(VALU_DEP_2)
	v_fmaak_f32 v22, v5, v24, 0xbd97d4d7
	v_cndmask_b32_e64 v24, 0, 0x41b17218, vcc_lo
	v_fmaak_f32 v22, v5, v22, 0x3dd931b2
	s_waitcnt_depctr 0xfff
	v_cmp_gt_f32_e64 vcc_lo, 0x7f800000, |v20|
	v_fmaak_f32 v22, v5, v22, 0xbe1160e6
	s_delay_alu instid0(VALU_DEP_1) | instskip(NEXT) | instid1(VALU_DEP_1)
	v_fmaak_f32 v22, v5, v22, 0x3e4cb8bf
	v_fmaak_f32 v22, v5, v22, 0xbeaaaa62
	s_delay_alu instid0(VALU_DEP_1) | instskip(NEXT) | instid1(VALU_DEP_1)
	v_mul_f32_e32 v5, v5, v22
	v_fmac_f32_e32 v21, v21, v5
	s_delay_alu instid0(VALU_DEP_1) | instskip(NEXT) | instid1(VALU_DEP_1)
	v_sub_f32_e32 v23, 0x3fc90fdb, v21
	v_cndmask_b32_e64 v21, v21, v23, s6
	v_cmp_gt_i32_e64 s6, 0, v9
	s_delay_alu instid0(VALU_DEP_1) | instskip(SKIP_2) | instid1(VALU_DEP_2)
	v_cndmask_b32_e64 v23, 0, 0x40490fdb, s6
	v_mul_f32_e32 v22, 0x3f317217, v20
	v_cmp_gt_f32_e64 s6, 0, v9
	v_fma_f32 v5, 0x3f317217, v20, -v22
	s_delay_alu instid0(VALU_DEP_1) | instskip(NEXT) | instid1(VALU_DEP_1)
	v_fmac_f32_e32 v5, 0x3377d1cf, v20
	v_add_f32_e32 v5, v22, v5
	s_delay_alu instid0(VALU_DEP_1) | instskip(SKIP_3) | instid1(VALU_DEP_4)
	v_cndmask_b32_e32 v5, v20, v5, vcc_lo
	v_sub_f32_e32 v22, 0x40490fdb, v21
	v_cmp_eq_f32_e32 vcc_lo, 0, v10
	v_cndmask_b32_e64 v20, 0x3f490fdb, v19, s6
	v_sub_f32_e32 v5, v5, v24
	s_delay_alu instid0(VALU_DEP_4) | instskip(NEXT) | instid1(VALU_DEP_2)
	v_cndmask_b32_e64 v9, v21, v22, s6
	v_add_f32_e32 v5, 1.0, v5
	s_delay_alu instid0(VALU_DEP_2) | instskip(SKIP_1) | instid1(VALU_DEP_1)
	v_cndmask_b32_e32 v9, v9, v23, vcc_lo
	s_and_b32 vcc_lo, s9, s7
	v_cndmask_b32_e32 v20, v9, v20, vcc_lo
.LBB175_73:                             ;   in Loop: Header=BB175_4 Depth=1
	s_or_b32 exec_lo, exec_lo, s8
.LBB175_74:                             ;   in Loop: Header=BB175_4 Depth=1
	s_and_not1_saveexec_b32 s6, s27
	s_cbranch_execz .LBB175_80
; %bb.75:                               ;   in Loop: Header=BB175_4 Depth=1
	v_cmp_ngt_f32_e64 s7, 0x20000000, |v9|
	v_cmp_ngt_f32_e64 s8, 0x20000000, |v10|
                                        ; implicit-def: $vgpr5
	s_delay_alu instid0(VALU_DEP_1) | instskip(NEXT) | instid1(SALU_CYCLE_1)
	s_or_b32 s7, s8, s7
	s_and_saveexec_b32 s8, s7
	s_delay_alu instid0(SALU_CYCLE_1)
	s_xor_b32 s7, exec_lo, s8
; %bb.76:                               ;   in Loop: Header=BB175_4 Depth=1
	v_mul_f32_e32 v5, v9, v9
	s_delay_alu instid0(VALU_DEP_1)
	v_fmac_f32_e32 v5, v10, v10
; %bb.77:                               ;   in Loop: Header=BB175_4 Depth=1
	s_and_not1_saveexec_b32 s7, s7
; %bb.78:                               ;   in Loop: Header=BB175_4 Depth=1
	v_mul_f32_e32 v5, 4.0, v9
	v_mul_f32_e32 v9, 4.0, v10
	s_delay_alu instid0(VALU_DEP_2) | instskip(NEXT) | instid1(VALU_DEP_1)
	v_mul_f32_e32 v5, v5, v5
	v_fmac_f32_e32 v5, v9, v9
	s_delay_alu instid0(VALU_DEP_1)
	v_mul_f32_e32 v5, 0x3d800000, v5
; %bb.79:                               ;   in Loop: Header=BB175_4 Depth=1
	s_or_b32 exec_lo, exec_lo, s7
	s_delay_alu instid0(VALU_DEP_1) | instskip(SKIP_1) | instid1(VALU_DEP_1)
	v_cmp_gt_f32_e32 vcc_lo, 0x800000, v5
	v_cndmask_b32_e64 v9, 1.0, 0x4f800000, vcc_lo
	v_mul_f32_e32 v5, v5, v9
	s_delay_alu instid0(VALU_DEP_1) | instskip(SKIP_2) | instid1(VALU_DEP_1)
	v_log_f32_e32 v5, v5
	s_waitcnt_depctr 0xfff
	v_mul_f32_e32 v9, 0x3f317217, v5
	v_fma_f32 v20, 0x3f317217, v5, -v9
	s_delay_alu instid0(VALU_DEP_1) | instskip(NEXT) | instid1(VALU_DEP_1)
	v_fmac_f32_e32 v20, 0x3377d1cf, v5
	v_add_f32_e32 v9, v9, v20
	v_cndmask_b32_e64 v20, 0, 0x41b17218, vcc_lo
	v_cmp_gt_f32_e64 vcc_lo, 0x7f800000, |v5|
	s_delay_alu instid0(VALU_DEP_3) | instskip(NEXT) | instid1(VALU_DEP_1)
	v_cndmask_b32_e32 v5, v5, v9, vcc_lo
	v_dual_sub_f32 v5, v5, v20 :: v_dual_mov_b32 v20, 0x7fc00000
.LBB175_80:                             ;   in Loop: Header=BB175_4 Depth=1
	s_or_b32 exec_lo, exec_lo, s6
                                        ; implicit-def: $vgpr9
                                        ; implicit-def: $vgpr21
	s_delay_alu instid0(SALU_CYCLE_1)
	s_mov_b32 s6, exec_lo
	v_cmpx_o_f32_e32 v4, v3
	s_xor_b32 s27, exec_lo, s6
	s_cbranch_execz .LBB175_108
; %bb.81:                               ;   in Loop: Header=BB175_4 Depth=1
	v_cmp_lt_f32_e64 s6, |v3|, |v4|
                                        ; implicit-def: $vgpr9
                                        ; implicit-def: $vgpr21
	s_mov_b32 s7, exec_lo
	s_delay_alu instid0(VALU_DEP_1) | instskip(NEXT) | instid1(VALU_DEP_1)
	v_cndmask_b32_e64 v22, |v4|, |v3|, s6
	v_cmpx_nlt_f32_e32 0x77f684df, v22
	s_xor_b32 s28, exec_lo, s7
	s_cbranch_execz .LBB175_105
; %bb.82:                               ;   in Loop: Header=BB175_4 Depth=1
	v_and_b32_e32 v9, 0x7fffffff, v4
                                        ; implicit-def: $vgpr21
	s_mov_b32 s7, exec_lo
	s_delay_alu instid0(VALU_DEP_1) | instskip(NEXT) | instid1(VALU_DEP_1)
	v_cndmask_b32_e64 v23, |v3|, v9, s6
                                        ; implicit-def: $vgpr9
	v_cmpx_neq_f32_e32 1.0, v23
	s_xor_b32 s29, exec_lo, s7
	s_cbranch_execz .LBB175_98
; %bb.83:                               ;   in Loop: Header=BB175_4 Depth=1
	v_max_f32_e32 v9, v22, v22
	v_max_f32_e32 v21, v23, v23
	s_delay_alu instid0(VALU_DEP_1) | instskip(SKIP_1) | instid1(VALU_DEP_2)
	v_min_f32_e32 v24, v21, v9
	v_max_f32_e32 v9, v21, v9
                                        ; implicit-def: $vgpr21
	v_cmp_ngt_f32_e32 vcc_lo, 0x358637bd, v24
	s_delay_alu instid0(VALU_DEP_2) | instskip(NEXT) | instid1(VALU_DEP_1)
	v_cmp_nlt_f32_e64 s7, 0x49742400, v9
                                        ; implicit-def: $vgpr9
	s_and_b32 s7, s7, vcc_lo
	s_delay_alu instid0(SALU_CYCLE_1) | instskip(NEXT) | instid1(SALU_CYCLE_1)
	s_and_saveexec_b32 s8, s7
	s_xor_b32 s30, exec_lo, s8
	s_cbranch_execz .LBB175_95
; %bb.84:                               ;   in Loop: Header=BB175_4 Depth=1
                                        ; implicit-def: $vgpr9
                                        ; implicit-def: $vgpr21
	s_mov_b32 s7, exec_lo
	v_cmpx_le_f32_e32 1.0, v23
	s_xor_b32 s8, exec_lo, s7
	s_cbranch_execz .LBB175_86
; %bb.85:                               ;   in Loop: Header=BB175_4 Depth=1
	v_add_f32_e32 v9, -1.0, v23
	v_add_f32_e32 v21, 1.0, v23
	v_cmp_class_f32_e64 s9, v3, 0x204
	s_delay_alu instid0(VALU_DEP_2) | instskip(NEXT) | instid1(VALU_DEP_1)
	v_mul_f32_e32 v9, v9, v21
	v_fmac_f32_e32 v9, v22, v22
	s_delay_alu instid0(VALU_DEP_1) | instskip(NEXT) | instid1(VALU_DEP_1)
	v_add_f32_e32 v23, 1.0, v9
	v_cvt_f64_f32_e32 v[21:22], v23
	s_delay_alu instid0(VALU_DEP_1) | instskip(SKIP_1) | instid1(VALU_DEP_1)
	v_frexp_exp_i32_f64_e32 v21, v[21:22]
	v_frexp_mant_f32_e32 v22, v23
	v_cmp_gt_f32_e32 vcc_lo, 0x3f2aaaab, v22
	v_add_f32_e32 v22, -1.0, v23
	s_delay_alu instid0(VALU_DEP_1) | instskip(SKIP_1) | instid1(VALU_DEP_1)
	v_sub_f32_e32 v25, v22, v23
	v_subrev_co_ci_u32_e32 v21, vcc_lo, 0, v21, vcc_lo
	v_sub_nc_u32_e32 v24, 0, v21
	v_cvt_f32_i32_e32 v21, v21
	s_delay_alu instid0(VALU_DEP_2) | instskip(NEXT) | instid1(VALU_DEP_1)
	v_ldexp_f32 v23, v23, v24
	v_dual_add_f32 v25, 1.0, v25 :: v_dual_add_f32 v26, 1.0, v23
	v_sub_f32_e32 v22, v9, v22
	v_cmp_eq_f32_e32 vcc_lo, 0x7f800000, v9
	v_cmp_neq_f32_e64 s7, -1.0, v9
	s_delay_alu instid0(VALU_DEP_3) | instskip(NEXT) | instid1(VALU_DEP_1)
	v_add_f32_e32 v22, v22, v25
	v_ldexp_f32 v22, v22, v24
	v_dual_add_f32 v24, -1.0, v23 :: v_dual_add_f32 v25, -1.0, v26
	s_delay_alu instid0(VALU_DEP_1) | instskip(NEXT) | instid1(VALU_DEP_2)
	v_add_f32_e32 v27, 1.0, v24
	v_sub_f32_e32 v25, v23, v25
	s_delay_alu instid0(VALU_DEP_2) | instskip(NEXT) | instid1(VALU_DEP_2)
	v_sub_f32_e32 v23, v23, v27
	v_add_f32_e32 v25, v22, v25
	s_delay_alu instid0(VALU_DEP_2) | instskip(NEXT) | instid1(VALU_DEP_1)
	v_add_f32_e32 v22, v22, v23
	v_add_f32_e32 v28, v24, v22
	s_delay_alu instid0(VALU_DEP_1) | instskip(NEXT) | instid1(VALU_DEP_1)
	v_dual_sub_f32 v24, v28, v24 :: v_dual_add_f32 v27, v26, v25
	v_sub_f32_e32 v22, v22, v24
	s_delay_alu instid0(VALU_DEP_2) | instskip(SKIP_1) | instid1(VALU_DEP_1)
	v_rcp_f32_e32 v23, v27
	v_sub_f32_e32 v26, v27, v26
	v_sub_f32_e32 v25, v25, v26
	s_waitcnt_depctr 0xfff
	v_mul_f32_e32 v29, v28, v23
	s_delay_alu instid0(VALU_DEP_1) | instskip(NEXT) | instid1(VALU_DEP_1)
	v_mul_f32_e32 v30, v27, v29
	v_fma_f32 v26, v29, v27, -v30
	s_delay_alu instid0(VALU_DEP_1) | instskip(NEXT) | instid1(VALU_DEP_1)
	v_fmac_f32_e32 v26, v29, v25
	v_add_f32_e32 v31, v30, v26
	s_delay_alu instid0(VALU_DEP_1) | instskip(SKIP_1) | instid1(VALU_DEP_2)
	v_sub_f32_e32 v32, v28, v31
	v_sub_f32_e32 v24, v31, v30
	;; [unrolled: 1-line block ×3, first 2 shown]
	s_delay_alu instid0(VALU_DEP_2) | instskip(NEXT) | instid1(VALU_DEP_2)
	v_sub_f32_e32 v24, v24, v26
	v_sub_f32_e32 v28, v28, v31
	s_delay_alu instid0(VALU_DEP_1) | instskip(NEXT) | instid1(VALU_DEP_1)
	v_add_f32_e32 v22, v22, v28
	v_add_f32_e32 v22, v24, v22
	s_delay_alu instid0(VALU_DEP_1) | instskip(NEXT) | instid1(VALU_DEP_1)
	v_add_f32_e32 v24, v32, v22
	v_mul_f32_e32 v26, v23, v24
	s_delay_alu instid0(VALU_DEP_1) | instskip(NEXT) | instid1(VALU_DEP_1)
	v_dual_sub_f32 v31, v32, v24 :: v_dual_mul_f32 v28, v27, v26
	v_add_f32_e32 v22, v22, v31
	s_delay_alu instid0(VALU_DEP_2) | instskip(NEXT) | instid1(VALU_DEP_1)
	v_fma_f32 v27, v26, v27, -v28
	v_fmac_f32_e32 v27, v26, v25
	s_delay_alu instid0(VALU_DEP_1) | instskip(NEXT) | instid1(VALU_DEP_1)
	v_add_f32_e32 v25, v28, v27
	v_sub_f32_e32 v30, v24, v25
	s_delay_alu instid0(VALU_DEP_1) | instskip(NEXT) | instid1(VALU_DEP_1)
	v_sub_f32_e32 v24, v24, v30
	v_sub_f32_e32 v24, v24, v25
	s_delay_alu instid0(VALU_DEP_1) | instskip(SKIP_2) | instid1(VALU_DEP_1)
	v_add_f32_e32 v22, v22, v24
	v_add_f32_e32 v24, v29, v26
	v_sub_f32_e32 v28, v25, v28
	v_sub_f32_e32 v25, v28, v27
	v_max_f32_e64 v27, |v4|, |v4|
	s_delay_alu instid0(VALU_DEP_2) | instskip(NEXT) | instid1(VALU_DEP_1)
	v_dual_add_f32 v22, v25, v22 :: v_dual_sub_f32 v25, v24, v29
	v_add_f32_e32 v22, v30, v22
	s_delay_alu instid0(VALU_DEP_2) | instskip(SKIP_1) | instid1(VALU_DEP_3)
	v_sub_f32_e32 v25, v26, v25
	v_mul_f32_e32 v30, 0x3f317218, v21
	v_mul_f32_e32 v22, v23, v22
	s_delay_alu instid0(VALU_DEP_2) | instskip(NEXT) | instid1(VALU_DEP_1)
	v_fma_f32 v31, 0x3f317218, v21, -v30
	v_dual_add_f32 v22, v25, v22 :: v_dual_fmac_f32 v31, 0xb102e308, v21
	s_delay_alu instid0(VALU_DEP_1) | instskip(NEXT) | instid1(VALU_DEP_1)
	v_add_f32_e32 v23, v24, v22
	v_mul_f32_e32 v25, v23, v23
	v_ldexp_f32 v29, v23, 1
	s_delay_alu instid0(VALU_DEP_2) | instskip(SKIP_2) | instid1(VALU_DEP_3)
	v_fmaak_f32 v26, s21, v25, 0x3ecc95a3
	v_mul_f32_e32 v28, v23, v25
	v_sub_f32_e32 v23, v23, v24
	v_fmaak_f32 v25, v25, v26, 0x3f2aaada
	v_max_f32_e64 v26, |v3|, |v3|
	s_delay_alu instid0(VALU_DEP_2) | instskip(NEXT) | instid1(VALU_DEP_2)
	v_dual_sub_f32 v22, v22, v23 :: v_dual_mul_f32 v25, v28, v25
	v_max_f32_e32 v28, v26, v27
	s_delay_alu instid0(VALU_DEP_2) | instskip(NEXT) | instid1(VALU_DEP_3)
	v_ldexp_f32 v22, v22, 1
	v_add_f32_e32 v24, v29, v25
	s_delay_alu instid0(VALU_DEP_1) | instskip(NEXT) | instid1(VALU_DEP_1)
	v_sub_f32_e32 v23, v24, v29
	v_sub_f32_e32 v23, v25, v23
	s_delay_alu instid0(VALU_DEP_1) | instskip(SKIP_4) | instid1(VALU_DEP_4)
	v_add_f32_e32 v21, v22, v23
	v_min_f32_e32 v26, v26, v27
	v_frexp_mant_f32_e32 v27, v28
	v_add_f32_e32 v23, v30, v31
	v_frexp_exp_i32_f32_e32 v28, v28
	v_frexp_mant_f32_e32 v25, v26
	s_delay_alu instid0(VALU_DEP_4) | instskip(NEXT) | instid1(VALU_DEP_3)
	v_rcp_f32_e32 v27, v27
	v_sub_f32_e32 v30, v23, v30
	s_delay_alu instid0(VALU_DEP_1) | instskip(SKIP_2) | instid1(VALU_DEP_1)
	v_sub_f32_e32 v30, v31, v30
	s_waitcnt_depctr 0xfff
	v_dual_mul_f32 v22, v25, v27 :: v_dual_add_f32 v25, v24, v21
	v_sub_f32_e32 v24, v25, v24
	s_delay_alu instid0(VALU_DEP_1) | instskip(SKIP_1) | instid1(VALU_DEP_1)
	v_sub_f32_e32 v21, v21, v24
	v_frexp_exp_i32_f32_e32 v29, v26
	v_sub_nc_u32_e32 v26, v29, v28
	s_delay_alu instid0(VALU_DEP_1) | instskip(NEXT) | instid1(VALU_DEP_1)
	v_ldexp_f32 v22, v22, v26
	v_dual_add_f32 v26, v23, v25 :: v_dual_mul_f32 v27, v22, v22
	s_delay_alu instid0(VALU_DEP_1) | instskip(NEXT) | instid1(VALU_DEP_1)
	v_sub_f32_e32 v28, v26, v23
	v_dual_fmaak_f32 v29, s26, v27, 0xbc7a590c :: v_dual_sub_f32 v32, v26, v28
	v_sub_f32_e32 v24, v25, v28
	v_add_f32_e32 v28, v30, v21
	s_delay_alu instid0(VALU_DEP_3) | instskip(NEXT) | instid1(VALU_DEP_4)
	v_fmaak_f32 v29, v27, v29, 0x3d29fb3f
	v_sub_f32_e32 v23, v23, v32
	s_delay_alu instid0(VALU_DEP_2) | instskip(NEXT) | instid1(VALU_DEP_1)
	v_fmaak_f32 v25, v27, v29, 0xbd97d4d7
	v_dual_add_f32 v23, v24, v23 :: v_dual_fmaak_f32 v24, v27, v25, 0x3dd931b2
	v_sub_f32_e32 v25, v28, v30
	s_delay_alu instid0(VALU_DEP_2) | instskip(NEXT) | instid1(VALU_DEP_1)
	v_add_f32_e32 v23, v28, v23
	v_dual_sub_f32 v28, v28, v25 :: v_dual_add_f32 v29, v26, v23
	v_sub_f32_e32 v21, v21, v25
	s_delay_alu instid0(VALU_DEP_2) | instskip(NEXT) | instid1(VALU_DEP_1)
	v_dual_sub_f32 v25, v30, v28 :: v_dual_sub_f32 v26, v29, v26
	v_add_f32_e32 v21, v21, v25
	s_delay_alu instid0(VALU_DEP_2) | instskip(NEXT) | instid1(VALU_DEP_1)
	v_sub_f32_e32 v23, v23, v26
	v_dual_add_f32 v21, v21, v23 :: v_dual_fmaak_f32 v24, v27, v24, 0xbe1160e6
	s_delay_alu instid0(VALU_DEP_1) | instskip(NEXT) | instid1(VALU_DEP_1)
	v_dual_add_f32 v21, v29, v21 :: v_dual_fmaak_f32 v24, v27, v24, 0x3e4cb8bf
	v_dual_cndmask_b32 v21, v21, v9 :: v_dual_fmaak_f32 v24, v27, v24, 0xbeaaaa62
	v_cmp_gt_i32_e32 vcc_lo, 0, v3
	s_delay_alu instid0(VALU_DEP_2) | instskip(NEXT) | instid1(VALU_DEP_1)
	v_mul_f32_e32 v24, v27, v24
	v_fmac_f32_e32 v22, v22, v24
	s_delay_alu instid0(VALU_DEP_1) | instskip(NEXT) | instid1(VALU_DEP_1)
	v_sub_f32_e32 v23, 0x3fc90fdb, v22
	v_cndmask_b32_e64 v22, v22, v23, s6
	v_cndmask_b32_e64 v23, 0, 0x40490fdb, vcc_lo
	v_cmp_ngt_f32_e32 vcc_lo, -1.0, v9
	s_delay_alu instid0(VALU_DEP_3) | instskip(SKIP_2) | instid1(VALU_DEP_2)
	v_sub_f32_e32 v24, 0x40490fdb, v22
	v_cndmask_b32_e32 v21, 0x7fc00000, v21, vcc_lo
	v_cmp_gt_f32_e32 vcc_lo, 0, v3
	v_cndmask_b32_e64 v3, 0xff800000, v21, s7
	s_delay_alu instid0(VALU_DEP_4)
	v_cndmask_b32_e32 v21, v22, v24, vcc_lo
	v_cndmask_b32_e32 v22, 0x3f490fdb, v19, vcc_lo
	v_cmp_gt_f32_e64 vcc_lo, 0x33800000, |v9|
	v_cmp_class_f32_e64 s7, v4, 0x204
	v_cndmask_b32_e32 v3, v3, v9, vcc_lo
	v_cmp_eq_f32_e32 vcc_lo, 0, v4
	s_delay_alu instid0(VALU_DEP_2) | instskip(SKIP_2) | instid1(VALU_DEP_1)
	v_mul_f32_e32 v9, 0.5, v3
	v_cndmask_b32_e32 v21, v21, v23, vcc_lo
	s_and_b32 vcc_lo, s7, s9
                                        ; implicit-def: $vgpr23
	v_cndmask_b32_e32 v21, v21, v22, vcc_lo
                                        ; implicit-def: $vgpr22
.LBB175_86:                             ;   in Loop: Header=BB175_4 Depth=1
	s_and_not1_saveexec_b32 s31, s8
	s_cbranch_execz .LBB175_94
; %bb.87:                               ;   in Loop: Header=BB175_4 Depth=1
	v_mul_f32_e32 v24, v22, v22
                                        ; implicit-def: $vgpr9
                                        ; implicit-def: $vgpr21
	s_mov_b32 s7, exec_lo
	s_delay_alu instid0(VALU_DEP_1) | instskip(NEXT) | instid1(VALU_DEP_1)
	v_fmac_f32_e32 v24, v23, v23
	v_cmpx_ge_f32_e32 0x3f333333, v24
	s_xor_b32 s8, exec_lo, s7
	s_cbranch_execz .LBB175_89
; %bb.88:                               ;   in Loop: Header=BB175_4 Depth=1
	v_max_f32_e64 v9, |v4|, |v4|
	v_max_f32_e64 v21, |v3|, |v3|
	v_cmp_gt_f32_e32 vcc_lo, 0x800000, v24
	v_cmp_gt_i32_e64 s7, 0, v3
	v_cmp_class_f32_e64 s9, v3, 0x204
	v_cmp_class_f32_e64 s10, v4, 0x204
	v_max_f32_e32 v22, v21, v9
	v_min_f32_e32 v9, v21, v9
	v_cndmask_b32_e64 v25, 0, 0x41b17218, vcc_lo
	s_delay_alu instid0(VALU_DEP_3) | instskip(SKIP_1) | instid1(VALU_DEP_2)
	v_frexp_mant_f32_e32 v23, v22
	v_frexp_exp_i32_f32_e32 v22, v22
	v_rcp_f32_e32 v21, v23
	v_frexp_exp_i32_f32_e32 v23, v9
	v_frexp_mant_f32_e32 v9, v9
	s_delay_alu instid0(VALU_DEP_2) | instskip(SKIP_4) | instid1(VALU_DEP_2)
	v_sub_nc_u32_e32 v22, v23, v22
	v_cndmask_b32_e64 v23, 1.0, 0x4f800000, vcc_lo
	s_waitcnt_depctr 0xfff
	v_mul_f32_e32 v9, v9, v21
	v_mul_f32_e32 v23, v24, v23
	v_ldexp_f32 v9, v9, v22
	s_delay_alu instid0(VALU_DEP_2) | instskip(NEXT) | instid1(VALU_DEP_1)
	v_log_f32_e32 v23, v23
	v_mul_f32_e32 v21, v9, v9
	s_delay_alu instid0(VALU_DEP_1) | instskip(SKIP_3) | instid1(VALU_DEP_1)
	v_fmaak_f32 v22, s26, v21, 0xbc7a590c
	s_waitcnt_depctr 0xfff
	v_cmp_gt_f32_e64 vcc_lo, 0x7f800000, |v23|
	v_fmaak_f32 v22, v21, v22, 0x3d29fb3f
	v_fmaak_f32 v22, v21, v22, 0xbd97d4d7
	s_delay_alu instid0(VALU_DEP_1) | instskip(NEXT) | instid1(VALU_DEP_1)
	v_fmaak_f32 v22, v21, v22, 0x3dd931b2
	v_fmaak_f32 v22, v21, v22, 0xbe1160e6
	s_delay_alu instid0(VALU_DEP_1) | instskip(NEXT) | instid1(VALU_DEP_1)
	;; [unrolled: 3-line block ×3, first 2 shown]
	v_dual_mul_f32 v21, v21, v22 :: v_dual_mul_f32 v22, 0x3f317217, v23
	v_fmac_f32_e32 v9, v9, v21
	s_delay_alu instid0(VALU_DEP_2) | instskip(NEXT) | instid1(VALU_DEP_2)
	v_fma_f32 v21, 0x3f317217, v23, -v22
	v_sub_f32_e32 v24, 0x3fc90fdb, v9
	s_delay_alu instid0(VALU_DEP_2) | instskip(NEXT) | instid1(VALU_DEP_2)
	v_fmac_f32_e32 v21, 0x3377d1cf, v23
	v_cndmask_b32_e64 v9, v9, v24, s6
	s_delay_alu instid0(VALU_DEP_2) | instskip(SKIP_2) | instid1(VALU_DEP_4)
	v_add_f32_e32 v21, v22, v21
	v_cndmask_b32_e64 v22, 0, 0x40490fdb, s7
	v_cmp_eq_f32_e64 s7, 0, v4
	v_sub_f32_e32 v24, 0x40490fdb, v9
	s_delay_alu instid0(VALU_DEP_4) | instskip(SKIP_1) | instid1(VALU_DEP_2)
	v_cndmask_b32_e32 v21, v23, v21, vcc_lo
	v_cmp_gt_f32_e32 vcc_lo, 0, v3
                                        ; implicit-def: $vgpr23
	v_sub_f32_e32 v3, v21, v25
	s_delay_alu instid0(VALU_DEP_4) | instskip(NEXT) | instid1(VALU_DEP_1)
	v_cndmask_b32_e32 v9, v9, v24, vcc_lo
	v_cndmask_b32_e64 v21, v9, v22, s7
	v_cndmask_b32_e32 v22, 0x3f490fdb, v19, vcc_lo
	s_and_b32 vcc_lo, s10, s9
	v_mul_f32_e32 v9, 0.5, v3
	s_delay_alu instid0(VALU_DEP_2)
	v_cndmask_b32_e32 v21, v21, v22, vcc_lo
                                        ; implicit-def: $vgpr22
.LBB175_89:                             ;   in Loop: Header=BB175_4 Depth=1
	s_and_not1_saveexec_b32 s33, s8
	s_cbranch_execz .LBB175_93
; %bb.90:                               ;   in Loop: Header=BB175_4 Depth=1
	v_and_b32_e32 v24, 0x7fff0000, v22
	v_and_b32_e32 v21, 0x7fff0000, v23
	s_mov_b32 s34, 0
	s_delay_alu instid0(VALU_DEP_2) | instskip(NEXT) | instid1(VALU_DEP_2)
	v_sub_f32_e32 v25, v22, v24
	v_dual_mul_f32 v22, v24, v24 :: v_dual_sub_f32 v23, v23, v21
	v_dual_add_f32 v28, v21, v21 :: v_dual_add_f32 v31, v24, v24
	s_delay_alu instid0(VALU_DEP_2) | instskip(NEXT) | instid1(VALU_DEP_4)
	v_and_b32_e32 v26, 0xffff0000, v23
	v_and_b32_e32 v27, 0xffff0000, v25
	s_delay_alu instid0(VALU_DEP_2) | instskip(NEXT) | instid1(VALU_DEP_4)
	v_dual_mul_f32 v9, v21, v21 :: v_dual_sub_f32 v24, v23, v26
	v_mul_f32_e32 v30, v28, v26
	s_delay_alu instid0(VALU_DEP_3)
	v_dual_sub_f32 v32, v25, v27 :: v_dual_mul_f32 v23, v26, v26
	v_add_f32_e32 v25, v26, v26
	v_add_f32_e32 v33, v27, v27
	v_dual_mul_f32 v21, v31, v27 :: v_dual_mul_f32 v26, v28, v24
	v_mul_f32_e32 v29, v27, v27
	v_mul_f32_e32 v28, v31, v32
	;; [unrolled: 1-line block ×6, first 2 shown]
.LBB175_91:                             ;   Parent Loop BB175_4 Depth=1
                                        ; =>  This Inner Loop Header: Depth=2
	v_cmp_nlt_f32_e32 vcc_lo, v9, v22
	s_delay_alu instid0(VALU_DEP_2) | instskip(SKIP_1) | instid1(VALU_DEP_2)
	v_dual_mov_b32 v33, v31 :: v_dual_cndmask_b32 v32, v9, v22
	v_cndmask_b32_e32 v9, v22, v9, vcc_lo
	v_cmp_nlt_f32_e64 s7, v32, v30
	s_delay_alu instid0(VALU_DEP_1) | instskip(SKIP_2) | instid1(VALU_DEP_2)
	v_cndmask_b32_e64 v31, v32, v30, s7
	v_cndmask_b32_e64 v22, v30, v32, s7
	s_and_b32 s35, vcc_lo, s7
	v_cmp_nlt_f32_e64 s8, v31, v21
	s_delay_alu instid0(VALU_DEP_1) | instskip(SKIP_1) | instid1(VALU_DEP_2)
	v_cndmask_b32_e64 v34, v31, v21, s8
	v_cndmask_b32_e64 v30, v21, v31, s8
	v_cmp_nlt_f32_e64 s9, v34, v23
	s_delay_alu instid0(VALU_DEP_1) | instskip(SKIP_2) | instid1(VALU_DEP_2)
	v_cndmask_b32_e64 v32, v34, v23, s9
	v_cndmask_b32_e64 v21, v23, v34, s9
	s_and_b32 s36, s8, s9
	v_cmp_nlt_f32_e64 s10, v32, v29
	s_delay_alu instid0(VALU_DEP_1) | instskip(SKIP_1) | instid1(VALU_DEP_2)
	v_cndmask_b32_e64 v35, v32, v29, s10
	v_cndmask_b32_e64 v23, v29, v32, s10
	v_cmp_nlt_f32_e64 s11, v35, v26
	s_delay_alu instid0(VALU_DEP_1) | instskip(SKIP_2) | instid1(VALU_DEP_2)
	v_cndmask_b32_e64 v36, v35, v26, s11
	s_and_b32 s9, s10, s11
	v_cndmask_b32_e64 v29, v26, v35, s11
	v_cmp_nlt_f32_e64 s12, v36, v28
	s_delay_alu instid0(VALU_DEP_1) | instskip(SKIP_2) | instid1(VALU_DEP_2)
	v_cndmask_b32_e64 v37, v36, v28, s12
	s_and_b32 s9, s9, s12
	v_cndmask_b32_e64 v26, v28, v36, s12
	v_cmp_nlt_f32_e32 vcc_lo, v37, v27
	v_cndmask_b32_e32 v38, v37, v27, vcc_lo
	s_and_b32 s10, s9, vcc_lo
	v_cndmask_b32_e32 v28, v27, v37, vcc_lo
	s_delay_alu instid0(VALU_DEP_2) | instskip(NEXT) | instid1(VALU_DEP_1)
	v_cmp_nlt_f32_e64 s7, v38, v25
	v_cndmask_b32_e64 v34, v38, v25, s7
	s_and_b32 s10, s10, s7
	v_cndmask_b32_e64 v27, v25, v38, s7
	s_delay_alu instid0(VALU_DEP_2) | instskip(NEXT) | instid1(VALU_DEP_1)
	v_cmp_nlt_f32_e64 s8, v34, v24
	v_cndmask_b32_e64 v32, v34, v24, s8
	s_and_b32 s10, s10, s8
	v_cndmask_b32_e64 v25, v24, v34, s8
	s_delay_alu instid0(VALU_DEP_2) | instskip(NEXT) | instid1(VALU_DEP_1)
	v_cmp_nlt_f32_e64 s9, v32, v33
	s_and_b32 s10, s10, s9
	v_cndmask_b32_e64 v31, v32, v33, s9
	s_and_b32 s7, s10, s36
	v_cndmask_b32_e64 v24, v33, v32, s9
	s_and_b32 s7, s7, s35
	s_delay_alu instid0(SALU_CYCLE_1) | instskip(NEXT) | instid1(SALU_CYCLE_1)
	s_and_b32 s7, exec_lo, s7
	s_or_b32 s34, s7, s34
	s_delay_alu instid0(SALU_CYCLE_1)
	s_and_not1_b32 exec_lo, exec_lo, s34
	s_cbranch_execnz .LBB175_91
; %bb.92:                               ;   in Loop: Header=BB175_4 Depth=1
	s_or_b32 exec_lo, exec_lo, s34
	v_add_f32_e32 v9, -1.0, v9
	v_cmp_class_f32_e64 s8, v3, 0x204
	s_delay_alu instid0(VALU_DEP_2) | instskip(NEXT) | instid1(VALU_DEP_1)
	v_add_f32_e32 v9, v9, v22
	v_add_f32_e32 v9, v9, v30
	s_delay_alu instid0(VALU_DEP_1) | instskip(NEXT) | instid1(VALU_DEP_1)
	v_add_f32_e32 v9, v9, v21
	v_add_f32_e32 v9, v9, v23
	s_delay_alu instid0(VALU_DEP_1) | instskip(NEXT) | instid1(VALU_DEP_1)
	;; [unrolled: 3-line block ×5, first 2 shown]
	v_add_f32_e32 v9, v31, v9
	v_add_f32_e32 v23, 1.0, v9
	s_delay_alu instid0(VALU_DEP_1) | instskip(NEXT) | instid1(VALU_DEP_1)
	v_cvt_f64_f32_e32 v[21:22], v23
	v_frexp_exp_i32_f64_e32 v21, v[21:22]
	v_frexp_mant_f32_e32 v22, v23
	s_delay_alu instid0(VALU_DEP_1) | instskip(SKIP_1) | instid1(VALU_DEP_1)
	v_cmp_gt_f32_e32 vcc_lo, 0x3f2aaaab, v22
	v_add_f32_e32 v22, -1.0, v23
	v_dual_sub_f32 v25, v22, v23 :: v_dual_sub_f32 v22, v9, v22
	s_delay_alu instid0(VALU_DEP_1) | instskip(NEXT) | instid1(VALU_DEP_1)
	v_add_f32_e32 v25, 1.0, v25
	v_add_f32_e32 v22, v22, v25
	v_subrev_co_ci_u32_e32 v21, vcc_lo, 0, v21, vcc_lo
	s_delay_alu instid0(VALU_DEP_1) | instskip(SKIP_1) | instid1(VALU_DEP_2)
	v_sub_nc_u32_e32 v24, 0, v21
	v_cvt_f32_i32_e32 v21, v21
	v_ldexp_f32 v23, v23, v24
	v_ldexp_f32 v22, v22, v24
	s_delay_alu instid0(VALU_DEP_2) | instskip(NEXT) | instid1(VALU_DEP_1)
	v_add_f32_e32 v26, 1.0, v23
	v_dual_add_f32 v24, -1.0, v23 :: v_dual_add_f32 v25, -1.0, v26
	s_delay_alu instid0(VALU_DEP_1) | instskip(NEXT) | instid1(VALU_DEP_2)
	v_add_f32_e32 v27, 1.0, v24
	v_sub_f32_e32 v25, v23, v25
	s_delay_alu instid0(VALU_DEP_2) | instskip(NEXT) | instid1(VALU_DEP_2)
	v_sub_f32_e32 v23, v23, v27
	v_add_f32_e32 v25, v22, v25
	s_delay_alu instid0(VALU_DEP_2) | instskip(NEXT) | instid1(VALU_DEP_1)
	v_add_f32_e32 v22, v22, v23
	v_dual_add_f32 v27, v26, v25 :: v_dual_add_f32 v28, v24, v22
	s_delay_alu instid0(VALU_DEP_1) | instskip(SKIP_1) | instid1(VALU_DEP_1)
	v_rcp_f32_e32 v23, v27
	v_sub_f32_e32 v26, v27, v26
	v_dual_sub_f32 v24, v28, v24 :: v_dual_sub_f32 v25, v25, v26
	s_waitcnt_depctr 0xfff
	v_dual_sub_f32 v22, v22, v24 :: v_dual_mul_f32 v29, v28, v23
	s_delay_alu instid0(VALU_DEP_1) | instskip(NEXT) | instid1(VALU_DEP_1)
	v_mul_f32_e32 v30, v27, v29
	v_fma_f32 v26, v29, v27, -v30
	s_delay_alu instid0(VALU_DEP_1) | instskip(NEXT) | instid1(VALU_DEP_1)
	v_fmac_f32_e32 v26, v29, v25
	v_add_f32_e32 v31, v30, v26
	s_delay_alu instid0(VALU_DEP_1) | instskip(SKIP_1) | instid1(VALU_DEP_2)
	v_sub_f32_e32 v32, v28, v31
	v_sub_f32_e32 v24, v31, v30
	;; [unrolled: 1-line block ×3, first 2 shown]
	s_delay_alu instid0(VALU_DEP_2) | instskip(SKIP_2) | instid1(VALU_DEP_4)
	v_sub_f32_e32 v24, v24, v26
	v_cmp_eq_f32_e32 vcc_lo, 0x7f800000, v9
	v_cmp_neq_f32_e64 s7, -1.0, v9
	v_sub_f32_e32 v28, v28, v31
	s_delay_alu instid0(VALU_DEP_1) | instskip(NEXT) | instid1(VALU_DEP_1)
	v_add_f32_e32 v22, v22, v28
	v_add_f32_e32 v22, v24, v22
	s_delay_alu instid0(VALU_DEP_1) | instskip(NEXT) | instid1(VALU_DEP_1)
	v_add_f32_e32 v24, v32, v22
	v_mul_f32_e32 v26, v23, v24
	s_delay_alu instid0(VALU_DEP_1) | instskip(NEXT) | instid1(VALU_DEP_1)
	v_dual_mul_f32 v28, v27, v26 :: v_dual_sub_f32 v31, v32, v24
	v_fma_f32 v27, v26, v27, -v28
	s_delay_alu instid0(VALU_DEP_2) | instskip(NEXT) | instid1(VALU_DEP_2)
	v_add_f32_e32 v22, v22, v31
	v_fmac_f32_e32 v27, v26, v25
	s_delay_alu instid0(VALU_DEP_1) | instskip(NEXT) | instid1(VALU_DEP_1)
	v_add_f32_e32 v25, v28, v27
	v_sub_f32_e32 v30, v24, v25
	s_delay_alu instid0(VALU_DEP_1) | instskip(NEXT) | instid1(VALU_DEP_1)
	v_sub_f32_e32 v24, v24, v30
	v_sub_f32_e32 v24, v24, v25
	s_delay_alu instid0(VALU_DEP_1) | instskip(SKIP_2) | instid1(VALU_DEP_1)
	v_add_f32_e32 v22, v22, v24
	v_add_f32_e32 v24, v29, v26
	v_sub_f32_e32 v28, v25, v28
	v_sub_f32_e32 v25, v28, v27
	v_max_f32_e64 v27, |v4|, |v4|
	s_delay_alu instid0(VALU_DEP_2) | instskip(NEXT) | instid1(VALU_DEP_1)
	v_dual_add_f32 v22, v25, v22 :: v_dual_sub_f32 v25, v24, v29
	v_sub_f32_e32 v25, v26, v25
	s_delay_alu instid0(VALU_DEP_2) | instskip(NEXT) | instid1(VALU_DEP_1)
	v_add_f32_e32 v22, v30, v22
	v_mul_f32_e32 v22, v23, v22
	s_delay_alu instid0(VALU_DEP_1) | instskip(NEXT) | instid1(VALU_DEP_1)
	v_add_f32_e32 v22, v25, v22
	v_add_f32_e32 v23, v24, v22
	s_delay_alu instid0(VALU_DEP_1) | instskip(NEXT) | instid1(VALU_DEP_1)
	v_mul_f32_e32 v25, v23, v23
	v_fmaak_f32 v26, s21, v25, 0x3ecc95a3
	v_mul_f32_e32 v28, v23, v25
	v_ldexp_f32 v29, v23, 1
	v_sub_f32_e32 v23, v23, v24
	s_delay_alu instid0(VALU_DEP_4) | instskip(SKIP_1) | instid1(VALU_DEP_2)
	v_fmaak_f32 v25, v25, v26, 0x3f2aaada
	v_max_f32_e64 v26, |v3|, |v3|
	v_dual_sub_f32 v22, v22, v23 :: v_dual_mul_f32 v25, v28, v25
	s_delay_alu instid0(VALU_DEP_1) | instskip(NEXT) | instid1(VALU_DEP_2)
	v_ldexp_f32 v22, v22, 1
	v_add_f32_e32 v24, v29, v25
	s_delay_alu instid0(VALU_DEP_1) | instskip(NEXT) | instid1(VALU_DEP_1)
	v_dual_max_f32 v28, v26, v27 :: v_dual_sub_f32 v23, v24, v29
	v_dual_mul_f32 v30, 0x3f317218, v21 :: v_dual_sub_f32 v23, v25, v23
	s_delay_alu instid0(VALU_DEP_1) | instskip(SKIP_1) | instid1(VALU_DEP_4)
	v_fma_f32 v31, 0x3f317218, v21, -v30
	v_min_f32_e32 v26, v26, v27
	v_frexp_mant_f32_e32 v27, v28
	v_frexp_exp_i32_f32_e32 v28, v28
	s_delay_alu instid0(VALU_DEP_4) | instskip(NEXT) | instid1(VALU_DEP_4)
	v_fmac_f32_e32 v31, 0xb102e308, v21
	v_frexp_exp_i32_f32_e32 v29, v26
	s_delay_alu instid0(VALU_DEP_4) | instskip(SKIP_2) | instid1(VALU_DEP_3)
	v_rcp_f32_e32 v27, v27
	v_frexp_mant_f32_e32 v25, v26
	v_add_f32_e32 v21, v22, v23
	v_sub_nc_u32_e32 v26, v29, v28
	s_waitcnt_depctr 0xfff
	v_dual_mul_f32 v22, v25, v27 :: v_dual_add_f32 v25, v24, v21
	v_add_f32_e32 v23, v30, v31
	s_delay_alu instid0(VALU_DEP_2) | instskip(NEXT) | instid1(VALU_DEP_3)
	v_ldexp_f32 v22, v22, v26
	v_sub_f32_e32 v24, v25, v24
	s_delay_alu instid0(VALU_DEP_3) | instskip(SKIP_1) | instid1(VALU_DEP_4)
	v_add_f32_e32 v26, v23, v25
	v_sub_f32_e32 v30, v23, v30
	v_mul_f32_e32 v27, v22, v22
	s_delay_alu instid0(VALU_DEP_3) | instskip(NEXT) | instid1(VALU_DEP_1)
	v_dual_sub_f32 v21, v21, v24 :: v_dual_sub_f32 v28, v26, v23
	v_dual_fmaak_f32 v29, s26, v27, 0xbc7a590c :: v_dual_sub_f32 v24, v25, v28
	s_delay_alu instid0(VALU_DEP_1) | instskip(NEXT) | instid1(VALU_DEP_1)
	v_dual_fmaak_f32 v29, v27, v29, 0x3d29fb3f :: v_dual_sub_f32 v32, v26, v28
	v_fmaak_f32 v25, v27, v29, 0xbd97d4d7
	s_delay_alu instid0(VALU_DEP_2) | instskip(NEXT) | instid1(VALU_DEP_1)
	v_sub_f32_e32 v23, v23, v32
	v_dual_sub_f32 v30, v31, v30 :: v_dual_add_f32 v23, v24, v23
	s_delay_alu instid0(VALU_DEP_1) | instskip(NEXT) | instid1(VALU_DEP_1)
	v_add_f32_e32 v28, v30, v21
	v_dual_fmaak_f32 v24, v27, v25, 0x3dd931b2 :: v_dual_add_f32 v23, v28, v23
	s_delay_alu instid0(VALU_DEP_1) | instskip(NEXT) | instid1(VALU_DEP_2)
	v_dual_sub_f32 v25, v28, v30 :: v_dual_fmaak_f32 v24, v27, v24, 0xbe1160e6
	v_add_f32_e32 v29, v26, v23
	s_delay_alu instid0(VALU_DEP_2) | instskip(NEXT) | instid1(VALU_DEP_2)
	v_dual_sub_f32 v21, v21, v25 :: v_dual_fmaak_f32 v24, v27, v24, 0x3e4cb8bf
	v_sub_f32_e32 v26, v29, v26
	s_delay_alu instid0(VALU_DEP_1) | instskip(NEXT) | instid1(VALU_DEP_1)
	v_dual_sub_f32 v28, v28, v25 :: v_dual_sub_f32 v23, v23, v26
	v_sub_f32_e32 v25, v30, v28
	s_delay_alu instid0(VALU_DEP_1) | instskip(NEXT) | instid1(VALU_DEP_1)
	v_dual_fmaak_f32 v24, v27, v24, 0xbeaaaa62 :: v_dual_add_f32 v21, v21, v25
	v_dual_mul_f32 v24, v27, v24 :: v_dual_add_f32 v21, v21, v23
	s_delay_alu instid0(VALU_DEP_1) | instskip(NEXT) | instid1(VALU_DEP_1)
	v_dual_fmac_f32 v22, v22, v24 :: v_dual_add_f32 v21, v29, v21
	v_sub_f32_e32 v23, 0x3fc90fdb, v22
	s_delay_alu instid0(VALU_DEP_2) | instskip(SKIP_1) | instid1(VALU_DEP_3)
	v_cndmask_b32_e32 v21, v21, v9, vcc_lo
	v_cmp_gt_i32_e32 vcc_lo, 0, v3
	v_cndmask_b32_e64 v22, v22, v23, s6
	v_cndmask_b32_e64 v23, 0, 0x40490fdb, vcc_lo
	v_cmp_ngt_f32_e32 vcc_lo, -1.0, v9
	s_delay_alu instid0(VALU_DEP_3) | instskip(SKIP_2) | instid1(VALU_DEP_2)
	v_sub_f32_e32 v24, 0x40490fdb, v22
	v_cndmask_b32_e32 v21, 0x7fc00000, v21, vcc_lo
	v_cmp_gt_f32_e32 vcc_lo, 0, v3
	v_cndmask_b32_e64 v3, 0xff800000, v21, s7
	s_delay_alu instid0(VALU_DEP_4)
	v_cndmask_b32_e32 v21, v22, v24, vcc_lo
	v_cndmask_b32_e32 v22, 0x3f490fdb, v19, vcc_lo
	v_cmp_gt_f32_e64 vcc_lo, 0x33800000, |v9|
	v_cmp_class_f32_e64 s7, v4, 0x204
	v_cndmask_b32_e32 v3, v3, v9, vcc_lo
	v_cmp_eq_f32_e32 vcc_lo, 0, v4
	s_delay_alu instid0(VALU_DEP_2) | instskip(SKIP_2) | instid1(VALU_DEP_1)
	v_mul_f32_e32 v9, 0.5, v3
	v_cndmask_b32_e32 v21, v21, v23, vcc_lo
	s_and_b32 vcc_lo, s7, s8
	v_cndmask_b32_e32 v21, v21, v22, vcc_lo
.LBB175_93:                             ;   in Loop: Header=BB175_4 Depth=1
	s_or_b32 exec_lo, exec_lo, s33
.LBB175_94:                             ;   in Loop: Header=BB175_4 Depth=1
	s_delay_alu instid0(SALU_CYCLE_1)
	s_or_b32 exec_lo, exec_lo, s31
.LBB175_95:                             ;   in Loop: Header=BB175_4 Depth=1
	s_and_not1_saveexec_b32 s8, s30
	s_cbranch_execz .LBB175_97
; %bb.96:                               ;   in Loop: Header=BB175_4 Depth=1
	v_max_f32_e64 v9, |v4|, |v4|
	v_max_f32_e64 v23, |v3|, |v3|
	v_cmp_gt_i32_e64 s7, 0, v3
	v_cmp_class_f32_e64 s9, v3, 0x204
	v_cmp_class_f32_e64 s10, v4, 0x204
	s_delay_alu instid0(VALU_DEP_4) | instskip(SKIP_1) | instid1(VALU_DEP_2)
	v_max_f32_e32 v24, v23, v9
	v_min_f32_e32 v9, v23, v9
	v_cvt_f64_f32_e32 v[21:22], v24
	s_delay_alu instid0(VALU_DEP_2) | instskip(SKIP_1) | instid1(VALU_DEP_3)
	v_frexp_exp_i32_f32_e32 v25, v9
	v_frexp_mant_f32_e32 v9, v9
	v_frexp_exp_i32_f64_e32 v21, v[21:22]
	v_frexp_mant_f32_e32 v22, v24
	s_delay_alu instid0(VALU_DEP_1) | instskip(SKIP_4) | instid1(VALU_DEP_2)
	v_rcp_f32_e32 v22, v22
	s_waitcnt_depctr 0xfff
	v_mul_f32_e32 v9, v9, v22
	v_frexp_exp_i32_f32_e32 v23, v24
	v_cmp_neq_f32_e32 vcc_lo, 0x7f800000, v24
	v_sub_nc_u32_e32 v23, v25, v23
	s_delay_alu instid0(VALU_DEP_1) | instskip(SKIP_1) | instid1(VALU_DEP_1)
	v_ldexp_f32 v9, v9, v23
	v_sub_nc_u32_e32 v26, 0, v21
	v_ldexp_f32 v22, |v4|, v26
	v_ldexp_f32 v23, |v3|, v26
	s_delay_alu instid0(VALU_DEP_2) | instskip(NEXT) | instid1(VALU_DEP_1)
	v_dual_mul_f32 v22, v22, v22 :: v_dual_mul_f32 v25, v9, v9
	v_dual_fmac_f32 v22, v23, v23 :: v_dual_fmaak_f32 v23, s26, v25, 0xbc7a590c
	s_delay_alu instid0(VALU_DEP_1) | instskip(NEXT) | instid1(VALU_DEP_1)
	v_sqrt_f32_e32 v22, v22
	v_fmaak_f32 v23, v25, v23, 0x3d29fb3f
	s_delay_alu instid0(VALU_DEP_1) | instskip(SKIP_3) | instid1(VALU_DEP_2)
	v_fmaak_f32 v23, v25, v23, 0xbd97d4d7
	s_waitcnt_depctr 0xfff
	v_ldexp_f32 v21, v22, v21
	v_fmaak_f32 v22, v25, v23, 0x3dd931b2
	v_cndmask_b32_e32 v21, 0x7f800000, v21, vcc_lo
	s_delay_alu instid0(VALU_DEP_2) | instskip(NEXT) | instid1(VALU_DEP_2)
	v_fmaak_f32 v22, v25, v22, 0xbe1160e6
	v_cmp_gt_f32_e32 vcc_lo, 0x800000, v21
	s_delay_alu instid0(VALU_DEP_2) | instskip(SKIP_1) | instid1(VALU_DEP_2)
	v_fmaak_f32 v22, v25, v22, 0x3e4cb8bf
	v_cndmask_b32_e64 v23, 1.0, 0x4f800000, vcc_lo
	v_fmaak_f32 v22, v25, v22, 0xbeaaaa62
	s_delay_alu instid0(VALU_DEP_2) | instskip(NEXT) | instid1(VALU_DEP_2)
	v_mul_f32_e32 v21, v21, v23
	v_mul_f32_e32 v22, v25, v22
	s_delay_alu instid0(VALU_DEP_2) | instskip(SKIP_2) | instid1(VALU_DEP_1)
	v_log_f32_e32 v21, v21
	s_waitcnt_depctr 0xfff
	v_dual_fmac_f32 v9, v9, v22 :: v_dual_mul_f32 v22, 0x3f317217, v21
	v_sub_f32_e32 v23, 0x3fc90fdb, v9
	s_delay_alu instid0(VALU_DEP_2) | instskip(NEXT) | instid1(VALU_DEP_2)
	v_fma_f32 v24, 0x3f317217, v21, -v22
	v_cndmask_b32_e64 v9, v9, v23, s6
	v_cndmask_b32_e64 v23, 0, 0x40490fdb, s7
	v_cmp_gt_f32_e64 s7, 0, v3
	s_delay_alu instid0(VALU_DEP_4) | instskip(NEXT) | instid1(VALU_DEP_4)
	v_fmac_f32_e32 v24, 0x3377d1cf, v21
	v_sub_f32_e32 v25, 0x40490fdb, v9
	s_delay_alu instid0(VALU_DEP_2) | instskip(SKIP_2) | instid1(VALU_DEP_4)
	v_add_f32_e32 v3, v22, v24
	v_cndmask_b32_e64 v24, 0, 0x41b17218, vcc_lo
	v_cmp_gt_f32_e64 vcc_lo, 0x7f800000, |v21|
	v_cndmask_b32_e64 v9, v9, v25, s7
	v_cndmask_b32_e64 v22, 0x3f490fdb, v19, s7
	v_cndmask_b32_e32 v3, v21, v3, vcc_lo
	v_cmp_eq_f32_e32 vcc_lo, 0, v4
	s_delay_alu instid0(VALU_DEP_4) | instskip(SKIP_1) | instid1(VALU_DEP_3)
	v_cndmask_b32_e32 v21, v9, v23, vcc_lo
	s_and_b32 vcc_lo, s10, s9
	v_sub_f32_e32 v9, v3, v24
	s_delay_alu instid0(VALU_DEP_2)
	v_cndmask_b32_e32 v21, v21, v22, vcc_lo
.LBB175_97:                             ;   in Loop: Header=BB175_4 Depth=1
	s_or_b32 exec_lo, exec_lo, s8
                                        ; implicit-def: $vgpr22
.LBB175_98:                             ;   in Loop: Header=BB175_4 Depth=1
	s_and_not1_saveexec_b32 s8, s29
	s_cbranch_execz .LBB175_104
; %bb.99:                               ;   in Loop: Header=BB175_4 Depth=1
                                        ; implicit-def: $vgpr9
                                        ; implicit-def: $vgpr21
	s_mov_b32 s7, exec_lo
	v_cmpx_ngt_f32_e32 0x1fec1e4a, v22
	s_xor_b32 s9, exec_lo, s7
	s_cbranch_execz .LBB175_101
; %bb.100:                              ;   in Loop: Header=BB175_4 Depth=1
	v_mul_f32_e32 v9, v22, v22
	v_cmp_class_f32_e64 s10, v3, 0x204
	v_cmp_gt_f32_e64 s7, 0, v3
	v_cmp_class_f32_e64 s12, v4, 0x204
	s_delay_alu instid0(VALU_DEP_4) | instskip(NEXT) | instid1(VALU_DEP_1)
	v_add_f32_e32 v23, 1.0, v9
	v_cvt_f64_f32_e32 v[21:22], v23
	s_delay_alu instid0(VALU_DEP_1) | instskip(SKIP_1) | instid1(VALU_DEP_1)
	v_frexp_exp_i32_f64_e32 v21, v[21:22]
	v_frexp_mant_f32_e32 v22, v23
	v_cmp_gt_f32_e32 vcc_lo, 0x3f2aaaab, v22
	v_add_f32_e32 v22, -1.0, v23
	v_cmp_gt_f32_e64 s11, 0x33800000, |v9|
	s_delay_alu instid0(VALU_DEP_2) | instskip(SKIP_2) | instid1(VALU_DEP_2)
	v_dual_sub_f32 v25, v22, v23 :: v_dual_sub_f32 v22, v9, v22
	v_subrev_co_ci_u32_e32 v21, vcc_lo, 0, v21, vcc_lo
	v_cmp_gt_i32_e32 vcc_lo, 0, v3
	v_sub_nc_u32_e32 v24, 0, v21
	v_cvt_f32_i32_e32 v21, v21
	s_delay_alu instid0(VALU_DEP_2) | instskip(NEXT) | instid1(VALU_DEP_1)
	v_ldexp_f32 v23, v23, v24
	v_dual_add_f32 v25, 1.0, v25 :: v_dual_add_f32 v26, 1.0, v23
	s_delay_alu instid0(VALU_DEP_1) | instskip(NEXT) | instid1(VALU_DEP_1)
	v_dual_add_f32 v22, v22, v25 :: v_dual_add_f32 v25, -1.0, v26
	v_ldexp_f32 v22, v22, v24
	s_delay_alu instid0(VALU_DEP_2) | instskip(NEXT) | instid1(VALU_DEP_1)
	v_dual_add_f32 v24, -1.0, v23 :: v_dual_sub_f32 v25, v23, v25
	v_add_f32_e32 v27, 1.0, v24
	s_delay_alu instid0(VALU_DEP_2) | instskip(NEXT) | instid1(VALU_DEP_2)
	v_add_f32_e32 v25, v22, v25
	v_sub_f32_e32 v23, v23, v27
	s_delay_alu instid0(VALU_DEP_1) | instskip(NEXT) | instid1(VALU_DEP_1)
	v_add_f32_e32 v22, v22, v23
	v_dual_add_f32 v28, v24, v22 :: v_dual_add_f32 v27, v26, v25
	s_delay_alu instid0(VALU_DEP_1) | instskip(NEXT) | instid1(VALU_DEP_2)
	v_sub_f32_e32 v24, v24, v28
	v_rcp_f32_e32 v23, v27
	v_sub_f32_e32 v26, v26, v27
	s_delay_alu instid0(VALU_DEP_1) | instskip(SKIP_2) | instid1(VALU_DEP_1)
	v_dual_add_f32 v22, v22, v24 :: v_dual_add_f32 v25, v25, v26
	s_waitcnt_depctr 0xfff
	v_mul_f32_e32 v29, v28, v23
	v_mul_f32_e32 v30, v27, v29
	s_delay_alu instid0(VALU_DEP_1) | instskip(NEXT) | instid1(VALU_DEP_1)
	v_fma_f32 v26, v29, v27, -v30
	v_fmac_f32_e32 v26, v29, v25
	s_delay_alu instid0(VALU_DEP_1) | instskip(NEXT) | instid1(VALU_DEP_1)
	v_add_f32_e32 v31, v30, v26
	v_sub_f32_e32 v32, v28, v31
	s_delay_alu instid0(VALU_DEP_1) | instskip(SKIP_1) | instid1(VALU_DEP_2)
	v_sub_f32_e32 v28, v28, v32
	v_sub_f32_e32 v24, v31, v30
	;; [unrolled: 1-line block ×3, first 2 shown]
	s_delay_alu instid0(VALU_DEP_2) | instskip(NEXT) | instid1(VALU_DEP_2)
	v_sub_f32_e32 v24, v24, v26
	v_add_f32_e32 v22, v22, v28
	s_delay_alu instid0(VALU_DEP_1) | instskip(NEXT) | instid1(VALU_DEP_1)
	v_add_f32_e32 v22, v24, v22
	v_add_f32_e32 v24, v32, v22
	s_delay_alu instid0(VALU_DEP_1) | instskip(NEXT) | instid1(VALU_DEP_1)
	v_mul_f32_e32 v26, v23, v24
	v_dual_sub_f32 v31, v32, v24 :: v_dual_mul_f32 v28, v27, v26
	s_delay_alu instid0(VALU_DEP_1) | instskip(NEXT) | instid1(VALU_DEP_2)
	v_add_f32_e32 v22, v22, v31
	v_fma_f32 v27, v26, v27, -v28
	s_delay_alu instid0(VALU_DEP_1) | instskip(NEXT) | instid1(VALU_DEP_1)
	v_fmac_f32_e32 v27, v26, v25
	v_add_f32_e32 v25, v28, v27
	s_delay_alu instid0(VALU_DEP_1) | instskip(SKIP_1) | instid1(VALU_DEP_2)
	v_sub_f32_e32 v30, v24, v25
	v_sub_f32_e32 v28, v25, v28
	;; [unrolled: 1-line block ×3, first 2 shown]
	s_delay_alu instid0(VALU_DEP_1) | instskip(NEXT) | instid1(VALU_DEP_1)
	v_sub_f32_e32 v24, v24, v25
	v_dual_sub_f32 v25, v28, v27 :: v_dual_add_f32 v22, v22, v24
	v_add_f32_e32 v24, v29, v26
	s_delay_alu instid0(VALU_DEP_1) | instskip(NEXT) | instid1(VALU_DEP_1)
	v_dual_add_f32 v22, v25, v22 :: v_dual_sub_f32 v25, v24, v29
	v_add_f32_e32 v22, v30, v22
	s_delay_alu instid0(VALU_DEP_2) | instskip(SKIP_1) | instid1(VALU_DEP_3)
	v_sub_f32_e32 v25, v26, v25
	v_max_f32_e64 v26, |v3|, |v3|
	v_mul_f32_e32 v22, v23, v22
	v_max_f32_e64 v23, |v4|, |v4|
	s_delay_alu instid0(VALU_DEP_2) | instskip(NEXT) | instid1(VALU_DEP_2)
	v_add_f32_e32 v22, v25, v22
	v_max_f32_e32 v28, v26, v23
	v_min_f32_e32 v23, v26, v23
	s_delay_alu instid0(VALU_DEP_3) | instskip(NEXT) | instid1(VALU_DEP_3)
	v_add_f32_e32 v25, v24, v22
	v_frexp_mant_f32_e32 v30, v28
	v_frexp_exp_i32_f32_e32 v26, v28
	s_delay_alu instid0(VALU_DEP_3) | instskip(SKIP_2) | instid1(VALU_DEP_2)
	v_mul_f32_e32 v27, v25, v25
	v_sub_f32_e32 v24, v25, v24
	v_ldexp_f32 v31, v25, 1
	v_dual_fmaak_f32 v29, s21, v27, 0x3ecc95a3 :: v_dual_sub_f32 v22, v22, v24
	s_delay_alu instid0(VALU_DEP_1) | instskip(NEXT) | instid1(VALU_DEP_2)
	v_ldexp_f32 v22, v22, 1
	v_dual_mul_f32 v28, v25, v27 :: v_dual_fmaak_f32 v27, v27, v29, 0x3f2aaada
	v_rcp_f32_e32 v29, v30
	v_frexp_exp_i32_f32_e32 v30, v23
	v_frexp_mant_f32_e32 v23, v23
	s_delay_alu instid0(VALU_DEP_3) | instskip(NEXT) | instid1(VALU_DEP_3)
	v_dual_mul_f32 v27, v28, v27 :: v_dual_mul_f32 v28, 0x3f317218, v21
	v_sub_nc_u32_e32 v26, v30, v26
	s_delay_alu instid0(VALU_DEP_2) | instskip(SKIP_2) | instid1(VALU_DEP_1)
	v_add_f32_e32 v25, v31, v27
	s_waitcnt_depctr 0xfff
	v_mul_f32_e32 v23, v23, v29
	v_ldexp_f32 v23, v23, v26
	v_sub_f32_e32 v24, v25, v31
	v_fma_f32 v26, 0x3f317218, v21, -v28
	s_delay_alu instid0(VALU_DEP_2) | instskip(NEXT) | instid1(VALU_DEP_2)
	v_sub_f32_e32 v24, v27, v24
	v_dual_mul_f32 v27, v23, v23 :: v_dual_fmac_f32 v26, 0xb102e308, v21
	s_delay_alu instid0(VALU_DEP_1) | instskip(NEXT) | instid1(VALU_DEP_1)
	v_dual_add_f32 v21, v22, v24 :: v_dual_fmaak_f32 v22, s26, v27, 0xbc7a590c
	v_dual_add_f32 v24, v28, v26 :: v_dual_add_f32 v29, v25, v21
	s_delay_alu instid0(VALU_DEP_2) | instskip(NEXT) | instid1(VALU_DEP_2)
	v_fmaak_f32 v22, v27, v22, 0x3d29fb3f
	v_add_f32_e32 v30, v24, v29
	s_delay_alu instid0(VALU_DEP_2) | instskip(NEXT) | instid1(VALU_DEP_1)
	v_dual_fmaak_f32 v22, v27, v22, 0xbd97d4d7 :: v_dual_sub_f32 v25, v29, v25
	v_dual_sub_f32 v31, v30, v24 :: v_dual_fmaak_f32 v22, v27, v22, 0x3dd931b2
	s_delay_alu instid0(VALU_DEP_1) | instskip(SKIP_1) | instid1(VALU_DEP_3)
	v_dual_sub_f32 v21, v21, v25 :: v_dual_sub_f32 v32, v30, v31
	v_dual_sub_f32 v25, v29, v31 :: v_dual_sub_f32 v28, v24, v28
	v_fmaak_f32 v22, v27, v22, 0xbe1160e6
	s_delay_alu instid0(VALU_DEP_3) | instskip(NEXT) | instid1(VALU_DEP_3)
	v_sub_f32_e32 v24, v24, v32
	v_sub_f32_e32 v26, v26, v28
	s_delay_alu instid0(VALU_DEP_3) | instskip(NEXT) | instid1(VALU_DEP_3)
	v_fmaak_f32 v22, v27, v22, 0x3e4cb8bf
	v_add_f32_e32 v24, v25, v24
	s_delay_alu instid0(VALU_DEP_3) | instskip(NEXT) | instid1(VALU_DEP_3)
	v_add_f32_e32 v28, v26, v21
	v_fmaak_f32 v22, v27, v22, 0xbeaaaa62
	s_delay_alu instid0(VALU_DEP_2) | instskip(NEXT) | instid1(VALU_DEP_4)
	v_sub_f32_e32 v25, v28, v26
	v_add_f32_e32 v24, v28, v24
	s_delay_alu instid0(VALU_DEP_2) | instskip(NEXT) | instid1(VALU_DEP_1)
	v_dual_mul_f32 v22, v27, v22 :: v_dual_sub_f32 v27, v28, v25
	v_dual_add_f32 v28, v30, v24 :: v_dual_fmac_f32 v23, v23, v22
	s_delay_alu instid0(VALU_DEP_2) | instskip(NEXT) | instid1(VALU_DEP_2)
	v_dual_sub_f32 v21, v21, v25 :: v_dual_sub_f32 v22, v26, v27
	v_dual_sub_f32 v25, v28, v30 :: v_dual_sub_f32 v26, 0x3fc90fdb, v23
	s_delay_alu instid0(VALU_DEP_1) | instskip(NEXT) | instid1(VALU_DEP_2)
	v_dual_add_f32 v21, v21, v22 :: v_dual_sub_f32 v22, v24, v25
	v_cndmask_b32_e64 v23, v23, v26, s6
	v_cndmask_b32_e64 v24, 0, 0x40490fdb, vcc_lo
	v_cmp_eq_f32_e32 vcc_lo, 0x7f800000, v9
	s_delay_alu instid0(VALU_DEP_3) | instskip(SKIP_1) | instid1(VALU_DEP_1)
	v_dual_add_f32 v21, v21, v22 :: v_dual_sub_f32 v22, 0x40490fdb, v23
	s_or_b32 vcc_lo, vcc_lo, s11
	v_add_f32_e32 v3, v28, v21
	s_delay_alu instid0(VALU_DEP_2) | instskip(SKIP_1) | instid1(VALU_DEP_3)
	v_cndmask_b32_e64 v21, v23, v22, s7
	v_cndmask_b32_e64 v22, 0x3f490fdb, v19, s7
	v_cndmask_b32_e32 v3, v3, v9, vcc_lo
	v_cmp_eq_f32_e32 vcc_lo, 0, v4
	s_delay_alu instid0(VALU_DEP_2) | instskip(SKIP_2) | instid1(VALU_DEP_1)
	v_mul_f32_e32 v9, 0.5, v3
	v_cndmask_b32_e32 v21, v21, v24, vcc_lo
	s_and_b32 vcc_lo, s12, s10
	v_cndmask_b32_e32 v21, v21, v22, vcc_lo
                                        ; implicit-def: $vgpr22
.LBB175_101:                            ;   in Loop: Header=BB175_4 Depth=1
	s_and_not1_saveexec_b32 s9, s9
	s_cbranch_execz .LBB175_103
; %bb.102:                              ;   in Loop: Header=BB175_4 Depth=1
	v_max_f32_e64 v9, |v4|, |v4|
	v_max_f32_e64 v21, |v3|, |v3|
	v_cmp_gt_i32_e32 vcc_lo, 0, v3
	v_cmp_eq_f32_e64 s7, 0, v4
	v_cmp_class_f32_e64 s10, v3, 0x204
	v_cmp_class_f32_e64 s11, v4, 0x204
	v_max_f32_e32 v23, v21, v9
	v_min_f32_e32 v9, v21, v9
	s_delay_alu instid0(VALU_DEP_2) | instskip(SKIP_1) | instid1(VALU_DEP_2)
	v_frexp_mant_f32_e32 v24, v23
	v_frexp_exp_i32_f32_e32 v23, v23
	v_rcp_f32_e32 v21, v24
	s_delay_alu instid0(VALU_DEP_3) | instskip(SKIP_1) | instid1(VALU_DEP_2)
	v_frexp_exp_i32_f32_e32 v24, v9
	v_frexp_mant_f32_e32 v9, v9
	v_sub_nc_u32_e32 v23, v24, v23
	s_waitcnt_depctr 0xfff
	v_mul_f32_e32 v9, v9, v21
	s_delay_alu instid0(VALU_DEP_1) | instskip(NEXT) | instid1(VALU_DEP_1)
	v_ldexp_f32 v9, v9, v23
	v_mul_f32_e32 v21, v9, v9
	s_delay_alu instid0(VALU_DEP_1) | instskip(NEXT) | instid1(VALU_DEP_1)
	v_fmaak_f32 v23, s26, v21, 0xbc7a590c
	v_fmaak_f32 v23, v21, v23, 0x3d29fb3f
	s_delay_alu instid0(VALU_DEP_1) | instskip(NEXT) | instid1(VALU_DEP_1)
	v_fmaak_f32 v23, v21, v23, 0xbd97d4d7
	v_fmaak_f32 v23, v21, v23, 0x3dd931b2
	s_delay_alu instid0(VALU_DEP_1) | instskip(NEXT) | instid1(VALU_DEP_1)
	v_fmaak_f32 v23, v21, v23, 0xbe1160e6
	v_fmaak_f32 v23, v21, v23, 0x3e4cb8bf
	s_delay_alu instid0(VALU_DEP_1) | instskip(NEXT) | instid1(VALU_DEP_1)
	v_fmaak_f32 v23, v21, v23, 0xbeaaaa62
	v_mul_f32_e32 v21, v21, v23
	v_cndmask_b32_e64 v23, 0, 0x40490fdb, vcc_lo
	v_cmp_gt_f32_e32 vcc_lo, 0, v3
	s_delay_alu instid0(VALU_DEP_3) | instskip(NEXT) | instid1(VALU_DEP_1)
	v_fmac_f32_e32 v9, v9, v21
	v_sub_f32_e32 v21, 0x3fc90fdb, v9
	s_delay_alu instid0(VALU_DEP_1) | instskip(NEXT) | instid1(VALU_DEP_1)
	v_cndmask_b32_e64 v9, v9, v21, s6
	v_sub_f32_e32 v21, 0x40490fdb, v9
	s_delay_alu instid0(VALU_DEP_1) | instskip(SKIP_1) | instid1(VALU_DEP_2)
	v_cndmask_b32_e32 v9, v9, v21, vcc_lo
	v_mul_f32_e32 v21, 0.5, v22
	v_cndmask_b32_e64 v3, v9, v23, s7
	v_cndmask_b32_e32 v23, 0x3f490fdb, v19, vcc_lo
	s_and_b32 vcc_lo, s11, s10
	s_delay_alu instid0(VALU_DEP_3) | instskip(NEXT) | instid1(VALU_DEP_2)
	v_mul_f32_e32 v9, v22, v21
	v_cndmask_b32_e32 v21, v3, v23, vcc_lo
.LBB175_103:                            ;   in Loop: Header=BB175_4 Depth=1
	s_or_b32 exec_lo, exec_lo, s9
.LBB175_104:                            ;   in Loop: Header=BB175_4 Depth=1
	s_delay_alu instid0(SALU_CYCLE_1)
	s_or_b32 exec_lo, exec_lo, s8
.LBB175_105:                            ;   in Loop: Header=BB175_4 Depth=1
	s_and_not1_saveexec_b32 s8, s28
	s_cbranch_execz .LBB175_107
; %bb.106:                              ;   in Loop: Header=BB175_4 Depth=1
	v_div_scale_f32 v9, null, 0x402df854, 0x402df854, v3
	v_div_scale_f32 v21, null, 0x402df854, 0x402df854, v4
	v_div_scale_f32 v26, vcc_lo, v3, 0x402df854, v3
	s_delay_alu instid0(VALU_DEP_3) | instskip(NEXT) | instid1(VALU_DEP_2)
	v_rcp_f32_e32 v22, v9
	v_rcp_f32_e32 v23, v21
	v_cmp_class_f32_e64 s9, v4, 0x204
	s_waitcnt_depctr 0xfff
	v_fma_f32 v24, -v9, v22, 1.0
	v_fma_f32 v25, -v21, v23, 1.0
	s_delay_alu instid0(VALU_DEP_1) | instskip(SKIP_1) | instid1(VALU_DEP_2)
	v_dual_fmac_f32 v22, v24, v22 :: v_dual_fmac_f32 v23, v25, v23
	v_div_scale_f32 v24, s7, v4, 0x402df854, v4
	v_mul_f32_e32 v25, v26, v22
	s_delay_alu instid0(VALU_DEP_1) | instskip(NEXT) | instid1(VALU_DEP_1)
	v_fma_f32 v28, -v9, v25, v26
	v_fmac_f32_e32 v25, v28, v22
	s_delay_alu instid0(VALU_DEP_1) | instskip(NEXT) | instid1(VALU_DEP_1)
	v_fma_f32 v9, -v9, v25, v26
	v_div_fmas_f32 v9, v9, v22, v25
	v_max_f32_e64 v25, |v3|, |v3|
	v_mul_f32_e32 v27, v24, v23
	s_mov_b32 vcc_lo, s7
	v_cmp_class_f32_e64 s7, v3, 0x204
	v_div_fixup_f32 v9, v9, 0x402df854, v3
	s_delay_alu instid0(VALU_DEP_3) | instskip(NEXT) | instid1(VALU_DEP_1)
	v_fma_f32 v29, -v21, v27, v24
	v_fmac_f32_e32 v27, v29, v23
	s_delay_alu instid0(VALU_DEP_1) | instskip(NEXT) | instid1(VALU_DEP_1)
	v_fma_f32 v21, -v21, v27, v24
	v_div_fmas_f32 v21, v21, v23, v27
	s_delay_alu instid0(VALU_DEP_1) | instskip(NEXT) | instid1(VALU_DEP_1)
	v_div_fixup_f32 v23, v21, 0x402df854, v4
	v_max_f32_e64 v24, |v9|, |v23|
	s_delay_alu instid0(VALU_DEP_1) | instskip(SKIP_1) | instid1(VALU_DEP_2)
	v_cvt_f64_f32_e32 v[21:22], v24
	v_cmp_neq_f32_e32 vcc_lo, 0x7f800000, v24
	v_frexp_exp_i32_f64_e32 v21, v[21:22]
	v_max_f32_e64 v22, |v4|, |v4|
	s_delay_alu instid0(VALU_DEP_1) | instskip(SKIP_1) | instid1(VALU_DEP_2)
	v_max_f32_e32 v26, v25, v22
	v_min_f32_e32 v22, v25, v22
	v_frexp_mant_f32_e32 v27, v26
	v_frexp_exp_i32_f32_e32 v26, v26
	s_delay_alu instid0(VALU_DEP_2) | instskip(SKIP_1) | instid1(VALU_DEP_1)
	v_rcp_f32_e32 v25, v27
	v_sub_nc_u32_e32 v27, 0, v21
	v_ldexp_f32 v23, |v23|, v27
	v_ldexp_f32 v9, |v9|, v27
	s_delay_alu instid0(VALU_DEP_2) | instskip(SKIP_2) | instid1(VALU_DEP_3)
	v_mul_f32_e32 v23, v23, v23
	v_frexp_exp_i32_f32_e32 v28, v22
	v_frexp_mant_f32_e32 v22, v22
	v_fmac_f32_e32 v23, v9, v9
	s_delay_alu instid0(VALU_DEP_3)
	v_sub_nc_u32_e32 v26, v28, v26
	s_delay_alu instid0(TRANS32_DEP_1) | instid1(VALU_DEP_3)
	v_mul_f32_e32 v22, v22, v25
	s_delay_alu instid0(VALU_DEP_3) | instskip(NEXT) | instid1(VALU_DEP_1)
	v_sqrt_f32_e32 v23, v23
	v_ldexp_f32 v22, v22, v26
	s_delay_alu instid0(VALU_DEP_1) | instskip(SKIP_3) | instid1(VALU_DEP_2)
	v_mul_f32_e32 v9, v22, v22
	s_waitcnt_depctr 0xfff
	v_ldexp_f32 v21, v23, v21
	v_fmaak_f32 v25, s26, v9, 0xbc7a590c
	v_cndmask_b32_e32 v21, 0x7f800000, v21, vcc_lo
	s_delay_alu instid0(VALU_DEP_2) | instskip(NEXT) | instid1(VALU_DEP_2)
	v_fmaak_f32 v25, v9, v25, 0x3d29fb3f
	v_cmp_gt_f32_e32 vcc_lo, 0x800000, v21
	s_delay_alu instid0(VALU_DEP_2) | instskip(SKIP_2) | instid1(VALU_DEP_3)
	v_fmaak_f32 v23, v9, v25, 0xbd97d4d7
	v_cndmask_b32_e64 v24, 1.0, 0x4f800000, vcc_lo
	v_cndmask_b32_e64 v25, 0, 0x41b17218, vcc_lo
	v_fmaak_f32 v23, v9, v23, 0x3dd931b2
	s_delay_alu instid0(VALU_DEP_3) | instskip(NEXT) | instid1(VALU_DEP_2)
	v_mul_f32_e32 v21, v21, v24
	v_fmaak_f32 v23, v9, v23, 0xbe1160e6
	s_delay_alu instid0(VALU_DEP_2) | instskip(NEXT) | instid1(VALU_DEP_1)
	v_log_f32_e32 v21, v21
	v_fmaak_f32 v23, v9, v23, 0x3e4cb8bf
	s_delay_alu instid0(VALU_DEP_1) | instskip(SKIP_4) | instid1(VALU_DEP_2)
	v_fmaak_f32 v23, v9, v23, 0xbeaaaa62
	s_waitcnt_depctr 0xfff
	v_cmp_gt_f32_e64 vcc_lo, 0x7f800000, |v21|
	v_mul_f32_e32 v9, v9, v23
	v_mul_f32_e32 v23, 0x3f317217, v21
	v_fmac_f32_e32 v22, v22, v9
	s_delay_alu instid0(VALU_DEP_2) | instskip(NEXT) | instid1(VALU_DEP_2)
	v_fma_f32 v9, 0x3f317217, v21, -v23
	v_sub_f32_e32 v24, 0x3fc90fdb, v22
	s_delay_alu instid0(VALU_DEP_2) | instskip(NEXT) | instid1(VALU_DEP_2)
	v_fmac_f32_e32 v9, 0x3377d1cf, v21
	v_cndmask_b32_e64 v22, v22, v24, s6
	v_cmp_gt_i32_e64 s6, 0, v3
	s_delay_alu instid0(VALU_DEP_3) | instskip(NEXT) | instid1(VALU_DEP_3)
	v_add_f32_e32 v9, v23, v9
	v_sub_f32_e32 v23, 0x40490fdb, v22
	s_delay_alu instid0(VALU_DEP_3) | instskip(SKIP_1) | instid1(VALU_DEP_4)
	v_cndmask_b32_e64 v24, 0, 0x40490fdb, s6
	v_cmp_gt_f32_e64 s6, 0, v3
	v_cndmask_b32_e32 v9, v21, v9, vcc_lo
	v_cmp_eq_f32_e32 vcc_lo, 0, v4
	s_delay_alu instid0(VALU_DEP_3) | instskip(SKIP_1) | instid1(VALU_DEP_4)
	v_cndmask_b32_e64 v3, v22, v23, s6
	v_cndmask_b32_e64 v21, 0x3f490fdb, v19, s6
	v_sub_f32_e32 v9, v9, v25
	s_delay_alu instid0(VALU_DEP_3) | instskip(SKIP_1) | instid1(VALU_DEP_2)
	v_cndmask_b32_e32 v3, v3, v24, vcc_lo
	s_and_b32 vcc_lo, s9, s7
	v_add_f32_e32 v9, 1.0, v9
	s_delay_alu instid0(VALU_DEP_2)
	v_cndmask_b32_e32 v21, v3, v21, vcc_lo
.LBB175_107:                            ;   in Loop: Header=BB175_4 Depth=1
	s_or_b32 exec_lo, exec_lo, s8
.LBB175_108:                            ;   in Loop: Header=BB175_4 Depth=1
	s_and_not1_saveexec_b32 s6, s27
	s_cbranch_execz .LBB175_114
; %bb.109:                              ;   in Loop: Header=BB175_4 Depth=1
	v_cmp_ngt_f32_e64 s7, 0x20000000, |v3|
	v_cmp_ngt_f32_e64 s8, 0x20000000, |v4|
                                        ; implicit-def: $vgpr9
	s_delay_alu instid0(VALU_DEP_1) | instskip(NEXT) | instid1(SALU_CYCLE_1)
	s_or_b32 s7, s8, s7
	s_and_saveexec_b32 s8, s7
	s_delay_alu instid0(SALU_CYCLE_1)
	s_xor_b32 s7, exec_lo, s8
; %bb.110:                              ;   in Loop: Header=BB175_4 Depth=1
	v_mul_f32_e32 v9, v3, v3
	s_delay_alu instid0(VALU_DEP_1)
	v_fmac_f32_e32 v9, v4, v4
; %bb.111:                              ;   in Loop: Header=BB175_4 Depth=1
	s_and_not1_saveexec_b32 s7, s7
; %bb.112:                              ;   in Loop: Header=BB175_4 Depth=1
	v_mul_f32_e32 v3, 4.0, v3
	v_mul_f32_e32 v9, 4.0, v4
	s_delay_alu instid0(VALU_DEP_2) | instskip(NEXT) | instid1(VALU_DEP_1)
	v_mul_f32_e32 v3, v3, v3
	v_fmac_f32_e32 v3, v9, v9
	s_delay_alu instid0(VALU_DEP_1)
	v_mul_f32_e32 v9, 0x3d800000, v3
; %bb.113:                              ;   in Loop: Header=BB175_4 Depth=1
	s_or_b32 exec_lo, exec_lo, s7
	s_delay_alu instid0(VALU_DEP_1) | instskip(SKIP_1) | instid1(VALU_DEP_1)
	v_cmp_gt_f32_e32 vcc_lo, 0x800000, v9
	v_cndmask_b32_e64 v3, 1.0, 0x4f800000, vcc_lo
	v_mul_f32_e32 v3, v9, v3
	s_delay_alu instid0(VALU_DEP_1) | instskip(SKIP_2) | instid1(VALU_DEP_1)
	v_log_f32_e32 v3, v3
	s_waitcnt_depctr 0xfff
	v_mul_f32_e32 v9, 0x3f317217, v3
	v_fma_f32 v21, 0x3f317217, v3, -v9
	s_delay_alu instid0(VALU_DEP_1) | instskip(NEXT) | instid1(VALU_DEP_1)
	v_fmac_f32_e32 v21, 0x3377d1cf, v3
	v_add_f32_e32 v9, v9, v21
	v_cndmask_b32_e64 v21, 0, 0x41b17218, vcc_lo
	v_cmp_gt_f32_e64 vcc_lo, 0x7f800000, |v3|
	s_delay_alu instid0(VALU_DEP_3) | instskip(NEXT) | instid1(VALU_DEP_1)
	v_cndmask_b32_e32 v3, v3, v9, vcc_lo
	v_sub_f32_e32 v9, v3, v21
	v_mov_b32_e32 v21, 0x7fc00000
.LBB175_114:                            ;   in Loop: Header=BB175_4 Depth=1
	s_or_b32 exec_lo, exec_lo, s6
                                        ; implicit-def: $vgpr3
                                        ; implicit-def: $vgpr22
	s_delay_alu instid0(SALU_CYCLE_1)
	s_mov_b32 s6, exec_lo
	v_cmpx_o_f32_e32 v16, v15
	s_xor_b32 s27, exec_lo, s6
	s_cbranch_execnz .LBB175_120
; %bb.115:                              ;   in Loop: Header=BB175_4 Depth=1
	s_and_not1_saveexec_b32 s6, s27
	s_cbranch_execnz .LBB175_147
.LBB175_116:                            ;   in Loop: Header=BB175_4 Depth=1
	s_or_b32 exec_lo, exec_lo, s6
	s_and_saveexec_b32 s6, s2
	s_delay_alu instid0(SALU_CYCLE_1)
	s_xor_b32 s2, exec_lo, s6
	s_cbranch_execnz .LBB175_152
.LBB175_117:                            ;   in Loop: Header=BB175_4 Depth=1
	s_or_b32 exec_lo, exec_lo, s2
	s_and_saveexec_b32 s2, s3
	s_cbranch_execnz .LBB175_153
.LBB175_118:                            ;   in Loop: Header=BB175_4 Depth=1
	s_or_b32 exec_lo, exec_lo, s2
	s_and_saveexec_b32 s2, s4
	s_cbranch_execnz .LBB175_154
.LBB175_119:                            ;   in Loop: Header=BB175_4 Depth=1
	s_or_b32 exec_lo, exec_lo, s2
	s_and_saveexec_b32 s2, s5
	s_cbranch_execz .LBB175_3
	s_branch .LBB175_155
.LBB175_120:                            ;   in Loop: Header=BB175_4 Depth=1
	v_cmp_lt_f32_e64 s6, |v15|, |v16|
                                        ; implicit-def: $vgpr3
                                        ; implicit-def: $vgpr22
	s_mov_b32 s7, exec_lo
	s_delay_alu instid0(VALU_DEP_1) | instskip(NEXT) | instid1(VALU_DEP_1)
	v_cndmask_b32_e64 v23, |v16|, |v15|, s6
	v_cmpx_nlt_f32_e32 0x77f684df, v23
	s_xor_b32 s28, exec_lo, s7
	s_cbranch_execz .LBB175_144
; %bb.121:                              ;   in Loop: Header=BB175_4 Depth=1
	v_and_b32_e32 v3, 0x7fffffff, v16
                                        ; implicit-def: $vgpr22
	s_mov_b32 s7, exec_lo
	s_delay_alu instid0(VALU_DEP_1) | instskip(NEXT) | instid1(VALU_DEP_1)
	v_cndmask_b32_e64 v24, |v15|, v3, s6
                                        ; implicit-def: $vgpr3
	v_cmpx_neq_f32_e32 1.0, v24
	s_xor_b32 s29, exec_lo, s7
	s_cbranch_execz .LBB175_137
; %bb.122:                              ;   in Loop: Header=BB175_4 Depth=1
	v_dual_max_f32 v3, v23, v23 :: v_dual_max_f32 v22, v24, v24
	s_delay_alu instid0(VALU_DEP_1) | instskip(SKIP_1) | instid1(VALU_DEP_2)
	v_min_f32_e32 v25, v22, v3
	v_max_f32_e32 v3, v22, v3
                                        ; implicit-def: $vgpr22
	v_cmp_ngt_f32_e32 vcc_lo, 0x358637bd, v25
	s_delay_alu instid0(VALU_DEP_2) | instskip(NEXT) | instid1(VALU_DEP_1)
	v_cmp_nlt_f32_e64 s7, 0x49742400, v3
                                        ; implicit-def: $vgpr3
	s_and_b32 s7, s7, vcc_lo
	s_delay_alu instid0(SALU_CYCLE_1) | instskip(NEXT) | instid1(SALU_CYCLE_1)
	s_and_saveexec_b32 s8, s7
	s_xor_b32 s30, exec_lo, s8
	s_cbranch_execz .LBB175_134
; %bb.123:                              ;   in Loop: Header=BB175_4 Depth=1
                                        ; implicit-def: $vgpr3
                                        ; implicit-def: $vgpr22
	s_mov_b32 s7, exec_lo
	v_cmpx_le_f32_e32 1.0, v24
	s_xor_b32 s8, exec_lo, s7
	s_cbranch_execz .LBB175_125
; %bb.124:                              ;   in Loop: Header=BB175_4 Depth=1
	v_add_f32_e32 v3, -1.0, v24
	v_add_f32_e32 v22, 1.0, v24
	v_cmp_class_f32_e64 s9, v15, 0x204
	s_delay_alu instid0(VALU_DEP_2) | instskip(NEXT) | instid1(VALU_DEP_1)
	v_mul_f32_e32 v3, v3, v22
	v_fmac_f32_e32 v3, v23, v23
	s_delay_alu instid0(VALU_DEP_1) | instskip(SKIP_1) | instid1(VALU_DEP_2)
	v_add_f32_e32 v24, 1.0, v3
	v_cmp_neq_f32_e64 s7, -1.0, v3
	v_cvt_f64_f32_e32 v[22:23], v24
	s_delay_alu instid0(VALU_DEP_1) | instskip(SKIP_1) | instid1(VALU_DEP_1)
	v_frexp_exp_i32_f64_e32 v22, v[22:23]
	v_frexp_mant_f32_e32 v23, v24
	v_cmp_gt_f32_e32 vcc_lo, 0x3f2aaaab, v23
	v_add_f32_e32 v23, -1.0, v24
	s_delay_alu instid0(VALU_DEP_1) | instskip(NEXT) | instid1(VALU_DEP_1)
	v_sub_f32_e32 v26, v23, v24
	v_dual_sub_f32 v23, v3, v23 :: v_dual_add_f32 v26, 1.0, v26
	s_delay_alu instid0(VALU_DEP_1) | instskip(SKIP_2) | instid1(VALU_DEP_2)
	v_add_f32_e32 v23, v23, v26
	v_subrev_co_ci_u32_e32 v22, vcc_lo, 0, v22, vcc_lo
	v_cmp_eq_f32_e32 vcc_lo, 0x7f800000, v3
	v_sub_nc_u32_e32 v25, 0, v22
	v_cvt_f32_i32_e32 v22, v22
	s_delay_alu instid0(VALU_DEP_2) | instskip(SKIP_1) | instid1(VALU_DEP_2)
	v_ldexp_f32 v24, v24, v25
	v_ldexp_f32 v23, v23, v25
	v_add_f32_e32 v27, 1.0, v24
	s_delay_alu instid0(VALU_DEP_1) | instskip(NEXT) | instid1(VALU_DEP_1)
	v_add_f32_e32 v26, -1.0, v27
	v_sub_f32_e32 v26, v24, v26
	s_delay_alu instid0(VALU_DEP_1) | instskip(NEXT) | instid1(VALU_DEP_1)
	v_dual_add_f32 v26, v23, v26 :: v_dual_add_f32 v25, -1.0, v24
	v_add_f32_e32 v28, 1.0, v25
	s_delay_alu instid0(VALU_DEP_1) | instskip(NEXT) | instid1(VALU_DEP_3)
	v_sub_f32_e32 v24, v24, v28
	v_add_f32_e32 v28, v27, v26
	s_delay_alu instid0(VALU_DEP_1) | instskip(NEXT) | instid1(VALU_DEP_3)
	v_sub_f32_e32 v27, v28, v27
	v_add_f32_e32 v23, v23, v24
	v_rcp_f32_e32 v24, v28
	s_delay_alu instid0(VALU_DEP_2) | instskip(NEXT) | instid1(VALU_DEP_2)
	v_sub_f32_e32 v26, v26, v27
	v_add_f32_e32 v29, v25, v23
	s_delay_alu instid0(VALU_DEP_1) | instskip(SKIP_2) | instid1(VALU_DEP_1)
	v_sub_f32_e32 v25, v29, v25
	s_waitcnt_depctr 0xfff
	v_dual_mul_f32 v30, v29, v24 :: v_dual_sub_f32 v23, v23, v25
	v_mul_f32_e32 v31, v28, v30
	s_delay_alu instid0(VALU_DEP_1) | instskip(NEXT) | instid1(VALU_DEP_1)
	v_fma_f32 v27, v30, v28, -v31
	v_fmac_f32_e32 v27, v30, v26
	s_delay_alu instid0(VALU_DEP_1) | instskip(NEXT) | instid1(VALU_DEP_1)
	v_add_f32_e32 v32, v31, v27
	v_sub_f32_e32 v33, v29, v32
	s_delay_alu instid0(VALU_DEP_1) | instskip(SKIP_1) | instid1(VALU_DEP_2)
	v_sub_f32_e32 v29, v29, v33
	v_sub_f32_e32 v25, v32, v31
	;; [unrolled: 1-line block ×3, first 2 shown]
	s_delay_alu instid0(VALU_DEP_2) | instskip(NEXT) | instid1(VALU_DEP_2)
	v_sub_f32_e32 v25, v25, v27
	v_add_f32_e32 v23, v23, v29
	s_delay_alu instid0(VALU_DEP_1) | instskip(NEXT) | instid1(VALU_DEP_1)
	v_add_f32_e32 v23, v25, v23
	v_add_f32_e32 v25, v33, v23
	s_delay_alu instid0(VALU_DEP_1) | instskip(NEXT) | instid1(VALU_DEP_1)
	v_mul_f32_e32 v27, v24, v25
	v_mul_f32_e32 v29, v28, v27
	s_delay_alu instid0(VALU_DEP_1) | instskip(NEXT) | instid1(VALU_DEP_1)
	v_fma_f32 v28, v27, v28, -v29
	v_fmac_f32_e32 v28, v27, v26
	v_sub_f32_e32 v32, v33, v25
	s_delay_alu instid0(VALU_DEP_2) | instskip(NEXT) | instid1(VALU_DEP_2)
	v_add_f32_e32 v26, v29, v28
	v_add_f32_e32 v23, v23, v32
	s_delay_alu instid0(VALU_DEP_2) | instskip(SKIP_1) | instid1(VALU_DEP_2)
	v_sub_f32_e32 v31, v25, v26
	v_sub_f32_e32 v29, v26, v29
	;; [unrolled: 1-line block ×3, first 2 shown]
	s_delay_alu instid0(VALU_DEP_1) | instskip(NEXT) | instid1(VALU_DEP_3)
	v_sub_f32_e32 v25, v25, v26
	v_sub_f32_e32 v26, v29, v28
	v_max_f32_e64 v28, |v16|, |v16|
	s_delay_alu instid0(VALU_DEP_3) | instskip(SKIP_1) | instid1(VALU_DEP_1)
	v_add_f32_e32 v23, v23, v25
	v_add_f32_e32 v25, v30, v27
	v_dual_add_f32 v23, v26, v23 :: v_dual_sub_f32 v26, v25, v30
	s_delay_alu instid0(VALU_DEP_1) | instskip(NEXT) | instid1(VALU_DEP_2)
	v_add_f32_e32 v23, v31, v23
	v_sub_f32_e32 v26, v27, v26
	v_mul_f32_e32 v31, 0x3f317218, v22
	s_delay_alu instid0(VALU_DEP_3) | instskip(NEXT) | instid1(VALU_DEP_2)
	v_mul_f32_e32 v23, v24, v23
	v_fma_f32 v32, 0x3f317218, v22, -v31
	s_delay_alu instid0(VALU_DEP_1) | instskip(NEXT) | instid1(VALU_DEP_1)
	v_dual_add_f32 v23, v26, v23 :: v_dual_fmac_f32 v32, 0xb102e308, v22
	v_add_f32_e32 v24, v25, v23
	s_delay_alu instid0(VALU_DEP_1) | instskip(SKIP_1) | instid1(VALU_DEP_2)
	v_mul_f32_e32 v26, v24, v24
	v_ldexp_f32 v30, v24, 1
	v_fmaak_f32 v27, s21, v26, 0x3ecc95a3
	v_mul_f32_e32 v29, v24, v26
	v_sub_f32_e32 v24, v24, v25
	s_delay_alu instid0(VALU_DEP_3) | instskip(SKIP_1) | instid1(VALU_DEP_2)
	v_fmaak_f32 v26, v26, v27, 0x3f2aaada
	v_max_f32_e64 v27, |v15|, |v15|
	v_dual_sub_f32 v23, v23, v24 :: v_dual_mul_f32 v26, v29, v26
	s_delay_alu instid0(VALU_DEP_2) | instskip(SKIP_1) | instid1(VALU_DEP_3)
	v_max_f32_e32 v29, v27, v28
	v_min_f32_e32 v27, v27, v28
	v_ldexp_f32 v23, v23, 1
	s_delay_alu instid0(VALU_DEP_4) | instskip(NEXT) | instid1(VALU_DEP_4)
	v_add_f32_e32 v25, v30, v26
	v_frexp_mant_f32_e32 v28, v29
	v_frexp_exp_i32_f32_e32 v29, v29
	s_delay_alu instid0(VALU_DEP_3) | instskip(NEXT) | instid1(VALU_DEP_3)
	v_sub_f32_e32 v24, v25, v30
	v_rcp_f32_e32 v28, v28
	v_frexp_exp_i32_f32_e32 v30, v27
	s_delay_alu instid0(VALU_DEP_2) | instskip(SKIP_1) | instid1(VALU_DEP_3)
	v_sub_f32_e32 v24, v26, v24
	v_frexp_mant_f32_e32 v26, v27
	v_sub_nc_u32_e32 v27, v30, v29
	s_delay_alu instid0(VALU_DEP_3) | instskip(SKIP_1) | instid1(VALU_DEP_1)
	v_add_f32_e32 v22, v23, v24
	v_add_f32_e32 v24, v31, v32
	v_sub_f32_e32 v31, v24, v31
	s_delay_alu instid0(VALU_DEP_1)
	v_sub_f32_e32 v31, v32, v31
	s_delay_alu instid0(TRANS32_DEP_1) | instid1(VALU_DEP_4)
	v_dual_mul_f32 v23, v26, v28 :: v_dual_add_f32 v26, v25, v22
	s_delay_alu instid0(VALU_DEP_1) | instskip(NEXT) | instid1(VALU_DEP_2)
	v_ldexp_f32 v23, v23, v27
	v_add_f32_e32 v27, v24, v26
	s_delay_alu instid0(VALU_DEP_2) | instskip(NEXT) | instid1(VALU_DEP_1)
	v_dual_sub_f32 v25, v26, v25 :: v_dual_mul_f32 v28, v23, v23
	v_dual_sub_f32 v29, v27, v24 :: v_dual_sub_f32 v22, v22, v25
	s_delay_alu instid0(VALU_DEP_1) | instskip(SKIP_1) | instid1(VALU_DEP_3)
	v_dual_fmaak_f32 v30, s26, v28, 0xbc7a590c :: v_dual_sub_f32 v33, v27, v29
	v_sub_f32_e32 v25, v26, v29
	v_add_f32_e32 v29, v31, v22
	s_delay_alu instid0(VALU_DEP_3) | instskip(NEXT) | instid1(VALU_DEP_4)
	v_fmaak_f32 v30, v28, v30, 0x3d29fb3f
	v_sub_f32_e32 v24, v24, v33
	s_delay_alu instid0(VALU_DEP_2) | instskip(NEXT) | instid1(VALU_DEP_1)
	v_fmaak_f32 v26, v28, v30, 0xbd97d4d7
	v_dual_add_f32 v24, v25, v24 :: v_dual_fmaak_f32 v25, v28, v26, 0x3dd931b2
	v_sub_f32_e32 v26, v29, v31
	s_delay_alu instid0(VALU_DEP_2) | instskip(NEXT) | instid1(VALU_DEP_1)
	v_dual_add_f32 v24, v29, v24 :: v_dual_fmaak_f32 v25, v28, v25, 0xbe1160e6
	v_dual_sub_f32 v29, v29, v26 :: v_dual_add_f32 v30, v27, v24
	s_delay_alu instid0(VALU_DEP_2) | instskip(NEXT) | instid1(VALU_DEP_2)
	v_dual_sub_f32 v22, v22, v26 :: v_dual_fmaak_f32 v25, v28, v25, 0x3e4cb8bf
	v_dual_sub_f32 v26, v31, v29 :: v_dual_sub_f32 v27, v30, v27
	s_delay_alu instid0(VALU_DEP_1) | instskip(NEXT) | instid1(VALU_DEP_2)
	v_dual_fmaak_f32 v25, v28, v25, 0xbeaaaa62 :: v_dual_add_f32 v22, v22, v26
	v_sub_f32_e32 v24, v24, v27
	s_delay_alu instid0(VALU_DEP_1) | instskip(NEXT) | instid1(VALU_DEP_1)
	v_dual_mul_f32 v25, v28, v25 :: v_dual_add_f32 v22, v22, v24
	v_dual_fmac_f32 v23, v23, v25 :: v_dual_add_f32 v22, v30, v22
	s_delay_alu instid0(VALU_DEP_1) | instskip(NEXT) | instid1(VALU_DEP_2)
	v_sub_f32_e32 v24, 0x3fc90fdb, v23
	v_cndmask_b32_e32 v22, v22, v3, vcc_lo
	v_cmp_gt_i32_e32 vcc_lo, 0, v15
	s_delay_alu instid0(VALU_DEP_3) | instskip(SKIP_2) | instid1(VALU_DEP_3)
	v_cndmask_b32_e64 v23, v23, v24, s6
	v_cndmask_b32_e64 v24, 0, 0x40490fdb, vcc_lo
	v_cmp_ngt_f32_e32 vcc_lo, -1.0, v3
	v_sub_f32_e32 v25, 0x40490fdb, v23
	v_cndmask_b32_e32 v22, 0x7fc00000, v22, vcc_lo
	v_cmp_gt_f32_e32 vcc_lo, 0, v15
	s_delay_alu instid0(VALU_DEP_2) | instskip(NEXT) | instid1(VALU_DEP_4)
	v_cndmask_b32_e64 v15, 0xff800000, v22, s7
	v_cndmask_b32_e32 v22, v23, v25, vcc_lo
	v_cndmask_b32_e32 v23, 0x3f490fdb, v19, vcc_lo
	v_cmp_gt_f32_e64 vcc_lo, 0x33800000, |v3|
	v_cmp_class_f32_e64 s7, v16, 0x204
	v_cndmask_b32_e32 v3, v15, v3, vcc_lo
	v_cmp_eq_f32_e32 vcc_lo, 0, v16
	s_delay_alu instid0(VALU_DEP_2) | instskip(SKIP_2) | instid1(VALU_DEP_1)
	v_mul_f32_e32 v3, 0.5, v3
	v_cndmask_b32_e32 v15, v22, v24, vcc_lo
	s_and_b32 vcc_lo, s7, s9
                                        ; implicit-def: $vgpr24
	v_cndmask_b32_e32 v22, v15, v23, vcc_lo
                                        ; implicit-def: $vgpr23
.LBB175_125:                            ;   in Loop: Header=BB175_4 Depth=1
	s_and_not1_saveexec_b32 s31, s8
	s_cbranch_execz .LBB175_133
; %bb.126:                              ;   in Loop: Header=BB175_4 Depth=1
	v_mul_f32_e32 v25, v23, v23
                                        ; implicit-def: $vgpr3
                                        ; implicit-def: $vgpr22
	s_mov_b32 s7, exec_lo
	s_delay_alu instid0(VALU_DEP_1) | instskip(NEXT) | instid1(VALU_DEP_1)
	v_fmac_f32_e32 v25, v24, v24
	v_cmpx_ge_f32_e32 0x3f333333, v25
	s_xor_b32 s8, exec_lo, s7
	s_cbranch_execz .LBB175_128
; %bb.127:                              ;   in Loop: Header=BB175_4 Depth=1
	v_max_f32_e64 v3, |v16|, |v16|
	v_max_f32_e64 v22, |v15|, |v15|
	v_cmp_gt_f32_e32 vcc_lo, 0x800000, v25
	v_cmp_gt_i32_e64 s7, 0, v15
	v_cmp_class_f32_e64 s9, v15, 0x204
	v_cmp_class_f32_e64 s10, v16, 0x204
	v_max_f32_e32 v23, v22, v3
	v_min_f32_e32 v3, v22, v3
	v_cndmask_b32_e64 v26, 0, 0x41b17218, vcc_lo
	s_delay_alu instid0(VALU_DEP_3) | instskip(SKIP_1) | instid1(VALU_DEP_2)
	v_frexp_mant_f32_e32 v24, v23
	v_frexp_exp_i32_f32_e32 v23, v23
	v_rcp_f32_e32 v22, v24
	v_frexp_exp_i32_f32_e32 v24, v3
	v_frexp_mant_f32_e32 v3, v3
	s_delay_alu instid0(VALU_DEP_2) | instskip(SKIP_3) | instid1(VALU_DEP_1)
	v_sub_nc_u32_e32 v23, v24, v23
	v_cndmask_b32_e64 v24, 1.0, 0x4f800000, vcc_lo
	s_waitcnt_depctr 0xfff
	v_dual_mul_f32 v3, v3, v22 :: v_dual_mul_f32 v24, v25, v24
	v_ldexp_f32 v3, v3, v23
	s_delay_alu instid0(VALU_DEP_2) | instskip(NEXT) | instid1(VALU_DEP_1)
	v_log_f32_e32 v24, v24
	v_mul_f32_e32 v22, v3, v3
	s_delay_alu instid0(VALU_DEP_1) | instskip(SKIP_3) | instid1(VALU_DEP_1)
	v_fmaak_f32 v23, s26, v22, 0xbc7a590c
	s_waitcnt_depctr 0xfff
	v_cmp_gt_f32_e64 vcc_lo, 0x7f800000, |v24|
	v_fmaak_f32 v23, v22, v23, 0x3d29fb3f
	v_fmaak_f32 v23, v22, v23, 0xbd97d4d7
	s_delay_alu instid0(VALU_DEP_1) | instskip(NEXT) | instid1(VALU_DEP_1)
	v_fmaak_f32 v23, v22, v23, 0x3dd931b2
	v_fmaak_f32 v23, v22, v23, 0xbe1160e6
	s_delay_alu instid0(VALU_DEP_1) | instskip(NEXT) | instid1(VALU_DEP_1)
	;; [unrolled: 3-line block ×3, first 2 shown]
	v_dual_mul_f32 v22, v22, v23 :: v_dual_mul_f32 v23, 0x3f317217, v24
	v_fmac_f32_e32 v3, v3, v22
	s_delay_alu instid0(VALU_DEP_2) | instskip(NEXT) | instid1(VALU_DEP_1)
	v_fma_f32 v22, 0x3f317217, v24, -v23
	v_fmac_f32_e32 v22, 0x3377d1cf, v24
	s_delay_alu instid0(VALU_DEP_1) | instskip(NEXT) | instid1(VALU_DEP_1)
	v_dual_sub_f32 v25, 0x3fc90fdb, v3 :: v_dual_add_f32 v22, v23, v22
	v_cndmask_b32_e64 v3, v3, v25, s6
	v_cndmask_b32_e64 v23, 0, 0x40490fdb, s7
	v_cmp_eq_f32_e64 s7, 0, v16
	s_delay_alu instid0(VALU_DEP_3) | instskip(SKIP_1) | instid1(VALU_DEP_2)
	v_dual_cndmask_b32 v22, v24, v22 :: v_dual_sub_f32 v25, 0x40490fdb, v3
	v_cmp_gt_f32_e32 vcc_lo, 0, v15
                                        ; implicit-def: $vgpr24
	v_sub_f32_e32 v15, v22, v26
	s_delay_alu instid0(VALU_DEP_3) | instskip(NEXT) | instid1(VALU_DEP_1)
	v_cndmask_b32_e32 v3, v3, v25, vcc_lo
	v_cndmask_b32_e64 v22, v3, v23, s7
	v_cndmask_b32_e32 v23, 0x3f490fdb, v19, vcc_lo
	s_and_b32 vcc_lo, s10, s9
	v_mul_f32_e32 v3, 0.5, v15
	s_delay_alu instid0(VALU_DEP_2)
	v_cndmask_b32_e32 v22, v22, v23, vcc_lo
                                        ; implicit-def: $vgpr23
.LBB175_128:                            ;   in Loop: Header=BB175_4 Depth=1
	s_and_not1_saveexec_b32 s33, s8
	s_cbranch_execz .LBB175_132
; %bb.129:                              ;   in Loop: Header=BB175_4 Depth=1
	v_and_b32_e32 v25, 0x7fff0000, v23
	v_and_b32_e32 v22, 0x7fff0000, v24
	s_mov_b32 s34, 0
	s_delay_alu instid0(VALU_DEP_2) | instskip(SKIP_1) | instid1(VALU_DEP_3)
	v_sub_f32_e32 v26, v23, v25
	v_mul_f32_e32 v23, v25, v25
	v_mul_f32_e32 v3, v22, v22
	v_sub_f32_e32 v24, v24, v22
	s_delay_alu instid0(VALU_DEP_1) | instskip(NEXT) | instid1(VALU_DEP_1)
	v_dual_add_f32 v32, v25, v25 :: v_dual_and_b32 v27, 0xffff0000, v24
	v_dual_sub_f32 v25, v24, v27 :: v_dual_and_b32 v28, 0xffff0000, v26
	s_delay_alu instid0(VALU_DEP_1) | instskip(SKIP_2) | instid1(VALU_DEP_3)
	v_dual_add_f32 v29, v22, v22 :: v_dual_mul_f32 v22, v32, v28
	v_dual_sub_f32 v33, v26, v28 :: v_dual_mul_f32 v24, v27, v27
	v_add_f32_e32 v26, v27, v27
	v_dual_mul_f32 v31, v29, v27 :: v_dual_add_f32 v34, v28, v28
	v_dual_mul_f32 v30, v28, v28 :: v_dual_mul_f32 v27, v29, v25
	s_delay_alu instid0(VALU_DEP_4) | instskip(NEXT) | instid1(VALU_DEP_4)
	v_mul_f32_e32 v29, v32, v33
	v_mul_f32_e32 v28, v26, v25
	;; [unrolled: 1-line block ×5, first 2 shown]
.LBB175_130:                            ;   Parent Loop BB175_4 Depth=1
                                        ; =>  This Inner Loop Header: Depth=2
	v_cmp_nlt_f32_e32 vcc_lo, v3, v23
	s_delay_alu instid0(VALU_DEP_2) | instskip(SKIP_1) | instid1(VALU_DEP_2)
	v_dual_mov_b32 v34, v32 :: v_dual_cndmask_b32 v33, v3, v23
	v_cndmask_b32_e32 v3, v23, v3, vcc_lo
	v_cmp_nlt_f32_e64 s7, v33, v31
	s_delay_alu instid0(VALU_DEP_1) | instskip(SKIP_2) | instid1(VALU_DEP_2)
	v_cndmask_b32_e64 v32, v33, v31, s7
	v_cndmask_b32_e64 v23, v31, v33, s7
	s_and_b32 s35, vcc_lo, s7
	v_cmp_nlt_f32_e64 s8, v32, v22
	s_delay_alu instid0(VALU_DEP_1) | instskip(SKIP_1) | instid1(VALU_DEP_2)
	v_cndmask_b32_e64 v35, v32, v22, s8
	v_cndmask_b32_e64 v31, v22, v32, s8
	v_cmp_nlt_f32_e64 s9, v35, v24
	s_delay_alu instid0(VALU_DEP_1) | instskip(SKIP_2) | instid1(VALU_DEP_2)
	v_cndmask_b32_e64 v33, v35, v24, s9
	v_cndmask_b32_e64 v22, v24, v35, s9
	s_and_b32 s36, s8, s9
	v_cmp_nlt_f32_e64 s10, v33, v30
	s_delay_alu instid0(VALU_DEP_1) | instskip(SKIP_1) | instid1(VALU_DEP_2)
	v_cndmask_b32_e64 v36, v33, v30, s10
	v_cndmask_b32_e64 v24, v30, v33, s10
	v_cmp_nlt_f32_e64 s11, v36, v27
	s_delay_alu instid0(VALU_DEP_1) | instskip(SKIP_2) | instid1(VALU_DEP_2)
	v_cndmask_b32_e64 v37, v36, v27, s11
	s_and_b32 s9, s10, s11
	v_cndmask_b32_e64 v30, v27, v36, s11
	v_cmp_nlt_f32_e64 s12, v37, v29
	s_delay_alu instid0(VALU_DEP_1) | instskip(SKIP_2) | instid1(VALU_DEP_2)
	v_cndmask_b32_e64 v38, v37, v29, s12
	s_and_b32 s9, s9, s12
	v_cndmask_b32_e64 v27, v29, v37, s12
	v_cmp_nlt_f32_e32 vcc_lo, v38, v28
	v_cndmask_b32_e32 v39, v38, v28, vcc_lo
	s_and_b32 s10, s9, vcc_lo
	v_cndmask_b32_e32 v29, v28, v38, vcc_lo
	s_delay_alu instid0(VALU_DEP_2) | instskip(NEXT) | instid1(VALU_DEP_1)
	v_cmp_nlt_f32_e64 s7, v39, v26
	v_cndmask_b32_e64 v35, v39, v26, s7
	s_and_b32 s10, s10, s7
	v_cndmask_b32_e64 v28, v26, v39, s7
	s_delay_alu instid0(VALU_DEP_2) | instskip(NEXT) | instid1(VALU_DEP_1)
	v_cmp_nlt_f32_e64 s8, v35, v25
	v_cndmask_b32_e64 v33, v35, v25, s8
	s_and_b32 s10, s10, s8
	v_cndmask_b32_e64 v26, v25, v35, s8
	s_delay_alu instid0(VALU_DEP_2) | instskip(NEXT) | instid1(VALU_DEP_1)
	v_cmp_nlt_f32_e64 s9, v33, v34
	s_and_b32 s10, s10, s9
	v_cndmask_b32_e64 v32, v33, v34, s9
	s_and_b32 s7, s10, s36
	v_cndmask_b32_e64 v25, v34, v33, s9
	s_and_b32 s7, s7, s35
	s_delay_alu instid0(SALU_CYCLE_1) | instskip(NEXT) | instid1(SALU_CYCLE_1)
	s_and_b32 s7, exec_lo, s7
	s_or_b32 s34, s7, s34
	s_delay_alu instid0(SALU_CYCLE_1)
	s_and_not1_b32 exec_lo, exec_lo, s34
	s_cbranch_execnz .LBB175_130
; %bb.131:                              ;   in Loop: Header=BB175_4 Depth=1
	s_or_b32 exec_lo, exec_lo, s34
	v_add_f32_e32 v3, -1.0, v3
	v_cmp_class_f32_e64 s8, v15, 0x204
	s_delay_alu instid0(VALU_DEP_2) | instskip(NEXT) | instid1(VALU_DEP_1)
	v_add_f32_e32 v3, v3, v23
	v_add_f32_e32 v3, v3, v31
	s_delay_alu instid0(VALU_DEP_1) | instskip(NEXT) | instid1(VALU_DEP_1)
	v_add_f32_e32 v3, v3, v22
	v_add_f32_e32 v3, v3, v24
	s_delay_alu instid0(VALU_DEP_1) | instskip(NEXT) | instid1(VALU_DEP_1)
	;; [unrolled: 3-line block ×5, first 2 shown]
	v_add_f32_e32 v3, v32, v3
	v_add_f32_e32 v24, 1.0, v3
	s_delay_alu instid0(VALU_DEP_1) | instskip(NEXT) | instid1(VALU_DEP_1)
	v_cvt_f64_f32_e32 v[22:23], v24
	v_frexp_exp_i32_f64_e32 v22, v[22:23]
	v_frexp_mant_f32_e32 v23, v24
	s_delay_alu instid0(VALU_DEP_1) | instskip(SKIP_1) | instid1(VALU_DEP_1)
	v_cmp_gt_f32_e32 vcc_lo, 0x3f2aaaab, v23
	v_add_f32_e32 v23, -1.0, v24
	v_sub_f32_e32 v26, v23, v24
	s_delay_alu instid0(VALU_DEP_1) | instskip(NEXT) | instid1(VALU_DEP_1)
	v_dual_sub_f32 v23, v3, v23 :: v_dual_add_f32 v26, 1.0, v26
	v_add_f32_e32 v23, v23, v26
	v_subrev_co_ci_u32_e32 v22, vcc_lo, 0, v22, vcc_lo
	s_delay_alu instid0(VALU_DEP_1) | instskip(SKIP_1) | instid1(VALU_DEP_2)
	v_sub_nc_u32_e32 v25, 0, v22
	v_cvt_f32_i32_e32 v22, v22
	v_ldexp_f32 v24, v24, v25
	v_ldexp_f32 v23, v23, v25
	s_delay_alu instid0(VALU_DEP_2) | instskip(NEXT) | instid1(VALU_DEP_1)
	v_add_f32_e32 v27, 1.0, v24
	v_dual_add_f32 v25, -1.0, v24 :: v_dual_add_f32 v26, -1.0, v27
	s_delay_alu instid0(VALU_DEP_1) | instskip(NEXT) | instid1(VALU_DEP_2)
	v_add_f32_e32 v28, 1.0, v25
	v_sub_f32_e32 v26, v24, v26
	s_delay_alu instid0(VALU_DEP_2) | instskip(NEXT) | instid1(VALU_DEP_2)
	v_sub_f32_e32 v24, v24, v28
	v_add_f32_e32 v26, v23, v26
	s_delay_alu instid0(VALU_DEP_2) | instskip(SKIP_2) | instid1(VALU_DEP_4)
	v_add_f32_e32 v23, v23, v24
	v_cmp_eq_f32_e32 vcc_lo, 0x7f800000, v3
	v_cmp_neq_f32_e64 s7, -1.0, v3
	v_add_f32_e32 v28, v27, v26
	s_delay_alu instid0(VALU_DEP_1) | instskip(SKIP_1) | instid1(VALU_DEP_1)
	v_rcp_f32_e32 v24, v28
	v_sub_f32_e32 v27, v28, v27
	v_sub_f32_e32 v26, v26, v27
	v_add_f32_e32 v29, v25, v23
	s_waitcnt_depctr 0xfff
	v_mul_f32_e32 v30, v29, v24
	s_delay_alu instid0(VALU_DEP_1) | instskip(NEXT) | instid1(VALU_DEP_1)
	v_mul_f32_e32 v31, v28, v30
	v_fma_f32 v27, v30, v28, -v31
	s_delay_alu instid0(VALU_DEP_1) | instskip(NEXT) | instid1(VALU_DEP_1)
	v_fmac_f32_e32 v27, v30, v26
	v_dual_add_f32 v32, v31, v27 :: v_dual_sub_f32 v25, v29, v25
	s_delay_alu instid0(VALU_DEP_1) | instskip(NEXT) | instid1(VALU_DEP_2)
	v_sub_f32_e32 v33, v29, v32
	v_sub_f32_e32 v23, v23, v25
	;; [unrolled: 1-line block ×3, first 2 shown]
	s_delay_alu instid0(VALU_DEP_3) | instskip(NEXT) | instid1(VALU_DEP_2)
	v_sub_f32_e32 v29, v29, v33
	v_sub_f32_e32 v25, v25, v27
	s_delay_alu instid0(VALU_DEP_2) | instskip(NEXT) | instid1(VALU_DEP_1)
	v_sub_f32_e32 v29, v29, v32
	v_add_f32_e32 v23, v23, v29
	s_delay_alu instid0(VALU_DEP_1) | instskip(NEXT) | instid1(VALU_DEP_1)
	v_add_f32_e32 v23, v25, v23
	v_add_f32_e32 v25, v33, v23
	s_delay_alu instid0(VALU_DEP_1) | instskip(NEXT) | instid1(VALU_DEP_1)
	v_mul_f32_e32 v27, v24, v25
	v_dual_sub_f32 v32, v33, v25 :: v_dual_mul_f32 v29, v28, v27
	s_delay_alu instid0(VALU_DEP_1) | instskip(NEXT) | instid1(VALU_DEP_2)
	v_add_f32_e32 v23, v23, v32
	v_fma_f32 v28, v27, v28, -v29
	s_delay_alu instid0(VALU_DEP_1) | instskip(NEXT) | instid1(VALU_DEP_1)
	v_fmac_f32_e32 v28, v27, v26
	v_add_f32_e32 v26, v29, v28
	s_delay_alu instid0(VALU_DEP_1) | instskip(SKIP_1) | instid1(VALU_DEP_2)
	v_sub_f32_e32 v31, v25, v26
	v_sub_f32_e32 v29, v26, v29
	;; [unrolled: 1-line block ×3, first 2 shown]
	s_delay_alu instid0(VALU_DEP_1) | instskip(NEXT) | instid1(VALU_DEP_3)
	v_sub_f32_e32 v25, v25, v26
	v_sub_f32_e32 v26, v29, v28
	v_max_f32_e64 v28, |v16|, |v16|
	s_delay_alu instid0(VALU_DEP_3) | instskip(SKIP_1) | instid1(VALU_DEP_1)
	v_add_f32_e32 v23, v23, v25
	v_add_f32_e32 v25, v30, v27
	v_dual_add_f32 v23, v26, v23 :: v_dual_sub_f32 v26, v25, v30
	s_delay_alu instid0(VALU_DEP_1) | instskip(NEXT) | instid1(VALU_DEP_2)
	v_add_f32_e32 v23, v31, v23
	v_sub_f32_e32 v26, v27, v26
	v_mul_f32_e32 v31, 0x3f317218, v22
	s_delay_alu instid0(VALU_DEP_3) | instskip(NEXT) | instid1(VALU_DEP_2)
	v_mul_f32_e32 v23, v24, v23
	v_fma_f32 v32, 0x3f317218, v22, -v31
	s_delay_alu instid0(VALU_DEP_1) | instskip(NEXT) | instid1(VALU_DEP_1)
	v_dual_add_f32 v23, v26, v23 :: v_dual_fmac_f32 v32, 0xb102e308, v22
	v_add_f32_e32 v24, v25, v23
	s_delay_alu instid0(VALU_DEP_1) | instskip(SKIP_1) | instid1(VALU_DEP_2)
	v_mul_f32_e32 v26, v24, v24
	v_ldexp_f32 v30, v24, 1
	v_fmaak_f32 v27, s21, v26, 0x3ecc95a3
	v_mul_f32_e32 v29, v24, v26
	v_sub_f32_e32 v24, v24, v25
	s_delay_alu instid0(VALU_DEP_3) | instskip(SKIP_1) | instid1(VALU_DEP_2)
	v_fmaak_f32 v26, v26, v27, 0x3f2aaada
	v_max_f32_e64 v27, |v15|, |v15|
	v_dual_sub_f32 v23, v23, v24 :: v_dual_mul_f32 v26, v29, v26
	s_delay_alu instid0(VALU_DEP_2) | instskip(SKIP_1) | instid1(VALU_DEP_3)
	v_max_f32_e32 v29, v27, v28
	v_min_f32_e32 v27, v27, v28
	v_ldexp_f32 v23, v23, 1
	s_delay_alu instid0(VALU_DEP_4) | instskip(NEXT) | instid1(VALU_DEP_4)
	v_add_f32_e32 v25, v30, v26
	v_frexp_mant_f32_e32 v28, v29
	v_frexp_exp_i32_f32_e32 v29, v29
	s_delay_alu instid0(VALU_DEP_3) | instskip(NEXT) | instid1(VALU_DEP_3)
	v_sub_f32_e32 v24, v25, v30
	v_rcp_f32_e32 v28, v28
	v_frexp_exp_i32_f32_e32 v30, v27
	s_delay_alu instid0(VALU_DEP_2) | instskip(SKIP_1) | instid1(VALU_DEP_3)
	v_sub_f32_e32 v24, v26, v24
	v_frexp_mant_f32_e32 v26, v27
	v_sub_nc_u32_e32 v27, v30, v29
	s_delay_alu instid0(VALU_DEP_3) | instskip(SKIP_4) | instid1(VALU_DEP_3)
	v_add_f32_e32 v22, v23, v24
	s_waitcnt_depctr 0xfff
	v_mul_f32_e32 v23, v26, v28
	v_add_f32_e32 v24, v31, v32
	v_add_f32_e32 v26, v25, v22
	v_ldexp_f32 v23, v23, v27
	s_delay_alu instid0(VALU_DEP_3) | instskip(NEXT) | instid1(VALU_DEP_2)
	v_sub_f32_e32 v31, v24, v31
	v_dual_add_f32 v27, v24, v26 :: v_dual_mul_f32 v28, v23, v23
	v_sub_f32_e32 v25, v26, v25
	s_delay_alu instid0(VALU_DEP_3) | instskip(NEXT) | instid1(VALU_DEP_3)
	v_sub_f32_e32 v31, v32, v31
	v_sub_f32_e32 v29, v27, v24
	s_delay_alu instid0(VALU_DEP_4) | instskip(NEXT) | instid1(VALU_DEP_4)
	v_fmaak_f32 v30, s26, v28, 0xbc7a590c
	v_sub_f32_e32 v22, v22, v25
	s_delay_alu instid0(VALU_DEP_2) | instskip(SKIP_1) | instid1(VALU_DEP_2)
	v_dual_sub_f32 v33, v27, v29 :: v_dual_fmaak_f32 v30, v28, v30, 0x3d29fb3f
	v_sub_f32_e32 v25, v26, v29
	v_dual_add_f32 v29, v31, v22 :: v_dual_sub_f32 v24, v24, v33
	s_delay_alu instid0(VALU_DEP_3) | instskip(NEXT) | instid1(VALU_DEP_1)
	v_fmaak_f32 v26, v28, v30, 0xbd97d4d7
	v_dual_add_f32 v24, v25, v24 :: v_dual_fmaak_f32 v25, v28, v26, 0x3dd931b2
	s_delay_alu instid0(VALU_DEP_3) | instskip(NEXT) | instid1(VALU_DEP_2)
	v_sub_f32_e32 v26, v29, v31
	v_dual_add_f32 v24, v29, v24 :: v_dual_fmaak_f32 v25, v28, v25, 0xbe1160e6
	s_delay_alu instid0(VALU_DEP_2) | instskip(SKIP_1) | instid1(VALU_DEP_3)
	v_sub_f32_e32 v29, v29, v26
	v_sub_f32_e32 v22, v22, v26
	v_dual_add_f32 v30, v27, v24 :: v_dual_fmaak_f32 v25, v28, v25, 0x3e4cb8bf
	s_delay_alu instid0(VALU_DEP_1) | instskip(NEXT) | instid1(VALU_DEP_1)
	v_dual_sub_f32 v26, v31, v29 :: v_dual_sub_f32 v27, v30, v27
	v_dual_fmaak_f32 v25, v28, v25, 0xbeaaaa62 :: v_dual_add_f32 v22, v22, v26
	s_delay_alu instid0(VALU_DEP_2) | instskip(NEXT) | instid1(VALU_DEP_1)
	v_sub_f32_e32 v24, v24, v27
	v_dual_mul_f32 v25, v28, v25 :: v_dual_add_f32 v22, v22, v24
	s_delay_alu instid0(VALU_DEP_1) | instskip(NEXT) | instid1(VALU_DEP_1)
	v_dual_fmac_f32 v23, v23, v25 :: v_dual_add_f32 v22, v30, v22
	v_sub_f32_e32 v24, 0x3fc90fdb, v23
	s_delay_alu instid0(VALU_DEP_2) | instskip(SKIP_1) | instid1(VALU_DEP_3)
	v_cndmask_b32_e32 v22, v22, v3, vcc_lo
	v_cmp_gt_i32_e32 vcc_lo, 0, v15
	v_cndmask_b32_e64 v23, v23, v24, s6
	v_cndmask_b32_e64 v24, 0, 0x40490fdb, vcc_lo
	v_cmp_ngt_f32_e32 vcc_lo, -1.0, v3
	s_delay_alu instid0(VALU_DEP_3) | instskip(SKIP_2) | instid1(VALU_DEP_2)
	v_sub_f32_e32 v25, 0x40490fdb, v23
	v_cndmask_b32_e32 v22, 0x7fc00000, v22, vcc_lo
	v_cmp_gt_f32_e32 vcc_lo, 0, v15
	v_cndmask_b32_e64 v15, 0xff800000, v22, s7
	s_delay_alu instid0(VALU_DEP_4)
	v_cndmask_b32_e32 v22, v23, v25, vcc_lo
	v_cndmask_b32_e32 v23, 0x3f490fdb, v19, vcc_lo
	v_cmp_gt_f32_e64 vcc_lo, 0x33800000, |v3|
	v_cmp_class_f32_e64 s7, v16, 0x204
	v_cndmask_b32_e32 v3, v15, v3, vcc_lo
	v_cmp_eq_f32_e32 vcc_lo, 0, v16
	s_delay_alu instid0(VALU_DEP_2) | instskip(SKIP_2) | instid1(VALU_DEP_1)
	v_mul_f32_e32 v3, 0.5, v3
	v_cndmask_b32_e32 v15, v22, v24, vcc_lo
	s_and_b32 vcc_lo, s7, s8
	v_cndmask_b32_e32 v22, v15, v23, vcc_lo
.LBB175_132:                            ;   in Loop: Header=BB175_4 Depth=1
	s_or_b32 exec_lo, exec_lo, s33
.LBB175_133:                            ;   in Loop: Header=BB175_4 Depth=1
	s_delay_alu instid0(SALU_CYCLE_1)
	s_or_b32 exec_lo, exec_lo, s31
.LBB175_134:                            ;   in Loop: Header=BB175_4 Depth=1
	s_and_not1_saveexec_b32 s8, s30
	s_cbranch_execz .LBB175_136
; %bb.135:                              ;   in Loop: Header=BB175_4 Depth=1
	v_max_f32_e64 v3, |v16|, |v16|
	v_max_f32_e64 v24, |v15|, |v15|
	v_cmp_gt_i32_e64 s7, 0, v15
	v_cmp_class_f32_e64 s9, v15, 0x204
	v_cmp_class_f32_e64 s10, v16, 0x204
	s_delay_alu instid0(VALU_DEP_4) | instskip(SKIP_1) | instid1(VALU_DEP_2)
	v_max_f32_e32 v25, v24, v3
	v_min_f32_e32 v3, v24, v3
	v_cvt_f64_f32_e32 v[22:23], v25
	v_frexp_exp_i32_f32_e32 v24, v25
	s_delay_alu instid0(VALU_DEP_3) | instskip(SKIP_1) | instid1(VALU_DEP_2)
	v_frexp_exp_i32_f32_e32 v26, v3
	v_frexp_mant_f32_e32 v3, v3
	v_sub_nc_u32_e32 v24, v26, v24
	v_frexp_exp_i32_f64_e32 v22, v[22:23]
	v_frexp_mant_f32_e32 v23, v25
	s_delay_alu instid0(VALU_DEP_1) | instskip(SKIP_2) | instid1(VALU_DEP_1)
	v_rcp_f32_e32 v23, v23
	s_waitcnt_depctr 0xfff
	v_mul_f32_e32 v3, v3, v23
	v_ldexp_f32 v3, v3, v24
	v_sub_nc_u32_e32 v27, 0, v22
	s_delay_alu instid0(VALU_DEP_1) | instskip(SKIP_1) | instid1(VALU_DEP_2)
	v_ldexp_f32 v23, |v16|, v27
	v_ldexp_f32 v24, |v15|, v27
	v_mul_f32_e32 v23, v23, v23
	s_delay_alu instid0(VALU_DEP_1) | instskip(NEXT) | instid1(VALU_DEP_1)
	v_dual_mul_f32 v26, v3, v3 :: v_dual_fmac_f32 v23, v24, v24
	v_fmaak_f32 v24, s26, v26, 0xbc7a590c
	v_cmp_neq_f32_e32 vcc_lo, 0x7f800000, v25
	s_delay_alu instid0(VALU_DEP_3) | instskip(NEXT) | instid1(VALU_DEP_2)
	v_sqrt_f32_e32 v23, v23
	v_fmaak_f32 v24, v26, v24, 0x3d29fb3f
	s_delay_alu instid0(VALU_DEP_1) | instskip(SKIP_3) | instid1(VALU_DEP_2)
	v_fmaak_f32 v24, v26, v24, 0xbd97d4d7
	s_waitcnt_depctr 0xfff
	v_ldexp_f32 v22, v23, v22
	v_fmaak_f32 v23, v26, v24, 0x3dd931b2
	v_cndmask_b32_e32 v22, 0x7f800000, v22, vcc_lo
	s_delay_alu instid0(VALU_DEP_2) | instskip(NEXT) | instid1(VALU_DEP_2)
	v_fmaak_f32 v23, v26, v23, 0xbe1160e6
	v_cmp_gt_f32_e32 vcc_lo, 0x800000, v22
	s_delay_alu instid0(VALU_DEP_2) | instskip(SKIP_1) | instid1(VALU_DEP_2)
	v_fmaak_f32 v23, v26, v23, 0x3e4cb8bf
	v_cndmask_b32_e64 v24, 1.0, 0x4f800000, vcc_lo
	v_fmaak_f32 v23, v26, v23, 0xbeaaaa62
	s_delay_alu instid0(VALU_DEP_1) | instskip(NEXT) | instid1(VALU_DEP_1)
	v_mul_f32_e32 v23, v26, v23
	v_dual_mul_f32 v22, v22, v24 :: v_dual_fmac_f32 v3, v3, v23
	s_delay_alu instid0(VALU_DEP_1) | instskip(SKIP_2) | instid1(VALU_DEP_1)
	v_log_f32_e32 v22, v22
	s_waitcnt_depctr 0xfff
	v_mul_f32_e32 v23, 0x3f317217, v22
	v_fma_f32 v25, 0x3f317217, v22, -v23
	s_delay_alu instid0(VALU_DEP_1) | instskip(SKIP_1) | instid1(VALU_DEP_1)
	v_fmac_f32_e32 v25, 0x3377d1cf, v22
	v_sub_f32_e32 v24, 0x3fc90fdb, v3
	v_cndmask_b32_e64 v3, v3, v24, s6
	v_cndmask_b32_e64 v24, 0, 0x40490fdb, s7
	v_cmp_gt_f32_e64 s7, 0, v15
	v_add_f32_e32 v15, v23, v25
	v_cndmask_b32_e64 v25, 0, 0x41b17218, vcc_lo
	v_cmp_gt_f32_e64 vcc_lo, 0x7f800000, |v22|
	s_delay_alu instid0(VALU_DEP_4) | instskip(NEXT) | instid1(VALU_DEP_4)
	v_cndmask_b32_e64 v23, 0x3f490fdb, v19, s7
	v_cndmask_b32_e32 v15, v22, v15, vcc_lo
	v_sub_f32_e32 v26, 0x40490fdb, v3
	v_cmp_eq_f32_e32 vcc_lo, 0, v16
	s_delay_alu instid0(VALU_DEP_2) | instskip(NEXT) | instid1(VALU_DEP_1)
	v_cndmask_b32_e64 v3, v3, v26, s7
	v_cndmask_b32_e32 v22, v3, v24, vcc_lo
	v_sub_f32_e32 v3, v15, v25
	s_and_b32 vcc_lo, s10, s9
	s_delay_alu instid0(VALU_DEP_2)
	v_cndmask_b32_e32 v22, v22, v23, vcc_lo
.LBB175_136:                            ;   in Loop: Header=BB175_4 Depth=1
	s_or_b32 exec_lo, exec_lo, s8
                                        ; implicit-def: $vgpr23
.LBB175_137:                            ;   in Loop: Header=BB175_4 Depth=1
	s_and_not1_saveexec_b32 s8, s29
	s_cbranch_execz .LBB175_143
; %bb.138:                              ;   in Loop: Header=BB175_4 Depth=1
                                        ; implicit-def: $vgpr3
                                        ; implicit-def: $vgpr22
	s_mov_b32 s7, exec_lo
	v_cmpx_ngt_f32_e32 0x1fec1e4a, v23
	s_xor_b32 s9, exec_lo, s7
	s_cbranch_execz .LBB175_140
; %bb.139:                              ;   in Loop: Header=BB175_4 Depth=1
	v_mul_f32_e32 v3, v23, v23
	v_cmp_class_f32_e64 s10, v15, 0x204
	v_cmp_gt_f32_e64 s7, 0, v15
	v_cmp_class_f32_e64 s12, v16, 0x204
	s_delay_alu instid0(VALU_DEP_4) | instskip(NEXT) | instid1(VALU_DEP_1)
	v_add_f32_e32 v24, 1.0, v3
	v_cvt_f64_f32_e32 v[22:23], v24
	s_delay_alu instid0(VALU_DEP_1) | instskip(SKIP_1) | instid1(VALU_DEP_1)
	v_frexp_exp_i32_f64_e32 v22, v[22:23]
	v_frexp_mant_f32_e32 v23, v24
	v_cmp_gt_f32_e32 vcc_lo, 0x3f2aaaab, v23
	v_add_f32_e32 v23, -1.0, v24
	s_delay_alu instid0(VALU_DEP_1) | instskip(NEXT) | instid1(VALU_DEP_1)
	v_sub_f32_e32 v26, v23, v24
	v_dual_add_f32 v26, 1.0, v26 :: v_dual_sub_f32 v23, v3, v23
	v_cmp_gt_f32_e64 s11, 0x33800000, |v3|
	s_delay_alu instid0(VALU_DEP_2) | instskip(SKIP_2) | instid1(VALU_DEP_2)
	v_add_f32_e32 v23, v23, v26
	v_subrev_co_ci_u32_e32 v22, vcc_lo, 0, v22, vcc_lo
	v_cmp_gt_i32_e32 vcc_lo, 0, v15
	v_sub_nc_u32_e32 v25, 0, v22
	v_cvt_f32_i32_e32 v22, v22
	s_delay_alu instid0(VALU_DEP_2) | instskip(SKIP_1) | instid1(VALU_DEP_2)
	v_ldexp_f32 v24, v24, v25
	v_ldexp_f32 v23, v23, v25
	v_add_f32_e32 v25, -1.0, v24
	s_delay_alu instid0(VALU_DEP_1) | instskip(NEXT) | instid1(VALU_DEP_1)
	v_dual_add_f32 v27, 1.0, v24 :: v_dual_add_f32 v28, 1.0, v25
	v_add_f32_e32 v26, -1.0, v27
	s_delay_alu instid0(VALU_DEP_1) | instskip(NEXT) | instid1(VALU_DEP_3)
	v_sub_f32_e32 v26, v24, v26
	v_sub_f32_e32 v24, v24, v28
	s_delay_alu instid0(VALU_DEP_2) | instskip(NEXT) | instid1(VALU_DEP_2)
	v_add_f32_e32 v26, v23, v26
	v_add_f32_e32 v23, v23, v24
	s_delay_alu instid0(VALU_DEP_1) | instskip(NEXT) | instid1(VALU_DEP_1)
	v_dual_add_f32 v29, v25, v23 :: v_dual_add_f32 v28, v27, v26
	v_rcp_f32_e32 v24, v28
	v_sub_f32_e32 v27, v27, v28
	s_delay_alu instid0(VALU_DEP_1) | instskip(SKIP_2) | instid1(VALU_DEP_1)
	v_dual_add_f32 v26, v26, v27 :: v_dual_sub_f32 v25, v25, v29
	s_waitcnt_depctr 0xfff
	v_dual_mul_f32 v30, v29, v24 :: v_dual_add_f32 v23, v23, v25
	v_mul_f32_e32 v31, v28, v30
	s_delay_alu instid0(VALU_DEP_1) | instskip(NEXT) | instid1(VALU_DEP_1)
	v_fma_f32 v27, v30, v28, -v31
	v_fmac_f32_e32 v27, v30, v26
	s_delay_alu instid0(VALU_DEP_1) | instskip(NEXT) | instid1(VALU_DEP_1)
	v_add_f32_e32 v32, v31, v27
	v_sub_f32_e32 v33, v29, v32
	s_delay_alu instid0(VALU_DEP_1) | instskip(SKIP_1) | instid1(VALU_DEP_2)
	v_sub_f32_e32 v29, v29, v33
	v_sub_f32_e32 v25, v32, v31
	;; [unrolled: 1-line block ×3, first 2 shown]
	s_delay_alu instid0(VALU_DEP_2) | instskip(NEXT) | instid1(VALU_DEP_2)
	v_sub_f32_e32 v25, v25, v27
	v_add_f32_e32 v23, v23, v29
	s_delay_alu instid0(VALU_DEP_1) | instskip(NEXT) | instid1(VALU_DEP_1)
	v_add_f32_e32 v23, v25, v23
	v_add_f32_e32 v25, v33, v23
	s_delay_alu instid0(VALU_DEP_1) | instskip(NEXT) | instid1(VALU_DEP_1)
	v_mul_f32_e32 v27, v24, v25
	v_dual_sub_f32 v32, v33, v25 :: v_dual_mul_f32 v29, v28, v27
	s_delay_alu instid0(VALU_DEP_1) | instskip(NEXT) | instid1(VALU_DEP_2)
	v_add_f32_e32 v23, v23, v32
	v_fma_f32 v28, v27, v28, -v29
	s_delay_alu instid0(VALU_DEP_1) | instskip(NEXT) | instid1(VALU_DEP_1)
	v_fmac_f32_e32 v28, v27, v26
	v_add_f32_e32 v26, v29, v28
	s_delay_alu instid0(VALU_DEP_1) | instskip(SKIP_1) | instid1(VALU_DEP_2)
	v_sub_f32_e32 v31, v25, v26
	v_sub_f32_e32 v29, v26, v29
	;; [unrolled: 1-line block ×3, first 2 shown]
	s_delay_alu instid0(VALU_DEP_1) | instskip(NEXT) | instid1(VALU_DEP_1)
	v_sub_f32_e32 v25, v25, v26
	v_dual_sub_f32 v26, v29, v28 :: v_dual_add_f32 v23, v23, v25
	v_add_f32_e32 v25, v30, v27
	s_delay_alu instid0(VALU_DEP_1) | instskip(NEXT) | instid1(VALU_DEP_1)
	v_dual_add_f32 v23, v26, v23 :: v_dual_sub_f32 v26, v25, v30
	v_add_f32_e32 v23, v31, v23
	s_delay_alu instid0(VALU_DEP_2) | instskip(SKIP_1) | instid1(VALU_DEP_3)
	v_sub_f32_e32 v26, v27, v26
	v_max_f32_e64 v27, |v15|, |v15|
	v_mul_f32_e32 v23, v24, v23
	v_max_f32_e64 v24, |v16|, |v16|
	s_delay_alu instid0(VALU_DEP_2) | instskip(NEXT) | instid1(VALU_DEP_2)
	v_add_f32_e32 v23, v26, v23
	v_max_f32_e32 v29, v27, v24
	v_min_f32_e32 v24, v27, v24
	s_delay_alu instid0(VALU_DEP_3) | instskip(NEXT) | instid1(VALU_DEP_3)
	v_add_f32_e32 v26, v25, v23
	v_frexp_mant_f32_e32 v31, v29
	v_frexp_exp_i32_f32_e32 v27, v29
	s_delay_alu instid0(VALU_DEP_3) | instskip(SKIP_1) | instid1(VALU_DEP_2)
	v_mul_f32_e32 v28, v26, v26
	v_ldexp_f32 v32, v26, 1
	v_dual_sub_f32 v25, v26, v25 :: v_dual_fmaak_f32 v30, s21, v28, 0x3ecc95a3
	v_mul_f32_e32 v29, v26, v28
	s_delay_alu instid0(VALU_DEP_2) | instskip(SKIP_3) | instid1(VALU_DEP_3)
	v_dual_sub_f32 v23, v23, v25 :: v_dual_fmaak_f32 v28, v28, v30, 0x3f2aaada
	v_rcp_f32_e32 v30, v31
	v_frexp_exp_i32_f32_e32 v31, v24
	v_frexp_mant_f32_e32 v24, v24
	v_ldexp_f32 v23, v23, 1
	v_dual_mul_f32 v28, v29, v28 :: v_dual_mul_f32 v29, 0x3f317218, v22
	s_delay_alu instid0(VALU_DEP_4) | instskip(NEXT) | instid1(VALU_DEP_2)
	v_sub_nc_u32_e32 v27, v31, v27
	v_add_f32_e32 v26, v32, v28
	s_delay_alu instid0(TRANS32_DEP_1) | instid1(VALU_DEP_1)
	v_dual_mul_f32 v24, v24, v30 :: v_dual_sub_f32 v25, v26, v32
	s_delay_alu instid0(VALU_DEP_1) | instskip(SKIP_1) | instid1(VALU_DEP_3)
	v_ldexp_f32 v24, v24, v27
	v_fma_f32 v27, 0x3f317218, v22, -v29
	v_sub_f32_e32 v25, v28, v25
	s_delay_alu instid0(VALU_DEP_2) | instskip(NEXT) | instid1(VALU_DEP_1)
	v_dual_mul_f32 v28, v24, v24 :: v_dual_fmac_f32 v27, 0xb102e308, v22
	v_dual_add_f32 v22, v23, v25 :: v_dual_fmaak_f32 v23, s26, v28, 0xbc7a590c
	s_delay_alu instid0(VALU_DEP_1) | instskip(NEXT) | instid1(VALU_DEP_2)
	v_dual_add_f32 v25, v29, v27 :: v_dual_add_f32 v30, v26, v22
	v_fmaak_f32 v23, v28, v23, 0x3d29fb3f
	s_delay_alu instid0(VALU_DEP_2) | instskip(NEXT) | instid1(VALU_DEP_3)
	v_sub_f32_e32 v29, v25, v29
	v_add_f32_e32 v31, v25, v30
	s_delay_alu instid0(VALU_DEP_3) | instskip(NEXT) | instid1(VALU_DEP_3)
	v_dual_fmaak_f32 v23, v28, v23, 0xbd97d4d7 :: v_dual_sub_f32 v26, v30, v26
	v_sub_f32_e32 v27, v27, v29
	s_delay_alu instid0(VALU_DEP_2) | instskip(NEXT) | instid1(VALU_DEP_1)
	v_dual_sub_f32 v32, v31, v25 :: v_dual_fmaak_f32 v23, v28, v23, 0x3dd931b2
	v_dual_sub_f32 v22, v22, v26 :: v_dual_sub_f32 v33, v31, v32
	s_delay_alu instid0(VALU_DEP_2) | instskip(NEXT) | instid1(VALU_DEP_2)
	v_dual_fmaak_f32 v23, v28, v23, 0xbe1160e6 :: v_dual_sub_f32 v26, v30, v32
	v_add_f32_e32 v29, v27, v22
	s_delay_alu instid0(VALU_DEP_3) | instskip(NEXT) | instid1(VALU_DEP_3)
	v_sub_f32_e32 v25, v25, v33
	v_fmaak_f32 v23, v28, v23, 0x3e4cb8bf
	s_delay_alu instid0(VALU_DEP_2) | instskip(NEXT) | instid1(VALU_DEP_2)
	v_add_f32_e32 v25, v26, v25
	v_fmaak_f32 v23, v28, v23, 0xbeaaaa62
	v_sub_f32_e32 v26, v29, v27
	s_delay_alu instid0(VALU_DEP_3) | instskip(NEXT) | instid1(VALU_DEP_2)
	v_add_f32_e32 v25, v29, v25
	v_dual_mul_f32 v23, v28, v23 :: v_dual_sub_f32 v28, v29, v26
	s_delay_alu instid0(VALU_DEP_2) | instskip(NEXT) | instid1(VALU_DEP_2)
	v_dual_sub_f32 v22, v22, v26 :: v_dual_add_f32 v29, v31, v25
	v_dual_fmac_f32 v24, v24, v23 :: v_dual_sub_f32 v23, v27, v28
	s_delay_alu instid0(VALU_DEP_1) | instskip(NEXT) | instid1(VALU_DEP_1)
	v_dual_sub_f32 v26, v29, v31 :: v_dual_sub_f32 v27, 0x3fc90fdb, v24
	v_dual_add_f32 v22, v22, v23 :: v_dual_sub_f32 v23, v25, v26
	s_delay_alu instid0(VALU_DEP_2) | instskip(SKIP_2) | instid1(VALU_DEP_3)
	v_cndmask_b32_e64 v24, v24, v27, s6
	v_cndmask_b32_e64 v25, 0, 0x40490fdb, vcc_lo
	v_cmp_eq_f32_e32 vcc_lo, 0x7f800000, v3
	v_dual_add_f32 v22, v22, v23 :: v_dual_sub_f32 v23, 0x40490fdb, v24
	s_or_b32 vcc_lo, vcc_lo, s11
	s_delay_alu instid0(VALU_DEP_1) | instskip(NEXT) | instid1(VALU_DEP_2)
	v_add_f32_e32 v15, v29, v22
	v_cndmask_b32_e64 v22, v24, v23, s7
	v_cndmask_b32_e64 v23, 0x3f490fdb, v19, s7
	s_delay_alu instid0(VALU_DEP_3) | instskip(SKIP_1) | instid1(VALU_DEP_2)
	v_cndmask_b32_e32 v3, v15, v3, vcc_lo
	v_cmp_eq_f32_e32 vcc_lo, 0, v16
	v_mul_f32_e32 v3, 0.5, v3
	v_cndmask_b32_e32 v15, v22, v25, vcc_lo
	s_and_b32 vcc_lo, s12, s10
	s_delay_alu instid0(VALU_DEP_1)
	v_cndmask_b32_e32 v22, v15, v23, vcc_lo
                                        ; implicit-def: $vgpr23
.LBB175_140:                            ;   in Loop: Header=BB175_4 Depth=1
	s_and_not1_saveexec_b32 s9, s9
	s_cbranch_execz .LBB175_142
; %bb.141:                              ;   in Loop: Header=BB175_4 Depth=1
	v_max_f32_e64 v3, |v16|, |v16|
	v_max_f32_e64 v22, |v15|, |v15|
	v_cmp_gt_i32_e32 vcc_lo, 0, v15
	v_cmp_eq_f32_e64 s7, 0, v16
	v_cmp_class_f32_e64 s10, v15, 0x204
	v_cmp_class_f32_e64 s11, v16, 0x204
	v_max_f32_e32 v24, v22, v3
	v_min_f32_e32 v3, v22, v3
	s_delay_alu instid0(VALU_DEP_2) | instskip(NEXT) | instid1(VALU_DEP_1)
	v_frexp_mant_f32_e32 v25, v24
	v_rcp_f32_e32 v22, v25
	s_delay_alu instid0(VALU_DEP_2) | instskip(SKIP_4) | instid1(VALU_DEP_1)
	v_frexp_exp_i32_f32_e32 v25, v3
	v_frexp_mant_f32_e32 v3, v3
	s_waitcnt_depctr 0xfff
	v_mul_f32_e32 v3, v3, v22
	v_frexp_exp_i32_f32_e32 v24, v24
	v_sub_nc_u32_e32 v24, v25, v24
	s_delay_alu instid0(VALU_DEP_1) | instskip(NEXT) | instid1(VALU_DEP_1)
	v_ldexp_f32 v3, v3, v24
	v_mul_f32_e32 v22, v3, v3
	s_delay_alu instid0(VALU_DEP_1) | instskip(NEXT) | instid1(VALU_DEP_1)
	v_fmaak_f32 v24, s26, v22, 0xbc7a590c
	v_fmaak_f32 v24, v22, v24, 0x3d29fb3f
	s_delay_alu instid0(VALU_DEP_1) | instskip(NEXT) | instid1(VALU_DEP_1)
	v_fmaak_f32 v24, v22, v24, 0xbd97d4d7
	v_fmaak_f32 v24, v22, v24, 0x3dd931b2
	;; [unrolled: 3-line block ×3, first 2 shown]
	s_delay_alu instid0(VALU_DEP_1) | instskip(NEXT) | instid1(VALU_DEP_1)
	v_fmaak_f32 v24, v22, v24, 0xbeaaaa62
	v_mul_f32_e32 v22, v22, v24
	v_cndmask_b32_e64 v24, 0, 0x40490fdb, vcc_lo
	v_cmp_gt_f32_e32 vcc_lo, 0, v15
	s_delay_alu instid0(VALU_DEP_3) | instskip(NEXT) | instid1(VALU_DEP_1)
	v_fmac_f32_e32 v3, v3, v22
	v_sub_f32_e32 v22, 0x3fc90fdb, v3
	s_delay_alu instid0(VALU_DEP_1) | instskip(NEXT) | instid1(VALU_DEP_1)
	v_cndmask_b32_e64 v3, v3, v22, s6
	v_sub_f32_e32 v22, 0x40490fdb, v3
	s_delay_alu instid0(VALU_DEP_1) | instskip(NEXT) | instid1(VALU_DEP_1)
	v_dual_cndmask_b32 v3, v3, v22 :: v_dual_mul_f32 v22, 0.5, v23
	v_cndmask_b32_e64 v15, v3, v24, s7
	s_delay_alu instid0(VALU_DEP_2) | instskip(SKIP_1) | instid1(VALU_DEP_1)
	v_dual_mul_f32 v3, v23, v22 :: v_dual_cndmask_b32 v24, 0x3f490fdb, v19
	s_and_b32 vcc_lo, s11, s10
	v_cndmask_b32_e32 v22, v15, v24, vcc_lo
.LBB175_142:                            ;   in Loop: Header=BB175_4 Depth=1
	s_or_b32 exec_lo, exec_lo, s9
.LBB175_143:                            ;   in Loop: Header=BB175_4 Depth=1
	s_delay_alu instid0(SALU_CYCLE_1)
	s_or_b32 exec_lo, exec_lo, s8
.LBB175_144:                            ;   in Loop: Header=BB175_4 Depth=1
	s_and_not1_saveexec_b32 s8, s28
	s_cbranch_execz .LBB175_146
; %bb.145:                              ;   in Loop: Header=BB175_4 Depth=1
	v_div_scale_f32 v3, null, 0x402df854, 0x402df854, v15
	v_div_scale_f32 v22, null, 0x402df854, 0x402df854, v16
	v_div_scale_f32 v27, vcc_lo, v15, 0x402df854, v15
	s_delay_alu instid0(VALU_DEP_3) | instskip(NEXT) | instid1(VALU_DEP_2)
	v_rcp_f32_e32 v23, v3
	v_rcp_f32_e32 v24, v22
	v_cmp_class_f32_e64 s9, v16, 0x204
	s_waitcnt_depctr 0xfff
	v_fma_f32 v25, -v3, v23, 1.0
	v_fma_f32 v26, -v22, v24, 1.0
	s_delay_alu instid0(VALU_DEP_1) | instskip(SKIP_1) | instid1(VALU_DEP_2)
	v_dual_fmac_f32 v23, v25, v23 :: v_dual_fmac_f32 v24, v26, v24
	v_div_scale_f32 v25, s7, v16, 0x402df854, v16
	v_mul_f32_e32 v26, v27, v23
	s_delay_alu instid0(VALU_DEP_1) | instskip(NEXT) | instid1(VALU_DEP_1)
	v_fma_f32 v29, -v3, v26, v27
	v_fmac_f32_e32 v26, v29, v23
	s_delay_alu instid0(VALU_DEP_1) | instskip(NEXT) | instid1(VALU_DEP_1)
	v_fma_f32 v3, -v3, v26, v27
	v_div_fmas_f32 v3, v3, v23, v26
	v_max_f32_e64 v26, |v15|, |v15|
	v_mul_f32_e32 v28, v25, v24
	s_mov_b32 vcc_lo, s7
	v_cmp_class_f32_e64 s7, v15, 0x204
	v_div_fixup_f32 v3, v3, 0x402df854, v15
	s_delay_alu instid0(VALU_DEP_3) | instskip(NEXT) | instid1(VALU_DEP_1)
	v_fma_f32 v30, -v22, v28, v25
	v_fmac_f32_e32 v28, v30, v24
	s_delay_alu instid0(VALU_DEP_1) | instskip(NEXT) | instid1(VALU_DEP_1)
	v_fma_f32 v22, -v22, v28, v25
	v_div_fmas_f32 v22, v22, v24, v28
	s_delay_alu instid0(VALU_DEP_1) | instskip(NEXT) | instid1(VALU_DEP_1)
	v_div_fixup_f32 v24, v22, 0x402df854, v16
	v_max_f32_e64 v25, |v3|, |v24|
	s_delay_alu instid0(VALU_DEP_1) | instskip(SKIP_1) | instid1(VALU_DEP_2)
	v_cvt_f64_f32_e32 v[22:23], v25
	v_cmp_neq_f32_e32 vcc_lo, 0x7f800000, v25
	v_frexp_exp_i32_f64_e32 v22, v[22:23]
	v_max_f32_e64 v23, |v16|, |v16|
	s_delay_alu instid0(VALU_DEP_1) | instskip(SKIP_1) | instid1(VALU_DEP_2)
	v_max_f32_e32 v27, v26, v23
	v_min_f32_e32 v23, v26, v23
	v_frexp_mant_f32_e32 v28, v27
	v_frexp_exp_i32_f32_e32 v27, v27
	s_delay_alu instid0(VALU_DEP_2) | instskip(SKIP_1) | instid1(VALU_DEP_1)
	v_rcp_f32_e32 v26, v28
	v_sub_nc_u32_e32 v28, 0, v22
	v_ldexp_f32 v24, |v24|, v28
	v_ldexp_f32 v3, |v3|, v28
	s_delay_alu instid0(VALU_DEP_2) | instskip(SKIP_2) | instid1(VALU_DEP_3)
	v_mul_f32_e32 v24, v24, v24
	v_frexp_exp_i32_f32_e32 v29, v23
	v_frexp_mant_f32_e32 v23, v23
	v_fmac_f32_e32 v24, v3, v3
	s_delay_alu instid0(VALU_DEP_3)
	v_sub_nc_u32_e32 v27, v29, v27
	s_delay_alu instid0(TRANS32_DEP_1) | instid1(VALU_DEP_3)
	v_mul_f32_e32 v23, v23, v26
	s_delay_alu instid0(VALU_DEP_3) | instskip(NEXT) | instid1(VALU_DEP_1)
	v_sqrt_f32_e32 v24, v24
	v_ldexp_f32 v23, v23, v27
	s_waitcnt_depctr 0xfff
	v_ldexp_f32 v22, v24, v22
	s_delay_alu instid0(VALU_DEP_1) | instskip(NEXT) | instid1(VALU_DEP_1)
	v_dual_mul_f32 v3, v23, v23 :: v_dual_cndmask_b32 v22, 0x7f800000, v22
	v_fmaak_f32 v26, s26, v3, 0xbc7a590c
	s_delay_alu instid0(VALU_DEP_2) | instskip(NEXT) | instid1(VALU_DEP_2)
	v_cmp_gt_f32_e32 vcc_lo, 0x800000, v22
	v_fmaak_f32 v26, v3, v26, 0x3d29fb3f
	v_cndmask_b32_e64 v25, 1.0, 0x4f800000, vcc_lo
	s_delay_alu instid0(VALU_DEP_1) | instskip(NEXT) | instid1(VALU_DEP_1)
	v_mul_f32_e32 v22, v22, v25
	v_log_f32_e32 v22, v22
	s_delay_alu instid0(VALU_DEP_3) | instskip(SKIP_1) | instid1(VALU_DEP_2)
	v_fmaak_f32 v24, v3, v26, 0xbd97d4d7
	v_cndmask_b32_e64 v26, 0, 0x41b17218, vcc_lo
	v_fmaak_f32 v24, v3, v24, 0x3dd931b2
	s_waitcnt_depctr 0xfff
	v_cmp_gt_f32_e64 vcc_lo, 0x7f800000, |v22|
	v_fmaak_f32 v24, v3, v24, 0xbe1160e6
	s_delay_alu instid0(VALU_DEP_1) | instskip(NEXT) | instid1(VALU_DEP_1)
	v_fmaak_f32 v24, v3, v24, 0x3e4cb8bf
	v_fmaak_f32 v24, v3, v24, 0xbeaaaa62
	s_delay_alu instid0(VALU_DEP_1) | instskip(NEXT) | instid1(VALU_DEP_1)
	v_mul_f32_e32 v3, v3, v24
	v_fmac_f32_e32 v23, v23, v3
	s_delay_alu instid0(VALU_DEP_1) | instskip(NEXT) | instid1(VALU_DEP_1)
	v_sub_f32_e32 v25, 0x3fc90fdb, v23
	v_cndmask_b32_e64 v23, v23, v25, s6
	v_cmp_gt_i32_e64 s6, 0, v15
	s_delay_alu instid0(VALU_DEP_1) | instskip(SKIP_2) | instid1(VALU_DEP_2)
	v_cndmask_b32_e64 v25, 0, 0x40490fdb, s6
	v_mul_f32_e32 v24, 0x3f317217, v22
	v_cmp_gt_f32_e64 s6, 0, v15
	v_fma_f32 v3, 0x3f317217, v22, -v24
	s_delay_alu instid0(VALU_DEP_1) | instskip(NEXT) | instid1(VALU_DEP_1)
	v_fmac_f32_e32 v3, 0x3377d1cf, v22
	v_add_f32_e32 v3, v24, v3
	s_delay_alu instid0(VALU_DEP_1) | instskip(SKIP_3) | instid1(VALU_DEP_4)
	v_cndmask_b32_e32 v3, v22, v3, vcc_lo
	v_sub_f32_e32 v24, 0x40490fdb, v23
	v_cmp_eq_f32_e32 vcc_lo, 0, v16
	v_cndmask_b32_e64 v22, 0x3f490fdb, v19, s6
	v_sub_f32_e32 v3, v3, v26
	s_delay_alu instid0(VALU_DEP_4) | instskip(NEXT) | instid1(VALU_DEP_2)
	v_cndmask_b32_e64 v15, v23, v24, s6
	v_add_f32_e32 v3, 1.0, v3
	s_delay_alu instid0(VALU_DEP_2) | instskip(SKIP_1) | instid1(VALU_DEP_1)
	v_cndmask_b32_e32 v15, v15, v25, vcc_lo
	s_and_b32 vcc_lo, s9, s7
	v_cndmask_b32_e32 v22, v15, v22, vcc_lo
.LBB175_146:                            ;   in Loop: Header=BB175_4 Depth=1
	s_or_b32 exec_lo, exec_lo, s8
	s_and_not1_saveexec_b32 s6, s27
	s_cbranch_execz .LBB175_116
.LBB175_147:                            ;   in Loop: Header=BB175_4 Depth=1
	v_cmp_ngt_f32_e64 s7, 0x20000000, |v15|
	v_cmp_ngt_f32_e64 s8, 0x20000000, |v16|
                                        ; implicit-def: $vgpr3
	s_delay_alu instid0(VALU_DEP_1) | instskip(NEXT) | instid1(SALU_CYCLE_1)
	s_or_b32 s7, s8, s7
	s_and_saveexec_b32 s8, s7
	s_delay_alu instid0(SALU_CYCLE_1)
	s_xor_b32 s7, exec_lo, s8
; %bb.148:                              ;   in Loop: Header=BB175_4 Depth=1
	v_mul_f32_e32 v3, v15, v15
	s_delay_alu instid0(VALU_DEP_1)
	v_fmac_f32_e32 v3, v16, v16
; %bb.149:                              ;   in Loop: Header=BB175_4 Depth=1
	s_and_not1_saveexec_b32 s7, s7
; %bb.150:                              ;   in Loop: Header=BB175_4 Depth=1
	v_mul_f32_e32 v3, 4.0, v15
	v_mul_f32_e32 v15, 4.0, v16
	s_delay_alu instid0(VALU_DEP_2) | instskip(NEXT) | instid1(VALU_DEP_1)
	v_mul_f32_e32 v3, v3, v3
	v_fmac_f32_e32 v3, v15, v15
	s_delay_alu instid0(VALU_DEP_1)
	v_mul_f32_e32 v3, 0x3d800000, v3
; %bb.151:                              ;   in Loop: Header=BB175_4 Depth=1
	s_or_b32 exec_lo, exec_lo, s7
	s_delay_alu instid0(VALU_DEP_1) | instskip(SKIP_1) | instid1(VALU_DEP_1)
	v_cmp_gt_f32_e32 vcc_lo, 0x800000, v3
	v_cndmask_b32_e64 v15, 1.0, 0x4f800000, vcc_lo
	v_mul_f32_e32 v3, v3, v15
	s_delay_alu instid0(VALU_DEP_1) | instskip(SKIP_2) | instid1(VALU_DEP_1)
	v_log_f32_e32 v3, v3
	s_waitcnt_depctr 0xfff
	v_mul_f32_e32 v15, 0x3f317217, v3
	v_fma_f32 v22, 0x3f317217, v3, -v15
	s_delay_alu instid0(VALU_DEP_1) | instskip(NEXT) | instid1(VALU_DEP_1)
	v_fmac_f32_e32 v22, 0x3377d1cf, v3
	v_add_f32_e32 v15, v15, v22
	v_cndmask_b32_e64 v22, 0, 0x41b17218, vcc_lo
	v_cmp_gt_f32_e64 vcc_lo, 0x7f800000, |v3|
	s_delay_alu instid0(VALU_DEP_3) | instskip(NEXT) | instid1(VALU_DEP_1)
	v_cndmask_b32_e32 v3, v3, v15, vcc_lo
	v_dual_sub_f32 v3, v3, v22 :: v_dual_mov_b32 v22, 0x7fc00000
	s_or_b32 exec_lo, exec_lo, s6
	s_and_saveexec_b32 s6, s2
	s_delay_alu instid0(SALU_CYCLE_1)
	s_xor_b32 s2, exec_lo, s6
	s_cbranch_execz .LBB175_117
.LBB175_152:                            ;   in Loop: Header=BB175_4 Depth=1
	v_add_co_u32 v1, vcc_lo, s13, v1
	v_bfi_b32 v18, 0x7fffffff, v18, v6
	v_add_co_ci_u32_e32 v2, vcc_lo, s20, v2, vcc_lo
	global_store_b64 v[1:2], v[17:18], off
	s_or_b32 exec_lo, exec_lo, s2
	s_and_saveexec_b32 s2, s3
	s_cbranch_execz .LBB175_118
.LBB175_153:                            ;   in Loop: Header=BB175_4 Depth=1
	v_add_co_u32 v1, vcc_lo, s13, v7
	v_bfi_b32 v6, 0x7fffffff, v20, v10
	v_add_co_ci_u32_e32 v2, vcc_lo, s20, v8, vcc_lo
	global_store_b64 v[1:2], v[5:6], off
	s_or_b32 exec_lo, exec_lo, s2
	s_and_saveexec_b32 s2, s4
	s_cbranch_execz .LBB175_119
.LBB175_154:                            ;   in Loop: Header=BB175_4 Depth=1
	v_add_co_u32 v1, vcc_lo, s13, v11
	v_bfi_b32 v10, 0x7fffffff, v21, v4
	v_add_co_ci_u32_e32 v2, vcc_lo, s20, v12, vcc_lo
	global_store_b64 v[1:2], v[9:10], off
	s_or_b32 exec_lo, exec_lo, s2
	s_and_saveexec_b32 s2, s5
	s_cbranch_execz .LBB175_3
.LBB175_155:                            ;   in Loop: Header=BB175_4 Depth=1
	v_add_co_u32 v1, vcc_lo, s13, v13
	v_bfi_b32 v4, 0x7fffffff, v22, v16
	v_add_co_ci_u32_e32 v2, vcc_lo, s20, v14, vcc_lo
	global_store_b64 v[1:2], v[3:4], off
	s_branch .LBB175_3
.LBB175_156:
	s_cbranch_execz .LBB175_158
	s_branch .LBB175_297
.LBB175_157:
.LBB175_158:
	v_dual_mov_b32 v2, 0 :: v_dual_lshlrev_b32 v1, 2, v0
	s_mov_b32 s7, 0
	s_mov_b32 s2, exec_lo
	s_delay_alu instid0(VALU_DEP_1)
	v_cmpx_gt_i64_e64 s[14:15], v[1:2]
	s_cbranch_execz .LBB175_297
; %bb.159:
	s_load_b32 s0, s[0:1], 0xd3c
	v_dual_mov_b32 v1, v2 :: v_dual_mov_b32 v20, 0x4016cbe4
	s_mov_b32 s8, 0x3e9b6dac
	s_mov_b32 s10, 0x3b2d2a58
	s_waitcnt lgkmcnt(0)
	s_and_b32 s9, s0, 0xffff
	s_branch .LBB175_162
.LBB175_160:                            ;   in Loop: Header=BB175_162 Depth=1
	s_or_b32 exec_lo, exec_lo, s1
	s_delay_alu instid0(VALU_DEP_1) | instskip(SKIP_1) | instid1(VALU_DEP_1)
	v_cmp_gt_f32_e32 vcc_lo, 0x800000, v2
	v_cndmask_b32_e64 v4, 1.0, 0x4f800000, vcc_lo
	v_mul_f32_e32 v2, v2, v4
	s_delay_alu instid0(VALU_DEP_1) | instskip(SKIP_2) | instid1(VALU_DEP_1)
	v_log_f32_e32 v2, v2
	s_waitcnt_depctr 0xfff
	v_mul_f32_e32 v4, 0x3f317217, v2
	v_fma_f32 v13, 0x3f317217, v2, -v4
	s_delay_alu instid0(VALU_DEP_1) | instskip(NEXT) | instid1(VALU_DEP_1)
	v_fmac_f32_e32 v13, 0x3377d1cf, v2
	v_add_f32_e32 v4, v4, v13
	v_cndmask_b32_e64 v13, 0, 0x41b17218, vcc_lo
	v_cmp_gt_f32_e64 vcc_lo, 0x7f800000, |v2|
	s_delay_alu instid0(VALU_DEP_3) | instskip(NEXT) | instid1(VALU_DEP_1)
	v_cndmask_b32_e32 v2, v2, v4, vcc_lo
	v_sub_f32_e32 v16, v2, v13
	v_mov_b32_e32 v2, 0x7fc00000
.LBB175_161:                            ;   in Loop: Header=BB175_162 Depth=1
	s_or_b32 exec_lo, exec_lo, s0
	v_add_co_u32 v0, vcc_lo, v0, s9
	v_add_co_ci_u32_e32 v1, vcc_lo, 0, v1, vcc_lo
	v_bfi_b32 v13, 0x7fffffff, v6, v9
	v_bfi_b32 v11, 0x7fffffff, v11, v7
	;; [unrolled: 1-line block ×3, first 2 shown]
	s_delay_alu instid0(VALU_DEP_4)
	v_lshlrev_b64 v[21:22], 2, v[0:1]
	v_bfi_b32 v17, 0x7fffffff, v2, v5
	s_clause 0x1
	global_store_b128 v[18:19], v[10:13], off
	global_store_b128 v[18:19], v[14:17], off offset:16
	v_cmp_le_i64_e32 vcc_lo, s[14:15], v[21:22]
	v_cmp_lt_u64_e64 s0, 0xffff, v[21:22]
	s_delay_alu instid0(VALU_DEP_1) | instskip(NEXT) | instid1(SALU_CYCLE_1)
	s_or_b32 s0, vcc_lo, s0
	s_and_b32 s0, exec_lo, s0
	s_delay_alu instid0(SALU_CYCLE_1) | instskip(NEXT) | instid1(SALU_CYCLE_1)
	s_or_b32 s7, s0, s7
	s_and_not1_b32 exec_lo, exec_lo, s7
	s_cbranch_execz .LBB175_297
.LBB175_162:                            ; =>This Loop Header: Depth=1
                                        ;     Child Loop BB175_173 Depth 2
                                        ;     Child Loop BB175_207 Depth 2
	;; [unrolled: 1-line block ×4, first 2 shown]
	v_lshlrev_b64 v[2:3], 5, v[0:1]
                                        ; implicit-def: $vgpr10
                                        ; implicit-def: $vgpr11
	s_mov_b32 s0, exec_lo
	s_delay_alu instid0(VALU_DEP_1) | instskip(NEXT) | instid1(VALU_DEP_2)
	v_add_co_u32 v18, vcc_lo, s13, v2
	v_add_co_ci_u32_e32 v19, vcc_lo, s20, v3, vcc_lo
	s_clause 0x1
	global_load_b128 v[6:9], v[18:19], off
	global_load_b128 v[2:5], v[18:19], off offset:16
	s_waitcnt vmcnt(1)
	v_cmpx_o_f32_e32 v7, v6
	s_xor_b32 s11, exec_lo, s0
	s_cbranch_execz .LBB175_190
; %bb.163:                              ;   in Loop: Header=BB175_162 Depth=1
	v_cmp_lt_f32_e64 s0, |v6|, |v7|
                                        ; implicit-def: $vgpr10
                                        ; implicit-def: $vgpr11
	s_mov_b32 s1, exec_lo
	s_delay_alu instid0(VALU_DEP_1) | instskip(NEXT) | instid1(VALU_DEP_1)
	v_cndmask_b32_e64 v12, |v7|, |v6|, s0
	v_cmpx_nlt_f32_e32 0x77f684df, v12
	s_xor_b32 s12, exec_lo, s1
	s_cbranch_execz .LBB175_187
; %bb.164:                              ;   in Loop: Header=BB175_162 Depth=1
	v_and_b32_e32 v10, 0x7fffffff, v7
                                        ; implicit-def: $vgpr11
	s_mov_b32 s1, exec_lo
	s_delay_alu instid0(VALU_DEP_1) | instskip(NEXT) | instid1(VALU_DEP_1)
	v_cndmask_b32_e64 v13, |v6|, v10, s0
                                        ; implicit-def: $vgpr10
	v_cmpx_neq_f32_e32 1.0, v13
	s_xor_b32 s16, exec_lo, s1
	s_cbranch_execz .LBB175_180
; %bb.165:                              ;   in Loop: Header=BB175_162 Depth=1
	v_dual_max_f32 v10, v12, v12 :: v_dual_max_f32 v11, v13, v13
	s_delay_alu instid0(VALU_DEP_1) | instskip(SKIP_1) | instid1(VALU_DEP_2)
	v_min_f32_e32 v14, v11, v10
	v_max_f32_e32 v10, v11, v10
                                        ; implicit-def: $vgpr11
	v_cmp_ngt_f32_e32 vcc_lo, 0x358637bd, v14
	s_delay_alu instid0(VALU_DEP_2) | instskip(NEXT) | instid1(VALU_DEP_1)
	v_cmp_nlt_f32_e64 s1, 0x49742400, v10
                                        ; implicit-def: $vgpr10
	s_and_b32 s1, s1, vcc_lo
	s_delay_alu instid0(SALU_CYCLE_1) | instskip(NEXT) | instid1(SALU_CYCLE_1)
	s_and_saveexec_b32 s2, s1
	s_xor_b32 s17, exec_lo, s2
	s_cbranch_execz .LBB175_177
; %bb.166:                              ;   in Loop: Header=BB175_162 Depth=1
                                        ; implicit-def: $vgpr10
                                        ; implicit-def: $vgpr11
	s_mov_b32 s1, exec_lo
	v_cmpx_le_f32_e32 1.0, v13
	s_xor_b32 s2, exec_lo, s1
	s_cbranch_execz .LBB175_168
; %bb.167:                              ;   in Loop: Header=BB175_162 Depth=1
	v_add_f32_e32 v10, -1.0, v13
	v_add_f32_e32 v11, 1.0, v13
	v_cmp_class_f32_e64 s3, v6, 0x204
	s_delay_alu instid0(VALU_DEP_2) | instskip(NEXT) | instid1(VALU_DEP_1)
	v_mul_f32_e32 v13, v10, v11
	v_fmac_f32_e32 v13, v12, v12
	s_delay_alu instid0(VALU_DEP_1) | instskip(SKIP_1) | instid1(VALU_DEP_2)
	v_add_f32_e32 v12, 1.0, v13
	v_cmp_neq_f32_e64 s1, -1.0, v13
	v_cvt_f64_f32_e32 v[10:11], v12
	s_delay_alu instid0(VALU_DEP_1) | instskip(SKIP_1) | instid1(VALU_DEP_1)
	v_frexp_exp_i32_f64_e32 v10, v[10:11]
	v_frexp_mant_f32_e32 v11, v12
	v_cmp_gt_f32_e32 vcc_lo, 0x3f2aaaab, v11
	v_add_f32_e32 v11, -1.0, v12
	s_delay_alu instid0(VALU_DEP_1) | instskip(SKIP_1) | instid1(VALU_DEP_2)
	v_sub_f32_e32 v15, v11, v12
	v_sub_f32_e32 v11, v13, v11
	v_add_f32_e32 v15, 1.0, v15
	v_subrev_co_ci_u32_e32 v10, vcc_lo, 0, v10, vcc_lo
	v_cmp_eq_f32_e32 vcc_lo, 0x7f800000, v13
	s_delay_alu instid0(VALU_DEP_2) | instskip(SKIP_1) | instid1(VALU_DEP_2)
	v_sub_nc_u32_e32 v14, 0, v10
	v_cvt_f32_i32_e32 v10, v10
	v_ldexp_f32 v12, v12, v14
	s_delay_alu instid0(VALU_DEP_1) | instskip(NEXT) | instid1(VALU_DEP_1)
	v_dual_add_f32 v16, 1.0, v12 :: v_dual_add_f32 v11, v11, v15
	v_add_f32_e32 v15, -1.0, v16
	s_delay_alu instid0(VALU_DEP_2) | instskip(NEXT) | instid1(VALU_DEP_2)
	v_ldexp_f32 v11, v11, v14
	v_dual_add_f32 v14, -1.0, v12 :: v_dual_sub_f32 v15, v12, v15
	s_delay_alu instid0(VALU_DEP_1) | instskip(NEXT) | instid1(VALU_DEP_1)
	v_add_f32_e32 v17, 1.0, v14
	v_dual_add_f32 v15, v11, v15 :: v_dual_sub_f32 v12, v12, v17
	s_delay_alu instid0(VALU_DEP_1) | instskip(NEXT) | instid1(VALU_DEP_2)
	v_add_f32_e32 v17, v16, v15
	v_add_f32_e32 v11, v11, v12
	s_delay_alu instid0(VALU_DEP_2) | instskip(NEXT) | instid1(VALU_DEP_1)
	v_rcp_f32_e32 v12, v17
	v_dual_sub_f32 v16, v17, v16 :: v_dual_add_f32 v21, v14, v11
	s_delay_alu instid0(VALU_DEP_1) | instskip(SKIP_2) | instid1(VALU_DEP_1)
	v_dual_sub_f32 v15, v15, v16 :: v_dual_sub_f32 v14, v21, v14
	s_waitcnt_depctr 0xfff
	v_dual_mul_f32 v22, v21, v12 :: v_dual_sub_f32 v11, v11, v14
	v_mul_f32_e32 v23, v17, v22
	s_delay_alu instid0(VALU_DEP_1) | instskip(NEXT) | instid1(VALU_DEP_1)
	v_fma_f32 v16, v22, v17, -v23
	v_fmac_f32_e32 v16, v22, v15
	s_delay_alu instid0(VALU_DEP_1) | instskip(NEXT) | instid1(VALU_DEP_1)
	v_add_f32_e32 v24, v23, v16
	v_dual_sub_f32 v25, v21, v24 :: v_dual_sub_f32 v14, v24, v23
	s_delay_alu instid0(VALU_DEP_1) | instskip(NEXT) | instid1(VALU_DEP_1)
	v_dual_sub_f32 v21, v21, v25 :: v_dual_sub_f32 v14, v14, v16
	v_sub_f32_e32 v21, v21, v24
	s_delay_alu instid0(VALU_DEP_1) | instskip(NEXT) | instid1(VALU_DEP_1)
	v_add_f32_e32 v11, v11, v21
	v_add_f32_e32 v11, v14, v11
	s_delay_alu instid0(VALU_DEP_1) | instskip(NEXT) | instid1(VALU_DEP_1)
	v_add_f32_e32 v14, v25, v11
	v_mul_f32_e32 v16, v12, v14
	v_sub_f32_e32 v24, v25, v14
	s_delay_alu instid0(VALU_DEP_2) | instskip(NEXT) | instid1(VALU_DEP_2)
	v_mul_f32_e32 v21, v17, v16
	v_add_f32_e32 v11, v11, v24
	s_delay_alu instid0(VALU_DEP_2) | instskip(NEXT) | instid1(VALU_DEP_1)
	v_fma_f32 v17, v16, v17, -v21
	v_fmac_f32_e32 v17, v16, v15
	s_delay_alu instid0(VALU_DEP_1) | instskip(NEXT) | instid1(VALU_DEP_1)
	v_add_f32_e32 v15, v21, v17
	v_sub_f32_e32 v23, v14, v15
	s_delay_alu instid0(VALU_DEP_1) | instskip(NEXT) | instid1(VALU_DEP_1)
	v_dual_sub_f32 v21, v15, v21 :: v_dual_sub_f32 v14, v14, v23
	v_dual_sub_f32 v14, v14, v15 :: v_dual_sub_f32 v15, v21, v17
	v_max_f32_e64 v17, |v7|, |v7|
	s_delay_alu instid0(VALU_DEP_2) | instskip(NEXT) | instid1(VALU_DEP_1)
	v_dual_add_f32 v11, v11, v14 :: v_dual_add_f32 v14, v22, v16
	v_add_f32_e32 v11, v15, v11
	s_delay_alu instid0(VALU_DEP_2) | instskip(NEXT) | instid1(VALU_DEP_2)
	v_sub_f32_e32 v15, v14, v22
	v_add_f32_e32 v11, v23, v11
	s_delay_alu instid0(VALU_DEP_2) | instskip(SKIP_1) | instid1(VALU_DEP_3)
	v_sub_f32_e32 v15, v16, v15
	v_mul_f32_e32 v23, 0x3f317218, v10
	v_mul_f32_e32 v11, v12, v11
	s_delay_alu instid0(VALU_DEP_2) | instskip(NEXT) | instid1(VALU_DEP_1)
	v_fma_f32 v24, 0x3f317218, v10, -v23
	v_dual_add_f32 v11, v15, v11 :: v_dual_fmac_f32 v24, 0xb102e308, v10
	s_delay_alu instid0(VALU_DEP_1) | instskip(NEXT) | instid1(VALU_DEP_1)
	v_add_f32_e32 v12, v14, v11
	v_mul_f32_e32 v15, v12, v12
	v_ldexp_f32 v22, v12, 1
	s_delay_alu instid0(VALU_DEP_2) | instskip(SKIP_1) | instid1(VALU_DEP_2)
	v_fmaak_f32 v16, s8, v15, 0x3ecc95a3
	v_mul_f32_e32 v21, v12, v15
	v_dual_sub_f32 v12, v12, v14 :: v_dual_fmaak_f32 v15, v15, v16, 0x3f2aaada
	v_max_f32_e64 v16, |v6|, |v6|
	s_delay_alu instid0(VALU_DEP_2) | instskip(NEXT) | instid1(VALU_DEP_3)
	v_sub_f32_e32 v11, v11, v12
	v_mul_f32_e32 v15, v21, v15
	s_delay_alu instid0(VALU_DEP_3) | instskip(SKIP_1) | instid1(VALU_DEP_4)
	v_max_f32_e32 v21, v16, v17
	v_min_f32_e32 v16, v16, v17
	v_ldexp_f32 v11, v11, 1
	s_delay_alu instid0(VALU_DEP_4) | instskip(NEXT) | instid1(VALU_DEP_4)
	v_add_f32_e32 v14, v22, v15
	v_frexp_mant_f32_e32 v17, v21
	v_frexp_exp_i32_f32_e32 v21, v21
	s_delay_alu instid0(VALU_DEP_3) | instskip(NEXT) | instid1(VALU_DEP_3)
	v_sub_f32_e32 v12, v14, v22
	v_rcp_f32_e32 v17, v17
	v_frexp_exp_i32_f32_e32 v22, v16
	s_delay_alu instid0(VALU_DEP_2) | instskip(SKIP_1) | instid1(VALU_DEP_3)
	v_sub_f32_e32 v12, v15, v12
	v_frexp_mant_f32_e32 v15, v16
	v_sub_nc_u32_e32 v16, v22, v21
	s_delay_alu instid0(VALU_DEP_3) | instskip(SKIP_3) | instid1(VALU_DEP_2)
	v_add_f32_e32 v10, v11, v12
	s_waitcnt_depctr 0xfff
	v_mul_f32_e32 v11, v15, v17
	v_dual_add_f32 v12, v23, v24 :: v_dual_add_f32 v15, v14, v10
	v_ldexp_f32 v11, v11, v16
	s_delay_alu instid0(VALU_DEP_2) | instskip(NEXT) | instid1(VALU_DEP_2)
	v_add_f32_e32 v16, v12, v15
	v_mul_f32_e32 v17, v11, v11
	s_delay_alu instid0(VALU_DEP_2) | instskip(NEXT) | instid1(VALU_DEP_2)
	v_dual_sub_f32 v14, v15, v14 :: v_dual_sub_f32 v21, v16, v12
	v_fmaak_f32 v22, s10, v17, 0xbc7a590c
	s_delay_alu instid0(VALU_DEP_2) | instskip(SKIP_1) | instid1(VALU_DEP_3)
	v_dual_sub_f32 v10, v10, v14 :: v_dual_sub_f32 v25, v16, v21
	v_dual_sub_f32 v14, v15, v21 :: v_dual_sub_f32 v23, v12, v23
	v_fmaak_f32 v22, v17, v22, 0x3d29fb3f
	s_delay_alu instid0(VALU_DEP_3) | instskip(NEXT) | instid1(VALU_DEP_3)
	v_sub_f32_e32 v12, v12, v25
	v_sub_f32_e32 v23, v24, v23
	s_delay_alu instid0(VALU_DEP_2) | instskip(NEXT) | instid1(VALU_DEP_1)
	v_dual_fmaak_f32 v15, v17, v22, 0xbd97d4d7 :: v_dual_add_f32 v12, v14, v12
	v_dual_add_f32 v21, v23, v10 :: v_dual_fmaak_f32 v14, v17, v15, 0x3dd931b2
	s_delay_alu instid0(VALU_DEP_1) | instskip(NEXT) | instid1(VALU_DEP_3)
	v_sub_f32_e32 v15, v21, v23
	v_add_f32_e32 v12, v21, v12
	s_delay_alu instid0(VALU_DEP_1) | instskip(NEXT) | instid1(VALU_DEP_1)
	v_dual_sub_f32 v21, v21, v15 :: v_dual_add_f32 v22, v16, v12
	v_dual_sub_f32 v10, v10, v15 :: v_dual_sub_f32 v15, v23, v21
	s_delay_alu instid0(VALU_DEP_2) | instskip(NEXT) | instid1(VALU_DEP_2)
	v_sub_f32_e32 v16, v22, v16
	v_add_f32_e32 v10, v10, v15
	s_delay_alu instid0(VALU_DEP_2) | instskip(NEXT) | instid1(VALU_DEP_1)
	v_sub_f32_e32 v12, v12, v16
	v_add_f32_e32 v10, v10, v12
	v_fmaak_f32 v14, v17, v14, 0xbe1160e6
	s_delay_alu instid0(VALU_DEP_2) | instskip(NEXT) | instid1(VALU_DEP_2)
	v_add_f32_e32 v10, v22, v10
	v_fmaak_f32 v14, v17, v14, 0x3e4cb8bf
	s_delay_alu instid0(VALU_DEP_2) | instskip(NEXT) | instid1(VALU_DEP_2)
	v_cndmask_b32_e32 v10, v10, v13, vcc_lo
	v_fmaak_f32 v14, v17, v14, 0xbeaaaa62
	v_cmp_gt_i32_e32 vcc_lo, 0, v6
	s_delay_alu instid0(VALU_DEP_2) | instskip(NEXT) | instid1(VALU_DEP_1)
	v_mul_f32_e32 v14, v17, v14
	v_fmac_f32_e32 v11, v11, v14
	s_delay_alu instid0(VALU_DEP_1) | instskip(NEXT) | instid1(VALU_DEP_1)
	v_sub_f32_e32 v12, 0x3fc90fdb, v11
	v_cndmask_b32_e64 v11, v11, v12, s0
	v_cndmask_b32_e64 v12, 0, 0x40490fdb, vcc_lo
	v_cmp_ngt_f32_e32 vcc_lo, -1.0, v13
	s_delay_alu instid0(VALU_DEP_3) | instskip(SKIP_2) | instid1(VALU_DEP_2)
	v_sub_f32_e32 v14, 0x40490fdb, v11
	v_cndmask_b32_e32 v10, 0x7fc00000, v10, vcc_lo
	v_cmp_gt_f32_e32 vcc_lo, 0, v6
	v_cndmask_b32_e64 v10, 0xff800000, v10, s1
	s_delay_alu instid0(VALU_DEP_4)
	v_cndmask_b32_e32 v11, v11, v14, vcc_lo
	v_cndmask_b32_e32 v14, 0x3f490fdb, v20, vcc_lo
	v_cmp_gt_f32_e64 vcc_lo, 0x33800000, |v13|
	v_cmp_class_f32_e64 s1, v7, 0x204
	v_cndmask_b32_e32 v10, v10, v13, vcc_lo
	v_cmp_eq_f32_e32 vcc_lo, 0, v7
                                        ; implicit-def: $vgpr13
	s_delay_alu instid0(VALU_DEP_2) | instskip(NEXT) | instid1(VALU_DEP_4)
	v_dual_mul_f32 v10, 0.5, v10 :: v_dual_cndmask_b32 v11, v11, v12
	s_and_b32 vcc_lo, s3, s1
                                        ; implicit-def: $vgpr12
	s_delay_alu instid0(VALU_DEP_1)
	v_cndmask_b32_e32 v11, v11, v14, vcc_lo
.LBB175_168:                            ;   in Loop: Header=BB175_162 Depth=1
	s_and_not1_saveexec_b32 s18, s2
	s_cbranch_execz .LBB175_176
; %bb.169:                              ;   in Loop: Header=BB175_162 Depth=1
	v_mul_f32_e32 v14, v12, v12
                                        ; implicit-def: $vgpr10
                                        ; implicit-def: $vgpr11
	s_mov_b32 s1, exec_lo
	s_delay_alu instid0(VALU_DEP_1) | instskip(NEXT) | instid1(VALU_DEP_1)
	v_fmac_f32_e32 v14, v13, v13
	v_cmpx_ge_f32_e32 0x3f333333, v14
	s_xor_b32 s2, exec_lo, s1
	s_cbranch_execz .LBB175_171
; %bb.170:                              ;   in Loop: Header=BB175_162 Depth=1
	v_max_f32_e64 v10, |v7|, |v7|
	v_max_f32_e64 v11, |v6|, |v6|
	v_cmp_gt_f32_e32 vcc_lo, 0x800000, v14
	v_cmp_gt_i32_e64 s1, 0, v6
	v_cmp_class_f32_e64 s3, v6, 0x204
	v_cmp_class_f32_e64 s4, v7, 0x204
	v_max_f32_e32 v12, v11, v10
	v_min_f32_e32 v10, v11, v10
	v_cndmask_b32_e64 v15, 0, 0x41b17218, vcc_lo
	s_delay_alu instid0(VALU_DEP_3) | instskip(SKIP_1) | instid1(VALU_DEP_2)
	v_frexp_mant_f32_e32 v13, v12
	v_frexp_exp_i32_f32_e32 v12, v12
	v_rcp_f32_e32 v11, v13
	v_frexp_exp_i32_f32_e32 v13, v10
	v_frexp_mant_f32_e32 v10, v10
	s_delay_alu instid0(VALU_DEP_2) | instskip(SKIP_4) | instid1(VALU_DEP_2)
	v_sub_nc_u32_e32 v12, v13, v12
	v_cndmask_b32_e64 v13, 1.0, 0x4f800000, vcc_lo
	s_waitcnt_depctr 0xfff
	v_mul_f32_e32 v10, v10, v11
	v_mul_f32_e32 v13, v14, v13
	v_ldexp_f32 v10, v10, v12
	s_delay_alu instid0(VALU_DEP_2) | instskip(NEXT) | instid1(VALU_DEP_1)
	v_log_f32_e32 v13, v13
	v_mul_f32_e32 v11, v10, v10
	s_delay_alu instid0(VALU_DEP_1) | instskip(SKIP_3) | instid1(VALU_DEP_1)
	v_fmaak_f32 v12, s10, v11, 0xbc7a590c
	s_waitcnt_depctr 0xfff
	v_cmp_gt_f32_e64 vcc_lo, 0x7f800000, |v13|
	v_fmaak_f32 v12, v11, v12, 0x3d29fb3f
	v_fmaak_f32 v12, v11, v12, 0xbd97d4d7
	s_delay_alu instid0(VALU_DEP_1) | instskip(NEXT) | instid1(VALU_DEP_1)
	v_fmaak_f32 v12, v11, v12, 0x3dd931b2
	v_fmaak_f32 v12, v11, v12, 0xbe1160e6
	s_delay_alu instid0(VALU_DEP_1) | instskip(NEXT) | instid1(VALU_DEP_1)
	;; [unrolled: 3-line block ×3, first 2 shown]
	v_dual_mul_f32 v11, v11, v12 :: v_dual_mul_f32 v12, 0x3f317217, v13
	v_fmac_f32_e32 v10, v10, v11
	s_delay_alu instid0(VALU_DEP_2) | instskip(NEXT) | instid1(VALU_DEP_1)
	v_fma_f32 v11, 0x3f317217, v13, -v12
	v_fmac_f32_e32 v11, 0x3377d1cf, v13
	s_delay_alu instid0(VALU_DEP_1) | instskip(SKIP_2) | instid1(VALU_DEP_3)
	v_add_f32_e32 v11, v12, v11
	v_cndmask_b32_e64 v12, 0, 0x40490fdb, s1
	v_cmp_eq_f32_e64 s1, 0, v7
	v_cndmask_b32_e32 v11, v13, v11, vcc_lo
	v_cmp_gt_f32_e32 vcc_lo, 0, v6
	s_delay_alu instid0(VALU_DEP_2) | instskip(SKIP_2) | instid1(VALU_DEP_1)
	v_sub_f32_e32 v11, v11, v15
	v_cndmask_b32_e32 v13, 0x3f490fdb, v20, vcc_lo
	v_sub_f32_e32 v14, 0x3fc90fdb, v10
	v_cndmask_b32_e64 v10, v10, v14, s0
	s_delay_alu instid0(VALU_DEP_1) | instskip(NEXT) | instid1(VALU_DEP_1)
	v_sub_f32_e32 v14, 0x40490fdb, v10
	v_cndmask_b32_e32 v10, v10, v14, vcc_lo
	s_and_b32 vcc_lo, s3, s4
	s_delay_alu instid0(VALU_DEP_1) | instskip(NEXT) | instid1(VALU_DEP_1)
	v_cndmask_b32_e64 v12, v10, v12, s1
	v_dual_mul_f32 v10, 0.5, v11 :: v_dual_cndmask_b32 v11, v12, v13
                                        ; implicit-def: $vgpr13
                                        ; implicit-def: $vgpr12
.LBB175_171:                            ;   in Loop: Header=BB175_162 Depth=1
	s_and_not1_saveexec_b32 s19, s2
	s_cbranch_execz .LBB175_175
; %bb.172:                              ;   in Loop: Header=BB175_162 Depth=1
	v_and_b32_e32 v14, 0x7fff0000, v12
	v_and_b32_e32 v11, 0x7fff0000, v13
	s_mov_b32 s21, 0
	s_delay_alu instid0(VALU_DEP_1) | instskip(SKIP_2) | instid1(VALU_DEP_3)
	v_dual_add_f32 v24, v14, v14 :: v_dual_sub_f32 v13, v13, v11
	v_dual_sub_f32 v15, v12, v14 :: v_dual_mul_f32 v10, v11, v11
	v_dual_add_f32 v21, v11, v11 :: v_dual_mul_f32 v12, v14, v14
	v_and_b32_e32 v16, 0xffff0000, v13
	s_delay_alu instid0(VALU_DEP_1) | instskip(NEXT) | instid1(VALU_DEP_1)
	v_dual_sub_f32 v14, v13, v16 :: v_dual_and_b32 v17, 0xffff0000, v15
	v_sub_f32_e32 v25, v15, v17
	v_dual_mul_f32 v13, v16, v16 :: v_dual_add_f32 v26, v17, v17
	v_dual_add_f32 v15, v16, v16 :: v_dual_mul_f32 v22, v17, v17
	v_mul_f32_e32 v23, v21, v16
	v_dual_mul_f32 v11, v24, v17 :: v_dual_mul_f32 v16, v21, v14
	v_mul_f32_e32 v21, v24, v25
	s_delay_alu instid0(VALU_DEP_4)
	v_dual_mul_f32 v17, v15, v14 :: v_dual_mul_f32 v24, v25, v25
	v_mul_f32_e32 v15, v26, v25
	v_mul_f32_e32 v14, v14, v14
.LBB175_173:                            ;   Parent Loop BB175_162 Depth=1
                                        ; =>  This Inner Loop Header: Depth=2
	v_cmp_nlt_f32_e32 vcc_lo, v10, v12
	s_delay_alu instid0(VALU_DEP_4) | instskip(SKIP_1) | instid1(VALU_DEP_2)
	v_dual_mov_b32 v26, v24 :: v_dual_cndmask_b32 v25, v10, v12
	v_cndmask_b32_e32 v10, v12, v10, vcc_lo
	v_cmp_nlt_f32_e64 s1, v25, v23
	s_delay_alu instid0(VALU_DEP_1) | instskip(SKIP_2) | instid1(VALU_DEP_2)
	v_cndmask_b32_e64 v24, v25, v23, s1
	v_cndmask_b32_e64 v12, v23, v25, s1
	s_and_b32 s22, vcc_lo, s1
	v_cmp_nlt_f32_e64 s2, v24, v11
	s_delay_alu instid0(VALU_DEP_1) | instskip(SKIP_1) | instid1(VALU_DEP_2)
	v_cndmask_b32_e64 v27, v24, v11, s2
	v_cndmask_b32_e64 v23, v11, v24, s2
	v_cmp_nlt_f32_e64 s3, v27, v13
	s_delay_alu instid0(VALU_DEP_1) | instskip(SKIP_2) | instid1(VALU_DEP_2)
	v_cndmask_b32_e64 v25, v27, v13, s3
	v_cndmask_b32_e64 v11, v13, v27, s3
	s_and_b32 s23, s2, s3
	v_cmp_nlt_f32_e64 s4, v25, v22
	s_delay_alu instid0(VALU_DEP_1) | instskip(SKIP_1) | instid1(VALU_DEP_2)
	v_cndmask_b32_e64 v28, v25, v22, s4
	v_cndmask_b32_e64 v13, v22, v25, s4
	v_cmp_nlt_f32_e64 s5, v28, v16
	s_delay_alu instid0(VALU_DEP_1) | instskip(SKIP_2) | instid1(VALU_DEP_2)
	v_cndmask_b32_e64 v29, v28, v16, s5
	s_and_b32 s3, s4, s5
	v_cndmask_b32_e64 v22, v16, v28, s5
	v_cmp_nlt_f32_e64 s6, v29, v21
	s_delay_alu instid0(VALU_DEP_1) | instskip(SKIP_2) | instid1(VALU_DEP_2)
	v_cndmask_b32_e64 v30, v29, v21, s6
	s_and_b32 s3, s3, s6
	v_cndmask_b32_e64 v16, v21, v29, s6
	v_cmp_nlt_f32_e32 vcc_lo, v30, v17
	v_cndmask_b32_e32 v31, v30, v17, vcc_lo
	s_and_b32 s4, s3, vcc_lo
	v_cndmask_b32_e32 v21, v17, v30, vcc_lo
	s_delay_alu instid0(VALU_DEP_2) | instskip(NEXT) | instid1(VALU_DEP_1)
	v_cmp_nlt_f32_e64 s1, v31, v15
	v_cndmask_b32_e64 v27, v31, v15, s1
	s_and_b32 s4, s4, s1
	v_cndmask_b32_e64 v17, v15, v31, s1
	s_delay_alu instid0(VALU_DEP_2) | instskip(NEXT) | instid1(VALU_DEP_1)
	v_cmp_nlt_f32_e64 s2, v27, v14
	v_cndmask_b32_e64 v25, v27, v14, s2
	s_and_b32 s4, s4, s2
	v_cndmask_b32_e64 v15, v14, v27, s2
	s_delay_alu instid0(VALU_DEP_2) | instskip(NEXT) | instid1(VALU_DEP_1)
	v_cmp_nlt_f32_e64 s3, v25, v26
	s_and_b32 s4, s4, s3
	v_cndmask_b32_e64 v24, v25, v26, s3
	s_and_b32 s1, s4, s23
	v_cndmask_b32_e64 v14, v26, v25, s3
	s_and_b32 s1, s1, s22
	s_delay_alu instid0(SALU_CYCLE_1) | instskip(NEXT) | instid1(SALU_CYCLE_1)
	s_and_b32 s1, exec_lo, s1
	s_or_b32 s21, s1, s21
	s_delay_alu instid0(SALU_CYCLE_1)
	s_and_not1_b32 exec_lo, exec_lo, s21
	s_cbranch_execnz .LBB175_173
; %bb.174:                              ;   in Loop: Header=BB175_162 Depth=1
	s_or_b32 exec_lo, exec_lo, s21
	v_add_f32_e32 v10, -1.0, v10
	v_cmp_class_f32_e64 s2, v6, 0x204
	s_delay_alu instid0(VALU_DEP_2) | instskip(NEXT) | instid1(VALU_DEP_1)
	v_add_f32_e32 v10, v10, v12
	v_add_f32_e32 v10, v10, v23
	s_delay_alu instid0(VALU_DEP_1) | instskip(NEXT) | instid1(VALU_DEP_1)
	v_add_f32_e32 v10, v10, v11
	v_add_f32_e32 v10, v10, v13
	s_delay_alu instid0(VALU_DEP_1) | instskip(NEXT) | instid1(VALU_DEP_1)
	;; [unrolled: 3-line block ×5, first 2 shown]
	v_add_f32_e32 v12, v24, v10
	v_add_f32_e32 v13, 1.0, v12
	s_delay_alu instid0(VALU_DEP_1) | instskip(NEXT) | instid1(VALU_DEP_1)
	v_cvt_f64_f32_e32 v[10:11], v13
	v_frexp_exp_i32_f64_e32 v10, v[10:11]
	v_frexp_mant_f32_e32 v11, v13
	s_delay_alu instid0(VALU_DEP_1) | instskip(SKIP_1) | instid1(VALU_DEP_1)
	v_cmp_gt_f32_e32 vcc_lo, 0x3f2aaaab, v11
	v_add_f32_e32 v11, -1.0, v13
	v_sub_f32_e32 v15, v11, v13
	v_sub_f32_e32 v11, v12, v11
	s_delay_alu instid0(VALU_DEP_2) | instskip(NEXT) | instid1(VALU_DEP_1)
	v_add_f32_e32 v15, 1.0, v15
	v_add_f32_e32 v11, v11, v15
	v_subrev_co_ci_u32_e32 v10, vcc_lo, 0, v10, vcc_lo
	s_delay_alu instid0(VALU_DEP_1) | instskip(SKIP_1) | instid1(VALU_DEP_2)
	v_sub_nc_u32_e32 v14, 0, v10
	v_cvt_f32_i32_e32 v10, v10
	v_ldexp_f32 v13, v13, v14
	v_ldexp_f32 v11, v11, v14
	s_delay_alu instid0(VALU_DEP_2) | instskip(NEXT) | instid1(VALU_DEP_1)
	v_add_f32_e32 v14, -1.0, v13
	v_dual_add_f32 v16, 1.0, v13 :: v_dual_add_f32 v17, 1.0, v14
	s_delay_alu instid0(VALU_DEP_1) | instskip(NEXT) | instid1(VALU_DEP_1)
	v_add_f32_e32 v15, -1.0, v16
	v_sub_f32_e32 v15, v13, v15
	s_delay_alu instid0(VALU_DEP_3) | instskip(NEXT) | instid1(VALU_DEP_2)
	v_sub_f32_e32 v13, v13, v17
	v_add_f32_e32 v15, v11, v15
	s_delay_alu instid0(VALU_DEP_2) | instskip(SKIP_2) | instid1(VALU_DEP_3)
	v_add_f32_e32 v11, v11, v13
	v_cmp_eq_f32_e32 vcc_lo, 0x7f800000, v12
	v_cmp_neq_f32_e64 s1, -1.0, v12
	v_add_f32_e32 v21, v14, v11
	s_delay_alu instid0(VALU_DEP_1) | instskip(NEXT) | instid1(VALU_DEP_1)
	v_dual_add_f32 v17, v16, v15 :: v_dual_sub_f32 v14, v21, v14
	v_rcp_f32_e32 v13, v17
	s_delay_alu instid0(VALU_DEP_1) | instskip(SKIP_2) | instid1(VALU_DEP_1)
	v_dual_sub_f32 v16, v17, v16 :: v_dual_sub_f32 v11, v11, v14
	s_waitcnt_depctr 0xfff
	v_dual_sub_f32 v15, v15, v16 :: v_dual_mul_f32 v22, v21, v13
	v_mul_f32_e32 v23, v17, v22
	s_delay_alu instid0(VALU_DEP_1) | instskip(NEXT) | instid1(VALU_DEP_1)
	v_fma_f32 v16, v22, v17, -v23
	v_fmac_f32_e32 v16, v22, v15
	s_delay_alu instid0(VALU_DEP_1) | instskip(NEXT) | instid1(VALU_DEP_1)
	v_add_f32_e32 v24, v23, v16
	v_sub_f32_e32 v25, v21, v24
	s_delay_alu instid0(VALU_DEP_1) | instskip(NEXT) | instid1(VALU_DEP_1)
	v_dual_sub_f32 v21, v21, v25 :: v_dual_sub_f32 v14, v24, v23
	v_sub_f32_e32 v21, v21, v24
	s_delay_alu instid0(VALU_DEP_1) | instskip(NEXT) | instid1(VALU_DEP_1)
	v_dual_sub_f32 v14, v14, v16 :: v_dual_add_f32 v11, v11, v21
	v_add_f32_e32 v11, v14, v11
	s_delay_alu instid0(VALU_DEP_1) | instskip(NEXT) | instid1(VALU_DEP_1)
	v_add_f32_e32 v14, v25, v11
	v_mul_f32_e32 v16, v13, v14
	s_delay_alu instid0(VALU_DEP_1) | instskip(NEXT) | instid1(VALU_DEP_1)
	v_mul_f32_e32 v21, v17, v16
	v_fma_f32 v17, v16, v17, -v21
	s_delay_alu instid0(VALU_DEP_1) | instskip(NEXT) | instid1(VALU_DEP_1)
	v_fmac_f32_e32 v17, v16, v15
	v_add_f32_e32 v15, v21, v17
	v_sub_f32_e32 v24, v25, v14
	s_delay_alu instid0(VALU_DEP_1) | instskip(NEXT) | instid1(VALU_DEP_3)
	v_add_f32_e32 v11, v11, v24
	v_sub_f32_e32 v23, v14, v15
	s_delay_alu instid0(VALU_DEP_1) | instskip(NEXT) | instid1(VALU_DEP_1)
	v_sub_f32_e32 v14, v14, v23
	v_sub_f32_e32 v14, v14, v15
	s_delay_alu instid0(VALU_DEP_1) | instskip(SKIP_1) | instid1(VALU_DEP_1)
	v_dual_add_f32 v11, v11, v14 :: v_dual_add_f32 v14, v22, v16
	v_sub_f32_e32 v21, v15, v21
	v_sub_f32_e32 v15, v21, v17
	v_max_f32_e64 v17, |v7|, |v7|
	s_delay_alu instid0(VALU_DEP_2) | instskip(SKIP_1) | instid1(VALU_DEP_2)
	v_add_f32_e32 v11, v15, v11
	v_sub_f32_e32 v15, v14, v22
	v_add_f32_e32 v11, v23, v11
	s_delay_alu instid0(VALU_DEP_2) | instskip(SKIP_1) | instid1(VALU_DEP_3)
	v_sub_f32_e32 v15, v16, v15
	v_mul_f32_e32 v23, 0x3f317218, v10
	v_mul_f32_e32 v11, v13, v11
	s_delay_alu instid0(VALU_DEP_2) | instskip(NEXT) | instid1(VALU_DEP_1)
	v_fma_f32 v24, 0x3f317218, v10, -v23
	v_dual_add_f32 v11, v15, v11 :: v_dual_fmac_f32 v24, 0xb102e308, v10
	s_delay_alu instid0(VALU_DEP_1) | instskip(NEXT) | instid1(VALU_DEP_1)
	v_add_f32_e32 v13, v14, v11
	v_mul_f32_e32 v15, v13, v13
	v_ldexp_f32 v22, v13, 1
	s_delay_alu instid0(VALU_DEP_2) | instskip(SKIP_2) | instid1(VALU_DEP_3)
	v_fmaak_f32 v16, s8, v15, 0x3ecc95a3
	v_mul_f32_e32 v21, v13, v15
	v_sub_f32_e32 v13, v13, v14
	v_fmaak_f32 v15, v15, v16, 0x3f2aaada
	v_max_f32_e64 v16, |v6|, |v6|
	s_delay_alu instid0(VALU_DEP_3) | instskip(NEXT) | instid1(VALU_DEP_3)
	v_sub_f32_e32 v11, v11, v13
	v_mul_f32_e32 v15, v21, v15
	s_delay_alu instid0(VALU_DEP_3) | instskip(SKIP_1) | instid1(VALU_DEP_4)
	v_max_f32_e32 v21, v16, v17
	v_min_f32_e32 v16, v16, v17
	v_ldexp_f32 v11, v11, 1
	s_delay_alu instid0(VALU_DEP_4) | instskip(NEXT) | instid1(VALU_DEP_4)
	v_add_f32_e32 v14, v22, v15
	v_frexp_mant_f32_e32 v17, v21
	v_frexp_exp_i32_f32_e32 v21, v21
	s_delay_alu instid0(VALU_DEP_3) | instskip(NEXT) | instid1(VALU_DEP_3)
	v_sub_f32_e32 v13, v14, v22
	v_rcp_f32_e32 v17, v17
	v_frexp_exp_i32_f32_e32 v22, v16
	s_delay_alu instid0(VALU_DEP_2) | instskip(SKIP_1) | instid1(VALU_DEP_3)
	v_sub_f32_e32 v13, v15, v13
	v_frexp_mant_f32_e32 v15, v16
	v_sub_nc_u32_e32 v16, v22, v21
	s_delay_alu instid0(VALU_DEP_3) | instskip(SKIP_4) | instid1(VALU_DEP_3)
	v_add_f32_e32 v10, v11, v13
	s_waitcnt_depctr 0xfff
	v_mul_f32_e32 v11, v15, v17
	v_add_f32_e32 v13, v23, v24
	v_add_f32_e32 v15, v14, v10
	v_ldexp_f32 v11, v11, v16
	s_delay_alu instid0(VALU_DEP_2) | instskip(NEXT) | instid1(VALU_DEP_2)
	v_add_f32_e32 v16, v13, v15
	v_mul_f32_e32 v17, v11, v11
	v_dual_sub_f32 v23, v13, v23 :: v_dual_sub_f32 v14, v15, v14
	s_delay_alu instid0(VALU_DEP_3) | instskip(NEXT) | instid1(VALU_DEP_2)
	v_sub_f32_e32 v21, v16, v13
	v_dual_fmaak_f32 v22, s10, v17, 0xbc7a590c :: v_dual_sub_f32 v23, v24, v23
	s_delay_alu instid0(VALU_DEP_2) | instskip(NEXT) | instid1(VALU_DEP_2)
	v_dual_sub_f32 v10, v10, v14 :: v_dual_sub_f32 v25, v16, v21
	v_fmaak_f32 v22, v17, v22, 0x3d29fb3f
	v_sub_f32_e32 v14, v15, v21
	s_delay_alu instid0(VALU_DEP_3) | instskip(NEXT) | instid1(VALU_DEP_4)
	v_add_f32_e32 v21, v23, v10
	v_sub_f32_e32 v13, v13, v25
	s_delay_alu instid0(VALU_DEP_4) | instskip(NEXT) | instid1(VALU_DEP_1)
	v_fmaak_f32 v15, v17, v22, 0xbd97d4d7
	v_dual_add_f32 v13, v14, v13 :: v_dual_fmaak_f32 v14, v17, v15, 0x3dd931b2
	s_delay_alu instid0(VALU_DEP_4) | instskip(NEXT) | instid1(VALU_DEP_2)
	v_sub_f32_e32 v15, v21, v23
	v_add_f32_e32 v13, v21, v13
	s_delay_alu instid0(VALU_DEP_2) | instskip(SKIP_1) | instid1(VALU_DEP_3)
	v_sub_f32_e32 v21, v21, v15
	v_sub_f32_e32 v10, v10, v15
	v_add_f32_e32 v22, v16, v13
	s_delay_alu instid0(VALU_DEP_1) | instskip(NEXT) | instid1(VALU_DEP_1)
	v_dual_sub_f32 v15, v23, v21 :: v_dual_sub_f32 v16, v22, v16
	v_dual_add_f32 v10, v10, v15 :: v_dual_sub_f32 v13, v13, v16
	s_delay_alu instid0(VALU_DEP_1) | instskip(NEXT) | instid1(VALU_DEP_1)
	v_add_f32_e32 v10, v10, v13
	v_add_f32_e32 v10, v22, v10
	v_fmaak_f32 v14, v17, v14, 0xbe1160e6
	s_delay_alu instid0(VALU_DEP_2) | instskip(NEXT) | instid1(VALU_DEP_2)
	v_cndmask_b32_e32 v10, v10, v12, vcc_lo
	v_fmaak_f32 v14, v17, v14, 0x3e4cb8bf
	v_cmp_gt_i32_e32 vcc_lo, 0, v6
	s_delay_alu instid0(VALU_DEP_2) | instskip(NEXT) | instid1(VALU_DEP_1)
	v_fmaak_f32 v14, v17, v14, 0xbeaaaa62
	v_mul_f32_e32 v14, v17, v14
	s_delay_alu instid0(VALU_DEP_1) | instskip(NEXT) | instid1(VALU_DEP_1)
	v_fmac_f32_e32 v11, v11, v14
	v_sub_f32_e32 v13, 0x3fc90fdb, v11
	s_delay_alu instid0(VALU_DEP_1) | instskip(SKIP_2) | instid1(VALU_DEP_3)
	v_cndmask_b32_e64 v11, v11, v13, s0
	v_cndmask_b32_e64 v13, 0, 0x40490fdb, vcc_lo
	v_cmp_ngt_f32_e32 vcc_lo, -1.0, v12
	v_sub_f32_e32 v14, 0x40490fdb, v11
	v_cndmask_b32_e32 v10, 0x7fc00000, v10, vcc_lo
	v_cmp_gt_f32_e32 vcc_lo, 0, v6
	s_delay_alu instid0(VALU_DEP_2) | instskip(NEXT) | instid1(VALU_DEP_4)
	v_cndmask_b32_e64 v10, 0xff800000, v10, s1
	v_cndmask_b32_e32 v11, v11, v14, vcc_lo
	v_cndmask_b32_e32 v14, 0x3f490fdb, v20, vcc_lo
	v_cmp_gt_f32_e64 vcc_lo, 0x33800000, |v12|
	v_cmp_class_f32_e64 s1, v7, 0x204
	v_cndmask_b32_e32 v10, v10, v12, vcc_lo
	v_cmp_eq_f32_e32 vcc_lo, 0, v7
	s_delay_alu instid0(VALU_DEP_2) | instskip(NEXT) | instid1(VALU_DEP_4)
	v_dual_mul_f32 v10, 0.5, v10 :: v_dual_cndmask_b32 v11, v11, v13
	s_and_b32 vcc_lo, s2, s1
	s_delay_alu instid0(VALU_DEP_1)
	v_cndmask_b32_e32 v11, v11, v14, vcc_lo
.LBB175_175:                            ;   in Loop: Header=BB175_162 Depth=1
	s_or_b32 exec_lo, exec_lo, s19
.LBB175_176:                            ;   in Loop: Header=BB175_162 Depth=1
	s_delay_alu instid0(SALU_CYCLE_1)
	s_or_b32 exec_lo, exec_lo, s18
.LBB175_177:                            ;   in Loop: Header=BB175_162 Depth=1
	s_and_not1_saveexec_b32 s2, s17
	s_cbranch_execz .LBB175_179
; %bb.178:                              ;   in Loop: Header=BB175_162 Depth=1
	v_max_f32_e64 v12, |v7|, |v7|
	v_max_f32_e64 v13, |v6|, |v6|
	v_cmp_gt_i32_e64 s1, 0, v6
	v_cmp_class_f32_e64 s3, v6, 0x204
	v_cmp_class_f32_e64 s4, v7, 0x204
	s_delay_alu instid0(VALU_DEP_4) | instskip(SKIP_1) | instid1(VALU_DEP_2)
	v_max_f32_e32 v14, v13, v12
	v_min_f32_e32 v12, v13, v12
	v_cvt_f64_f32_e32 v[10:11], v14
	s_delay_alu instid0(VALU_DEP_2) | instskip(SKIP_1) | instid1(VALU_DEP_3)
	v_frexp_exp_i32_f32_e32 v15, v12
	v_frexp_mant_f32_e32 v12, v12
	v_frexp_exp_i32_f64_e32 v10, v[10:11]
	v_frexp_mant_f32_e32 v11, v14
	s_delay_alu instid0(VALU_DEP_1) | instskip(SKIP_4) | instid1(VALU_DEP_2)
	v_rcp_f32_e32 v11, v11
	s_waitcnt_depctr 0xfff
	v_mul_f32_e32 v11, v12, v11
	v_frexp_exp_i32_f32_e32 v13, v14
	v_cmp_neq_f32_e32 vcc_lo, 0x7f800000, v14
	v_sub_nc_u32_e32 v13, v15, v13
	s_delay_alu instid0(VALU_DEP_1) | instskip(NEXT) | instid1(VALU_DEP_1)
	v_ldexp_f32 v11, v11, v13
	v_mul_f32_e32 v15, v11, v11
	v_sub_nc_u32_e32 v16, 0, v10
	s_delay_alu instid0(VALU_DEP_1) | instskip(SKIP_1) | instid1(VALU_DEP_2)
	v_ldexp_f32 v12, |v7|, v16
	v_ldexp_f32 v13, |v6|, v16
	v_mul_f32_e32 v12, v12, v12
	s_delay_alu instid0(VALU_DEP_1) | instskip(NEXT) | instid1(VALU_DEP_1)
	v_dual_fmac_f32 v12, v13, v13 :: v_dual_fmaak_f32 v13, s10, v15, 0xbc7a590c
	v_sqrt_f32_e32 v12, v12
	s_delay_alu instid0(VALU_DEP_1) | instskip(NEXT) | instid1(VALU_DEP_1)
	v_fmaak_f32 v13, v15, v13, 0x3d29fb3f
	v_fmaak_f32 v13, v15, v13, 0xbd97d4d7
	s_waitcnt_depctr 0xfff
	v_ldexp_f32 v10, v12, v10
	v_fmaak_f32 v12, v15, v13, 0x3dd931b2
	s_delay_alu instid0(VALU_DEP_1) | instskip(NEXT) | instid1(VALU_DEP_1)
	v_fmaak_f32 v12, v15, v12, 0xbe1160e6
	v_fmaak_f32 v12, v15, v12, 0x3e4cb8bf
	s_delay_alu instid0(VALU_DEP_1) | instskip(NEXT) | instid1(VALU_DEP_1)
	v_fmaak_f32 v12, v15, v12, 0xbeaaaa62
	v_mul_f32_e32 v12, v15, v12
	s_delay_alu instid0(VALU_DEP_1) | instskip(NEXT) | instid1(VALU_DEP_1)
	v_dual_cndmask_b32 v10, 0x7f800000, v10 :: v_dual_fmac_f32 v11, v11, v12
	v_cmp_gt_f32_e32 vcc_lo, 0x800000, v10
	v_cndmask_b32_e64 v13, 1.0, 0x4f800000, vcc_lo
	s_delay_alu instid0(VALU_DEP_1) | instskip(NEXT) | instid1(VALU_DEP_1)
	v_dual_mul_f32 v10, v10, v13 :: v_dual_sub_f32 v13, 0x3fc90fdb, v11
	v_cndmask_b32_e64 v11, v11, v13, s0
	v_cndmask_b32_e64 v13, 0, 0x40490fdb, s1
	v_cmp_gt_f32_e64 s1, 0, v6
	s_delay_alu instid0(VALU_DEP_3) | instskip(SKIP_1) | instid1(VALU_DEP_1)
	v_sub_f32_e32 v15, 0x40490fdb, v11
	v_log_f32_e32 v10, v10
	v_cndmask_b32_e64 v11, v11, v15, s1
	v_cndmask_b32_e64 v15, 0, 0x41b17218, vcc_lo
	s_waitcnt_depctr 0xfff
	v_mul_f32_e32 v12, 0x3f317217, v10
	v_cmp_gt_f32_e64 vcc_lo, 0x7f800000, |v10|
	s_delay_alu instid0(VALU_DEP_2) | instskip(NEXT) | instid1(VALU_DEP_1)
	v_fma_f32 v14, 0x3f317217, v10, -v12
	v_fmac_f32_e32 v14, 0x3377d1cf, v10
	s_delay_alu instid0(VALU_DEP_1) | instskip(SKIP_1) | instid1(VALU_DEP_2)
	v_add_f32_e32 v12, v12, v14
	v_cndmask_b32_e64 v14, 0x3f490fdb, v20, s1
	v_cndmask_b32_e32 v10, v10, v12, vcc_lo
	v_cmp_eq_f32_e32 vcc_lo, 0, v7
	v_cndmask_b32_e32 v11, v11, v13, vcc_lo
	s_and_b32 vcc_lo, s3, s4
	s_delay_alu instid0(VALU_DEP_1)
	v_dual_sub_f32 v10, v10, v15 :: v_dual_cndmask_b32 v11, v11, v14
.LBB175_179:                            ;   in Loop: Header=BB175_162 Depth=1
	s_or_b32 exec_lo, exec_lo, s2
                                        ; implicit-def: $vgpr12
.LBB175_180:                            ;   in Loop: Header=BB175_162 Depth=1
	s_and_not1_saveexec_b32 s2, s16
	s_cbranch_execz .LBB175_186
; %bb.181:                              ;   in Loop: Header=BB175_162 Depth=1
                                        ; implicit-def: $vgpr10
                                        ; implicit-def: $vgpr11
	s_mov_b32 s1, exec_lo
	v_cmpx_ngt_f32_e32 0x1fec1e4a, v12
	s_xor_b32 s3, exec_lo, s1
	s_cbranch_execz .LBB175_183
; %bb.182:                              ;   in Loop: Header=BB175_162 Depth=1
	v_mul_f32_e32 v12, v12, v12
	v_cmp_gt_f32_e64 s1, 0, v6
	v_cmp_class_f32_e64 s4, v6, 0x204
	v_cmp_class_f32_e64 s6, v7, 0x204
	s_delay_alu instid0(VALU_DEP_4) | instskip(NEXT) | instid1(VALU_DEP_1)
	v_add_f32_e32 v13, 1.0, v12
	v_cvt_f64_f32_e32 v[10:11], v13
	s_delay_alu instid0(VALU_DEP_1) | instskip(SKIP_1) | instid1(VALU_DEP_1)
	v_frexp_exp_i32_f64_e32 v10, v[10:11]
	v_frexp_mant_f32_e32 v11, v13
	v_cmp_gt_f32_e32 vcc_lo, 0x3f2aaaab, v11
	v_add_f32_e32 v11, -1.0, v13
	v_cmp_gt_f32_e64 s5, 0x33800000, |v12|
	s_delay_alu instid0(VALU_DEP_2) | instskip(SKIP_2) | instid1(VALU_DEP_2)
	v_sub_f32_e32 v15, v11, v13
	v_subrev_co_ci_u32_e32 v10, vcc_lo, 0, v10, vcc_lo
	v_cmp_gt_i32_e32 vcc_lo, 0, v6
	v_sub_nc_u32_e32 v14, 0, v10
	v_cvt_f32_i32_e32 v10, v10
	s_delay_alu instid0(VALU_DEP_2) | instskip(SKIP_1) | instid1(VALU_DEP_2)
	v_ldexp_f32 v13, v13, v14
	v_sub_f32_e32 v11, v12, v11
	v_dual_add_f32 v15, 1.0, v15 :: v_dual_add_f32 v16, 1.0, v13
	s_delay_alu instid0(VALU_DEP_1) | instskip(NEXT) | instid1(VALU_DEP_1)
	v_add_f32_e32 v11, v11, v15
	v_ldexp_f32 v11, v11, v14
	s_delay_alu instid0(VALU_DEP_3) | instskip(NEXT) | instid1(VALU_DEP_1)
	v_dual_add_f32 v14, -1.0, v13 :: v_dual_add_f32 v15, -1.0, v16
	v_add_f32_e32 v17, 1.0, v14
	s_delay_alu instid0(VALU_DEP_2) | instskip(NEXT) | instid1(VALU_DEP_2)
	v_sub_f32_e32 v15, v13, v15
	v_sub_f32_e32 v13, v13, v17
	s_delay_alu instid0(VALU_DEP_2) | instskip(NEXT) | instid1(VALU_DEP_2)
	v_add_f32_e32 v15, v11, v15
	v_add_f32_e32 v11, v11, v13
	s_delay_alu instid0(VALU_DEP_2) | instskip(NEXT) | instid1(VALU_DEP_2)
	v_add_f32_e32 v17, v16, v15
	v_add_f32_e32 v21, v14, v11
	s_delay_alu instid0(VALU_DEP_2) | instskip(SKIP_1) | instid1(VALU_DEP_1)
	v_rcp_f32_e32 v13, v17
	v_sub_f32_e32 v16, v16, v17
	v_dual_sub_f32 v14, v14, v21 :: v_dual_add_f32 v15, v15, v16
	s_waitcnt_depctr 0xfff
	v_dual_add_f32 v11, v11, v14 :: v_dual_mul_f32 v22, v21, v13
	s_delay_alu instid0(VALU_DEP_1) | instskip(NEXT) | instid1(VALU_DEP_1)
	v_mul_f32_e32 v23, v17, v22
	v_fma_f32 v16, v22, v17, -v23
	s_delay_alu instid0(VALU_DEP_1) | instskip(NEXT) | instid1(VALU_DEP_1)
	v_fmac_f32_e32 v16, v22, v15
	v_add_f32_e32 v24, v23, v16
	s_delay_alu instid0(VALU_DEP_1) | instskip(NEXT) | instid1(VALU_DEP_1)
	v_dual_sub_f32 v25, v21, v24 :: v_dual_sub_f32 v14, v24, v23
	v_dual_sub_f32 v21, v21, v25 :: v_dual_sub_f32 v14, v14, v16
	s_delay_alu instid0(VALU_DEP_1) | instskip(NEXT) | instid1(VALU_DEP_1)
	v_sub_f32_e32 v21, v21, v24
	v_add_f32_e32 v11, v11, v21
	s_delay_alu instid0(VALU_DEP_1) | instskip(NEXT) | instid1(VALU_DEP_1)
	v_add_f32_e32 v11, v14, v11
	v_add_f32_e32 v14, v25, v11
	s_delay_alu instid0(VALU_DEP_1) | instskip(SKIP_1) | instid1(VALU_DEP_2)
	v_mul_f32_e32 v16, v13, v14
	v_sub_f32_e32 v24, v25, v14
	v_mul_f32_e32 v21, v17, v16
	s_delay_alu instid0(VALU_DEP_2) | instskip(NEXT) | instid1(VALU_DEP_2)
	v_add_f32_e32 v11, v11, v24
	v_fma_f32 v17, v16, v17, -v21
	s_delay_alu instid0(VALU_DEP_1) | instskip(NEXT) | instid1(VALU_DEP_1)
	v_fmac_f32_e32 v17, v16, v15
	v_add_f32_e32 v15, v21, v17
	s_delay_alu instid0(VALU_DEP_1) | instskip(NEXT) | instid1(VALU_DEP_1)
	v_sub_f32_e32 v23, v14, v15
	v_dual_sub_f32 v21, v15, v21 :: v_dual_sub_f32 v14, v14, v23
	s_delay_alu instid0(VALU_DEP_1) | instskip(NEXT) | instid1(VALU_DEP_1)
	v_dual_sub_f32 v14, v14, v15 :: v_dual_sub_f32 v15, v21, v17
	v_dual_add_f32 v11, v11, v14 :: v_dual_add_f32 v14, v22, v16
	s_delay_alu instid0(VALU_DEP_1) | instskip(NEXT) | instid1(VALU_DEP_2)
	v_add_f32_e32 v11, v15, v11
	v_sub_f32_e32 v15, v14, v22
	s_delay_alu instid0(VALU_DEP_2) | instskip(NEXT) | instid1(VALU_DEP_2)
	v_add_f32_e32 v11, v23, v11
	v_sub_f32_e32 v15, v16, v15
	v_max_f32_e64 v16, |v6|, |v6|
	s_delay_alu instid0(VALU_DEP_3) | instskip(SKIP_1) | instid1(VALU_DEP_2)
	v_mul_f32_e32 v11, v13, v11
	v_max_f32_e64 v13, |v7|, |v7|
	v_add_f32_e32 v11, v15, v11
	s_delay_alu instid0(VALU_DEP_2) | instskip(SKIP_1) | instid1(VALU_DEP_3)
	v_max_f32_e32 v21, v16, v13
	v_min_f32_e32 v13, v16, v13
	v_add_f32_e32 v15, v14, v11
	s_delay_alu instid0(VALU_DEP_3) | instskip(SKIP_1) | instid1(VALU_DEP_3)
	v_frexp_mant_f32_e32 v23, v21
	v_frexp_exp_i32_f32_e32 v16, v21
	v_mul_f32_e32 v17, v15, v15
	v_ldexp_f32 v24, v15, 1
	v_sub_f32_e32 v14, v15, v14
	s_delay_alu instid0(VALU_DEP_3) | instskip(SKIP_1) | instid1(VALU_DEP_3)
	v_fmaak_f32 v22, s8, v17, 0x3ecc95a3
	v_mul_f32_e32 v21, v15, v17
	v_sub_f32_e32 v11, v11, v14
	s_delay_alu instid0(VALU_DEP_3)
	v_fmaak_f32 v17, v17, v22, 0x3f2aaada
	v_rcp_f32_e32 v22, v23
	v_frexp_exp_i32_f32_e32 v23, v13
	v_frexp_mant_f32_e32 v13, v13
	v_ldexp_f32 v11, v11, 1
	v_mul_f32_e32 v17, v21, v17
	v_mul_f32_e32 v21, 0x3f317218, v10
	v_sub_nc_u32_e32 v16, v23, v16
	s_delay_alu instid0(VALU_DEP_3)
	v_add_f32_e32 v15, v24, v17
	s_delay_alu instid0(TRANS32_DEP_1) | instid1(VALU_DEP_1)
	v_dual_mul_f32 v13, v13, v22 :: v_dual_sub_f32 v14, v15, v24
	s_delay_alu instid0(VALU_DEP_1) | instskip(SKIP_1) | instid1(VALU_DEP_3)
	v_ldexp_f32 v13, v13, v16
	v_fma_f32 v16, 0x3f317218, v10, -v21
	v_sub_f32_e32 v14, v17, v14
	s_delay_alu instid0(VALU_DEP_2) | instskip(NEXT) | instid1(VALU_DEP_1)
	v_dual_mul_f32 v17, v13, v13 :: v_dual_fmac_f32 v16, 0xb102e308, v10
	v_dual_add_f32 v10, v11, v14 :: v_dual_fmaak_f32 v11, s10, v17, 0xbc7a590c
	s_delay_alu instid0(VALU_DEP_2) | instskip(NEXT) | instid1(VALU_DEP_2)
	v_add_f32_e32 v14, v21, v16
	v_dual_add_f32 v22, v15, v10 :: v_dual_fmaak_f32 v11, v17, v11, 0x3d29fb3f
	s_delay_alu instid0(VALU_DEP_2) | instskip(NEXT) | instid1(VALU_DEP_2)
	v_sub_f32_e32 v21, v14, v21
	v_add_f32_e32 v23, v14, v22
	s_delay_alu instid0(VALU_DEP_3) | instskip(NEXT) | instid1(VALU_DEP_3)
	v_fmaak_f32 v11, v17, v11, 0xbd97d4d7
	v_dual_sub_f32 v15, v22, v15 :: v_dual_sub_f32 v16, v16, v21
	s_delay_alu instid0(VALU_DEP_2) | instskip(NEXT) | instid1(VALU_DEP_1)
	v_dual_sub_f32 v24, v23, v14 :: v_dual_fmaak_f32 v11, v17, v11, 0x3dd931b2
	v_dual_sub_f32 v10, v10, v15 :: v_dual_sub_f32 v25, v23, v24
	s_delay_alu instid0(VALU_DEP_2) | instskip(SKIP_1) | instid1(VALU_DEP_3)
	v_fmaak_f32 v11, v17, v11, 0xbe1160e6
	v_sub_f32_e32 v15, v22, v24
	v_dual_add_f32 v21, v16, v10 :: v_dual_sub_f32 v14, v14, v25
	s_delay_alu instid0(VALU_DEP_1) | instskip(NEXT) | instid1(VALU_DEP_1)
	v_dual_fmaak_f32 v11, v17, v11, 0x3e4cb8bf :: v_dual_add_f32 v14, v15, v14
	v_fmaak_f32 v11, v17, v11, 0xbeaaaa62
	s_delay_alu instid0(VALU_DEP_3) | instskip(NEXT) | instid1(VALU_DEP_3)
	v_sub_f32_e32 v15, v21, v16
	v_add_f32_e32 v14, v21, v14
	s_delay_alu instid0(VALU_DEP_3) | instskip(NEXT) | instid1(VALU_DEP_3)
	v_mul_f32_e32 v11, v17, v11
	v_sub_f32_e32 v17, v21, v15
	s_delay_alu instid0(VALU_DEP_3) | instskip(NEXT) | instid1(VALU_DEP_3)
	v_dual_sub_f32 v10, v10, v15 :: v_dual_add_f32 v21, v23, v14
	v_fmac_f32_e32 v13, v13, v11
	s_delay_alu instid0(VALU_DEP_3) | instskip(NEXT) | instid1(VALU_DEP_2)
	v_sub_f32_e32 v11, v16, v17
	v_dual_sub_f32 v15, v21, v23 :: v_dual_sub_f32 v16, 0x3fc90fdb, v13
	s_delay_alu instid0(VALU_DEP_2) | instskip(NEXT) | instid1(VALU_DEP_2)
	v_add_f32_e32 v10, v10, v11
	v_sub_f32_e32 v11, v14, v15
	s_delay_alu instid0(VALU_DEP_3) | instskip(SKIP_2) | instid1(VALU_DEP_3)
	v_cndmask_b32_e64 v13, v13, v16, s0
	v_cndmask_b32_e64 v14, 0, 0x40490fdb, vcc_lo
	v_cmp_eq_f32_e32 vcc_lo, 0x7f800000, v12
	v_dual_add_f32 v10, v10, v11 :: v_dual_sub_f32 v11, 0x40490fdb, v13
	s_or_b32 vcc_lo, vcc_lo, s5
	s_delay_alu instid0(VALU_DEP_1) | instskip(NEXT) | instid1(VALU_DEP_2)
	v_add_f32_e32 v10, v21, v10
	v_cndmask_b32_e64 v11, v13, v11, s1
	v_cndmask_b32_e64 v13, 0x3f490fdb, v20, s1
	s_delay_alu instid0(VALU_DEP_3) | instskip(SKIP_1) | instid1(VALU_DEP_2)
	v_cndmask_b32_e32 v10, v10, v12, vcc_lo
	v_cmp_eq_f32_e32 vcc_lo, 0, v7
                                        ; implicit-def: $vgpr12
	v_mul_f32_e32 v10, 0.5, v10
	v_cndmask_b32_e32 v11, v11, v14, vcc_lo
	s_and_b32 vcc_lo, s4, s6
	s_delay_alu instid0(VALU_DEP_1)
	v_cndmask_b32_e32 v11, v11, v13, vcc_lo
.LBB175_183:                            ;   in Loop: Header=BB175_162 Depth=1
	s_and_not1_saveexec_b32 s3, s3
	s_cbranch_execz .LBB175_185
; %bb.184:                              ;   in Loop: Header=BB175_162 Depth=1
	v_max_f32_e64 v10, |v7|, |v7|
	v_max_f32_e64 v11, |v6|, |v6|
	v_cmp_gt_i32_e32 vcc_lo, 0, v6
	v_cmp_eq_f32_e64 s1, 0, v7
	v_cmp_class_f32_e64 s4, v6, 0x204
	v_cmp_class_f32_e64 s5, v7, 0x204
	v_max_f32_e32 v13, v11, v10
	v_min_f32_e32 v10, v11, v10
	s_delay_alu instid0(VALU_DEP_2) | instskip(NEXT) | instid1(VALU_DEP_1)
	v_frexp_mant_f32_e32 v14, v13
	v_rcp_f32_e32 v11, v14
	s_delay_alu instid0(VALU_DEP_2) | instskip(SKIP_4) | instid1(VALU_DEP_1)
	v_frexp_exp_i32_f32_e32 v14, v10
	v_frexp_mant_f32_e32 v10, v10
	s_waitcnt_depctr 0xfff
	v_mul_f32_e32 v10, v10, v11
	v_frexp_exp_i32_f32_e32 v13, v13
	v_sub_nc_u32_e32 v13, v14, v13
	s_delay_alu instid0(VALU_DEP_1) | instskip(NEXT) | instid1(VALU_DEP_1)
	v_ldexp_f32 v10, v10, v13
	v_mul_f32_e32 v11, v10, v10
	s_delay_alu instid0(VALU_DEP_1) | instskip(NEXT) | instid1(VALU_DEP_1)
	v_fmaak_f32 v13, s10, v11, 0xbc7a590c
	v_fmaak_f32 v13, v11, v13, 0x3d29fb3f
	s_delay_alu instid0(VALU_DEP_1) | instskip(NEXT) | instid1(VALU_DEP_1)
	v_fmaak_f32 v13, v11, v13, 0xbd97d4d7
	v_fmaak_f32 v13, v11, v13, 0x3dd931b2
	;; [unrolled: 3-line block ×3, first 2 shown]
	s_delay_alu instid0(VALU_DEP_1) | instskip(NEXT) | instid1(VALU_DEP_1)
	v_fmaak_f32 v13, v11, v13, 0xbeaaaa62
	v_mul_f32_e32 v11, v11, v13
	v_cndmask_b32_e64 v13, 0, 0x40490fdb, vcc_lo
	v_cmp_gt_f32_e32 vcc_lo, 0, v6
	s_delay_alu instid0(VALU_DEP_3) | instskip(SKIP_1) | instid1(VALU_DEP_2)
	v_fmac_f32_e32 v10, v10, v11
	v_cndmask_b32_e32 v14, 0x3f490fdb, v20, vcc_lo
	v_sub_f32_e32 v11, 0x3fc90fdb, v10
	s_delay_alu instid0(VALU_DEP_1) | instskip(NEXT) | instid1(VALU_DEP_1)
	v_cndmask_b32_e64 v10, v10, v11, s0
	v_sub_f32_e32 v11, 0x40490fdb, v10
	s_delay_alu instid0(VALU_DEP_1) | instskip(SKIP_1) | instid1(VALU_DEP_1)
	v_dual_cndmask_b32 v10, v10, v11 :: v_dual_mul_f32 v11, 0.5, v12
	s_and_b32 vcc_lo, s4, s5
	v_cndmask_b32_e64 v13, v10, v13, s1
	s_delay_alu instid0(VALU_DEP_1)
	v_dual_mul_f32 v10, v12, v11 :: v_dual_cndmask_b32 v11, v13, v14
.LBB175_185:                            ;   in Loop: Header=BB175_162 Depth=1
	s_or_b32 exec_lo, exec_lo, s3
.LBB175_186:                            ;   in Loop: Header=BB175_162 Depth=1
	s_delay_alu instid0(SALU_CYCLE_1)
	s_or_b32 exec_lo, exec_lo, s2
.LBB175_187:                            ;   in Loop: Header=BB175_162 Depth=1
	s_and_not1_saveexec_b32 s2, s12
	s_cbranch_execz .LBB175_189
; %bb.188:                              ;   in Loop: Header=BB175_162 Depth=1
	v_div_scale_f32 v10, null, 0x402df854, 0x402df854, v6
	v_div_scale_f32 v11, null, 0x402df854, 0x402df854, v7
	v_div_scale_f32 v16, vcc_lo, v6, 0x402df854, v6
	s_delay_alu instid0(VALU_DEP_3) | instskip(NEXT) | instid1(VALU_DEP_2)
	v_rcp_f32_e32 v12, v10
	v_rcp_f32_e32 v13, v11
	v_cmp_class_f32_e64 s3, v7, 0x204
	s_waitcnt_depctr 0xfff
	v_fma_f32 v14, -v10, v12, 1.0
	v_fma_f32 v15, -v11, v13, 1.0
	s_delay_alu instid0(VALU_DEP_1) | instskip(SKIP_1) | instid1(VALU_DEP_2)
	v_dual_fmac_f32 v12, v14, v12 :: v_dual_fmac_f32 v13, v15, v13
	v_div_scale_f32 v14, s1, v7, 0x402df854, v7
	v_mul_f32_e32 v15, v16, v12
	s_delay_alu instid0(VALU_DEP_1) | instskip(NEXT) | instid1(VALU_DEP_1)
	v_fma_f32 v21, -v10, v15, v16
	v_fmac_f32_e32 v15, v21, v12
	s_delay_alu instid0(VALU_DEP_1) | instskip(NEXT) | instid1(VALU_DEP_1)
	v_fma_f32 v10, -v10, v15, v16
	v_div_fmas_f32 v10, v10, v12, v15
	v_max_f32_e64 v15, |v6|, |v6|
	v_mul_f32_e32 v17, v14, v13
	s_mov_b32 vcc_lo, s1
	v_cmp_class_f32_e64 s1, v6, 0x204
	v_div_fixup_f32 v12, v10, 0x402df854, v6
	s_delay_alu instid0(VALU_DEP_3) | instskip(NEXT) | instid1(VALU_DEP_1)
	v_fma_f32 v22, -v11, v17, v14
	v_fmac_f32_e32 v17, v22, v13
	s_delay_alu instid0(VALU_DEP_1) | instskip(NEXT) | instid1(VALU_DEP_1)
	v_fma_f32 v11, -v11, v17, v14
	v_div_fmas_f32 v11, v11, v13, v17
	s_delay_alu instid0(VALU_DEP_1) | instskip(NEXT) | instid1(VALU_DEP_1)
	v_div_fixup_f32 v13, v11, 0x402df854, v7
	v_max_f32_e64 v14, |v12|, |v13|
	s_delay_alu instid0(VALU_DEP_1) | instskip(SKIP_1) | instid1(VALU_DEP_2)
	v_cvt_f64_f32_e32 v[10:11], v14
	v_cmp_neq_f32_e32 vcc_lo, 0x7f800000, v14
	v_frexp_exp_i32_f64_e32 v10, v[10:11]
	v_max_f32_e64 v11, |v7|, |v7|
	s_delay_alu instid0(VALU_DEP_1) | instskip(SKIP_1) | instid1(VALU_DEP_2)
	v_max_f32_e32 v16, v15, v11
	v_min_f32_e32 v11, v15, v11
	v_frexp_mant_f32_e32 v17, v16
	v_frexp_exp_i32_f32_e32 v16, v16
	s_delay_alu instid0(VALU_DEP_2) | instskip(SKIP_1) | instid1(VALU_DEP_1)
	v_rcp_f32_e32 v15, v17
	v_sub_nc_u32_e32 v17, 0, v10
	v_ldexp_f32 v13, |v13|, v17
	v_ldexp_f32 v12, |v12|, v17
	s_delay_alu instid0(VALU_DEP_2) | instskip(NEXT) | instid1(VALU_DEP_1)
	v_mul_f32_e32 v13, v13, v13
	v_fmac_f32_e32 v13, v12, v12
	s_delay_alu instid0(VALU_DEP_1) | instskip(SKIP_2) | instid1(VALU_DEP_1)
	v_sqrt_f32_e32 v13, v13
	s_waitcnt_depctr 0xfff
	v_ldexp_f32 v10, v13, v10
	v_cndmask_b32_e32 v10, 0x7f800000, v10, vcc_lo
	s_delay_alu instid0(VALU_DEP_1) | instskip(SKIP_1) | instid1(VALU_DEP_1)
	v_cmp_gt_f32_e32 vcc_lo, 0x800000, v10
	v_cndmask_b32_e64 v14, 1.0, 0x4f800000, vcc_lo
	v_mul_f32_e32 v10, v10, v14
	v_frexp_exp_i32_f32_e32 v21, v11
	v_frexp_mant_f32_e32 v11, v11
	s_delay_alu instid0(VALU_DEP_3) | instskip(NEXT) | instid1(VALU_DEP_2)
	v_log_f32_e32 v10, v10
	v_sub_nc_u32_e32 v16, v21, v16
	s_delay_alu instid0(VALU_DEP_2) | instskip(NEXT) | instid1(VALU_DEP_1)
	v_mul_f32_e32 v11, v11, v15
	v_ldexp_f32 v11, v11, v16
	s_delay_alu instid0(VALU_DEP_1) | instskip(NEXT) | instid1(VALU_DEP_1)
	v_mul_f32_e32 v12, v11, v11
	v_fmaak_f32 v15, s10, v12, 0xbc7a590c
	s_delay_alu instid0(VALU_DEP_1) | instskip(NEXT) | instid1(VALU_DEP_1)
	v_fmaak_f32 v15, v12, v15, 0x3d29fb3f
	v_fmaak_f32 v13, v12, v15, 0xbd97d4d7
	v_cndmask_b32_e64 v15, 0, 0x41b17218, vcc_lo
	s_delay_alu instid0(TRANS32_DEP_1) | instskip(NEXT) | instid1(VALU_DEP_3)
	v_cmp_gt_f32_e64 vcc_lo, 0x7f800000, |v10|
	v_fmaak_f32 v13, v12, v13, 0x3dd931b2
	s_delay_alu instid0(VALU_DEP_1) | instskip(NEXT) | instid1(VALU_DEP_1)
	v_fmaak_f32 v13, v12, v13, 0xbe1160e6
	v_fmaak_f32 v13, v12, v13, 0x3e4cb8bf
	s_delay_alu instid0(VALU_DEP_1) | instskip(NEXT) | instid1(VALU_DEP_1)
	v_fmaak_f32 v13, v12, v13, 0xbeaaaa62
	v_dual_mul_f32 v12, v12, v13 :: v_dual_mul_f32 v13, 0x3f317217, v10
	s_delay_alu instid0(VALU_DEP_1) | instskip(NEXT) | instid1(VALU_DEP_2)
	v_fmac_f32_e32 v11, v11, v12
	v_fma_f32 v12, 0x3f317217, v10, -v13
	s_delay_alu instid0(VALU_DEP_2) | instskip(NEXT) | instid1(VALU_DEP_2)
	v_sub_f32_e32 v14, 0x3fc90fdb, v11
	v_fmac_f32_e32 v12, 0x3377d1cf, v10
	s_delay_alu instid0(VALU_DEP_2) | instskip(SKIP_1) | instid1(VALU_DEP_2)
	v_cndmask_b32_e64 v11, v11, v14, s0
	v_cmp_gt_i32_e64 s0, 0, v6
	v_dual_add_f32 v12, v13, v12 :: v_dual_sub_f32 v13, 0x40490fdb, v11
	s_delay_alu instid0(VALU_DEP_2) | instskip(NEXT) | instid1(VALU_DEP_2)
	v_cndmask_b32_e64 v14, 0, 0x40490fdb, s0
	v_cndmask_b32_e32 v10, v10, v12, vcc_lo
	v_cmp_gt_f32_e64 s0, 0, v6
	v_cmp_eq_f32_e32 vcc_lo, 0, v7
	s_delay_alu instid0(VALU_DEP_3) | instskip(NEXT) | instid1(VALU_DEP_3)
	v_sub_f32_e32 v10, v10, v15
	v_cndmask_b32_e64 v11, v11, v13, s0
	v_cndmask_b32_e64 v12, 0x3f490fdb, v20, s0
	s_delay_alu instid0(VALU_DEP_3) | instskip(NEXT) | instid1(VALU_DEP_3)
	v_add_f32_e32 v10, 1.0, v10
	v_cndmask_b32_e32 v11, v11, v14, vcc_lo
	s_and_b32 vcc_lo, s1, s3
	s_delay_alu instid0(VALU_DEP_1)
	v_cndmask_b32_e32 v11, v11, v12, vcc_lo
.LBB175_189:                            ;   in Loop: Header=BB175_162 Depth=1
	s_or_b32 exec_lo, exec_lo, s2
.LBB175_190:                            ;   in Loop: Header=BB175_162 Depth=1
	s_and_not1_saveexec_b32 s0, s11
	s_cbranch_execz .LBB175_196
; %bb.191:                              ;   in Loop: Header=BB175_162 Depth=1
	v_cmp_ngt_f32_e64 s1, 0x20000000, |v6|
	v_cmp_ngt_f32_e64 s2, 0x20000000, |v7|
                                        ; implicit-def: $vgpr10
	s_delay_alu instid0(VALU_DEP_1) | instskip(NEXT) | instid1(SALU_CYCLE_1)
	s_or_b32 s1, s1, s2
	s_and_saveexec_b32 s2, s1
	s_delay_alu instid0(SALU_CYCLE_1)
	s_xor_b32 s1, exec_lo, s2
; %bb.192:                              ;   in Loop: Header=BB175_162 Depth=1
	v_mul_f32_e32 v10, v7, v7
	s_delay_alu instid0(VALU_DEP_1)
	v_fmac_f32_e32 v10, v6, v6
; %bb.193:                              ;   in Loop: Header=BB175_162 Depth=1
	s_and_not1_saveexec_b32 s1, s1
; %bb.194:                              ;   in Loop: Header=BB175_162 Depth=1
	v_mul_f32_e32 v10, 4.0, v7
	v_mul_f32_e32 v6, 4.0, v6
	s_delay_alu instid0(VALU_DEP_2) | instskip(NEXT) | instid1(VALU_DEP_1)
	v_mul_f32_e32 v10, v10, v10
	v_fmac_f32_e32 v10, v6, v6
	s_delay_alu instid0(VALU_DEP_1)
	v_mul_f32_e32 v10, 0x3d800000, v10
; %bb.195:                              ;   in Loop: Header=BB175_162 Depth=1
	s_or_b32 exec_lo, exec_lo, s1
	s_delay_alu instid0(VALU_DEP_1) | instskip(SKIP_1) | instid1(VALU_DEP_1)
	v_cmp_gt_f32_e32 vcc_lo, 0x800000, v10
	v_cndmask_b32_e64 v6, 1.0, 0x4f800000, vcc_lo
	v_mul_f32_e32 v6, v10, v6
	s_delay_alu instid0(VALU_DEP_1) | instskip(SKIP_2) | instid1(VALU_DEP_1)
	v_log_f32_e32 v6, v6
	s_waitcnt_depctr 0xfff
	v_mul_f32_e32 v10, 0x3f317217, v6
	v_fma_f32 v11, 0x3f317217, v6, -v10
	s_delay_alu instid0(VALU_DEP_1) | instskip(NEXT) | instid1(VALU_DEP_1)
	v_fmac_f32_e32 v11, 0x3377d1cf, v6
	v_add_f32_e32 v10, v10, v11
	v_cndmask_b32_e64 v11, 0, 0x41b17218, vcc_lo
	v_cmp_gt_f32_e64 vcc_lo, 0x7f800000, |v6|
	s_delay_alu instid0(VALU_DEP_3) | instskip(NEXT) | instid1(VALU_DEP_1)
	v_cndmask_b32_e32 v6, v6, v10, vcc_lo
	v_dual_sub_f32 v10, v6, v11 :: v_dual_mov_b32 v11, 0x7fc00000
.LBB175_196:                            ;   in Loop: Header=BB175_162 Depth=1
	s_or_b32 exec_lo, exec_lo, s0
                                        ; implicit-def: $vgpr6
	s_delay_alu instid0(SALU_CYCLE_1)
	s_mov_b32 s0, exec_lo
	v_cmpx_o_f32_e32 v9, v8
	s_xor_b32 s11, exec_lo, s0
	s_cbranch_execz .LBB175_224
; %bb.197:                              ;   in Loop: Header=BB175_162 Depth=1
	v_cmp_lt_f32_e64 s0, |v8|, |v9|
                                        ; implicit-def: $vgpr6
	s_mov_b32 s1, exec_lo
	s_delay_alu instid0(VALU_DEP_1) | instskip(NEXT) | instid1(VALU_DEP_1)
	v_cndmask_b32_e64 v13, |v9|, |v8|, s0
	v_cmpx_nlt_f32_e32 0x77f684df, v13
	s_xor_b32 s12, exec_lo, s1
	s_cbranch_execz .LBB175_221
; %bb.198:                              ;   in Loop: Header=BB175_162 Depth=1
	v_and_b32_e32 v6, 0x7fffffff, v9
	s_mov_b32 s1, exec_lo
	s_delay_alu instid0(VALU_DEP_1) | instskip(NEXT) | instid1(VALU_DEP_1)
	v_cndmask_b32_e64 v14, |v8|, v6, s0
                                        ; implicit-def: $vgpr6
	v_cmpx_neq_f32_e32 1.0, v14
	s_xor_b32 s16, exec_lo, s1
	s_cbranch_execz .LBB175_214
; %bb.199:                              ;   in Loop: Header=BB175_162 Depth=1
	v_max_f32_e32 v6, v13, v13
	v_max_f32_e32 v12, v14, v14
	s_delay_alu instid0(VALU_DEP_1) | instskip(SKIP_1) | instid1(VALU_DEP_2)
	v_min_f32_e32 v15, v12, v6
	v_max_f32_e32 v6, v12, v6
	v_cmp_ngt_f32_e32 vcc_lo, 0x358637bd, v15
	s_delay_alu instid0(VALU_DEP_2) | instskip(NEXT) | instid1(VALU_DEP_1)
	v_cmp_nlt_f32_e64 s1, 0x49742400, v6
                                        ; implicit-def: $vgpr6
	s_and_b32 s1, s1, vcc_lo
	s_delay_alu instid0(SALU_CYCLE_1) | instskip(NEXT) | instid1(SALU_CYCLE_1)
	s_and_saveexec_b32 s2, s1
	s_xor_b32 s17, exec_lo, s2
	s_cbranch_execz .LBB175_211
; %bb.200:                              ;   in Loop: Header=BB175_162 Depth=1
                                        ; implicit-def: $vgpr6
	s_mov_b32 s1, exec_lo
	v_cmpx_le_f32_e32 1.0, v14
	s_xor_b32 s2, exec_lo, s1
	s_cbranch_execz .LBB175_202
; %bb.201:                              ;   in Loop: Header=BB175_162 Depth=1
	v_add_f32_e32 v6, -1.0, v14
	v_add_f32_e32 v12, 1.0, v14
	v_cmp_class_f32_e64 s3, v8, 0x204
	s_delay_alu instid0(VALU_DEP_2) | instskip(NEXT) | instid1(VALU_DEP_1)
	v_mul_f32_e32 v6, v6, v12
	v_fmac_f32_e32 v6, v13, v13
	s_delay_alu instid0(VALU_DEP_1) | instskip(NEXT) | instid1(VALU_DEP_1)
	v_add_f32_e32 v14, 1.0, v6
	v_cvt_f64_f32_e32 v[12:13], v14
	s_delay_alu instid0(VALU_DEP_1) | instskip(SKIP_1) | instid1(VALU_DEP_1)
	v_frexp_exp_i32_f64_e32 v12, v[12:13]
	v_frexp_mant_f32_e32 v13, v14
	v_cmp_gt_f32_e32 vcc_lo, 0x3f2aaaab, v13
	v_add_f32_e32 v13, -1.0, v14
	s_delay_alu instid0(VALU_DEP_1) | instskip(SKIP_1) | instid1(VALU_DEP_1)
	v_sub_f32_e32 v16, v13, v14
	v_subrev_co_ci_u32_e32 v12, vcc_lo, 0, v12, vcc_lo
	v_sub_nc_u32_e32 v15, 0, v12
	v_cvt_f32_i32_e32 v12, v12
	s_delay_alu instid0(VALU_DEP_2) | instskip(NEXT) | instid1(VALU_DEP_1)
	v_ldexp_f32 v14, v14, v15
	v_dual_add_f32 v16, 1.0, v16 :: v_dual_add_f32 v17, 1.0, v14
	v_sub_f32_e32 v13, v6, v13
	v_cmp_eq_f32_e32 vcc_lo, 0x7f800000, v6
	v_cmp_neq_f32_e64 s1, -1.0, v6
	s_delay_alu instid0(VALU_DEP_3) | instskip(NEXT) | instid1(VALU_DEP_1)
	v_add_f32_e32 v13, v13, v16
	v_ldexp_f32 v13, v13, v15
	v_dual_add_f32 v15, -1.0, v14 :: v_dual_add_f32 v16, -1.0, v17
	s_delay_alu instid0(VALU_DEP_1) | instskip(NEXT) | instid1(VALU_DEP_1)
	v_dual_add_f32 v21, 1.0, v15 :: v_dual_sub_f32 v16, v14, v16
	v_add_f32_e32 v16, v13, v16
	s_delay_alu instid0(VALU_DEP_1) | instskip(NEXT) | instid1(VALU_DEP_1)
	v_dual_sub_f32 v14, v14, v21 :: v_dual_add_f32 v21, v17, v16
	v_add_f32_e32 v13, v13, v14
	s_delay_alu instid0(VALU_DEP_2) | instskip(NEXT) | instid1(VALU_DEP_1)
	v_rcp_f32_e32 v14, v21
	v_add_f32_e32 v22, v15, v13
	v_sub_f32_e32 v17, v21, v17
	s_delay_alu instid0(VALU_DEP_2) | instskip(NEXT) | instid1(VALU_DEP_1)
	v_sub_f32_e32 v15, v22, v15
	v_sub_f32_e32 v13, v13, v15
	s_waitcnt_depctr 0xfff
	v_dual_mul_f32 v23, v22, v14 :: v_dual_sub_f32 v16, v16, v17
	s_delay_alu instid0(VALU_DEP_1) | instskip(NEXT) | instid1(VALU_DEP_1)
	v_mul_f32_e32 v24, v21, v23
	v_fma_f32 v17, v23, v21, -v24
	s_delay_alu instid0(VALU_DEP_1) | instskip(NEXT) | instid1(VALU_DEP_1)
	v_fmac_f32_e32 v17, v23, v16
	v_add_f32_e32 v25, v24, v17
	s_delay_alu instid0(VALU_DEP_1) | instskip(NEXT) | instid1(VALU_DEP_1)
	v_dual_sub_f32 v26, v22, v25 :: v_dual_sub_f32 v15, v25, v24
	v_dual_sub_f32 v22, v22, v26 :: v_dual_sub_f32 v15, v15, v17
	s_delay_alu instid0(VALU_DEP_1) | instskip(NEXT) | instid1(VALU_DEP_1)
	v_sub_f32_e32 v22, v22, v25
	v_add_f32_e32 v13, v13, v22
	s_delay_alu instid0(VALU_DEP_1) | instskip(NEXT) | instid1(VALU_DEP_1)
	v_add_f32_e32 v13, v15, v13
	v_add_f32_e32 v15, v26, v13
	s_delay_alu instid0(VALU_DEP_1) | instskip(NEXT) | instid1(VALU_DEP_1)
	v_mul_f32_e32 v17, v14, v15
	v_dual_sub_f32 v25, v26, v15 :: v_dual_mul_f32 v22, v21, v17
	s_delay_alu instid0(VALU_DEP_1) | instskip(NEXT) | instid1(VALU_DEP_1)
	v_fma_f32 v21, v17, v21, -v22
	v_fmac_f32_e32 v21, v17, v16
	s_delay_alu instid0(VALU_DEP_1) | instskip(NEXT) | instid1(VALU_DEP_1)
	v_add_f32_e32 v16, v22, v21
	v_sub_f32_e32 v24, v15, v16
	s_delay_alu instid0(VALU_DEP_1) | instskip(SKIP_1) | instid1(VALU_DEP_2)
	v_dual_sub_f32 v15, v15, v24 :: v_dual_sub_f32 v22, v16, v22
	v_add_f32_e32 v13, v13, v25
	v_dual_sub_f32 v15, v15, v16 :: v_dual_sub_f32 v16, v22, v21
	v_max_f32_e64 v21, |v9|, |v9|
	s_delay_alu instid0(VALU_DEP_2) | instskip(SKIP_1) | instid1(VALU_DEP_1)
	v_add_f32_e32 v13, v13, v15
	v_add_f32_e32 v15, v23, v17
	v_dual_add_f32 v13, v16, v13 :: v_dual_sub_f32 v16, v15, v23
	s_delay_alu instid0(VALU_DEP_1) | instskip(NEXT) | instid1(VALU_DEP_1)
	v_dual_add_f32 v13, v24, v13 :: v_dual_sub_f32 v16, v17, v16
	v_dual_mul_f32 v24, 0x3f317218, v12 :: v_dual_mul_f32 v13, v14, v13
	s_delay_alu instid0(VALU_DEP_1) | instskip(NEXT) | instid1(VALU_DEP_2)
	v_fma_f32 v25, 0x3f317218, v12, -v24
	v_add_f32_e32 v13, v16, v13
	s_delay_alu instid0(VALU_DEP_1) | instskip(NEXT) | instid1(VALU_DEP_1)
	v_add_f32_e32 v14, v15, v13
	v_mul_f32_e32 v16, v14, v14
	v_ldexp_f32 v23, v14, 1
	s_delay_alu instid0(VALU_DEP_2) | instskip(SKIP_2) | instid1(VALU_DEP_3)
	v_fmaak_f32 v17, s8, v16, 0x3ecc95a3
	v_mul_f32_e32 v22, v14, v16
	v_sub_f32_e32 v14, v14, v15
	v_fmaak_f32 v16, v16, v17, 0x3f2aaada
	v_max_f32_e64 v17, |v8|, |v8|
	s_delay_alu instid0(VALU_DEP_2) | instskip(NEXT) | instid1(VALU_DEP_2)
	v_dual_sub_f32 v13, v13, v14 :: v_dual_mul_f32 v16, v22, v16
	v_max_f32_e32 v22, v17, v21
	s_delay_alu instid0(VALU_DEP_2) | instskip(NEXT) | instid1(VALU_DEP_3)
	v_ldexp_f32 v13, v13, 1
	v_add_f32_e32 v15, v23, v16
	s_delay_alu instid0(VALU_DEP_1) | instskip(NEXT) | instid1(VALU_DEP_1)
	v_sub_f32_e32 v14, v15, v23
	v_dual_sub_f32 v14, v16, v14 :: v_dual_fmac_f32 v25, 0xb102e308, v12
	s_delay_alu instid0(VALU_DEP_1) | instskip(SKIP_4) | instid1(VALU_DEP_4)
	v_add_f32_e32 v12, v13, v14
	v_min_f32_e32 v17, v17, v21
	v_frexp_mant_f32_e32 v21, v22
	v_frexp_exp_i32_f32_e32 v22, v22
	v_add_f32_e32 v14, v24, v25
	v_frexp_mant_f32_e32 v16, v17
	s_delay_alu instid0(VALU_DEP_4) | instskip(SKIP_3) | instid1(VALU_DEP_1)
	v_rcp_f32_e32 v21, v21
	s_waitcnt_depctr 0xfff
	v_dual_mul_f32 v13, v16, v21 :: v_dual_add_f32 v16, v15, v12
	v_frexp_exp_i32_f32_e32 v23, v17
	v_sub_nc_u32_e32 v17, v23, v22
	s_delay_alu instid0(VALU_DEP_1) | instskip(NEXT) | instid1(VALU_DEP_1)
	v_ldexp_f32 v13, v13, v17
	v_mul_f32_e32 v21, v13, v13
	s_delay_alu instid0(VALU_DEP_1) | instskip(NEXT) | instid1(VALU_DEP_1)
	v_fmaak_f32 v23, s10, v21, 0xbc7a590c
	v_dual_fmaak_f32 v23, v21, v23, 0x3d29fb3f :: v_dual_sub_f32 v24, v14, v24
	s_delay_alu instid0(VALU_DEP_1) | instskip(NEXT) | instid1(VALU_DEP_1)
	v_dual_sub_f32 v15, v16, v15 :: v_dual_sub_f32 v24, v25, v24
	v_dual_add_f32 v17, v14, v16 :: v_dual_sub_f32 v12, v12, v15
	s_delay_alu instid0(VALU_DEP_1) | instskip(NEXT) | instid1(VALU_DEP_1)
	v_sub_f32_e32 v22, v17, v14
	v_sub_f32_e32 v26, v17, v22
	v_dual_sub_f32 v15, v16, v22 :: v_dual_fmaak_f32 v16, v21, v23, 0xbd97d4d7
	s_delay_alu instid0(VALU_DEP_2) | instskip(NEXT) | instid1(VALU_DEP_1)
	v_sub_f32_e32 v14, v14, v26
	v_dual_add_f32 v14, v15, v14 :: v_dual_fmaak_f32 v15, v21, v16, 0x3dd931b2
	s_delay_alu instid0(VALU_DEP_1) | instskip(NEXT) | instid1(VALU_DEP_1)
	v_dual_add_f32 v22, v24, v12 :: v_dual_fmaak_f32 v15, v21, v15, 0xbe1160e6
	v_dual_fmaak_f32 v15, v21, v15, 0x3e4cb8bf :: v_dual_add_f32 v14, v22, v14
	s_delay_alu instid0(VALU_DEP_1) | instskip(NEXT) | instid1(VALU_DEP_1)
	v_dual_sub_f32 v16, v22, v24 :: v_dual_fmaak_f32 v15, v21, v15, 0xbeaaaa62
	v_dual_add_f32 v23, v17, v14 :: v_dual_sub_f32 v22, v22, v16
	s_delay_alu instid0(VALU_DEP_2) | instskip(NEXT) | instid1(VALU_DEP_2)
	v_dual_sub_f32 v12, v12, v16 :: v_dual_mul_f32 v15, v21, v15
	v_dual_sub_f32 v17, v23, v17 :: v_dual_sub_f32 v16, v24, v22
	s_delay_alu instid0(VALU_DEP_1) | instskip(NEXT) | instid1(VALU_DEP_2)
	v_dual_fmac_f32 v13, v13, v15 :: v_dual_sub_f32 v14, v14, v17
	v_add_f32_e32 v12, v12, v16
	s_delay_alu instid0(VALU_DEP_1) | instskip(NEXT) | instid1(VALU_DEP_3)
	v_add_f32_e32 v12, v12, v14
	v_sub_f32_e32 v14, 0x3fc90fdb, v13
	s_delay_alu instid0(VALU_DEP_2) | instskip(NEXT) | instid1(VALU_DEP_2)
	v_add_f32_e32 v12, v23, v12
	v_cndmask_b32_e64 v13, v13, v14, s0
	s_delay_alu instid0(VALU_DEP_2) | instskip(SKIP_1) | instid1(VALU_DEP_3)
	v_cndmask_b32_e32 v12, v12, v6, vcc_lo
	v_cmp_gt_i32_e32 vcc_lo, 0, v8
	v_sub_f32_e32 v15, 0x40490fdb, v13
	v_cndmask_b32_e64 v14, 0, 0x40490fdb, vcc_lo
	v_cmp_ngt_f32_e32 vcc_lo, -1.0, v6
	v_cndmask_b32_e32 v12, 0x7fc00000, v12, vcc_lo
	v_cmp_gt_f32_e32 vcc_lo, 0, v8
	s_delay_alu instid0(VALU_DEP_2)
	v_cndmask_b32_e64 v12, 0xff800000, v12, s1
	v_cndmask_b32_e32 v13, v13, v15, vcc_lo
	v_cndmask_b32_e32 v15, 0x3f490fdb, v20, vcc_lo
	v_cmp_gt_f32_e64 vcc_lo, 0x33800000, |v6|
	v_cmp_class_f32_e64 s1, v9, 0x204
	v_cndmask_b32_e32 v6, v12, v6, vcc_lo
	v_cmp_eq_f32_e32 vcc_lo, 0, v9
	s_delay_alu instid0(VALU_DEP_2) | instskip(SKIP_2) | instid1(VALU_DEP_1)
	v_mul_f32_e32 v12, 0.5, v6
	v_cndmask_b32_e32 v13, v13, v14, vcc_lo
	s_and_b32 vcc_lo, s3, s1
                                        ; implicit-def: $vgpr14
	v_cndmask_b32_e32 v6, v13, v15, vcc_lo
                                        ; implicit-def: $vgpr13
.LBB175_202:                            ;   in Loop: Header=BB175_162 Depth=1
	s_and_not1_saveexec_b32 s18, s2
	s_cbranch_execz .LBB175_210
; %bb.203:                              ;   in Loop: Header=BB175_162 Depth=1
	v_mul_f32_e32 v12, v13, v13
                                        ; implicit-def: $vgpr6
	s_mov_b32 s1, exec_lo
	s_delay_alu instid0(VALU_DEP_1) | instskip(NEXT) | instid1(VALU_DEP_1)
	v_fmac_f32_e32 v12, v14, v14
	v_cmpx_ge_f32_e32 0x3f333333, v12
	s_xor_b32 s2, exec_lo, s1
	s_cbranch_execz .LBB175_205
; %bb.204:                              ;   in Loop: Header=BB175_162 Depth=1
	v_max_f32_e64 v6, |v9|, |v9|
	v_max_f32_e64 v13, |v8|, |v8|
	v_cmp_gt_f32_e32 vcc_lo, 0x800000, v12
	v_cmp_gt_i32_e64 s1, 0, v8
	v_cmp_class_f32_e64 s3, v8, 0x204
	v_cmp_class_f32_e64 s4, v9, 0x204
	v_max_f32_e32 v14, v13, v6
	v_min_f32_e32 v6, v13, v6
	v_cndmask_b32_e64 v16, 0, 0x41b17218, vcc_lo
	s_delay_alu instid0(VALU_DEP_3) | instskip(SKIP_1) | instid1(VALU_DEP_2)
	v_frexp_mant_f32_e32 v15, v14
	v_frexp_exp_i32_f32_e32 v14, v14
	v_rcp_f32_e32 v13, v15
	v_frexp_exp_i32_f32_e32 v15, v6
	v_frexp_mant_f32_e32 v6, v6
	s_delay_alu instid0(VALU_DEP_2) | instskip(SKIP_4) | instid1(VALU_DEP_2)
	v_sub_nc_u32_e32 v14, v15, v14
	v_cndmask_b32_e64 v15, 1.0, 0x4f800000, vcc_lo
	s_waitcnt_depctr 0xfff
	v_mul_f32_e32 v6, v6, v13
	v_mul_f32_e32 v12, v12, v15
	v_ldexp_f32 v6, v6, v14
	s_delay_alu instid0(VALU_DEP_2) | instskip(NEXT) | instid1(VALU_DEP_1)
	v_log_f32_e32 v12, v12
	v_mul_f32_e32 v13, v6, v6
	s_delay_alu instid0(VALU_DEP_1) | instskip(SKIP_3) | instid1(VALU_DEP_1)
	v_fmaak_f32 v14, s10, v13, 0xbc7a590c
	s_waitcnt_depctr 0xfff
	v_cmp_gt_f32_e64 vcc_lo, 0x7f800000, |v12|
	v_fmaak_f32 v14, v13, v14, 0x3d29fb3f
	v_fmaak_f32 v14, v13, v14, 0xbd97d4d7
	s_delay_alu instid0(VALU_DEP_1) | instskip(NEXT) | instid1(VALU_DEP_1)
	v_fmaak_f32 v14, v13, v14, 0x3dd931b2
	v_fmaak_f32 v14, v13, v14, 0xbe1160e6
	s_delay_alu instid0(VALU_DEP_1) | instskip(NEXT) | instid1(VALU_DEP_1)
	;; [unrolled: 3-line block ×3, first 2 shown]
	v_dual_mul_f32 v13, v13, v14 :: v_dual_mul_f32 v14, 0x3f317217, v12
	v_fmac_f32_e32 v6, v6, v13
	s_delay_alu instid0(VALU_DEP_2) | instskip(NEXT) | instid1(VALU_DEP_1)
	v_fma_f32 v13, 0x3f317217, v12, -v14
	v_fmac_f32_e32 v13, 0x3377d1cf, v12
	s_delay_alu instid0(VALU_DEP_1) | instskip(SKIP_2) | instid1(VALU_DEP_3)
	v_add_f32_e32 v13, v14, v13
	v_cndmask_b32_e64 v14, 0, 0x40490fdb, s1
	v_cmp_eq_f32_e64 s1, 0, v9
	v_cndmask_b32_e32 v12, v12, v13, vcc_lo
	v_cmp_gt_f32_e32 vcc_lo, 0, v8
	s_delay_alu instid0(VALU_DEP_2) | instskip(SKIP_1) | instid1(VALU_DEP_2)
	v_sub_f32_e32 v12, v12, v16
	v_cndmask_b32_e32 v13, 0x3f490fdb, v20, vcc_lo
	v_dual_sub_f32 v15, 0x3fc90fdb, v6 :: v_dual_mul_f32 v12, 0.5, v12
	s_delay_alu instid0(VALU_DEP_1) | instskip(NEXT) | instid1(VALU_DEP_1)
	v_cndmask_b32_e64 v6, v6, v15, s0
	v_sub_f32_e32 v15, 0x40490fdb, v6
	s_delay_alu instid0(VALU_DEP_1) | instskip(SKIP_1) | instid1(VALU_DEP_1)
	v_cndmask_b32_e32 v6, v6, v15, vcc_lo
	s_and_b32 vcc_lo, s3, s4
	v_cndmask_b32_e64 v6, v6, v14, s1
                                        ; implicit-def: $vgpr14
	s_delay_alu instid0(VALU_DEP_1)
	v_cndmask_b32_e32 v6, v6, v13, vcc_lo
                                        ; implicit-def: $vgpr13
.LBB175_205:                            ;   in Loop: Header=BB175_162 Depth=1
	s_and_not1_saveexec_b32 s19, s2
	s_cbranch_execz .LBB175_209
; %bb.206:                              ;   in Loop: Header=BB175_162 Depth=1
	v_and_b32_e32 v15, 0x7fff0000, v13
	v_and_b32_e32 v12, 0x7fff0000, v14
	s_mov_b32 s21, 0
	s_delay_alu instid0(VALU_DEP_1) | instskip(SKIP_2) | instid1(VALU_DEP_3)
	v_dual_add_f32 v25, v15, v15 :: v_dual_sub_f32 v14, v14, v12
	v_sub_f32_e32 v16, v13, v15
	v_dual_mul_f32 v6, v12, v12 :: v_dual_mul_f32 v13, v15, v15
	v_dual_add_f32 v22, v12, v12 :: v_dual_and_b32 v17, 0xffff0000, v14
	s_delay_alu instid0(VALU_DEP_1) | instskip(NEXT) | instid1(VALU_DEP_2)
	v_sub_f32_e32 v15, v14, v17
	v_dual_mul_f32 v24, v22, v17 :: v_dual_and_b32 v21, 0xffff0000, v16
	v_mul_f32_e32 v14, v17, v17
	s_delay_alu instid0(VALU_DEP_2)
	v_sub_f32_e32 v26, v16, v21
	v_add_f32_e32 v16, v17, v17
	v_add_f32_e32 v27, v21, v21
	v_dual_mul_f32 v12, v25, v21 :: v_dual_mul_f32 v17, v22, v15
	v_mul_f32_e32 v23, v21, v21
	v_mul_f32_e32 v22, v25, v26
	;; [unrolled: 1-line block ×3, first 2 shown]
	v_dual_mul_f32 v21, v16, v15 :: v_dual_mul_f32 v16, v27, v26
	v_mul_f32_e32 v15, v15, v15
.LBB175_207:                            ;   Parent Loop BB175_162 Depth=1
                                        ; =>  This Inner Loop Header: Depth=2
	v_cmp_nlt_f32_e32 vcc_lo, v6, v13
	s_delay_alu instid0(VALU_DEP_4) | instskip(SKIP_1) | instid1(VALU_DEP_2)
	v_dual_mov_b32 v27, v25 :: v_dual_cndmask_b32 v26, v6, v13
	v_cndmask_b32_e32 v6, v13, v6, vcc_lo
	v_cmp_nlt_f32_e64 s1, v26, v24
	s_delay_alu instid0(VALU_DEP_1) | instskip(SKIP_2) | instid1(VALU_DEP_2)
	v_cndmask_b32_e64 v25, v26, v24, s1
	v_cndmask_b32_e64 v13, v24, v26, s1
	s_and_b32 s22, vcc_lo, s1
	v_cmp_nlt_f32_e64 s2, v25, v12
	s_delay_alu instid0(VALU_DEP_1) | instskip(SKIP_1) | instid1(VALU_DEP_2)
	v_cndmask_b32_e64 v28, v25, v12, s2
	v_cndmask_b32_e64 v24, v12, v25, s2
	v_cmp_nlt_f32_e64 s3, v28, v14
	s_delay_alu instid0(VALU_DEP_1) | instskip(SKIP_2) | instid1(VALU_DEP_2)
	v_cndmask_b32_e64 v26, v28, v14, s3
	v_cndmask_b32_e64 v12, v14, v28, s3
	s_and_b32 s23, s2, s3
	v_cmp_nlt_f32_e64 s4, v26, v23
	s_delay_alu instid0(VALU_DEP_1) | instskip(SKIP_1) | instid1(VALU_DEP_2)
	v_cndmask_b32_e64 v29, v26, v23, s4
	v_cndmask_b32_e64 v14, v23, v26, s4
	v_cmp_nlt_f32_e64 s5, v29, v17
	s_delay_alu instid0(VALU_DEP_1) | instskip(SKIP_2) | instid1(VALU_DEP_2)
	v_cndmask_b32_e64 v30, v29, v17, s5
	s_and_b32 s3, s4, s5
	v_cndmask_b32_e64 v23, v17, v29, s5
	v_cmp_nlt_f32_e64 s6, v30, v22
	s_delay_alu instid0(VALU_DEP_1) | instskip(SKIP_2) | instid1(VALU_DEP_2)
	v_cndmask_b32_e64 v31, v30, v22, s6
	s_and_b32 s3, s3, s6
	v_cndmask_b32_e64 v17, v22, v30, s6
	v_cmp_nlt_f32_e32 vcc_lo, v31, v21
	v_cndmask_b32_e32 v32, v31, v21, vcc_lo
	s_and_b32 s4, s3, vcc_lo
	v_cndmask_b32_e32 v22, v21, v31, vcc_lo
	s_delay_alu instid0(VALU_DEP_2) | instskip(NEXT) | instid1(VALU_DEP_1)
	v_cmp_nlt_f32_e64 s1, v32, v16
	v_cndmask_b32_e64 v28, v32, v16, s1
	s_and_b32 s4, s4, s1
	v_cndmask_b32_e64 v21, v16, v32, s1
	s_delay_alu instid0(VALU_DEP_2) | instskip(NEXT) | instid1(VALU_DEP_1)
	v_cmp_nlt_f32_e64 s2, v28, v15
	v_cndmask_b32_e64 v26, v28, v15, s2
	s_and_b32 s4, s4, s2
	v_cndmask_b32_e64 v16, v15, v28, s2
	s_delay_alu instid0(VALU_DEP_2) | instskip(NEXT) | instid1(VALU_DEP_1)
	v_cmp_nlt_f32_e64 s3, v26, v27
	s_and_b32 s4, s4, s3
	v_cndmask_b32_e64 v25, v26, v27, s3
	s_and_b32 s1, s4, s23
	v_cndmask_b32_e64 v15, v27, v26, s3
	s_and_b32 s1, s1, s22
	s_delay_alu instid0(SALU_CYCLE_1) | instskip(NEXT) | instid1(SALU_CYCLE_1)
	s_and_b32 s1, exec_lo, s1
	s_or_b32 s21, s1, s21
	s_delay_alu instid0(SALU_CYCLE_1)
	s_and_not1_b32 exec_lo, exec_lo, s21
	s_cbranch_execnz .LBB175_207
; %bb.208:                              ;   in Loop: Header=BB175_162 Depth=1
	s_or_b32 exec_lo, exec_lo, s21
	v_add_f32_e32 v6, -1.0, v6
	v_cmp_class_f32_e64 s2, v8, 0x204
	s_delay_alu instid0(VALU_DEP_2) | instskip(NEXT) | instid1(VALU_DEP_1)
	v_add_f32_e32 v6, v6, v13
	v_add_f32_e32 v6, v6, v24
	s_delay_alu instid0(VALU_DEP_1) | instskip(NEXT) | instid1(VALU_DEP_1)
	v_add_f32_e32 v6, v6, v12
	v_add_f32_e32 v6, v6, v14
	s_delay_alu instid0(VALU_DEP_1) | instskip(NEXT) | instid1(VALU_DEP_1)
	;; [unrolled: 3-line block ×5, first 2 shown]
	v_add_f32_e32 v6, v25, v6
	v_add_f32_e32 v14, 1.0, v6
	s_delay_alu instid0(VALU_DEP_1) | instskip(NEXT) | instid1(VALU_DEP_1)
	v_cvt_f64_f32_e32 v[12:13], v14
	v_frexp_exp_i32_f64_e32 v12, v[12:13]
	v_frexp_mant_f32_e32 v13, v14
	s_delay_alu instid0(VALU_DEP_1) | instskip(SKIP_1) | instid1(VALU_DEP_1)
	v_cmp_gt_f32_e32 vcc_lo, 0x3f2aaaab, v13
	v_add_f32_e32 v13, -1.0, v14
	v_dual_sub_f32 v16, v13, v14 :: v_dual_sub_f32 v13, v6, v13
	s_delay_alu instid0(VALU_DEP_1) | instskip(NEXT) | instid1(VALU_DEP_1)
	v_add_f32_e32 v16, 1.0, v16
	v_add_f32_e32 v13, v13, v16
	v_subrev_co_ci_u32_e32 v12, vcc_lo, 0, v12, vcc_lo
	s_delay_alu instid0(VALU_DEP_1) | instskip(SKIP_1) | instid1(VALU_DEP_2)
	v_sub_nc_u32_e32 v15, 0, v12
	v_cvt_f32_i32_e32 v12, v12
	v_ldexp_f32 v14, v14, v15
	v_ldexp_f32 v13, v13, v15
	s_delay_alu instid0(VALU_DEP_2) | instskip(NEXT) | instid1(VALU_DEP_1)
	v_add_f32_e32 v17, 1.0, v14
	v_dual_add_f32 v15, -1.0, v14 :: v_dual_add_f32 v16, -1.0, v17
	s_delay_alu instid0(VALU_DEP_1) | instskip(NEXT) | instid1(VALU_DEP_1)
	v_dual_add_f32 v21, 1.0, v15 :: v_dual_sub_f32 v16, v14, v16
	v_sub_f32_e32 v14, v14, v21
	s_delay_alu instid0(VALU_DEP_2) | instskip(NEXT) | instid1(VALU_DEP_2)
	v_add_f32_e32 v16, v13, v16
	v_add_f32_e32 v13, v13, v14
	s_delay_alu instid0(VALU_DEP_2) | instskip(NEXT) | instid1(VALU_DEP_1)
	v_add_f32_e32 v21, v17, v16
	v_rcp_f32_e32 v14, v21
	s_delay_alu instid0(VALU_DEP_2) | instskip(SKIP_1) | instid1(VALU_DEP_1)
	v_add_f32_e32 v22, v15, v13
	v_sub_f32_e32 v17, v21, v17
	v_dual_sub_f32 v15, v22, v15 :: v_dual_sub_f32 v16, v16, v17
	v_cmp_eq_f32_e32 vcc_lo, 0x7f800000, v6
	v_cmp_neq_f32_e64 s1, -1.0, v6
	s_waitcnt_depctr 0xfff
	v_mul_f32_e32 v23, v22, v14
	v_sub_f32_e32 v13, v13, v15
	s_delay_alu instid0(VALU_DEP_2) | instskip(NEXT) | instid1(VALU_DEP_1)
	v_mul_f32_e32 v24, v21, v23
	v_fma_f32 v17, v23, v21, -v24
	s_delay_alu instid0(VALU_DEP_1) | instskip(NEXT) | instid1(VALU_DEP_1)
	v_fmac_f32_e32 v17, v23, v16
	v_add_f32_e32 v25, v24, v17
	s_delay_alu instid0(VALU_DEP_1) | instskip(NEXT) | instid1(VALU_DEP_1)
	v_dual_sub_f32 v26, v22, v25 :: v_dual_sub_f32 v15, v25, v24
	v_dual_sub_f32 v22, v22, v26 :: v_dual_sub_f32 v15, v15, v17
	s_delay_alu instid0(VALU_DEP_1) | instskip(NEXT) | instid1(VALU_DEP_1)
	v_sub_f32_e32 v22, v22, v25
	v_add_f32_e32 v13, v13, v22
	s_delay_alu instid0(VALU_DEP_1) | instskip(NEXT) | instid1(VALU_DEP_1)
	v_add_f32_e32 v13, v15, v13
	v_add_f32_e32 v15, v26, v13
	s_delay_alu instid0(VALU_DEP_1) | instskip(NEXT) | instid1(VALU_DEP_1)
	v_mul_f32_e32 v17, v14, v15
	v_dual_sub_f32 v25, v26, v15 :: v_dual_mul_f32 v22, v21, v17
	s_delay_alu instid0(VALU_DEP_1) | instskip(NEXT) | instid1(VALU_DEP_2)
	v_add_f32_e32 v13, v13, v25
	v_fma_f32 v21, v17, v21, -v22
	s_delay_alu instid0(VALU_DEP_1) | instskip(NEXT) | instid1(VALU_DEP_1)
	v_fmac_f32_e32 v21, v17, v16
	v_add_f32_e32 v16, v22, v21
	s_delay_alu instid0(VALU_DEP_1) | instskip(NEXT) | instid1(VALU_DEP_1)
	v_sub_f32_e32 v24, v15, v16
	v_sub_f32_e32 v15, v15, v24
	s_delay_alu instid0(VALU_DEP_1) | instskip(NEXT) | instid1(VALU_DEP_1)
	v_sub_f32_e32 v15, v15, v16
	v_dual_add_f32 v13, v13, v15 :: v_dual_sub_f32 v22, v16, v22
	v_add_f32_e32 v15, v23, v17
	s_delay_alu instid0(VALU_DEP_2) | instskip(SKIP_1) | instid1(VALU_DEP_2)
	v_sub_f32_e32 v16, v22, v21
	v_max_f32_e64 v21, |v9|, |v9|
	v_dual_add_f32 v13, v16, v13 :: v_dual_sub_f32 v16, v15, v23
	s_delay_alu instid0(VALU_DEP_1) | instskip(NEXT) | instid1(VALU_DEP_1)
	v_dual_add_f32 v13, v24, v13 :: v_dual_sub_f32 v16, v17, v16
	v_dual_mul_f32 v24, 0x3f317218, v12 :: v_dual_mul_f32 v13, v14, v13
	s_delay_alu instid0(VALU_DEP_1) | instskip(NEXT) | instid1(VALU_DEP_2)
	v_fma_f32 v25, 0x3f317218, v12, -v24
	v_add_f32_e32 v13, v16, v13
	s_delay_alu instid0(VALU_DEP_1) | instskip(NEXT) | instid1(VALU_DEP_1)
	v_dual_fmac_f32 v25, 0xb102e308, v12 :: v_dual_add_f32 v14, v15, v13
	v_mul_f32_e32 v16, v14, v14
	v_ldexp_f32 v23, v14, 1
	s_delay_alu instid0(VALU_DEP_2) | instskip(SKIP_2) | instid1(VALU_DEP_3)
	v_fmaak_f32 v17, s8, v16, 0x3ecc95a3
	v_mul_f32_e32 v22, v14, v16
	v_sub_f32_e32 v14, v14, v15
	v_fmaak_f32 v16, v16, v17, 0x3f2aaada
	v_max_f32_e64 v17, |v8|, |v8|
	s_delay_alu instid0(VALU_DEP_2) | instskip(NEXT) | instid1(VALU_DEP_2)
	v_dual_sub_f32 v13, v13, v14 :: v_dual_mul_f32 v16, v22, v16
	v_max_f32_e32 v22, v17, v21
	v_min_f32_e32 v17, v17, v21
	s_delay_alu instid0(VALU_DEP_3) | instskip(NEXT) | instid1(VALU_DEP_4)
	v_ldexp_f32 v13, v13, 1
	v_add_f32_e32 v15, v23, v16
	s_delay_alu instid0(VALU_DEP_4) | instskip(SKIP_1) | instid1(VALU_DEP_3)
	v_frexp_mant_f32_e32 v21, v22
	v_frexp_exp_i32_f32_e32 v22, v22
	v_sub_f32_e32 v14, v15, v23
	s_delay_alu instid0(VALU_DEP_3) | instskip(SKIP_1) | instid1(VALU_DEP_2)
	v_rcp_f32_e32 v21, v21
	v_frexp_exp_i32_f32_e32 v23, v17
	v_sub_f32_e32 v14, v16, v14
	v_frexp_mant_f32_e32 v16, v17
	s_delay_alu instid0(VALU_DEP_3) | instskip(SKIP_2) | instid1(VALU_DEP_1)
	v_sub_nc_u32_e32 v17, v23, v22
	s_waitcnt_depctr 0xfff
	v_dual_add_f32 v12, v13, v14 :: v_dual_mul_f32 v13, v16, v21
	v_ldexp_f32 v13, v13, v17
	s_delay_alu instid0(VALU_DEP_1) | instskip(NEXT) | instid1(VALU_DEP_1)
	v_dual_mul_f32 v21, v13, v13 :: v_dual_add_f32 v16, v15, v12
	v_fmaak_f32 v23, s10, v21, 0xbc7a590c
	s_delay_alu instid0(VALU_DEP_2) | instskip(NEXT) | instid1(VALU_DEP_2)
	v_sub_f32_e32 v15, v16, v15
	v_dual_add_f32 v14, v24, v25 :: v_dual_fmaak_f32 v23, v21, v23, 0x3d29fb3f
	s_delay_alu instid0(VALU_DEP_1) | instskip(NEXT) | instid1(VALU_DEP_1)
	v_dual_add_f32 v17, v14, v16 :: v_dual_sub_f32 v12, v12, v15
	v_sub_f32_e32 v22, v17, v14
	s_delay_alu instid0(VALU_DEP_1) | instskip(SKIP_2) | instid1(VALU_DEP_3)
	v_dual_sub_f32 v24, v14, v24 :: v_dual_sub_f32 v15, v16, v22
	v_sub_f32_e32 v26, v17, v22
	v_fmaak_f32 v16, v21, v23, 0xbd97d4d7
	v_sub_f32_e32 v24, v25, v24
	s_delay_alu instid0(VALU_DEP_3) | instskip(NEXT) | instid1(VALU_DEP_1)
	v_sub_f32_e32 v14, v14, v26
	v_dual_add_f32 v14, v15, v14 :: v_dual_fmaak_f32 v15, v21, v16, 0x3dd931b2
	s_delay_alu instid0(VALU_DEP_1) | instskip(NEXT) | instid1(VALU_DEP_1)
	v_fmaak_f32 v15, v21, v15, 0xbe1160e6
	v_dual_fmaak_f32 v15, v21, v15, 0x3e4cb8bf :: v_dual_add_f32 v22, v24, v12
	s_delay_alu instid0(VALU_DEP_1) | instskip(NEXT) | instid1(VALU_DEP_1)
	v_fmaak_f32 v15, v21, v15, 0xbeaaaa62
	v_dual_mul_f32 v15, v21, v15 :: v_dual_sub_f32 v16, v22, v24
	s_delay_alu instid0(VALU_DEP_1) | instskip(NEXT) | instid1(VALU_DEP_1)
	v_dual_add_f32 v14, v22, v14 :: v_dual_fmac_f32 v13, v13, v15
	v_dual_sub_f32 v22, v22, v16 :: v_dual_add_f32 v23, v17, v14
	v_sub_f32_e32 v12, v12, v16
	s_delay_alu instid0(VALU_DEP_2) | instskip(NEXT) | instid1(VALU_DEP_1)
	v_dual_sub_f32 v16, v24, v22 :: v_dual_sub_f32 v17, v23, v17
	v_add_f32_e32 v12, v12, v16
	s_delay_alu instid0(VALU_DEP_2) | instskip(NEXT) | instid1(VALU_DEP_1)
	v_sub_f32_e32 v14, v14, v17
	v_add_f32_e32 v12, v12, v14
	v_sub_f32_e32 v14, 0x3fc90fdb, v13
	s_delay_alu instid0(VALU_DEP_2) | instskip(NEXT) | instid1(VALU_DEP_2)
	v_add_f32_e32 v12, v23, v12
	v_cndmask_b32_e64 v13, v13, v14, s0
	s_delay_alu instid0(VALU_DEP_2) | instskip(SKIP_1) | instid1(VALU_DEP_3)
	v_cndmask_b32_e32 v12, v12, v6, vcc_lo
	v_cmp_gt_i32_e32 vcc_lo, 0, v8
	v_sub_f32_e32 v15, 0x40490fdb, v13
	v_cndmask_b32_e64 v14, 0, 0x40490fdb, vcc_lo
	v_cmp_ngt_f32_e32 vcc_lo, -1.0, v6
	v_cndmask_b32_e32 v12, 0x7fc00000, v12, vcc_lo
	v_cmp_gt_f32_e32 vcc_lo, 0, v8
	s_delay_alu instid0(VALU_DEP_2)
	v_cndmask_b32_e64 v12, 0xff800000, v12, s1
	v_cndmask_b32_e32 v13, v13, v15, vcc_lo
	v_cndmask_b32_e32 v15, 0x3f490fdb, v20, vcc_lo
	v_cmp_gt_f32_e64 vcc_lo, 0x33800000, |v6|
	v_cmp_class_f32_e64 s1, v9, 0x204
	v_cndmask_b32_e32 v6, v12, v6, vcc_lo
	v_cmp_eq_f32_e32 vcc_lo, 0, v9
	s_delay_alu instid0(VALU_DEP_2) | instskip(SKIP_2) | instid1(VALU_DEP_1)
	v_mul_f32_e32 v12, 0.5, v6
	v_cndmask_b32_e32 v13, v13, v14, vcc_lo
	s_and_b32 vcc_lo, s2, s1
	v_cndmask_b32_e32 v6, v13, v15, vcc_lo
.LBB175_209:                            ;   in Loop: Header=BB175_162 Depth=1
	s_or_b32 exec_lo, exec_lo, s19
.LBB175_210:                            ;   in Loop: Header=BB175_162 Depth=1
	s_delay_alu instid0(SALU_CYCLE_1)
	s_or_b32 exec_lo, exec_lo, s18
.LBB175_211:                            ;   in Loop: Header=BB175_162 Depth=1
	s_and_not1_saveexec_b32 s2, s17
	s_cbranch_execz .LBB175_213
; %bb.212:                              ;   in Loop: Header=BB175_162 Depth=1
	v_max_f32_e64 v6, |v9|, |v9|
	v_max_f32_e64 v14, |v8|, |v8|
	v_cmp_gt_i32_e64 s1, 0, v8
	v_cmp_class_f32_e64 s3, v8, 0x204
	v_cmp_class_f32_e64 s4, v9, 0x204
	s_delay_alu instid0(VALU_DEP_4) | instskip(SKIP_1) | instid1(VALU_DEP_2)
	v_max_f32_e32 v15, v14, v6
	v_min_f32_e32 v6, v14, v6
	v_cvt_f64_f32_e32 v[12:13], v15
	v_frexp_exp_i32_f32_e32 v14, v15
	s_delay_alu instid0(VALU_DEP_3) | instskip(SKIP_1) | instid1(VALU_DEP_2)
	v_frexp_exp_i32_f32_e32 v16, v6
	v_frexp_mant_f32_e32 v6, v6
	v_sub_nc_u32_e32 v14, v16, v14
	v_frexp_exp_i32_f64_e32 v12, v[12:13]
	v_frexp_mant_f32_e32 v13, v15
	s_delay_alu instid0(VALU_DEP_1) | instskip(SKIP_2) | instid1(VALU_DEP_1)
	v_rcp_f32_e32 v13, v13
	s_waitcnt_depctr 0xfff
	v_mul_f32_e32 v6, v6, v13
	v_ldexp_f32 v6, v6, v14
	s_delay_alu instid0(VALU_DEP_1) | instskip(SKIP_1) | instid1(VALU_DEP_1)
	v_mul_f32_e32 v16, v6, v6
	v_sub_nc_u32_e32 v17, 0, v12
	v_ldexp_f32 v13, |v9|, v17
	v_ldexp_f32 v14, |v8|, v17
	s_delay_alu instid0(VALU_DEP_2) | instskip(NEXT) | instid1(VALU_DEP_1)
	v_mul_f32_e32 v13, v13, v13
	v_dual_fmac_f32 v13, v14, v14 :: v_dual_fmaak_f32 v14, s10, v16, 0xbc7a590c
	v_cmp_neq_f32_e32 vcc_lo, 0x7f800000, v15
	s_delay_alu instid0(VALU_DEP_2) | instskip(NEXT) | instid1(VALU_DEP_2)
	v_sqrt_f32_e32 v13, v13
	v_fmaak_f32 v14, v16, v14, 0x3d29fb3f
	s_delay_alu instid0(VALU_DEP_1) | instskip(SKIP_3) | instid1(VALU_DEP_2)
	v_fmaak_f32 v14, v16, v14, 0xbd97d4d7
	s_waitcnt_depctr 0xfff
	v_ldexp_f32 v12, v13, v12
	v_fmaak_f32 v13, v16, v14, 0x3dd931b2
	v_cndmask_b32_e32 v12, 0x7f800000, v12, vcc_lo
	s_delay_alu instid0(VALU_DEP_2) | instskip(NEXT) | instid1(VALU_DEP_2)
	v_fmaak_f32 v13, v16, v13, 0xbe1160e6
	v_cmp_gt_f32_e32 vcc_lo, 0x800000, v12
	s_delay_alu instid0(VALU_DEP_2) | instskip(SKIP_1) | instid1(VALU_DEP_2)
	v_fmaak_f32 v13, v16, v13, 0x3e4cb8bf
	v_cndmask_b32_e64 v14, 1.0, 0x4f800000, vcc_lo
	v_fmaak_f32 v13, v16, v13, 0xbeaaaa62
	s_delay_alu instid0(VALU_DEP_2) | instskip(NEXT) | instid1(VALU_DEP_2)
	v_mul_f32_e32 v12, v12, v14
	v_mul_f32_e32 v13, v16, v13
	s_delay_alu instid0(VALU_DEP_2) | instskip(SKIP_2) | instid1(VALU_DEP_1)
	v_log_f32_e32 v12, v12
	s_waitcnt_depctr 0xfff
	v_dual_fmac_f32 v6, v6, v13 :: v_dual_mul_f32 v13, 0x3f317217, v12
	v_fma_f32 v15, 0x3f317217, v12, -v13
	s_delay_alu instid0(VALU_DEP_1) | instskip(NEXT) | instid1(VALU_DEP_1)
	v_fmac_f32_e32 v15, 0x3377d1cf, v12
	v_dual_sub_f32 v14, 0x3fc90fdb, v6 :: v_dual_add_f32 v13, v13, v15
	s_delay_alu instid0(VALU_DEP_1) | instskip(SKIP_2) | instid1(VALU_DEP_3)
	v_cndmask_b32_e64 v6, v6, v14, s0
	v_cndmask_b32_e64 v14, 0, 0x40490fdb, s1
	v_cmp_gt_f32_e64 s1, 0, v8
	v_sub_f32_e32 v16, 0x40490fdb, v6
	s_delay_alu instid0(VALU_DEP_2) | instskip(NEXT) | instid1(VALU_DEP_2)
	v_cndmask_b32_e64 v15, 0x3f490fdb, v20, s1
	v_cndmask_b32_e64 v6, v6, v16, s1
	v_cndmask_b32_e64 v16, 0, 0x41b17218, vcc_lo
	v_cmp_gt_f32_e64 vcc_lo, 0x7f800000, |v12|
	v_cndmask_b32_e32 v12, v12, v13, vcc_lo
	v_cmp_eq_f32_e32 vcc_lo, 0, v9
	s_delay_alu instid0(VALU_DEP_2) | instskip(SKIP_2) | instid1(VALU_DEP_1)
	v_sub_f32_e32 v12, v12, v16
	v_cndmask_b32_e32 v6, v6, v14, vcc_lo
	s_and_b32 vcc_lo, s3, s4
	v_cndmask_b32_e32 v6, v6, v15, vcc_lo
.LBB175_213:                            ;   in Loop: Header=BB175_162 Depth=1
	s_or_b32 exec_lo, exec_lo, s2
                                        ; implicit-def: $vgpr13
.LBB175_214:                            ;   in Loop: Header=BB175_162 Depth=1
	s_and_not1_saveexec_b32 s2, s16
	s_cbranch_execz .LBB175_220
; %bb.215:                              ;   in Loop: Header=BB175_162 Depth=1
                                        ; implicit-def: $vgpr6
	s_mov_b32 s1, exec_lo
	v_cmpx_ngt_f32_e32 0x1fec1e4a, v13
	s_xor_b32 s3, exec_lo, s1
	s_cbranch_execz .LBB175_217
; %bb.216:                              ;   in Loop: Header=BB175_162 Depth=1
	v_mul_f32_e32 v6, v13, v13
	v_cmp_gt_f32_e64 s1, 0, v8
	v_cmp_class_f32_e64 s4, v8, 0x204
	v_cmp_class_f32_e64 s6, v9, 0x204
	s_delay_alu instid0(VALU_DEP_4) | instskip(NEXT) | instid1(VALU_DEP_1)
	v_add_f32_e32 v14, 1.0, v6
	v_cvt_f64_f32_e32 v[12:13], v14
	s_delay_alu instid0(VALU_DEP_1) | instskip(SKIP_1) | instid1(VALU_DEP_1)
	v_frexp_exp_i32_f64_e32 v12, v[12:13]
	v_frexp_mant_f32_e32 v13, v14
	v_cmp_gt_f32_e32 vcc_lo, 0x3f2aaaab, v13
	v_add_f32_e32 v13, -1.0, v14
	v_cmp_gt_f32_e64 s5, 0x33800000, |v6|
	s_delay_alu instid0(VALU_DEP_2) | instskip(SKIP_2) | instid1(VALU_DEP_2)
	v_dual_sub_f32 v16, v13, v14 :: v_dual_sub_f32 v13, v6, v13
	v_subrev_co_ci_u32_e32 v12, vcc_lo, 0, v12, vcc_lo
	v_cmp_gt_i32_e32 vcc_lo, 0, v8
	v_sub_nc_u32_e32 v15, 0, v12
	v_cvt_f32_i32_e32 v12, v12
	s_delay_alu instid0(VALU_DEP_2) | instskip(NEXT) | instid1(VALU_DEP_1)
	v_ldexp_f32 v14, v14, v15
	v_dual_add_f32 v16, 1.0, v16 :: v_dual_add_f32 v17, 1.0, v14
	s_delay_alu instid0(VALU_DEP_1) | instskip(NEXT) | instid1(VALU_DEP_1)
	v_dual_add_f32 v13, v13, v16 :: v_dual_add_f32 v16, -1.0, v17
	v_ldexp_f32 v13, v13, v15
	s_delay_alu instid0(VALU_DEP_2) | instskip(NEXT) | instid1(VALU_DEP_1)
	v_dual_add_f32 v15, -1.0, v14 :: v_dual_sub_f32 v16, v14, v16
	v_dual_add_f32 v21, 1.0, v15 :: v_dual_add_f32 v16, v13, v16
	s_delay_alu instid0(VALU_DEP_1) | instskip(NEXT) | instid1(VALU_DEP_1)
	v_dual_sub_f32 v14, v14, v21 :: v_dual_add_f32 v21, v17, v16
	v_sub_f32_e32 v17, v17, v21
	s_delay_alu instid0(VALU_DEP_2) | instskip(SKIP_1) | instid1(VALU_DEP_1)
	v_add_f32_e32 v13, v13, v14
	v_rcp_f32_e32 v14, v21
	v_add_f32_e32 v22, v15, v13
	s_waitcnt_depctr 0xfff
	v_dual_mul_f32 v23, v22, v14 :: v_dual_add_f32 v16, v16, v17
	s_delay_alu instid0(VALU_DEP_1) | instskip(NEXT) | instid1(VALU_DEP_1)
	v_mul_f32_e32 v24, v21, v23
	v_fma_f32 v17, v23, v21, -v24
	s_delay_alu instid0(VALU_DEP_1) | instskip(NEXT) | instid1(VALU_DEP_1)
	v_fmac_f32_e32 v17, v23, v16
	v_add_f32_e32 v25, v24, v17
	v_sub_f32_e32 v15, v15, v22
	s_delay_alu instid0(VALU_DEP_1) | instskip(NEXT) | instid1(VALU_DEP_1)
	v_dual_add_f32 v13, v13, v15 :: v_dual_sub_f32 v26, v22, v25
	v_dual_sub_f32 v15, v25, v24 :: v_dual_sub_f32 v22, v22, v26
	s_delay_alu instid0(VALU_DEP_1) | instskip(NEXT) | instid1(VALU_DEP_2)
	v_sub_f32_e32 v15, v15, v17
	v_sub_f32_e32 v22, v22, v25
	s_delay_alu instid0(VALU_DEP_1) | instskip(NEXT) | instid1(VALU_DEP_1)
	v_add_f32_e32 v13, v13, v22
	v_add_f32_e32 v13, v15, v13
	s_delay_alu instid0(VALU_DEP_1) | instskip(NEXT) | instid1(VALU_DEP_1)
	v_add_f32_e32 v15, v26, v13
	v_mul_f32_e32 v17, v14, v15
	s_delay_alu instid0(VALU_DEP_1) | instskip(NEXT) | instid1(VALU_DEP_1)
	v_dual_sub_f32 v25, v26, v15 :: v_dual_mul_f32 v22, v21, v17
	v_add_f32_e32 v13, v13, v25
	s_delay_alu instid0(VALU_DEP_2) | instskip(NEXT) | instid1(VALU_DEP_1)
	v_fma_f32 v21, v17, v21, -v22
	v_fmac_f32_e32 v21, v17, v16
	s_delay_alu instid0(VALU_DEP_1) | instskip(NEXT) | instid1(VALU_DEP_1)
	v_add_f32_e32 v16, v22, v21
	v_sub_f32_e32 v24, v15, v16
	s_delay_alu instid0(VALU_DEP_1) | instskip(NEXT) | instid1(VALU_DEP_1)
	v_dual_sub_f32 v22, v16, v22 :: v_dual_sub_f32 v15, v15, v24
	v_dual_sub_f32 v15, v15, v16 :: v_dual_sub_f32 v16, v22, v21
	s_delay_alu instid0(VALU_DEP_1) | instskip(SKIP_1) | instid1(VALU_DEP_1)
	v_add_f32_e32 v13, v13, v15
	v_add_f32_e32 v15, v23, v17
	v_dual_add_f32 v13, v16, v13 :: v_dual_sub_f32 v16, v15, v23
	s_delay_alu instid0(VALU_DEP_1) | instskip(SKIP_1) | instid1(VALU_DEP_2)
	v_dual_add_f32 v13, v24, v13 :: v_dual_sub_f32 v16, v17, v16
	v_max_f32_e64 v17, |v8|, |v8|
	v_mul_f32_e32 v13, v14, v13
	v_max_f32_e64 v14, |v9|, |v9|
	s_delay_alu instid0(VALU_DEP_1) | instskip(SKIP_1) | instid1(VALU_DEP_2)
	v_dual_add_f32 v13, v16, v13 :: v_dual_max_f32 v22, v17, v14
	v_min_f32_e32 v14, v17, v14
	v_add_f32_e32 v16, v15, v13
	s_delay_alu instid0(VALU_DEP_3) | instskip(SKIP_1) | instid1(VALU_DEP_3)
	v_frexp_mant_f32_e32 v24, v22
	v_frexp_exp_i32_f32_e32 v17, v22
	v_mul_f32_e32 v21, v16, v16
	v_ldexp_f32 v25, v16, 1
	s_delay_alu instid0(VALU_DEP_2) | instskip(NEXT) | instid1(VALU_DEP_1)
	v_fmaak_f32 v23, s8, v21, 0x3ecc95a3
	v_dual_mul_f32 v22, v16, v21 :: v_dual_fmaak_f32 v21, v21, v23, 0x3f2aaada
	v_rcp_f32_e32 v23, v24
	v_frexp_exp_i32_f32_e32 v24, v14
	v_frexp_mant_f32_e32 v14, v14
	s_delay_alu instid0(VALU_DEP_3) | instskip(SKIP_1) | instid1(VALU_DEP_4)
	v_dual_mul_f32 v21, v22, v21 :: v_dual_mul_f32 v22, 0x3f317218, v12
	v_sub_f32_e32 v15, v16, v15
	v_sub_nc_u32_e32 v17, v24, v17
	s_delay_alu instid0(VALU_DEP_3) | instskip(NEXT) | instid1(TRANS32_DEP_1)
	v_add_f32_e32 v16, v25, v21
	v_mul_f32_e32 v14, v14, v23
	s_delay_alu instid0(VALU_DEP_4) | instskip(NEXT) | instid1(VALU_DEP_3)
	v_sub_f32_e32 v13, v13, v15
	v_sub_f32_e32 v15, v16, v25
	s_delay_alu instid0(VALU_DEP_3) | instskip(SKIP_1) | instid1(VALU_DEP_4)
	v_ldexp_f32 v14, v14, v17
	v_fma_f32 v17, 0x3f317218, v12, -v22
	v_ldexp_f32 v13, v13, 1
	s_delay_alu instid0(VALU_DEP_4) | instskip(NEXT) | instid1(VALU_DEP_1)
	v_sub_f32_e32 v15, v21, v15
	v_dual_fmac_f32 v17, 0xb102e308, v12 :: v_dual_add_f32 v12, v13, v15
	s_delay_alu instid0(VALU_DEP_1) | instskip(NEXT) | instid1(VALU_DEP_1)
	v_add_f32_e32 v15, v22, v17
	v_dual_add_f32 v23, v16, v12 :: v_dual_sub_f32 v22, v15, v22
	s_delay_alu instid0(VALU_DEP_1) | instskip(NEXT) | instid1(VALU_DEP_2)
	v_add_f32_e32 v24, v15, v23
	v_dual_sub_f32 v16, v23, v16 :: v_dual_sub_f32 v17, v17, v22
	s_delay_alu instid0(VALU_DEP_2) | instskip(NEXT) | instid1(VALU_DEP_2)
	v_sub_f32_e32 v25, v24, v15
	v_sub_f32_e32 v12, v12, v16
	s_delay_alu instid0(VALU_DEP_2) | instskip(SKIP_1) | instid1(VALU_DEP_2)
	v_sub_f32_e32 v26, v24, v25
	v_sub_f32_e32 v16, v23, v25
	v_dual_add_f32 v22, v17, v12 :: v_dual_sub_f32 v15, v15, v26
	s_delay_alu instid0(VALU_DEP_1) | instskip(SKIP_1) | instid1(VALU_DEP_2)
	v_dual_add_f32 v15, v16, v15 :: v_dual_sub_f32 v16, v22, v17
	v_mul_f32_e32 v21, v14, v14
	v_dual_add_f32 v15, v22, v15 :: v_dual_sub_f32 v12, v12, v16
	s_delay_alu instid0(VALU_DEP_2) | instskip(NEXT) | instid1(VALU_DEP_1)
	v_fmaak_f32 v13, s10, v21, 0xbc7a590c
	v_fmaak_f32 v13, v21, v13, 0x3d29fb3f
	s_delay_alu instid0(VALU_DEP_1) | instskip(NEXT) | instid1(VALU_DEP_1)
	v_fmaak_f32 v13, v21, v13, 0xbd97d4d7
	v_fmaak_f32 v13, v21, v13, 0x3dd931b2
	s_delay_alu instid0(VALU_DEP_1) | instskip(NEXT) | instid1(VALU_DEP_1)
	v_fmaak_f32 v13, v21, v13, 0xbe1160e6
	v_fmaak_f32 v13, v21, v13, 0x3e4cb8bf
	s_delay_alu instid0(VALU_DEP_1) | instskip(NEXT) | instid1(VALU_DEP_1)
	v_fmaak_f32 v13, v21, v13, 0xbeaaaa62
	v_mul_f32_e32 v13, v21, v13
	v_dual_sub_f32 v21, v22, v16 :: v_dual_add_f32 v22, v24, v15
	s_delay_alu instid0(VALU_DEP_2) | instskip(NEXT) | instid1(VALU_DEP_2)
	v_fmac_f32_e32 v14, v14, v13
	v_dual_sub_f32 v13, v17, v21 :: v_dual_sub_f32 v16, v22, v24
	s_delay_alu instid0(VALU_DEP_1) | instskip(NEXT) | instid1(VALU_DEP_2)
	v_dual_sub_f32 v17, 0x3fc90fdb, v14 :: v_dual_add_f32 v12, v12, v13
	v_sub_f32_e32 v13, v15, v16
	v_cndmask_b32_e64 v15, 0, 0x40490fdb, vcc_lo
	v_cmp_eq_f32_e32 vcc_lo, 0x7f800000, v6
	s_delay_alu instid0(VALU_DEP_4) | instskip(NEXT) | instid1(VALU_DEP_4)
	v_cndmask_b32_e64 v14, v14, v17, s0
	v_add_f32_e32 v12, v12, v13
	s_or_b32 vcc_lo, vcc_lo, s5
	s_delay_alu instid0(VALU_DEP_1) | instskip(NEXT) | instid1(VALU_DEP_1)
	v_dual_sub_f32 v13, 0x40490fdb, v14 :: v_dual_add_f32 v12, v22, v12
	v_cndmask_b32_e64 v13, v14, v13, s1
	v_cndmask_b32_e64 v14, 0x3f490fdb, v20, s1
	s_delay_alu instid0(VALU_DEP_3) | instskip(SKIP_1) | instid1(VALU_DEP_2)
	v_cndmask_b32_e32 v6, v12, v6, vcc_lo
	v_cmp_eq_f32_e32 vcc_lo, 0, v9
	v_dual_mul_f32 v12, 0.5, v6 :: v_dual_cndmask_b32 v13, v13, v15
	s_and_b32 vcc_lo, s4, s6
	s_delay_alu instid0(VALU_DEP_1)
	v_cndmask_b32_e32 v6, v13, v14, vcc_lo
                                        ; implicit-def: $vgpr13
.LBB175_217:                            ;   in Loop: Header=BB175_162 Depth=1
	s_and_not1_saveexec_b32 s3, s3
	s_cbranch_execz .LBB175_219
; %bb.218:                              ;   in Loop: Header=BB175_162 Depth=1
	v_max_f32_e64 v6, |v9|, |v9|
	v_max_f32_e64 v12, |v8|, |v8|
	v_cmp_gt_i32_e32 vcc_lo, 0, v8
	v_cmp_eq_f32_e64 s1, 0, v9
	v_cmp_class_f32_e64 s4, v8, 0x204
	v_cmp_class_f32_e64 s5, v9, 0x204
	v_max_f32_e32 v14, v12, v6
	v_min_f32_e32 v6, v12, v6
	s_delay_alu instid0(VALU_DEP_2) | instskip(SKIP_1) | instid1(VALU_DEP_2)
	v_frexp_mant_f32_e32 v15, v14
	v_frexp_exp_i32_f32_e32 v14, v14
	v_rcp_f32_e32 v12, v15
	s_delay_alu instid0(VALU_DEP_3) | instskip(SKIP_1) | instid1(VALU_DEP_2)
	v_frexp_exp_i32_f32_e32 v15, v6
	v_frexp_mant_f32_e32 v6, v6
	v_sub_nc_u32_e32 v14, v15, v14
	s_waitcnt_depctr 0xfff
	v_mul_f32_e32 v6, v6, v12
	s_delay_alu instid0(VALU_DEP_1) | instskip(NEXT) | instid1(VALU_DEP_1)
	v_ldexp_f32 v6, v6, v14
	v_mul_f32_e32 v12, v6, v6
	s_delay_alu instid0(VALU_DEP_1) | instskip(NEXT) | instid1(VALU_DEP_1)
	v_fmaak_f32 v14, s10, v12, 0xbc7a590c
	v_fmaak_f32 v14, v12, v14, 0x3d29fb3f
	s_delay_alu instid0(VALU_DEP_1) | instskip(NEXT) | instid1(VALU_DEP_1)
	v_fmaak_f32 v14, v12, v14, 0xbd97d4d7
	v_fmaak_f32 v14, v12, v14, 0x3dd931b2
	;; [unrolled: 3-line block ×3, first 2 shown]
	s_delay_alu instid0(VALU_DEP_1) | instskip(NEXT) | instid1(VALU_DEP_1)
	v_fmaak_f32 v14, v12, v14, 0xbeaaaa62
	v_mul_f32_e32 v12, v12, v14
	v_cndmask_b32_e64 v14, 0, 0x40490fdb, vcc_lo
	v_cmp_gt_f32_e32 vcc_lo, 0, v8
	s_delay_alu instid0(VALU_DEP_3) | instskip(NEXT) | instid1(VALU_DEP_1)
	v_fmac_f32_e32 v6, v6, v12
	v_sub_f32_e32 v12, 0x3fc90fdb, v6
	s_delay_alu instid0(VALU_DEP_1) | instskip(NEXT) | instid1(VALU_DEP_1)
	v_cndmask_b32_e64 v6, v6, v12, s0
	v_sub_f32_e32 v12, 0x40490fdb, v6
	s_delay_alu instid0(VALU_DEP_1) | instskip(SKIP_1) | instid1(VALU_DEP_2)
	v_cndmask_b32_e32 v6, v6, v12, vcc_lo
	v_mul_f32_e32 v12, 0.5, v13
	v_cndmask_b32_e64 v6, v6, v14, s1
	v_cndmask_b32_e32 v14, 0x3f490fdb, v20, vcc_lo
	s_and_b32 vcc_lo, s4, s5
	s_delay_alu instid0(VALU_DEP_3) | instskip(NEXT) | instid1(VALU_DEP_2)
	v_mul_f32_e32 v12, v13, v12
	v_cndmask_b32_e32 v6, v6, v14, vcc_lo
.LBB175_219:                            ;   in Loop: Header=BB175_162 Depth=1
	s_or_b32 exec_lo, exec_lo, s3
.LBB175_220:                            ;   in Loop: Header=BB175_162 Depth=1
	s_delay_alu instid0(SALU_CYCLE_1)
	s_or_b32 exec_lo, exec_lo, s2
.LBB175_221:                            ;   in Loop: Header=BB175_162 Depth=1
	s_and_not1_saveexec_b32 s2, s12
	s_cbranch_execz .LBB175_223
; %bb.222:                              ;   in Loop: Header=BB175_162 Depth=1
	v_div_scale_f32 v6, null, 0x402df854, 0x402df854, v8
	v_div_scale_f32 v12, null, 0x402df854, 0x402df854, v9
	v_div_scale_f32 v17, vcc_lo, v8, 0x402df854, v8
	s_delay_alu instid0(VALU_DEP_3) | instskip(NEXT) | instid1(VALU_DEP_2)
	v_rcp_f32_e32 v13, v6
	v_rcp_f32_e32 v14, v12
	v_cmp_class_f32_e64 s3, v9, 0x204
	s_waitcnt_depctr 0xfff
	v_fma_f32 v15, -v6, v13, 1.0
	v_fma_f32 v16, -v12, v14, 1.0
	s_delay_alu instid0(VALU_DEP_1) | instskip(SKIP_1) | instid1(VALU_DEP_1)
	v_dual_fmac_f32 v13, v15, v13 :: v_dual_fmac_f32 v14, v16, v14
	v_div_scale_f32 v15, s1, v9, 0x402df854, v9
	v_dual_mul_f32 v16, v17, v13 :: v_dual_mul_f32 v21, v15, v14
	s_delay_alu instid0(VALU_DEP_1) | instskip(NEXT) | instid1(VALU_DEP_2)
	v_fma_f32 v22, -v6, v16, v17
	v_fma_f32 v23, -v12, v21, v15
	s_delay_alu instid0(VALU_DEP_1) | instskip(NEXT) | instid1(VALU_DEP_1)
	v_dual_fmac_f32 v16, v22, v13 :: v_dual_fmac_f32 v21, v23, v14
	v_fma_f32 v6, -v6, v16, v17
	s_delay_alu instid0(VALU_DEP_2) | instskip(NEXT) | instid1(VALU_DEP_2)
	v_fma_f32 v12, -v12, v21, v15
	v_div_fmas_f32 v6, v6, v13, v16
	s_mov_b32 vcc_lo, s1
	v_max_f32_e64 v16, |v8|, |v8|
	s_delay_alu instid0(VALU_DEP_3) | instskip(SKIP_2) | instid1(VALU_DEP_3)
	v_div_fmas_f32 v12, v12, v14, v21
	v_cmp_class_f32_e64 s1, v8, 0x204
	v_div_fixup_f32 v6, v6, 0x402df854, v8
	v_div_fixup_f32 v14, v12, 0x402df854, v9
	s_delay_alu instid0(VALU_DEP_1) | instskip(NEXT) | instid1(VALU_DEP_1)
	v_max_f32_e64 v15, |v6|, |v14|
	v_cvt_f64_f32_e32 v[12:13], v15
	v_cmp_neq_f32_e32 vcc_lo, 0x7f800000, v15
	s_delay_alu instid0(VALU_DEP_2) | instskip(SKIP_1) | instid1(VALU_DEP_1)
	v_frexp_exp_i32_f64_e32 v12, v[12:13]
	v_max_f32_e64 v13, |v9|, |v9|
	v_max_f32_e32 v17, v16, v13
	v_min_f32_e32 v13, v16, v13
	s_delay_alu instid0(VALU_DEP_2) | instskip(NEXT) | instid1(VALU_DEP_1)
	v_frexp_mant_f32_e32 v21, v17
	v_rcp_f32_e32 v16, v21
	v_sub_nc_u32_e32 v21, 0, v12
	s_delay_alu instid0(VALU_DEP_1) | instskip(SKIP_1) | instid1(VALU_DEP_2)
	v_ldexp_f32 v14, |v14|, v21
	v_ldexp_f32 v6, |v6|, v21
	v_mul_f32_e32 v14, v14, v14
	v_frexp_exp_i32_f32_e32 v17, v17
	s_delay_alu instid0(VALU_DEP_2) | instskip(SKIP_2) | instid1(VALU_DEP_3)
	v_fmac_f32_e32 v14, v6, v6
	v_frexp_exp_i32_f32_e32 v22, v13
	v_frexp_mant_f32_e32 v13, v13
	v_sqrt_f32_e32 v14, v14
	s_delay_alu instid0(VALU_DEP_2) | instskip(NEXT) | instid1(VALU_DEP_2)
	v_sub_nc_u32_e32 v17, v22, v17
	v_mul_f32_e32 v13, v13, v16
	s_delay_alu instid0(VALU_DEP_1) | instskip(SKIP_3) | instid1(VALU_DEP_2)
	v_ldexp_f32 v13, v13, v17
	s_waitcnt_depctr 0xfff
	v_ldexp_f32 v12, v14, v12
	v_mul_f32_e32 v6, v13, v13
	v_cndmask_b32_e32 v12, 0x7f800000, v12, vcc_lo
	s_delay_alu instid0(VALU_DEP_2) | instskip(NEXT) | instid1(VALU_DEP_2)
	v_fmaak_f32 v16, s10, v6, 0xbc7a590c
	v_cmp_gt_f32_e32 vcc_lo, 0x800000, v12
	s_delay_alu instid0(VALU_DEP_2) | instskip(SKIP_1) | instid1(VALU_DEP_2)
	v_fmaak_f32 v16, v6, v16, 0x3d29fb3f
	v_cndmask_b32_e64 v15, 1.0, 0x4f800000, vcc_lo
	v_fmaak_f32 v14, v6, v16, 0xbd97d4d7
	v_cndmask_b32_e64 v16, 0, 0x41b17218, vcc_lo
	s_delay_alu instid0(VALU_DEP_2) | instskip(NEXT) | instid1(VALU_DEP_1)
	v_fmaak_f32 v14, v6, v14, 0x3dd931b2
	v_fmaak_f32 v14, v6, v14, 0xbe1160e6
	s_delay_alu instid0(VALU_DEP_1) | instskip(NEXT) | instid1(VALU_DEP_1)
	v_fmaak_f32 v14, v6, v14, 0x3e4cb8bf
	v_fmaak_f32 v14, v6, v14, 0xbeaaaa62
	s_delay_alu instid0(VALU_DEP_1) | instskip(NEXT) | instid1(VALU_DEP_1)
	v_mul_f32_e32 v6, v6, v14
	v_dual_fmac_f32 v13, v13, v6 :: v_dual_mul_f32 v12, v12, v15
	s_delay_alu instid0(VALU_DEP_1) | instskip(NEXT) | instid1(VALU_DEP_2)
	v_sub_f32_e32 v15, 0x3fc90fdb, v13
	v_log_f32_e32 v12, v12
	s_delay_alu instid0(VALU_DEP_1)
	v_cndmask_b32_e64 v13, v13, v15, s0
	v_cmp_gt_i32_e64 s0, 0, v8
	s_waitcnt_depctr 0xfff
	v_mul_f32_e32 v14, 0x3f317217, v12
	v_cndmask_b32_e64 v15, 0, 0x40490fdb, s0
	v_cmp_gt_f32_e64 s0, 0, v8
	v_cmp_gt_f32_e64 vcc_lo, 0x7f800000, |v12|
	s_delay_alu instid0(VALU_DEP_4) | instskip(NEXT) | instid1(VALU_DEP_1)
	v_fma_f32 v6, 0x3f317217, v12, -v14
	v_fmac_f32_e32 v6, 0x3377d1cf, v12
	s_delay_alu instid0(VALU_DEP_1) | instskip(SKIP_1) | instid1(VALU_DEP_2)
	v_add_f32_e32 v6, v14, v6
	v_sub_f32_e32 v14, 0x40490fdb, v13
	v_cndmask_b32_e32 v6, v12, v6, vcc_lo
	s_delay_alu instid0(VALU_DEP_2) | instskip(SKIP_2) | instid1(VALU_DEP_4)
	v_cndmask_b32_e64 v12, v13, v14, s0
	v_cmp_eq_f32_e32 vcc_lo, 0, v9
	v_cndmask_b32_e64 v13, 0x3f490fdb, v20, s0
	v_sub_f32_e32 v6, v6, v16
	s_delay_alu instid0(VALU_DEP_4) | instskip(SKIP_1) | instid1(VALU_DEP_2)
	v_cndmask_b32_e32 v14, v12, v15, vcc_lo
	s_and_b32 vcc_lo, s1, s3
	v_add_f32_e32 v12, 1.0, v6
	s_delay_alu instid0(VALU_DEP_2)
	v_cndmask_b32_e32 v6, v14, v13, vcc_lo
.LBB175_223:                            ;   in Loop: Header=BB175_162 Depth=1
	s_or_b32 exec_lo, exec_lo, s2
.LBB175_224:                            ;   in Loop: Header=BB175_162 Depth=1
	s_and_not1_saveexec_b32 s0, s11
	s_cbranch_execz .LBB175_230
; %bb.225:                              ;   in Loop: Header=BB175_162 Depth=1
	v_cmp_ngt_f32_e64 s1, 0x20000000, |v8|
	v_cmp_ngt_f32_e64 s2, 0x20000000, |v9|
                                        ; implicit-def: $vgpr6
	s_delay_alu instid0(VALU_DEP_1) | instskip(NEXT) | instid1(SALU_CYCLE_1)
	s_or_b32 s1, s1, s2
	s_and_saveexec_b32 s2, s1
	s_delay_alu instid0(SALU_CYCLE_1)
	s_xor_b32 s1, exec_lo, s2
; %bb.226:                              ;   in Loop: Header=BB175_162 Depth=1
	v_mul_f32_e32 v6, v9, v9
	s_delay_alu instid0(VALU_DEP_1)
	v_fmac_f32_e32 v6, v8, v8
; %bb.227:                              ;   in Loop: Header=BB175_162 Depth=1
	s_and_not1_saveexec_b32 s1, s1
; %bb.228:                              ;   in Loop: Header=BB175_162 Depth=1
	v_mul_f32_e32 v6, 4.0, v9
	v_mul_f32_e32 v8, 4.0, v8
	s_delay_alu instid0(VALU_DEP_2) | instskip(NEXT) | instid1(VALU_DEP_1)
	v_mul_f32_e32 v6, v6, v6
	v_fmac_f32_e32 v6, v8, v8
	s_delay_alu instid0(VALU_DEP_1)
	v_mul_f32_e32 v6, 0x3d800000, v6
; %bb.229:                              ;   in Loop: Header=BB175_162 Depth=1
	s_or_b32 exec_lo, exec_lo, s1
	s_delay_alu instid0(VALU_DEP_1) | instskip(SKIP_1) | instid1(VALU_DEP_1)
	v_cmp_gt_f32_e32 vcc_lo, 0x800000, v6
	v_cndmask_b32_e64 v8, 1.0, 0x4f800000, vcc_lo
	v_mul_f32_e32 v6, v6, v8
	s_delay_alu instid0(VALU_DEP_1) | instskip(SKIP_2) | instid1(VALU_DEP_1)
	v_log_f32_e32 v6, v6
	s_waitcnt_depctr 0xfff
	v_mul_f32_e32 v8, 0x3f317217, v6
	v_fma_f32 v12, 0x3f317217, v6, -v8
	s_delay_alu instid0(VALU_DEP_1) | instskip(NEXT) | instid1(VALU_DEP_1)
	v_fmac_f32_e32 v12, 0x3377d1cf, v6
	v_add_f32_e32 v8, v8, v12
	v_cndmask_b32_e64 v12, 0, 0x41b17218, vcc_lo
	v_cmp_gt_f32_e64 vcc_lo, 0x7f800000, |v6|
	s_delay_alu instid0(VALU_DEP_3) | instskip(NEXT) | instid1(VALU_DEP_1)
	v_cndmask_b32_e32 v6, v6, v8, vcc_lo
	v_sub_f32_e32 v12, v6, v12
	v_mov_b32_e32 v6, 0x7fc00000
.LBB175_230:                            ;   in Loop: Header=BB175_162 Depth=1
	s_or_b32 exec_lo, exec_lo, s0
                                        ; implicit-def: $vgpr14
                                        ; implicit-def: $vgpr8
	s_delay_alu instid0(SALU_CYCLE_1)
	s_mov_b32 s0, exec_lo
	s_waitcnt vmcnt(0)
	v_cmpx_o_f32_e32 v3, v2
	s_xor_b32 s11, exec_lo, s0
	s_cbranch_execz .LBB175_258
; %bb.231:                              ;   in Loop: Header=BB175_162 Depth=1
	v_cmp_lt_f32_e64 s0, |v2|, |v3|
                                        ; implicit-def: $vgpr14
                                        ; implicit-def: $vgpr8
	s_mov_b32 s1, exec_lo
	s_delay_alu instid0(VALU_DEP_1) | instskip(NEXT) | instid1(VALU_DEP_1)
	v_cndmask_b32_e64 v13, |v3|, |v2|, s0
	v_cmpx_nlt_f32_e32 0x77f684df, v13
	s_xor_b32 s12, exec_lo, s1
	s_cbranch_execz .LBB175_255
; %bb.232:                              ;   in Loop: Header=BB175_162 Depth=1
	v_and_b32_e32 v8, 0x7fffffff, v3
                                        ; implicit-def: $vgpr14
	s_mov_b32 s1, exec_lo
	s_delay_alu instid0(VALU_DEP_1) | instskip(NEXT) | instid1(VALU_DEP_1)
	v_cndmask_b32_e64 v15, |v2|, v8, s0
                                        ; implicit-def: $vgpr8
	v_cmpx_neq_f32_e32 1.0, v15
	s_xor_b32 s16, exec_lo, s1
	s_cbranch_execz .LBB175_248
; %bb.233:                              ;   in Loop: Header=BB175_162 Depth=1
	v_max_f32_e32 v8, v13, v13
	v_max_f32_e32 v14, v15, v15
	s_delay_alu instid0(VALU_DEP_1) | instskip(SKIP_1) | instid1(VALU_DEP_2)
	v_min_f32_e32 v16, v14, v8
	v_max_f32_e32 v8, v14, v8
                                        ; implicit-def: $vgpr14
	v_cmp_ngt_f32_e32 vcc_lo, 0x358637bd, v16
	s_delay_alu instid0(VALU_DEP_2) | instskip(NEXT) | instid1(VALU_DEP_1)
	v_cmp_nlt_f32_e64 s1, 0x49742400, v8
                                        ; implicit-def: $vgpr8
	s_and_b32 s1, s1, vcc_lo
	s_delay_alu instid0(SALU_CYCLE_1) | instskip(NEXT) | instid1(SALU_CYCLE_1)
	s_and_saveexec_b32 s2, s1
	s_xor_b32 s17, exec_lo, s2
	s_cbranch_execz .LBB175_245
; %bb.234:                              ;   in Loop: Header=BB175_162 Depth=1
                                        ; implicit-def: $vgpr14
                                        ; implicit-def: $vgpr8
	s_mov_b32 s1, exec_lo
	v_cmpx_le_f32_e32 1.0, v15
	s_xor_b32 s2, exec_lo, s1
	s_cbranch_execz .LBB175_236
; %bb.235:                              ;   in Loop: Header=BB175_162 Depth=1
	v_add_f32_e32 v8, -1.0, v15
	v_add_f32_e32 v14, 1.0, v15
	v_cmp_class_f32_e64 s3, v2, 0x204
	s_delay_alu instid0(VALU_DEP_2) | instskip(NEXT) | instid1(VALU_DEP_1)
	v_mul_f32_e32 v8, v8, v14
	v_fmac_f32_e32 v8, v13, v13
	s_delay_alu instid0(VALU_DEP_1) | instskip(NEXT) | instid1(VALU_DEP_1)
	v_add_f32_e32 v15, 1.0, v8
	v_cvt_f64_f32_e32 v[13:14], v15
	s_delay_alu instid0(VALU_DEP_1) | instskip(SKIP_1) | instid1(VALU_DEP_1)
	v_frexp_exp_i32_f64_e32 v13, v[13:14]
	v_frexp_mant_f32_e32 v14, v15
	v_cmp_gt_f32_e32 vcc_lo, 0x3f2aaaab, v14
	v_add_f32_e32 v14, -1.0, v15
	s_delay_alu instid0(VALU_DEP_1) | instskip(NEXT) | instid1(VALU_DEP_1)
	v_sub_f32_e32 v17, v14, v15
	v_add_f32_e32 v17, 1.0, v17
	v_subrev_co_ci_u32_e32 v13, vcc_lo, 0, v13, vcc_lo
	s_delay_alu instid0(VALU_DEP_1) | instskip(SKIP_1) | instid1(VALU_DEP_2)
	v_sub_nc_u32_e32 v16, 0, v13
	v_cvt_f32_i32_e32 v13, v13
	v_ldexp_f32 v15, v15, v16
	s_delay_alu instid0(VALU_DEP_1) | instskip(SKIP_2) | instid1(VALU_DEP_3)
	v_dual_add_f32 v21, 1.0, v15 :: v_dual_sub_f32 v14, v8, v14
	v_cmp_eq_f32_e32 vcc_lo, 0x7f800000, v8
	v_cmp_neq_f32_e64 s1, -1.0, v8
	v_add_f32_e32 v14, v14, v17
	s_delay_alu instid0(VALU_DEP_4) | instskip(NEXT) | instid1(VALU_DEP_2)
	v_add_f32_e32 v17, -1.0, v21
	v_ldexp_f32 v14, v14, v16
	s_delay_alu instid0(VALU_DEP_2) | instskip(NEXT) | instid1(VALU_DEP_1)
	v_dual_sub_f32 v17, v15, v17 :: v_dual_add_f32 v16, -1.0, v15
	v_dual_add_f32 v17, v14, v17 :: v_dual_add_f32 v22, 1.0, v16
	s_delay_alu instid0(VALU_DEP_1) | instskip(NEXT) | instid1(VALU_DEP_1)
	v_sub_f32_e32 v15, v15, v22
	v_add_f32_e32 v14, v14, v15
	s_delay_alu instid0(VALU_DEP_1) | instskip(NEXT) | instid1(VALU_DEP_1)
	v_dual_add_f32 v23, v16, v14 :: v_dual_add_f32 v22, v21, v17
	v_sub_f32_e32 v16, v23, v16
	s_delay_alu instid0(VALU_DEP_2) | instskip(SKIP_3) | instid1(VALU_DEP_1)
	v_rcp_f32_e32 v15, v22
	v_sub_f32_e32 v21, v22, v21
	s_waitcnt_depctr 0xfff
	v_dual_sub_f32 v17, v17, v21 :: v_dual_mul_f32 v24, v23, v15
	v_mul_f32_e32 v25, v22, v24
	s_delay_alu instid0(VALU_DEP_1) | instskip(NEXT) | instid1(VALU_DEP_1)
	v_fma_f32 v21, v24, v22, -v25
	v_fmac_f32_e32 v21, v24, v17
	s_delay_alu instid0(VALU_DEP_1) | instskip(NEXT) | instid1(VALU_DEP_1)
	v_add_f32_e32 v26, v25, v21
	v_sub_f32_e32 v27, v23, v26
	s_delay_alu instid0(VALU_DEP_1) | instskip(NEXT) | instid1(VALU_DEP_1)
	v_dual_sub_f32 v23, v23, v27 :: v_dual_sub_f32 v14, v14, v16
	v_dual_sub_f32 v16, v26, v25 :: v_dual_sub_f32 v23, v23, v26
	s_delay_alu instid0(VALU_DEP_1) | instskip(NEXT) | instid1(VALU_DEP_2)
	v_sub_f32_e32 v16, v16, v21
	v_add_f32_e32 v14, v14, v23
	s_delay_alu instid0(VALU_DEP_1) | instskip(NEXT) | instid1(VALU_DEP_1)
	v_add_f32_e32 v14, v16, v14
	v_add_f32_e32 v16, v27, v14
	s_delay_alu instid0(VALU_DEP_1) | instskip(NEXT) | instid1(VALU_DEP_1)
	v_mul_f32_e32 v21, v15, v16
	v_mul_f32_e32 v23, v22, v21
	s_delay_alu instid0(VALU_DEP_1) | instskip(NEXT) | instid1(VALU_DEP_1)
	v_fma_f32 v22, v21, v22, -v23
	v_fmac_f32_e32 v22, v21, v17
	s_delay_alu instid0(VALU_DEP_1) | instskip(NEXT) | instid1(VALU_DEP_1)
	v_add_f32_e32 v17, v23, v22
	v_sub_f32_e32 v23, v17, v23
	v_dual_sub_f32 v25, v16, v17 :: v_dual_sub_f32 v26, v27, v16
	s_delay_alu instid0(VALU_DEP_1) | instskip(NEXT) | instid1(VALU_DEP_2)
	v_sub_f32_e32 v16, v16, v25
	v_add_f32_e32 v14, v14, v26
	s_delay_alu instid0(VALU_DEP_2) | instskip(SKIP_1) | instid1(VALU_DEP_2)
	v_dual_sub_f32 v16, v16, v17 :: v_dual_sub_f32 v17, v23, v22
	v_max_f32_e64 v22, |v3|, |v3|
	v_add_f32_e32 v14, v14, v16
	v_add_f32_e32 v16, v24, v21
	s_delay_alu instid0(VALU_DEP_1) | instskip(NEXT) | instid1(VALU_DEP_1)
	v_dual_add_f32 v14, v17, v14 :: v_dual_sub_f32 v17, v16, v24
	v_add_f32_e32 v14, v25, v14
	s_delay_alu instid0(VALU_DEP_1) | instskip(NEXT) | instid1(VALU_DEP_1)
	v_dual_sub_f32 v17, v21, v17 :: v_dual_mul_f32 v14, v15, v14
	v_dual_add_f32 v14, v17, v14 :: v_dual_mul_f32 v25, 0x3f317218, v13
	s_delay_alu instid0(VALU_DEP_1) | instskip(NEXT) | instid1(VALU_DEP_1)
	v_fma_f32 v26, 0x3f317218, v13, -v25
	v_dual_add_f32 v15, v16, v14 :: v_dual_fmac_f32 v26, 0xb102e308, v13
	s_delay_alu instid0(VALU_DEP_1) | instskip(SKIP_1) | instid1(VALU_DEP_2)
	v_mul_f32_e32 v17, v15, v15
	v_ldexp_f32 v24, v15, 1
	v_fmaak_f32 v21, s8, v17, 0x3ecc95a3
	v_mul_f32_e32 v23, v15, v17
	s_delay_alu instid0(VALU_DEP_2) | instskip(SKIP_1) | instid1(VALU_DEP_2)
	v_fmaak_f32 v17, v17, v21, 0x3f2aaada
	v_max_f32_e64 v21, |v2|, |v2|
	v_mul_f32_e32 v17, v23, v17
	s_delay_alu instid0(VALU_DEP_2) | instskip(SKIP_1) | instid1(VALU_DEP_3)
	v_max_f32_e32 v23, v21, v22
	v_min_f32_e32 v21, v21, v22
	v_dual_sub_f32 v15, v15, v16 :: v_dual_add_f32 v16, v24, v17
	s_delay_alu instid0(VALU_DEP_3) | instskip(SKIP_1) | instid1(VALU_DEP_3)
	v_frexp_mant_f32_e32 v22, v23
	v_frexp_exp_i32_f32_e32 v23, v23
	v_sub_f32_e32 v14, v14, v15
	s_delay_alu instid0(VALU_DEP_3) | instskip(SKIP_2) | instid1(VALU_DEP_3)
	v_rcp_f32_e32 v22, v22
	v_sub_f32_e32 v15, v16, v24
	v_frexp_exp_i32_f32_e32 v24, v21
	v_ldexp_f32 v14, v14, 1
	s_delay_alu instid0(VALU_DEP_3) | instskip(SKIP_1) | instid1(VALU_DEP_4)
	v_sub_f32_e32 v15, v17, v15
	v_frexp_mant_f32_e32 v17, v21
	v_sub_nc_u32_e32 v21, v24, v23
	s_delay_alu instid0(TRANS32_DEP_1) | instid1(VALU_DEP_2)
	v_dual_add_f32 v13, v14, v15 :: v_dual_mul_f32 v14, v17, v22
	s_delay_alu instid0(VALU_DEP_1) | instskip(NEXT) | instid1(VALU_DEP_1)
	v_ldexp_f32 v14, v14, v21
	v_mul_f32_e32 v22, v14, v14
	s_delay_alu instid0(VALU_DEP_1) | instskip(SKIP_1) | instid1(VALU_DEP_2)
	v_fmaak_f32 v24, s10, v22, 0xbc7a590c
	v_add_f32_e32 v15, v25, v26
	v_dual_add_f32 v17, v16, v13 :: v_dual_fmaak_f32 v24, v22, v24, 0x3d29fb3f
	s_delay_alu instid0(VALU_DEP_1) | instskip(NEXT) | instid1(VALU_DEP_1)
	v_dual_add_f32 v21, v15, v17 :: v_dual_sub_f32 v16, v17, v16
	v_sub_f32_e32 v23, v21, v15
	v_sub_f32_e32 v25, v15, v25
	s_delay_alu instid0(VALU_DEP_3) | instskip(NEXT) | instid1(VALU_DEP_3)
	v_sub_f32_e32 v13, v13, v16
	v_sub_f32_e32 v27, v21, v23
	v_dual_sub_f32 v16, v17, v23 :: v_dual_fmaak_f32 v17, v22, v24, 0xbd97d4d7
	s_delay_alu instid0(VALU_DEP_4) | instskip(NEXT) | instid1(VALU_DEP_3)
	v_sub_f32_e32 v25, v26, v25
	v_sub_f32_e32 v15, v15, v27
	s_delay_alu instid0(VALU_DEP_1) | instskip(NEXT) | instid1(VALU_DEP_1)
	v_dual_add_f32 v15, v16, v15 :: v_dual_fmaak_f32 v16, v22, v17, 0x3dd931b2
	v_fmaak_f32 v16, v22, v16, 0xbe1160e6
	s_delay_alu instid0(VALU_DEP_1) | instskip(NEXT) | instid1(VALU_DEP_1)
	v_fmaak_f32 v16, v22, v16, 0x3e4cb8bf
	v_dual_fmaak_f32 v16, v22, v16, 0xbeaaaa62 :: v_dual_add_f32 v23, v25, v13
	s_delay_alu instid0(VALU_DEP_1) | instskip(NEXT) | instid1(VALU_DEP_1)
	v_mul_f32_e32 v16, v22, v16
	v_dual_fmac_f32 v14, v14, v16 :: v_dual_add_f32 v15, v23, v15
	s_delay_alu instid0(VALU_DEP_1) | instskip(NEXT) | instid1(VALU_DEP_1)
	v_dual_add_f32 v24, v21, v15 :: v_dual_sub_f32 v17, v23, v25
	v_sub_f32_e32 v21, v24, v21
	s_delay_alu instid0(VALU_DEP_2) | instskip(SKIP_1) | instid1(VALU_DEP_3)
	v_sub_f32_e32 v23, v23, v17
	v_sub_f32_e32 v13, v13, v17
	;; [unrolled: 1-line block ×3, first 2 shown]
	s_delay_alu instid0(VALU_DEP_3) | instskip(NEXT) | instid1(VALU_DEP_1)
	v_sub_f32_e32 v17, v25, v23
	v_add_f32_e32 v13, v13, v17
	s_delay_alu instid0(VALU_DEP_1) | instskip(SKIP_1) | instid1(VALU_DEP_2)
	v_add_f32_e32 v13, v13, v15
	v_sub_f32_e32 v15, 0x3fc90fdb, v14
	v_add_f32_e32 v13, v24, v13
	s_delay_alu instid0(VALU_DEP_2) | instskip(NEXT) | instid1(VALU_DEP_2)
	v_cndmask_b32_e64 v14, v14, v15, s0
	v_cndmask_b32_e32 v13, v13, v8, vcc_lo
	v_cmp_gt_i32_e32 vcc_lo, 0, v2
	s_delay_alu instid0(VALU_DEP_3) | instskip(SKIP_4) | instid1(VALU_DEP_2)
	v_sub_f32_e32 v16, 0x40490fdb, v14
	v_cndmask_b32_e64 v15, 0, 0x40490fdb, vcc_lo
	v_cmp_ngt_f32_e32 vcc_lo, -1.0, v8
	v_cndmask_b32_e32 v13, 0x7fc00000, v13, vcc_lo
	v_cmp_gt_f32_e32 vcc_lo, 0, v2
	v_cndmask_b32_e64 v13, 0xff800000, v13, s1
	v_cndmask_b32_e32 v14, v14, v16, vcc_lo
	v_cndmask_b32_e32 v16, 0x3f490fdb, v20, vcc_lo
	v_cmp_gt_f32_e64 vcc_lo, 0x33800000, |v8|
	v_cmp_class_f32_e64 s1, v3, 0x204
	v_cndmask_b32_e32 v8, v13, v8, vcc_lo
	v_cmp_eq_f32_e32 vcc_lo, 0, v3
	s_delay_alu instid0(VALU_DEP_2) | instskip(NEXT) | instid1(VALU_DEP_4)
	v_dual_cndmask_b32 v13, v14, v15 :: v_dual_mul_f32 v14, 0.5, v8
	s_and_b32 vcc_lo, s3, s1
                                        ; implicit-def: $vgpr15
	s_delay_alu instid0(VALU_DEP_1)
	v_cndmask_b32_e32 v8, v13, v16, vcc_lo
                                        ; implicit-def: $vgpr13
.LBB175_236:                            ;   in Loop: Header=BB175_162 Depth=1
	s_and_not1_saveexec_b32 s18, s2
	s_cbranch_execz .LBB175_244
; %bb.237:                              ;   in Loop: Header=BB175_162 Depth=1
	v_mul_f32_e32 v16, v13, v13
                                        ; implicit-def: $vgpr14
                                        ; implicit-def: $vgpr8
	s_mov_b32 s1, exec_lo
	s_delay_alu instid0(VALU_DEP_1) | instskip(NEXT) | instid1(VALU_DEP_1)
	v_fmac_f32_e32 v16, v15, v15
	v_cmpx_ge_f32_e32 0x3f333333, v16
	s_xor_b32 s2, exec_lo, s1
	s_cbranch_execz .LBB175_239
; %bb.238:                              ;   in Loop: Header=BB175_162 Depth=1
	v_max_f32_e64 v8, |v3|, |v3|
	v_max_f32_e64 v13, |v2|, |v2|
	v_cmp_gt_f32_e32 vcc_lo, 0x800000, v16
	v_cmp_gt_i32_e64 s1, 0, v2
	v_cmp_class_f32_e64 s3, v2, 0x204
	v_cmp_class_f32_e64 s4, v3, 0x204
	v_max_f32_e32 v14, v13, v8
	v_min_f32_e32 v8, v13, v8
	v_cndmask_b32_e64 v17, 0, 0x41b17218, vcc_lo
	s_delay_alu instid0(VALU_DEP_3) | instskip(SKIP_1) | instid1(VALU_DEP_2)
	v_frexp_mant_f32_e32 v15, v14
	v_frexp_exp_i32_f32_e32 v14, v14
	v_rcp_f32_e32 v13, v15
	v_frexp_exp_i32_f32_e32 v15, v8
	v_frexp_mant_f32_e32 v8, v8
	s_delay_alu instid0(VALU_DEP_2) | instskip(SKIP_4) | instid1(VALU_DEP_2)
	v_sub_nc_u32_e32 v14, v15, v14
	v_cndmask_b32_e64 v15, 1.0, 0x4f800000, vcc_lo
	s_waitcnt_depctr 0xfff
	v_mul_f32_e32 v8, v8, v13
	v_mul_f32_e32 v15, v16, v15
	v_ldexp_f32 v8, v8, v14
	s_delay_alu instid0(VALU_DEP_2) | instskip(NEXT) | instid1(VALU_DEP_1)
	v_log_f32_e32 v15, v15
	v_mul_f32_e32 v13, v8, v8
	s_delay_alu instid0(VALU_DEP_1) | instskip(SKIP_3) | instid1(VALU_DEP_1)
	v_fmaak_f32 v14, s10, v13, 0xbc7a590c
	s_waitcnt_depctr 0xfff
	v_cmp_gt_f32_e64 vcc_lo, 0x7f800000, |v15|
	v_fmaak_f32 v14, v13, v14, 0x3d29fb3f
	v_fmaak_f32 v14, v13, v14, 0xbd97d4d7
	s_delay_alu instid0(VALU_DEP_1) | instskip(NEXT) | instid1(VALU_DEP_1)
	v_fmaak_f32 v14, v13, v14, 0x3dd931b2
	v_fmaak_f32 v14, v13, v14, 0xbe1160e6
	s_delay_alu instid0(VALU_DEP_1) | instskip(NEXT) | instid1(VALU_DEP_1)
	;; [unrolled: 3-line block ×3, first 2 shown]
	v_dual_mul_f32 v13, v13, v14 :: v_dual_mul_f32 v14, 0x3f317217, v15
	v_fmac_f32_e32 v8, v8, v13
	s_delay_alu instid0(VALU_DEP_2) | instskip(NEXT) | instid1(VALU_DEP_1)
	v_fma_f32 v13, 0x3f317217, v15, -v14
	v_fmac_f32_e32 v13, 0x3377d1cf, v15
	s_delay_alu instid0(VALU_DEP_1) | instskip(SKIP_2) | instid1(VALU_DEP_3)
	v_add_f32_e32 v13, v14, v13
	v_cndmask_b32_e64 v14, 0, 0x40490fdb, s1
	v_cmp_eq_f32_e64 s1, 0, v3
	v_cndmask_b32_e32 v13, v15, v13, vcc_lo
	v_cmp_gt_f32_e32 vcc_lo, 0, v2
	s_delay_alu instid0(VALU_DEP_2) | instskip(SKIP_2) | instid1(VALU_DEP_1)
	v_sub_f32_e32 v13, v13, v17
	v_cndmask_b32_e32 v15, 0x3f490fdb, v20, vcc_lo
	v_sub_f32_e32 v16, 0x3fc90fdb, v8
	v_cndmask_b32_e64 v8, v8, v16, s0
	s_delay_alu instid0(VALU_DEP_1) | instskip(NEXT) | instid1(VALU_DEP_1)
	v_sub_f32_e32 v16, 0x40490fdb, v8
	v_cndmask_b32_e32 v8, v8, v16, vcc_lo
	s_and_b32 vcc_lo, s3, s4
	s_delay_alu instid0(VALU_DEP_1) | instskip(SKIP_1) | instid1(VALU_DEP_2)
	v_cndmask_b32_e64 v8, v8, v14, s1
	v_mul_f32_e32 v14, 0.5, v13
                                        ; implicit-def: $vgpr13
	v_cndmask_b32_e32 v8, v8, v15, vcc_lo
                                        ; implicit-def: $vgpr15
.LBB175_239:                            ;   in Loop: Header=BB175_162 Depth=1
	s_and_not1_saveexec_b32 s19, s2
	s_cbranch_execz .LBB175_243
; %bb.240:                              ;   in Loop: Header=BB175_162 Depth=1
	v_and_b32_e32 v16, 0x7fff0000, v13
	v_and_b32_e32 v14, 0x7fff0000, v15
	s_mov_b32 s21, 0
	s_delay_alu instid0(VALU_DEP_2) | instskip(NEXT) | instid1(VALU_DEP_2)
	v_sub_f32_e32 v13, v13, v16
	v_sub_f32_e32 v15, v15, v14
	v_mul_f32_e32 v8, v14, v14
	s_delay_alu instid0(VALU_DEP_3) | instskip(NEXT) | instid1(VALU_DEP_3)
	v_dual_add_f32 v22, v14, v14 :: v_dual_and_b32 v21, 0xffff0000, v13
	v_and_b32_e32 v17, 0xffff0000, v15
	v_add_f32_e32 v23, v16, v16
	s_delay_alu instid0(VALU_DEP_3) | instskip(NEXT) | instid1(VALU_DEP_3)
	v_dual_mul_f32 v14, v16, v16 :: v_dual_add_f32 v27, v21, v21
	v_mul_f32_e32 v25, v22, v17
	v_sub_f32_e32 v16, v15, v17
	v_sub_f32_e32 v26, v13, v21
	v_mul_f32_e32 v15, v17, v17
	v_add_f32_e32 v17, v17, v17
	v_mul_f32_e32 v13, v23, v21
	v_dual_mul_f32 v24, v21, v21 :: v_dual_mul_f32 v21, v22, v16
	s_delay_alu instid0(VALU_DEP_3)
	v_dual_mul_f32 v23, v23, v26 :: v_dual_mul_f32 v22, v17, v16
	v_dual_mul_f32 v17, v27, v26 :: v_dual_mul_f32 v16, v16, v16
	v_mul_f32_e32 v26, v26, v26
.LBB175_241:                            ;   Parent Loop BB175_162 Depth=1
                                        ; =>  This Inner Loop Header: Depth=2
	v_cmp_nlt_f32_e32 vcc_lo, v8, v14
	s_delay_alu instid0(VALU_DEP_2) | instskip(SKIP_1) | instid1(VALU_DEP_2)
	v_dual_mov_b32 v28, v26 :: v_dual_cndmask_b32 v27, v8, v14
	v_cndmask_b32_e32 v8, v14, v8, vcc_lo
	v_cmp_nlt_f32_e64 s1, v27, v25
	s_delay_alu instid0(VALU_DEP_1) | instskip(SKIP_2) | instid1(VALU_DEP_2)
	v_cndmask_b32_e64 v26, v27, v25, s1
	v_cndmask_b32_e64 v14, v25, v27, s1
	s_and_b32 s22, vcc_lo, s1
	v_cmp_nlt_f32_e64 s2, v26, v13
	s_delay_alu instid0(VALU_DEP_1) | instskip(SKIP_1) | instid1(VALU_DEP_2)
	v_cndmask_b32_e64 v29, v26, v13, s2
	v_cndmask_b32_e64 v25, v13, v26, s2
	v_cmp_nlt_f32_e64 s3, v29, v15
	s_delay_alu instid0(VALU_DEP_1) | instskip(SKIP_2) | instid1(VALU_DEP_2)
	v_cndmask_b32_e64 v27, v29, v15, s3
	v_cndmask_b32_e64 v13, v15, v29, s3
	s_and_b32 s23, s2, s3
	v_cmp_nlt_f32_e64 s4, v27, v24
	s_delay_alu instid0(VALU_DEP_1) | instskip(SKIP_1) | instid1(VALU_DEP_2)
	v_cndmask_b32_e64 v30, v27, v24, s4
	v_cndmask_b32_e64 v15, v24, v27, s4
	v_cmp_nlt_f32_e64 s5, v30, v21
	s_delay_alu instid0(VALU_DEP_1) | instskip(SKIP_2) | instid1(VALU_DEP_2)
	v_cndmask_b32_e64 v31, v30, v21, s5
	s_and_b32 s3, s4, s5
	v_cndmask_b32_e64 v24, v21, v30, s5
	v_cmp_nlt_f32_e64 s6, v31, v23
	s_delay_alu instid0(VALU_DEP_1) | instskip(SKIP_2) | instid1(VALU_DEP_2)
	v_cndmask_b32_e64 v32, v31, v23, s6
	s_and_b32 s3, s3, s6
	v_cndmask_b32_e64 v21, v23, v31, s6
	v_cmp_nlt_f32_e32 vcc_lo, v32, v22
	v_cndmask_b32_e32 v33, v32, v22, vcc_lo
	s_and_b32 s4, s3, vcc_lo
	v_cndmask_b32_e32 v23, v22, v32, vcc_lo
	s_delay_alu instid0(VALU_DEP_2) | instskip(NEXT) | instid1(VALU_DEP_1)
	v_cmp_nlt_f32_e64 s1, v33, v17
	v_cndmask_b32_e64 v29, v33, v17, s1
	s_and_b32 s4, s4, s1
	v_cndmask_b32_e64 v22, v17, v33, s1
	s_delay_alu instid0(VALU_DEP_2) | instskip(NEXT) | instid1(VALU_DEP_1)
	v_cmp_nlt_f32_e64 s2, v29, v16
	v_cndmask_b32_e64 v27, v29, v16, s2
	s_and_b32 s4, s4, s2
	v_cndmask_b32_e64 v17, v16, v29, s2
	s_delay_alu instid0(VALU_DEP_2) | instskip(NEXT) | instid1(VALU_DEP_1)
	v_cmp_nlt_f32_e64 s3, v27, v28
	s_and_b32 s4, s4, s3
	v_cndmask_b32_e64 v26, v27, v28, s3
	s_and_b32 s1, s4, s23
	v_cndmask_b32_e64 v16, v28, v27, s3
	s_and_b32 s1, s1, s22
	s_delay_alu instid0(SALU_CYCLE_1) | instskip(NEXT) | instid1(SALU_CYCLE_1)
	s_and_b32 s1, exec_lo, s1
	s_or_b32 s21, s1, s21
	s_delay_alu instid0(SALU_CYCLE_1)
	s_and_not1_b32 exec_lo, exec_lo, s21
	s_cbranch_execnz .LBB175_241
; %bb.242:                              ;   in Loop: Header=BB175_162 Depth=1
	s_or_b32 exec_lo, exec_lo, s21
	v_add_f32_e32 v8, -1.0, v8
	v_cmp_class_f32_e64 s2, v2, 0x204
	s_delay_alu instid0(VALU_DEP_2) | instskip(NEXT) | instid1(VALU_DEP_1)
	v_add_f32_e32 v8, v8, v14
	v_add_f32_e32 v8, v8, v25
	s_delay_alu instid0(VALU_DEP_1) | instskip(NEXT) | instid1(VALU_DEP_1)
	v_add_f32_e32 v8, v8, v13
	v_add_f32_e32 v8, v8, v15
	s_delay_alu instid0(VALU_DEP_1) | instskip(NEXT) | instid1(VALU_DEP_1)
	;; [unrolled: 3-line block ×5, first 2 shown]
	v_add_f32_e32 v8, v26, v8
	v_add_f32_e32 v15, 1.0, v8
	s_delay_alu instid0(VALU_DEP_1) | instskip(NEXT) | instid1(VALU_DEP_1)
	v_cvt_f64_f32_e32 v[13:14], v15
	v_frexp_exp_i32_f64_e32 v13, v[13:14]
	v_frexp_mant_f32_e32 v14, v15
	s_delay_alu instid0(VALU_DEP_1) | instskip(SKIP_1) | instid1(VALU_DEP_1)
	v_cmp_gt_f32_e32 vcc_lo, 0x3f2aaaab, v14
	v_add_f32_e32 v14, -1.0, v15
	v_dual_sub_f32 v17, v14, v15 :: v_dual_sub_f32 v14, v8, v14
	s_delay_alu instid0(VALU_DEP_1) | instskip(NEXT) | instid1(VALU_DEP_1)
	v_add_f32_e32 v17, 1.0, v17
	v_add_f32_e32 v14, v14, v17
	v_subrev_co_ci_u32_e32 v13, vcc_lo, 0, v13, vcc_lo
	s_delay_alu instid0(VALU_DEP_1) | instskip(SKIP_1) | instid1(VALU_DEP_2)
	v_sub_nc_u32_e32 v16, 0, v13
	v_cvt_f32_i32_e32 v13, v13
	v_ldexp_f32 v15, v15, v16
	v_ldexp_f32 v14, v14, v16
	s_delay_alu instid0(VALU_DEP_2) | instskip(NEXT) | instid1(VALU_DEP_1)
	v_add_f32_e32 v21, 1.0, v15
	v_dual_add_f32 v16, -1.0, v15 :: v_dual_add_f32 v17, -1.0, v21
	s_delay_alu instid0(VALU_DEP_1) | instskip(NEXT) | instid1(VALU_DEP_1)
	v_dual_add_f32 v22, 1.0, v16 :: v_dual_sub_f32 v17, v15, v17
	v_sub_f32_e32 v15, v15, v22
	s_delay_alu instid0(VALU_DEP_2) | instskip(NEXT) | instid1(VALU_DEP_2)
	v_add_f32_e32 v17, v14, v17
	v_add_f32_e32 v14, v14, v15
	s_delay_alu instid0(VALU_DEP_1) | instskip(SKIP_2) | instid1(VALU_DEP_3)
	v_dual_add_f32 v22, v21, v17 :: v_dual_add_f32 v23, v16, v14
	v_cmp_eq_f32_e32 vcc_lo, 0x7f800000, v8
	v_cmp_neq_f32_e64 s1, -1.0, v8
	v_rcp_f32_e32 v15, v22
	s_delay_alu instid0(VALU_DEP_3) | instskip(NEXT) | instid1(VALU_DEP_1)
	v_dual_sub_f32 v21, v22, v21 :: v_dual_sub_f32 v16, v23, v16
	v_dual_sub_f32 v17, v17, v21 :: v_dual_sub_f32 v14, v14, v16
	s_waitcnt_depctr 0xfff
	v_mul_f32_e32 v24, v23, v15
	s_delay_alu instid0(VALU_DEP_1) | instskip(NEXT) | instid1(VALU_DEP_1)
	v_mul_f32_e32 v25, v22, v24
	v_fma_f32 v21, v24, v22, -v25
	s_delay_alu instid0(VALU_DEP_1) | instskip(NEXT) | instid1(VALU_DEP_1)
	v_fmac_f32_e32 v21, v24, v17
	v_add_f32_e32 v26, v25, v21
	s_delay_alu instid0(VALU_DEP_1) | instskip(NEXT) | instid1(VALU_DEP_1)
	v_dual_sub_f32 v27, v23, v26 :: v_dual_sub_f32 v16, v26, v25
	v_dual_sub_f32 v23, v23, v27 :: v_dual_sub_f32 v16, v16, v21
	s_delay_alu instid0(VALU_DEP_1) | instskip(NEXT) | instid1(VALU_DEP_1)
	v_sub_f32_e32 v23, v23, v26
	v_add_f32_e32 v14, v14, v23
	s_delay_alu instid0(VALU_DEP_1) | instskip(NEXT) | instid1(VALU_DEP_1)
	v_add_f32_e32 v14, v16, v14
	v_add_f32_e32 v16, v27, v14
	s_delay_alu instid0(VALU_DEP_1) | instskip(NEXT) | instid1(VALU_DEP_1)
	v_mul_f32_e32 v21, v15, v16
	v_dual_sub_f32 v26, v27, v16 :: v_dual_mul_f32 v23, v22, v21
	s_delay_alu instid0(VALU_DEP_1) | instskip(NEXT) | instid1(VALU_DEP_2)
	v_add_f32_e32 v14, v14, v26
	v_fma_f32 v22, v21, v22, -v23
	s_delay_alu instid0(VALU_DEP_1) | instskip(NEXT) | instid1(VALU_DEP_1)
	v_fmac_f32_e32 v22, v21, v17
	v_add_f32_e32 v17, v23, v22
	s_delay_alu instid0(VALU_DEP_1) | instskip(NEXT) | instid1(VALU_DEP_1)
	v_sub_f32_e32 v25, v16, v17
	v_dual_sub_f32 v23, v17, v23 :: v_dual_sub_f32 v16, v16, v25
	s_delay_alu instid0(VALU_DEP_1) | instskip(SKIP_1) | instid1(VALU_DEP_2)
	v_dual_sub_f32 v16, v16, v17 :: v_dual_sub_f32 v17, v23, v22
	v_max_f32_e64 v22, |v3|, |v3|
	v_add_f32_e32 v14, v14, v16
	s_delay_alu instid0(VALU_DEP_1) | instskip(NEXT) | instid1(VALU_DEP_1)
	v_add_f32_e32 v14, v17, v14
	v_dual_add_f32 v14, v25, v14 :: v_dual_mul_f32 v25, 0x3f317218, v13
	s_delay_alu instid0(VALU_DEP_1) | instskip(NEXT) | instid1(VALU_DEP_2)
	v_mul_f32_e32 v14, v15, v14
	v_fma_f32 v26, 0x3f317218, v13, -v25
	s_delay_alu instid0(VALU_DEP_1) | instskip(SKIP_1) | instid1(VALU_DEP_1)
	v_fmac_f32_e32 v26, 0xb102e308, v13
	v_add_f32_e32 v16, v24, v21
	v_sub_f32_e32 v17, v16, v24
	s_delay_alu instid0(VALU_DEP_1) | instskip(NEXT) | instid1(VALU_DEP_1)
	v_sub_f32_e32 v17, v21, v17
	v_add_f32_e32 v14, v17, v14
	s_delay_alu instid0(VALU_DEP_1) | instskip(NEXT) | instid1(VALU_DEP_1)
	v_add_f32_e32 v15, v16, v14
	v_mul_f32_e32 v17, v15, v15
	v_ldexp_f32 v24, v15, 1
	s_delay_alu instid0(VALU_DEP_2) | instskip(SKIP_2) | instid1(VALU_DEP_3)
	v_fmaak_f32 v21, s8, v17, 0x3ecc95a3
	v_mul_f32_e32 v23, v15, v17
	v_sub_f32_e32 v15, v15, v16
	v_fmaak_f32 v17, v17, v21, 0x3f2aaada
	v_max_f32_e64 v21, |v2|, |v2|
	s_delay_alu instid0(VALU_DEP_2) | instskip(NEXT) | instid1(VALU_DEP_2)
	v_dual_sub_f32 v14, v14, v15 :: v_dual_mul_f32 v17, v23, v17
	v_max_f32_e32 v23, v21, v22
	v_min_f32_e32 v21, v21, v22
	s_delay_alu instid0(VALU_DEP_3) | instskip(NEXT) | instid1(VALU_DEP_4)
	v_ldexp_f32 v14, v14, 1
	v_add_f32_e32 v16, v24, v17
	s_delay_alu instid0(VALU_DEP_4) | instskip(SKIP_1) | instid1(VALU_DEP_3)
	v_frexp_mant_f32_e32 v22, v23
	v_frexp_exp_i32_f32_e32 v23, v23
	v_sub_f32_e32 v15, v16, v24
	s_delay_alu instid0(VALU_DEP_3) | instskip(SKIP_1) | instid1(VALU_DEP_2)
	v_rcp_f32_e32 v22, v22
	v_frexp_exp_i32_f32_e32 v24, v21
	v_sub_f32_e32 v15, v17, v15
	v_frexp_mant_f32_e32 v17, v21
	s_delay_alu instid0(VALU_DEP_3) | instskip(NEXT) | instid1(VALU_DEP_3)
	v_sub_nc_u32_e32 v21, v24, v23
	v_add_f32_e32 v13, v14, v15
	v_add_f32_e32 v15, v25, v26
	s_delay_alu instid0(TRANS32_DEP_1) | instid1(VALU_DEP_2)
	v_dual_mul_f32 v14, v17, v22 :: v_dual_add_f32 v17, v16, v13
	s_delay_alu instid0(VALU_DEP_2) | instskip(NEXT) | instid1(VALU_DEP_2)
	v_sub_f32_e32 v25, v15, v25
	v_ldexp_f32 v14, v14, v21
	s_delay_alu instid0(VALU_DEP_3) | instskip(NEXT) | instid1(VALU_DEP_1)
	v_add_f32_e32 v21, v15, v17
	v_sub_f32_e32 v23, v21, v15
	s_delay_alu instid0(VALU_DEP_1) | instskip(SKIP_1) | instid1(VALU_DEP_2)
	v_sub_f32_e32 v27, v21, v23
	v_dual_sub_f32 v16, v17, v16 :: v_dual_sub_f32 v25, v26, v25
	v_dual_sub_f32 v15, v15, v27 :: v_dual_mul_f32 v22, v14, v14
	s_delay_alu instid0(VALU_DEP_1) | instskip(NEXT) | instid1(VALU_DEP_1)
	v_dual_sub_f32 v13, v13, v16 :: v_dual_fmaak_f32 v24, s10, v22, 0xbc7a590c
	v_fmaak_f32 v24, v22, v24, 0x3d29fb3f
	v_sub_f32_e32 v16, v17, v23
	s_delay_alu instid0(VALU_DEP_3) | instskip(NEXT) | instid1(VALU_DEP_3)
	v_add_f32_e32 v23, v25, v13
	v_fmaak_f32 v17, v22, v24, 0xbd97d4d7
	s_delay_alu instid0(VALU_DEP_1) | instskip(NEXT) | instid1(VALU_DEP_1)
	v_dual_add_f32 v15, v16, v15 :: v_dual_fmaak_f32 v16, v22, v17, 0x3dd931b2
	v_dual_sub_f32 v17, v23, v25 :: v_dual_fmaak_f32 v16, v22, v16, 0xbe1160e6
	s_delay_alu instid0(VALU_DEP_1) | instskip(NEXT) | instid1(VALU_DEP_1)
	v_dual_add_f32 v15, v23, v15 :: v_dual_fmaak_f32 v16, v22, v16, 0x3e4cb8bf
	v_dual_sub_f32 v23, v23, v17 :: v_dual_add_f32 v24, v21, v15
	s_delay_alu instid0(VALU_DEP_2) | instskip(NEXT) | instid1(VALU_DEP_1)
	v_dual_sub_f32 v13, v13, v17 :: v_dual_fmaak_f32 v16, v22, v16, 0xbeaaaa62
	v_dual_sub_f32 v17, v25, v23 :: v_dual_mul_f32 v16, v22, v16
	s_delay_alu instid0(VALU_DEP_3) | instskip(NEXT) | instid1(VALU_DEP_2)
	v_sub_f32_e32 v21, v24, v21
	v_dual_add_f32 v13, v13, v17 :: v_dual_fmac_f32 v14, v14, v16
	s_delay_alu instid0(VALU_DEP_2) | instskip(NEXT) | instid1(VALU_DEP_1)
	v_sub_f32_e32 v15, v15, v21
	v_add_f32_e32 v13, v13, v15
	s_delay_alu instid0(VALU_DEP_3) | instskip(NEXT) | instid1(VALU_DEP_2)
	v_sub_f32_e32 v15, 0x3fc90fdb, v14
	v_add_f32_e32 v13, v24, v13
	s_delay_alu instid0(VALU_DEP_2) | instskip(NEXT) | instid1(VALU_DEP_2)
	v_cndmask_b32_e64 v14, v14, v15, s0
	v_cndmask_b32_e32 v13, v13, v8, vcc_lo
	v_cmp_gt_i32_e32 vcc_lo, 0, v2
	s_delay_alu instid0(VALU_DEP_3) | instskip(SKIP_4) | instid1(VALU_DEP_2)
	v_sub_f32_e32 v16, 0x40490fdb, v14
	v_cndmask_b32_e64 v15, 0, 0x40490fdb, vcc_lo
	v_cmp_ngt_f32_e32 vcc_lo, -1.0, v8
	v_cndmask_b32_e32 v13, 0x7fc00000, v13, vcc_lo
	v_cmp_gt_f32_e32 vcc_lo, 0, v2
	v_cndmask_b32_e64 v13, 0xff800000, v13, s1
	v_cndmask_b32_e32 v14, v14, v16, vcc_lo
	v_cndmask_b32_e32 v16, 0x3f490fdb, v20, vcc_lo
	v_cmp_gt_f32_e64 vcc_lo, 0x33800000, |v8|
	v_cmp_class_f32_e64 s1, v3, 0x204
	v_cndmask_b32_e32 v8, v13, v8, vcc_lo
	v_cmp_eq_f32_e32 vcc_lo, 0, v3
	s_delay_alu instid0(VALU_DEP_2) | instskip(NEXT) | instid1(VALU_DEP_4)
	v_dual_cndmask_b32 v13, v14, v15 :: v_dual_mul_f32 v14, 0.5, v8
	s_and_b32 vcc_lo, s2, s1
	s_delay_alu instid0(VALU_DEP_1)
	v_cndmask_b32_e32 v8, v13, v16, vcc_lo
.LBB175_243:                            ;   in Loop: Header=BB175_162 Depth=1
	s_or_b32 exec_lo, exec_lo, s19
.LBB175_244:                            ;   in Loop: Header=BB175_162 Depth=1
	s_delay_alu instid0(SALU_CYCLE_1)
	s_or_b32 exec_lo, exec_lo, s18
.LBB175_245:                            ;   in Loop: Header=BB175_162 Depth=1
	s_and_not1_saveexec_b32 s2, s17
	s_cbranch_execz .LBB175_247
; %bb.246:                              ;   in Loop: Header=BB175_162 Depth=1
	v_max_f32_e64 v8, |v3|, |v3|
	v_max_f32_e64 v15, |v2|, |v2|
	v_cmp_gt_i32_e64 s1, 0, v2
	v_cmp_class_f32_e64 s3, v2, 0x204
	v_cmp_class_f32_e64 s4, v3, 0x204
	s_delay_alu instid0(VALU_DEP_4) | instskip(SKIP_1) | instid1(VALU_DEP_2)
	v_max_f32_e32 v16, v15, v8
	v_min_f32_e32 v8, v15, v8
	v_cvt_f64_f32_e32 v[13:14], v16
	v_frexp_exp_i32_f32_e32 v15, v16
	s_delay_alu instid0(VALU_DEP_3) | instskip(SKIP_1) | instid1(VALU_DEP_2)
	v_frexp_exp_i32_f32_e32 v17, v8
	v_frexp_mant_f32_e32 v8, v8
	v_sub_nc_u32_e32 v15, v17, v15
	v_frexp_exp_i32_f64_e32 v13, v[13:14]
	v_frexp_mant_f32_e32 v14, v16
	s_delay_alu instid0(VALU_DEP_1) | instskip(SKIP_2) | instid1(VALU_DEP_1)
	v_rcp_f32_e32 v14, v14
	s_waitcnt_depctr 0xfff
	v_mul_f32_e32 v8, v8, v14
	v_ldexp_f32 v8, v8, v15
	s_delay_alu instid0(VALU_DEP_1) | instskip(SKIP_1) | instid1(VALU_DEP_1)
	v_mul_f32_e32 v17, v8, v8
	v_sub_nc_u32_e32 v21, 0, v13
	v_ldexp_f32 v14, |v3|, v21
	v_ldexp_f32 v15, |v2|, v21
	s_delay_alu instid0(VALU_DEP_2) | instskip(NEXT) | instid1(VALU_DEP_1)
	v_mul_f32_e32 v14, v14, v14
	v_dual_fmac_f32 v14, v15, v15 :: v_dual_fmaak_f32 v15, s10, v17, 0xbc7a590c
	v_cmp_neq_f32_e32 vcc_lo, 0x7f800000, v16
	s_delay_alu instid0(VALU_DEP_2) | instskip(NEXT) | instid1(VALU_DEP_2)
	v_sqrt_f32_e32 v14, v14
	v_fmaak_f32 v15, v17, v15, 0x3d29fb3f
	s_delay_alu instid0(VALU_DEP_1) | instskip(SKIP_3) | instid1(VALU_DEP_2)
	v_fmaak_f32 v15, v17, v15, 0xbd97d4d7
	s_waitcnt_depctr 0xfff
	v_ldexp_f32 v13, v14, v13
	v_fmaak_f32 v14, v17, v15, 0x3dd931b2
	v_cndmask_b32_e32 v13, 0x7f800000, v13, vcc_lo
	s_delay_alu instid0(VALU_DEP_2) | instskip(NEXT) | instid1(VALU_DEP_2)
	v_fmaak_f32 v14, v17, v14, 0xbe1160e6
	v_cmp_gt_f32_e32 vcc_lo, 0x800000, v13
	s_delay_alu instid0(VALU_DEP_2) | instskip(SKIP_1) | instid1(VALU_DEP_2)
	v_fmaak_f32 v14, v17, v14, 0x3e4cb8bf
	v_cndmask_b32_e64 v15, 1.0, 0x4f800000, vcc_lo
	v_fmaak_f32 v14, v17, v14, 0xbeaaaa62
	s_delay_alu instid0(VALU_DEP_1) | instskip(NEXT) | instid1(VALU_DEP_1)
	v_mul_f32_e32 v14, v17, v14
	v_dual_mul_f32 v13, v13, v15 :: v_dual_fmac_f32 v8, v8, v14
	s_delay_alu instid0(VALU_DEP_1) | instskip(NEXT) | instid1(VALU_DEP_1)
	v_log_f32_e32 v13, v13
	v_sub_f32_e32 v15, 0x3fc90fdb, v8
	s_delay_alu instid0(VALU_DEP_1)
	v_cndmask_b32_e64 v8, v8, v15, s0
	s_waitcnt_depctr 0xfff
	v_mul_f32_e32 v14, 0x3f317217, v13
	v_cndmask_b32_e64 v15, 0, 0x40490fdb, s1
	v_cmp_gt_f32_e64 s1, 0, v2
	v_sub_f32_e32 v17, 0x40490fdb, v8
	s_delay_alu instid0(VALU_DEP_4) | instskip(NEXT) | instid1(VALU_DEP_2)
	v_fma_f32 v16, 0x3f317217, v13, -v14
	v_cndmask_b32_e64 v8, v8, v17, s1
	v_cndmask_b32_e64 v17, 0, 0x41b17218, vcc_lo
	v_cmp_gt_f32_e64 vcc_lo, 0x7f800000, |v13|
	s_delay_alu instid0(VALU_DEP_4) | instskip(NEXT) | instid1(VALU_DEP_1)
	v_fmac_f32_e32 v16, 0x3377d1cf, v13
	v_add_f32_e32 v14, v14, v16
	v_cndmask_b32_e64 v16, 0x3f490fdb, v20, s1
	s_delay_alu instid0(VALU_DEP_2) | instskip(SKIP_1) | instid1(VALU_DEP_2)
	v_cndmask_b32_e32 v13, v13, v14, vcc_lo
	v_cmp_eq_f32_e32 vcc_lo, 0, v3
	v_sub_f32_e32 v14, v13, v17
	v_cndmask_b32_e32 v8, v8, v15, vcc_lo
	s_and_b32 vcc_lo, s3, s4
	s_delay_alu instid0(VALU_DEP_1)
	v_cndmask_b32_e32 v8, v8, v16, vcc_lo
.LBB175_247:                            ;   in Loop: Header=BB175_162 Depth=1
	s_or_b32 exec_lo, exec_lo, s2
                                        ; implicit-def: $vgpr13
.LBB175_248:                            ;   in Loop: Header=BB175_162 Depth=1
	s_and_not1_saveexec_b32 s2, s16
	s_cbranch_execz .LBB175_254
; %bb.249:                              ;   in Loop: Header=BB175_162 Depth=1
                                        ; implicit-def: $vgpr14
                                        ; implicit-def: $vgpr8
	s_mov_b32 s1, exec_lo
	v_cmpx_ngt_f32_e32 0x1fec1e4a, v13
	s_xor_b32 s3, exec_lo, s1
	s_cbranch_execz .LBB175_251
; %bb.250:                              ;   in Loop: Header=BB175_162 Depth=1
	v_mul_f32_e32 v8, v13, v13
	v_cmp_gt_f32_e64 s1, 0, v2
	v_cmp_class_f32_e64 s4, v2, 0x204
	v_cmp_class_f32_e64 s6, v3, 0x204
	s_delay_alu instid0(VALU_DEP_4) | instskip(NEXT) | instid1(VALU_DEP_1)
	v_add_f32_e32 v15, 1.0, v8
	v_cvt_f64_f32_e32 v[13:14], v15
	s_delay_alu instid0(VALU_DEP_1) | instskip(SKIP_1) | instid1(VALU_DEP_1)
	v_frexp_exp_i32_f64_e32 v13, v[13:14]
	v_frexp_mant_f32_e32 v14, v15
	v_cmp_gt_f32_e32 vcc_lo, 0x3f2aaaab, v14
	v_add_f32_e32 v14, -1.0, v15
	s_delay_alu instid0(VALU_DEP_1) | instskip(SKIP_1) | instid1(VALU_DEP_2)
	v_sub_f32_e32 v17, v14, v15
	v_cmp_gt_f32_e64 s5, 0x33800000, |v8|
	v_dual_add_f32 v17, 1.0, v17 :: v_dual_sub_f32 v14, v8, v14
	s_delay_alu instid0(VALU_DEP_1) | instskip(SKIP_2) | instid1(VALU_DEP_2)
	v_add_f32_e32 v14, v14, v17
	v_subrev_co_ci_u32_e32 v13, vcc_lo, 0, v13, vcc_lo
	v_cmp_gt_i32_e32 vcc_lo, 0, v2
	v_sub_nc_u32_e32 v16, 0, v13
	v_cvt_f32_i32_e32 v13, v13
	s_delay_alu instid0(VALU_DEP_2) | instskip(SKIP_1) | instid1(VALU_DEP_2)
	v_ldexp_f32 v15, v15, v16
	v_ldexp_f32 v14, v14, v16
	v_add_f32_e32 v21, 1.0, v15
	s_delay_alu instid0(VALU_DEP_1) | instskip(NEXT) | instid1(VALU_DEP_1)
	v_dual_add_f32 v16, -1.0, v15 :: v_dual_add_f32 v17, -1.0, v21
	v_dual_add_f32 v22, 1.0, v16 :: v_dual_sub_f32 v17, v15, v17
	s_delay_alu instid0(VALU_DEP_1) | instskip(NEXT) | instid1(VALU_DEP_1)
	v_add_f32_e32 v17, v14, v17
	v_dual_sub_f32 v15, v15, v22 :: v_dual_add_f32 v22, v21, v17
	s_delay_alu instid0(VALU_DEP_1) | instskip(SKIP_1) | instid1(VALU_DEP_1)
	v_dual_add_f32 v14, v14, v15 :: v_dual_sub_f32 v21, v21, v22
	v_rcp_f32_e32 v15, v22
	v_add_f32_e32 v23, v16, v14
	s_waitcnt_depctr 0xfff
	v_dual_mul_f32 v24, v23, v15 :: v_dual_add_f32 v17, v17, v21
	s_delay_alu instid0(VALU_DEP_1) | instskip(NEXT) | instid1(VALU_DEP_1)
	v_mul_f32_e32 v25, v22, v24
	v_fma_f32 v21, v24, v22, -v25
	s_delay_alu instid0(VALU_DEP_1) | instskip(NEXT) | instid1(VALU_DEP_1)
	v_fmac_f32_e32 v21, v24, v17
	v_add_f32_e32 v26, v25, v21
	s_delay_alu instid0(VALU_DEP_1) | instskip(NEXT) | instid1(VALU_DEP_1)
	v_dual_sub_f32 v16, v16, v23 :: v_dual_sub_f32 v27, v23, v26
	v_add_f32_e32 v14, v14, v16
	s_delay_alu instid0(VALU_DEP_2) | instskip(NEXT) | instid1(VALU_DEP_1)
	v_dual_sub_f32 v16, v26, v25 :: v_dual_sub_f32 v23, v23, v27
	v_sub_f32_e32 v23, v23, v26
	s_delay_alu instid0(VALU_DEP_1) | instskip(NEXT) | instid1(VALU_DEP_3)
	v_add_f32_e32 v14, v14, v23
	v_sub_f32_e32 v16, v16, v21
	s_delay_alu instid0(VALU_DEP_1) | instskip(NEXT) | instid1(VALU_DEP_1)
	v_add_f32_e32 v14, v16, v14
	v_add_f32_e32 v16, v27, v14
	s_delay_alu instid0(VALU_DEP_1) | instskip(NEXT) | instid1(VALU_DEP_1)
	v_mul_f32_e32 v21, v15, v16
	v_dual_mul_f32 v23, v22, v21 :: v_dual_sub_f32 v26, v27, v16
	s_delay_alu instid0(VALU_DEP_1) | instskip(NEXT) | instid1(VALU_DEP_1)
	v_fma_f32 v22, v21, v22, -v23
	v_fmac_f32_e32 v22, v21, v17
	s_delay_alu instid0(VALU_DEP_1) | instskip(NEXT) | instid1(VALU_DEP_1)
	v_add_f32_e32 v17, v23, v22
	v_sub_f32_e32 v25, v16, v17
	s_delay_alu instid0(VALU_DEP_1) | instskip(SKIP_1) | instid1(VALU_DEP_1)
	v_sub_f32_e32 v16, v16, v25
	v_dual_add_f32 v14, v14, v26 :: v_dual_sub_f32 v23, v17, v23
	v_dual_sub_f32 v16, v16, v17 :: v_dual_sub_f32 v17, v23, v22
	s_delay_alu instid0(VALU_DEP_1) | instskip(NEXT) | instid1(VALU_DEP_1)
	v_add_f32_e32 v14, v14, v16
	v_add_f32_e32 v14, v17, v14
	s_delay_alu instid0(VALU_DEP_1) | instskip(NEXT) | instid1(VALU_DEP_1)
	v_add_f32_e32 v14, v25, v14
	v_mul_f32_e32 v14, v15, v14
	v_max_f32_e64 v15, |v3|, |v3|
	v_add_f32_e32 v16, v24, v21
	s_delay_alu instid0(VALU_DEP_1) | instskip(NEXT) | instid1(VALU_DEP_1)
	v_sub_f32_e32 v17, v16, v24
	v_sub_f32_e32 v17, v21, v17
	v_max_f32_e64 v21, |v2|, |v2|
	s_delay_alu instid0(VALU_DEP_1) | instskip(SKIP_1) | instid1(VALU_DEP_4)
	v_max_f32_e32 v23, v21, v15
	v_min_f32_e32 v15, v21, v15
	v_add_f32_e32 v14, v17, v14
	s_delay_alu instid0(VALU_DEP_3) | instskip(SKIP_1) | instid1(VALU_DEP_3)
	v_frexp_mant_f32_e32 v25, v23
	v_frexp_exp_i32_f32_e32 v21, v23
	v_add_f32_e32 v17, v16, v14
	s_delay_alu instid0(VALU_DEP_1) | instskip(NEXT) | instid1(VALU_DEP_1)
	v_mul_f32_e32 v22, v17, v17
	v_fmaak_f32 v24, s8, v22, 0x3ecc95a3
	s_delay_alu instid0(VALU_DEP_1)
	v_dual_mul_f32 v23, v17, v22 :: v_dual_fmaak_f32 v22, v22, v24, 0x3f2aaada
	v_rcp_f32_e32 v24, v25
	v_frexp_exp_i32_f32_e32 v25, v15
	v_frexp_mant_f32_e32 v15, v15
	v_ldexp_f32 v26, v17, 1
	v_dual_mul_f32 v22, v23, v22 :: v_dual_mul_f32 v23, 0x3f317218, v13
	s_delay_alu instid0(VALU_DEP_4) | instskip(SKIP_2) | instid1(VALU_DEP_1)
	v_sub_nc_u32_e32 v21, v25, v21
	s_waitcnt_depctr 0xfff
	v_mul_f32_e32 v15, v15, v24
	v_ldexp_f32 v15, v15, v21
	v_fma_f32 v21, 0x3f317218, v13, -v23
	s_delay_alu instid0(VALU_DEP_1) | instskip(SKIP_1) | instid1(VALU_DEP_2)
	v_dual_fmac_f32 v21, 0xb102e308, v13 :: v_dual_sub_f32 v16, v17, v16
	v_add_f32_e32 v17, v26, v22
	v_sub_f32_e32 v14, v14, v16
	s_delay_alu instid0(VALU_DEP_2) | instskip(NEXT) | instid1(VALU_DEP_2)
	v_sub_f32_e32 v16, v17, v26
	v_ldexp_f32 v14, v14, 1
	s_delay_alu instid0(VALU_DEP_2) | instskip(NEXT) | instid1(VALU_DEP_1)
	v_sub_f32_e32 v16, v22, v16
	v_add_f32_e32 v13, v14, v16
	s_delay_alu instid0(VALU_DEP_1) | instskip(SKIP_1) | instid1(VALU_DEP_2)
	v_add_f32_e32 v24, v17, v13
	v_add_f32_e32 v16, v23, v21
	v_dual_mul_f32 v22, v15, v15 :: v_dual_sub_f32 v17, v24, v17
	s_delay_alu instid0(VALU_DEP_2) | instskip(NEXT) | instid1(VALU_DEP_1)
	v_add_f32_e32 v25, v16, v24
	v_sub_f32_e32 v26, v25, v16
	s_delay_alu instid0(VALU_DEP_1) | instskip(NEXT) | instid1(VALU_DEP_4)
	v_sub_f32_e32 v27, v25, v26
	v_sub_f32_e32 v13, v13, v17
	;; [unrolled: 1-line block ×3, first 2 shown]
	v_dual_sub_f32 v23, v16, v23 :: v_dual_fmaak_f32 v14, s10, v22, 0xbc7a590c
	s_delay_alu instid0(VALU_DEP_4) | instskip(NEXT) | instid1(VALU_DEP_2)
	v_sub_f32_e32 v16, v16, v27
	v_dual_sub_f32 v21, v21, v23 :: v_dual_fmaak_f32 v14, v22, v14, 0x3d29fb3f
	s_delay_alu instid0(VALU_DEP_2) | instskip(NEXT) | instid1(VALU_DEP_2)
	v_add_f32_e32 v16, v17, v16
	v_dual_add_f32 v23, v21, v13 :: v_dual_fmaak_f32 v14, v22, v14, 0xbd97d4d7
	s_delay_alu instid0(VALU_DEP_1) | instskip(NEXT) | instid1(VALU_DEP_3)
	v_sub_f32_e32 v17, v23, v21
	v_add_f32_e32 v16, v23, v16
	s_delay_alu instid0(VALU_DEP_2) | instskip(NEXT) | instid1(VALU_DEP_1)
	v_dual_fmaak_f32 v14, v22, v14, 0x3dd931b2 :: v_dual_sub_f32 v13, v13, v17
	v_fmaak_f32 v14, v22, v14, 0xbe1160e6
	s_delay_alu instid0(VALU_DEP_1) | instskip(NEXT) | instid1(VALU_DEP_1)
	v_fmaak_f32 v14, v22, v14, 0x3e4cb8bf
	v_fmaak_f32 v14, v22, v14, 0xbeaaaa62
	s_delay_alu instid0(VALU_DEP_1) | instskip(SKIP_1) | instid1(VALU_DEP_2)
	v_mul_f32_e32 v14, v22, v14
	v_sub_f32_e32 v22, v23, v17
	v_fmac_f32_e32 v15, v15, v14
	s_delay_alu instid0(VALU_DEP_1) | instskip(NEXT) | instid1(VALU_DEP_1)
	v_dual_sub_f32 v14, v21, v22 :: v_dual_sub_f32 v21, 0x3fc90fdb, v15
	v_add_f32_e32 v13, v13, v14
	v_add_f32_e32 v23, v25, v16
	s_delay_alu instid0(VALU_DEP_3) | instskip(NEXT) | instid1(VALU_DEP_2)
	v_cndmask_b32_e64 v15, v15, v21, s0
	v_sub_f32_e32 v17, v23, v25
	s_delay_alu instid0(VALU_DEP_1) | instskip(SKIP_2) | instid1(VALU_DEP_3)
	v_sub_f32_e32 v14, v16, v17
	v_cndmask_b32_e64 v16, 0, 0x40490fdb, vcc_lo
	v_cmp_eq_f32_e32 vcc_lo, 0x7f800000, v8
	v_dual_add_f32 v13, v13, v14 :: v_dual_sub_f32 v14, 0x40490fdb, v15
	s_or_b32 vcc_lo, vcc_lo, s5
	s_delay_alu instid0(VALU_DEP_1) | instskip(NEXT) | instid1(VALU_DEP_2)
	v_add_f32_e32 v13, v23, v13
	v_cndmask_b32_e64 v14, v15, v14, s1
	v_cndmask_b32_e64 v15, 0x3f490fdb, v20, s1
	s_delay_alu instid0(VALU_DEP_3) | instskip(SKIP_1) | instid1(VALU_DEP_4)
	v_cndmask_b32_e32 v8, v13, v8, vcc_lo
	v_cmp_eq_f32_e32 vcc_lo, 0, v3
	v_cndmask_b32_e32 v13, v14, v16, vcc_lo
	s_and_b32 vcc_lo, s4, s6
	s_delay_alu instid0(VALU_DEP_3) | instskip(NEXT) | instid1(VALU_DEP_2)
	v_mul_f32_e32 v14, 0.5, v8
	v_cndmask_b32_e32 v8, v13, v15, vcc_lo
                                        ; implicit-def: $vgpr13
.LBB175_251:                            ;   in Loop: Header=BB175_162 Depth=1
	s_and_not1_saveexec_b32 s3, s3
	s_cbranch_execz .LBB175_253
; %bb.252:                              ;   in Loop: Header=BB175_162 Depth=1
	v_max_f32_e64 v8, |v3|, |v3|
	v_max_f32_e64 v14, |v2|, |v2|
	v_cmp_gt_i32_e32 vcc_lo, 0, v2
	v_cmp_eq_f32_e64 s1, 0, v3
	v_cmp_class_f32_e64 s4, v2, 0x204
	v_cmp_class_f32_e64 s5, v3, 0x204
	v_max_f32_e32 v15, v14, v8
	v_min_f32_e32 v8, v14, v8
	s_delay_alu instid0(VALU_DEP_2) | instskip(NEXT) | instid1(VALU_DEP_1)
	v_frexp_mant_f32_e32 v16, v15
	v_rcp_f32_e32 v14, v16
	s_delay_alu instid0(VALU_DEP_2) | instskip(SKIP_4) | instid1(VALU_DEP_1)
	v_frexp_exp_i32_f32_e32 v16, v8
	v_frexp_mant_f32_e32 v8, v8
	s_waitcnt_depctr 0xfff
	v_mul_f32_e32 v8, v8, v14
	v_frexp_exp_i32_f32_e32 v15, v15
	v_sub_nc_u32_e32 v15, v16, v15
	s_delay_alu instid0(VALU_DEP_1) | instskip(NEXT) | instid1(VALU_DEP_1)
	v_ldexp_f32 v8, v8, v15
	v_mul_f32_e32 v14, v8, v8
	s_delay_alu instid0(VALU_DEP_1) | instskip(NEXT) | instid1(VALU_DEP_1)
	v_fmaak_f32 v15, s10, v14, 0xbc7a590c
	v_fmaak_f32 v15, v14, v15, 0x3d29fb3f
	s_delay_alu instid0(VALU_DEP_1) | instskip(NEXT) | instid1(VALU_DEP_1)
	v_fmaak_f32 v15, v14, v15, 0xbd97d4d7
	v_fmaak_f32 v15, v14, v15, 0x3dd931b2
	;; [unrolled: 3-line block ×3, first 2 shown]
	s_delay_alu instid0(VALU_DEP_1) | instskip(NEXT) | instid1(VALU_DEP_1)
	v_fmaak_f32 v15, v14, v15, 0xbeaaaa62
	v_mul_f32_e32 v14, v14, v15
	v_cndmask_b32_e64 v15, 0, 0x40490fdb, vcc_lo
	v_cmp_gt_f32_e32 vcc_lo, 0, v2
	s_delay_alu instid0(VALU_DEP_3) | instskip(NEXT) | instid1(VALU_DEP_1)
	v_fmac_f32_e32 v8, v8, v14
	v_sub_f32_e32 v14, 0x3fc90fdb, v8
	s_delay_alu instid0(VALU_DEP_1) | instskip(NEXT) | instid1(VALU_DEP_1)
	v_cndmask_b32_e64 v8, v8, v14, s0
	v_sub_f32_e32 v14, 0x40490fdb, v8
	s_delay_alu instid0(VALU_DEP_1) | instskip(SKIP_1) | instid1(VALU_DEP_2)
	v_cndmask_b32_e32 v8, v8, v14, vcc_lo
	v_mul_f32_e32 v14, 0.5, v13
	v_cndmask_b32_e64 v8, v8, v15, s1
	v_cndmask_b32_e32 v15, 0x3f490fdb, v20, vcc_lo
	s_and_b32 vcc_lo, s4, s5
	s_delay_alu instid0(VALU_DEP_3) | instskip(NEXT) | instid1(VALU_DEP_2)
	v_mul_f32_e32 v14, v13, v14
	v_cndmask_b32_e32 v8, v8, v15, vcc_lo
.LBB175_253:                            ;   in Loop: Header=BB175_162 Depth=1
	s_or_b32 exec_lo, exec_lo, s3
.LBB175_254:                            ;   in Loop: Header=BB175_162 Depth=1
	s_delay_alu instid0(SALU_CYCLE_1)
	s_or_b32 exec_lo, exec_lo, s2
.LBB175_255:                            ;   in Loop: Header=BB175_162 Depth=1
	s_and_not1_saveexec_b32 s2, s12
	s_cbranch_execz .LBB175_257
; %bb.256:                              ;   in Loop: Header=BB175_162 Depth=1
	v_div_scale_f32 v8, null, 0x402df854, 0x402df854, v2
	v_div_scale_f32 v13, null, 0x402df854, 0x402df854, v3
	v_div_scale_f32 v21, vcc_lo, v2, 0x402df854, v2
	s_delay_alu instid0(VALU_DEP_3) | instskip(NEXT) | instid1(VALU_DEP_2)
	v_rcp_f32_e32 v14, v8
	v_rcp_f32_e32 v15, v13
	v_cmp_class_f32_e64 s3, v3, 0x204
	s_waitcnt_depctr 0xfff
	v_fma_f32 v16, -v8, v14, 1.0
	v_fma_f32 v17, -v13, v15, 1.0
	s_delay_alu instid0(VALU_DEP_1) | instskip(SKIP_1) | instid1(VALU_DEP_1)
	v_dual_fmac_f32 v14, v16, v14 :: v_dual_fmac_f32 v15, v17, v15
	v_div_scale_f32 v16, s1, v3, 0x402df854, v3
	v_dual_mul_f32 v17, v21, v14 :: v_dual_mul_f32 v22, v16, v15
	s_delay_alu instid0(VALU_DEP_1) | instskip(NEXT) | instid1(VALU_DEP_2)
	v_fma_f32 v23, -v8, v17, v21
	v_fma_f32 v24, -v13, v22, v16
	s_delay_alu instid0(VALU_DEP_1) | instskip(NEXT) | instid1(VALU_DEP_1)
	v_dual_fmac_f32 v17, v23, v14 :: v_dual_fmac_f32 v22, v24, v15
	v_fma_f32 v8, -v8, v17, v21
	s_delay_alu instid0(VALU_DEP_2) | instskip(NEXT) | instid1(VALU_DEP_2)
	v_fma_f32 v13, -v13, v22, v16
	v_div_fmas_f32 v8, v8, v14, v17
	s_mov_b32 vcc_lo, s1
	v_max_f32_e64 v17, |v2|, |v2|
	s_delay_alu instid0(VALU_DEP_3) | instskip(SKIP_2) | instid1(VALU_DEP_3)
	v_div_fmas_f32 v13, v13, v15, v22
	v_cmp_class_f32_e64 s1, v2, 0x204
	v_div_fixup_f32 v8, v8, 0x402df854, v2
	v_div_fixup_f32 v15, v13, 0x402df854, v3
	s_delay_alu instid0(VALU_DEP_1) | instskip(NEXT) | instid1(VALU_DEP_1)
	v_max_f32_e64 v16, |v8|, |v15|
	v_cvt_f64_f32_e32 v[13:14], v16
	v_cmp_neq_f32_e32 vcc_lo, 0x7f800000, v16
	s_delay_alu instid0(VALU_DEP_2) | instskip(SKIP_1) | instid1(VALU_DEP_1)
	v_frexp_exp_i32_f64_e32 v13, v[13:14]
	v_max_f32_e64 v14, |v3|, |v3|
	v_max_f32_e32 v21, v17, v14
	v_min_f32_e32 v14, v17, v14
	s_delay_alu instid0(VALU_DEP_2) | instskip(NEXT) | instid1(VALU_DEP_1)
	v_frexp_mant_f32_e32 v22, v21
	v_rcp_f32_e32 v17, v22
	v_sub_nc_u32_e32 v22, 0, v13
	s_delay_alu instid0(VALU_DEP_1) | instskip(SKIP_1) | instid1(VALU_DEP_2)
	v_ldexp_f32 v15, |v15|, v22
	v_ldexp_f32 v8, |v8|, v22
	v_mul_f32_e32 v15, v15, v15
	v_frexp_exp_i32_f32_e32 v23, v14
	v_frexp_mant_f32_e32 v14, v14
	s_delay_alu instid0(TRANS32_DEP_1) | instid1(VALU_DEP_1)
	v_mul_f32_e32 v14, v14, v17
	v_frexp_exp_i32_f32_e32 v21, v21
	s_delay_alu instid0(VALU_DEP_1) | instskip(NEXT) | instid1(VALU_DEP_1)
	v_sub_nc_u32_e32 v21, v23, v21
	v_ldexp_f32 v14, v14, v21
	s_delay_alu instid0(VALU_DEP_1) | instskip(NEXT) | instid1(VALU_DEP_1)
	v_dual_fmac_f32 v15, v8, v8 :: v_dual_mul_f32 v8, v14, v14
	v_sqrt_f32_e32 v15, v15
	s_delay_alu instid0(VALU_DEP_1) | instskip(NEXT) | instid1(VALU_DEP_1)
	v_fmaak_f32 v17, s10, v8, 0xbc7a590c
	v_fmaak_f32 v17, v8, v17, 0x3d29fb3f
	s_waitcnt_depctr 0xfff
	v_ldexp_f32 v13, v15, v13
	s_delay_alu instid0(VALU_DEP_1) | instskip(NEXT) | instid1(VALU_DEP_1)
	v_cndmask_b32_e32 v13, 0x7f800000, v13, vcc_lo
	v_cmp_gt_f32_e32 vcc_lo, 0x800000, v13
	v_cndmask_b32_e64 v16, 1.0, 0x4f800000, vcc_lo
	s_delay_alu instid0(VALU_DEP_1) | instskip(NEXT) | instid1(VALU_DEP_1)
	v_mul_f32_e32 v13, v13, v16
	v_log_f32_e32 v13, v13
	v_fmaak_f32 v15, v8, v17, 0xbd97d4d7
	v_cndmask_b32_e64 v17, 0, 0x41b17218, vcc_lo
	s_delay_alu instid0(VALU_DEP_2) | instskip(SKIP_3) | instid1(VALU_DEP_1)
	v_fmaak_f32 v15, v8, v15, 0x3dd931b2
	s_waitcnt_depctr 0xfff
	v_cmp_gt_f32_e64 vcc_lo, 0x7f800000, |v13|
	v_fmaak_f32 v15, v8, v15, 0xbe1160e6
	v_fmaak_f32 v15, v8, v15, 0x3e4cb8bf
	s_delay_alu instid0(VALU_DEP_1) | instskip(NEXT) | instid1(VALU_DEP_1)
	v_fmaak_f32 v15, v8, v15, 0xbeaaaa62
	v_dual_mul_f32 v8, v8, v15 :: v_dual_mul_f32 v15, 0x3f317217, v13
	s_delay_alu instid0(VALU_DEP_1) | instskip(NEXT) | instid1(VALU_DEP_2)
	v_fmac_f32_e32 v14, v14, v8
	v_fma_f32 v8, 0x3f317217, v13, -v15
	s_delay_alu instid0(VALU_DEP_2) | instskip(NEXT) | instid1(VALU_DEP_1)
	v_sub_f32_e32 v16, 0x3fc90fdb, v14
	v_cndmask_b32_e64 v14, v14, v16, s0
	v_cmp_gt_i32_e64 s0, 0, v2
	s_delay_alu instid0(VALU_DEP_1) | instskip(SKIP_2) | instid1(VALU_DEP_2)
	v_cndmask_b32_e64 v16, 0, 0x40490fdb, s0
	v_fmac_f32_e32 v8, 0x3377d1cf, v13
	v_cmp_gt_f32_e64 s0, 0, v2
	v_add_f32_e32 v8, v15, v8
	s_delay_alu instid0(VALU_DEP_1) | instskip(SKIP_1) | instid1(VALU_DEP_2)
	v_dual_cndmask_b32 v8, v13, v8 :: v_dual_sub_f32 v15, 0x40490fdb, v14
	v_cmp_eq_f32_e32 vcc_lo, 0, v3
	v_sub_f32_e32 v8, v8, v17
	s_delay_alu instid0(VALU_DEP_3) | instskip(SKIP_1) | instid1(VALU_DEP_3)
	v_cndmask_b32_e64 v13, v14, v15, s0
	v_cndmask_b32_e64 v15, 0x3f490fdb, v20, s0
	v_add_f32_e32 v14, 1.0, v8
	s_delay_alu instid0(VALU_DEP_3) | instskip(SKIP_1) | instid1(VALU_DEP_1)
	v_cndmask_b32_e32 v13, v13, v16, vcc_lo
	s_and_b32 vcc_lo, s1, s3
	v_cndmask_b32_e32 v8, v13, v15, vcc_lo
.LBB175_257:                            ;   in Loop: Header=BB175_162 Depth=1
	s_or_b32 exec_lo, exec_lo, s2
.LBB175_258:                            ;   in Loop: Header=BB175_162 Depth=1
	s_and_not1_saveexec_b32 s0, s11
	s_cbranch_execz .LBB175_264
; %bb.259:                              ;   in Loop: Header=BB175_162 Depth=1
	v_cmp_ngt_f32_e64 s1, 0x20000000, |v2|
	v_cmp_ngt_f32_e64 s2, 0x20000000, |v3|
                                        ; implicit-def: $vgpr8
	s_delay_alu instid0(VALU_DEP_1) | instskip(NEXT) | instid1(SALU_CYCLE_1)
	s_or_b32 s1, s1, s2
	s_and_saveexec_b32 s2, s1
	s_delay_alu instid0(SALU_CYCLE_1)
	s_xor_b32 s1, exec_lo, s2
; %bb.260:                              ;   in Loop: Header=BB175_162 Depth=1
	v_mul_f32_e32 v8, v3, v3
	s_delay_alu instid0(VALU_DEP_1)
	v_fmac_f32_e32 v8, v2, v2
; %bb.261:                              ;   in Loop: Header=BB175_162 Depth=1
	s_and_not1_saveexec_b32 s1, s1
; %bb.262:                              ;   in Loop: Header=BB175_162 Depth=1
	v_mul_f32_e32 v8, 4.0, v3
	v_mul_f32_e32 v2, 4.0, v2
	s_delay_alu instid0(VALU_DEP_2) | instskip(NEXT) | instid1(VALU_DEP_1)
	v_mul_f32_e32 v8, v8, v8
	v_fmac_f32_e32 v8, v2, v2
	s_delay_alu instid0(VALU_DEP_1)
	v_mul_f32_e32 v8, 0x3d800000, v8
; %bb.263:                              ;   in Loop: Header=BB175_162 Depth=1
	s_or_b32 exec_lo, exec_lo, s1
	s_delay_alu instid0(VALU_DEP_1) | instskip(SKIP_1) | instid1(VALU_DEP_1)
	v_cmp_gt_f32_e32 vcc_lo, 0x800000, v8
	v_cndmask_b32_e64 v2, 1.0, 0x4f800000, vcc_lo
	v_mul_f32_e32 v2, v8, v2
	s_delay_alu instid0(VALU_DEP_1) | instskip(SKIP_2) | instid1(VALU_DEP_1)
	v_log_f32_e32 v2, v2
	s_waitcnt_depctr 0xfff
	v_mul_f32_e32 v8, 0x3f317217, v2
	v_fma_f32 v13, 0x3f317217, v2, -v8
	s_delay_alu instid0(VALU_DEP_1) | instskip(NEXT) | instid1(VALU_DEP_1)
	v_fmac_f32_e32 v13, 0x3377d1cf, v2
	v_add_f32_e32 v8, v8, v13
	v_cndmask_b32_e64 v13, 0, 0x41b17218, vcc_lo
	v_cmp_gt_f32_e64 vcc_lo, 0x7f800000, |v2|
	s_delay_alu instid0(VALU_DEP_3) | instskip(SKIP_1) | instid1(VALU_DEP_2)
	v_cndmask_b32_e32 v2, v2, v8, vcc_lo
	v_mov_b32_e32 v8, 0x7fc00000
	v_sub_f32_e32 v14, v2, v13
.LBB175_264:                            ;   in Loop: Header=BB175_162 Depth=1
	s_or_b32 exec_lo, exec_lo, s0
                                        ; implicit-def: $vgpr2
	s_delay_alu instid0(SALU_CYCLE_1)
	s_mov_b32 s0, exec_lo
	v_cmpx_o_f32_e32 v5, v4
	s_xor_b32 s11, exec_lo, s0
	s_cbranch_execz .LBB175_292
; %bb.265:                              ;   in Loop: Header=BB175_162 Depth=1
	v_cmp_lt_f32_e64 s0, |v4|, |v5|
                                        ; implicit-def: $vgpr2
	s_mov_b32 s1, exec_lo
	s_delay_alu instid0(VALU_DEP_1) | instskip(NEXT) | instid1(VALU_DEP_1)
	v_cndmask_b32_e64 v13, |v5|, |v4|, s0
	v_cmpx_nlt_f32_e32 0x77f684df, v13
	s_xor_b32 s12, exec_lo, s1
	s_cbranch_execz .LBB175_289
; %bb.266:                              ;   in Loop: Header=BB175_162 Depth=1
	v_and_b32_e32 v2, 0x7fffffff, v5
	s_mov_b32 s1, exec_lo
	s_delay_alu instid0(VALU_DEP_1) | instskip(NEXT) | instid1(VALU_DEP_1)
	v_cndmask_b32_e64 v15, |v4|, v2, s0
                                        ; implicit-def: $vgpr2
	v_cmpx_neq_f32_e32 1.0, v15
	s_xor_b32 s16, exec_lo, s1
	s_cbranch_execz .LBB175_282
; %bb.267:                              ;   in Loop: Header=BB175_162 Depth=1
	v_max_f32_e32 v2, v13, v13
	v_max_f32_e32 v16, v15, v15
	s_delay_alu instid0(VALU_DEP_1) | instskip(SKIP_1) | instid1(VALU_DEP_2)
	v_min_f32_e32 v17, v16, v2
	v_max_f32_e32 v2, v16, v2
	v_cmp_ngt_f32_e32 vcc_lo, 0x358637bd, v17
	s_delay_alu instid0(VALU_DEP_2) | instskip(NEXT) | instid1(VALU_DEP_1)
	v_cmp_nlt_f32_e64 s1, 0x49742400, v2
                                        ; implicit-def: $vgpr2
	s_and_b32 s1, s1, vcc_lo
	s_delay_alu instid0(SALU_CYCLE_1) | instskip(NEXT) | instid1(SALU_CYCLE_1)
	s_and_saveexec_b32 s2, s1
	s_xor_b32 s17, exec_lo, s2
	s_cbranch_execz .LBB175_279
; %bb.268:                              ;   in Loop: Header=BB175_162 Depth=1
                                        ; implicit-def: $vgpr2
	s_mov_b32 s1, exec_lo
	v_cmpx_le_f32_e32 1.0, v15
	s_xor_b32 s2, exec_lo, s1
	s_cbranch_execz .LBB175_270
; %bb.269:                              ;   in Loop: Header=BB175_162 Depth=1
	v_add_f32_e32 v2, -1.0, v15
	v_add_f32_e32 v15, 1.0, v15
	v_cmp_class_f32_e64 s3, v4, 0x204
	s_delay_alu instid0(VALU_DEP_2) | instskip(NEXT) | instid1(VALU_DEP_1)
	v_mul_f32_e32 v2, v2, v15
	v_fmac_f32_e32 v2, v13, v13
	s_delay_alu instid0(VALU_DEP_1) | instskip(SKIP_1) | instid1(VALU_DEP_2)
	v_add_f32_e32 v13, 1.0, v2
	v_cmp_neq_f32_e64 s1, -1.0, v2
	v_cvt_f64_f32_e32 v[15:16], v13
	s_delay_alu instid0(VALU_DEP_1) | instskip(SKIP_1) | instid1(VALU_DEP_1)
	v_frexp_exp_i32_f64_e32 v15, v[15:16]
	v_frexp_mant_f32_e32 v16, v13
	v_cmp_gt_f32_e32 vcc_lo, 0x3f2aaaab, v16
	v_add_f32_e32 v16, -1.0, v13
	s_delay_alu instid0(VALU_DEP_1) | instskip(NEXT) | instid1(VALU_DEP_1)
	v_dual_sub_f32 v21, v16, v13 :: v_dual_sub_f32 v16, v2, v16
	v_add_f32_e32 v21, 1.0, v21
	s_delay_alu instid0(VALU_DEP_1) | instskip(SKIP_2) | instid1(VALU_DEP_2)
	v_add_f32_e32 v16, v16, v21
	v_subrev_co_ci_u32_e32 v15, vcc_lo, 0, v15, vcc_lo
	v_cmp_eq_f32_e32 vcc_lo, 0x7f800000, v2
	v_sub_nc_u32_e32 v17, 0, v15
	v_cvt_f32_i32_e32 v15, v15
	s_delay_alu instid0(VALU_DEP_2) | instskip(SKIP_1) | instid1(VALU_DEP_2)
	v_ldexp_f32 v13, v13, v17
	v_ldexp_f32 v16, v16, v17
	v_add_f32_e32 v17, -1.0, v13
	s_delay_alu instid0(VALU_DEP_1) | instskip(SKIP_1) | instid1(VALU_DEP_1)
	v_add_f32_e32 v23, 1.0, v17
	v_add_f32_e32 v22, 1.0, v13
	v_add_f32_e32 v21, -1.0, v22
	s_delay_alu instid0(VALU_DEP_1) | instskip(NEXT) | instid1(VALU_DEP_4)
	v_sub_f32_e32 v21, v13, v21
	v_sub_f32_e32 v13, v13, v23
	s_delay_alu instid0(VALU_DEP_2) | instskip(NEXT) | instid1(VALU_DEP_2)
	v_add_f32_e32 v21, v16, v21
	v_add_f32_e32 v13, v16, v13
	s_delay_alu instid0(VALU_DEP_2) | instskip(NEXT) | instid1(VALU_DEP_1)
	v_add_f32_e32 v23, v22, v21
	v_rcp_f32_e32 v16, v23
	v_sub_f32_e32 v22, v23, v22
	s_delay_alu instid0(VALU_DEP_3) | instskip(NEXT) | instid1(VALU_DEP_2)
	v_add_f32_e32 v24, v17, v13
	v_sub_f32_e32 v21, v21, v22
	s_waitcnt_depctr 0xfff
	v_mul_f32_e32 v25, v24, v16
	s_delay_alu instid0(VALU_DEP_1) | instskip(NEXT) | instid1(VALU_DEP_1)
	v_mul_f32_e32 v26, v23, v25
	v_fma_f32 v22, v25, v23, -v26
	s_delay_alu instid0(VALU_DEP_1) | instskip(NEXT) | instid1(VALU_DEP_1)
	v_fmac_f32_e32 v22, v25, v21
	v_add_f32_e32 v27, v26, v22
	v_sub_f32_e32 v17, v24, v17
	s_delay_alu instid0(VALU_DEP_1) | instskip(NEXT) | instid1(VALU_DEP_1)
	v_dual_sub_f32 v28, v24, v27 :: v_dual_sub_f32 v13, v13, v17
	v_dual_sub_f32 v17, v27, v26 :: v_dual_sub_f32 v24, v24, v28
	s_delay_alu instid0(VALU_DEP_1) | instskip(NEXT) | instid1(VALU_DEP_1)
	v_dual_sub_f32 v17, v17, v22 :: v_dual_sub_f32 v24, v24, v27
	v_add_f32_e32 v13, v13, v24
	s_delay_alu instid0(VALU_DEP_1) | instskip(NEXT) | instid1(VALU_DEP_1)
	v_add_f32_e32 v13, v17, v13
	v_add_f32_e32 v17, v28, v13
	s_delay_alu instid0(VALU_DEP_1) | instskip(NEXT) | instid1(VALU_DEP_1)
	v_mul_f32_e32 v22, v16, v17
	v_dual_sub_f32 v27, v28, v17 :: v_dual_mul_f32 v24, v23, v22
	s_delay_alu instid0(VALU_DEP_1) | instskip(NEXT) | instid1(VALU_DEP_2)
	v_add_f32_e32 v13, v13, v27
	v_fma_f32 v23, v22, v23, -v24
	s_delay_alu instid0(VALU_DEP_1) | instskip(NEXT) | instid1(VALU_DEP_1)
	v_fmac_f32_e32 v23, v22, v21
	v_add_f32_e32 v21, v24, v23
	s_delay_alu instid0(VALU_DEP_1) | instskip(SKIP_1) | instid1(VALU_DEP_2)
	v_sub_f32_e32 v26, v17, v21
	v_sub_f32_e32 v24, v21, v24
	;; [unrolled: 1-line block ×3, first 2 shown]
	s_delay_alu instid0(VALU_DEP_1) | instskip(NEXT) | instid1(VALU_DEP_3)
	v_sub_f32_e32 v17, v17, v21
	v_sub_f32_e32 v21, v24, v23
	v_max_f32_e64 v23, |v5|, |v5|
	s_delay_alu instid0(VALU_DEP_3) | instskip(SKIP_1) | instid1(VALU_DEP_2)
	v_add_f32_e32 v13, v13, v17
	v_add_f32_e32 v17, v25, v22
	;; [unrolled: 1-line block ×3, first 2 shown]
	s_delay_alu instid0(VALU_DEP_2) | instskip(NEXT) | instid1(VALU_DEP_2)
	v_sub_f32_e32 v21, v17, v25
	v_add_f32_e32 v13, v26, v13
	s_delay_alu instid0(VALU_DEP_2) | instskip(NEXT) | instid1(VALU_DEP_2)
	v_dual_sub_f32 v21, v22, v21 :: v_dual_mul_f32 v26, 0x3f317218, v15
	v_mul_f32_e32 v13, v16, v13
	s_delay_alu instid0(VALU_DEP_2) | instskip(NEXT) | instid1(VALU_DEP_2)
	v_fma_f32 v27, 0x3f317218, v15, -v26
	v_add_f32_e32 v13, v21, v13
	s_delay_alu instid0(VALU_DEP_1) | instskip(NEXT) | instid1(VALU_DEP_1)
	v_dual_fmac_f32 v27, 0xb102e308, v15 :: v_dual_add_f32 v16, v17, v13
	v_mul_f32_e32 v21, v16, v16
	v_ldexp_f32 v25, v16, 1
	s_delay_alu instid0(VALU_DEP_2) | instskip(SKIP_1) | instid1(VALU_DEP_2)
	v_fmaak_f32 v22, s8, v21, 0x3ecc95a3
	v_mul_f32_e32 v24, v16, v21
	v_dual_sub_f32 v16, v16, v17 :: v_dual_fmaak_f32 v21, v21, v22, 0x3f2aaada
	v_max_f32_e64 v22, |v4|, |v4|
	s_delay_alu instid0(VALU_DEP_2) | instskip(NEXT) | instid1(VALU_DEP_2)
	v_sub_f32_e32 v13, v13, v16
	v_dual_mul_f32 v21, v24, v21 :: v_dual_max_f32 v24, v22, v23
	v_min_f32_e32 v22, v22, v23
	s_delay_alu instid0(VALU_DEP_3) | instskip(NEXT) | instid1(VALU_DEP_3)
	v_ldexp_f32 v13, v13, 1
	v_add_f32_e32 v17, v25, v21
	s_delay_alu instid0(VALU_DEP_4) | instskip(SKIP_1) | instid1(VALU_DEP_3)
	v_frexp_mant_f32_e32 v23, v24
	v_frexp_exp_i32_f32_e32 v24, v24
	v_sub_f32_e32 v16, v17, v25
	s_delay_alu instid0(VALU_DEP_3) | instskip(SKIP_1) | instid1(VALU_DEP_2)
	v_rcp_f32_e32 v23, v23
	v_frexp_exp_i32_f32_e32 v25, v22
	v_sub_f32_e32 v16, v21, v16
	v_frexp_mant_f32_e32 v21, v22
	s_delay_alu instid0(VALU_DEP_3) | instskip(NEXT) | instid1(VALU_DEP_3)
	v_sub_nc_u32_e32 v22, v25, v24
	v_add_f32_e32 v13, v13, v16
	s_waitcnt_depctr 0xfff
	v_mul_f32_e32 v15, v21, v23
	v_dual_add_f32 v16, v26, v27 :: v_dual_add_f32 v21, v17, v13
	s_delay_alu instid0(VALU_DEP_2) | instskip(NEXT) | instid1(VALU_DEP_2)
	v_ldexp_f32 v15, v15, v22
	v_sub_f32_e32 v26, v16, v26
	s_delay_alu instid0(VALU_DEP_2) | instskip(NEXT) | instid1(VALU_DEP_2)
	v_dual_add_f32 v22, v16, v21 :: v_dual_mul_f32 v23, v15, v15
	v_dual_sub_f32 v17, v21, v17 :: v_dual_sub_f32 v26, v27, v26
	s_delay_alu instid0(VALU_DEP_2) | instskip(NEXT) | instid1(VALU_DEP_1)
	v_dual_sub_f32 v24, v22, v16 :: v_dual_fmaak_f32 v25, s10, v23, 0xbc7a590c
	v_dual_sub_f32 v13, v13, v17 :: v_dual_sub_f32 v28, v22, v24
	s_delay_alu instid0(VALU_DEP_2) | instskip(NEXT) | instid1(VALU_DEP_2)
	v_fmaak_f32 v25, v23, v25, 0x3d29fb3f
	v_dual_sub_f32 v17, v21, v24 :: v_dual_add_f32 v24, v26, v13
	s_delay_alu instid0(VALU_DEP_2) | instskip(NEXT) | instid1(VALU_DEP_1)
	v_dual_sub_f32 v16, v16, v28 :: v_dual_fmaak_f32 v21, v23, v25, 0xbd97d4d7
	v_dual_add_f32 v16, v17, v16 :: v_dual_fmaak_f32 v17, v23, v21, 0x3dd931b2
	s_delay_alu instid0(VALU_DEP_3) | instskip(NEXT) | instid1(VALU_DEP_2)
	v_sub_f32_e32 v21, v24, v26
	v_dual_add_f32 v16, v24, v16 :: v_dual_fmaak_f32 v17, v23, v17, 0xbe1160e6
	s_delay_alu instid0(VALU_DEP_2) | instskip(SKIP_1) | instid1(VALU_DEP_3)
	v_sub_f32_e32 v24, v24, v21
	v_sub_f32_e32 v13, v13, v21
	v_add_f32_e32 v25, v22, v16
	s_delay_alu instid0(VALU_DEP_4) | instskip(NEXT) | instid1(VALU_DEP_2)
	v_fmaak_f32 v17, v23, v17, 0x3e4cb8bf
	v_dual_sub_f32 v21, v26, v24 :: v_dual_sub_f32 v22, v25, v22
	s_delay_alu instid0(VALU_DEP_2) | instskip(NEXT) | instid1(VALU_DEP_2)
	v_fmaak_f32 v17, v23, v17, 0xbeaaaa62
	v_dual_add_f32 v13, v13, v21 :: v_dual_sub_f32 v16, v16, v22
	s_delay_alu instid0(VALU_DEP_2) | instskip(NEXT) | instid1(VALU_DEP_2)
	v_mul_f32_e32 v17, v23, v17
	v_add_f32_e32 v13, v13, v16
	s_delay_alu instid0(VALU_DEP_2) | instskip(NEXT) | instid1(VALU_DEP_1)
	v_fmac_f32_e32 v15, v15, v17
	v_dual_add_f32 v13, v25, v13 :: v_dual_sub_f32 v16, 0x3fc90fdb, v15
	s_delay_alu instid0(VALU_DEP_1) | instskip(SKIP_1) | instid1(VALU_DEP_3)
	v_cndmask_b32_e32 v13, v13, v2, vcc_lo
	v_cmp_gt_i32_e32 vcc_lo, 0, v4
	v_cndmask_b32_e64 v15, v15, v16, s0
	v_cndmask_b32_e64 v16, 0, 0x40490fdb, vcc_lo
	v_cmp_ngt_f32_e32 vcc_lo, -1.0, v2
	s_delay_alu instid0(VALU_DEP_3) | instskip(SKIP_2) | instid1(VALU_DEP_2)
	v_sub_f32_e32 v17, 0x40490fdb, v15
	v_cndmask_b32_e32 v13, 0x7fc00000, v13, vcc_lo
	v_cmp_gt_f32_e32 vcc_lo, 0, v4
	v_cndmask_b32_e64 v13, 0xff800000, v13, s1
	s_delay_alu instid0(VALU_DEP_4)
	v_cndmask_b32_e32 v15, v15, v17, vcc_lo
	v_cndmask_b32_e32 v17, 0x3f490fdb, v20, vcc_lo
	v_cmp_gt_f32_e64 vcc_lo, 0x33800000, |v2|
	v_cmp_class_f32_e64 s1, v5, 0x204
	v_cndmask_b32_e32 v2, v13, v2, vcc_lo
	v_cmp_eq_f32_e32 vcc_lo, 0, v5
	v_cndmask_b32_e32 v13, v15, v16, vcc_lo
	s_delay_alu instid0(VALU_DEP_4) | instskip(NEXT) | instid1(VALU_DEP_3)
	s_and_b32 vcc_lo, s3, s1
	v_mul_f32_e32 v16, 0.5, v2
                                        ; implicit-def: $vgpr15
	s_delay_alu instid0(VALU_DEP_2)
	v_cndmask_b32_e32 v2, v13, v17, vcc_lo
                                        ; implicit-def: $vgpr13
.LBB175_270:                            ;   in Loop: Header=BB175_162 Depth=1
	s_and_not1_saveexec_b32 s18, s2
	s_cbranch_execz .LBB175_278
; %bb.271:                              ;   in Loop: Header=BB175_162 Depth=1
	v_mul_f32_e32 v16, v13, v13
                                        ; implicit-def: $vgpr2
	s_mov_b32 s1, exec_lo
	s_delay_alu instid0(VALU_DEP_1) | instskip(NEXT) | instid1(VALU_DEP_1)
	v_fmac_f32_e32 v16, v15, v15
	v_cmpx_ge_f32_e32 0x3f333333, v16
	s_xor_b32 s2, exec_lo, s1
	s_cbranch_execz .LBB175_273
; %bb.272:                              ;   in Loop: Header=BB175_162 Depth=1
	v_max_f32_e64 v2, |v5|, |v5|
	v_max_f32_e64 v13, |v4|, |v4|
	v_cmp_gt_f32_e32 vcc_lo, 0x800000, v16
	v_cmp_gt_i32_e64 s1, 0, v4
	v_cmp_class_f32_e64 s3, v4, 0x204
	v_cmp_class_f32_e64 s4, v5, 0x204
	v_max_f32_e32 v15, v13, v2
	v_min_f32_e32 v2, v13, v2
	v_cndmask_b32_e64 v21, 0, 0x41b17218, vcc_lo
	s_delay_alu instid0(VALU_DEP_3) | instskip(NEXT) | instid1(VALU_DEP_1)
	v_frexp_mant_f32_e32 v17, v15
	v_rcp_f32_e32 v13, v17
	s_delay_alu instid0(VALU_DEP_3) | instskip(SKIP_4) | instid1(VALU_DEP_1)
	v_frexp_exp_i32_f32_e32 v17, v2
	v_frexp_mant_f32_e32 v2, v2
	s_waitcnt_depctr 0xfff
	v_mul_f32_e32 v2, v2, v13
	v_frexp_exp_i32_f32_e32 v15, v15
	v_sub_nc_u32_e32 v15, v17, v15
	v_cndmask_b32_e64 v17, 1.0, 0x4f800000, vcc_lo
	s_delay_alu instid0(VALU_DEP_2) | instskip(NEXT) | instid1(VALU_DEP_1)
	v_ldexp_f32 v2, v2, v15
	v_dual_mul_f32 v16, v16, v17 :: v_dual_mul_f32 v13, v2, v2
	s_delay_alu instid0(VALU_DEP_1) | instskip(NEXT) | instid1(VALU_DEP_1)
	v_log_f32_e32 v16, v16
	v_fmaak_f32 v15, s10, v13, 0xbc7a590c
	s_delay_alu instid0(VALU_DEP_1) | instskip(SKIP_3) | instid1(VALU_DEP_1)
	v_fmaak_f32 v15, v13, v15, 0x3d29fb3f
	s_waitcnt_depctr 0xfff
	v_cmp_gt_f32_e64 vcc_lo, 0x7f800000, |v16|
	v_fmaak_f32 v15, v13, v15, 0xbd97d4d7
	v_fmaak_f32 v15, v13, v15, 0x3dd931b2
	s_delay_alu instid0(VALU_DEP_1) | instskip(NEXT) | instid1(VALU_DEP_1)
	v_fmaak_f32 v15, v13, v15, 0xbe1160e6
	v_fmaak_f32 v15, v13, v15, 0x3e4cb8bf
	s_delay_alu instid0(VALU_DEP_1) | instskip(NEXT) | instid1(VALU_DEP_1)
	v_fmaak_f32 v15, v13, v15, 0xbeaaaa62
	v_mul_f32_e32 v13, v13, v15
	s_delay_alu instid0(VALU_DEP_1) | instskip(NEXT) | instid1(VALU_DEP_1)
	v_dual_mul_f32 v15, 0x3f317217, v16 :: v_dual_fmac_f32 v2, v2, v13
	v_fma_f32 v13, 0x3f317217, v16, -v15
	s_delay_alu instid0(VALU_DEP_2) | instskip(NEXT) | instid1(VALU_DEP_2)
	v_sub_f32_e32 v17, 0x3fc90fdb, v2
	v_fmac_f32_e32 v13, 0x3377d1cf, v16
	s_delay_alu instid0(VALU_DEP_2) | instskip(NEXT) | instid1(VALU_DEP_2)
	v_cndmask_b32_e64 v2, v2, v17, s0
	v_add_f32_e32 v13, v15, v13
	v_cndmask_b32_e64 v15, 0, 0x40490fdb, s1
	v_cmp_eq_f32_e64 s1, 0, v5
	s_delay_alu instid0(VALU_DEP_4) | instskip(NEXT) | instid1(VALU_DEP_4)
	v_sub_f32_e32 v17, 0x40490fdb, v2
	v_cndmask_b32_e32 v13, v16, v13, vcc_lo
	v_cmp_gt_f32_e32 vcc_lo, 0, v4
	s_delay_alu instid0(VALU_DEP_2) | instskip(NEXT) | instid1(VALU_DEP_4)
	v_sub_f32_e32 v13, v13, v21
	v_cndmask_b32_e32 v2, v2, v17, vcc_lo
	s_delay_alu instid0(VALU_DEP_2) | instskip(NEXT) | instid1(VALU_DEP_2)
	v_mul_f32_e32 v16, 0.5, v13
	v_cndmask_b32_e64 v2, v2, v15, s1
	v_cndmask_b32_e32 v15, 0x3f490fdb, v20, vcc_lo
	s_and_b32 vcc_lo, s3, s4
                                        ; implicit-def: $vgpr13
	s_delay_alu instid0(VALU_DEP_1)
	v_cndmask_b32_e32 v2, v2, v15, vcc_lo
                                        ; implicit-def: $vgpr15
.LBB175_273:                            ;   in Loop: Header=BB175_162 Depth=1
	s_and_not1_saveexec_b32 s19, s2
	s_cbranch_execz .LBB175_277
; %bb.274:                              ;   in Loop: Header=BB175_162 Depth=1
	v_and_b32_e32 v17, 0x7fff0000, v13
	v_and_b32_e32 v16, 0x7fff0000, v15
	s_mov_b32 s21, 0
	s_delay_alu instid0(VALU_DEP_1) | instskip(SKIP_1) | instid1(VALU_DEP_2)
	v_dual_sub_f32 v13, v13, v17 :: v_dual_mul_f32 v2, v16, v16
	v_dual_add_f32 v24, v16, v16 :: v_dual_add_f32 v27, v17, v17
	v_and_b32_e32 v23, 0xffff0000, v13
	s_delay_alu instid0(VALU_DEP_1) | instskip(NEXT) | instid1(VALU_DEP_1)
	v_dual_sub_f32 v21, v15, v16 :: v_dual_sub_f32 v28, v13, v23
	v_dual_mul_f32 v13, v27, v23 :: v_dual_and_b32 v22, 0xffff0000, v21
	v_mul_f32_e32 v15, v17, v17
	v_add_f32_e32 v29, v23, v23
	s_delay_alu instid0(VALU_DEP_3) | instskip(SKIP_3) | instid1(VALU_DEP_3)
	v_dual_mul_f32 v25, v23, v23 :: v_dual_mul_f32 v16, v22, v22
	v_sub_f32_e32 v17, v21, v22
	v_add_f32_e32 v21, v22, v22
	v_mul_f32_e32 v26, v24, v22
	v_mul_f32_e32 v22, v24, v17
	s_delay_alu instid0(VALU_DEP_3)
	v_dual_mul_f32 v24, v27, v28 :: v_dual_mul_f32 v23, v21, v17
	v_mul_f32_e32 v21, v29, v28
	v_mul_f32_e32 v17, v17, v17
	;; [unrolled: 1-line block ×3, first 2 shown]
.LBB175_275:                            ;   Parent Loop BB175_162 Depth=1
                                        ; =>  This Inner Loop Header: Depth=2
	v_cmp_nlt_f32_e32 vcc_lo, v2, v15
	s_delay_alu instid0(VALU_DEP_2) | instskip(SKIP_1) | instid1(VALU_DEP_2)
	v_dual_mov_b32 v29, v27 :: v_dual_cndmask_b32 v28, v2, v15
	v_cndmask_b32_e32 v2, v15, v2, vcc_lo
	v_cmp_nlt_f32_e64 s1, v28, v26
	s_delay_alu instid0(VALU_DEP_1) | instskip(SKIP_2) | instid1(VALU_DEP_2)
	v_cndmask_b32_e64 v27, v28, v26, s1
	v_cndmask_b32_e64 v15, v26, v28, s1
	s_and_b32 s22, vcc_lo, s1
	v_cmp_nlt_f32_e64 s2, v27, v13
	s_delay_alu instid0(VALU_DEP_1) | instskip(SKIP_1) | instid1(VALU_DEP_2)
	v_cndmask_b32_e64 v30, v27, v13, s2
	v_cndmask_b32_e64 v26, v13, v27, s2
	v_cmp_nlt_f32_e64 s3, v30, v16
	s_delay_alu instid0(VALU_DEP_1) | instskip(SKIP_2) | instid1(VALU_DEP_2)
	v_cndmask_b32_e64 v28, v30, v16, s3
	v_cndmask_b32_e64 v13, v16, v30, s3
	s_and_b32 s23, s2, s3
	v_cmp_nlt_f32_e64 s4, v28, v25
	s_delay_alu instid0(VALU_DEP_1) | instskip(SKIP_1) | instid1(VALU_DEP_2)
	v_cndmask_b32_e64 v31, v28, v25, s4
	v_cndmask_b32_e64 v16, v25, v28, s4
	v_cmp_nlt_f32_e64 s5, v31, v22
	s_delay_alu instid0(VALU_DEP_1) | instskip(SKIP_2) | instid1(VALU_DEP_2)
	v_cndmask_b32_e64 v32, v31, v22, s5
	s_and_b32 s3, s4, s5
	v_cndmask_b32_e64 v25, v22, v31, s5
	v_cmp_nlt_f32_e64 s6, v32, v24
	s_delay_alu instid0(VALU_DEP_1) | instskip(SKIP_2) | instid1(VALU_DEP_2)
	v_cndmask_b32_e64 v33, v32, v24, s6
	s_and_b32 s3, s3, s6
	v_cndmask_b32_e64 v22, v24, v32, s6
	v_cmp_nlt_f32_e32 vcc_lo, v33, v23
	v_cndmask_b32_e32 v34, v33, v23, vcc_lo
	s_and_b32 s4, s3, vcc_lo
	v_cndmask_b32_e32 v24, v23, v33, vcc_lo
	s_delay_alu instid0(VALU_DEP_2) | instskip(NEXT) | instid1(VALU_DEP_1)
	v_cmp_nlt_f32_e64 s1, v34, v21
	v_cndmask_b32_e64 v30, v34, v21, s1
	s_and_b32 s4, s4, s1
	v_cndmask_b32_e64 v23, v21, v34, s1
	s_delay_alu instid0(VALU_DEP_2) | instskip(NEXT) | instid1(VALU_DEP_1)
	v_cmp_nlt_f32_e64 s2, v30, v17
	v_cndmask_b32_e64 v28, v30, v17, s2
	s_and_b32 s4, s4, s2
	v_cndmask_b32_e64 v21, v17, v30, s2
	s_delay_alu instid0(VALU_DEP_2) | instskip(NEXT) | instid1(VALU_DEP_1)
	v_cmp_nlt_f32_e64 s3, v28, v29
	s_and_b32 s4, s4, s3
	v_cndmask_b32_e64 v27, v28, v29, s3
	s_and_b32 s1, s4, s23
	v_cndmask_b32_e64 v17, v29, v28, s3
	s_and_b32 s1, s1, s22
	s_delay_alu instid0(SALU_CYCLE_1) | instskip(NEXT) | instid1(SALU_CYCLE_1)
	s_and_b32 s1, exec_lo, s1
	s_or_b32 s21, s1, s21
	s_delay_alu instid0(SALU_CYCLE_1)
	s_and_not1_b32 exec_lo, exec_lo, s21
	s_cbranch_execnz .LBB175_275
; %bb.276:                              ;   in Loop: Header=BB175_162 Depth=1
	s_or_b32 exec_lo, exec_lo, s21
	v_add_f32_e32 v2, -1.0, v2
	v_cmp_class_f32_e64 s2, v4, 0x204
	s_delay_alu instid0(VALU_DEP_2) | instskip(NEXT) | instid1(VALU_DEP_1)
	v_add_f32_e32 v2, v2, v15
	v_add_f32_e32 v2, v2, v26
	s_delay_alu instid0(VALU_DEP_1) | instskip(NEXT) | instid1(VALU_DEP_1)
	v_add_f32_e32 v2, v2, v13
	v_add_f32_e32 v2, v2, v16
	s_delay_alu instid0(VALU_DEP_1) | instskip(NEXT) | instid1(VALU_DEP_1)
	;; [unrolled: 3-line block ×5, first 2 shown]
	v_add_f32_e32 v2, v27, v2
	v_add_f32_e32 v13, 1.0, v2
	s_delay_alu instid0(VALU_DEP_1) | instskip(NEXT) | instid1(VALU_DEP_1)
	v_cvt_f64_f32_e32 v[15:16], v13
	v_frexp_exp_i32_f64_e32 v15, v[15:16]
	v_frexp_mant_f32_e32 v16, v13
	s_delay_alu instid0(VALU_DEP_1) | instskip(SKIP_1) | instid1(VALU_DEP_1)
	v_cmp_gt_f32_e32 vcc_lo, 0x3f2aaaab, v16
	v_add_f32_e32 v16, -1.0, v13
	v_dual_sub_f32 v21, v16, v13 :: v_dual_sub_f32 v16, v2, v16
	s_delay_alu instid0(VALU_DEP_1) | instskip(NEXT) | instid1(VALU_DEP_1)
	v_add_f32_e32 v21, 1.0, v21
	v_add_f32_e32 v16, v16, v21
	v_subrev_co_ci_u32_e32 v15, vcc_lo, 0, v15, vcc_lo
	s_delay_alu instid0(VALU_DEP_1) | instskip(SKIP_1) | instid1(VALU_DEP_2)
	v_sub_nc_u32_e32 v17, 0, v15
	v_cvt_f32_i32_e32 v15, v15
	v_ldexp_f32 v13, v13, v17
	v_ldexp_f32 v16, v16, v17
	s_delay_alu instid0(VALU_DEP_2) | instskip(SKIP_1) | instid1(VALU_DEP_2)
	v_add_f32_e32 v22, 1.0, v13
	v_add_f32_e32 v17, -1.0, v13
	v_add_f32_e32 v21, -1.0, v22
	s_delay_alu instid0(VALU_DEP_2) | instskip(NEXT) | instid1(VALU_DEP_2)
	v_add_f32_e32 v23, 1.0, v17
	v_sub_f32_e32 v21, v13, v21
	s_delay_alu instid0(VALU_DEP_2) | instskip(NEXT) | instid1(VALU_DEP_2)
	v_sub_f32_e32 v13, v13, v23
	v_add_f32_e32 v21, v16, v21
	s_delay_alu instid0(VALU_DEP_2) | instskip(NEXT) | instid1(VALU_DEP_2)
	v_add_f32_e32 v13, v16, v13
	v_add_f32_e32 v23, v22, v21
	s_delay_alu instid0(VALU_DEP_2) | instskip(SKIP_2) | instid1(VALU_DEP_4)
	v_add_f32_e32 v24, v17, v13
	v_cmp_eq_f32_e32 vcc_lo, 0x7f800000, v2
	v_cmp_neq_f32_e64 s1, -1.0, v2
	v_rcp_f32_e32 v16, v23
	s_delay_alu instid0(VALU_DEP_3) | instskip(NEXT) | instid1(VALU_DEP_1)
	v_dual_sub_f32 v22, v23, v22 :: v_dual_sub_f32 v17, v24, v17
	v_sub_f32_e32 v21, v21, v22
	s_delay_alu instid0(VALU_DEP_2) | instskip(SKIP_2) | instid1(VALU_DEP_1)
	v_sub_f32_e32 v13, v13, v17
	s_waitcnt_depctr 0xfff
	v_mul_f32_e32 v25, v24, v16
	v_mul_f32_e32 v26, v23, v25
	s_delay_alu instid0(VALU_DEP_1) | instskip(NEXT) | instid1(VALU_DEP_1)
	v_fma_f32 v22, v25, v23, -v26
	v_fmac_f32_e32 v22, v25, v21
	s_delay_alu instid0(VALU_DEP_1) | instskip(NEXT) | instid1(VALU_DEP_1)
	v_add_f32_e32 v27, v26, v22
	v_sub_f32_e32 v28, v24, v27
	s_delay_alu instid0(VALU_DEP_1) | instskip(NEXT) | instid1(VALU_DEP_1)
	v_sub_f32_e32 v24, v24, v28
	v_sub_f32_e32 v24, v24, v27
	s_delay_alu instid0(VALU_DEP_1) | instskip(SKIP_1) | instid1(VALU_DEP_1)
	v_add_f32_e32 v13, v13, v24
	v_sub_f32_e32 v17, v27, v26
	v_sub_f32_e32 v17, v17, v22
	s_delay_alu instid0(VALU_DEP_1) | instskip(NEXT) | instid1(VALU_DEP_1)
	v_add_f32_e32 v13, v17, v13
	v_add_f32_e32 v17, v28, v13
	s_delay_alu instid0(VALU_DEP_1) | instskip(NEXT) | instid1(VALU_DEP_1)
	v_mul_f32_e32 v22, v16, v17
	v_mul_f32_e32 v24, v23, v22
	s_delay_alu instid0(VALU_DEP_1) | instskip(NEXT) | instid1(VALU_DEP_1)
	v_fma_f32 v23, v22, v23, -v24
	v_fmac_f32_e32 v23, v22, v21
	s_delay_alu instid0(VALU_DEP_1) | instskip(NEXT) | instid1(VALU_DEP_1)
	v_add_f32_e32 v21, v24, v23
	v_dual_sub_f32 v27, v28, v17 :: v_dual_sub_f32 v24, v21, v24
	v_sub_f32_e32 v26, v17, v21
	s_delay_alu instid0(VALU_DEP_2) | instskip(NEXT) | instid1(VALU_DEP_2)
	v_add_f32_e32 v13, v13, v27
	v_sub_f32_e32 v17, v17, v26
	s_delay_alu instid0(VALU_DEP_1) | instskip(SKIP_2) | instid1(VALU_DEP_3)
	v_sub_f32_e32 v17, v17, v21
	v_sub_f32_e32 v21, v24, v23
	v_max_f32_e64 v23, |v5|, |v5|
	v_add_f32_e32 v13, v13, v17
	v_add_f32_e32 v17, v25, v22
	s_delay_alu instid0(VALU_DEP_2) | instskip(NEXT) | instid1(VALU_DEP_1)
	v_add_f32_e32 v13, v21, v13
	v_dual_add_f32 v13, v26, v13 :: v_dual_mul_f32 v26, 0x3f317218, v15
	s_delay_alu instid0(VALU_DEP_1) | instskip(NEXT) | instid1(VALU_DEP_2)
	v_mul_f32_e32 v13, v16, v13
	v_fma_f32 v27, 0x3f317218, v15, -v26
	s_delay_alu instid0(VALU_DEP_1) | instskip(SKIP_1) | instid1(VALU_DEP_1)
	v_fmac_f32_e32 v27, 0xb102e308, v15
	v_sub_f32_e32 v21, v17, v25
	v_sub_f32_e32 v21, v22, v21
	s_delay_alu instid0(VALU_DEP_1) | instskip(NEXT) | instid1(VALU_DEP_1)
	v_add_f32_e32 v13, v21, v13
	v_add_f32_e32 v16, v17, v13
	s_delay_alu instid0(VALU_DEP_1) | instskip(SKIP_1) | instid1(VALU_DEP_2)
	v_mul_f32_e32 v21, v16, v16
	v_ldexp_f32 v25, v16, 1
	v_fmaak_f32 v22, s8, v21, 0x3ecc95a3
	v_mul_f32_e32 v24, v16, v21
	s_delay_alu instid0(VALU_DEP_2) | instskip(SKIP_1) | instid1(VALU_DEP_2)
	v_dual_sub_f32 v16, v16, v17 :: v_dual_fmaak_f32 v21, v21, v22, 0x3f2aaada
	v_max_f32_e64 v22, |v4|, |v4|
	v_sub_f32_e32 v13, v13, v16
	s_delay_alu instid0(VALU_DEP_2) | instskip(SKIP_1) | instid1(VALU_DEP_3)
	v_dual_mul_f32 v21, v24, v21 :: v_dual_max_f32 v24, v22, v23
	v_min_f32_e32 v22, v22, v23
	v_ldexp_f32 v13, v13, 1
	s_delay_alu instid0(VALU_DEP_3) | instskip(NEXT) | instid1(VALU_DEP_4)
	v_add_f32_e32 v17, v25, v21
	v_frexp_mant_f32_e32 v23, v24
	v_frexp_exp_i32_f32_e32 v24, v24
	s_delay_alu instid0(VALU_DEP_3) | instskip(NEXT) | instid1(VALU_DEP_3)
	v_sub_f32_e32 v16, v17, v25
	v_rcp_f32_e32 v23, v23
	v_frexp_exp_i32_f32_e32 v25, v22
	s_delay_alu instid0(VALU_DEP_2) | instskip(SKIP_1) | instid1(VALU_DEP_3)
	v_sub_f32_e32 v16, v21, v16
	v_frexp_mant_f32_e32 v21, v22
	v_sub_nc_u32_e32 v22, v25, v24
	s_delay_alu instid0(VALU_DEP_3) | instskip(SKIP_3) | instid1(VALU_DEP_2)
	v_add_f32_e32 v13, v13, v16
	s_waitcnt_depctr 0xfff
	v_mul_f32_e32 v15, v21, v23
	v_dual_add_f32 v16, v26, v27 :: v_dual_add_f32 v21, v17, v13
	v_ldexp_f32 v15, v15, v22
	s_delay_alu instid0(VALU_DEP_2) | instskip(NEXT) | instid1(VALU_DEP_2)
	v_sub_f32_e32 v26, v16, v26
	v_dual_add_f32 v22, v16, v21 :: v_dual_mul_f32 v23, v15, v15
	s_delay_alu instid0(VALU_DEP_2) | instskip(NEXT) | instid1(VALU_DEP_2)
	v_sub_f32_e32 v26, v27, v26
	v_dual_sub_f32 v24, v22, v16 :: v_dual_fmaak_f32 v25, s10, v23, 0xbc7a590c
	s_delay_alu instid0(VALU_DEP_1) | instskip(NEXT) | instid1(VALU_DEP_1)
	v_sub_f32_e32 v28, v22, v24
	v_dual_sub_f32 v16, v16, v28 :: v_dual_sub_f32 v17, v21, v17
	s_delay_alu instid0(VALU_DEP_1) | instskip(SKIP_2) | instid1(VALU_DEP_3)
	v_sub_f32_e32 v13, v13, v17
	v_sub_f32_e32 v17, v21, v24
	v_fmaak_f32 v25, v23, v25, 0x3d29fb3f
	v_add_f32_e32 v24, v26, v13
	s_delay_alu instid0(VALU_DEP_2) | instskip(NEXT) | instid1(VALU_DEP_1)
	v_dual_add_f32 v16, v17, v16 :: v_dual_fmaak_f32 v21, v23, v25, 0xbd97d4d7
	v_add_f32_e32 v16, v24, v16
	s_delay_alu instid0(VALU_DEP_1) | instskip(NEXT) | instid1(VALU_DEP_1)
	v_add_f32_e32 v25, v22, v16
	v_dual_sub_f32 v22, v25, v22 :: v_dual_fmaak_f32 v17, v23, v21, 0x3dd931b2
	v_sub_f32_e32 v21, v24, v26
	s_delay_alu instid0(VALU_DEP_2) | instskip(NEXT) | instid1(VALU_DEP_2)
	v_dual_sub_f32 v16, v16, v22 :: v_dual_fmaak_f32 v17, v23, v17, 0xbe1160e6
	v_sub_f32_e32 v24, v24, v21
	v_sub_f32_e32 v13, v13, v21
	s_delay_alu instid0(VALU_DEP_3) | instskip(NEXT) | instid1(VALU_DEP_3)
	v_fmaak_f32 v17, v23, v17, 0x3e4cb8bf
	v_sub_f32_e32 v21, v26, v24
	s_delay_alu instid0(VALU_DEP_2) | instskip(NEXT) | instid1(VALU_DEP_2)
	v_fmaak_f32 v17, v23, v17, 0xbeaaaa62
	v_add_f32_e32 v13, v13, v21
	s_delay_alu instid0(VALU_DEP_2) | instskip(NEXT) | instid1(VALU_DEP_2)
	v_mul_f32_e32 v17, v23, v17
	v_add_f32_e32 v13, v13, v16
	s_delay_alu instid0(VALU_DEP_2) | instskip(NEXT) | instid1(VALU_DEP_1)
	v_fmac_f32_e32 v15, v15, v17
	v_dual_add_f32 v13, v25, v13 :: v_dual_sub_f32 v16, 0x3fc90fdb, v15
	s_delay_alu instid0(VALU_DEP_1) | instskip(SKIP_1) | instid1(VALU_DEP_3)
	v_cndmask_b32_e32 v13, v13, v2, vcc_lo
	v_cmp_gt_i32_e32 vcc_lo, 0, v4
	v_cndmask_b32_e64 v15, v15, v16, s0
	v_cndmask_b32_e64 v16, 0, 0x40490fdb, vcc_lo
	v_cmp_ngt_f32_e32 vcc_lo, -1.0, v2
	s_delay_alu instid0(VALU_DEP_3) | instskip(SKIP_2) | instid1(VALU_DEP_2)
	v_sub_f32_e32 v17, 0x40490fdb, v15
	v_cndmask_b32_e32 v13, 0x7fc00000, v13, vcc_lo
	v_cmp_gt_f32_e32 vcc_lo, 0, v4
	v_cndmask_b32_e64 v13, 0xff800000, v13, s1
	s_delay_alu instid0(VALU_DEP_4)
	v_cndmask_b32_e32 v15, v15, v17, vcc_lo
	v_cndmask_b32_e32 v17, 0x3f490fdb, v20, vcc_lo
	v_cmp_gt_f32_e64 vcc_lo, 0x33800000, |v2|
	v_cmp_class_f32_e64 s1, v5, 0x204
	v_cndmask_b32_e32 v2, v13, v2, vcc_lo
	v_cmp_eq_f32_e32 vcc_lo, 0, v5
	v_cndmask_b32_e32 v13, v15, v16, vcc_lo
	s_delay_alu instid0(VALU_DEP_4) | instskip(NEXT) | instid1(VALU_DEP_3)
	s_and_b32 vcc_lo, s2, s1
	v_mul_f32_e32 v16, 0.5, v2
	s_delay_alu instid0(VALU_DEP_2)
	v_cndmask_b32_e32 v2, v13, v17, vcc_lo
.LBB175_277:                            ;   in Loop: Header=BB175_162 Depth=1
	s_or_b32 exec_lo, exec_lo, s19
.LBB175_278:                            ;   in Loop: Header=BB175_162 Depth=1
	s_delay_alu instid0(SALU_CYCLE_1)
	s_or_b32 exec_lo, exec_lo, s18
.LBB175_279:                            ;   in Loop: Header=BB175_162 Depth=1
	s_and_not1_saveexec_b32 s2, s17
	s_cbranch_execz .LBB175_281
; %bb.280:                              ;   in Loop: Header=BB175_162 Depth=1
	v_max_f32_e64 v2, |v5|, |v5|
	v_max_f32_e64 v13, |v4|, |v4|
	v_cmp_gt_i32_e64 s1, 0, v4
	v_cmp_class_f32_e64 s3, v4, 0x204
	v_cmp_class_f32_e64 s4, v5, 0x204
	s_delay_alu instid0(VALU_DEP_4) | instskip(SKIP_1) | instid1(VALU_DEP_2)
	v_max_f32_e32 v17, v13, v2
	v_min_f32_e32 v2, v13, v2
	v_cvt_f64_f32_e32 v[15:16], v17
	s_delay_alu instid0(VALU_DEP_2) | instskip(SKIP_1) | instid1(VALU_DEP_3)
	v_frexp_exp_i32_f32_e32 v21, v2
	v_frexp_mant_f32_e32 v2, v2
	v_frexp_exp_i32_f64_e32 v15, v[15:16]
	v_frexp_mant_f32_e32 v16, v17
	s_delay_alu instid0(VALU_DEP_1) | instskip(SKIP_4) | instid1(VALU_DEP_2)
	v_rcp_f32_e32 v13, v16
	s_waitcnt_depctr 0xfff
	v_mul_f32_e32 v2, v2, v13
	v_frexp_exp_i32_f32_e32 v16, v17
	v_cmp_neq_f32_e32 vcc_lo, 0x7f800000, v17
	v_sub_nc_u32_e32 v16, v21, v16
	s_delay_alu instid0(VALU_DEP_1) | instskip(NEXT) | instid1(VALU_DEP_1)
	v_ldexp_f32 v2, v2, v16
	v_mul_f32_e32 v21, v2, v2
	v_sub_nc_u32_e32 v22, 0, v15
	s_delay_alu instid0(VALU_DEP_1) | instskip(SKIP_1) | instid1(VALU_DEP_2)
	v_ldexp_f32 v13, |v5|, v22
	v_ldexp_f32 v16, |v4|, v22
	v_mul_f32_e32 v13, v13, v13
	s_delay_alu instid0(VALU_DEP_1) | instskip(NEXT) | instid1(VALU_DEP_1)
	v_dual_fmac_f32 v13, v16, v16 :: v_dual_fmaak_f32 v16, s10, v21, 0xbc7a590c
	v_sqrt_f32_e32 v13, v13
	s_delay_alu instid0(VALU_DEP_1) | instskip(NEXT) | instid1(VALU_DEP_1)
	v_fmaak_f32 v16, v21, v16, 0x3d29fb3f
	v_fmaak_f32 v16, v21, v16, 0xbd97d4d7
	s_waitcnt_depctr 0xfff
	v_ldexp_f32 v13, v13, v15
	v_fmaak_f32 v15, v21, v16, 0x3dd931b2
	s_delay_alu instid0(VALU_DEP_2) | instskip(NEXT) | instid1(VALU_DEP_2)
	v_cndmask_b32_e32 v13, 0x7f800000, v13, vcc_lo
	v_fmaak_f32 v15, v21, v15, 0xbe1160e6
	s_delay_alu instid0(VALU_DEP_2) | instskip(NEXT) | instid1(VALU_DEP_2)
	v_cmp_gt_f32_e32 vcc_lo, 0x800000, v13
	v_fmaak_f32 v15, v21, v15, 0x3e4cb8bf
	v_cndmask_b32_e64 v16, 1.0, 0x4f800000, vcc_lo
	s_delay_alu instid0(VALU_DEP_2) | instskip(NEXT) | instid1(VALU_DEP_1)
	v_fmaak_f32 v15, v21, v15, 0xbeaaaa62
	v_mul_f32_e32 v15, v21, v15
	s_delay_alu instid0(VALU_DEP_1) | instskip(NEXT) | instid1(VALU_DEP_1)
	v_dual_fmac_f32 v2, v2, v15 :: v_dual_mul_f32 v13, v13, v16
	v_sub_f32_e32 v16, 0x3fc90fdb, v2
	s_delay_alu instid0(VALU_DEP_2) | instskip(NEXT) | instid1(VALU_DEP_1)
	v_log_f32_e32 v13, v13
	v_cndmask_b32_e64 v2, v2, v16, s0
	v_cndmask_b32_e64 v16, 0, 0x40490fdb, s1
	v_cmp_gt_f32_e64 s1, 0, v4
	s_delay_alu instid0(VALU_DEP_3) | instskip(SKIP_3) | instid1(VALU_DEP_2)
	v_sub_f32_e32 v21, 0x40490fdb, v2
	s_waitcnt_depctr 0xfff
	v_mul_f32_e32 v15, 0x3f317217, v13
	v_cndmask_b32_e64 v2, v2, v21, s1
	v_fma_f32 v17, 0x3f317217, v13, -v15
	v_cndmask_b32_e64 v21, 0, 0x41b17218, vcc_lo
	v_cmp_gt_f32_e64 vcc_lo, 0x7f800000, |v13|
	s_delay_alu instid0(VALU_DEP_3) | instskip(NEXT) | instid1(VALU_DEP_1)
	v_fmac_f32_e32 v17, 0x3377d1cf, v13
	v_add_f32_e32 v15, v15, v17
	v_cndmask_b32_e64 v17, 0x3f490fdb, v20, s1
	s_delay_alu instid0(VALU_DEP_2) | instskip(SKIP_3) | instid1(VALU_DEP_3)
	v_cndmask_b32_e32 v13, v13, v15, vcc_lo
	v_cmp_eq_f32_e32 vcc_lo, 0, v5
	v_cndmask_b32_e32 v2, v2, v16, vcc_lo
	s_and_b32 vcc_lo, s3, s4
	v_sub_f32_e32 v16, v13, v21
	s_delay_alu instid0(VALU_DEP_2)
	v_cndmask_b32_e32 v2, v2, v17, vcc_lo
.LBB175_281:                            ;   in Loop: Header=BB175_162 Depth=1
	s_or_b32 exec_lo, exec_lo, s2
                                        ; implicit-def: $vgpr13
.LBB175_282:                            ;   in Loop: Header=BB175_162 Depth=1
	s_and_not1_saveexec_b32 s2, s16
	s_cbranch_execz .LBB175_288
; %bb.283:                              ;   in Loop: Header=BB175_162 Depth=1
                                        ; implicit-def: $vgpr2
	s_mov_b32 s1, exec_lo
	v_cmpx_ngt_f32_e32 0x1fec1e4a, v13
	s_xor_b32 s3, exec_lo, s1
	s_cbranch_execz .LBB175_285
; %bb.284:                              ;   in Loop: Header=BB175_162 Depth=1
	v_mul_f32_e32 v2, v13, v13
	v_cmp_gt_f32_e64 s1, 0, v4
	v_cmp_class_f32_e64 s4, v4, 0x204
	v_cmp_class_f32_e64 s6, v5, 0x204
	s_delay_alu instid0(VALU_DEP_4) | instskip(NEXT) | instid1(VALU_DEP_1)
	v_add_f32_e32 v13, 1.0, v2
	v_cvt_f64_f32_e32 v[15:16], v13
	s_delay_alu instid0(VALU_DEP_1) | instskip(SKIP_1) | instid1(VALU_DEP_1)
	v_frexp_exp_i32_f64_e32 v15, v[15:16]
	v_frexp_mant_f32_e32 v16, v13
	v_cmp_gt_f32_e32 vcc_lo, 0x3f2aaaab, v16
	v_add_f32_e32 v16, -1.0, v13
	s_delay_alu instid0(VALU_DEP_1) | instskip(NEXT) | instid1(VALU_DEP_1)
	v_dual_sub_f32 v21, v16, v13 :: v_dual_sub_f32 v16, v2, v16
	v_add_f32_e32 v21, 1.0, v21
	s_delay_alu instid0(VALU_DEP_1) | instskip(SKIP_2) | instid1(VALU_DEP_2)
	v_add_f32_e32 v16, v16, v21
	v_subrev_co_ci_u32_e32 v15, vcc_lo, 0, v15, vcc_lo
	v_cmp_gt_i32_e32 vcc_lo, 0, v4
	v_sub_nc_u32_e32 v17, 0, v15
	v_cvt_f32_i32_e32 v15, v15
	s_delay_alu instid0(VALU_DEP_2) | instskip(SKIP_1) | instid1(VALU_DEP_2)
	v_ldexp_f32 v13, v13, v17
	v_ldexp_f32 v16, v16, v17
	v_add_f32_e32 v22, 1.0, v13
	v_add_f32_e32 v17, -1.0, v13
	s_delay_alu instid0(VALU_DEP_2) | instskip(NEXT) | instid1(VALU_DEP_2)
	v_add_f32_e32 v21, -1.0, v22
	v_add_f32_e32 v23, 1.0, v17
	v_cmp_gt_f32_e64 s5, 0x33800000, |v2|
	s_delay_alu instid0(VALU_DEP_3) | instskip(NEXT) | instid1(VALU_DEP_3)
	v_sub_f32_e32 v21, v13, v21
	v_sub_f32_e32 v13, v13, v23
	s_delay_alu instid0(VALU_DEP_2) | instskip(NEXT) | instid1(VALU_DEP_2)
	v_add_f32_e32 v21, v16, v21
	v_add_f32_e32 v13, v16, v13
	s_delay_alu instid0(VALU_DEP_2) | instskip(NEXT) | instid1(VALU_DEP_2)
	v_add_f32_e32 v23, v22, v21
	v_add_f32_e32 v24, v17, v13
	s_delay_alu instid0(VALU_DEP_2) | instskip(SKIP_2) | instid1(VALU_DEP_1)
	v_rcp_f32_e32 v16, v23
	s_waitcnt_depctr 0xfff
	v_dual_mul_f32 v25, v24, v16 :: v_dual_sub_f32 v22, v22, v23
	v_dual_mul_f32 v26, v23, v25 :: v_dual_add_f32 v21, v21, v22
	s_delay_alu instid0(VALU_DEP_1) | instskip(NEXT) | instid1(VALU_DEP_1)
	v_fma_f32 v22, v25, v23, -v26
	v_fmac_f32_e32 v22, v25, v21
	s_delay_alu instid0(VALU_DEP_1) | instskip(NEXT) | instid1(VALU_DEP_1)
	v_add_f32_e32 v27, v26, v22
	v_dual_sub_f32 v17, v17, v24 :: v_dual_sub_f32 v28, v24, v27
	s_delay_alu instid0(VALU_DEP_1) | instskip(NEXT) | instid1(VALU_DEP_2)
	v_add_f32_e32 v13, v13, v17
	v_dual_sub_f32 v17, v27, v26 :: v_dual_sub_f32 v24, v24, v28
	s_delay_alu instid0(VALU_DEP_1) | instskip(NEXT) | instid1(VALU_DEP_1)
	v_dual_sub_f32 v17, v17, v22 :: v_dual_sub_f32 v24, v24, v27
	v_add_f32_e32 v13, v13, v24
	s_delay_alu instid0(VALU_DEP_1) | instskip(NEXT) | instid1(VALU_DEP_1)
	v_add_f32_e32 v13, v17, v13
	v_add_f32_e32 v17, v28, v13
	s_delay_alu instid0(VALU_DEP_1) | instskip(NEXT) | instid1(VALU_DEP_1)
	v_mul_f32_e32 v22, v16, v17
	v_dual_sub_f32 v27, v28, v17 :: v_dual_mul_f32 v24, v23, v22
	s_delay_alu instid0(VALU_DEP_1) | instskip(NEXT) | instid1(VALU_DEP_2)
	v_add_f32_e32 v13, v13, v27
	v_fma_f32 v23, v22, v23, -v24
	s_delay_alu instid0(VALU_DEP_1) | instskip(NEXT) | instid1(VALU_DEP_1)
	v_fmac_f32_e32 v23, v22, v21
	v_add_f32_e32 v21, v24, v23
	s_delay_alu instid0(VALU_DEP_1) | instskip(SKIP_1) | instid1(VALU_DEP_1)
	v_sub_f32_e32 v24, v21, v24
	v_sub_f32_e32 v26, v17, v21
	;; [unrolled: 1-line block ×3, first 2 shown]
	s_delay_alu instid0(VALU_DEP_1) | instskip(NEXT) | instid1(VALU_DEP_4)
	v_sub_f32_e32 v17, v17, v21
	v_sub_f32_e32 v21, v24, v23
	s_delay_alu instid0(VALU_DEP_2) | instskip(SKIP_1) | instid1(VALU_DEP_2)
	v_add_f32_e32 v13, v13, v17
	v_add_f32_e32 v17, v25, v22
	v_add_f32_e32 v13, v21, v13
	s_delay_alu instid0(VALU_DEP_2) | instskip(NEXT) | instid1(VALU_DEP_2)
	v_sub_f32_e32 v21, v17, v25
	v_add_f32_e32 v13, v26, v13
	s_delay_alu instid0(VALU_DEP_2) | instskip(SKIP_1) | instid1(VALU_DEP_3)
	v_sub_f32_e32 v21, v22, v21
	v_max_f32_e64 v22, |v4|, |v4|
	v_mul_f32_e32 v13, v16, v13
	v_max_f32_e64 v16, |v5|, |v5|
	s_delay_alu instid0(VALU_DEP_1) | instskip(NEXT) | instid1(VALU_DEP_1)
	v_dual_add_f32 v13, v21, v13 :: v_dual_max_f32 v24, v22, v16
	v_dual_min_f32 v16, v22, v16 :: v_dual_add_f32 v21, v17, v13
	s_delay_alu instid0(VALU_DEP_2) | instskip(SKIP_1) | instid1(VALU_DEP_3)
	v_frexp_mant_f32_e32 v26, v24
	v_frexp_exp_i32_f32_e32 v22, v24
	v_mul_f32_e32 v23, v21, v21
	v_ldexp_f32 v27, v21, 1
	v_sub_f32_e32 v17, v21, v17
	s_delay_alu instid0(VALU_DEP_3) | instskip(SKIP_1) | instid1(VALU_DEP_3)
	v_fmaak_f32 v25, s8, v23, 0x3ecc95a3
	v_mul_f32_e32 v24, v21, v23
	v_sub_f32_e32 v13, v13, v17
	s_delay_alu instid0(VALU_DEP_3)
	v_fmaak_f32 v23, v23, v25, 0x3f2aaada
	v_rcp_f32_e32 v25, v26
	v_frexp_exp_i32_f32_e32 v26, v16
	v_frexp_mant_f32_e32 v16, v16
	v_ldexp_f32 v13, v13, 1
	v_mul_f32_e32 v23, v24, v23
	v_mul_f32_e32 v24, 0x3f317218, v15
	v_sub_nc_u32_e32 v22, v26, v22
	s_delay_alu instid0(TRANS32_DEP_1) | instid1(VALU_DEP_3)
	v_dual_add_f32 v21, v27, v23 :: v_dual_mul_f32 v16, v16, v25
	s_delay_alu instid0(VALU_DEP_1) | instskip(NEXT) | instid1(VALU_DEP_2)
	v_sub_f32_e32 v17, v21, v27
	v_ldexp_f32 v16, v16, v22
	v_fma_f32 v22, 0x3f317218, v15, -v24
	s_delay_alu instid0(VALU_DEP_3) | instskip(NEXT) | instid1(VALU_DEP_2)
	v_sub_f32_e32 v17, v23, v17
	v_dual_mul_f32 v23, v16, v16 :: v_dual_fmac_f32 v22, 0xb102e308, v15
	s_delay_alu instid0(VALU_DEP_2) | instskip(NEXT) | instid1(VALU_DEP_2)
	v_add_f32_e32 v13, v13, v17
	v_fmaak_f32 v15, s10, v23, 0xbc7a590c
	s_delay_alu instid0(VALU_DEP_3) | instskip(NEXT) | instid1(VALU_DEP_3)
	v_add_f32_e32 v17, v24, v22
	v_add_f32_e32 v25, v21, v13
	s_delay_alu instid0(VALU_DEP_2) | instskip(NEXT) | instid1(VALU_DEP_1)
	v_dual_fmaak_f32 v15, v23, v15, 0x3d29fb3f :: v_dual_sub_f32 v24, v17, v24
	v_dual_add_f32 v26, v17, v25 :: v_dual_fmaak_f32 v15, v23, v15, 0xbd97d4d7
	s_delay_alu instid0(VALU_DEP_2) | instskip(NEXT) | instid1(VALU_DEP_2)
	v_dual_sub_f32 v21, v25, v21 :: v_dual_sub_f32 v22, v22, v24
	v_sub_f32_e32 v27, v26, v17
	s_delay_alu instid0(VALU_DEP_3) | instskip(NEXT) | instid1(VALU_DEP_2)
	v_fmaak_f32 v15, v23, v15, 0x3dd931b2
	v_dual_sub_f32 v13, v13, v21 :: v_dual_sub_f32 v28, v26, v27
	s_delay_alu instid0(VALU_DEP_2) | instskip(NEXT) | instid1(VALU_DEP_2)
	v_fmaak_f32 v15, v23, v15, 0xbe1160e6
	v_dual_sub_f32 v21, v25, v27 :: v_dual_add_f32 v24, v22, v13
	s_delay_alu instid0(VALU_DEP_3) | instskip(NEXT) | instid1(VALU_DEP_3)
	v_sub_f32_e32 v17, v17, v28
	v_fmaak_f32 v15, v23, v15, 0x3e4cb8bf
	s_delay_alu instid0(VALU_DEP_2) | instskip(NEXT) | instid1(VALU_DEP_2)
	v_add_f32_e32 v17, v21, v17
	v_fmaak_f32 v15, v23, v15, 0xbeaaaa62
	v_sub_f32_e32 v21, v24, v22
	s_delay_alu instid0(VALU_DEP_3) | instskip(NEXT) | instid1(VALU_DEP_3)
	v_add_f32_e32 v17, v24, v17
	v_mul_f32_e32 v15, v23, v15
	s_delay_alu instid0(VALU_DEP_3) | instskip(SKIP_1) | instid1(VALU_DEP_4)
	v_sub_f32_e32 v23, v24, v21
	v_sub_f32_e32 v13, v13, v21
	v_add_f32_e32 v24, v26, v17
	s_delay_alu instid0(VALU_DEP_4) | instskip(NEXT) | instid1(VALU_DEP_4)
	v_fmac_f32_e32 v16, v16, v15
	v_sub_f32_e32 v15, v22, v23
	s_delay_alu instid0(VALU_DEP_2) | instskip(NEXT) | instid1(VALU_DEP_2)
	v_dual_sub_f32 v21, v24, v26 :: v_dual_sub_f32 v22, 0x3fc90fdb, v16
	v_add_f32_e32 v13, v13, v15
	s_delay_alu instid0(VALU_DEP_2) | instskip(NEXT) | instid1(VALU_DEP_3)
	v_sub_f32_e32 v15, v17, v21
	v_cndmask_b32_e64 v16, v16, v22, s0
	v_cndmask_b32_e64 v17, 0, 0x40490fdb, vcc_lo
	v_cmp_eq_f32_e32 vcc_lo, 0x7f800000, v2
	v_cndmask_b32_e64 v21, 0x3f490fdb, v20, s1
	v_add_f32_e32 v13, v13, v15
	v_sub_f32_e32 v15, 0x40490fdb, v16
	s_or_b32 vcc_lo, vcc_lo, s5
	s_delay_alu instid0(VALU_DEP_2) | instskip(NEXT) | instid1(VALU_DEP_2)
	v_add_f32_e32 v13, v24, v13
	v_cndmask_b32_e64 v15, v16, v15, s1
	s_delay_alu instid0(VALU_DEP_2) | instskip(SKIP_1) | instid1(VALU_DEP_2)
	v_cndmask_b32_e32 v2, v13, v2, vcc_lo
	v_cmp_eq_f32_e32 vcc_lo, 0, v5
	v_dual_mul_f32 v16, 0.5, v2 :: v_dual_cndmask_b32 v13, v15, v17
	s_and_b32 vcc_lo, s4, s6
	s_delay_alu instid0(VALU_DEP_1)
	v_cndmask_b32_e32 v2, v13, v21, vcc_lo
                                        ; implicit-def: $vgpr13
.LBB175_285:                            ;   in Loop: Header=BB175_162 Depth=1
	s_and_not1_saveexec_b32 s3, s3
	s_cbranch_execz .LBB175_287
; %bb.286:                              ;   in Loop: Header=BB175_162 Depth=1
	v_max_f32_e64 v2, |v5|, |v5|
	v_max_f32_e64 v15, |v4|, |v4|
	v_cmp_gt_i32_e32 vcc_lo, 0, v4
	v_cmp_eq_f32_e64 s1, 0, v5
	v_cmp_class_f32_e64 s4, v4, 0x204
	v_cmp_class_f32_e64 s5, v5, 0x204
	v_max_f32_e32 v16, v15, v2
	v_min_f32_e32 v2, v15, v2
	s_delay_alu instid0(VALU_DEP_2) | instskip(SKIP_1) | instid1(VALU_DEP_2)
	v_frexp_mant_f32_e32 v17, v16
	v_frexp_exp_i32_f32_e32 v16, v16
	v_rcp_f32_e32 v15, v17
	s_delay_alu instid0(VALU_DEP_3) | instskip(SKIP_1) | instid1(VALU_DEP_2)
	v_frexp_exp_i32_f32_e32 v17, v2
	v_frexp_mant_f32_e32 v2, v2
	v_sub_nc_u32_e32 v16, v17, v16
	s_waitcnt_depctr 0xfff
	v_mul_f32_e32 v2, v2, v15
	s_delay_alu instid0(VALU_DEP_1) | instskip(NEXT) | instid1(VALU_DEP_1)
	v_ldexp_f32 v2, v2, v16
	v_mul_f32_e32 v15, v2, v2
	s_delay_alu instid0(VALU_DEP_1) | instskip(NEXT) | instid1(VALU_DEP_1)
	v_fmaak_f32 v16, s10, v15, 0xbc7a590c
	v_fmaak_f32 v16, v15, v16, 0x3d29fb3f
	s_delay_alu instid0(VALU_DEP_1) | instskip(NEXT) | instid1(VALU_DEP_1)
	v_fmaak_f32 v16, v15, v16, 0xbd97d4d7
	v_fmaak_f32 v16, v15, v16, 0x3dd931b2
	;; [unrolled: 3-line block ×3, first 2 shown]
	s_delay_alu instid0(VALU_DEP_1) | instskip(NEXT) | instid1(VALU_DEP_1)
	v_fmaak_f32 v16, v15, v16, 0xbeaaaa62
	v_mul_f32_e32 v15, v15, v16
	v_cndmask_b32_e64 v16, 0, 0x40490fdb, vcc_lo
	v_cmp_gt_f32_e32 vcc_lo, 0, v4
	s_delay_alu instid0(VALU_DEP_3) | instskip(NEXT) | instid1(VALU_DEP_1)
	v_dual_fmac_f32 v2, v2, v15 :: v_dual_cndmask_b32 v17, 0x3f490fdb, v20
	v_sub_f32_e32 v15, 0x3fc90fdb, v2
	s_delay_alu instid0(VALU_DEP_1) | instskip(NEXT) | instid1(VALU_DEP_1)
	v_cndmask_b32_e64 v2, v2, v15, s0
	v_sub_f32_e32 v15, 0x40490fdb, v2
	s_delay_alu instid0(VALU_DEP_1) | instskip(SKIP_1) | instid1(VALU_DEP_1)
	v_dual_cndmask_b32 v2, v2, v15 :: v_dual_mul_f32 v15, 0.5, v13
	s_and_b32 vcc_lo, s4, s5
	v_cndmask_b32_e64 v2, v2, v16, s1
	s_delay_alu instid0(VALU_DEP_2) | instskip(NEXT) | instid1(VALU_DEP_2)
	v_mul_f32_e32 v16, v13, v15
	v_cndmask_b32_e32 v2, v2, v17, vcc_lo
.LBB175_287:                            ;   in Loop: Header=BB175_162 Depth=1
	s_or_b32 exec_lo, exec_lo, s3
.LBB175_288:                            ;   in Loop: Header=BB175_162 Depth=1
	s_delay_alu instid0(SALU_CYCLE_1)
	s_or_b32 exec_lo, exec_lo, s2
.LBB175_289:                            ;   in Loop: Header=BB175_162 Depth=1
	s_and_not1_saveexec_b32 s2, s12
	s_cbranch_execz .LBB175_291
; %bb.290:                              ;   in Loop: Header=BB175_162 Depth=1
	v_div_scale_f32 v2, null, 0x402df854, 0x402df854, v4
	v_div_scale_f32 v13, null, 0x402df854, 0x402df854, v5
	v_div_scale_f32 v22, vcc_lo, v4, 0x402df854, v4
	s_delay_alu instid0(VALU_DEP_3) | instskip(NEXT) | instid1(VALU_DEP_2)
	v_rcp_f32_e32 v15, v2
	v_rcp_f32_e32 v16, v13
	v_cmp_class_f32_e64 s3, v5, 0x204
	s_waitcnt_depctr 0xfff
	v_fma_f32 v17, -v2, v15, 1.0
	v_fma_f32 v21, -v13, v16, 1.0
	s_delay_alu instid0(VALU_DEP_2) | instskip(SKIP_1) | instid1(VALU_DEP_2)
	v_fmac_f32_e32 v15, v17, v15
	v_div_scale_f32 v17, s1, v5, 0x402df854, v5
	v_dual_fmac_f32 v16, v21, v16 :: v_dual_mul_f32 v21, v22, v15
	s_delay_alu instid0(VALU_DEP_1) | instskip(NEXT) | instid1(VALU_DEP_2)
	v_mul_f32_e32 v23, v17, v16
	v_fma_f32 v24, -v2, v21, v22
	s_delay_alu instid0(VALU_DEP_2) | instskip(NEXT) | instid1(VALU_DEP_2)
	v_fma_f32 v25, -v13, v23, v17
	v_fmac_f32_e32 v21, v24, v15
	s_delay_alu instid0(VALU_DEP_2) | instskip(NEXT) | instid1(VALU_DEP_2)
	v_fmac_f32_e32 v23, v25, v16
	v_fma_f32 v2, -v2, v21, v22
	s_delay_alu instid0(VALU_DEP_2) | instskip(NEXT) | instid1(VALU_DEP_2)
	v_fma_f32 v13, -v13, v23, v17
	v_div_fmas_f32 v2, v2, v15, v21
	s_mov_b32 vcc_lo, s1
	v_max_f32_e64 v21, |v4|, |v4|
	s_delay_alu instid0(VALU_DEP_3) | instskip(SKIP_2) | instid1(VALU_DEP_3)
	v_div_fmas_f32 v13, v13, v16, v23
	v_cmp_class_f32_e64 s1, v4, 0x204
	v_div_fixup_f32 v2, v2, 0x402df854, v4
	v_div_fixup_f32 v13, v13, 0x402df854, v5
	s_delay_alu instid0(VALU_DEP_1) | instskip(NEXT) | instid1(VALU_DEP_1)
	v_max_f32_e64 v17, |v2|, |v13|
	v_cvt_f64_f32_e32 v[15:16], v17
	v_cmp_neq_f32_e32 vcc_lo, 0x7f800000, v17
	s_delay_alu instid0(VALU_DEP_2) | instskip(SKIP_1) | instid1(VALU_DEP_1)
	v_frexp_exp_i32_f64_e32 v15, v[15:16]
	v_max_f32_e64 v16, |v5|, |v5|
	v_max_f32_e32 v22, v21, v16
	v_min_f32_e32 v16, v21, v16
	s_delay_alu instid0(VALU_DEP_2) | instskip(NEXT) | instid1(VALU_DEP_2)
	v_frexp_mant_f32_e32 v23, v22
	v_frexp_exp_i32_f32_e32 v24, v16
	v_frexp_mant_f32_e32 v16, v16
	s_delay_alu instid0(VALU_DEP_3) | instskip(SKIP_3) | instid1(VALU_DEP_1)
	v_rcp_f32_e32 v21, v23
	s_waitcnt_depctr 0xfff
	v_mul_f32_e32 v16, v16, v21
	v_sub_nc_u32_e32 v23, 0, v15
	v_ldexp_f32 v13, |v13|, v23
	v_ldexp_f32 v2, |v2|, v23
	s_delay_alu instid0(VALU_DEP_2) | instskip(NEXT) | instid1(VALU_DEP_1)
	v_mul_f32_e32 v13, v13, v13
	v_fmac_f32_e32 v13, v2, v2
	v_frexp_exp_i32_f32_e32 v22, v22
	s_delay_alu instid0(VALU_DEP_2) | instskip(NEXT) | instid1(VALU_DEP_1)
	v_sqrt_f32_e32 v13, v13
	v_sub_nc_u32_e32 v22, v24, v22
	s_delay_alu instid0(VALU_DEP_1) | instskip(SKIP_2) | instid1(VALU_DEP_1)
	v_ldexp_f32 v16, v16, v22
	s_waitcnt_depctr 0xfff
	v_ldexp_f32 v13, v13, v15
	v_dual_mul_f32 v2, v16, v16 :: v_dual_cndmask_b32 v13, 0x7f800000, v13
	s_delay_alu instid0(VALU_DEP_1) | instskip(NEXT) | instid1(VALU_DEP_2)
	v_fmaak_f32 v21, s10, v2, 0xbc7a590c
	v_cmp_gt_f32_e32 vcc_lo, 0x800000, v13
	s_delay_alu instid0(VALU_DEP_2) | instskip(SKIP_1) | instid1(VALU_DEP_1)
	v_fmaak_f32 v21, v2, v21, 0x3d29fb3f
	v_cndmask_b32_e64 v17, 1.0, 0x4f800000, vcc_lo
	v_mul_f32_e32 v13, v13, v17
	s_delay_alu instid0(VALU_DEP_1) | instskip(NEXT) | instid1(VALU_DEP_3)
	v_log_f32_e32 v13, v13
	v_fmaak_f32 v15, v2, v21, 0xbd97d4d7
	v_cndmask_b32_e64 v21, 0, 0x41b17218, vcc_lo
	s_delay_alu instid0(VALU_DEP_2) | instskip(SKIP_3) | instid1(VALU_DEP_1)
	v_fmaak_f32 v15, v2, v15, 0x3dd931b2
	s_waitcnt_depctr 0xfff
	v_cmp_gt_f32_e64 vcc_lo, 0x7f800000, |v13|
	v_fmaak_f32 v15, v2, v15, 0xbe1160e6
	v_fmaak_f32 v15, v2, v15, 0x3e4cb8bf
	s_delay_alu instid0(VALU_DEP_1) | instskip(NEXT) | instid1(VALU_DEP_1)
	v_fmaak_f32 v15, v2, v15, 0xbeaaaa62
	v_dual_mul_f32 v2, v2, v15 :: v_dual_mul_f32 v15, 0x3f317217, v13
	s_delay_alu instid0(VALU_DEP_1) | instskip(NEXT) | instid1(VALU_DEP_2)
	v_fmac_f32_e32 v16, v16, v2
	v_fma_f32 v2, 0x3f317217, v13, -v15
	s_delay_alu instid0(VALU_DEP_1) | instskip(NEXT) | instid1(VALU_DEP_1)
	v_fmac_f32_e32 v2, 0x3377d1cf, v13
	v_add_f32_e32 v2, v15, v2
	s_delay_alu instid0(VALU_DEP_1) | instskip(SKIP_1) | instid1(VALU_DEP_2)
	v_dual_cndmask_b32 v2, v13, v2 :: v_dual_sub_f32 v17, 0x3fc90fdb, v16
	v_cmp_eq_f32_e32 vcc_lo, 0, v5
	v_sub_f32_e32 v2, v2, v21
	s_delay_alu instid0(VALU_DEP_3) | instskip(SKIP_1) | instid1(VALU_DEP_2)
	v_cndmask_b32_e64 v16, v16, v17, s0
	v_cmp_gt_i32_e64 s0, 0, v4
	v_sub_f32_e32 v15, 0x40490fdb, v16
	s_delay_alu instid0(VALU_DEP_2) | instskip(SKIP_1) | instid1(VALU_DEP_1)
	v_cndmask_b32_e64 v17, 0, 0x40490fdb, s0
	v_cmp_gt_f32_e64 s0, 0, v4
	v_cndmask_b32_e64 v13, v16, v15, s0
	v_cndmask_b32_e64 v15, 0x3f490fdb, v20, s0
	s_delay_alu instid0(VALU_DEP_2) | instskip(SKIP_1) | instid1(VALU_DEP_1)
	v_dual_add_f32 v16, 1.0, v2 :: v_dual_cndmask_b32 v13, v13, v17
	s_and_b32 vcc_lo, s1, s3
	v_cndmask_b32_e32 v2, v13, v15, vcc_lo
.LBB175_291:                            ;   in Loop: Header=BB175_162 Depth=1
	s_or_b32 exec_lo, exec_lo, s2
.LBB175_292:                            ;   in Loop: Header=BB175_162 Depth=1
	s_and_not1_saveexec_b32 s0, s11
	s_cbranch_execz .LBB175_161
; %bb.293:                              ;   in Loop: Header=BB175_162 Depth=1
	v_cmp_ngt_f32_e64 s1, 0x20000000, |v4|
	v_cmp_ngt_f32_e64 s2, 0x20000000, |v5|
                                        ; implicit-def: $vgpr2
	s_delay_alu instid0(VALU_DEP_1) | instskip(NEXT) | instid1(SALU_CYCLE_1)
	s_or_b32 s1, s1, s2
	s_and_saveexec_b32 s2, s1
	s_delay_alu instid0(SALU_CYCLE_1)
	s_xor_b32 s1, exec_lo, s2
; %bb.294:                              ;   in Loop: Header=BB175_162 Depth=1
	v_mul_f32_e32 v2, v5, v5
	s_delay_alu instid0(VALU_DEP_1)
	v_fmac_f32_e32 v2, v4, v4
; %bb.295:                              ;   in Loop: Header=BB175_162 Depth=1
	s_and_not1_saveexec_b32 s1, s1
	s_cbranch_execz .LBB175_160
; %bb.296:                              ;   in Loop: Header=BB175_162 Depth=1
	v_mul_f32_e32 v2, 4.0, v5
	v_mul_f32_e32 v4, 4.0, v4
	s_delay_alu instid0(VALU_DEP_2) | instskip(NEXT) | instid1(VALU_DEP_1)
	v_mul_f32_e32 v2, v2, v2
	v_fmac_f32_e32 v2, v4, v4
	s_delay_alu instid0(VALU_DEP_1)
	v_mul_f32_e32 v2, 0x3d800000, v2
	s_branch .LBB175_160
.LBB175_297:
	s_nop 0
	s_sendmsg sendmsg(MSG_DEALLOC_VGPRS)
	s_endpgm
	.section	.rodata,"a",@progbits
	.p2align	6, 0x0
	.amdhsa_kernel _ZN2at6native12_GLOBAL__N_125multi_tensor_apply_kernelINS1_18TensorListMetadataILi1EEENS1_14UnaryOpFunctorIN3c107complexIfEELi1ELi1ELi0EEEJNS0_3LogIS8_EEEEEvT_T0_DpT1_
		.amdhsa_group_segment_fixed_size 0
		.amdhsa_private_segment_fixed_size 0
		.amdhsa_kernarg_size 3632
		.amdhsa_user_sgpr_count 15
		.amdhsa_user_sgpr_dispatch_ptr 0
		.amdhsa_user_sgpr_queue_ptr 0
		.amdhsa_user_sgpr_kernarg_segment_ptr 1
		.amdhsa_user_sgpr_dispatch_id 0
		.amdhsa_user_sgpr_private_segment_size 0
		.amdhsa_wavefront_size32 1
		.amdhsa_uses_dynamic_stack 0
		.amdhsa_enable_private_segment 0
		.amdhsa_system_sgpr_workgroup_id_x 1
		.amdhsa_system_sgpr_workgroup_id_y 0
		.amdhsa_system_sgpr_workgroup_id_z 0
		.amdhsa_system_sgpr_workgroup_info 0
		.amdhsa_system_vgpr_workitem_id 0
		.amdhsa_next_free_vgpr 40
		.amdhsa_next_free_sgpr 37
		.amdhsa_reserve_vcc 1
		.amdhsa_float_round_mode_32 0
		.amdhsa_float_round_mode_16_64 0
		.amdhsa_float_denorm_mode_32 3
		.amdhsa_float_denorm_mode_16_64 3
		.amdhsa_dx10_clamp 1
		.amdhsa_ieee_mode 1
		.amdhsa_fp16_overflow 0
		.amdhsa_workgroup_processor_mode 1
		.amdhsa_memory_ordered 1
		.amdhsa_forward_progress 0
		.amdhsa_shared_vgpr_count 0
		.amdhsa_exception_fp_ieee_invalid_op 0
		.amdhsa_exception_fp_denorm_src 0
		.amdhsa_exception_fp_ieee_div_zero 0
		.amdhsa_exception_fp_ieee_overflow 0
		.amdhsa_exception_fp_ieee_underflow 0
		.amdhsa_exception_fp_ieee_inexact 0
		.amdhsa_exception_int_div_zero 0
	.end_amdhsa_kernel
	.section	.text._ZN2at6native12_GLOBAL__N_125multi_tensor_apply_kernelINS1_18TensorListMetadataILi1EEENS1_14UnaryOpFunctorIN3c107complexIfEELi1ELi1ELi0EEEJNS0_3LogIS8_EEEEEvT_T0_DpT1_,"axG",@progbits,_ZN2at6native12_GLOBAL__N_125multi_tensor_apply_kernelINS1_18TensorListMetadataILi1EEENS1_14UnaryOpFunctorIN3c107complexIfEELi1ELi1ELi0EEEJNS0_3LogIS8_EEEEEvT_T0_DpT1_,comdat
.Lfunc_end175:
	.size	_ZN2at6native12_GLOBAL__N_125multi_tensor_apply_kernelINS1_18TensorListMetadataILi1EEENS1_14UnaryOpFunctorIN3c107complexIfEELi1ELi1ELi0EEEJNS0_3LogIS8_EEEEEvT_T0_DpT1_, .Lfunc_end175-_ZN2at6native12_GLOBAL__N_125multi_tensor_apply_kernelINS1_18TensorListMetadataILi1EEENS1_14UnaryOpFunctorIN3c107complexIfEELi1ELi1ELi0EEEJNS0_3LogIS8_EEEEEvT_T0_DpT1_
                                        ; -- End function
	.section	.AMDGPU.csdata,"",@progbits
; Kernel info:
; codeLenInByte = 47352
; NumSgprs: 39
; NumVgprs: 40
; ScratchSize: 0
; MemoryBound: 1
; FloatMode: 240
; IeeeMode: 1
; LDSByteSize: 0 bytes/workgroup (compile time only)
; SGPRBlocks: 4
; VGPRBlocks: 4
; NumSGPRsForWavesPerEU: 39
; NumVGPRsForWavesPerEU: 40
; Occupancy: 16
; WaveLimiterHint : 0
; COMPUTE_PGM_RSRC2:SCRATCH_EN: 0
; COMPUTE_PGM_RSRC2:USER_SGPR: 15
; COMPUTE_PGM_RSRC2:TRAP_HANDLER: 0
; COMPUTE_PGM_RSRC2:TGID_X_EN: 1
; COMPUTE_PGM_RSRC2:TGID_Y_EN: 0
; COMPUTE_PGM_RSRC2:TGID_Z_EN: 0
; COMPUTE_PGM_RSRC2:TIDIG_COMP_CNT: 0
	.section	.text._ZN2at6native12_GLOBAL__N_125multi_tensor_apply_kernelINS1_18TensorListMetadataILi1EEENS1_14UnaryOpFunctorIN3c104HalfELi1ELi1ELi0EEEJNS0_3LogIfEEEEEvT_T0_DpT1_,"axG",@progbits,_ZN2at6native12_GLOBAL__N_125multi_tensor_apply_kernelINS1_18TensorListMetadataILi1EEENS1_14UnaryOpFunctorIN3c104HalfELi1ELi1ELi0EEEJNS0_3LogIfEEEEEvT_T0_DpT1_,comdat
	.globl	_ZN2at6native12_GLOBAL__N_125multi_tensor_apply_kernelINS1_18TensorListMetadataILi1EEENS1_14UnaryOpFunctorIN3c104HalfELi1ELi1ELi0EEEJNS0_3LogIfEEEEEvT_T0_DpT1_ ; -- Begin function _ZN2at6native12_GLOBAL__N_125multi_tensor_apply_kernelINS1_18TensorListMetadataILi1EEENS1_14UnaryOpFunctorIN3c104HalfELi1ELi1ELi0EEEJNS0_3LogIfEEEEEvT_T0_DpT1_
	.p2align	8
	.type	_ZN2at6native12_GLOBAL__N_125multi_tensor_apply_kernelINS1_18TensorListMetadataILi1EEENS1_14UnaryOpFunctorIN3c104HalfELi1ELi1ELi0EEEJNS0_3LogIfEEEEEvT_T0_DpT1_,@function
_ZN2at6native12_GLOBAL__N_125multi_tensor_apply_kernelINS1_18TensorListMetadataILi1EEENS1_14UnaryOpFunctorIN3c104HalfELi1ELi1ELi0EEEJNS0_3LogIfEEEEEvT_T0_DpT1_: ; @_ZN2at6native12_GLOBAL__N_125multi_tensor_apply_kernelINS1_18TensorListMetadataILi1EEENS1_14UnaryOpFunctorIN3c104HalfELi1ELi1ELi0EEEJNS0_3LogIfEEEEEvT_T0_DpT1_
; %bb.0:
	v_mov_b32_e32 v1, s15
	s_add_u32 s2, s0, s15
	s_mul_hi_u32 s3, s15, 3
	s_mul_i32 s15, s15, 3
	s_addc_u32 s4, s1, 0
	global_load_u8 v1, v1, s[0:1] offset:1760
	s_add_u32 s2, s2, s15
	s_addc_u32 s3, s4, s3
	s_mov_b32 s13, 0
	s_load_b32 s2, s[2:3], 0x820
	s_waitcnt vmcnt(0)
	v_readfirstlane_b32 s5, v1
	s_delay_alu instid0(VALU_DEP_1)
	s_lshl_b32 s3, s5, 3
	s_clause 0x1
	s_load_b64 s[8:9], s[0:1], s3 offset:0x0
	s_load_b64 s[4:5], s[0:1], s3 offset:0x370
	s_waitcnt lgkmcnt(0)
	s_ashr_i32 s3, s2, 31
	s_delay_alu instid0(SALU_CYCLE_1)
	s_lshl_b64 s[10:11], s[2:3], 17
	s_lshl_b64 s[2:3], s[2:3], 16
	s_and_b32 s12, s8, 7
	s_sub_u32 s6, s4, s2
	s_subb_u32 s7, s5, s3
	s_and_b32 s2, s4, 3
	s_mov_b32 s3, s13
	s_delay_alu instid0(SALU_CYCLE_1) | instskip(NEXT) | instid1(SALU_CYCLE_1)
	s_or_b64 s[2:3], s[12:13], s[2:3]
	s_cmp_eq_u64 s[2:3], 0
	s_cbranch_scc1 .LBB176_21
; %bb.1:
	v_cmp_lt_i64_e64 s2, s[6:7], 1
	s_delay_alu instid0(VALU_DEP_1)
	s_and_b32 vcc_lo, exec_lo, s2
	s_cbranch_vccnz .LBB176_20
; %bb.2:
	s_load_b32 s2, s[0:1], 0xd3c
	v_cmp_gt_u64_e64 s3, 0x10000, s[6:7]
	v_lshlrev_b32_e32 v1, 1, v0
	s_waitcnt lgkmcnt(0)
	s_and_b32 s2, s2, 0xffff
	s_delay_alu instid0(VALU_DEP_2)
	s_and_b32 s3, s3, exec_lo
	v_add_co_u32 v5, s5, v0, s2
	s_cselect_b32 s13, s7, 0
	s_cselect_b32 s12, s6, 0x10000
	s_lshl_b32 s3, s2, 1
	s_lshl_b32 s16, s2, 2
	v_lshlrev_b32_e32 v3, 1, v5
	v_add_co_ci_u32_e64 v6, null, 0, 0, s5
	s_add_u32 s5, s8, s10
	v_add_co_u32 v9, s3, s3, v0
	s_mul_i32 s4, s2, 3
	s_addc_u32 s14, s9, s11
	v_add_co_ci_u32_e64 v10, null, 0, 0, s3
	v_add_co_u32 v1, s3, s5, v1
	v_add_co_u32 v7, s4, s4, v0
	v_add_co_ci_u32_e64 v2, null, s14, 0, s3
	v_add_co_u32 v3, s3, s5, v3
	v_add_co_ci_u32_e64 v8, null, 0, 0, s4
	v_add_co_ci_u32_e64 v4, null, s14, 0, s3
	s_lshl_b32 s17, s2, 3
	s_mul_i32 s18, s2, 6
	s_mov_b64 s[14:15], 0
	s_branch .LBB176_4
.LBB176_3:                              ;   in Loop: Header=BB176_4 Depth=1
	s_or_b32 exec_lo, exec_lo, s2
	s_add_u32 s14, s14, s16
	s_addc_u32 s15, s15, 0
	v_add_co_u32 v1, vcc_lo, v1, s17
	v_cmp_lt_i64_e64 s2, s[14:15], s[6:7]
	v_cmp_gt_u64_e64 s3, 0x10000, s[14:15]
	v_add_co_ci_u32_e32 v2, vcc_lo, 0, v2, vcc_lo
	v_add_co_u32 v3, vcc_lo, v3, s17
	v_add_co_ci_u32_e32 v4, vcc_lo, 0, v4, vcc_lo
	s_delay_alu instid0(VALU_DEP_4) | instskip(NEXT) | instid1(SALU_CYCLE_1)
	s_and_b32 s2, s2, s3
	s_and_b32 vcc_lo, exec_lo, s2
	s_cbranch_vccz .LBB176_20
.LBB176_4:                              ; =>This Inner Loop Header: Depth=1
	s_waitcnt vmcnt(0)
	v_add_co_u32 v11, s2, v0, s14
	s_delay_alu instid0(VALU_DEP_1) | instskip(SKIP_1) | instid1(VALU_DEP_2)
	v_add_co_ci_u32_e64 v12, null, 0, s15, s2
	v_mov_b32_e32 v13, 0
	v_cmp_gt_u64_e64 s4, s[12:13], v[11:12]
	s_delay_alu instid0(VALU_DEP_1)
	s_and_saveexec_b32 s2, s4
	s_cbranch_execz .LBB176_6
; %bb.5:                                ;   in Loop: Header=BB176_4 Depth=1
	global_load_u16 v13, v[1:2], off
.LBB176_6:                              ;   in Loop: Header=BB176_4 Depth=1
	s_or_b32 exec_lo, exec_lo, s2
	v_add_co_u32 v11, vcc_lo, v5, s14
	v_add_co_ci_u32_e32 v12, vcc_lo, s15, v6, vcc_lo
	s_delay_alu instid0(VALU_DEP_1) | instskip(SKIP_1) | instid1(VALU_DEP_2)
	v_cmp_gt_u64_e64 s3, s[12:13], v[11:12]
	v_mov_b32_e32 v12, 0
	s_and_saveexec_b32 s2, s3
	s_cbranch_execz .LBB176_8
; %bb.7:                                ;   in Loop: Header=BB176_4 Depth=1
	global_load_u16 v12, v[3:4], off
.LBB176_8:                              ;   in Loop: Header=BB176_4 Depth=1
	s_or_b32 exec_lo, exec_lo, s2
	v_add_co_u32 v14, vcc_lo, v9, s14
	v_add_co_ci_u32_e32 v15, vcc_lo, s15, v10, vcc_lo
	v_mov_b32_e32 v11, 0
	s_delay_alu instid0(VALU_DEP_2) | instskip(SKIP_1) | instid1(VALU_DEP_2)
	v_cmp_gt_u64_e64 s2, s[12:13], v[14:15]
	v_mov_b32_e32 v14, 0
	s_and_saveexec_b32 s5, s2
	s_cbranch_execz .LBB176_10
; %bb.9:                                ;   in Loop: Header=BB176_4 Depth=1
	v_add_co_u32 v14, vcc_lo, v1, s16
	v_add_co_ci_u32_e32 v15, vcc_lo, 0, v2, vcc_lo
	global_load_u16 v14, v[14:15], off
.LBB176_10:                             ;   in Loop: Header=BB176_4 Depth=1
	s_or_b32 exec_lo, exec_lo, s5
	v_add_co_u32 v15, vcc_lo, v7, s14
	v_add_co_ci_u32_e32 v16, vcc_lo, s15, v8, vcc_lo
	s_delay_alu instid0(VALU_DEP_1)
	v_cmp_gt_u64_e32 vcc_lo, s[12:13], v[15:16]
	s_and_saveexec_b32 s19, vcc_lo
	s_cbranch_execnz .LBB176_15
; %bb.11:                               ;   in Loop: Header=BB176_4 Depth=1
	s_or_b32 exec_lo, exec_lo, s19
	s_and_saveexec_b32 s5, s4
	s_cbranch_execnz .LBB176_16
.LBB176_12:                             ;   in Loop: Header=BB176_4 Depth=1
	s_or_b32 exec_lo, exec_lo, s5
	s_and_saveexec_b32 s4, s3
	s_cbranch_execnz .LBB176_17
.LBB176_13:                             ;   in Loop: Header=BB176_4 Depth=1
	s_or_b32 exec_lo, exec_lo, s4
	s_and_saveexec_b32 s3, s2
	s_cbranch_execnz .LBB176_18
.LBB176_14:                             ;   in Loop: Header=BB176_4 Depth=1
	s_or_b32 exec_lo, exec_lo, s3
	s_and_saveexec_b32 s2, vcc_lo
	s_cbranch_execz .LBB176_3
	s_branch .LBB176_19
.LBB176_15:                             ;   in Loop: Header=BB176_4 Depth=1
	v_add_co_u32 v15, s5, v1, s18
	s_delay_alu instid0(VALU_DEP_1)
	v_add_co_ci_u32_e64 v16, s5, 0, v2, s5
	global_load_u16 v11, v[15:16], off
	s_or_b32 exec_lo, exec_lo, s19
	s_and_saveexec_b32 s5, s4
	s_cbranch_execz .LBB176_12
.LBB176_16:                             ;   in Loop: Header=BB176_4 Depth=1
	s_waitcnt vmcnt(0)
	v_cvt_f32_f16_e32 v13, v13
	s_delay_alu instid0(VALU_DEP_1) | instskip(SKIP_3) | instid1(VALU_DEP_2)
	v_log_f32_e32 v13, v13
	s_waitcnt_depctr 0xfff
	v_mul_f32_e32 v15, 0x3f317217, v13
	v_cmp_gt_f32_e64 s4, 0x7f800000, |v13|
	v_fma_f32 v16, 0x3f317217, v13, -v15
	s_delay_alu instid0(VALU_DEP_1) | instskip(NEXT) | instid1(VALU_DEP_1)
	v_fmac_f32_e32 v16, 0x3377d1cf, v13
	v_add_f32_e32 v15, v15, v16
	s_delay_alu instid0(VALU_DEP_1) | instskip(NEXT) | instid1(VALU_DEP_1)
	v_cndmask_b32_e64 v13, v13, v15, s4
	v_cvt_f16_f32_e32 v13, v13
	global_store_b16 v[1:2], v13, off
	s_or_b32 exec_lo, exec_lo, s5
	s_and_saveexec_b32 s4, s3
	s_cbranch_execz .LBB176_13
.LBB176_17:                             ;   in Loop: Header=BB176_4 Depth=1
	s_waitcnt vmcnt(0)
	v_cvt_f32_f16_e32 v12, v12
	s_delay_alu instid0(VALU_DEP_1) | instskip(SKIP_3) | instid1(VALU_DEP_2)
	v_log_f32_e32 v12, v12
	s_waitcnt_depctr 0xfff
	v_mul_f32_e32 v13, 0x3f317217, v12
	v_cmp_gt_f32_e64 s3, 0x7f800000, |v12|
	v_fma_f32 v15, 0x3f317217, v12, -v13
	s_delay_alu instid0(VALU_DEP_1) | instskip(NEXT) | instid1(VALU_DEP_1)
	v_fmac_f32_e32 v15, 0x3377d1cf, v12
	v_add_f32_e32 v13, v13, v15
	s_delay_alu instid0(VALU_DEP_1) | instskip(NEXT) | instid1(VALU_DEP_1)
	v_cndmask_b32_e64 v12, v12, v13, s3
	v_cvt_f16_f32_e32 v12, v12
	global_store_b16 v[3:4], v12, off
	s_or_b32 exec_lo, exec_lo, s4
	s_and_saveexec_b32 s3, s2
	s_cbranch_execz .LBB176_14
.LBB176_18:                             ;   in Loop: Header=BB176_4 Depth=1
	s_waitcnt vmcnt(0)
	v_cvt_f32_f16_e32 v12, v14
	s_delay_alu instid0(VALU_DEP_1) | instskip(SKIP_3) | instid1(VALU_DEP_2)
	v_log_f32_e32 v12, v12
	s_waitcnt_depctr 0xfff
	v_mul_f32_e32 v13, 0x3f317217, v12
	v_cmp_gt_f32_e64 s2, 0x7f800000, |v12|
	v_fma_f32 v14, 0x3f317217, v12, -v13
	s_delay_alu instid0(VALU_DEP_1) | instskip(NEXT) | instid1(VALU_DEP_1)
	v_fmac_f32_e32 v14, 0x3377d1cf, v12
	v_add_f32_e32 v13, v13, v14
	s_delay_alu instid0(VALU_DEP_1) | instskip(NEXT) | instid1(VALU_DEP_1)
	v_cndmask_b32_e64 v12, v12, v13, s2
	v_cvt_f16_f32_e32 v14, v12
	v_add_co_u32 v12, s2, v1, s16
	s_delay_alu instid0(VALU_DEP_1)
	v_add_co_ci_u32_e64 v13, s2, 0, v2, s2
	global_store_b16 v[12:13], v14, off
	s_or_b32 exec_lo, exec_lo, s3
	s_and_saveexec_b32 s2, vcc_lo
	s_cbranch_execz .LBB176_3
.LBB176_19:                             ;   in Loop: Header=BB176_4 Depth=1
	s_waitcnt vmcnt(0)
	v_cvt_f32_f16_e32 v11, v11
	s_delay_alu instid0(VALU_DEP_1) | instskip(SKIP_3) | instid1(VALU_DEP_2)
	v_log_f32_e32 v11, v11
	s_waitcnt_depctr 0xfff
	v_mul_f32_e32 v12, 0x3f317217, v11
	v_cmp_gt_f32_e64 vcc_lo, 0x7f800000, |v11|
	v_fma_f32 v13, 0x3f317217, v11, -v12
	s_delay_alu instid0(VALU_DEP_1) | instskip(NEXT) | instid1(VALU_DEP_1)
	v_fmac_f32_e32 v13, 0x3377d1cf, v11
	v_add_f32_e32 v12, v12, v13
	s_delay_alu instid0(VALU_DEP_1) | instskip(NEXT) | instid1(VALU_DEP_1)
	v_cndmask_b32_e32 v11, v11, v12, vcc_lo
	v_cvt_f16_f32_e32 v13, v11
	v_add_co_u32 v11, vcc_lo, v1, s18
	v_add_co_ci_u32_e32 v12, vcc_lo, 0, v2, vcc_lo
	global_store_b16 v[11:12], v13, off
	s_branch .LBB176_3
.LBB176_20:
	s_cbranch_execz .LBB176_22
	s_branch .LBB176_25
.LBB176_21:
.LBB176_22:
	v_dual_mov_b32 v2, 0 :: v_dual_lshlrev_b32 v1, 2, v0
	s_mov_b32 s2, 0
	s_mov_b32 s3, exec_lo
	s_delay_alu instid0(VALU_DEP_1)
	v_cmpx_gt_i64_e64 s[6:7], v[1:2]
	s_cbranch_execz .LBB176_25
; %bb.23:
	s_load_b32 s0, s[0:1], 0xd3c
	v_lshlrev_b32_e32 v1, 3, v0
	s_waitcnt lgkmcnt(0)
	s_and_b32 s0, s0, 0xffff
	s_delay_alu instid0(SALU_CYCLE_1) | instskip(SKIP_3) | instid1(VALU_DEP_1)
	s_lshl_b32 s3, s0, 2
	s_add_u32 s1, s8, s10
	s_addc_u32 s4, s9, s11
	v_add_co_u32 v3, s1, s1, v1
	v_add_co_ci_u32_e64 v4, null, s4, 0, s1
	v_add_lshl_u32 v1, v0, s0, 2
	s_delay_alu instid0(VALU_DEP_3) | instskip(NEXT) | instid1(VALU_DEP_3)
	v_add_co_u32 v3, vcc_lo, v3, 4
	v_add_co_ci_u32_e32 v4, vcc_lo, 0, v4, vcc_lo
	s_lshl_b32 s4, s0, 3
.LBB176_24:                             ; =>This Inner Loop Header: Depth=1
	global_load_b64 v[5:6], v[3:4], off offset:-4
	v_cmp_lt_u64_e64 s0, 0xffff, v[1:2]
	s_waitcnt vmcnt(0)
	v_cvt_f32_f16_e32 v0, v5
	v_lshrrev_b32_e32 v7, 16, v6
	v_lshrrev_b32_e32 v5, 16, v5
	v_cvt_f32_f16_e32 v6, v6
	s_delay_alu instid0(VALU_DEP_4) | instskip(NEXT) | instid1(VALU_DEP_3)
	v_log_f32_e32 v0, v0
	v_cvt_f32_f16_e32 v7, v7
	s_delay_alu instid0(VALU_DEP_3) | instskip(NEXT) | instid1(VALU_DEP_3)
	v_cvt_f32_f16_e32 v5, v5
	v_log_f32_e32 v6, v6
	s_delay_alu instid0(VALU_DEP_2) | instskip(NEXT) | instid1(VALU_DEP_1)
	v_log_f32_e32 v7, v7
	v_log_f32_e32 v5, v5
	v_mul_f32_e32 v8, 0x3f317217, v0
	v_cmp_gt_f32_e64 vcc_lo, 0x7f800000, |v0|
	s_delay_alu instid0(TRANS32_DEP_3) | instskip(NEXT) | instid1(VALU_DEP_3)
	v_mul_f32_e32 v9, 0x3f317217, v6
	v_fma_f32 v10, 0x3f317217, v0, -v8
	s_waitcnt_depctr 0xfff
	v_dual_mul_f32 v11, 0x3f317217, v7 :: v_dual_mul_f32 v12, 0x3f317217, v5
	v_fma_f32 v13, 0x3f317217, v6, -v9
	v_fmac_f32_e32 v10, 0x3377d1cf, v0
	s_delay_alu instid0(VALU_DEP_3) | instskip(NEXT) | instid1(VALU_DEP_4)
	v_fma_f32 v14, 0x3f317217, v7, -v11
	v_fma_f32 v15, 0x3f317217, v5, -v12
	s_delay_alu instid0(VALU_DEP_4) | instskip(NEXT) | instid1(VALU_DEP_4)
	v_fmac_f32_e32 v13, 0x3377d1cf, v6
	v_add_f32_e32 v8, v8, v10
	s_delay_alu instid0(VALU_DEP_3) | instskip(NEXT) | instid1(VALU_DEP_1)
	v_dual_fmac_f32 v14, 0x3377d1cf, v7 :: v_dual_fmac_f32 v15, 0x3377d1cf, v5
	v_dual_add_f32 v9, v9, v13 :: v_dual_add_f32 v10, v12, v15
	s_delay_alu instid0(VALU_DEP_3) | instskip(SKIP_1) | instid1(VALU_DEP_4)
	v_cndmask_b32_e32 v0, v0, v8, vcc_lo
	v_cmp_gt_f32_e64 vcc_lo, 0x7f800000, |v6|
	v_add_f32_e32 v8, v11, v14
	s_delay_alu instid0(VALU_DEP_4) | instskip(SKIP_1) | instid1(VALU_DEP_2)
	v_cndmask_b32_e32 v6, v6, v9, vcc_lo
	v_cmp_gt_f32_e64 vcc_lo, 0x7f800000, |v7|
	v_cvt_f16_f32_e32 v6, v6
	s_delay_alu instid0(VALU_DEP_4) | instskip(SKIP_1) | instid1(VALU_DEP_2)
	v_cndmask_b32_e32 v7, v7, v8, vcc_lo
	v_cmp_gt_f32_e64 vcc_lo, 0x7f800000, |v5|
	v_cvt_f16_f32_e32 v7, v7
	v_cndmask_b32_e32 v5, v5, v10, vcc_lo
	v_cvt_f16_f32_e32 v0, v0
	v_cmp_le_i64_e32 vcc_lo, s[6:7], v[1:2]
	v_add_co_u32 v1, s1, v1, s3
	s_delay_alu instid0(VALU_DEP_4) | instskip(SKIP_3) | instid1(VALU_DEP_3)
	v_cvt_f16_f32_e32 v5, v5
	v_pack_b32_f16 v6, v6, v7
	v_add_co_ci_u32_e64 v2, s1, 0, v2, s1
	s_or_b32 s0, vcc_lo, s0
	v_pack_b32_f16 v5, v0, v5
	s_and_b32 s0, exec_lo, s0
	s_delay_alu instid0(SALU_CYCLE_1)
	s_or_b32 s2, s0, s2
	global_store_b64 v[3:4], v[5:6], off offset:-4
	v_add_co_u32 v3, vcc_lo, v3, s4
	v_add_co_ci_u32_e32 v4, vcc_lo, 0, v4, vcc_lo
	s_and_not1_b32 exec_lo, exec_lo, s2
	s_cbranch_execnz .LBB176_24
.LBB176_25:
	s_nop 0
	s_sendmsg sendmsg(MSG_DEALLOC_VGPRS)
	s_endpgm
	.section	.rodata,"a",@progbits
	.p2align	6, 0x0
	.amdhsa_kernel _ZN2at6native12_GLOBAL__N_125multi_tensor_apply_kernelINS1_18TensorListMetadataILi1EEENS1_14UnaryOpFunctorIN3c104HalfELi1ELi1ELi0EEEJNS0_3LogIfEEEEEvT_T0_DpT1_
		.amdhsa_group_segment_fixed_size 0
		.amdhsa_private_segment_fixed_size 0
		.amdhsa_kernarg_size 3632
		.amdhsa_user_sgpr_count 15
		.amdhsa_user_sgpr_dispatch_ptr 0
		.amdhsa_user_sgpr_queue_ptr 0
		.amdhsa_user_sgpr_kernarg_segment_ptr 1
		.amdhsa_user_sgpr_dispatch_id 0
		.amdhsa_user_sgpr_private_segment_size 0
		.amdhsa_wavefront_size32 1
		.amdhsa_uses_dynamic_stack 0
		.amdhsa_enable_private_segment 0
		.amdhsa_system_sgpr_workgroup_id_x 1
		.amdhsa_system_sgpr_workgroup_id_y 0
		.amdhsa_system_sgpr_workgroup_id_z 0
		.amdhsa_system_sgpr_workgroup_info 0
		.amdhsa_system_vgpr_workitem_id 0
		.amdhsa_next_free_vgpr 17
		.amdhsa_next_free_sgpr 20
		.amdhsa_reserve_vcc 1
		.amdhsa_float_round_mode_32 0
		.amdhsa_float_round_mode_16_64 0
		.amdhsa_float_denorm_mode_32 3
		.amdhsa_float_denorm_mode_16_64 3
		.amdhsa_dx10_clamp 1
		.amdhsa_ieee_mode 1
		.amdhsa_fp16_overflow 0
		.amdhsa_workgroup_processor_mode 1
		.amdhsa_memory_ordered 1
		.amdhsa_forward_progress 0
		.amdhsa_shared_vgpr_count 0
		.amdhsa_exception_fp_ieee_invalid_op 0
		.amdhsa_exception_fp_denorm_src 0
		.amdhsa_exception_fp_ieee_div_zero 0
		.amdhsa_exception_fp_ieee_overflow 0
		.amdhsa_exception_fp_ieee_underflow 0
		.amdhsa_exception_fp_ieee_inexact 0
		.amdhsa_exception_int_div_zero 0
	.end_amdhsa_kernel
	.section	.text._ZN2at6native12_GLOBAL__N_125multi_tensor_apply_kernelINS1_18TensorListMetadataILi1EEENS1_14UnaryOpFunctorIN3c104HalfELi1ELi1ELi0EEEJNS0_3LogIfEEEEEvT_T0_DpT1_,"axG",@progbits,_ZN2at6native12_GLOBAL__N_125multi_tensor_apply_kernelINS1_18TensorListMetadataILi1EEENS1_14UnaryOpFunctorIN3c104HalfELi1ELi1ELi0EEEJNS0_3LogIfEEEEEvT_T0_DpT1_,comdat
.Lfunc_end176:
	.size	_ZN2at6native12_GLOBAL__N_125multi_tensor_apply_kernelINS1_18TensorListMetadataILi1EEENS1_14UnaryOpFunctorIN3c104HalfELi1ELi1ELi0EEEJNS0_3LogIfEEEEEvT_T0_DpT1_, .Lfunc_end176-_ZN2at6native12_GLOBAL__N_125multi_tensor_apply_kernelINS1_18TensorListMetadataILi1EEENS1_14UnaryOpFunctorIN3c104HalfELi1ELi1ELi0EEEJNS0_3LogIfEEEEEvT_T0_DpT1_
                                        ; -- End function
	.section	.AMDGPU.csdata,"",@progbits
; Kernel info:
; codeLenInByte = 1664
; NumSgprs: 22
; NumVgprs: 17
; ScratchSize: 0
; MemoryBound: 0
; FloatMode: 240
; IeeeMode: 1
; LDSByteSize: 0 bytes/workgroup (compile time only)
; SGPRBlocks: 2
; VGPRBlocks: 2
; NumSGPRsForWavesPerEU: 22
; NumVGPRsForWavesPerEU: 17
; Occupancy: 16
; WaveLimiterHint : 0
; COMPUTE_PGM_RSRC2:SCRATCH_EN: 0
; COMPUTE_PGM_RSRC2:USER_SGPR: 15
; COMPUTE_PGM_RSRC2:TRAP_HANDLER: 0
; COMPUTE_PGM_RSRC2:TGID_X_EN: 1
; COMPUTE_PGM_RSRC2:TGID_Y_EN: 0
; COMPUTE_PGM_RSRC2:TGID_Z_EN: 0
; COMPUTE_PGM_RSRC2:TIDIG_COMP_CNT: 0
	.section	.text._ZN2at6native12_GLOBAL__N_125multi_tensor_apply_kernelINS1_18TensorListMetadataILi1EEENS1_14UnaryOpFunctorIN3c108BFloat16ELi1ELi1ELi0EEEJNS0_3LogIfEEEEEvT_T0_DpT1_,"axG",@progbits,_ZN2at6native12_GLOBAL__N_125multi_tensor_apply_kernelINS1_18TensorListMetadataILi1EEENS1_14UnaryOpFunctorIN3c108BFloat16ELi1ELi1ELi0EEEJNS0_3LogIfEEEEEvT_T0_DpT1_,comdat
	.globl	_ZN2at6native12_GLOBAL__N_125multi_tensor_apply_kernelINS1_18TensorListMetadataILi1EEENS1_14UnaryOpFunctorIN3c108BFloat16ELi1ELi1ELi0EEEJNS0_3LogIfEEEEEvT_T0_DpT1_ ; -- Begin function _ZN2at6native12_GLOBAL__N_125multi_tensor_apply_kernelINS1_18TensorListMetadataILi1EEENS1_14UnaryOpFunctorIN3c108BFloat16ELi1ELi1ELi0EEEJNS0_3LogIfEEEEEvT_T0_DpT1_
	.p2align	8
	.type	_ZN2at6native12_GLOBAL__N_125multi_tensor_apply_kernelINS1_18TensorListMetadataILi1EEENS1_14UnaryOpFunctorIN3c108BFloat16ELi1ELi1ELi0EEEJNS0_3LogIfEEEEEvT_T0_DpT1_,@function
_ZN2at6native12_GLOBAL__N_125multi_tensor_apply_kernelINS1_18TensorListMetadataILi1EEENS1_14UnaryOpFunctorIN3c108BFloat16ELi1ELi1ELi0EEEJNS0_3LogIfEEEEEvT_T0_DpT1_: ; @_ZN2at6native12_GLOBAL__N_125multi_tensor_apply_kernelINS1_18TensorListMetadataILi1EEENS1_14UnaryOpFunctorIN3c108BFloat16ELi1ELi1ELi0EEEJNS0_3LogIfEEEEEvT_T0_DpT1_
; %bb.0:
	v_mov_b32_e32 v1, s15
	s_add_u32 s2, s0, s15
	s_mul_hi_u32 s3, s15, 3
	s_mul_i32 s15, s15, 3
	s_addc_u32 s4, s1, 0
	global_load_u8 v1, v1, s[0:1] offset:1760
	s_add_u32 s2, s2, s15
	s_addc_u32 s3, s4, s3
	s_mov_b32 s13, 0
	s_load_b32 s2, s[2:3], 0x820
	s_waitcnt vmcnt(0)
	v_readfirstlane_b32 s5, v1
	s_delay_alu instid0(VALU_DEP_1)
	s_lshl_b32 s3, s5, 3
	s_clause 0x1
	s_load_b64 s[8:9], s[0:1], s3 offset:0x0
	s_load_b64 s[4:5], s[0:1], s3 offset:0x370
	s_waitcnt lgkmcnt(0)
	s_ashr_i32 s3, s2, 31
	s_delay_alu instid0(SALU_CYCLE_1)
	s_lshl_b64 s[10:11], s[2:3], 17
	s_lshl_b64 s[2:3], s[2:3], 16
	s_and_b32 s12, s8, 7
	s_sub_u32 s6, s4, s2
	s_subb_u32 s7, s5, s3
	s_and_b32 s2, s4, 3
	s_mov_b32 s3, s13
	s_delay_alu instid0(SALU_CYCLE_1) | instskip(NEXT) | instid1(SALU_CYCLE_1)
	s_or_b64 s[2:3], s[12:13], s[2:3]
	s_cmp_eq_u64 s[2:3], 0
	s_cbranch_scc1 .LBB177_21
; %bb.1:
	v_cmp_lt_i64_e64 s2, s[6:7], 1
	s_delay_alu instid0(VALU_DEP_1)
	s_and_b32 vcc_lo, exec_lo, s2
	s_cbranch_vccnz .LBB177_20
; %bb.2:
	s_load_b32 s2, s[0:1], 0xd3c
	v_cmp_gt_u64_e64 s3, 0x10000, s[6:7]
	v_lshlrev_b32_e32 v1, 1, v0
	s_waitcnt lgkmcnt(0)
	s_and_b32 s2, s2, 0xffff
	s_delay_alu instid0(VALU_DEP_2)
	s_and_b32 s3, s3, exec_lo
	v_add_co_u32 v5, s5, v0, s2
	s_cselect_b32 s13, s7, 0
	s_cselect_b32 s12, s6, 0x10000
	s_lshl_b32 s3, s2, 1
	s_lshl_b32 s16, s2, 2
	v_lshlrev_b32_e32 v3, 1, v5
	v_add_co_ci_u32_e64 v6, null, 0, 0, s5
	s_add_u32 s5, s8, s10
	v_add_co_u32 v9, s3, s3, v0
	s_mul_i32 s4, s2, 3
	s_addc_u32 s14, s9, s11
	v_add_co_ci_u32_e64 v10, null, 0, 0, s3
	v_add_co_u32 v1, s3, s5, v1
	v_add_co_u32 v7, s4, s4, v0
	v_add_co_ci_u32_e64 v2, null, s14, 0, s3
	v_add_co_u32 v3, s3, s5, v3
	v_add_co_ci_u32_e64 v8, null, 0, 0, s4
	v_add_co_ci_u32_e64 v4, null, s14, 0, s3
	s_lshl_b32 s17, s2, 3
	s_mul_i32 s18, s2, 6
	s_mov_b64 s[14:15], 0
	s_branch .LBB177_4
.LBB177_3:                              ;   in Loop: Header=BB177_4 Depth=1
	s_or_b32 exec_lo, exec_lo, s2
	s_add_u32 s14, s14, s16
	s_addc_u32 s15, s15, 0
	v_add_co_u32 v1, vcc_lo, v1, s17
	v_cmp_lt_i64_e64 s2, s[14:15], s[6:7]
	v_cmp_gt_u64_e64 s3, 0x10000, s[14:15]
	v_add_co_ci_u32_e32 v2, vcc_lo, 0, v2, vcc_lo
	v_add_co_u32 v3, vcc_lo, v3, s17
	v_add_co_ci_u32_e32 v4, vcc_lo, 0, v4, vcc_lo
	s_delay_alu instid0(VALU_DEP_4) | instskip(NEXT) | instid1(SALU_CYCLE_1)
	s_and_b32 s2, s2, s3
	s_and_b32 vcc_lo, exec_lo, s2
	s_cbranch_vccz .LBB177_20
.LBB177_4:                              ; =>This Inner Loop Header: Depth=1
	s_waitcnt vmcnt(0)
	v_add_co_u32 v11, s2, v0, s14
	s_delay_alu instid0(VALU_DEP_1) | instskip(SKIP_1) | instid1(VALU_DEP_2)
	v_add_co_ci_u32_e64 v12, null, 0, s15, s2
	v_mov_b32_e32 v14, 0
	v_cmp_gt_u64_e64 s4, s[12:13], v[11:12]
	s_delay_alu instid0(VALU_DEP_1)
	s_and_saveexec_b32 s2, s4
	s_cbranch_execz .LBB177_6
; %bb.5:                                ;   in Loop: Header=BB177_4 Depth=1
	global_load_u16 v14, v[1:2], off
.LBB177_6:                              ;   in Loop: Header=BB177_4 Depth=1
	s_or_b32 exec_lo, exec_lo, s2
	v_add_co_u32 v11, vcc_lo, v5, s14
	v_add_co_ci_u32_e32 v12, vcc_lo, s15, v6, vcc_lo
	v_mov_b32_e32 v13, 0
	s_delay_alu instid0(VALU_DEP_2) | instskip(NEXT) | instid1(VALU_DEP_1)
	v_cmp_gt_u64_e64 s3, s[12:13], v[11:12]
	s_and_saveexec_b32 s2, s3
	s_cbranch_execz .LBB177_8
; %bb.7:                                ;   in Loop: Header=BB177_4 Depth=1
	global_load_u16 v13, v[3:4], off
.LBB177_8:                              ;   in Loop: Header=BB177_4 Depth=1
	s_or_b32 exec_lo, exec_lo, s2
	v_add_co_u32 v11, vcc_lo, v9, s14
	v_add_co_ci_u32_e32 v12, vcc_lo, s15, v10, vcc_lo
	s_delay_alu instid0(VALU_DEP_1) | instskip(SKIP_1) | instid1(VALU_DEP_2)
	v_cmp_gt_u64_e64 s2, s[12:13], v[11:12]
	v_dual_mov_b32 v11, 0 :: v_dual_mov_b32 v12, 0
	s_and_saveexec_b32 s5, s2
	s_cbranch_execz .LBB177_10
; %bb.9:                                ;   in Loop: Header=BB177_4 Depth=1
	v_add_co_u32 v15, vcc_lo, v1, s16
	v_add_co_ci_u32_e32 v16, vcc_lo, 0, v2, vcc_lo
	global_load_u16 v12, v[15:16], off
.LBB177_10:                             ;   in Loop: Header=BB177_4 Depth=1
	s_or_b32 exec_lo, exec_lo, s5
	v_add_co_u32 v15, vcc_lo, v7, s14
	v_add_co_ci_u32_e32 v16, vcc_lo, s15, v8, vcc_lo
	s_delay_alu instid0(VALU_DEP_1)
	v_cmp_gt_u64_e32 vcc_lo, s[12:13], v[15:16]
	s_and_saveexec_b32 s19, vcc_lo
	s_cbranch_execnz .LBB177_15
; %bb.11:                               ;   in Loop: Header=BB177_4 Depth=1
	s_or_b32 exec_lo, exec_lo, s19
	s_and_saveexec_b32 s19, s4
	s_cbranch_execnz .LBB177_16
.LBB177_12:                             ;   in Loop: Header=BB177_4 Depth=1
	s_or_b32 exec_lo, exec_lo, s19
	s_and_saveexec_b32 s5, s3
	s_cbranch_execnz .LBB177_17
.LBB177_13:                             ;   in Loop: Header=BB177_4 Depth=1
	s_or_b32 exec_lo, exec_lo, s5
	s_and_saveexec_b32 s3, s2
	s_cbranch_execnz .LBB177_18
.LBB177_14:                             ;   in Loop: Header=BB177_4 Depth=1
	s_or_b32 exec_lo, exec_lo, s3
	s_and_saveexec_b32 s2, vcc_lo
	s_cbranch_execz .LBB177_3
	s_branch .LBB177_19
.LBB177_15:                             ;   in Loop: Header=BB177_4 Depth=1
	v_add_co_u32 v15, s5, v1, s18
	s_delay_alu instid0(VALU_DEP_1)
	v_add_co_ci_u32_e64 v16, s5, 0, v2, s5
	global_load_u16 v11, v[15:16], off
	s_or_b32 exec_lo, exec_lo, s19
	s_and_saveexec_b32 s19, s4
	s_cbranch_execz .LBB177_12
.LBB177_16:                             ;   in Loop: Header=BB177_4 Depth=1
	s_waitcnt vmcnt(0)
	v_lshlrev_b32_e32 v14, 16, v14
	s_delay_alu instid0(VALU_DEP_1) | instskip(NEXT) | instid1(VALU_DEP_1)
	v_cmp_gt_f32_e64 s4, 0x800000, v14
	v_cndmask_b32_e64 v15, 1.0, 0x4f800000, s4
	s_delay_alu instid0(VALU_DEP_1) | instskip(NEXT) | instid1(VALU_DEP_1)
	v_mul_f32_e32 v14, v14, v15
	v_log_f32_e32 v14, v14
	s_waitcnt_depctr 0xfff
	v_mul_f32_e32 v15, 0x3f317217, v14
	v_cmp_gt_f32_e64 s5, 0x7f800000, |v14|
	s_delay_alu instid0(VALU_DEP_2) | instskip(NEXT) | instid1(VALU_DEP_1)
	v_fma_f32 v16, 0x3f317217, v14, -v15
	v_fmac_f32_e32 v16, 0x3377d1cf, v14
	s_delay_alu instid0(VALU_DEP_1) | instskip(NEXT) | instid1(VALU_DEP_1)
	v_add_f32_e32 v15, v15, v16
	v_cndmask_b32_e64 v14, v14, v15, s5
	v_cndmask_b32_e64 v15, 0, 0x41b17218, s4
	s_delay_alu instid0(VALU_DEP_1) | instskip(NEXT) | instid1(VALU_DEP_1)
	v_sub_f32_e32 v14, v14, v15
	v_bfe_u32 v15, v14, 16, 1
	v_cmp_o_f32_e64 s4, v14, v14
	s_delay_alu instid0(VALU_DEP_2) | instskip(NEXT) | instid1(VALU_DEP_1)
	v_add3_u32 v15, v14, v15, 0x7fff
	v_lshrrev_b32_e32 v15, 16, v15
	s_delay_alu instid0(VALU_DEP_1)
	v_cndmask_b32_e64 v14, 0x7fc0, v15, s4
	global_store_b16 v[1:2], v14, off
	s_or_b32 exec_lo, exec_lo, s19
	s_and_saveexec_b32 s5, s3
	s_cbranch_execz .LBB177_13
.LBB177_17:                             ;   in Loop: Header=BB177_4 Depth=1
	s_waitcnt vmcnt(0)
	v_lshlrev_b32_e32 v13, 16, v13
	s_delay_alu instid0(VALU_DEP_1) | instskip(NEXT) | instid1(VALU_DEP_1)
	v_cmp_gt_f32_e64 s3, 0x800000, v13
	v_cndmask_b32_e64 v14, 1.0, 0x4f800000, s3
	s_delay_alu instid0(VALU_DEP_1) | instskip(NEXT) | instid1(VALU_DEP_1)
	v_mul_f32_e32 v13, v13, v14
	v_log_f32_e32 v13, v13
	s_waitcnt_depctr 0xfff
	v_mul_f32_e32 v14, 0x3f317217, v13
	v_cmp_gt_f32_e64 s4, 0x7f800000, |v13|
	s_delay_alu instid0(VALU_DEP_2) | instskip(NEXT) | instid1(VALU_DEP_1)
	v_fma_f32 v15, 0x3f317217, v13, -v14
	v_fmac_f32_e32 v15, 0x3377d1cf, v13
	s_delay_alu instid0(VALU_DEP_1) | instskip(NEXT) | instid1(VALU_DEP_1)
	v_add_f32_e32 v14, v14, v15
	v_cndmask_b32_e64 v13, v13, v14, s4
	v_cndmask_b32_e64 v14, 0, 0x41b17218, s3
	s_delay_alu instid0(VALU_DEP_1) | instskip(NEXT) | instid1(VALU_DEP_1)
	v_sub_f32_e32 v13, v13, v14
	v_bfe_u32 v14, v13, 16, 1
	v_cmp_o_f32_e64 s3, v13, v13
	s_delay_alu instid0(VALU_DEP_2) | instskip(NEXT) | instid1(VALU_DEP_1)
	v_add3_u32 v14, v13, v14, 0x7fff
	v_lshrrev_b32_e32 v14, 16, v14
	s_delay_alu instid0(VALU_DEP_1)
	v_cndmask_b32_e64 v13, 0x7fc0, v14, s3
	global_store_b16 v[3:4], v13, off
	s_or_b32 exec_lo, exec_lo, s5
	s_and_saveexec_b32 s3, s2
	s_cbranch_execz .LBB177_14
.LBB177_18:                             ;   in Loop: Header=BB177_4 Depth=1
	s_waitcnt vmcnt(0)
	v_lshlrev_b32_e32 v12, 16, v12
	s_delay_alu instid0(VALU_DEP_1) | instskip(NEXT) | instid1(VALU_DEP_1)
	v_cmp_gt_f32_e64 s2, 0x800000, v12
	v_cndmask_b32_e64 v13, 1.0, 0x4f800000, s2
	s_delay_alu instid0(VALU_DEP_1) | instskip(NEXT) | instid1(VALU_DEP_1)
	v_mul_f32_e32 v12, v12, v13
	v_log_f32_e32 v12, v12
	s_waitcnt_depctr 0xfff
	v_mul_f32_e32 v13, 0x3f317217, v12
	s_delay_alu instid0(VALU_DEP_1) | instskip(NEXT) | instid1(VALU_DEP_1)
	v_fma_f32 v14, 0x3f317217, v12, -v13
	v_fmac_f32_e32 v14, 0x3377d1cf, v12
	s_delay_alu instid0(VALU_DEP_1) | instskip(SKIP_2) | instid1(VALU_DEP_1)
	v_add_f32_e32 v13, v13, v14
	v_cndmask_b32_e64 v14, 0, 0x41b17218, s2
	v_cmp_gt_f32_e64 s2, 0x7f800000, |v12|
	v_cndmask_b32_e64 v12, v12, v13, s2
	s_delay_alu instid0(VALU_DEP_1) | instskip(NEXT) | instid1(VALU_DEP_1)
	v_sub_f32_e32 v12, v12, v14
	v_bfe_u32 v13, v12, 16, 1
	v_cmp_o_f32_e64 s2, v12, v12
	s_delay_alu instid0(VALU_DEP_2) | instskip(NEXT) | instid1(VALU_DEP_1)
	v_add3_u32 v13, v12, v13, 0x7fff
	v_lshrrev_b32_e32 v13, 16, v13
	s_delay_alu instid0(VALU_DEP_1) | instskip(SKIP_1) | instid1(VALU_DEP_1)
	v_cndmask_b32_e64 v14, 0x7fc0, v13, s2
	v_add_co_u32 v12, s2, v1, s16
	v_add_co_ci_u32_e64 v13, s2, 0, v2, s2
	global_store_b16 v[12:13], v14, off
	s_or_b32 exec_lo, exec_lo, s3
	s_and_saveexec_b32 s2, vcc_lo
	s_cbranch_execz .LBB177_3
.LBB177_19:                             ;   in Loop: Header=BB177_4 Depth=1
	s_waitcnt vmcnt(0)
	v_lshlrev_b32_e32 v11, 16, v11
	s_delay_alu instid0(VALU_DEP_1) | instskip(SKIP_1) | instid1(VALU_DEP_1)
	v_cmp_gt_f32_e32 vcc_lo, 0x800000, v11
	v_cndmask_b32_e64 v12, 1.0, 0x4f800000, vcc_lo
	v_mul_f32_e32 v11, v11, v12
	s_delay_alu instid0(VALU_DEP_1) | instskip(SKIP_2) | instid1(VALU_DEP_1)
	v_log_f32_e32 v11, v11
	s_waitcnt_depctr 0xfff
	v_mul_f32_e32 v12, 0x3f317217, v11
	v_fma_f32 v13, 0x3f317217, v11, -v12
	s_delay_alu instid0(VALU_DEP_1) | instskip(NEXT) | instid1(VALU_DEP_1)
	v_fmac_f32_e32 v13, 0x3377d1cf, v11
	v_add_f32_e32 v12, v12, v13
	v_cndmask_b32_e64 v13, 0, 0x41b17218, vcc_lo
	v_cmp_gt_f32_e64 vcc_lo, 0x7f800000, |v11|
	s_delay_alu instid0(VALU_DEP_3) | instskip(NEXT) | instid1(VALU_DEP_1)
	v_cndmask_b32_e32 v11, v11, v12, vcc_lo
	v_sub_f32_e32 v11, v11, v13
	s_delay_alu instid0(VALU_DEP_1) | instskip(SKIP_1) | instid1(VALU_DEP_2)
	v_bfe_u32 v12, v11, 16, 1
	v_cmp_o_f32_e32 vcc_lo, v11, v11
	v_add3_u32 v12, v11, v12, 0x7fff
	s_delay_alu instid0(VALU_DEP_1) | instskip(NEXT) | instid1(VALU_DEP_1)
	v_lshrrev_b32_e32 v12, 16, v12
	v_cndmask_b32_e32 v13, 0x7fc0, v12, vcc_lo
	v_add_co_u32 v11, vcc_lo, v1, s18
	v_add_co_ci_u32_e32 v12, vcc_lo, 0, v2, vcc_lo
	global_store_b16 v[11:12], v13, off
	s_branch .LBB177_3
.LBB177_20:
	s_cbranch_execz .LBB177_22
	s_branch .LBB177_25
.LBB177_21:
.LBB177_22:
	v_dual_mov_b32 v2, 0 :: v_dual_lshlrev_b32 v1, 2, v0
	s_mov_b32 s3, 0
	s_mov_b32 s2, exec_lo
	s_delay_alu instid0(VALU_DEP_1)
	v_cmpx_gt_i64_e64 s[6:7], v[1:2]
	s_cbranch_execz .LBB177_25
; %bb.23:
	s_load_b32 s0, s[0:1], 0xd3c
	v_lshlrev_b32_e32 v1, 3, v0
	s_waitcnt lgkmcnt(0)
	s_and_b32 s0, s0, 0xffff
	s_add_u32 s1, s8, s10
	s_addc_u32 s2, s9, s11
	v_add_co_u32 v3, s1, s1, v1
	s_delay_alu instid0(VALU_DEP_1)
	v_add_co_ci_u32_e64 v4, null, s2, 0, s1
	v_add_lshl_u32 v1, v0, s0, 2
	s_lshl_b32 s4, s0, 3
	s_lshl_b32 s5, s0, 2
.LBB177_24:                             ; =>This Inner Loop Header: Depth=1
	global_load_b64 v[5:6], v[3:4], off
	s_waitcnt vmcnt(0)
	v_alignbit_b32 v7, v6, v5, 16
	s_delay_alu instid0(VALU_DEP_1) | instskip(SKIP_1) | instid1(VALU_DEP_1)
	v_and_b32_e32 v7, 0xffff0000, v7
	v_lshlrev_b32_e32 v0, 16, v5
	v_cmp_gt_f32_e32 vcc_lo, 0x800000, v0
	v_cndmask_b32_e64 v8, 1.0, 0x4f800000, vcc_lo
	s_delay_alu instid0(VALU_DEP_1) | instskip(NEXT) | instid1(VALU_DEP_1)
	v_dual_mul_f32 v0, v0, v8 :: v_dual_and_b32 v5, 0xffff0000, v5
	v_cmp_gt_f32_e64 s0, 0x800000, v5
	s_delay_alu instid0(VALU_DEP_2) | instskip(NEXT) | instid1(VALU_DEP_1)
	v_log_f32_e32 v0, v0
	v_cndmask_b32_e64 v9, 1.0, 0x4f800000, s0
	v_and_b32_e32 v6, 0xffff0000, v6
	v_cndmask_b32_e64 v12, 0, 0x41b17218, s0
	v_cmp_lt_u64_e64 s0, 0xffff, v[1:2]
	s_delay_alu instid0(VALU_DEP_4) | instskip(NEXT) | instid1(VALU_DEP_4)
	v_mul_f32_e32 v5, v5, v9
	v_cmp_gt_f32_e64 s1, 0x800000, v6
	v_cndmask_b32_e64 v9, 0, 0x41b17218, vcc_lo
	s_delay_alu instid0(TRANS32_DEP_1) | instskip(NEXT) | instid1(VALU_DEP_4)
	v_cmp_gt_f32_e64 vcc_lo, 0x7f800000, |v0|
	v_log_f32_e32 v5, v5
	s_delay_alu instid0(VALU_DEP_3) | instskip(SKIP_1) | instid1(VALU_DEP_2)
	v_cndmask_b32_e64 v10, 1.0, 0x4f800000, s1
	v_cndmask_b32_e64 v17, 0, 0x41b17218, s1
	v_mul_f32_e32 v6, v6, v10
	v_cmp_gt_f32_e64 s2, 0x800000, v7
	s_delay_alu instid0(VALU_DEP_2) | instskip(NEXT) | instid1(VALU_DEP_1)
	v_log_f32_e32 v6, v6
	v_cndmask_b32_e64 v8, 1.0, 0x4f800000, s2
	v_cndmask_b32_e64 v19, 0, 0x41b17218, s2
	s_delay_alu instid0(VALU_DEP_2) | instskip(SKIP_3) | instid1(VALU_DEP_1)
	v_mul_f32_e32 v7, v7, v8
	s_waitcnt_depctr 0xfff
	v_dual_mul_f32 v8, 0x3f317217, v0 :: v_dual_mul_f32 v11, 0x3f317217, v6
	v_log_f32_e32 v7, v7
	v_fma_f32 v13, 0x3f317217, v0, -v8
	s_delay_alu instid0(VALU_DEP_2) | instskip(NEXT) | instid1(VALU_DEP_1)
	v_fma_f32 v16, 0x3f317217, v6, -v11
	v_dual_fmac_f32 v13, 0x3377d1cf, v0 :: v_dual_fmac_f32 v16, 0x3377d1cf, v6
	v_mul_f32_e32 v10, 0x3f317217, v5
	s_delay_alu instid0(VALU_DEP_2) | instskip(NEXT) | instid1(VALU_DEP_2)
	v_dual_add_f32 v8, v8, v13 :: v_dual_add_f32 v11, v11, v16
	v_fma_f32 v15, 0x3f317217, v5, -v10
	s_delay_alu instid0(VALU_DEP_2) | instskip(SKIP_1) | instid1(VALU_DEP_3)
	v_cndmask_b32_e32 v0, v0, v8, vcc_lo
	v_cmp_gt_f32_e64 vcc_lo, 0x7f800000, |v5|
	v_fmac_f32_e32 v15, 0x3377d1cf, v5
	s_delay_alu instid0(VALU_DEP_1) | instskip(NEXT) | instid1(VALU_DEP_1)
	v_add_f32_e32 v10, v10, v15
	v_dual_mul_f32 v14, 0x3f317217, v7 :: v_dual_cndmask_b32 v5, v5, v10
	s_delay_alu instid0(VALU_DEP_1) | instskip(SKIP_1) | instid1(VALU_DEP_2)
	v_fma_f32 v18, 0x3f317217, v7, -v14
	v_cmp_gt_f32_e64 vcc_lo, 0x7f800000, |v6|
	v_dual_sub_f32 v5, v5, v12 :: v_dual_fmac_f32 v18, 0x3377d1cf, v7
	v_cndmask_b32_e32 v6, v6, v11, vcc_lo
	v_cmp_gt_f32_e64 vcc_lo, 0x7f800000, |v7|
	s_delay_alu instid0(VALU_DEP_3) | instskip(NEXT) | instid1(VALU_DEP_1)
	v_add_f32_e32 v8, v14, v18
	v_dual_sub_f32 v6, v6, v17 :: v_dual_cndmask_b32 v7, v7, v8
	v_bfe_u32 v8, v5, 16, 1
	v_cmp_o_f32_e32 vcc_lo, v5, v5
	s_delay_alu instid0(VALU_DEP_3) | instskip(NEXT) | instid1(VALU_DEP_4)
	v_bfe_u32 v10, v6, 16, 1
	v_sub_f32_e32 v7, v7, v19
	s_delay_alu instid0(VALU_DEP_4) | instskip(NEXT) | instid1(VALU_DEP_3)
	v_add3_u32 v8, v5, v8, 0x7fff
	v_add3_u32 v10, v6, v10, 0x7fff
	s_delay_alu instid0(VALU_DEP_3) | instskip(NEXT) | instid1(VALU_DEP_3)
	v_bfe_u32 v11, v7, 16, 1
	v_and_b32_e32 v8, 0xffff0000, v8
	v_sub_f32_e32 v0, v0, v9
	s_delay_alu instid0(VALU_DEP_4) | instskip(NEXT) | instid1(VALU_DEP_4)
	v_and_b32_e32 v10, 0xffff0000, v10
	v_add3_u32 v11, v7, v11, 0x7fff
	s_delay_alu instid0(VALU_DEP_4) | instskip(NEXT) | instid1(VALU_DEP_4)
	v_cndmask_b32_e32 v5, 0x7fc00000, v8, vcc_lo
	v_bfe_u32 v9, v0, 16, 1
	v_cmp_o_f32_e32 vcc_lo, v0, v0
	s_delay_alu instid0(VALU_DEP_4) | instskip(NEXT) | instid1(VALU_DEP_3)
	v_lshrrev_b32_e32 v11, 16, v11
	v_add3_u32 v9, v0, v9, 0x7fff
	s_delay_alu instid0(VALU_DEP_1) | instskip(NEXT) | instid1(VALU_DEP_1)
	v_lshrrev_b32_e32 v9, 16, v9
	v_cndmask_b32_e32 v0, 0x7fc0, v9, vcc_lo
	v_cmp_o_f32_e32 vcc_lo, v6, v6
	s_delay_alu instid0(VALU_DEP_2) | instskip(SKIP_2) | instid1(VALU_DEP_3)
	v_or_b32_e32 v0, v0, v5
	v_cndmask_b32_e32 v6, 0x7fc00000, v10, vcc_lo
	v_cmp_o_f32_e32 vcc_lo, v7, v7
	v_or3_b32 v5, v0, 0, 0
	v_cndmask_b32_e32 v7, 0x7fc0, v11, vcc_lo
	v_cmp_le_i64_e32 vcc_lo, s[6:7], v[1:2]
	v_add_co_u32 v1, s1, v1, s5
	s_delay_alu instid0(VALU_DEP_1) | instskip(NEXT) | instid1(VALU_DEP_4)
	v_add_co_ci_u32_e64 v2, s1, 0, v2, s1
	v_or3_b32 v6, 0, v7, v6
	s_or_b32 s0, vcc_lo, s0
	s_delay_alu instid0(SALU_CYCLE_1) | instskip(SKIP_4) | instid1(SALU_CYCLE_1)
	s_and_b32 s0, exec_lo, s0
	global_store_b64 v[3:4], v[5:6], off
	v_add_co_u32 v3, vcc_lo, v3, s4
	v_add_co_ci_u32_e32 v4, vcc_lo, 0, v4, vcc_lo
	s_or_b32 s3, s0, s3
	s_and_not1_b32 exec_lo, exec_lo, s3
	s_cbranch_execnz .LBB177_24
.LBB177_25:
	s_nop 0
	s_sendmsg sendmsg(MSG_DEALLOC_VGPRS)
	s_endpgm
	.section	.rodata,"a",@progbits
	.p2align	6, 0x0
	.amdhsa_kernel _ZN2at6native12_GLOBAL__N_125multi_tensor_apply_kernelINS1_18TensorListMetadataILi1EEENS1_14UnaryOpFunctorIN3c108BFloat16ELi1ELi1ELi0EEEJNS0_3LogIfEEEEEvT_T0_DpT1_
		.amdhsa_group_segment_fixed_size 0
		.amdhsa_private_segment_fixed_size 0
		.amdhsa_kernarg_size 3632
		.amdhsa_user_sgpr_count 15
		.amdhsa_user_sgpr_dispatch_ptr 0
		.amdhsa_user_sgpr_queue_ptr 0
		.amdhsa_user_sgpr_kernarg_segment_ptr 1
		.amdhsa_user_sgpr_dispatch_id 0
		.amdhsa_user_sgpr_private_segment_size 0
		.amdhsa_wavefront_size32 1
		.amdhsa_uses_dynamic_stack 0
		.amdhsa_enable_private_segment 0
		.amdhsa_system_sgpr_workgroup_id_x 1
		.amdhsa_system_sgpr_workgroup_id_y 0
		.amdhsa_system_sgpr_workgroup_id_z 0
		.amdhsa_system_sgpr_workgroup_info 0
		.amdhsa_system_vgpr_workitem_id 0
		.amdhsa_next_free_vgpr 20
		.amdhsa_next_free_sgpr 20
		.amdhsa_reserve_vcc 1
		.amdhsa_float_round_mode_32 0
		.amdhsa_float_round_mode_16_64 0
		.amdhsa_float_denorm_mode_32 3
		.amdhsa_float_denorm_mode_16_64 3
		.amdhsa_dx10_clamp 1
		.amdhsa_ieee_mode 1
		.amdhsa_fp16_overflow 0
		.amdhsa_workgroup_processor_mode 1
		.amdhsa_memory_ordered 1
		.amdhsa_forward_progress 0
		.amdhsa_shared_vgpr_count 0
		.amdhsa_exception_fp_ieee_invalid_op 0
		.amdhsa_exception_fp_denorm_src 0
		.amdhsa_exception_fp_ieee_div_zero 0
		.amdhsa_exception_fp_ieee_overflow 0
		.amdhsa_exception_fp_ieee_underflow 0
		.amdhsa_exception_fp_ieee_inexact 0
		.amdhsa_exception_int_div_zero 0
	.end_amdhsa_kernel
	.section	.text._ZN2at6native12_GLOBAL__N_125multi_tensor_apply_kernelINS1_18TensorListMetadataILi1EEENS1_14UnaryOpFunctorIN3c108BFloat16ELi1ELi1ELi0EEEJNS0_3LogIfEEEEEvT_T0_DpT1_,"axG",@progbits,_ZN2at6native12_GLOBAL__N_125multi_tensor_apply_kernelINS1_18TensorListMetadataILi1EEENS1_14UnaryOpFunctorIN3c108BFloat16ELi1ELi1ELi0EEEJNS0_3LogIfEEEEEvT_T0_DpT1_,comdat
.Lfunc_end177:
	.size	_ZN2at6native12_GLOBAL__N_125multi_tensor_apply_kernelINS1_18TensorListMetadataILi1EEENS1_14UnaryOpFunctorIN3c108BFloat16ELi1ELi1ELi0EEEJNS0_3LogIfEEEEEvT_T0_DpT1_, .Lfunc_end177-_ZN2at6native12_GLOBAL__N_125multi_tensor_apply_kernelINS1_18TensorListMetadataILi1EEENS1_14UnaryOpFunctorIN3c108BFloat16ELi1ELi1ELi0EEEJNS0_3LogIfEEEEEvT_T0_DpT1_
                                        ; -- End function
	.section	.AMDGPU.csdata,"",@progbits
; Kernel info:
; codeLenInByte = 2400
; NumSgprs: 22
; NumVgprs: 20
; ScratchSize: 0
; MemoryBound: 0
; FloatMode: 240
; IeeeMode: 1
; LDSByteSize: 0 bytes/workgroup (compile time only)
; SGPRBlocks: 2
; VGPRBlocks: 2
; NumSGPRsForWavesPerEU: 22
; NumVGPRsForWavesPerEU: 20
; Occupancy: 16
; WaveLimiterHint : 0
; COMPUTE_PGM_RSRC2:SCRATCH_EN: 0
; COMPUTE_PGM_RSRC2:USER_SGPR: 15
; COMPUTE_PGM_RSRC2:TRAP_HANDLER: 0
; COMPUTE_PGM_RSRC2:TGID_X_EN: 1
; COMPUTE_PGM_RSRC2:TGID_Y_EN: 0
; COMPUTE_PGM_RSRC2:TGID_Z_EN: 0
; COMPUTE_PGM_RSRC2:TIDIG_COMP_CNT: 0
	.section	.text._ZN2at6native12_GLOBAL__N_125multi_tensor_apply_kernelINS1_18TensorListMetadataILi2EEENS1_14UnaryOpFunctorIdLi2ELi1ELi1EEEJNS0_5Log10IdEEEEEvT_T0_DpT1_,"axG",@progbits,_ZN2at6native12_GLOBAL__N_125multi_tensor_apply_kernelINS1_18TensorListMetadataILi2EEENS1_14UnaryOpFunctorIdLi2ELi1ELi1EEEJNS0_5Log10IdEEEEEvT_T0_DpT1_,comdat
	.globl	_ZN2at6native12_GLOBAL__N_125multi_tensor_apply_kernelINS1_18TensorListMetadataILi2EEENS1_14UnaryOpFunctorIdLi2ELi1ELi1EEEJNS0_5Log10IdEEEEEvT_T0_DpT1_ ; -- Begin function _ZN2at6native12_GLOBAL__N_125multi_tensor_apply_kernelINS1_18TensorListMetadataILi2EEENS1_14UnaryOpFunctorIdLi2ELi1ELi1EEEJNS0_5Log10IdEEEEEvT_T0_DpT1_
	.p2align	8
	.type	_ZN2at6native12_GLOBAL__N_125multi_tensor_apply_kernelINS1_18TensorListMetadataILi2EEENS1_14UnaryOpFunctorIdLi2ELi1ELi1EEEJNS0_5Log10IdEEEEEvT_T0_DpT1_,@function
_ZN2at6native12_GLOBAL__N_125multi_tensor_apply_kernelINS1_18TensorListMetadataILi2EEENS1_14UnaryOpFunctorIdLi2ELi1ELi1EEEJNS0_5Log10IdEEEEEvT_T0_DpT1_: ; @_ZN2at6native12_GLOBAL__N_125multi_tensor_apply_kernelINS1_18TensorListMetadataILi2EEENS1_14UnaryOpFunctorIdLi2ELi1ELi1EEEJNS0_5Log10IdEEEEEvT_T0_DpT1_
; %bb.0:
	v_mov_b32_e32 v1, s15
	s_add_u32 s2, s0, s15
	s_mul_hi_u32 s3, s15, 3
	s_mul_i32 s15, s15, 3
	s_addc_u32 s4, s1, 0
	global_load_u8 v1, v1, s[0:1] offset:1536
	s_add_u32 s2, s2, s15
	s_addc_u32 s3, s4, s3
	s_mov_b32 s7, 0
	s_load_b32 s2, s[2:3], 0x740
	s_mov_b32 s11, s7
	s_mov_b32 s17, s7
	s_waitcnt vmcnt(0)
	v_readfirstlane_b32 s5, v1
	s_delay_alu instid0(VALU_DEP_1)
	s_lshl_b32 s3, s5, 3
	s_clause 0x2
	s_load_b64 s[14:15], s[0:1], s3 offset:0x0
	s_load_b64 s[12:13], s[0:1], s3 offset:0x200
	;; [unrolled: 1-line block ×3, first 2 shown]
	s_waitcnt lgkmcnt(0)
	s_ashr_i32 s3, s2, 31
	s_delay_alu instid0(SALU_CYCLE_1) | instskip(NEXT) | instid1(SALU_CYCLE_1)
	s_lshl_b64 s[8:9], s[2:3], 19
	s_add_u32 s33, s14, s8
	s_addc_u32 s42, s15, s9
	s_and_b32 s6, s33, 31
	s_add_u32 s43, s12, s8
	s_addc_u32 s44, s13, s9
	s_and_b32 s10, s4, 3
	s_and_b32 s16, s43, 31
	s_or_b64 s[6:7], s[6:7], s[10:11]
	s_lshl_b64 s[2:3], s[2:3], 16
	s_or_b64 s[6:7], s[16:17], s[6:7]
	s_sub_u32 s10, s4, s2
	s_subb_u32 s11, s5, s3
	s_cmp_eq_u64 s[6:7], 0
	s_mov_b32 s2, -1
	s_cbranch_scc0 .LBB178_5
; %bb.1:
	v_mov_b32_e32 v9, 0
	v_lshlrev_b32_e32 v1, 2, v0
	s_mov_b32 s45, exec_lo
	s_delay_alu instid0(VALU_DEP_2) | instskip(NEXT) | instid1(VALU_DEP_1)
	v_mov_b32_e32 v2, v9
	v_cmpx_gt_i64_e64 s[10:11], v[1:2]
	s_cbranch_execz .LBB178_4
; %bb.2:
	s_load_b32 s2, s[0:1], 0xc5c
	v_dual_mov_b32 v12, v9 :: v_dual_lshlrev_b32 v13, 5, v0
	s_mov_b32 s38, 0x55555555
	s_mov_b32 s39, 0x3fe55555
	;; [unrolled: 1-line block ×17, first 2 shown]
	s_waitcnt lgkmcnt(0)
	s_and_b32 s2, s2, 0xffff
	s_mov_b32 s25, 0x3fd24924
	v_add_lshl_u32 v11, v0, s2, 2
	s_mov_b32 s27, 0x3fd99999
	s_mov_b32 s29, 0x3fd34413
	s_lshl_b32 s47, s2, 2
	s_lshl_b32 s48, s2, 5
	s_mov_b32 s31, 0xbc49dc1d
	s_mov_b32 s35, 0x3fdbcb7b
	;; [unrolled: 1-line block ×5, first 2 shown]
.LBB178_3:                              ; =>This Inner Loop Header: Depth=1
	v_add_co_u32 v1, s2, s33, v13
	s_delay_alu instid0(VALU_DEP_1)
	v_add_co_ci_u32_e64 v2, null, s42, 0, s2
	v_cmp_lt_u64_e64 s6, 0xffff, v[11:12]
	s_clause 0x1
	global_load_b128 v[5:8], v[1:2], off
	global_load_b128 v[1:4], v[1:2], off offset:16
	s_waitcnt vmcnt(1)
	v_frexp_mant_f64_e32 v[14:15], v[5:6]
	v_frexp_mant_f64_e32 v[16:17], v[7:8]
	s_waitcnt vmcnt(0)
	v_frexp_mant_f64_e32 v[18:19], v[1:2]
	v_frexp_mant_f64_e32 v[20:21], v[3:4]
	v_cmp_class_f64_e64 s5, v[3:4], 0x204
	v_cmp_gt_f64_e32 vcc_lo, s[38:39], v[14:15]
	v_cmp_gt_f64_e64 s3, s[38:39], v[16:17]
	v_cmp_gt_f64_e64 s2, s[38:39], v[18:19]
	;; [unrolled: 1-line block ×3, first 2 shown]
	v_cndmask_b32_e64 v10, 0x3ff00000, 2.0, vcc_lo
	s_delay_alu instid0(VALU_DEP_1) | instskip(SKIP_1) | instid1(VALU_DEP_1)
	v_mul_f64 v[14:15], v[14:15], v[9:10]
	v_cndmask_b32_e64 v10, 0x3ff00000, 2.0, s3
	v_mul_f64 v[16:17], v[16:17], v[9:10]
	v_cndmask_b32_e64 v10, 0x3ff00000, 2.0, s2
	s_delay_alu instid0(VALU_DEP_1) | instskip(SKIP_1) | instid1(VALU_DEP_1)
	v_mul_f64 v[18:19], v[18:19], v[9:10]
	v_cndmask_b32_e64 v10, 0x3ff00000, 2.0, s4
	v_mul_f64 v[20:21], v[20:21], v[9:10]
	v_frexp_exp_i32_f64_e32 v10, v[5:6]
	v_add_f64 v[22:23], v[14:15], 1.0
	v_add_f64 v[46:47], v[14:15], -1.0
	v_add_f64 v[24:25], v[16:17], 1.0
	v_add_f64 v[48:49], v[16:17], -1.0
	;; [unrolled: 2-line block ×4, first 2 shown]
	v_subrev_co_ci_u32_e32 v10, vcc_lo, 0, v10, vcc_lo
	v_rcp_f64_e32 v[30:31], v[22:23]
	v_add_f64 v[54:55], v[22:23], -1.0
	v_rcp_f64_e32 v[32:33], v[24:25]
	v_add_f64 v[56:57], v[24:25], -1.0
	v_rcp_f64_e32 v[34:35], v[26:27]
	v_add_f64 v[58:59], v[26:27], -1.0
	v_rcp_f64_e32 v[36:37], v[28:29]
	v_add_f64 v[60:61], v[28:29], -1.0
	s_delay_alu instid0(VALU_DEP_4) | instskip(SKIP_2) | instid1(TRANS32_DEP_3)
	v_add_f64 v[14:15], v[14:15], -v[54:55]
	v_fma_f64 v[38:39], -v[22:23], v[30:31], 1.0
	v_add_f64 v[16:17], v[16:17], -v[56:57]
	v_fma_f64 v[40:41], -v[24:25], v[32:33], 1.0
	v_add_f64 v[18:19], v[18:19], -v[58:59]
	s_delay_alu instid0(TRANS32_DEP_2) | instskip(SKIP_1) | instid1(TRANS32_DEP_1)
	v_fma_f64 v[42:43], -v[26:27], v[34:35], 1.0
	v_add_f64 v[20:21], v[20:21], -v[60:61]
	v_fma_f64 v[44:45], -v[28:29], v[36:37], 1.0
	v_fma_f64 v[30:31], v[38:39], v[30:31], v[30:31]
	v_fma_f64 v[32:33], v[40:41], v[32:33], v[32:33]
	;; [unrolled: 1-line block ×3, first 2 shown]
	s_delay_alu instid0(VALU_DEP_4) | instskip(NEXT) | instid1(VALU_DEP_4)
	v_fma_f64 v[36:37], v[44:45], v[36:37], v[36:37]
	v_fma_f64 v[38:39], -v[22:23], v[30:31], 1.0
	s_delay_alu instid0(VALU_DEP_4) | instskip(NEXT) | instid1(VALU_DEP_4)
	v_fma_f64 v[40:41], -v[24:25], v[32:33], 1.0
	v_fma_f64 v[42:43], -v[26:27], v[34:35], 1.0
	s_delay_alu instid0(VALU_DEP_4) | instskip(NEXT) | instid1(VALU_DEP_4)
	v_fma_f64 v[44:45], -v[28:29], v[36:37], 1.0
	v_fma_f64 v[30:31], v[38:39], v[30:31], v[30:31]
	s_delay_alu instid0(VALU_DEP_4) | instskip(NEXT) | instid1(VALU_DEP_4)
	v_fma_f64 v[32:33], v[40:41], v[32:33], v[32:33]
	v_fma_f64 v[34:35], v[42:43], v[34:35], v[34:35]
	s_delay_alu instid0(VALU_DEP_4) | instskip(NEXT) | instid1(VALU_DEP_4)
	v_fma_f64 v[36:37], v[44:45], v[36:37], v[36:37]
	v_mul_f64 v[38:39], v[46:47], v[30:31]
	s_delay_alu instid0(VALU_DEP_4) | instskip(NEXT) | instid1(VALU_DEP_4)
	v_mul_f64 v[40:41], v[48:49], v[32:33]
	v_mul_f64 v[42:43], v[50:51], v[34:35]
	s_delay_alu instid0(VALU_DEP_4) | instskip(NEXT) | instid1(VALU_DEP_4)
	v_mul_f64 v[44:45], v[52:53], v[36:37]
	;; [unrolled: 3-line block ×4, first 2 shown]
	v_fma_f64 v[22:23], v[38:39], v[22:23], -v[62:63]
	s_delay_alu instid0(VALU_DEP_4) | instskip(NEXT) | instid1(VALU_DEP_4)
	v_fma_f64 v[24:25], v[40:41], v[24:25], -v[64:65]
	v_fma_f64 v[26:27], v[42:43], v[26:27], -v[66:67]
	s_delay_alu instid0(VALU_DEP_4) | instskip(NEXT) | instid1(VALU_DEP_4)
	v_fma_f64 v[28:29], v[44:45], v[28:29], -v[68:69]
	v_fma_f64 v[14:15], v[38:39], v[14:15], v[22:23]
	s_delay_alu instid0(VALU_DEP_4) | instskip(NEXT) | instid1(VALU_DEP_4)
	v_fma_f64 v[16:17], v[40:41], v[16:17], v[24:25]
	v_fma_f64 v[18:19], v[42:43], v[18:19], v[26:27]
	s_delay_alu instid0(VALU_DEP_4) | instskip(NEXT) | instid1(VALU_DEP_4)
	v_fma_f64 v[20:21], v[44:45], v[20:21], v[28:29]
	v_add_f64 v[22:23], v[62:63], v[14:15]
	s_delay_alu instid0(VALU_DEP_4) | instskip(NEXT) | instid1(VALU_DEP_4)
	v_add_f64 v[24:25], v[64:65], v[16:17]
	v_add_f64 v[26:27], v[66:67], v[18:19]
	s_delay_alu instid0(VALU_DEP_4) | instskip(NEXT) | instid1(VALU_DEP_4)
	v_add_f64 v[28:29], v[68:69], v[20:21]
	v_add_f64 v[54:55], v[46:47], -v[22:23]
	v_add_f64 v[62:63], v[22:23], -v[62:63]
	;; [unrolled: 1-line block ×20, first 2 shown]
	s_delay_alu instid0(VALU_DEP_4) | instskip(NEXT) | instid1(VALU_DEP_4)
	v_add_f64 v[14:15], v[14:15], v[22:23]
	v_add_f64 v[16:17], v[16:17], v[24:25]
	s_delay_alu instid0(VALU_DEP_4) | instskip(NEXT) | instid1(VALU_DEP_4)
	v_add_f64 v[18:19], v[18:19], v[26:27]
	v_add_f64 v[20:21], v[20:21], v[28:29]
	;; [unrolled: 3-line block ×4, first 2 shown]
	s_delay_alu instid0(VALU_DEP_4) | instskip(NEXT) | instid1(VALU_DEP_4)
	v_mul_f64 v[14:15], v[30:31], v[14:15]
	v_mul_f64 v[16:17], v[32:33], v[16:17]
	s_delay_alu instid0(VALU_DEP_4) | instskip(NEXT) | instid1(VALU_DEP_4)
	v_mul_f64 v[18:19], v[34:35], v[18:19]
	v_mul_f64 v[20:21], v[36:37], v[20:21]
	s_delay_alu instid0(VALU_DEP_4) | instskip(NEXT) | instid1(VALU_DEP_4)
	v_add_f64 v[22:23], v[38:39], v[14:15]
	v_add_f64 v[24:25], v[40:41], v[16:17]
	s_delay_alu instid0(VALU_DEP_4) | instskip(NEXT) | instid1(VALU_DEP_4)
	v_add_f64 v[26:27], v[42:43], v[18:19]
	v_add_f64 v[28:29], v[44:45], v[20:21]
	s_delay_alu instid0(VALU_DEP_4) | instskip(NEXT) | instid1(VALU_DEP_4)
	v_mul_f64 v[30:31], v[22:23], v[22:23]
	v_mul_f64 v[32:33], v[24:25], v[24:25]
	s_delay_alu instid0(VALU_DEP_4) | instskip(NEXT) | instid1(VALU_DEP_4)
	v_mul_f64 v[34:35], v[26:27], v[26:27]
	v_mul_f64 v[36:37], v[28:29], v[28:29]
	s_delay_alu instid0(VALU_DEP_4)
	v_fma_f64 v[46:47], v[30:31], s[18:19], s[16:17]
	v_mul_f64 v[54:55], v[22:23], v[30:31]
	v_fma_f64 v[48:49], v[32:33], s[18:19], s[16:17]
	v_mul_f64 v[56:57], v[24:25], v[32:33]
	;; [unrolled: 2-line block ×4, first 2 shown]
	v_fma_f64 v[46:47], v[30:31], v[46:47], s[20:21]
	v_fma_f64 v[48:49], v[32:33], v[48:49], s[20:21]
	;; [unrolled: 1-line block ×4, first 2 shown]
	s_delay_alu instid0(VALU_DEP_4) | instskip(NEXT) | instid1(VALU_DEP_4)
	v_fma_f64 v[46:47], v[30:31], v[46:47], s[22:23]
	v_fma_f64 v[48:49], v[32:33], v[48:49], s[22:23]
	s_delay_alu instid0(VALU_DEP_4) | instskip(NEXT) | instid1(VALU_DEP_4)
	v_fma_f64 v[50:51], v[34:35], v[50:51], s[22:23]
	v_fma_f64 v[52:53], v[36:37], v[52:53], s[22:23]
	;; [unrolled: 3-line block ×6, first 2 shown]
	s_delay_alu instid0(VALU_DEP_4)
	v_fma_f64 v[30:31], v[30:31], v[46:47], s[40:41]
	v_ldexp_f64 v[46:47], v[22:23], 1
	v_add_f64 v[22:23], v[22:23], -v[38:39]
	v_fma_f64 v[32:33], v[32:33], v[48:49], s[40:41]
	v_ldexp_f64 v[48:49], v[24:25], 1
	v_add_f64 v[24:25], v[24:25], -v[40:41]
	;; [unrolled: 3-line block ×4, first 2 shown]
	v_mul_f64 v[30:31], v[54:55], v[30:31]
	v_add_f64 v[14:15], v[14:15], -v[22:23]
	v_mul_f64 v[32:33], v[56:57], v[32:33]
	v_add_f64 v[16:17], v[16:17], -v[24:25]
	;; [unrolled: 2-line block ×4, first 2 shown]
	v_add_f64 v[38:39], v[46:47], v[30:31]
	v_ldexp_f64 v[14:15], v[14:15], 1
	v_add_f64 v[40:41], v[48:49], v[32:33]
	v_ldexp_f64 v[16:17], v[16:17], 1
	;; [unrolled: 2-line block ×4, first 2 shown]
	v_add_f64 v[22:23], v[38:39], -v[46:47]
	v_add_f64 v[24:25], v[40:41], -v[48:49]
	;; [unrolled: 1-line block ×4, first 2 shown]
	s_delay_alu instid0(VALU_DEP_4)
	v_add_f64 v[22:23], v[30:31], -v[22:23]
	v_frexp_exp_i32_f64_e32 v30, v[7:8]
	v_frexp_exp_i32_f64_e32 v31, v[1:2]
	v_add_f64 v[24:25], v[32:33], -v[24:25]
	v_frexp_exp_i32_f64_e32 v32, v[3:4]
	v_add_f64 v[26:27], v[34:35], -v[26:27]
	v_add_f64 v[28:29], v[36:37], -v[28:29]
	v_add_f64 v[14:15], v[14:15], v[22:23]
	v_subrev_co_ci_u32_e64 v33, vcc_lo, 0, v30, s3
	v_subrev_co_ci_u32_e64 v34, vcc_lo, 0, v31, s2
	v_cvt_f64_i32_e32 v[30:31], v10
	v_add_f64 v[16:17], v[16:17], v[24:25]
	v_subrev_co_ci_u32_e64 v36, vcc_lo, 0, v32, s4
	v_cvt_f64_i32_e32 v[32:33], v33
	v_cvt_f64_i32_e32 v[34:35], v34
	v_cmp_class_f64_e64 s2, v[5:6], 0x204
	v_add_f64 v[18:19], v[18:19], v[26:27]
	v_cvt_f64_i32_e32 v[36:37], v36
	v_cmp_le_i64_e32 vcc_lo, s[10:11], v[11:12]
	v_cmp_class_f64_e64 s3, v[7:8], 0x204
	v_cmp_class_f64_e64 s4, v[1:2], 0x204
	v_add_f64 v[20:21], v[20:21], v[28:29]
	s_or_b32 s6, vcc_lo, s6
	v_cmp_nge_f64_e32 vcc_lo, 0, v[5:6]
	s_add_u32 s33, s33, s48
	s_addc_u32 s42, s42, 0
	v_add_f64 v[22:23], v[38:39], v[14:15]
	v_mul_f64 v[54:55], v[30:31], s[28:29]
	v_add_f64 v[24:25], v[40:41], v[16:17]
	v_mul_f64 v[56:57], v[32:33], s[28:29]
	v_mul_f64 v[58:59], v[34:35], s[28:29]
	v_add_f64 v[26:27], v[42:43], v[18:19]
	v_mul_f64 v[60:61], v[36:37], s[28:29]
	v_add_f64 v[28:29], v[44:45], v[20:21]
	v_add_f64 v[38:39], v[22:23], -v[38:39]
	v_mul_f64 v[46:47], v[22:23], s[34:35]
	v_fma_f64 v[62:63], v[30:31], s[28:29], -v[54:55]
	v_add_f64 v[40:41], v[24:25], -v[40:41]
	v_mul_f64 v[48:49], v[24:25], s[34:35]
	v_fma_f64 v[64:65], v[32:33], s[28:29], -v[56:57]
	v_fma_f64 v[66:67], v[34:35], s[28:29], -v[58:59]
	v_add_f64 v[42:43], v[26:27], -v[42:43]
	v_mul_f64 v[50:51], v[26:27], s[34:35]
	v_fma_f64 v[68:69], v[36:37], s[28:29], -v[60:61]
	v_add_f64 v[44:45], v[28:29], -v[44:45]
	v_mul_f64 v[52:53], v[28:29], s[34:35]
	v_add_f64 v[14:15], v[14:15], -v[38:39]
	v_fma_f64 v[38:39], v[22:23], s[34:35], -v[46:47]
	v_fma_f64 v[30:31], v[30:31], s[30:31], v[62:63]
	v_add_f64 v[16:17], v[16:17], -v[40:41]
	v_fma_f64 v[40:41], v[24:25], s[34:35], -v[48:49]
	v_fma_f64 v[32:33], v[32:33], s[30:31], v[64:65]
	v_fma_f64 v[34:35], v[34:35], s[30:31], v[66:67]
	v_add_f64 v[18:19], v[18:19], -v[42:43]
	v_fma_f64 v[42:43], v[26:27], s[34:35], -v[50:51]
	v_fma_f64 v[36:37], v[36:37], s[30:31], v[68:69]
	v_add_f64 v[20:21], v[20:21], -v[44:45]
	v_fma_f64 v[44:45], v[28:29], s[34:35], -v[52:53]
	v_fma_f64 v[14:15], v[14:15], s[34:35], v[38:39]
	v_fma_f64 v[16:17], v[16:17], s[34:35], v[40:41]
	;; [unrolled: 1-line block ×3, first 2 shown]
	s_delay_alu instid0(VALU_DEP_4) | instskip(NEXT) | instid1(VALU_DEP_4)
	v_fma_f64 v[20:21], v[20:21], s[34:35], v[44:45]
	v_fma_f64 v[14:15], v[22:23], s[36:37], v[14:15]
	v_add_f64 v[22:23], v[54:55], v[30:31]
	v_fma_f64 v[16:17], v[24:25], s[36:37], v[16:17]
	v_add_f64 v[24:25], v[56:57], v[32:33]
	;; [unrolled: 2-line block ×4, first 2 shown]
	v_add_f64 v[38:39], v[46:47], v[14:15]
	v_add_f64 v[54:55], v[22:23], -v[54:55]
	v_add_f64 v[40:41], v[48:49], v[16:17]
	v_add_f64 v[56:57], v[24:25], -v[56:57]
	;; [unrolled: 2-line block ×5, first 2 shown]
	v_add_f64 v[30:31], v[30:31], -v[54:55]
	v_add_f64 v[64:65], v[24:25], v[40:41]
	v_add_f64 v[48:49], v[40:41], -v[48:49]
	v_add_f64 v[32:33], v[32:33], -v[56:57]
	v_add_f64 v[66:67], v[26:27], v[42:43]
	v_add_f64 v[50:51], v[42:43], -v[50:51]
	;; [unrolled: 3-line block ×3, first 2 shown]
	v_add_f64 v[36:37], v[36:37], -v[60:61]
	v_add_f64 v[70:71], v[62:63], -v[22:23]
	;; [unrolled: 1-line block ×11, first 2 shown]
	v_add_f64 v[46:47], v[30:31], v[14:15]
	v_add_f64 v[80:81], v[64:65], -v[72:73]
	v_add_f64 v[40:41], v[40:41], -v[72:73]
	v_add_f64 v[48:49], v[32:33], v[16:17]
	v_add_f64 v[82:83], v[66:67], -v[74:75]
	v_add_f64 v[42:43], v[42:43], -v[74:75]
	;; [unrolled: 3-line block ×4, first 2 shown]
	v_add_f64 v[26:27], v[26:27], -v[82:83]
	v_add_f64 v[28:29], v[28:29], -v[84:85]
	s_delay_alu instid0(VALU_DEP_4)
	v_add_f64 v[22:23], v[38:39], v[22:23]
	v_add_f64 v[38:39], v[46:47], -v[30:31]
	v_add_f64 v[24:25], v[40:41], v[24:25]
	v_add_f64 v[40:41], v[48:49], -v[32:33]
	;; [unrolled: 2-line block ×5, first 2 shown]
	v_add_f64 v[14:15], v[14:15], -v[38:39]
	v_add_f64 v[24:25], v[48:49], v[24:25]
	v_add_f64 v[48:49], v[48:49], -v[40:41]
	v_add_f64 v[16:17], v[16:17], -v[40:41]
	v_add_f64 v[26:27], v[50:51], v[26:27]
	v_add_f64 v[50:51], v[50:51], -v[42:43]
	;; [unrolled: 3-line block ×4, first 2 shown]
	v_add_f64 v[56:57], v[64:65], v[24:25]
	v_add_f64 v[32:33], v[32:33], -v[48:49]
	v_add_f64 v[58:59], v[66:67], v[26:27]
	v_add_f64 v[34:35], v[34:35], -v[50:51]
	;; [unrolled: 2-line block ×3, first 2 shown]
	v_add_f64 v[38:39], v[54:55], -v[62:63]
	v_add_f64 v[14:15], v[14:15], v[30:31]
	v_add_f64 v[40:41], v[56:57], -v[64:65]
	v_add_f64 v[16:17], v[16:17], v[32:33]
	;; [unrolled: 2-line block ×4, first 2 shown]
	v_add_f64 v[22:23], v[22:23], -v[38:39]
	v_add_f64 v[24:25], v[24:25], -v[40:41]
	;; [unrolled: 1-line block ×4, first 2 shown]
	s_delay_alu instid0(VALU_DEP_4) | instskip(SKIP_1) | instid1(VALU_DEP_1)
	v_add_f64 v[14:15], v[14:15], v[22:23]
	v_add_co_u32 v22, s7, s43, v13
	v_add_co_ci_u32_e64 v23, null, s44, 0, s7
	v_add_co_u32 v11, s7, v11, s47
	v_add_f64 v[16:17], v[16:17], v[24:25]
	s_add_u32 s43, s43, s48
	v_add_co_ci_u32_e64 v12, s7, 0, v12, s7
	s_addc_u32 s44, s44, 0
	v_add_f64 v[18:19], v[18:19], v[26:27]
	v_add_f64 v[20:21], v[20:21], v[28:29]
	;; [unrolled: 1-line block ×4, first 2 shown]
	s_delay_alu instid0(VALU_DEP_4) | instskip(NEXT) | instid1(VALU_DEP_4)
	v_add_f64 v[18:19], v[58:59], v[18:19]
	v_add_f64 v[20:21], v[60:61], v[20:21]
	s_delay_alu instid0(VALU_DEP_4) | instskip(SKIP_2) | instid1(VALU_DEP_1)
	v_cndmask_b32_e64 v10, v14, v5, s2
	v_cndmask_b32_e64 v14, v15, v6, s2
	v_cmp_ngt_f64_e64 s2, 0, v[5:6]
	v_cndmask_b32_e64 v15, 0x7ff80000, v14, s2
	s_delay_alu instid0(VALU_DEP_4)
	v_cndmask_b32_e32 v14, 0, v10, vcc_lo
	v_cndmask_b32_e64 v10, v16, v7, s3
	v_cndmask_b32_e64 v16, v17, v8, s3
	v_cmp_ngt_f64_e32 vcc_lo, 0, v[7:8]
	v_cmp_nge_f64_e64 s2, 0, v[7:8]
	v_cmp_neq_f64_e64 s3, 0, v[5:6]
	v_cndmask_b32_e64 v6, v18, v1, s4
	v_cndmask_b32_e32 v5, 0x7ff80000, v16, vcc_lo
	s_delay_alu instid0(VALU_DEP_4) | instskip(NEXT) | instid1(VALU_DEP_4)
	v_cndmask_b32_e64 v16, 0, v10, s2
	v_cndmask_b32_e64 v15, 0xfff00000, v15, s3
	v_cmp_ngt_f64_e32 vcc_lo, 0, v[1:2]
	v_cmp_nge_f64_e64 s2, 0, v[1:2]
	v_cmp_neq_f64_e64 s3, 0, v[7:8]
	v_cndmask_b32_e64 v10, v19, v2, s4
	v_cndmask_b32_e64 v7, v20, v3, s5
	;; [unrolled: 1-line block ×3, first 2 shown]
	s_delay_alu instid0(VALU_DEP_3)
	v_cndmask_b32_e32 v10, 0x7ff80000, v10, vcc_lo
	v_cmp_nge_f64_e32 vcc_lo, 0, v[3:4]
	v_cndmask_b32_e64 v17, 0xfff00000, v5, s3
	v_cndmask_b32_e64 v5, 0, v6, s2
	v_cmp_ngt_f64_e64 s2, 0, v[3:4]
	v_cndmask_b32_e32 v7, 0, v7, vcc_lo
	v_cmp_neq_f64_e32 vcc_lo, 0, v[3:4]
	s_delay_alu instid0(VALU_DEP_3) | instskip(SKIP_1) | instid1(VALU_DEP_2)
	v_cndmask_b32_e64 v8, 0x7ff80000, v8, s2
	v_cmp_neq_f64_e64 s2, 0, v[1:2]
	v_cndmask_b32_e32 v8, 0xfff00000, v8, vcc_lo
	s_delay_alu instid0(VALU_DEP_2)
	v_cndmask_b32_e64 v6, 0xfff00000, v10, s2
	s_and_b32 s2, exec_lo, s6
	s_clause 0x1
	global_store_b128 v[22:23], v[14:17], off
	global_store_b128 v[22:23], v[5:8], off offset:16
	s_or_b32 s46, s2, s46
	s_delay_alu instid0(SALU_CYCLE_1)
	s_and_not1_b32 exec_lo, exec_lo, s46
	s_cbranch_execnz .LBB178_3
.LBB178_4:
	s_or_b32 exec_lo, exec_lo, s45
	s_mov_b32 s2, 0
.LBB178_5:
	s_delay_alu instid0(SALU_CYCLE_1)
	s_and_not1_b32 vcc_lo, exec_lo, s2
	s_cbranch_vccnz .LBB178_25
; %bb.6:
	v_cmp_lt_i64_e64 s2, s[10:11], 1
	s_delay_alu instid0(VALU_DEP_1)
	s_and_b32 vcc_lo, exec_lo, s2
	s_cbranch_vccnz .LBB178_25
; %bb.7:
	s_load_b32 s0, s[0:1], 0xc5c
	v_dual_mov_b32 v1, 0 :: v_dual_lshlrev_b32 v2, 3, v0
	v_cmp_gt_u64_e64 s1, 0x10000, s[10:11]
	s_mov_b32 s6, 0x55555555
	s_mov_b32 s16, 0xa994fd21
	s_mov_b32 s18, 0x6b47b09a
	v_add_co_u32 v11, s2, s14, v2
	s_delay_alu instid0(VALU_DEP_1) | instskip(SKIP_1) | instid1(VALU_DEP_1)
	v_add_co_ci_u32_e64 v12, null, s15, 0, s2
	v_add_co_u32 v13, s2, s12, v2
	v_add_co_ci_u32_e64 v14, null, s13, 0, s2
	s_mov_b32 s20, 0xbf559e2b
	s_mov_b32 s22, 0xd7f4df2e
	;; [unrolled: 1-line block ×5, first 2 shown]
	s_waitcnt lgkmcnt(0)
	s_and_b32 s0, s0, 0xffff
	s_and_b32 s1, s1, exec_lo
	s_mul_i32 s2, s0, 3
	s_cselect_b32 s5, s11, 0
	v_add_co_u32 v19, s2, s2, v0
	s_delay_alu instid0(VALU_DEP_1)
	v_add_co_ci_u32_e64 v20, null, 0, 0, s2
	v_add_co_u32 v23, s2, v0, s0
	v_mov_b32_e32 v3, v1
	s_cselect_b32 s4, s10, 0x10000
	s_lshl_b32 s3, s0, 4
	s_lshl_b32 s1, s0, 1
	v_add_co_ci_u32_e64 v26, null, 0, 0, s2
	v_mad_u64_u32 v[4:5], null, s0, 24, v[2:3]
	v_add_co_u32 v2, s3, s3, v2
	s_delay_alu instid0(VALU_DEP_1) | instskip(SKIP_1) | instid1(VALU_DEP_4)
	v_add_co_ci_u32_e64 v3, null, 0, 0, s3
	v_add_co_u32 v27, s1, s1, v0
	v_add_co_u32 v15, vcc_lo, s14, v4
	v_add_co_ci_u32_e32 v16, vcc_lo, s15, v5, vcc_lo
	v_add_co_u32 v17, vcc_lo, s12, v4
	v_add_co_ci_u32_e32 v18, vcc_lo, s13, v5, vcc_lo
	;; [unrolled: 2-line block ×3, first 2 shown]
	v_add_co_u32 v24, vcc_lo, s12, v2
	v_lshlrev_b32_e32 v2, 3, v23
	v_add_co_ci_u32_e64 v28, null, 0, 0, s1
	v_add_co_ci_u32_e32 v25, vcc_lo, s13, v3, vcc_lo
	s_delay_alu instid0(VALU_DEP_3) | instskip(NEXT) | instid1(VALU_DEP_1)
	v_add_co_u32 v29, s1, s14, v2
	v_add_co_ci_u32_e64 v30, null, s15, 0, s1
	v_add_co_u32 v31, s1, s12, v2
	s_delay_alu instid0(VALU_DEP_1)
	v_add_co_ci_u32_e64 v32, null, s13, 0, s1
	s_mov_b32 s14, 0x509f79ff
	s_mov_b32 s30, 0x1526e50e
	;; [unrolled: 1-line block ×3, first 2 shown]
	s_lshl_b32 s33, s0, 2
	s_mov_b32 s7, 0x3fe55555
	s_mov_b32 s15, 0x3fd34413
	;; [unrolled: 1-line block ×11, first 2 shown]
	s_lshl_b32 s38, s0, 5
	s_mov_b64 s[12:13], 0
	s_mov_b32 s36, 0x55555780
	s_branch .LBB178_9
.LBB178_8:                              ;   in Loop: Header=BB178_9 Depth=1
	s_or_b32 exec_lo, exec_lo, s0
	v_add_co_u32 v11, vcc_lo, v11, s38
	v_add_co_ci_u32_e32 v12, vcc_lo, 0, v12, vcc_lo
	v_add_co_u32 v13, vcc_lo, v13, s38
	v_add_co_ci_u32_e32 v14, vcc_lo, 0, v14, vcc_lo
	;; [unrolled: 2-line block ×5, first 2 shown]
	s_add_u32 s12, s12, s33
	v_add_co_u32 v24, vcc_lo, v24, s38
	s_addc_u32 s13, s13, 0
	v_add_co_ci_u32_e32 v25, vcc_lo, 0, v25, vcc_lo
	v_cmp_ge_i64_e64 s0, s[12:13], s[10:11]
	v_cmp_lt_u64_e64 s1, 0xffff, s[12:13]
	v_add_co_u32 v29, vcc_lo, v29, s38
	v_add_co_ci_u32_e32 v30, vcc_lo, 0, v30, vcc_lo
	v_add_co_u32 v31, vcc_lo, v31, s38
	v_add_co_ci_u32_e32 v32, vcc_lo, 0, v32, vcc_lo
	s_or_b32 s0, s0, s1
	s_delay_alu instid0(SALU_CYCLE_1)
	s_and_b32 vcc_lo, exec_lo, s0
	s_cbranch_vccnz .LBB178_25
.LBB178_9:                              ; =>This Inner Loop Header: Depth=1
	v_add_co_u32 v2, s0, v0, s12
	s_waitcnt vmcnt(0)
	v_add_co_ci_u32_e64 v3, null, 0, s13, s0
	v_mov_b32_e32 v7, 0
	v_mov_b32_e32 v8, 0
	s_delay_alu instid0(VALU_DEP_3) | instskip(NEXT) | instid1(VALU_DEP_2)
	v_cmp_gt_u64_e64 s2, s[4:5], v[2:3]
	v_dual_mov_b32 v10, v8 :: v_dual_mov_b32 v9, v7
	s_delay_alu instid0(VALU_DEP_2)
	s_and_saveexec_b32 s0, s2
	s_cbranch_execz .LBB178_11
; %bb.10:                               ;   in Loop: Header=BB178_9 Depth=1
	v_add_co_u32 v2, vcc_lo, v11, s8
	v_add_co_ci_u32_e32 v3, vcc_lo, s9, v12, vcc_lo
	global_load_b64 v[9:10], v[2:3], off
.LBB178_11:                             ;   in Loop: Header=BB178_9 Depth=1
	s_or_b32 exec_lo, exec_lo, s0
	v_add_co_u32 v2, vcc_lo, v23, s12
	v_add_co_ci_u32_e32 v3, vcc_lo, s13, v26, vcc_lo
	s_delay_alu instid0(VALU_DEP_1) | instskip(NEXT) | instid1(VALU_DEP_1)
	v_cmp_gt_u64_e64 s1, s[4:5], v[2:3]
	s_and_saveexec_b32 s0, s1
	s_cbranch_execz .LBB178_13
; %bb.12:                               ;   in Loop: Header=BB178_9 Depth=1
	v_add_co_u32 v2, vcc_lo, v29, s8
	v_add_co_ci_u32_e32 v3, vcc_lo, s9, v30, vcc_lo
	global_load_b64 v[7:8], v[2:3], off
.LBB178_13:                             ;   in Loop: Header=BB178_9 Depth=1
	s_or_b32 exec_lo, exec_lo, s0
	v_add_co_u32 v5, vcc_lo, v27, s12
	v_add_co_ci_u32_e32 v6, vcc_lo, s13, v28, vcc_lo
	v_mov_b32_e32 v3, 0
	v_mov_b32_e32 v4, 0
	s_delay_alu instid0(VALU_DEP_3) | instskip(NEXT) | instid1(VALU_DEP_2)
	v_cmp_gt_u64_e64 s0, s[4:5], v[5:6]
	v_dual_mov_b32 v6, v4 :: v_dual_mov_b32 v5, v3
	s_delay_alu instid0(VALU_DEP_2)
	s_and_saveexec_b32 s3, s0
	s_cbranch_execz .LBB178_15
; %bb.14:                               ;   in Loop: Header=BB178_9 Depth=1
	v_add_co_u32 v5, vcc_lo, v21, s8
	v_add_co_ci_u32_e32 v6, vcc_lo, s9, v22, vcc_lo
	global_load_b64 v[5:6], v[5:6], off
.LBB178_15:                             ;   in Loop: Header=BB178_9 Depth=1
	s_or_b32 exec_lo, exec_lo, s3
	v_add_co_u32 v33, vcc_lo, v19, s12
	v_add_co_ci_u32_e32 v34, vcc_lo, s13, v20, vcc_lo
	s_delay_alu instid0(VALU_DEP_1)
	v_cmp_gt_u64_e32 vcc_lo, s[4:5], v[33:34]
	s_and_saveexec_b32 s37, vcc_lo
	s_cbranch_execnz .LBB178_20
; %bb.16:                               ;   in Loop: Header=BB178_9 Depth=1
	s_or_b32 exec_lo, exec_lo, s37
	s_and_saveexec_b32 s39, s2
	s_cbranch_execnz .LBB178_21
.LBB178_17:                             ;   in Loop: Header=BB178_9 Depth=1
	s_or_b32 exec_lo, exec_lo, s39
	s_and_saveexec_b32 s2, s1
	s_cbranch_execnz .LBB178_22
.LBB178_18:                             ;   in Loop: Header=BB178_9 Depth=1
	s_or_b32 exec_lo, exec_lo, s2
	s_and_saveexec_b32 s1, s0
	s_cbranch_execnz .LBB178_23
.LBB178_19:                             ;   in Loop: Header=BB178_9 Depth=1
	s_or_b32 exec_lo, exec_lo, s1
	s_and_saveexec_b32 s0, vcc_lo
	s_cbranch_execz .LBB178_8
	s_branch .LBB178_24
.LBB178_20:                             ;   in Loop: Header=BB178_9 Depth=1
	v_add_co_u32 v2, s3, v15, s8
	s_delay_alu instid0(VALU_DEP_1)
	v_add_co_ci_u32_e64 v3, s3, s9, v16, s3
	global_load_b64 v[3:4], v[2:3], off
	s_or_b32 exec_lo, exec_lo, s37
	s_and_saveexec_b32 s39, s2
	s_cbranch_execz .LBB178_17
.LBB178_21:                             ;   in Loop: Header=BB178_9 Depth=1
	s_waitcnt vmcnt(0)
	v_frexp_mant_f64_e32 v[33:34], v[9:10]
	v_frexp_exp_i32_f64_e32 v2, v[9:10]
	s_mov_b32 s37, s7
	s_delay_alu instid0(VALU_DEP_2) | instskip(NEXT) | instid1(VALU_DEP_1)
	v_cmp_gt_f64_e64 s2, s[6:7], v[33:34]
	v_subrev_co_ci_u32_e64 v47, s3, 0, v2, s2
	v_cndmask_b32_e64 v2, 0x3ff00000, 2.0, s2
	v_cmp_class_f64_e64 s2, v[9:10], 0x204
	s_delay_alu instid0(VALU_DEP_2) | instskip(NEXT) | instid1(VALU_DEP_1)
	v_mul_f64 v[33:34], v[33:34], v[1:2]
	v_add_f64 v[35:36], v[33:34], 1.0
	v_add_f64 v[41:42], v[33:34], -1.0
	s_delay_alu instid0(VALU_DEP_2) | instskip(SKIP_1) | instid1(VALU_DEP_1)
	v_rcp_f64_e32 v[37:38], v[35:36]
	v_add_f64 v[43:44], v[35:36], -1.0
	v_add_f64 v[33:34], v[33:34], -v[43:44]
	s_waitcnt_depctr 0xfff
	v_fma_f64 v[39:40], -v[35:36], v[37:38], 1.0
	s_delay_alu instid0(VALU_DEP_1) | instskip(NEXT) | instid1(VALU_DEP_1)
	v_fma_f64 v[37:38], v[39:40], v[37:38], v[37:38]
	v_fma_f64 v[39:40], -v[35:36], v[37:38], 1.0
	s_delay_alu instid0(VALU_DEP_1) | instskip(NEXT) | instid1(VALU_DEP_1)
	v_fma_f64 v[37:38], v[39:40], v[37:38], v[37:38]
	v_mul_f64 v[39:40], v[41:42], v[37:38]
	s_delay_alu instid0(VALU_DEP_1) | instskip(NEXT) | instid1(VALU_DEP_1)
	v_mul_f64 v[45:46], v[35:36], v[39:40]
	v_fma_f64 v[35:36], v[39:40], v[35:36], -v[45:46]
	s_delay_alu instid0(VALU_DEP_1) | instskip(NEXT) | instid1(VALU_DEP_1)
	v_fma_f64 v[33:34], v[39:40], v[33:34], v[35:36]
	v_add_f64 v[35:36], v[45:46], v[33:34]
	s_delay_alu instid0(VALU_DEP_1) | instskip(SKIP_1) | instid1(VALU_DEP_2)
	v_add_f64 v[43:44], v[41:42], -v[35:36]
	v_add_f64 v[45:46], v[35:36], -v[45:46]
	;; [unrolled: 1-line block ×3, first 2 shown]
	s_delay_alu instid0(VALU_DEP_2) | instskip(NEXT) | instid1(VALU_DEP_2)
	v_add_f64 v[33:34], v[45:46], -v[33:34]
	v_add_f64 v[35:36], v[41:42], -v[35:36]
	s_delay_alu instid0(VALU_DEP_1) | instskip(NEXT) | instid1(VALU_DEP_1)
	v_add_f64 v[33:34], v[33:34], v[35:36]
	v_add_f64 v[33:34], v[43:44], v[33:34]
	s_delay_alu instid0(VALU_DEP_1) | instskip(NEXT) | instid1(VALU_DEP_1)
	v_mul_f64 v[33:34], v[37:38], v[33:34]
	v_add_f64 v[35:36], v[39:40], v[33:34]
	s_delay_alu instid0(VALU_DEP_1) | instskip(NEXT) | instid1(VALU_DEP_1)
	v_mul_f64 v[37:38], v[35:36], v[35:36]
	v_fma_f64 v[41:42], v[37:38], s[20:21], s[18:19]
	v_mul_f64 v[43:44], v[35:36], v[37:38]
	s_delay_alu instid0(VALU_DEP_2) | instskip(NEXT) | instid1(VALU_DEP_1)
	v_fma_f64 v[41:42], v[37:38], v[41:42], s[22:23]
	v_fma_f64 v[41:42], v[37:38], v[41:42], s[24:25]
	s_delay_alu instid0(VALU_DEP_1) | instskip(NEXT) | instid1(VALU_DEP_1)
	v_fma_f64 v[41:42], v[37:38], v[41:42], s[26:27]
	v_fma_f64 v[41:42], v[37:38], v[41:42], s[28:29]
	s_delay_alu instid0(VALU_DEP_1) | instskip(SKIP_2) | instid1(VALU_DEP_3)
	v_fma_f64 v[37:38], v[37:38], v[41:42], s[36:37]
	v_ldexp_f64 v[41:42], v[35:36], 1
	v_add_f64 v[35:36], v[35:36], -v[39:40]
	v_mul_f64 v[37:38], v[43:44], v[37:38]
	s_delay_alu instid0(VALU_DEP_2) | instskip(NEXT) | instid1(VALU_DEP_2)
	v_add_f64 v[33:34], v[33:34], -v[35:36]
	v_add_f64 v[39:40], v[41:42], v[37:38]
	s_delay_alu instid0(VALU_DEP_2) | instskip(NEXT) | instid1(VALU_DEP_2)
	v_ldexp_f64 v[33:34], v[33:34], 1
	v_add_f64 v[35:36], v[39:40], -v[41:42]
	s_delay_alu instid0(VALU_DEP_1) | instskip(SKIP_1) | instid1(VALU_DEP_2)
	v_add_f64 v[35:36], v[37:38], -v[35:36]
	v_cvt_f64_i32_e32 v[37:38], v47
	v_add_f64 v[33:34], v[33:34], v[35:36]
	s_delay_alu instid0(VALU_DEP_2) | instskip(NEXT) | instid1(VALU_DEP_2)
	v_mul_f64 v[43:44], v[37:38], s[14:15]
	v_add_f64 v[35:36], v[39:40], v[33:34]
	s_delay_alu instid0(VALU_DEP_2) | instskip(NEXT) | instid1(VALU_DEP_2)
	v_fma_f64 v[45:46], v[37:38], s[14:15], -v[43:44]
	v_add_f64 v[39:40], v[35:36], -v[39:40]
	v_mul_f64 v[41:42], v[35:36], s[30:31]
	s_delay_alu instid0(VALU_DEP_3) | instskip(NEXT) | instid1(VALU_DEP_3)
	v_fma_f64 v[37:38], v[37:38], s[16:17], v[45:46]
	v_add_f64 v[33:34], v[33:34], -v[39:40]
	s_delay_alu instid0(VALU_DEP_3) | instskip(NEXT) | instid1(VALU_DEP_1)
	v_fma_f64 v[39:40], v[35:36], s[30:31], -v[41:42]
	v_fma_f64 v[33:34], v[33:34], s[30:31], v[39:40]
	s_delay_alu instid0(VALU_DEP_1) | instskip(SKIP_1) | instid1(VALU_DEP_2)
	v_fma_f64 v[33:34], v[35:36], s[34:35], v[33:34]
	v_add_f64 v[35:36], v[43:44], v[37:38]
	v_add_f64 v[39:40], v[41:42], v[33:34]
	s_delay_alu instid0(VALU_DEP_2) | instskip(NEXT) | instid1(VALU_DEP_2)
	v_add_f64 v[43:44], v[35:36], -v[43:44]
	v_add_f64 v[45:46], v[35:36], v[39:40]
	v_add_f64 v[41:42], v[39:40], -v[41:42]
	s_delay_alu instid0(VALU_DEP_3) | instskip(NEXT) | instid1(VALU_DEP_3)
	v_add_f64 v[37:38], v[37:38], -v[43:44]
	v_add_f64 v[47:48], v[45:46], -v[35:36]
	s_delay_alu instid0(VALU_DEP_3) | instskip(NEXT) | instid1(VALU_DEP_2)
	v_add_f64 v[33:34], v[33:34], -v[41:42]
	v_add_f64 v[49:50], v[45:46], -v[47:48]
	;; [unrolled: 1-line block ×3, first 2 shown]
	s_delay_alu instid0(VALU_DEP_3) | instskip(NEXT) | instid1(VALU_DEP_3)
	v_add_f64 v[41:42], v[37:38], v[33:34]
	v_add_f64 v[35:36], v[35:36], -v[49:50]
	s_delay_alu instid0(VALU_DEP_1) | instskip(NEXT) | instid1(VALU_DEP_3)
	v_add_f64 v[35:36], v[39:40], v[35:36]
	v_add_f64 v[39:40], v[41:42], -v[37:38]
	s_delay_alu instid0(VALU_DEP_2) | instskip(NEXT) | instid1(VALU_DEP_2)
	v_add_f64 v[35:36], v[41:42], v[35:36]
	v_add_f64 v[41:42], v[41:42], -v[39:40]
	v_add_f64 v[33:34], v[33:34], -v[39:40]
	s_delay_alu instid0(VALU_DEP_3) | instskip(NEXT) | instid1(VALU_DEP_3)
	v_add_f64 v[43:44], v[45:46], v[35:36]
	v_add_f64 v[37:38], v[37:38], -v[41:42]
	s_delay_alu instid0(VALU_DEP_2) | instskip(NEXT) | instid1(VALU_DEP_2)
	v_add_f64 v[39:40], v[43:44], -v[45:46]
	v_add_f64 v[33:34], v[33:34], v[37:38]
	s_delay_alu instid0(VALU_DEP_2) | instskip(NEXT) | instid1(VALU_DEP_1)
	v_add_f64 v[35:36], v[35:36], -v[39:40]
	v_add_f64 v[33:34], v[33:34], v[35:36]
	s_delay_alu instid0(VALU_DEP_1) | instskip(NEXT) | instid1(VALU_DEP_1)
	v_add_f64 v[33:34], v[43:44], v[33:34]
	v_cndmask_b32_e64 v2, v33, v9, s2
	s_delay_alu instid0(VALU_DEP_2) | instskip(SKIP_1) | instid1(VALU_DEP_1)
	v_cndmask_b32_e64 v33, v34, v10, s2
	v_cmp_ngt_f64_e64 s2, 0, v[9:10]
	v_cndmask_b32_e64 v34, 0x7ff80000, v33, s2
	v_cmp_nge_f64_e64 s2, 0, v[9:10]
	s_delay_alu instid0(VALU_DEP_1) | instskip(SKIP_1) | instid1(VALU_DEP_1)
	v_cndmask_b32_e64 v33, 0, v2, s2
	v_cmp_neq_f64_e64 s2, 0, v[9:10]
	v_cndmask_b32_e64 v34, 0xfff00000, v34, s2
	v_add_co_u32 v9, s2, v13, s8
	s_delay_alu instid0(VALU_DEP_1)
	v_add_co_ci_u32_e64 v10, s2, s9, v14, s2
	global_store_b64 v[9:10], v[33:34], off
	s_or_b32 exec_lo, exec_lo, s39
	s_and_saveexec_b32 s2, s1
	s_cbranch_execz .LBB178_18
.LBB178_22:                             ;   in Loop: Header=BB178_9 Depth=1
	s_waitcnt vmcnt(0)
	v_frexp_mant_f64_e32 v[9:10], v[7:8]
	s_mov_b32 s37, s7
	s_delay_alu instid0(VALU_DEP_1) | instskip(NEXT) | instid1(VALU_DEP_1)
	v_cmp_gt_f64_e64 s1, s[6:7], v[9:10]
	v_cndmask_b32_e64 v2, 0x3ff00000, 2.0, s1
	s_delay_alu instid0(VALU_DEP_1) | instskip(SKIP_1) | instid1(VALU_DEP_2)
	v_mul_f64 v[9:10], v[9:10], v[1:2]
	v_frexp_exp_i32_f64_e32 v2, v[7:8]
	v_add_f64 v[33:34], v[9:10], 1.0
	v_add_f64 v[39:40], v[9:10], -1.0
	s_delay_alu instid0(VALU_DEP_3) | instskip(SKIP_1) | instid1(VALU_DEP_4)
	v_subrev_co_ci_u32_e64 v2, s1, 0, v2, s1
	v_cmp_class_f64_e64 s1, v[7:8], 0x204
	v_rcp_f64_e32 v[35:36], v[33:34]
	v_add_f64 v[41:42], v[33:34], -1.0
	s_delay_alu instid0(VALU_DEP_1) | instskip(SKIP_2) | instid1(VALU_DEP_1)
	v_add_f64 v[9:10], v[9:10], -v[41:42]
	s_waitcnt_depctr 0xfff
	v_fma_f64 v[37:38], -v[33:34], v[35:36], 1.0
	v_fma_f64 v[35:36], v[37:38], v[35:36], v[35:36]
	s_delay_alu instid0(VALU_DEP_1) | instskip(NEXT) | instid1(VALU_DEP_1)
	v_fma_f64 v[37:38], -v[33:34], v[35:36], 1.0
	v_fma_f64 v[35:36], v[37:38], v[35:36], v[35:36]
	s_delay_alu instid0(VALU_DEP_1) | instskip(NEXT) | instid1(VALU_DEP_1)
	v_mul_f64 v[37:38], v[39:40], v[35:36]
	v_mul_f64 v[43:44], v[33:34], v[37:38]
	s_delay_alu instid0(VALU_DEP_1) | instskip(NEXT) | instid1(VALU_DEP_1)
	v_fma_f64 v[33:34], v[37:38], v[33:34], -v[43:44]
	v_fma_f64 v[9:10], v[37:38], v[9:10], v[33:34]
	s_delay_alu instid0(VALU_DEP_1) | instskip(NEXT) | instid1(VALU_DEP_1)
	v_add_f64 v[33:34], v[43:44], v[9:10]
	v_add_f64 v[41:42], v[39:40], -v[33:34]
	v_add_f64 v[43:44], v[33:34], -v[43:44]
	s_delay_alu instid0(VALU_DEP_2) | instskip(NEXT) | instid1(VALU_DEP_2)
	v_add_f64 v[39:40], v[39:40], -v[41:42]
	v_add_f64 v[9:10], v[43:44], -v[9:10]
	s_delay_alu instid0(VALU_DEP_2) | instskip(NEXT) | instid1(VALU_DEP_1)
	v_add_f64 v[33:34], v[39:40], -v[33:34]
	v_add_f64 v[9:10], v[9:10], v[33:34]
	s_delay_alu instid0(VALU_DEP_1) | instskip(NEXT) | instid1(VALU_DEP_1)
	v_add_f64 v[9:10], v[41:42], v[9:10]
	v_mul_f64 v[9:10], v[35:36], v[9:10]
	s_delay_alu instid0(VALU_DEP_1) | instskip(NEXT) | instid1(VALU_DEP_1)
	v_add_f64 v[33:34], v[37:38], v[9:10]
	v_mul_f64 v[35:36], v[33:34], v[33:34]
	s_delay_alu instid0(VALU_DEP_1) | instskip(SKIP_1) | instid1(VALU_DEP_2)
	v_fma_f64 v[39:40], v[35:36], s[20:21], s[18:19]
	v_mul_f64 v[41:42], v[33:34], v[35:36]
	v_fma_f64 v[39:40], v[35:36], v[39:40], s[22:23]
	s_delay_alu instid0(VALU_DEP_1) | instskip(NEXT) | instid1(VALU_DEP_1)
	v_fma_f64 v[39:40], v[35:36], v[39:40], s[24:25]
	v_fma_f64 v[39:40], v[35:36], v[39:40], s[26:27]
	s_delay_alu instid0(VALU_DEP_1) | instskip(NEXT) | instid1(VALU_DEP_1)
	v_fma_f64 v[39:40], v[35:36], v[39:40], s[28:29]
	v_fma_f64 v[35:36], v[35:36], v[39:40], s[36:37]
	v_ldexp_f64 v[39:40], v[33:34], 1
	v_add_f64 v[33:34], v[33:34], -v[37:38]
	s_delay_alu instid0(VALU_DEP_3) | instskip(NEXT) | instid1(VALU_DEP_2)
	v_mul_f64 v[35:36], v[41:42], v[35:36]
	v_add_f64 v[9:10], v[9:10], -v[33:34]
	s_delay_alu instid0(VALU_DEP_2) | instskip(NEXT) | instid1(VALU_DEP_2)
	v_add_f64 v[37:38], v[39:40], v[35:36]
	v_ldexp_f64 v[9:10], v[9:10], 1
	s_delay_alu instid0(VALU_DEP_2) | instskip(NEXT) | instid1(VALU_DEP_1)
	v_add_f64 v[33:34], v[37:38], -v[39:40]
	v_add_f64 v[33:34], v[35:36], -v[33:34]
	v_cvt_f64_i32_e32 v[35:36], v2
	s_delay_alu instid0(VALU_DEP_2) | instskip(NEXT) | instid1(VALU_DEP_2)
	v_add_f64 v[9:10], v[9:10], v[33:34]
	v_mul_f64 v[41:42], v[35:36], s[14:15]
	s_delay_alu instid0(VALU_DEP_2) | instskip(NEXT) | instid1(VALU_DEP_2)
	v_add_f64 v[33:34], v[37:38], v[9:10]
	v_fma_f64 v[43:44], v[35:36], s[14:15], -v[41:42]
	s_delay_alu instid0(VALU_DEP_2) | instskip(SKIP_1) | instid1(VALU_DEP_3)
	v_add_f64 v[37:38], v[33:34], -v[37:38]
	v_mul_f64 v[39:40], v[33:34], s[30:31]
	v_fma_f64 v[35:36], v[35:36], s[16:17], v[43:44]
	s_delay_alu instid0(VALU_DEP_3) | instskip(NEXT) | instid1(VALU_DEP_3)
	v_add_f64 v[9:10], v[9:10], -v[37:38]
	v_fma_f64 v[37:38], v[33:34], s[30:31], -v[39:40]
	s_delay_alu instid0(VALU_DEP_1) | instskip(NEXT) | instid1(VALU_DEP_1)
	v_fma_f64 v[9:10], v[9:10], s[30:31], v[37:38]
	v_fma_f64 v[9:10], v[33:34], s[34:35], v[9:10]
	v_add_f64 v[33:34], v[41:42], v[35:36]
	s_delay_alu instid0(VALU_DEP_2) | instskip(NEXT) | instid1(VALU_DEP_2)
	v_add_f64 v[37:38], v[39:40], v[9:10]
	v_add_f64 v[41:42], v[33:34], -v[41:42]
	s_delay_alu instid0(VALU_DEP_2) | instskip(SKIP_1) | instid1(VALU_DEP_3)
	v_add_f64 v[43:44], v[33:34], v[37:38]
	v_add_f64 v[39:40], v[37:38], -v[39:40]
	v_add_f64 v[35:36], v[35:36], -v[41:42]
	s_delay_alu instid0(VALU_DEP_3) | instskip(NEXT) | instid1(VALU_DEP_3)
	v_add_f64 v[45:46], v[43:44], -v[33:34]
	v_add_f64 v[9:10], v[9:10], -v[39:40]
	s_delay_alu instid0(VALU_DEP_2) | instskip(SKIP_1) | instid1(VALU_DEP_3)
	v_add_f64 v[47:48], v[43:44], -v[45:46]
	v_add_f64 v[37:38], v[37:38], -v[45:46]
	v_add_f64 v[39:40], v[35:36], v[9:10]
	s_delay_alu instid0(VALU_DEP_3) | instskip(NEXT) | instid1(VALU_DEP_1)
	v_add_f64 v[33:34], v[33:34], -v[47:48]
	v_add_f64 v[33:34], v[37:38], v[33:34]
	s_delay_alu instid0(VALU_DEP_3) | instskip(NEXT) | instid1(VALU_DEP_2)
	v_add_f64 v[37:38], v[39:40], -v[35:36]
	v_add_f64 v[33:34], v[39:40], v[33:34]
	s_delay_alu instid0(VALU_DEP_2) | instskip(SKIP_1) | instid1(VALU_DEP_3)
	v_add_f64 v[39:40], v[39:40], -v[37:38]
	v_add_f64 v[9:10], v[9:10], -v[37:38]
	v_add_f64 v[41:42], v[43:44], v[33:34]
	s_delay_alu instid0(VALU_DEP_3) | instskip(NEXT) | instid1(VALU_DEP_2)
	v_add_f64 v[35:36], v[35:36], -v[39:40]
	v_add_f64 v[37:38], v[41:42], -v[43:44]
	s_delay_alu instid0(VALU_DEP_2) | instskip(NEXT) | instid1(VALU_DEP_2)
	v_add_f64 v[9:10], v[9:10], v[35:36]
	v_add_f64 v[33:34], v[33:34], -v[37:38]
	s_delay_alu instid0(VALU_DEP_1) | instskip(NEXT) | instid1(VALU_DEP_1)
	v_add_f64 v[9:10], v[9:10], v[33:34]
	v_add_f64 v[9:10], v[41:42], v[9:10]
	s_delay_alu instid0(VALU_DEP_1) | instskip(NEXT) | instid1(VALU_DEP_2)
	v_cndmask_b32_e64 v2, v9, v7, s1
	v_cndmask_b32_e64 v9, v10, v8, s1
	v_cmp_ngt_f64_e64 s1, 0, v[7:8]
	s_delay_alu instid0(VALU_DEP_1) | instskip(SKIP_1) | instid1(VALU_DEP_1)
	v_cndmask_b32_e64 v10, 0x7ff80000, v9, s1
	v_cmp_nge_f64_e64 s1, 0, v[7:8]
	v_cndmask_b32_e64 v9, 0, v2, s1
	v_cmp_neq_f64_e64 s1, 0, v[7:8]
	s_delay_alu instid0(VALU_DEP_1) | instskip(SKIP_1) | instid1(VALU_DEP_1)
	v_cndmask_b32_e64 v10, 0xfff00000, v10, s1
	v_add_co_u32 v7, s1, v31, s8
	v_add_co_ci_u32_e64 v8, s1, s9, v32, s1
	global_store_b64 v[7:8], v[9:10], off
	s_or_b32 exec_lo, exec_lo, s2
	s_and_saveexec_b32 s1, s0
	s_cbranch_execz .LBB178_19
.LBB178_23:                             ;   in Loop: Header=BB178_9 Depth=1
	s_waitcnt vmcnt(0)
	v_frexp_mant_f64_e32 v[7:8], v[5:6]
	s_mov_b32 s37, s7
	s_delay_alu instid0(VALU_DEP_1) | instskip(NEXT) | instid1(VALU_DEP_1)
	v_cmp_gt_f64_e64 s0, s[6:7], v[7:8]
	v_cndmask_b32_e64 v2, 0x3ff00000, 2.0, s0
	s_delay_alu instid0(VALU_DEP_1) | instskip(SKIP_1) | instid1(VALU_DEP_2)
	v_mul_f64 v[7:8], v[7:8], v[1:2]
	v_frexp_exp_i32_f64_e32 v2, v[5:6]
	v_add_f64 v[9:10], v[7:8], 1.0
	v_add_f64 v[37:38], v[7:8], -1.0
	s_delay_alu instid0(VALU_DEP_3) | instskip(SKIP_1) | instid1(VALU_DEP_4)
	v_subrev_co_ci_u32_e64 v2, s0, 0, v2, s0
	v_cmp_class_f64_e64 s0, v[5:6], 0x204
	v_rcp_f64_e32 v[33:34], v[9:10]
	v_add_f64 v[39:40], v[9:10], -1.0
	s_delay_alu instid0(VALU_DEP_1) | instskip(SKIP_2) | instid1(VALU_DEP_1)
	v_add_f64 v[7:8], v[7:8], -v[39:40]
	s_waitcnt_depctr 0xfff
	v_fma_f64 v[35:36], -v[9:10], v[33:34], 1.0
	v_fma_f64 v[33:34], v[35:36], v[33:34], v[33:34]
	s_delay_alu instid0(VALU_DEP_1) | instskip(NEXT) | instid1(VALU_DEP_1)
	v_fma_f64 v[35:36], -v[9:10], v[33:34], 1.0
	v_fma_f64 v[33:34], v[35:36], v[33:34], v[33:34]
	s_delay_alu instid0(VALU_DEP_1) | instskip(NEXT) | instid1(VALU_DEP_1)
	v_mul_f64 v[35:36], v[37:38], v[33:34]
	v_mul_f64 v[41:42], v[9:10], v[35:36]
	s_delay_alu instid0(VALU_DEP_1) | instskip(NEXT) | instid1(VALU_DEP_1)
	v_fma_f64 v[9:10], v[35:36], v[9:10], -v[41:42]
	v_fma_f64 v[7:8], v[35:36], v[7:8], v[9:10]
	s_delay_alu instid0(VALU_DEP_1) | instskip(NEXT) | instid1(VALU_DEP_1)
	v_add_f64 v[9:10], v[41:42], v[7:8]
	v_add_f64 v[39:40], v[37:38], -v[9:10]
	v_add_f64 v[41:42], v[9:10], -v[41:42]
	s_delay_alu instid0(VALU_DEP_2) | instskip(NEXT) | instid1(VALU_DEP_2)
	v_add_f64 v[37:38], v[37:38], -v[39:40]
	v_add_f64 v[7:8], v[41:42], -v[7:8]
	s_delay_alu instid0(VALU_DEP_2) | instskip(NEXT) | instid1(VALU_DEP_1)
	v_add_f64 v[9:10], v[37:38], -v[9:10]
	v_add_f64 v[7:8], v[7:8], v[9:10]
	s_delay_alu instid0(VALU_DEP_1) | instskip(NEXT) | instid1(VALU_DEP_1)
	v_add_f64 v[7:8], v[39:40], v[7:8]
	v_mul_f64 v[7:8], v[33:34], v[7:8]
	s_delay_alu instid0(VALU_DEP_1) | instskip(NEXT) | instid1(VALU_DEP_1)
	v_add_f64 v[9:10], v[35:36], v[7:8]
	v_mul_f64 v[33:34], v[9:10], v[9:10]
	s_delay_alu instid0(VALU_DEP_1) | instskip(SKIP_1) | instid1(VALU_DEP_2)
	v_fma_f64 v[37:38], v[33:34], s[20:21], s[18:19]
	v_mul_f64 v[39:40], v[9:10], v[33:34]
	v_fma_f64 v[37:38], v[33:34], v[37:38], s[22:23]
	s_delay_alu instid0(VALU_DEP_1) | instskip(NEXT) | instid1(VALU_DEP_1)
	v_fma_f64 v[37:38], v[33:34], v[37:38], s[24:25]
	v_fma_f64 v[37:38], v[33:34], v[37:38], s[26:27]
	s_delay_alu instid0(VALU_DEP_1) | instskip(NEXT) | instid1(VALU_DEP_1)
	v_fma_f64 v[37:38], v[33:34], v[37:38], s[28:29]
	v_fma_f64 v[33:34], v[33:34], v[37:38], s[36:37]
	v_ldexp_f64 v[37:38], v[9:10], 1
	v_add_f64 v[9:10], v[9:10], -v[35:36]
	s_delay_alu instid0(VALU_DEP_3) | instskip(NEXT) | instid1(VALU_DEP_2)
	v_mul_f64 v[33:34], v[39:40], v[33:34]
	v_add_f64 v[7:8], v[7:8], -v[9:10]
	s_delay_alu instid0(VALU_DEP_2) | instskip(NEXT) | instid1(VALU_DEP_2)
	v_add_f64 v[35:36], v[37:38], v[33:34]
	v_ldexp_f64 v[7:8], v[7:8], 1
	s_delay_alu instid0(VALU_DEP_2) | instskip(NEXT) | instid1(VALU_DEP_1)
	v_add_f64 v[9:10], v[35:36], -v[37:38]
	v_add_f64 v[9:10], v[33:34], -v[9:10]
	v_cvt_f64_i32_e32 v[33:34], v2
	s_delay_alu instid0(VALU_DEP_2) | instskip(NEXT) | instid1(VALU_DEP_2)
	v_add_f64 v[7:8], v[7:8], v[9:10]
	v_mul_f64 v[39:40], v[33:34], s[14:15]
	s_delay_alu instid0(VALU_DEP_2) | instskip(NEXT) | instid1(VALU_DEP_2)
	v_add_f64 v[9:10], v[35:36], v[7:8]
	v_fma_f64 v[41:42], v[33:34], s[14:15], -v[39:40]
	s_delay_alu instid0(VALU_DEP_2) | instskip(SKIP_1) | instid1(VALU_DEP_3)
	v_add_f64 v[35:36], v[9:10], -v[35:36]
	v_mul_f64 v[37:38], v[9:10], s[30:31]
	v_fma_f64 v[33:34], v[33:34], s[16:17], v[41:42]
	s_delay_alu instid0(VALU_DEP_3) | instskip(NEXT) | instid1(VALU_DEP_3)
	v_add_f64 v[7:8], v[7:8], -v[35:36]
	v_fma_f64 v[35:36], v[9:10], s[30:31], -v[37:38]
	s_delay_alu instid0(VALU_DEP_1) | instskip(NEXT) | instid1(VALU_DEP_1)
	v_fma_f64 v[7:8], v[7:8], s[30:31], v[35:36]
	v_fma_f64 v[7:8], v[9:10], s[34:35], v[7:8]
	v_add_f64 v[9:10], v[39:40], v[33:34]
	s_delay_alu instid0(VALU_DEP_2) | instskip(NEXT) | instid1(VALU_DEP_2)
	v_add_f64 v[35:36], v[37:38], v[7:8]
	v_add_f64 v[39:40], v[9:10], -v[39:40]
	s_delay_alu instid0(VALU_DEP_2) | instskip(SKIP_1) | instid1(VALU_DEP_3)
	v_add_f64 v[41:42], v[9:10], v[35:36]
	v_add_f64 v[37:38], v[35:36], -v[37:38]
	v_add_f64 v[33:34], v[33:34], -v[39:40]
	s_delay_alu instid0(VALU_DEP_3) | instskip(NEXT) | instid1(VALU_DEP_3)
	v_add_f64 v[43:44], v[41:42], -v[9:10]
	v_add_f64 v[7:8], v[7:8], -v[37:38]
	s_delay_alu instid0(VALU_DEP_2) | instskip(SKIP_1) | instid1(VALU_DEP_3)
	v_add_f64 v[45:46], v[41:42], -v[43:44]
	v_add_f64 v[35:36], v[35:36], -v[43:44]
	v_add_f64 v[37:38], v[33:34], v[7:8]
	s_delay_alu instid0(VALU_DEP_3) | instskip(NEXT) | instid1(VALU_DEP_1)
	v_add_f64 v[9:10], v[9:10], -v[45:46]
	v_add_f64 v[9:10], v[35:36], v[9:10]
	s_delay_alu instid0(VALU_DEP_3) | instskip(NEXT) | instid1(VALU_DEP_2)
	v_add_f64 v[35:36], v[37:38], -v[33:34]
	v_add_f64 v[9:10], v[37:38], v[9:10]
	s_delay_alu instid0(VALU_DEP_2) | instskip(SKIP_1) | instid1(VALU_DEP_3)
	v_add_f64 v[37:38], v[37:38], -v[35:36]
	v_add_f64 v[7:8], v[7:8], -v[35:36]
	v_add_f64 v[39:40], v[41:42], v[9:10]
	s_delay_alu instid0(VALU_DEP_3) | instskip(NEXT) | instid1(VALU_DEP_2)
	v_add_f64 v[33:34], v[33:34], -v[37:38]
	v_add_f64 v[35:36], v[39:40], -v[41:42]
	s_delay_alu instid0(VALU_DEP_2) | instskip(NEXT) | instid1(VALU_DEP_2)
	v_add_f64 v[7:8], v[7:8], v[33:34]
	v_add_f64 v[9:10], v[9:10], -v[35:36]
	s_delay_alu instid0(VALU_DEP_1) | instskip(NEXT) | instid1(VALU_DEP_1)
	v_add_f64 v[7:8], v[7:8], v[9:10]
	v_add_f64 v[7:8], v[39:40], v[7:8]
	s_delay_alu instid0(VALU_DEP_1) | instskip(NEXT) | instid1(VALU_DEP_2)
	v_cndmask_b32_e64 v2, v7, v5, s0
	v_cndmask_b32_e64 v7, v8, v6, s0
	v_cmp_ngt_f64_e64 s0, 0, v[5:6]
	s_delay_alu instid0(VALU_DEP_1) | instskip(SKIP_1) | instid1(VALU_DEP_1)
	v_cndmask_b32_e64 v8, 0x7ff80000, v7, s0
	v_cmp_nge_f64_e64 s0, 0, v[5:6]
	v_cndmask_b32_e64 v7, 0, v2, s0
	v_cmp_neq_f64_e64 s0, 0, v[5:6]
	s_delay_alu instid0(VALU_DEP_1) | instskip(SKIP_1) | instid1(VALU_DEP_1)
	v_cndmask_b32_e64 v8, 0xfff00000, v8, s0
	v_add_co_u32 v5, s0, v24, s8
	v_add_co_ci_u32_e64 v6, s0, s9, v25, s0
	global_store_b64 v[5:6], v[7:8], off
	s_or_b32 exec_lo, exec_lo, s1
	s_and_saveexec_b32 s0, vcc_lo
	s_cbranch_execz .LBB178_8
.LBB178_24:                             ;   in Loop: Header=BB178_9 Depth=1
	s_waitcnt vmcnt(0)
	v_frexp_mant_f64_e32 v[5:6], v[3:4]
	s_mov_b32 s37, s7
	s_delay_alu instid0(VALU_DEP_1) | instskip(SKIP_1) | instid1(VALU_DEP_1)
	v_cmp_gt_f64_e32 vcc_lo, s[6:7], v[5:6]
	v_cndmask_b32_e64 v2, 0x3ff00000, 2.0, vcc_lo
	v_mul_f64 v[5:6], v[5:6], v[1:2]
	v_frexp_exp_i32_f64_e32 v2, v[3:4]
	s_delay_alu instid0(VALU_DEP_2) | instskip(SKIP_1) | instid1(VALU_DEP_3)
	v_add_f64 v[7:8], v[5:6], 1.0
	v_add_f64 v[35:36], v[5:6], -1.0
	v_subrev_co_ci_u32_e32 v2, vcc_lo, 0, v2, vcc_lo
	v_cmp_class_f64_e64 vcc_lo, v[3:4], 0x204
	s_delay_alu instid0(VALU_DEP_4) | instskip(SKIP_1) | instid1(VALU_DEP_1)
	v_rcp_f64_e32 v[9:10], v[7:8]
	v_add_f64 v[37:38], v[7:8], -1.0
	v_add_f64 v[5:6], v[5:6], -v[37:38]
	s_waitcnt_depctr 0xfff
	v_fma_f64 v[33:34], -v[7:8], v[9:10], 1.0
	s_delay_alu instid0(VALU_DEP_1) | instskip(NEXT) | instid1(VALU_DEP_1)
	v_fma_f64 v[9:10], v[33:34], v[9:10], v[9:10]
	v_fma_f64 v[33:34], -v[7:8], v[9:10], 1.0
	s_delay_alu instid0(VALU_DEP_1) | instskip(NEXT) | instid1(VALU_DEP_1)
	v_fma_f64 v[9:10], v[33:34], v[9:10], v[9:10]
	v_mul_f64 v[33:34], v[35:36], v[9:10]
	s_delay_alu instid0(VALU_DEP_1) | instskip(NEXT) | instid1(VALU_DEP_1)
	v_mul_f64 v[39:40], v[7:8], v[33:34]
	v_fma_f64 v[7:8], v[33:34], v[7:8], -v[39:40]
	s_delay_alu instid0(VALU_DEP_1) | instskip(NEXT) | instid1(VALU_DEP_1)
	v_fma_f64 v[5:6], v[33:34], v[5:6], v[7:8]
	v_add_f64 v[7:8], v[39:40], v[5:6]
	s_delay_alu instid0(VALU_DEP_1) | instskip(SKIP_1) | instid1(VALU_DEP_2)
	v_add_f64 v[37:38], v[35:36], -v[7:8]
	v_add_f64 v[39:40], v[7:8], -v[39:40]
	;; [unrolled: 1-line block ×3, first 2 shown]
	s_delay_alu instid0(VALU_DEP_2) | instskip(NEXT) | instid1(VALU_DEP_2)
	v_add_f64 v[5:6], v[39:40], -v[5:6]
	v_add_f64 v[7:8], v[35:36], -v[7:8]
	s_delay_alu instid0(VALU_DEP_1) | instskip(NEXT) | instid1(VALU_DEP_1)
	v_add_f64 v[5:6], v[5:6], v[7:8]
	v_add_f64 v[5:6], v[37:38], v[5:6]
	s_delay_alu instid0(VALU_DEP_1) | instskip(NEXT) | instid1(VALU_DEP_1)
	v_mul_f64 v[5:6], v[9:10], v[5:6]
	v_add_f64 v[7:8], v[33:34], v[5:6]
	s_delay_alu instid0(VALU_DEP_1) | instskip(NEXT) | instid1(VALU_DEP_1)
	v_mul_f64 v[9:10], v[7:8], v[7:8]
	v_fma_f64 v[35:36], v[9:10], s[20:21], s[18:19]
	v_mul_f64 v[37:38], v[7:8], v[9:10]
	s_delay_alu instid0(VALU_DEP_2) | instskip(NEXT) | instid1(VALU_DEP_1)
	v_fma_f64 v[35:36], v[9:10], v[35:36], s[22:23]
	v_fma_f64 v[35:36], v[9:10], v[35:36], s[24:25]
	s_delay_alu instid0(VALU_DEP_1) | instskip(NEXT) | instid1(VALU_DEP_1)
	v_fma_f64 v[35:36], v[9:10], v[35:36], s[26:27]
	v_fma_f64 v[35:36], v[9:10], v[35:36], s[28:29]
	s_delay_alu instid0(VALU_DEP_1) | instskip(SKIP_2) | instid1(VALU_DEP_3)
	v_fma_f64 v[9:10], v[9:10], v[35:36], s[36:37]
	v_ldexp_f64 v[35:36], v[7:8], 1
	v_add_f64 v[7:8], v[7:8], -v[33:34]
	v_mul_f64 v[9:10], v[37:38], v[9:10]
	s_delay_alu instid0(VALU_DEP_2) | instskip(NEXT) | instid1(VALU_DEP_2)
	v_add_f64 v[5:6], v[5:6], -v[7:8]
	v_add_f64 v[33:34], v[35:36], v[9:10]
	s_delay_alu instid0(VALU_DEP_2) | instskip(NEXT) | instid1(VALU_DEP_2)
	v_ldexp_f64 v[5:6], v[5:6], 1
	v_add_f64 v[7:8], v[33:34], -v[35:36]
	s_delay_alu instid0(VALU_DEP_1) | instskip(SKIP_1) | instid1(VALU_DEP_2)
	v_add_f64 v[7:8], v[9:10], -v[7:8]
	v_cvt_f64_i32_e32 v[9:10], v2
	v_add_f64 v[5:6], v[5:6], v[7:8]
	s_delay_alu instid0(VALU_DEP_2) | instskip(NEXT) | instid1(VALU_DEP_2)
	v_mul_f64 v[37:38], v[9:10], s[14:15]
	v_add_f64 v[7:8], v[33:34], v[5:6]
	s_delay_alu instid0(VALU_DEP_2) | instskip(NEXT) | instid1(VALU_DEP_2)
	v_fma_f64 v[39:40], v[9:10], s[14:15], -v[37:38]
	v_add_f64 v[33:34], v[7:8], -v[33:34]
	v_mul_f64 v[35:36], v[7:8], s[30:31]
	s_delay_alu instid0(VALU_DEP_3) | instskip(NEXT) | instid1(VALU_DEP_3)
	v_fma_f64 v[9:10], v[9:10], s[16:17], v[39:40]
	v_add_f64 v[5:6], v[5:6], -v[33:34]
	s_delay_alu instid0(VALU_DEP_3) | instskip(NEXT) | instid1(VALU_DEP_1)
	v_fma_f64 v[33:34], v[7:8], s[30:31], -v[35:36]
	v_fma_f64 v[5:6], v[5:6], s[30:31], v[33:34]
	s_delay_alu instid0(VALU_DEP_1) | instskip(SKIP_1) | instid1(VALU_DEP_2)
	v_fma_f64 v[5:6], v[7:8], s[34:35], v[5:6]
	v_add_f64 v[7:8], v[37:38], v[9:10]
	v_add_f64 v[33:34], v[35:36], v[5:6]
	s_delay_alu instid0(VALU_DEP_2) | instskip(NEXT) | instid1(VALU_DEP_2)
	v_add_f64 v[37:38], v[7:8], -v[37:38]
	v_add_f64 v[39:40], v[7:8], v[33:34]
	v_add_f64 v[35:36], v[33:34], -v[35:36]
	s_delay_alu instid0(VALU_DEP_3) | instskip(NEXT) | instid1(VALU_DEP_3)
	v_add_f64 v[9:10], v[9:10], -v[37:38]
	v_add_f64 v[41:42], v[39:40], -v[7:8]
	s_delay_alu instid0(VALU_DEP_3) | instskip(NEXT) | instid1(VALU_DEP_2)
	v_add_f64 v[5:6], v[5:6], -v[35:36]
	v_add_f64 v[43:44], v[39:40], -v[41:42]
	;; [unrolled: 1-line block ×3, first 2 shown]
	s_delay_alu instid0(VALU_DEP_3) | instskip(NEXT) | instid1(VALU_DEP_3)
	v_add_f64 v[35:36], v[9:10], v[5:6]
	v_add_f64 v[7:8], v[7:8], -v[43:44]
	s_delay_alu instid0(VALU_DEP_1) | instskip(NEXT) | instid1(VALU_DEP_3)
	v_add_f64 v[7:8], v[33:34], v[7:8]
	v_add_f64 v[33:34], v[35:36], -v[9:10]
	s_delay_alu instid0(VALU_DEP_2) | instskip(NEXT) | instid1(VALU_DEP_2)
	v_add_f64 v[7:8], v[35:36], v[7:8]
	v_add_f64 v[35:36], v[35:36], -v[33:34]
	v_add_f64 v[5:6], v[5:6], -v[33:34]
	s_delay_alu instid0(VALU_DEP_3) | instskip(NEXT) | instid1(VALU_DEP_3)
	v_add_f64 v[37:38], v[39:40], v[7:8]
	v_add_f64 v[9:10], v[9:10], -v[35:36]
	s_delay_alu instid0(VALU_DEP_2) | instskip(NEXT) | instid1(VALU_DEP_2)
	v_add_f64 v[33:34], v[37:38], -v[39:40]
	v_add_f64 v[5:6], v[5:6], v[9:10]
	s_delay_alu instid0(VALU_DEP_2) | instskip(NEXT) | instid1(VALU_DEP_1)
	v_add_f64 v[7:8], v[7:8], -v[33:34]
	v_add_f64 v[5:6], v[5:6], v[7:8]
	s_delay_alu instid0(VALU_DEP_1) | instskip(NEXT) | instid1(VALU_DEP_1)
	v_add_f64 v[5:6], v[37:38], v[5:6]
	v_dual_cndmask_b32 v2, v5, v3 :: v_dual_cndmask_b32 v5, v6, v4
	v_cmp_ngt_f64_e32 vcc_lo, 0, v[3:4]
	s_delay_alu instid0(VALU_DEP_2) | instskip(SKIP_1) | instid1(VALU_DEP_4)
	v_cndmask_b32_e32 v5, 0x7ff80000, v5, vcc_lo
	v_cmp_nge_f64_e32 vcc_lo, 0, v[3:4]
	v_cndmask_b32_e32 v2, 0, v2, vcc_lo
	v_cmp_neq_f64_e32 vcc_lo, 0, v[3:4]
	s_delay_alu instid0(VALU_DEP_4)
	v_cndmask_b32_e32 v3, 0xfff00000, v5, vcc_lo
	v_add_co_u32 v4, vcc_lo, v17, s8
	v_add_co_ci_u32_e32 v5, vcc_lo, s9, v18, vcc_lo
	global_store_b64 v[4:5], v[2:3], off
	s_branch .LBB178_8
.LBB178_25:
	s_nop 0
	s_sendmsg sendmsg(MSG_DEALLOC_VGPRS)
	s_endpgm
	.section	.rodata,"a",@progbits
	.p2align	6, 0x0
	.amdhsa_kernel _ZN2at6native12_GLOBAL__N_125multi_tensor_apply_kernelINS1_18TensorListMetadataILi2EEENS1_14UnaryOpFunctorIdLi2ELi1ELi1EEEJNS0_5Log10IdEEEEEvT_T0_DpT1_
		.amdhsa_group_segment_fixed_size 0
		.amdhsa_private_segment_fixed_size 0
		.amdhsa_kernarg_size 3408
		.amdhsa_user_sgpr_count 15
		.amdhsa_user_sgpr_dispatch_ptr 0
		.amdhsa_user_sgpr_queue_ptr 0
		.amdhsa_user_sgpr_kernarg_segment_ptr 1
		.amdhsa_user_sgpr_dispatch_id 0
		.amdhsa_user_sgpr_private_segment_size 0
		.amdhsa_wavefront_size32 1
		.amdhsa_uses_dynamic_stack 0
		.amdhsa_enable_private_segment 0
		.amdhsa_system_sgpr_workgroup_id_x 1
		.amdhsa_system_sgpr_workgroup_id_y 0
		.amdhsa_system_sgpr_workgroup_id_z 0
		.amdhsa_system_sgpr_workgroup_info 0
		.amdhsa_system_vgpr_workitem_id 0
		.amdhsa_next_free_vgpr 86
		.amdhsa_next_free_sgpr 49
		.amdhsa_reserve_vcc 1
		.amdhsa_float_round_mode_32 0
		.amdhsa_float_round_mode_16_64 0
		.amdhsa_float_denorm_mode_32 3
		.amdhsa_float_denorm_mode_16_64 3
		.amdhsa_dx10_clamp 1
		.amdhsa_ieee_mode 1
		.amdhsa_fp16_overflow 0
		.amdhsa_workgroup_processor_mode 1
		.amdhsa_memory_ordered 1
		.amdhsa_forward_progress 0
		.amdhsa_shared_vgpr_count 0
		.amdhsa_exception_fp_ieee_invalid_op 0
		.amdhsa_exception_fp_denorm_src 0
		.amdhsa_exception_fp_ieee_div_zero 0
		.amdhsa_exception_fp_ieee_overflow 0
		.amdhsa_exception_fp_ieee_underflow 0
		.amdhsa_exception_fp_ieee_inexact 0
		.amdhsa_exception_int_div_zero 0
	.end_amdhsa_kernel
	.section	.text._ZN2at6native12_GLOBAL__N_125multi_tensor_apply_kernelINS1_18TensorListMetadataILi2EEENS1_14UnaryOpFunctorIdLi2ELi1ELi1EEEJNS0_5Log10IdEEEEEvT_T0_DpT1_,"axG",@progbits,_ZN2at6native12_GLOBAL__N_125multi_tensor_apply_kernelINS1_18TensorListMetadataILi2EEENS1_14UnaryOpFunctorIdLi2ELi1ELi1EEEJNS0_5Log10IdEEEEEvT_T0_DpT1_,comdat
.Lfunc_end178:
	.size	_ZN2at6native12_GLOBAL__N_125multi_tensor_apply_kernelINS1_18TensorListMetadataILi2EEENS1_14UnaryOpFunctorIdLi2ELi1ELi1EEEJNS0_5Log10IdEEEEEvT_T0_DpT1_, .Lfunc_end178-_ZN2at6native12_GLOBAL__N_125multi_tensor_apply_kernelINS1_18TensorListMetadataILi2EEENS1_14UnaryOpFunctorIdLi2ELi1ELi1EEEJNS0_5Log10IdEEEEEvT_T0_DpT1_
                                        ; -- End function
	.section	.AMDGPU.csdata,"",@progbits
; Kernel info:
; codeLenInByte = 8228
; NumSgprs: 51
; NumVgprs: 86
; ScratchSize: 0
; MemoryBound: 0
; FloatMode: 240
; IeeeMode: 1
; LDSByteSize: 0 bytes/workgroup (compile time only)
; SGPRBlocks: 6
; VGPRBlocks: 10
; NumSGPRsForWavesPerEU: 51
; NumVGPRsForWavesPerEU: 86
; Occupancy: 16
; WaveLimiterHint : 0
; COMPUTE_PGM_RSRC2:SCRATCH_EN: 0
; COMPUTE_PGM_RSRC2:USER_SGPR: 15
; COMPUTE_PGM_RSRC2:TRAP_HANDLER: 0
; COMPUTE_PGM_RSRC2:TGID_X_EN: 1
; COMPUTE_PGM_RSRC2:TGID_Y_EN: 0
; COMPUTE_PGM_RSRC2:TGID_Z_EN: 0
; COMPUTE_PGM_RSRC2:TIDIG_COMP_CNT: 0
	.section	.text._ZN2at6native12_GLOBAL__N_125multi_tensor_apply_kernelINS1_18TensorListMetadataILi2EEENS1_14UnaryOpFunctorIfLi2ELi1ELi1EEEJNS0_5Log10IfEEEEEvT_T0_DpT1_,"axG",@progbits,_ZN2at6native12_GLOBAL__N_125multi_tensor_apply_kernelINS1_18TensorListMetadataILi2EEENS1_14UnaryOpFunctorIfLi2ELi1ELi1EEEJNS0_5Log10IfEEEEEvT_T0_DpT1_,comdat
	.globl	_ZN2at6native12_GLOBAL__N_125multi_tensor_apply_kernelINS1_18TensorListMetadataILi2EEENS1_14UnaryOpFunctorIfLi2ELi1ELi1EEEJNS0_5Log10IfEEEEEvT_T0_DpT1_ ; -- Begin function _ZN2at6native12_GLOBAL__N_125multi_tensor_apply_kernelINS1_18TensorListMetadataILi2EEENS1_14UnaryOpFunctorIfLi2ELi1ELi1EEEJNS0_5Log10IfEEEEEvT_T0_DpT1_
	.p2align	8
	.type	_ZN2at6native12_GLOBAL__N_125multi_tensor_apply_kernelINS1_18TensorListMetadataILi2EEENS1_14UnaryOpFunctorIfLi2ELi1ELi1EEEJNS0_5Log10IfEEEEEvT_T0_DpT1_,@function
_ZN2at6native12_GLOBAL__N_125multi_tensor_apply_kernelINS1_18TensorListMetadataILi2EEENS1_14UnaryOpFunctorIfLi2ELi1ELi1EEEJNS0_5Log10IfEEEEEvT_T0_DpT1_: ; @_ZN2at6native12_GLOBAL__N_125multi_tensor_apply_kernelINS1_18TensorListMetadataILi2EEENS1_14UnaryOpFunctorIfLi2ELi1ELi1EEEJNS0_5Log10IfEEEEEvT_T0_DpT1_
; %bb.0:
	v_mov_b32_e32 v1, s15
	s_add_u32 s2, s0, s15
	s_mul_hi_u32 s3, s15, 3
	s_mul_i32 s15, s15, 3
	s_addc_u32 s4, s1, 0
	global_load_u8 v1, v1, s[0:1] offset:1536
	s_add_u32 s2, s2, s15
	s_addc_u32 s3, s4, s3
	s_mov_b32 s19, 0
	s_load_b32 s2, s[2:3], 0x740
	s_mov_b32 s21, s19
	s_mov_b32 s23, s19
	s_waitcnt vmcnt(0)
	v_readfirstlane_b32 s5, v1
	s_delay_alu instid0(VALU_DEP_1)
	s_lshl_b32 s3, s5, 3
	s_clause 0x2
	s_load_b64 s[10:11], s[0:1], s3 offset:0x0
	s_load_b64 s[12:13], s[0:1], s3 offset:0x200
	;; [unrolled: 1-line block ×3, first 2 shown]
	s_waitcnt lgkmcnt(0)
	s_ashr_i32 s3, s2, 31
	s_delay_alu instid0(SALU_CYCLE_1) | instskip(NEXT) | instid1(SALU_CYCLE_1)
	s_lshl_b64 s[6:7], s[2:3], 18
	s_add_u32 s5, s10, s6
	s_addc_u32 s14, s11, s7
	s_and_b32 s18, s5, 15
	s_add_u32 s15, s12, s6
	s_addc_u32 s16, s13, s7
	s_and_b32 s20, s8, 3
	s_and_b32 s22, s15, 15
	s_or_b64 s[18:19], s[18:19], s[20:21]
	s_lshl_b64 s[2:3], s[2:3], 16
	s_or_b64 s[18:19], s[22:23], s[18:19]
	s_sub_u32 s8, s8, s2
	s_subb_u32 s9, s9, s3
	s_cmp_eq_u64 s[18:19], 0
	s_mov_b32 s2, -1
	s_cbranch_scc0 .LBB179_5
; %bb.1:
	v_dual_mov_b32 v2, 0 :: v_dual_lshlrev_b32 v1, 2, v0
	s_mov_b32 s17, exec_lo
	s_delay_alu instid0(VALU_DEP_1)
	v_cmpx_gt_i64_e64 s[8:9], v[1:2]
	s_cbranch_execz .LBB179_4
; %bb.2:
	s_load_b32 s2, s[0:1], 0xc5c
	v_lshlrev_b32_e32 v3, 4, v0
	s_mov_b32 s18, 0
	s_waitcnt lgkmcnt(0)
	s_and_b32 s2, s2, 0xffff
	s_delay_alu instid0(SALU_CYCLE_1)
	v_add_lshl_u32 v1, v0, s2, 2
	s_lshl_b32 s19, s2, 2
	s_lshl_b32 s20, s2, 4
.LBB179_3:                              ; =>This Inner Loop Header: Depth=1
	v_add_co_u32 v4, s2, s5, v3
	s_delay_alu instid0(VALU_DEP_1)
	v_add_co_ci_u32_e64 v5, null, s14, 0, s2
	v_cmp_le_i64_e32 vcc_lo, s[8:9], v[1:2]
	v_cmp_lt_u64_e64 s2, 0xffff, v[1:2]
	v_add_co_u32 v8, s3, s15, v3
	global_load_b128 v[4:7], v[4:5], off
	v_add_co_ci_u32_e64 v9, null, s16, 0, s3
	v_add_co_u32 v1, s3, v1, s19
	s_delay_alu instid0(VALU_DEP_1)
	v_add_co_ci_u32_e64 v2, s3, 0, v2, s3
	s_or_b32 s21, vcc_lo, s2
	s_add_u32 s5, s5, s20
	s_addc_u32 s14, s14, 0
	s_add_u32 s15, s15, s20
	s_addc_u32 s16, s16, 0
	s_waitcnt vmcnt(0)
	v_cmp_gt_f32_e32 vcc_lo, 0x800000, v4
	v_cmp_gt_f32_e64 s2, 0x800000, v5
	v_cmp_gt_f32_e64 s3, 0x800000, v6
	;; [unrolled: 1-line block ×3, first 2 shown]
	v_cndmask_b32_e64 v10, 1.0, 0x4f800000, vcc_lo
	s_delay_alu instid0(VALU_DEP_4) | instskip(NEXT) | instid1(VALU_DEP_4)
	v_cndmask_b32_e64 v11, 1.0, 0x4f800000, s2
	v_cndmask_b32_e64 v12, 1.0, 0x4f800000, s3
	s_delay_alu instid0(VALU_DEP_4) | instskip(NEXT) | instid1(VALU_DEP_3)
	v_cndmask_b32_e64 v13, 1.0, 0x4f800000, s4
	v_dual_mul_f32 v4, v4, v10 :: v_dual_mul_f32 v5, v5, v11
	s_delay_alu instid0(VALU_DEP_2) | instskip(SKIP_1) | instid1(VALU_DEP_3)
	v_dual_mul_f32 v6, v6, v12 :: v_dual_mul_f32 v7, v7, v13
	v_cndmask_b32_e64 v10, 0, 0x411a209b, vcc_lo
	v_log_f32_e32 v4, v4
	s_delay_alu instid0(VALU_DEP_3) | instskip(NEXT) | instid1(VALU_DEP_2)
	v_log_f32_e32 v5, v5
	v_log_f32_e32 v6, v6
	;; [unrolled: 1-line block ×3, first 2 shown]
	v_cndmask_b32_e64 v11, 0, 0x411a209b, s2
	v_cndmask_b32_e64 v12, 0, 0x411a209b, s3
	;; [unrolled: 1-line block ×3, first 2 shown]
	s_delay_alu instid0(TRANS32_DEP_3)
	v_dual_mul_f32 v14, 0x3e9a209a, v4 :: v_dual_mul_f32 v15, 0x3e9a209a, v5
	s_waitcnt_depctr 0xfff
	v_dual_mul_f32 v16, 0x3e9a209a, v6 :: v_dual_mul_f32 v17, 0x3e9a209a, v7
	v_cmp_gt_f32_e64 vcc_lo, 0x7f800000, |v5|
	v_fma_f32 v14, 0x3e9a209a, v4, -v14
	v_fma_f32 v15, 0x3e9a209a, v5, -v15
	s_delay_alu instid0(VALU_DEP_4) | instskip(SKIP_2) | instid1(VALU_DEP_4)
	v_fma_f32 v16, 0x3e9a209a, v6, -v16
	v_fma_f32 v17, 0x3e9a209a, v7, -v17
	v_cmp_gt_f32_e64 s2, 0x7f800000, |v6|
	v_dual_fmac_f32 v14, 0x3284fbcf, v4 :: v_dual_fmac_f32 v15, 0x3284fbcf, v5
	s_delay_alu instid0(VALU_DEP_3) | instskip(SKIP_1) | instid1(VALU_DEP_3)
	v_dual_fmac_f32 v16, 0x3284fbcf, v6 :: v_dual_fmac_f32 v17, 0x3284fbcf, v7
	v_cmp_gt_f32_e64 s3, 0x7f800000, |v7|
	v_dual_fmac_f32 v14, 0x3e9a209a, v4 :: v_dual_fmac_f32 v15, 0x3e9a209a, v5
	s_delay_alu instid0(VALU_DEP_3) | instskip(SKIP_1) | instid1(VALU_DEP_2)
	v_dual_fmac_f32 v16, 0x3e9a209a, v6 :: v_dual_fmac_f32 v17, 0x3e9a209a, v7
	v_cmp_gt_f32_e64 s4, 0x7f800000, |v4|
	v_cndmask_b32_e64 v6, v6, v16, s2
	s_delay_alu instid0(VALU_DEP_3) | instskip(NEXT) | instid1(VALU_DEP_3)
	v_cndmask_b32_e64 v7, v7, v17, s3
	v_cndmask_b32_e64 v4, v4, v14, s4
	v_cndmask_b32_e32 v5, v5, v15, vcc_lo
	s_and_b32 s2, exec_lo, s21
	s_delay_alu instid0(VALU_DEP_3) | instskip(NEXT) | instid1(VALU_DEP_2)
	v_dual_sub_f32 v6, v6, v12 :: v_dual_sub_f32 v7, v7, v13
	v_dual_sub_f32 v4, v4, v10 :: v_dual_sub_f32 v5, v5, v11
	s_or_b32 s18, s2, s18
	global_store_b128 v[8:9], v[4:7], off
	s_and_not1_b32 exec_lo, exec_lo, s18
	s_cbranch_execnz .LBB179_3
.LBB179_4:
	s_or_b32 exec_lo, exec_lo, s17
	s_mov_b32 s2, 0
.LBB179_5:
	s_delay_alu instid0(SALU_CYCLE_1)
	s_and_not1_b32 vcc_lo, exec_lo, s2
	s_cbranch_vccnz .LBB179_25
; %bb.6:
	v_cmp_lt_i64_e64 s2, s[8:9], 1
	s_delay_alu instid0(VALU_DEP_1)
	s_and_b32 vcc_lo, exec_lo, s2
	s_cbranch_vccnz .LBB179_25
; %bb.7:
	s_load_b32 s0, s[0:1], 0xc5c
	v_dual_mov_b32 v10, 0 :: v_dual_lshlrev_b32 v9, 2, v0
	v_cmp_gt_u64_e64 s1, 0x10000, s[8:9]
	s_delay_alu instid0(VALU_DEP_2) | instskip(NEXT) | instid1(VALU_DEP_1)
	v_add_co_u32 v1, s2, s10, v9
	v_add_co_ci_u32_e64 v2, null, s11, 0, s2
	v_add_co_u32 v3, s2, s12, v9
	s_delay_alu instid0(VALU_DEP_1)
	v_add_co_ci_u32_e64 v4, null, s13, 0, s2
	s_waitcnt lgkmcnt(0)
	s_and_b32 s0, s0, 0xffff
	s_and_b32 s1, s1, exec_lo
	v_mad_u64_u32 v[7:8], null, s0, 12, v[9:10]
	s_cselect_b32 s5, s9, 0
	s_cselect_b32 s4, s8, 0x10000
	s_mul_i32 s2, s0, 3
	s_lshl_b32 s3, s0, 3
	s_lshl_b32 s1, s0, 1
	v_add_co_u32 v14, s3, s3, v9
	v_add_co_u32 v9, s2, s2, v0
	s_delay_alu instid0(VALU_DEP_1) | instskip(SKIP_3) | instid1(VALU_DEP_3)
	v_add_co_ci_u32_e64 v10, null, 0, 0, s2
	v_add_co_u32 v13, s2, v0, s0
	v_add_co_u32 v5, vcc_lo, s10, v7
	v_add_co_ci_u32_e32 v6, vcc_lo, s11, v8, vcc_lo
	v_lshlrev_b32_e32 v21, 2, v13
	v_add_co_u32 v7, vcc_lo, s12, v7
	v_add_co_ci_u32_e64 v15, null, 0, 0, s3
	v_add_co_ci_u32_e32 v8, vcc_lo, s13, v8, vcc_lo
	v_add_co_u32 v17, s1, s1, v0
	v_add_co_u32 v11, vcc_lo, s10, v14
	v_add_co_ci_u32_e64 v18, null, 0, 0, s1
	v_add_co_u32 v19, s1, s10, v21
	v_add_co_ci_u32_e32 v12, vcc_lo, s11, v15, vcc_lo
	v_add_co_u32 v14, vcc_lo, s12, v14
	v_add_co_ci_u32_e64 v20, null, s11, 0, s1
	v_add_co_u32 v21, s1, s12, v21
	v_add_co_ci_u32_e32 v15, vcc_lo, s13, v15, vcc_lo
	v_add_co_ci_u32_e64 v16, null, 0, 0, s2
	v_add_co_ci_u32_e64 v22, null, s13, 0, s1
	s_lshl_b32 s12, s0, 2
	s_lshl_b32 s13, s0, 4
	s_mov_b64 s[10:11], 0
	s_branch .LBB179_9
.LBB179_8:                              ;   in Loop: Header=BB179_9 Depth=1
	s_or_b32 exec_lo, exec_lo, s0
	v_add_co_u32 v1, vcc_lo, v1, s13
	v_add_co_ci_u32_e32 v2, vcc_lo, 0, v2, vcc_lo
	v_add_co_u32 v3, vcc_lo, v3, s13
	v_add_co_ci_u32_e32 v4, vcc_lo, 0, v4, vcc_lo
	;; [unrolled: 2-line block ×5, first 2 shown]
	s_add_u32 s10, s10, s12
	v_add_co_u32 v14, vcc_lo, v14, s13
	s_addc_u32 s11, s11, 0
	v_add_co_ci_u32_e32 v15, vcc_lo, 0, v15, vcc_lo
	v_cmp_ge_i64_e64 s0, s[10:11], s[8:9]
	v_cmp_lt_u64_e64 s1, 0xffff, s[10:11]
	v_add_co_u32 v19, vcc_lo, v19, s13
	v_add_co_ci_u32_e32 v20, vcc_lo, 0, v20, vcc_lo
	v_add_co_u32 v21, vcc_lo, v21, s13
	v_add_co_ci_u32_e32 v22, vcc_lo, 0, v22, vcc_lo
	s_or_b32 s0, s0, s1
	s_delay_alu instid0(SALU_CYCLE_1)
	s_and_b32 vcc_lo, exec_lo, s0
	s_cbranch_vccnz .LBB179_25
.LBB179_9:                              ; =>This Inner Loop Header: Depth=1
	s_waitcnt vmcnt(0)
	v_add_co_u32 v23, s0, v0, s10
	s_delay_alu instid0(VALU_DEP_1) | instskip(SKIP_1) | instid1(VALU_DEP_2)
	v_add_co_ci_u32_e64 v24, null, 0, s11, s0
	v_mov_b32_e32 v26, 0
	v_cmp_gt_u64_e64 s2, s[4:5], v[23:24]
	s_delay_alu instid0(VALU_DEP_1)
	s_and_saveexec_b32 s0, s2
	s_cbranch_execz .LBB179_11
; %bb.10:                               ;   in Loop: Header=BB179_9 Depth=1
	v_add_co_u32 v23, vcc_lo, v1, s6
	v_add_co_ci_u32_e32 v24, vcc_lo, s7, v2, vcc_lo
	global_load_b32 v26, v[23:24], off
.LBB179_11:                             ;   in Loop: Header=BB179_9 Depth=1
	s_or_b32 exec_lo, exec_lo, s0
	v_add_co_u32 v23, vcc_lo, v13, s10
	v_add_co_ci_u32_e32 v24, vcc_lo, s11, v16, vcc_lo
	v_mov_b32_e32 v25, 0
	s_delay_alu instid0(VALU_DEP_2) | instskip(NEXT) | instid1(VALU_DEP_1)
	v_cmp_gt_u64_e64 s1, s[4:5], v[23:24]
	s_and_saveexec_b32 s0, s1
	s_cbranch_execz .LBB179_13
; %bb.12:                               ;   in Loop: Header=BB179_9 Depth=1
	v_add_co_u32 v23, vcc_lo, v19, s6
	v_add_co_ci_u32_e32 v24, vcc_lo, s7, v20, vcc_lo
	global_load_b32 v25, v[23:24], off
.LBB179_13:                             ;   in Loop: Header=BB179_9 Depth=1
	s_or_b32 exec_lo, exec_lo, s0
	v_add_co_u32 v23, vcc_lo, v17, s10
	v_add_co_ci_u32_e32 v24, vcc_lo, s11, v18, vcc_lo
	s_delay_alu instid0(VALU_DEP_1) | instskip(SKIP_1) | instid1(VALU_DEP_2)
	v_cmp_gt_u64_e64 s0, s[4:5], v[23:24]
	v_dual_mov_b32 v23, 0 :: v_dual_mov_b32 v24, 0
	s_and_saveexec_b32 s3, s0
	s_cbranch_execz .LBB179_15
; %bb.14:                               ;   in Loop: Header=BB179_9 Depth=1
	v_add_co_u32 v27, vcc_lo, v11, s6
	v_add_co_ci_u32_e32 v28, vcc_lo, s7, v12, vcc_lo
	global_load_b32 v24, v[27:28], off
.LBB179_15:                             ;   in Loop: Header=BB179_9 Depth=1
	s_or_b32 exec_lo, exec_lo, s3
	v_add_co_u32 v27, vcc_lo, v9, s10
	v_add_co_ci_u32_e32 v28, vcc_lo, s11, v10, vcc_lo
	s_delay_alu instid0(VALU_DEP_1)
	v_cmp_gt_u64_e32 vcc_lo, s[4:5], v[27:28]
	s_and_saveexec_b32 s14, vcc_lo
	s_cbranch_execnz .LBB179_20
; %bb.16:                               ;   in Loop: Header=BB179_9 Depth=1
	s_or_b32 exec_lo, exec_lo, s14
	s_and_saveexec_b32 s14, s2
	s_cbranch_execnz .LBB179_21
.LBB179_17:                             ;   in Loop: Header=BB179_9 Depth=1
	s_or_b32 exec_lo, exec_lo, s14
	s_and_saveexec_b32 s2, s1
	s_cbranch_execnz .LBB179_22
.LBB179_18:                             ;   in Loop: Header=BB179_9 Depth=1
	s_or_b32 exec_lo, exec_lo, s2
	s_and_saveexec_b32 s1, s0
	s_cbranch_execnz .LBB179_23
.LBB179_19:                             ;   in Loop: Header=BB179_9 Depth=1
	s_or_b32 exec_lo, exec_lo, s1
	s_and_saveexec_b32 s0, vcc_lo
	s_cbranch_execz .LBB179_8
	s_branch .LBB179_24
.LBB179_20:                             ;   in Loop: Header=BB179_9 Depth=1
	v_add_co_u32 v27, s3, v5, s6
	s_delay_alu instid0(VALU_DEP_1)
	v_add_co_ci_u32_e64 v28, s3, s7, v6, s3
	global_load_b32 v23, v[27:28], off
	s_or_b32 exec_lo, exec_lo, s14
	s_and_saveexec_b32 s14, s2
	s_cbranch_execz .LBB179_17
.LBB179_21:                             ;   in Loop: Header=BB179_9 Depth=1
	s_waitcnt vmcnt(0)
	v_cmp_gt_f32_e64 s2, 0x800000, v26
	s_delay_alu instid0(VALU_DEP_1) | instskip(SKIP_1) | instid1(VALU_DEP_2)
	v_cndmask_b32_e64 v27, 1.0, 0x4f800000, s2
	v_cndmask_b32_e64 v29, 0, 0x411a209b, s2
	v_mul_f32_e32 v26, v26, v27
	s_delay_alu instid0(VALU_DEP_1) | instskip(SKIP_3) | instid1(VALU_DEP_2)
	v_log_f32_e32 v26, v26
	s_waitcnt_depctr 0xfff
	v_mul_f32_e32 v27, 0x3e9a209a, v26
	v_cmp_gt_f32_e64 s3, 0x7f800000, |v26|
	v_fma_f32 v27, 0x3e9a209a, v26, -v27
	s_delay_alu instid0(VALU_DEP_1) | instskip(NEXT) | instid1(VALU_DEP_1)
	v_fmac_f32_e32 v27, 0x3284fbcf, v26
	v_fmac_f32_e32 v27, 0x3e9a209a, v26
	s_delay_alu instid0(VALU_DEP_1) | instskip(SKIP_1) | instid1(VALU_DEP_1)
	v_cndmask_b32_e64 v28, v26, v27, s3
	v_add_co_u32 v26, s2, v3, s6
	v_add_co_ci_u32_e64 v27, s2, s7, v4, s2
	s_delay_alu instid0(VALU_DEP_3)
	v_sub_f32_e32 v28, v28, v29
	global_store_b32 v[26:27], v28, off
	s_or_b32 exec_lo, exec_lo, s14
	s_and_saveexec_b32 s2, s1
	s_cbranch_execz .LBB179_18
.LBB179_22:                             ;   in Loop: Header=BB179_9 Depth=1
	s_waitcnt vmcnt(0)
	v_cmp_gt_f32_e64 s1, 0x800000, v25
	s_delay_alu instid0(VALU_DEP_1) | instskip(SKIP_1) | instid1(VALU_DEP_2)
	v_cndmask_b32_e64 v26, 1.0, 0x4f800000, s1
	v_cndmask_b32_e64 v27, 0, 0x411a209b, s1
	v_mul_f32_e32 v25, v25, v26
	s_delay_alu instid0(VALU_DEP_1) | instskip(SKIP_3) | instid1(VALU_DEP_2)
	v_log_f32_e32 v25, v25
	s_waitcnt_depctr 0xfff
	v_mul_f32_e32 v26, 0x3e9a209a, v25
	v_cmp_gt_f32_e64 s1, 0x7f800000, |v25|
	v_fma_f32 v26, 0x3e9a209a, v25, -v26
	s_delay_alu instid0(VALU_DEP_1) | instskip(NEXT) | instid1(VALU_DEP_1)
	v_fmac_f32_e32 v26, 0x3284fbcf, v25
	v_fmac_f32_e32 v26, 0x3e9a209a, v25
	s_delay_alu instid0(VALU_DEP_1) | instskip(NEXT) | instid1(VALU_DEP_1)
	v_cndmask_b32_e64 v25, v25, v26, s1
	v_sub_f32_e32 v27, v25, v27
	v_add_co_u32 v25, s1, v21, s6
	s_delay_alu instid0(VALU_DEP_1)
	v_add_co_ci_u32_e64 v26, s1, s7, v22, s1
	global_store_b32 v[25:26], v27, off
	s_or_b32 exec_lo, exec_lo, s2
	s_and_saveexec_b32 s1, s0
	s_cbranch_execz .LBB179_19
.LBB179_23:                             ;   in Loop: Header=BB179_9 Depth=1
	s_waitcnt vmcnt(0)
	v_cmp_gt_f32_e64 s0, 0x800000, v24
	s_delay_alu instid0(VALU_DEP_1) | instskip(SKIP_1) | instid1(VALU_DEP_2)
	v_cndmask_b32_e64 v25, 1.0, 0x4f800000, s0
	v_cndmask_b32_e64 v26, 0, 0x411a209b, s0
	v_mul_f32_e32 v24, v24, v25
	s_delay_alu instid0(VALU_DEP_1) | instskip(SKIP_3) | instid1(VALU_DEP_2)
	v_log_f32_e32 v24, v24
	s_waitcnt_depctr 0xfff
	v_mul_f32_e32 v25, 0x3e9a209a, v24
	v_cmp_gt_f32_e64 s0, 0x7f800000, |v24|
	v_fma_f32 v25, 0x3e9a209a, v24, -v25
	s_delay_alu instid0(VALU_DEP_1) | instskip(NEXT) | instid1(VALU_DEP_1)
	v_fmac_f32_e32 v25, 0x3284fbcf, v24
	v_fmac_f32_e32 v25, 0x3e9a209a, v24
	s_delay_alu instid0(VALU_DEP_1) | instskip(NEXT) | instid1(VALU_DEP_1)
	v_cndmask_b32_e64 v24, v24, v25, s0
	v_sub_f32_e32 v26, v24, v26
	v_add_co_u32 v24, s0, v14, s6
	s_delay_alu instid0(VALU_DEP_1)
	v_add_co_ci_u32_e64 v25, s0, s7, v15, s0
	global_store_b32 v[24:25], v26, off
	s_or_b32 exec_lo, exec_lo, s1
	s_and_saveexec_b32 s0, vcc_lo
	s_cbranch_execz .LBB179_8
.LBB179_24:                             ;   in Loop: Header=BB179_9 Depth=1
	s_waitcnt vmcnt(0)
	v_cmp_gt_f32_e32 vcc_lo, 0x800000, v23
	v_cndmask_b32_e64 v24, 1.0, 0x4f800000, vcc_lo
	v_cndmask_b32_e64 v25, 0, 0x411a209b, vcc_lo
	s_delay_alu instid0(VALU_DEP_2) | instskip(NEXT) | instid1(VALU_DEP_1)
	v_mul_f32_e32 v23, v23, v24
	v_log_f32_e32 v23, v23
	s_waitcnt_depctr 0xfff
	v_mul_f32_e32 v24, 0x3e9a209a, v23
	v_cmp_gt_f32_e64 vcc_lo, 0x7f800000, |v23|
	s_delay_alu instid0(VALU_DEP_2) | instskip(NEXT) | instid1(VALU_DEP_1)
	v_fma_f32 v24, 0x3e9a209a, v23, -v24
	v_fmac_f32_e32 v24, 0x3284fbcf, v23
	s_delay_alu instid0(VALU_DEP_1) | instskip(NEXT) | instid1(VALU_DEP_1)
	v_fmac_f32_e32 v24, 0x3e9a209a, v23
	v_cndmask_b32_e32 v23, v23, v24, vcc_lo
	s_delay_alu instid0(VALU_DEP_1)
	v_sub_f32_e32 v25, v23, v25
	v_add_co_u32 v23, vcc_lo, v7, s6
	v_add_co_ci_u32_e32 v24, vcc_lo, s7, v8, vcc_lo
	global_store_b32 v[23:24], v25, off
	s_branch .LBB179_8
.LBB179_25:
	s_nop 0
	s_sendmsg sendmsg(MSG_DEALLOC_VGPRS)
	s_endpgm
	.section	.rodata,"a",@progbits
	.p2align	6, 0x0
	.amdhsa_kernel _ZN2at6native12_GLOBAL__N_125multi_tensor_apply_kernelINS1_18TensorListMetadataILi2EEENS1_14UnaryOpFunctorIfLi2ELi1ELi1EEEJNS0_5Log10IfEEEEEvT_T0_DpT1_
		.amdhsa_group_segment_fixed_size 0
		.amdhsa_private_segment_fixed_size 0
		.amdhsa_kernarg_size 3408
		.amdhsa_user_sgpr_count 15
		.amdhsa_user_sgpr_dispatch_ptr 0
		.amdhsa_user_sgpr_queue_ptr 0
		.amdhsa_user_sgpr_kernarg_segment_ptr 1
		.amdhsa_user_sgpr_dispatch_id 0
		.amdhsa_user_sgpr_private_segment_size 0
		.amdhsa_wavefront_size32 1
		.amdhsa_uses_dynamic_stack 0
		.amdhsa_enable_private_segment 0
		.amdhsa_system_sgpr_workgroup_id_x 1
		.amdhsa_system_sgpr_workgroup_id_y 0
		.amdhsa_system_sgpr_workgroup_id_z 0
		.amdhsa_system_sgpr_workgroup_info 0
		.amdhsa_system_vgpr_workitem_id 0
		.amdhsa_next_free_vgpr 30
		.amdhsa_next_free_sgpr 24
		.amdhsa_reserve_vcc 1
		.amdhsa_float_round_mode_32 0
		.amdhsa_float_round_mode_16_64 0
		.amdhsa_float_denorm_mode_32 3
		.amdhsa_float_denorm_mode_16_64 3
		.amdhsa_dx10_clamp 1
		.amdhsa_ieee_mode 1
		.amdhsa_fp16_overflow 0
		.amdhsa_workgroup_processor_mode 1
		.amdhsa_memory_ordered 1
		.amdhsa_forward_progress 0
		.amdhsa_shared_vgpr_count 0
		.amdhsa_exception_fp_ieee_invalid_op 0
		.amdhsa_exception_fp_denorm_src 0
		.amdhsa_exception_fp_ieee_div_zero 0
		.amdhsa_exception_fp_ieee_overflow 0
		.amdhsa_exception_fp_ieee_underflow 0
		.amdhsa_exception_fp_ieee_inexact 0
		.amdhsa_exception_int_div_zero 0
	.end_amdhsa_kernel
	.section	.text._ZN2at6native12_GLOBAL__N_125multi_tensor_apply_kernelINS1_18TensorListMetadataILi2EEENS1_14UnaryOpFunctorIfLi2ELi1ELi1EEEJNS0_5Log10IfEEEEEvT_T0_DpT1_,"axG",@progbits,_ZN2at6native12_GLOBAL__N_125multi_tensor_apply_kernelINS1_18TensorListMetadataILi2EEENS1_14UnaryOpFunctorIfLi2ELi1ELi1EEEJNS0_5Log10IfEEEEEvT_T0_DpT1_,comdat
.Lfunc_end179:
	.size	_ZN2at6native12_GLOBAL__N_125multi_tensor_apply_kernelINS1_18TensorListMetadataILi2EEENS1_14UnaryOpFunctorIfLi2ELi1ELi1EEEJNS0_5Log10IfEEEEEvT_T0_DpT1_, .Lfunc_end179-_ZN2at6native12_GLOBAL__N_125multi_tensor_apply_kernelINS1_18TensorListMetadataILi2EEENS1_14UnaryOpFunctorIfLi2ELi1ELi1EEEJNS0_5Log10IfEEEEEvT_T0_DpT1_
                                        ; -- End function
	.section	.AMDGPU.csdata,"",@progbits
; Kernel info:
; codeLenInByte = 2252
; NumSgprs: 26
; NumVgprs: 30
; ScratchSize: 0
; MemoryBound: 0
; FloatMode: 240
; IeeeMode: 1
; LDSByteSize: 0 bytes/workgroup (compile time only)
; SGPRBlocks: 3
; VGPRBlocks: 3
; NumSGPRsForWavesPerEU: 26
; NumVGPRsForWavesPerEU: 30
; Occupancy: 16
; WaveLimiterHint : 0
; COMPUTE_PGM_RSRC2:SCRATCH_EN: 0
; COMPUTE_PGM_RSRC2:USER_SGPR: 15
; COMPUTE_PGM_RSRC2:TRAP_HANDLER: 0
; COMPUTE_PGM_RSRC2:TGID_X_EN: 1
; COMPUTE_PGM_RSRC2:TGID_Y_EN: 0
; COMPUTE_PGM_RSRC2:TGID_Z_EN: 0
; COMPUTE_PGM_RSRC2:TIDIG_COMP_CNT: 0
	.section	.text._ZN2at6native12_GLOBAL__N_125multi_tensor_apply_kernelINS1_18TensorListMetadataILi2EEENS1_14UnaryOpFunctorIN3c107complexIdEELi2ELi1ELi1EEEJNS0_5Log10IS8_EEEEEvT_T0_DpT1_,"axG",@progbits,_ZN2at6native12_GLOBAL__N_125multi_tensor_apply_kernelINS1_18TensorListMetadataILi2EEENS1_14UnaryOpFunctorIN3c107complexIdEELi2ELi1ELi1EEEJNS0_5Log10IS8_EEEEEvT_T0_DpT1_,comdat
	.globl	_ZN2at6native12_GLOBAL__N_125multi_tensor_apply_kernelINS1_18TensorListMetadataILi2EEENS1_14UnaryOpFunctorIN3c107complexIdEELi2ELi1ELi1EEEJNS0_5Log10IS8_EEEEEvT_T0_DpT1_ ; -- Begin function _ZN2at6native12_GLOBAL__N_125multi_tensor_apply_kernelINS1_18TensorListMetadataILi2EEENS1_14UnaryOpFunctorIN3c107complexIdEELi2ELi1ELi1EEEJNS0_5Log10IS8_EEEEEvT_T0_DpT1_
	.p2align	8
	.type	_ZN2at6native12_GLOBAL__N_125multi_tensor_apply_kernelINS1_18TensorListMetadataILi2EEENS1_14UnaryOpFunctorIN3c107complexIdEELi2ELi1ELi1EEEJNS0_5Log10IS8_EEEEEvT_T0_DpT1_,@function
_ZN2at6native12_GLOBAL__N_125multi_tensor_apply_kernelINS1_18TensorListMetadataILi2EEENS1_14UnaryOpFunctorIN3c107complexIdEELi2ELi1ELi1EEEJNS0_5Log10IS8_EEEEEvT_T0_DpT1_: ; @_ZN2at6native12_GLOBAL__N_125multi_tensor_apply_kernelINS1_18TensorListMetadataILi2EEENS1_14UnaryOpFunctorIN3c107complexIdEELi2ELi1ELi1EEEJNS0_5Log10IS8_EEEEEvT_T0_DpT1_
; %bb.0:
	v_mov_b32_e32 v1, s15
	s_add_u32 s2, s0, s15
	s_mul_hi_u32 s3, s15, 3
	s_mul_i32 s15, s15, 3
	s_addc_u32 s4, s1, 0
	global_load_u8 v1, v1, s[0:1] offset:1536
	s_add_u32 s2, s2, s15
	s_addc_u32 s3, s4, s3
	s_mov_b32 s11, 0
	s_load_b32 s2, s[2:3], 0x740
	s_mov_b32 s15, s11
	s_waitcnt vmcnt(0)
	v_readfirstlane_b32 s5, v1
	s_delay_alu instid0(VALU_DEP_1)
	s_lshl_b32 s3, s5, 3
	s_clause 0x2
	s_load_b64 s[4:5], s[0:1], s3 offset:0x0
	s_load_b64 s[6:7], s[0:1], s3 offset:0x200
	;; [unrolled: 1-line block ×3, first 2 shown]
	s_waitcnt lgkmcnt(0)
	s_ashr_i32 s3, s2, 31
	s_delay_alu instid0(SALU_CYCLE_1) | instskip(NEXT) | instid1(SALU_CYCLE_1)
	s_lshl_b64 s[12:13], s[2:3], 20
	s_add_u32 s33, s4, s12
	s_addc_u32 s100, s5, s13
	s_add_u32 s101, s6, s12
	s_addc_u32 s102, s7, s13
	s_and_b32 s14, s33, 63
	s_and_b32 s4, s8, 3
	s_mov_b32 s5, s11
	s_and_b32 s10, s101, 63
	s_or_b64 s[4:5], s[14:15], s[4:5]
	s_lshl_b64 s[2:3], s[2:3], 16
	s_or_b64 s[4:5], s[10:11], s[4:5]
	s_sub_u32 s16, s8, s2
	s_subb_u32 s17, s9, s3
	s_cmp_eq_u64 s[4:5], 0
	s_mov_b32 s2, -1
	s_cbranch_scc0 .LBB180_141
; %bb.1:
	v_mov_b32_e32 v17, 0
	v_lshlrev_b32_e32 v1, 2, v0
	s_mov_b32 s94, exec_lo
	s_delay_alu instid0(VALU_DEP_2) | instskip(NEXT) | instid1(VALU_DEP_1)
	v_mov_b32_e32 v2, v17
	v_cmpx_gt_i64_e64 s[16:17], v[1:2]
	s_cbranch_execz .LBB180_140
; %bb.2:
	s_load_b32 s2, s[0:1], 0xc5c
	v_dual_mov_b32 v1, v17 :: v_dual_mov_b32 v56, 0x4002d97c
	v_mov_b32_e32 v55, 0x7f3321d2
	s_mov_b32 s14, 0x85ebc8a0
	s_mov_b32 s18, 0x4ad4b81f
	s_delay_alu instid0(VALU_DEP_2)
	v_dual_mov_b32 v20, v1 :: v_dual_mov_b32 v19, v0
	s_mov_b32 s20, 0xc57e649a
	s_mov_b32 s22, 0x55555555
	;; [unrolled: 1-line block ×44, first 2 shown]
	s_waitcnt lgkmcnt(0)
	s_and_b32 s95, s2, 0xffff
	s_mov_b32 s37, 0x3fd99999
	s_mov_b32 s39, 0x3fe62e42
	;; [unrolled: 1-line block ×31, first 2 shown]
	s_branch .LBB180_5
.LBB180_3:                              ;   in Loop: Header=BB180_5 Depth=1
	s_or_b32 exec_lo, exec_lo, s3
	s_delay_alu instid0(VALU_DEP_1) | instskip(SKIP_2) | instid1(VALU_DEP_2)
	v_frexp_mant_f64_e32 v[1:2], v[14:15]
	s_mov_b32 s93, s23
	v_frexp_exp_i32_f64_e32 v3, v[14:15]
	v_cmp_gt_f64_e32 vcc_lo, s[22:23], v[1:2]
	v_cndmask_b32_e64 v18, 0x3ff00000, 2.0, vcc_lo
	s_delay_alu instid0(VALU_DEP_3) | instskip(SKIP_1) | instid1(VALU_DEP_3)
	v_subrev_co_ci_u32_e32 v3, vcc_lo, 0, v3, vcc_lo
	v_cmp_class_f64_e64 vcc_lo, v[14:15], 0x204
	v_mul_f64 v[1:2], v[1:2], v[17:18]
	s_delay_alu instid0(VALU_DEP_1) | instskip(SKIP_1) | instid1(VALU_DEP_2)
	v_add_f64 v[31:32], v[1:2], 1.0
	v_add_f64 v[37:38], v[1:2], -1.0
	v_rcp_f64_e32 v[33:34], v[31:32]
	v_add_f64 v[39:40], v[31:32], -1.0
	s_delay_alu instid0(VALU_DEP_1) | instskip(SKIP_2) | instid1(VALU_DEP_1)
	v_add_f64 v[1:2], v[1:2], -v[39:40]
	s_waitcnt_depctr 0xfff
	v_fma_f64 v[35:36], -v[31:32], v[33:34], 1.0
	v_fma_f64 v[33:34], v[35:36], v[33:34], v[33:34]
	s_delay_alu instid0(VALU_DEP_1) | instskip(NEXT) | instid1(VALU_DEP_1)
	v_fma_f64 v[35:36], -v[31:32], v[33:34], 1.0
	v_fma_f64 v[33:34], v[35:36], v[33:34], v[33:34]
	s_delay_alu instid0(VALU_DEP_1) | instskip(NEXT) | instid1(VALU_DEP_1)
	v_mul_f64 v[35:36], v[37:38], v[33:34]
	v_mul_f64 v[41:42], v[31:32], v[35:36]
	s_delay_alu instid0(VALU_DEP_1) | instskip(NEXT) | instid1(VALU_DEP_1)
	v_fma_f64 v[31:32], v[35:36], v[31:32], -v[41:42]
	v_fma_f64 v[1:2], v[35:36], v[1:2], v[31:32]
	s_delay_alu instid0(VALU_DEP_1) | instskip(NEXT) | instid1(VALU_DEP_1)
	v_add_f64 v[31:32], v[41:42], v[1:2]
	v_add_f64 v[39:40], v[37:38], -v[31:32]
	v_add_f64 v[41:42], v[31:32], -v[41:42]
	s_delay_alu instid0(VALU_DEP_2) | instskip(NEXT) | instid1(VALU_DEP_2)
	v_add_f64 v[37:38], v[37:38], -v[39:40]
	v_add_f64 v[1:2], v[41:42], -v[1:2]
	s_delay_alu instid0(VALU_DEP_2) | instskip(NEXT) | instid1(VALU_DEP_1)
	v_add_f64 v[31:32], v[37:38], -v[31:32]
	v_add_f64 v[1:2], v[1:2], v[31:32]
	s_delay_alu instid0(VALU_DEP_1) | instskip(NEXT) | instid1(VALU_DEP_1)
	v_add_f64 v[1:2], v[39:40], v[1:2]
	v_mul_f64 v[1:2], v[33:34], v[1:2]
	s_delay_alu instid0(VALU_DEP_1) | instskip(NEXT) | instid1(VALU_DEP_1)
	v_add_f64 v[31:32], v[35:36], v[1:2]
	v_mul_f64 v[33:34], v[31:32], v[31:32]
	s_delay_alu instid0(VALU_DEP_1) | instskip(SKIP_1) | instid1(VALU_DEP_2)
	v_fma_f64 v[37:38], v[33:34], s[26:27], s[24:25]
	v_mul_f64 v[39:40], v[31:32], v[33:34]
	v_fma_f64 v[37:38], v[33:34], v[37:38], s[28:29]
	s_delay_alu instid0(VALU_DEP_1) | instskip(NEXT) | instid1(VALU_DEP_1)
	v_fma_f64 v[37:38], v[33:34], v[37:38], s[30:31]
	v_fma_f64 v[37:38], v[33:34], v[37:38], s[34:35]
	s_delay_alu instid0(VALU_DEP_1) | instskip(NEXT) | instid1(VALU_DEP_1)
	v_fma_f64 v[37:38], v[33:34], v[37:38], s[36:37]
	v_fma_f64 v[33:34], v[33:34], v[37:38], s[92:93]
	v_ldexp_f64 v[37:38], v[31:32], 1
	v_add_f64 v[31:32], v[31:32], -v[35:36]
	s_delay_alu instid0(VALU_DEP_3) | instskip(SKIP_1) | instid1(VALU_DEP_3)
	v_mul_f64 v[33:34], v[39:40], v[33:34]
	v_cvt_f64_i32_e32 v[39:40], v3
	v_add_f64 v[1:2], v[1:2], -v[31:32]
	s_delay_alu instid0(VALU_DEP_3) | instskip(NEXT) | instid1(VALU_DEP_3)
	v_add_f64 v[35:36], v[37:38], v[33:34]
	v_mul_f64 v[41:42], v[39:40], s[38:39]
	s_delay_alu instid0(VALU_DEP_3) | instskip(NEXT) | instid1(VALU_DEP_3)
	v_ldexp_f64 v[1:2], v[1:2], 1
	v_add_f64 v[31:32], v[35:36], -v[37:38]
	s_delay_alu instid0(VALU_DEP_3) | instskip(NEXT) | instid1(VALU_DEP_2)
	v_fma_f64 v[37:38], v[39:40], s[38:39], -v[41:42]
	v_add_f64 v[31:32], v[33:34], -v[31:32]
	s_delay_alu instid0(VALU_DEP_2) | instskip(NEXT) | instid1(VALU_DEP_2)
	v_fma_f64 v[33:34], v[39:40], s[40:41], v[37:38]
	v_add_f64 v[1:2], v[1:2], v[31:32]
	s_delay_alu instid0(VALU_DEP_2) | instskip(NEXT) | instid1(VALU_DEP_2)
	v_add_f64 v[31:32], v[41:42], v[33:34]
	v_add_f64 v[37:38], v[35:36], v[1:2]
	s_delay_alu instid0(VALU_DEP_2) | instskip(NEXT) | instid1(VALU_DEP_2)
	v_add_f64 v[41:42], v[31:32], -v[41:42]
	v_add_f64 v[39:40], v[31:32], v[37:38]
	v_add_f64 v[35:36], v[37:38], -v[35:36]
	s_delay_alu instid0(VALU_DEP_3) | instskip(NEXT) | instid1(VALU_DEP_3)
	v_add_f64 v[33:34], v[33:34], -v[41:42]
	v_add_f64 v[43:44], v[39:40], -v[31:32]
	s_delay_alu instid0(VALU_DEP_3) | instskip(NEXT) | instid1(VALU_DEP_2)
	v_add_f64 v[1:2], v[1:2], -v[35:36]
	v_add_f64 v[45:46], v[39:40], -v[43:44]
	;; [unrolled: 1-line block ×3, first 2 shown]
	s_delay_alu instid0(VALU_DEP_3) | instskip(NEXT) | instid1(VALU_DEP_3)
	v_add_f64 v[37:38], v[33:34], v[1:2]
	v_add_f64 v[31:32], v[31:32], -v[45:46]
	s_delay_alu instid0(VALU_DEP_1) | instskip(NEXT) | instid1(VALU_DEP_3)
	v_add_f64 v[31:32], v[35:36], v[31:32]
	v_add_f64 v[35:36], v[37:38], -v[33:34]
	s_delay_alu instid0(VALU_DEP_2) | instskip(NEXT) | instid1(VALU_DEP_2)
	v_add_f64 v[31:32], v[37:38], v[31:32]
	v_add_f64 v[37:38], v[37:38], -v[35:36]
	v_add_f64 v[1:2], v[1:2], -v[35:36]
	s_delay_alu instid0(VALU_DEP_3) | instskip(NEXT) | instid1(VALU_DEP_3)
	v_add_f64 v[41:42], v[39:40], v[31:32]
	v_add_f64 v[33:34], v[33:34], -v[37:38]
	s_delay_alu instid0(VALU_DEP_2) | instskip(NEXT) | instid1(VALU_DEP_2)
	v_add_f64 v[35:36], v[41:42], -v[39:40]
	v_add_f64 v[1:2], v[1:2], v[33:34]
	s_delay_alu instid0(VALU_DEP_2) | instskip(NEXT) | instid1(VALU_DEP_1)
	v_add_f64 v[31:32], v[31:32], -v[35:36]
	v_add_f64 v[1:2], v[1:2], v[31:32]
	v_mov_b32_e32 v31, 0
	v_mov_b32_e32 v32, 0x7ff80000
	s_delay_alu instid0(VALU_DEP_3) | instskip(NEXT) | instid1(VALU_DEP_1)
	v_add_f64 v[1:2], v[41:42], v[1:2]
	v_dual_cndmask_b32 v1, v1, v14 :: v_dual_cndmask_b32 v2, v2, v15
	v_cmp_ngt_f64_e32 vcc_lo, 0, v[14:15]
	s_delay_alu instid0(VALU_DEP_2) | instskip(SKIP_1) | instid1(VALU_DEP_4)
	v_cndmask_b32_e32 v2, 0x7ff80000, v2, vcc_lo
	v_cmp_nge_f64_e32 vcc_lo, 0, v[14:15]
	v_cndmask_b32_e32 v13, 0, v1, vcc_lo
	v_cmp_neq_f64_e32 vcc_lo, 0, v[14:15]
	s_delay_alu instid0(VALU_DEP_4)
	v_cndmask_b32_e32 v14, 0xfff00000, v2, vcc_lo
.LBB180_4:                              ;   in Loop: Header=BB180_5 Depth=1
	s_or_b32 exec_lo, exec_lo, s2
	v_bfi_b32 v30, 0x7fffffff, v30, v16
	s_delay_alu instid0(VALU_DEP_3) | instskip(SKIP_2) | instid1(VALU_DEP_4)
	v_div_scale_f64 v[1:2], null, s[90:91], s[90:91], v[9:10]
	v_bfi_b32 v28, 0x7fffffff, v28, v12
	v_div_scale_f64 v[11:12], null, s[90:91], s[90:91], v[5:6]
	v_div_scale_f64 v[15:16], null, s[90:91], s[90:91], v[29:30]
	v_bfi_b32 v26, 0x7fffffff, v26, v8
	s_delay_alu instid0(VALU_DEP_4) | instskip(SKIP_2) | instid1(VALU_DEP_4)
	v_div_scale_f64 v[33:34], null, s[90:91], s[90:91], v[27:28]
	v_div_scale_f64 v[7:8], null, s[90:91], s[90:91], v[23:24]
	v_bfi_b32 v32, 0x7fffffff, v32, v4
	v_div_scale_f64 v[35:36], null, s[90:91], s[90:91], v[25:26]
	v_div_scale_f64 v[3:4], null, s[90:91], s[90:91], v[13:14]
	s_delay_alu instid0(VALU_DEP_3)
	v_div_scale_f64 v[37:38], null, s[90:91], s[90:91], v[31:32]
	v_div_scale_f64 v[73:74], vcc_lo, v[9:10], s[90:91], v[9:10]
	v_rcp_f64_e32 v[39:40], v[1:2]
	v_rcp_f64_e32 v[43:44], v[11:12]
	v_rcp_f64_e32 v[41:42], v[15:16]
	v_rcp_f64_e32 v[45:46], v[33:34]
	v_rcp_f64_e32 v[47:48], v[7:8]
	s_delay_alu instid0(VALU_DEP_4) | instskip(NEXT) | instid1(VALU_DEP_3)
	v_rcp_f64_e32 v[49:50], v[35:36]
	v_rcp_f64_e32 v[51:52], v[3:4]
	s_delay_alu instid0(VALU_DEP_2)
	v_rcp_f64_e32 v[53:54], v[37:38]
	v_fma_f64 v[57:58], -v[1:2], v[39:40], 1.0
	v_fma_f64 v[61:62], -v[11:12], v[43:44], 1.0
	;; [unrolled: 1-line block ×5, first 2 shown]
	s_delay_alu instid0(TRANS32_DEP_3) | instskip(NEXT) | instid1(TRANS32_DEP_2)
	v_fma_f64 v[67:68], -v[35:36], v[49:50], 1.0
	v_fma_f64 v[69:70], -v[3:4], v[51:52], 1.0
	s_delay_alu instid0(TRANS32_DEP_1)
	v_fma_f64 v[71:72], -v[37:38], v[53:54], 1.0
	v_fma_f64 v[39:40], v[39:40], v[57:58], v[39:40]
	v_fma_f64 v[43:44], v[43:44], v[61:62], v[43:44]
	;; [unrolled: 1-line block ×8, first 2 shown]
	v_fma_f64 v[57:58], -v[1:2], v[39:40], 1.0
	v_fma_f64 v[61:62], -v[11:12], v[43:44], 1.0
	;; [unrolled: 1-line block ×8, first 2 shown]
	v_fma_f64 v[39:40], v[39:40], v[57:58], v[39:40]
	v_div_scale_f64 v[57:58], s2, v[29:30], s[90:91], v[29:30]
	v_fma_f64 v[43:44], v[43:44], v[61:62], v[43:44]
	v_div_scale_f64 v[61:62], s4, v[27:28], s[90:91], v[27:28]
	;; [unrolled: 2-line block ×7, first 2 shown]
	v_fma_f64 v[53:54], v[53:54], v[71:72], v[53:54]
	v_mul_f64 v[71:72], v[73:74], v[39:40]
	v_mul_f64 v[75:76], v[57:58], v[41:42]
	;; [unrolled: 1-line block ×8, first 2 shown]
	v_fma_f64 v[1:2], -v[1:2], v[71:72], v[73:74]
	v_fma_f64 v[15:16], -v[15:16], v[75:76], v[57:58]
	;; [unrolled: 1-line block ×8, first 2 shown]
	v_div_fmas_f64 v[1:2], v[1:2], v[39:40], v[71:72]
	s_mov_b32 vcc_lo, s2
	v_div_fmas_f64 v[15:16], v[15:16], v[41:42], v[75:76]
	s_mov_b32 vcc_lo, s3
	v_add_co_u32 v21, s3, s101, v21
	v_div_fmas_f64 v[11:12], v[11:12], v[43:44], v[77:78]
	s_mov_b32 vcc_lo, s4
	v_add_co_ci_u32_e64 v22, s3, s102, v22, s3
	v_div_fmas_f64 v[33:34], v[33:34], v[45:46], v[79:80]
	s_mov_b32 vcc_lo, s5
	v_div_fmas_f64 v[7:8], v[7:8], v[47:48], v[81:82]
	s_mov_b32 vcc_lo, s6
	;; [unrolled: 2-line block ×4, first 2 shown]
	v_div_fmas_f64 v[37:38], v[37:38], v[53:54], v[87:88]
	v_add_co_u32 v19, vcc_lo, v19, s95
	v_add_co_ci_u32_e32 v20, vcc_lo, 0, v20, vcc_lo
	v_div_fixup_f64 v[1:2], v[1:2], s[90:91], v[9:10]
	v_div_fixup_f64 v[3:4], v[15:16], s[90:91], v[29:30]
	;; [unrolled: 1-line block ×5, first 2 shown]
	v_lshlrev_b64 v[23:24], 2, v[19:20]
	v_div_fixup_f64 v[11:12], v[35:36], s[90:91], v[25:26]
	s_clause 0x1
	global_store_b128 v[21:22], v[9:12], off
	global_store_b128 v[21:22], v[5:8], off offset:16
	v_div_fixup_f64 v[13:14], v[39:40], s[90:91], v[13:14]
	v_div_fixup_f64 v[15:16], v[37:38], s[90:91], v[31:32]
	v_cmp_le_i64_e32 vcc_lo, s[16:17], v[23:24]
	v_cmp_lt_u64_e64 s2, 0xffff, v[23:24]
	s_clause 0x1
	global_store_b128 v[21:22], v[1:4], off offset:32
	global_store_b128 v[21:22], v[13:16], off offset:48
	s_or_b32 s2, vcc_lo, s2
	s_delay_alu instid0(SALU_CYCLE_1) | instskip(NEXT) | instid1(SALU_CYCLE_1)
	s_and_b32 s2, exec_lo, s2
	s_or_b32 s96, s2, s96
	s_delay_alu instid0(SALU_CYCLE_1)
	s_and_not1_b32 exec_lo, exec_lo, s96
	s_cbranch_execz .LBB180_140
.LBB180_5:                              ; =>This Loop Header: Depth=1
                                        ;     Child Loop BB180_16 Depth 2
                                        ;     Child Loop BB180_50 Depth 2
	;; [unrolled: 1-line block ×4, first 2 shown]
	v_lshlrev_b64 v[21:22], 6, v[19:20]
                                        ; implicit-def: $vgpr23_vgpr24
                                        ; implicit-def: $vgpr25_vgpr26
	s_mov_b32 s2, exec_lo
	s_delay_alu instid0(VALU_DEP_1) | instskip(NEXT) | instid1(VALU_DEP_2)
	v_add_co_u32 v13, vcc_lo, s33, v21
	v_add_co_ci_u32_e32 v14, vcc_lo, s100, v22, vcc_lo
	s_clause 0x3
	global_load_b128 v[5:8], v[13:14], off
	global_load_b128 v[9:12], v[13:14], off offset:16
	global_load_b128 v[1:4], v[13:14], off offset:48
	;; [unrolled: 1-line block ×3, first 2 shown]
	s_waitcnt vmcnt(3)
	v_cmpx_o_f64_e32 v[5:6], v[7:8]
	s_xor_b32 s97, exec_lo, s2
	s_cbranch_execz .LBB180_33
; %bb.6:                                ;   in Loop: Header=BB180_5 Depth=1
	v_cmp_lt_f64_e64 s2, |v[5:6]|, |v[7:8]|
	v_and_b32_e32 v18, 0x7fffffff, v6
	v_dual_mov_b32 v28, v7 :: v_dual_and_b32 v27, 0x7fffffff, v8
                                        ; implicit-def: $vgpr23_vgpr24
                                        ; implicit-def: $vgpr25_vgpr26
	s_mov_b32 s3, exec_lo
	s_delay_alu instid0(VALU_DEP_1) | instskip(NEXT) | instid1(VALU_DEP_2)
	v_cndmask_b32_e64 v30, v27, v18, s2
	v_cndmask_b32_e64 v29, v28, v5, s2
	s_delay_alu instid0(VALU_DEP_1)
	v_cmpx_nlt_f64_e32 s[14:15], v[29:30]
	s_xor_b32 s98, exec_lo, s3
	s_cbranch_execz .LBB180_30
; %bb.7:                                ;   in Loop: Header=BB180_5 Depth=1
	v_cndmask_b32_e64 v32, v18, v27, s2
	v_cndmask_b32_e64 v31, v5, v28, s2
                                        ; implicit-def: $vgpr23_vgpr24
                                        ; implicit-def: $vgpr25_vgpr26
	s_mov_b32 s3, exec_lo
	s_delay_alu instid0(VALU_DEP_1)
	v_cmpx_neq_f64_e32 1.0, v[31:32]
	s_xor_b32 s99, exec_lo, s3
	s_cbranch_execz .LBB180_23
; %bb.8:                                ;   in Loop: Header=BB180_5 Depth=1
	v_max_f64 v[23:24], v[29:30], v[29:30]
	v_max_f64 v[25:26], v[31:32], v[31:32]
	s_delay_alu instid0(VALU_DEP_1) | instskip(SKIP_1) | instid1(VALU_DEP_2)
	v_min_f64 v[27:28], v[25:26], v[23:24]
	v_max_f64 v[23:24], v[25:26], v[23:24]
                                        ; implicit-def: $vgpr25_vgpr26
	v_cmp_ngt_f64_e32 vcc_lo, s[18:19], v[27:28]
	s_delay_alu instid0(VALU_DEP_2) | instskip(NEXT) | instid1(VALU_DEP_1)
	v_cmp_nlt_f64_e64 s3, s[20:21], v[23:24]
                                        ; implicit-def: $vgpr23_vgpr24
	s_and_b32 s3, s3, vcc_lo
	s_delay_alu instid0(SALU_CYCLE_1) | instskip(NEXT) | instid1(SALU_CYCLE_1)
	s_and_saveexec_b32 s4, s3
	s_xor_b32 s103, exec_lo, s4
	s_cbranch_execz .LBB180_20
; %bb.9:                                ;   in Loop: Header=BB180_5 Depth=1
                                        ; implicit-def: $vgpr23_vgpr24
                                        ; implicit-def: $vgpr25_vgpr26
	s_mov_b32 s3, exec_lo
	v_cmpx_le_f64_e32 1.0, v[31:32]
	s_xor_b32 s4, exec_lo, s3
	s_cbranch_execz .LBB180_11
; %bb.10:                               ;   in Loop: Header=BB180_5 Depth=1
	v_add_f64 v[23:24], v[31:32], -1.0
	v_add_f64 v[25:26], v[31:32], 1.0
	s_mov_b32 s93, s23
	s_mov_b32 s12, s82
	v_cmp_gt_i32_e64 s3, 0, v6
	v_cmp_class_f64_e64 s6, v[5:6], 0x204
	v_cmp_class_f64_e64 s5, v[7:8], 0x204
	s_delay_alu instid0(VALU_DEP_4) | instskip(NEXT) | instid1(VALU_DEP_1)
	v_mul_f64 v[23:24], v[23:24], v[25:26]
	v_fma_f64 v[24:25], v[29:30], v[29:30], v[23:24]
	s_delay_alu instid0(VALU_DEP_1) | instskip(NEXT) | instid1(VALU_DEP_1)
	v_add_f64 v[26:27], v[24:25], 1.0
	v_frexp_mant_f64_e32 v[28:29], v[26:27]
	v_frexp_exp_i32_f64_e32 v18, v[26:27]
	v_add_f64 v[30:31], v[26:27], -1.0
	s_delay_alu instid0(VALU_DEP_3) | instskip(NEXT) | instid1(VALU_DEP_2)
	v_cmp_gt_f64_e32 vcc_lo, s[22:23], v[28:29]
	v_add_f64 v[28:29], v[30:31], -v[26:27]
	v_add_f64 v[30:31], v[24:25], -v[30:31]
	v_subrev_co_ci_u32_e32 v18, vcc_lo, 0, v18, vcc_lo
	s_delay_alu instid0(VALU_DEP_3) | instskip(NEXT) | instid1(VALU_DEP_2)
	v_add_f64 v[28:29], v[28:29], 1.0
	v_sub_nc_u32_e32 v23, 0, v18
	s_delay_alu instid0(VALU_DEP_1) | instskip(NEXT) | instid1(VALU_DEP_3)
	v_ldexp_f64 v[26:27], v[26:27], v23
	v_add_f64 v[28:29], v[30:31], v[28:29]
	s_delay_alu instid0(VALU_DEP_2) | instskip(SKIP_1) | instid1(VALU_DEP_3)
	v_add_f64 v[32:33], v[26:27], 1.0
	v_add_f64 v[38:39], v[26:27], -1.0
	v_ldexp_f64 v[28:29], v[28:29], v23
	s_delay_alu instid0(VALU_DEP_3) | instskip(NEXT) | instid1(VALU_DEP_3)
	v_add_f64 v[30:31], v[32:33], -1.0
	v_add_f64 v[40:41], v[38:39], 1.0
	s_delay_alu instid0(VALU_DEP_2) | instskip(NEXT) | instid1(VALU_DEP_2)
	v_add_f64 v[30:31], v[26:27], -v[30:31]
	v_add_f64 v[26:27], v[26:27], -v[40:41]
	s_delay_alu instid0(VALU_DEP_2) | instskip(NEXT) | instid1(VALU_DEP_2)
	v_add_f64 v[30:31], v[28:29], v[30:31]
	v_add_f64 v[26:27], v[28:29], v[26:27]
	s_delay_alu instid0(VALU_DEP_2) | instskip(NEXT) | instid1(VALU_DEP_2)
	v_add_f64 v[34:35], v[32:33], v[30:31]
	v_add_f64 v[40:41], v[38:39], v[26:27]
	s_delay_alu instid0(VALU_DEP_2) | instskip(SKIP_1) | instid1(VALU_DEP_2)
	v_rcp_f64_e32 v[36:37], v[34:35]
	v_add_f64 v[32:33], v[34:35], -v[32:33]
	v_add_f64 v[38:39], v[40:41], -v[38:39]
	s_delay_alu instid0(VALU_DEP_2) | instskip(SKIP_3) | instid1(VALU_DEP_2)
	v_add_f64 v[30:31], v[30:31], -v[32:33]
	s_waitcnt_depctr 0xfff
	v_fma_f64 v[42:43], -v[34:35], v[36:37], 1.0
	v_add_f64 v[26:27], v[26:27], -v[38:39]
	v_fma_f64 v[36:37], v[42:43], v[36:37], v[36:37]
	s_delay_alu instid0(VALU_DEP_1) | instskip(NEXT) | instid1(VALU_DEP_1)
	v_fma_f64 v[28:29], -v[34:35], v[36:37], 1.0
	v_fma_f64 v[28:29], v[28:29], v[36:37], v[36:37]
	s_delay_alu instid0(VALU_DEP_1) | instskip(NEXT) | instid1(VALU_DEP_1)
	v_mul_f64 v[36:37], v[40:41], v[28:29]
	v_mul_f64 v[42:43], v[34:35], v[36:37]
	s_delay_alu instid0(VALU_DEP_1) | instskip(NEXT) | instid1(VALU_DEP_1)
	v_fma_f64 v[32:33], v[36:37], v[34:35], -v[42:43]
	v_fma_f64 v[32:33], v[36:37], v[30:31], v[32:33]
	s_delay_alu instid0(VALU_DEP_1) | instskip(NEXT) | instid1(VALU_DEP_1)
	v_add_f64 v[44:45], v[42:43], v[32:33]
	v_add_f64 v[46:47], v[40:41], -v[44:45]
	v_add_f64 v[38:39], v[44:45], -v[42:43]
	v_max_f64 v[42:43], |v[7:8]|, |v[7:8]|
	s_delay_alu instid0(VALU_DEP_3) | instskip(NEXT) | instid1(VALU_DEP_3)
	v_add_f64 v[40:41], v[40:41], -v[46:47]
	v_add_f64 v[32:33], v[38:39], -v[32:33]
	s_delay_alu instid0(VALU_DEP_2) | instskip(SKIP_2) | instid1(VALU_DEP_1)
	v_add_f64 v[40:41], v[40:41], -v[44:45]
	v_max_f64 v[44:45], |v[5:6]|, |v[5:6]|
	v_cndmask_b32_e64 v5, 0x3fe921fb, v56, s3
	v_bfi_b32 v5, 0x7fffffff, v5, v8
	s_delay_alu instid0(VALU_DEP_4) | instskip(NEXT) | instid1(VALU_DEP_4)
	v_add_f64 v[26:27], v[26:27], v[40:41]
	v_max_f64 v[48:49], v[44:45], v[42:43]
	v_min_f64 v[42:43], v[44:45], v[42:43]
	s_delay_alu instid0(VALU_DEP_3) | instskip(NEXT) | instid1(VALU_DEP_1)
	v_add_f64 v[26:27], v[32:33], v[26:27]
	v_add_f64 v[32:33], v[46:47], v[26:27]
	s_delay_alu instid0(VALU_DEP_1) | instskip(SKIP_1) | instid1(VALU_DEP_2)
	v_mul_f64 v[38:39], v[28:29], v[32:33]
	v_add_f64 v[46:47], v[46:47], -v[32:33]
	v_mul_f64 v[40:41], v[34:35], v[38:39]
	s_delay_alu instid0(VALU_DEP_2) | instskip(NEXT) | instid1(VALU_DEP_2)
	v_add_f64 v[26:27], v[26:27], v[46:47]
	v_fma_f64 v[34:35], v[38:39], v[34:35], -v[40:41]
	s_delay_alu instid0(VALU_DEP_1) | instskip(SKIP_1) | instid1(VALU_DEP_2)
	v_fma_f64 v[30:31], v[38:39], v[30:31], v[34:35]
	v_div_scale_f64 v[34:35], null, v[48:49], v[48:49], v[42:43]
	v_add_f64 v[44:45], v[40:41], v[30:31]
	s_delay_alu instid0(VALU_DEP_2) | instskip(NEXT) | instid1(VALU_DEP_1)
	v_rcp_f64_e32 v[50:51], v[34:35]
	v_add_f64 v[52:53], v[32:33], -v[44:45]
	v_add_f64 v[40:41], v[44:45], -v[40:41]
	s_waitcnt_depctr 0xfff
	v_fma_f64 v[57:58], -v[34:35], v[50:51], 1.0
	v_add_f64 v[32:33], v[32:33], -v[52:53]
	v_add_f64 v[30:31], v[40:41], -v[30:31]
	s_delay_alu instid0(VALU_DEP_3) | instskip(NEXT) | instid1(VALU_DEP_3)
	v_fma_f64 v[50:51], v[50:51], v[57:58], v[50:51]
	v_add_f64 v[32:33], v[32:33], -v[44:45]
	s_delay_alu instid0(VALU_DEP_2) | instskip(NEXT) | instid1(VALU_DEP_2)
	v_fma_f64 v[44:45], -v[34:35], v[50:51], 1.0
	v_add_f64 v[26:27], v[26:27], v[32:33]
	v_div_scale_f64 v[32:33], vcc_lo, v[42:43], v[48:49], v[42:43]
	s_delay_alu instid0(VALU_DEP_3) | instskip(SKIP_1) | instid1(VALU_DEP_4)
	v_fma_f64 v[40:41], v[50:51], v[44:45], v[50:51]
	v_add_f64 v[44:45], v[36:37], v[38:39]
	v_add_f64 v[26:27], v[30:31], v[26:27]
	s_delay_alu instid0(VALU_DEP_3) | instskip(NEXT) | instid1(VALU_DEP_3)
	v_mul_f64 v[30:31], v[32:33], v[40:41]
	v_add_f64 v[36:37], v[44:45], -v[36:37]
	s_delay_alu instid0(VALU_DEP_3) | instskip(NEXT) | instid1(VALU_DEP_3)
	v_add_f64 v[26:27], v[52:53], v[26:27]
	v_fma_f64 v[32:33], -v[34:35], v[30:31], v[32:33]
	s_delay_alu instid0(VALU_DEP_3) | instskip(NEXT) | instid1(VALU_DEP_3)
	v_add_f64 v[34:35], v[38:39], -v[36:37]
	v_mul_f64 v[26:27], v[28:29], v[26:27]
	s_delay_alu instid0(VALU_DEP_3) | instskip(SKIP_1) | instid1(VALU_DEP_3)
	v_div_fmas_f64 v[28:29], v[32:33], v[40:41], v[30:31]
	v_cmp_eq_f64_e32 vcc_lo, 0x7ff00000, v[24:25]
	v_add_f64 v[26:27], v[34:35], v[26:27]
	s_delay_alu instid0(VALU_DEP_3) | instskip(NEXT) | instid1(VALU_DEP_2)
	v_div_fixup_f64 v[28:29], v[28:29], v[48:49], v[42:43]
	v_add_f64 v[30:31], v[44:45], v[26:27]
	s_delay_alu instid0(VALU_DEP_2) | instskip(NEXT) | instid1(VALU_DEP_2)
	v_mul_f64 v[32:33], v[28:29], v[28:29]
	v_mul_f64 v[34:35], v[30:31], v[30:31]
	s_delay_alu instid0(VALU_DEP_2) | instskip(NEXT) | instid1(VALU_DEP_2)
	v_fma_f64 v[36:37], v[32:33], s[44:45], s[42:43]
	v_fma_f64 v[38:39], v[34:35], s[26:27], s[24:25]
	v_mul_f64 v[40:41], v[30:31], v[34:35]
	s_delay_alu instid0(VALU_DEP_3) | instskip(NEXT) | instid1(VALU_DEP_3)
	v_fma_f64 v[36:37], v[32:33], v[36:37], s[46:47]
	v_fma_f64 v[38:39], v[34:35], v[38:39], s[28:29]
	s_delay_alu instid0(VALU_DEP_2) | instskip(NEXT) | instid1(VALU_DEP_2)
	v_fma_f64 v[36:37], v[32:33], v[36:37], s[48:49]
	v_fma_f64 v[38:39], v[34:35], v[38:39], s[30:31]
	s_delay_alu instid0(VALU_DEP_2) | instskip(NEXT) | instid1(VALU_DEP_2)
	;; [unrolled: 3-line block ×4, first 2 shown]
	v_fma_f64 v[36:37], v[32:33], v[36:37], s[54:55]
	v_fma_f64 v[34:35], v[34:35], v[38:39], s[92:93]
	v_ldexp_f64 v[38:39], v[30:31], 1
	v_add_f64 v[30:31], v[30:31], -v[44:45]
	s_delay_alu instid0(VALU_DEP_4) | instskip(NEXT) | instid1(VALU_DEP_4)
	v_fma_f64 v[36:37], v[32:33], v[36:37], s[56:57]
	v_mul_f64 v[34:35], v[40:41], v[34:35]
	v_cvt_f64_i32_e32 v[40:41], v18
	s_delay_alu instid0(VALU_DEP_4) | instskip(NEXT) | instid1(VALU_DEP_4)
	v_add_f64 v[26:27], v[26:27], -v[30:31]
	v_fma_f64 v[36:37], v[32:33], v[36:37], s[58:59]
	v_ashrrev_i32_e32 v18, 31, v6
	s_delay_alu instid0(VALU_DEP_1) | instskip(SKIP_4) | instid1(VALU_DEP_4)
	v_and_b32_e32 v6, 0x400921fb, v18
	v_add_f64 v[42:43], v[38:39], v[34:35]
	v_mul_f64 v[44:45], v[40:41], s[38:39]
	v_ldexp_f64 v[26:27], v[26:27], 1
	v_fma_f64 v[36:37], v[32:33], v[36:37], s[60:61]
	v_add_f64 v[30:31], v[42:43], -v[38:39]
	s_delay_alu instid0(VALU_DEP_4) | instskip(NEXT) | instid1(VALU_DEP_3)
	v_fma_f64 v[38:39], v[40:41], s[38:39], -v[44:45]
	v_fma_f64 v[36:37], v[32:33], v[36:37], s[62:63]
	s_delay_alu instid0(VALU_DEP_3) | instskip(NEXT) | instid1(VALU_DEP_2)
	v_add_f64 v[30:31], v[34:35], -v[30:31]
	v_fma_f64 v[34:35], v[32:33], v[36:37], s[64:65]
	s_delay_alu instid0(VALU_DEP_4) | instskip(NEXT) | instid1(VALU_DEP_3)
	v_fma_f64 v[36:37], v[40:41], s[40:41], v[38:39]
	v_add_f64 v[26:27], v[26:27], v[30:31]
	s_delay_alu instid0(VALU_DEP_3) | instskip(NEXT) | instid1(VALU_DEP_3)
	v_fma_f64 v[30:31], v[32:33], v[34:35], s[66:67]
	v_add_f64 v[34:35], v[44:45], v[36:37]
	s_delay_alu instid0(VALU_DEP_3) | instskip(NEXT) | instid1(VALU_DEP_3)
	v_add_f64 v[38:39], v[42:43], v[26:27]
	v_fma_f64 v[30:31], v[32:33], v[30:31], s[68:69]
	s_delay_alu instid0(VALU_DEP_3) | instskip(NEXT) | instid1(VALU_DEP_3)
	v_add_f64 v[44:45], v[34:35], -v[44:45]
	v_add_f64 v[40:41], v[34:35], v[38:39]
	v_add_f64 v[42:43], v[38:39], -v[42:43]
	s_delay_alu instid0(VALU_DEP_4) | instskip(NEXT) | instid1(VALU_DEP_4)
	v_fma_f64 v[30:31], v[32:33], v[30:31], s[70:71]
	v_add_f64 v[36:37], v[36:37], -v[44:45]
	s_delay_alu instid0(VALU_DEP_4) | instskip(NEXT) | instid1(VALU_DEP_4)
	v_add_f64 v[46:47], v[40:41], -v[34:35]
	v_add_f64 v[26:27], v[26:27], -v[42:43]
	s_delay_alu instid0(VALU_DEP_4) | instskip(NEXT) | instid1(VALU_DEP_3)
	v_fma_f64 v[30:31], v[32:33], v[30:31], s[72:73]
	v_add_f64 v[48:49], v[40:41], -v[46:47]
	v_add_f64 v[38:39], v[38:39], -v[46:47]
	s_delay_alu instid0(VALU_DEP_4) | instskip(NEXT) | instid1(VALU_DEP_4)
	v_add_f64 v[42:43], v[36:37], v[26:27]
	v_fma_f64 v[30:31], v[32:33], v[30:31], s[74:75]
	s_delay_alu instid0(VALU_DEP_4) | instskip(NEXT) | instid1(VALU_DEP_2)
	v_add_f64 v[34:35], v[34:35], -v[48:49]
	v_fma_f64 v[30:31], v[32:33], v[30:31], s[76:77]
	s_delay_alu instid0(VALU_DEP_2) | instskip(SKIP_1) | instid1(VALU_DEP_3)
	v_add_f64 v[34:35], v[38:39], v[34:35]
	v_add_f64 v[38:39], v[42:43], -v[36:37]
	v_fma_f64 v[30:31], v[32:33], v[30:31], s[78:79]
	s_delay_alu instid0(VALU_DEP_3) | instskip(NEXT) | instid1(VALU_DEP_3)
	v_add_f64 v[34:35], v[42:43], v[34:35]
	v_add_f64 v[42:43], v[42:43], -v[38:39]
	v_add_f64 v[26:27], v[26:27], -v[38:39]
	s_delay_alu instid0(VALU_DEP_4) | instskip(NEXT) | instid1(VALU_DEP_4)
	v_fma_f64 v[30:31], v[32:33], v[30:31], s[80:81]
	v_add_f64 v[44:45], v[40:41], v[34:35]
	s_delay_alu instid0(VALU_DEP_2) | instskip(SKIP_1) | instid1(VALU_DEP_3)
	v_mul_f64 v[30:31], v[32:33], v[30:31]
	v_add_f64 v[32:33], v[36:37], -v[42:43]
	v_add_f64 v[36:37], v[44:45], -v[40:41]
	s_delay_alu instid0(VALU_DEP_3) | instskip(NEXT) | instid1(VALU_DEP_3)
	v_fma_f64 v[28:29], v[28:29], v[30:31], v[28:29]
	v_add_f64 v[26:27], v[26:27], v[32:33]
	s_delay_alu instid0(VALU_DEP_3) | instskip(NEXT) | instid1(VALU_DEP_3)
	v_add_f64 v[30:31], v[34:35], -v[36:37]
	v_add_f64 v[32:33], -v[28:29], s[82:83]
	s_delay_alu instid0(VALU_DEP_2) | instskip(NEXT) | instid1(VALU_DEP_2)
	v_add_f64 v[26:27], v[26:27], v[30:31]
	v_cndmask_b32_e64 v29, v29, v33, s2
	s_delay_alu instid0(VALU_DEP_3) | instskip(SKIP_1) | instid1(VALU_DEP_2)
	v_cndmask_b32_e64 v28, v28, v32, s2
	v_cndmask_b32_e64 v32, 0x54442d18, v55, s3
	v_add_f64 v[30:31], -v[28:29], s[12:13]
	v_add_f64 v[26:27], v[44:45], v[26:27]
	v_and_b32_e32 v23, 0x54442d18, v18
	s_delay_alu instid0(VALU_DEP_3) | instskip(NEXT) | instid1(VALU_DEP_4)
	v_cndmask_b32_e64 v30, v28, v30, s3
	v_cndmask_b32_e64 v18, v29, v31, s3
	v_cmp_nge_f64_e64 s3, -1.0, v[24:25]
	v_dual_cndmask_b32 v26, v26, v24 :: v_dual_cndmask_b32 v27, v27, v25
	v_cmp_eq_f64_e32 vcc_lo, 0, v[7:8]
	s_delay_alu instid0(VALU_DEP_2) | instskip(SKIP_3) | instid1(VALU_DEP_4)
	v_mul_f64 v[27:28], v[26:27], 0.5
	v_cndmask_b32_e32 v29, v30, v23, vcc_lo
	v_cndmask_b32_e32 v6, v18, v6, vcc_lo
	v_cmp_ngt_f64_e32 vcc_lo, -1.0, v[24:25]
	v_cndmask_b32_e64 v23, 0, v27, s3
	v_cmp_neq_f64_e64 s3, -1.0, v[24:25]
	v_cndmask_b32_e32 v18, 0x7ff80000, v28, vcc_lo
	s_and_b32 vcc_lo, s6, s5
	v_dual_cndmask_b32 v25, v29, v32 :: v_dual_cndmask_b32 v26, v6, v5
	s_delay_alu instid0(VALU_DEP_2)
	v_cndmask_b32_e64 v24, 0xfff00000, v18, s3
                                        ; implicit-def: $vgpr29_vgpr30
                                        ; implicit-def: $vgpr31_vgpr32
.LBB180_11:                             ;   in Loop: Header=BB180_5 Depth=1
	s_and_not1_saveexec_b32 s104, s4
	s_cbranch_execz .LBB180_19
; %bb.12:                               ;   in Loop: Header=BB180_5 Depth=1
	v_mul_f64 v[23:24], v[29:30], v[29:30]
                                        ; implicit-def: $vgpr25_vgpr26
	s_mov_b32 s3, exec_lo
	s_delay_alu instid0(VALU_DEP_1) | instskip(NEXT) | instid1(VALU_DEP_1)
	v_fma_f64 v[27:28], v[31:32], v[31:32], v[23:24]
                                        ; implicit-def: $vgpr23_vgpr24
	v_cmpx_ge_f64_e32 s[84:85], v[27:28]
	s_xor_b32 s5, exec_lo, s3
	s_cbranch_execz .LBB180_14
; %bb.13:                               ;   in Loop: Header=BB180_5 Depth=1
	v_frexp_mant_f64_e32 v[23:24], v[27:28]
	v_max_f64 v[35:36], |v[5:6]|, |v[5:6]|
	s_mov_b32 s93, s23
	s_mov_b32 s12, s82
	v_cmp_class_f64_e64 s6, v[7:8], 0x204
	v_cmp_class_f64_e64 s7, v[5:6], 0x204
	v_cmp_neq_f64_e64 s4, 0, v[27:28]
	v_cmp_gt_f64_e64 s3, s[22:23], v[23:24]
	s_delay_alu instid0(VALU_DEP_1) | instskip(NEXT) | instid1(VALU_DEP_1)
	v_cndmask_b32_e64 v18, 0x3ff00000, 2.0, s3
	v_mul_f64 v[23:24], v[23:24], v[17:18]
	v_frexp_exp_i32_f64_e32 v18, v[27:28]
	s_delay_alu instid0(VALU_DEP_2) | instskip(SKIP_1) | instid1(VALU_DEP_2)
	v_add_f64 v[25:26], v[23:24], 1.0
	v_add_f64 v[33:34], v[23:24], -1.0
	v_rcp_f64_e32 v[29:30], v[25:26]
	s_waitcnt_depctr 0xfff
	v_fma_f64 v[31:32], -v[25:26], v[29:30], 1.0
	s_delay_alu instid0(VALU_DEP_1) | instskip(NEXT) | instid1(VALU_DEP_1)
	v_fma_f64 v[29:30], v[31:32], v[29:30], v[29:30]
	v_fma_f64 v[31:32], -v[25:26], v[29:30], 1.0
	s_delay_alu instid0(VALU_DEP_1) | instskip(SKIP_1) | instid1(VALU_DEP_2)
	v_fma_f64 v[29:30], v[31:32], v[29:30], v[29:30]
	v_max_f64 v[31:32], |v[7:8]|, |v[7:8]|
	v_mul_f64 v[37:38], v[33:34], v[29:30]
	s_delay_alu instid0(VALU_DEP_2) | instskip(SKIP_2) | instid1(VALU_DEP_4)
	v_max_f64 v[39:40], v[35:36], v[31:32]
	v_min_f64 v[31:32], v[35:36], v[31:32]
	v_add_f64 v[35:36], v[25:26], -1.0
	v_mul_f64 v[41:42], v[25:26], v[37:38]
	s_delay_alu instid0(VALU_DEP_3) | instskip(NEXT) | instid1(VALU_DEP_3)
	v_div_scale_f64 v[43:44], null, v[39:40], v[39:40], v[31:32]
	v_add_f64 v[23:24], v[23:24], -v[35:36]
	v_div_scale_f64 v[49:50], vcc_lo, v[31:32], v[39:40], v[31:32]
	s_delay_alu instid0(VALU_DEP_4) | instskip(NEXT) | instid1(VALU_DEP_4)
	v_fma_f64 v[25:26], v[37:38], v[25:26], -v[41:42]
	v_rcp_f64_e32 v[35:36], v[43:44]
	s_delay_alu instid0(VALU_DEP_1) | instskip(SKIP_3) | instid1(VALU_DEP_2)
	v_fma_f64 v[23:24], v[37:38], v[23:24], v[25:26]
	s_waitcnt_depctr 0xfff
	v_fma_f64 v[25:26], -v[43:44], v[35:36], 1.0
	v_add_f64 v[45:46], v[41:42], v[23:24]
	v_fma_f64 v[25:26], v[35:36], v[25:26], v[35:36]
	s_delay_alu instid0(VALU_DEP_2) | instskip(SKIP_1) | instid1(VALU_DEP_3)
	v_add_f64 v[35:36], v[33:34], -v[45:46]
	v_add_f64 v[41:42], v[45:46], -v[41:42]
	v_fma_f64 v[47:48], -v[43:44], v[25:26], 1.0
	s_delay_alu instid0(VALU_DEP_3) | instskip(NEXT) | instid1(VALU_DEP_3)
	v_add_f64 v[33:34], v[33:34], -v[35:36]
	v_add_f64 v[23:24], v[41:42], -v[23:24]
	s_delay_alu instid0(VALU_DEP_3) | instskip(NEXT) | instid1(VALU_DEP_3)
	v_fma_f64 v[25:26], v[25:26], v[47:48], v[25:26]
	v_add_f64 v[33:34], v[33:34], -v[45:46]
	s_delay_alu instid0(VALU_DEP_2) | instskip(NEXT) | instid1(VALU_DEP_2)
	v_mul_f64 v[41:42], v[49:50], v[25:26]
	v_add_f64 v[23:24], v[23:24], v[33:34]
	s_delay_alu instid0(VALU_DEP_2) | instskip(NEXT) | instid1(VALU_DEP_2)
	v_fma_f64 v[33:34], -v[43:44], v[41:42], v[49:50]
	v_add_f64 v[23:24], v[35:36], v[23:24]
	s_delay_alu instid0(VALU_DEP_2)
	v_div_fmas_f64 v[25:26], v[33:34], v[25:26], v[41:42]
	v_subrev_co_ci_u32_e64 v18, vcc_lo, 0, v18, s3
	v_cmp_eq_f64_e64 s3, 0, v[7:8]
	v_cmp_gt_i32_e32 vcc_lo, 0, v6
	v_mul_f64 v[23:24], v[29:30], v[23:24]
	v_div_fixup_f64 v[25:26], v[25:26], v[39:40], v[31:32]
	s_delay_alu instid0(VALU_DEP_2) | instskip(NEXT) | instid1(VALU_DEP_2)
	v_add_f64 v[29:30], v[37:38], v[23:24]
	v_mul_f64 v[31:32], v[25:26], v[25:26]
	s_delay_alu instid0(VALU_DEP_2) | instskip(NEXT) | instid1(VALU_DEP_2)
	v_mul_f64 v[33:34], v[29:30], v[29:30]
	v_fma_f64 v[35:36], v[31:32], s[44:45], s[42:43]
	s_delay_alu instid0(VALU_DEP_2) | instskip(SKIP_1) | instid1(VALU_DEP_3)
	v_fma_f64 v[39:40], v[33:34], s[26:27], s[24:25]
	v_mul_f64 v[41:42], v[29:30], v[33:34]
	v_fma_f64 v[35:36], v[31:32], v[35:36], s[46:47]
	s_delay_alu instid0(VALU_DEP_3) | instskip(NEXT) | instid1(VALU_DEP_2)
	v_fma_f64 v[39:40], v[33:34], v[39:40], s[28:29]
	v_fma_f64 v[35:36], v[31:32], v[35:36], s[48:49]
	s_delay_alu instid0(VALU_DEP_2) | instskip(NEXT) | instid1(VALU_DEP_2)
	v_fma_f64 v[39:40], v[33:34], v[39:40], s[30:31]
	v_fma_f64 v[35:36], v[31:32], v[35:36], s[50:51]
	s_delay_alu instid0(VALU_DEP_2) | instskip(NEXT) | instid1(VALU_DEP_2)
	;; [unrolled: 3-line block ×3, first 2 shown]
	v_fma_f64 v[39:40], v[33:34], v[39:40], s[36:37]
	v_fma_f64 v[35:36], v[31:32], v[35:36], s[54:55]
	s_delay_alu instid0(VALU_DEP_2) | instskip(SKIP_2) | instid1(VALU_DEP_4)
	v_fma_f64 v[33:34], v[33:34], v[39:40], s[92:93]
	v_ldexp_f64 v[39:40], v[29:30], 1
	v_add_f64 v[29:30], v[29:30], -v[37:38]
	v_fma_f64 v[35:36], v[31:32], v[35:36], s[56:57]
	s_delay_alu instid0(VALU_DEP_4) | instskip(SKIP_1) | instid1(VALU_DEP_4)
	v_mul_f64 v[33:34], v[41:42], v[33:34]
	v_cvt_f64_i32_e32 v[41:42], v18
	v_add_f64 v[23:24], v[23:24], -v[29:30]
	v_ashrrev_i32_e32 v18, 31, v6
	v_fma_f64 v[35:36], v[31:32], v[35:36], s[58:59]
	v_add_f64 v[37:38], v[39:40], v[33:34]
	v_mul_f64 v[43:44], v[41:42], s[38:39]
	v_ldexp_f64 v[23:24], v[23:24], 1
	s_delay_alu instid0(VALU_DEP_4) | instskip(NEXT) | instid1(VALU_DEP_4)
	v_fma_f64 v[35:36], v[31:32], v[35:36], s[60:61]
	v_add_f64 v[29:30], v[37:38], -v[39:40]
	s_delay_alu instid0(VALU_DEP_4) | instskip(NEXT) | instid1(VALU_DEP_3)
	v_fma_f64 v[39:40], v[41:42], s[38:39], -v[43:44]
	v_fma_f64 v[35:36], v[31:32], v[35:36], s[62:63]
	s_delay_alu instid0(VALU_DEP_3) | instskip(NEXT) | instid1(VALU_DEP_2)
	v_add_f64 v[29:30], v[33:34], -v[29:30]
	v_fma_f64 v[33:34], v[31:32], v[35:36], s[64:65]
	s_delay_alu instid0(VALU_DEP_4) | instskip(NEXT) | instid1(VALU_DEP_3)
	v_fma_f64 v[35:36], v[41:42], s[40:41], v[39:40]
	v_add_f64 v[23:24], v[23:24], v[29:30]
	s_delay_alu instid0(VALU_DEP_3) | instskip(NEXT) | instid1(VALU_DEP_3)
	v_fma_f64 v[29:30], v[31:32], v[33:34], s[66:67]
	v_add_f64 v[33:34], v[43:44], v[35:36]
	s_delay_alu instid0(VALU_DEP_3) | instskip(NEXT) | instid1(VALU_DEP_3)
	v_add_f64 v[39:40], v[37:38], v[23:24]
	v_fma_f64 v[29:30], v[31:32], v[29:30], s[68:69]
	s_delay_alu instid0(VALU_DEP_3) | instskip(NEXT) | instid1(VALU_DEP_3)
	v_add_f64 v[43:44], v[33:34], -v[43:44]
	v_add_f64 v[41:42], v[33:34], v[39:40]
	v_add_f64 v[37:38], v[39:40], -v[37:38]
	s_delay_alu instid0(VALU_DEP_4) | instskip(NEXT) | instid1(VALU_DEP_4)
	v_fma_f64 v[29:30], v[31:32], v[29:30], s[70:71]
	v_add_f64 v[35:36], v[35:36], -v[43:44]
	s_delay_alu instid0(VALU_DEP_4) | instskip(NEXT) | instid1(VALU_DEP_4)
	v_add_f64 v[45:46], v[41:42], -v[33:34]
	v_add_f64 v[23:24], v[23:24], -v[37:38]
	s_delay_alu instid0(VALU_DEP_4) | instskip(NEXT) | instid1(VALU_DEP_3)
	v_fma_f64 v[29:30], v[31:32], v[29:30], s[72:73]
	v_add_f64 v[47:48], v[41:42], -v[45:46]
	v_add_f64 v[37:38], v[39:40], -v[45:46]
	s_delay_alu instid0(VALU_DEP_4) | instskip(NEXT) | instid1(VALU_DEP_4)
	v_add_f64 v[39:40], v[35:36], v[23:24]
	v_fma_f64 v[29:30], v[31:32], v[29:30], s[74:75]
	s_delay_alu instid0(VALU_DEP_4) | instskip(NEXT) | instid1(VALU_DEP_2)
	v_add_f64 v[33:34], v[33:34], -v[47:48]
	v_fma_f64 v[29:30], v[31:32], v[29:30], s[76:77]
	s_delay_alu instid0(VALU_DEP_2) | instskip(SKIP_1) | instid1(VALU_DEP_3)
	v_add_f64 v[33:34], v[37:38], v[33:34]
	v_add_f64 v[37:38], v[39:40], -v[35:36]
	v_fma_f64 v[29:30], v[31:32], v[29:30], s[78:79]
	s_delay_alu instid0(VALU_DEP_3) | instskip(NEXT) | instid1(VALU_DEP_3)
	v_add_f64 v[33:34], v[39:40], v[33:34]
	v_add_f64 v[39:40], v[39:40], -v[37:38]
	v_add_f64 v[23:24], v[23:24], -v[37:38]
	s_delay_alu instid0(VALU_DEP_4) | instskip(NEXT) | instid1(VALU_DEP_4)
	v_fma_f64 v[29:30], v[31:32], v[29:30], s[80:81]
	v_add_f64 v[43:44], v[41:42], v[33:34]
	s_delay_alu instid0(VALU_DEP_2) | instskip(SKIP_1) | instid1(VALU_DEP_3)
	v_mul_f64 v[29:30], v[31:32], v[29:30]
	v_add_f64 v[31:32], v[35:36], -v[39:40]
	v_add_f64 v[35:36], v[43:44], -v[41:42]
	s_delay_alu instid0(VALU_DEP_3) | instskip(NEXT) | instid1(VALU_DEP_3)
	v_fma_f64 v[25:26], v[25:26], v[29:30], v[25:26]
	v_add_f64 v[23:24], v[23:24], v[31:32]
	s_delay_alu instid0(VALU_DEP_3) | instskip(NEXT) | instid1(VALU_DEP_3)
	v_add_f64 v[29:30], v[33:34], -v[35:36]
	v_add_f64 v[31:32], -v[25:26], s[82:83]
	s_delay_alu instid0(VALU_DEP_2) | instskip(NEXT) | instid1(VALU_DEP_2)
	v_add_f64 v[23:24], v[23:24], v[29:30]
	v_cndmask_b32_e64 v26, v26, v32, s2
	s_delay_alu instid0(VALU_DEP_3) | instskip(SKIP_2) | instid1(VALU_DEP_3)
	v_cndmask_b32_e64 v25, v25, v31, s2
	v_dual_cndmask_b32 v31, 0x54442d18, v55 :: v_dual_and_b32 v32, 0x54442d18, v18
	v_and_b32_e32 v18, 0x400921fb, v18
	v_add_f64 v[29:30], -v[25:26], s[12:13]
	v_add_f64 v[23:24], v[43:44], v[23:24]
	s_delay_alu instid0(VALU_DEP_2) | instskip(NEXT) | instid1(VALU_DEP_1)
	v_cndmask_b32_e32 v25, v25, v29, vcc_lo
	v_cndmask_b32_e64 v25, v25, v32, s3
	s_delay_alu instid0(VALU_DEP_3) | instskip(SKIP_4) | instid1(VALU_DEP_3)
	v_mul_f64 v[5:6], v[23:24], 0.5
	v_cndmask_b32_e32 v23, 0x3fe921fb, v56, vcc_lo
	v_cndmask_b32_e32 v24, v26, v30, vcc_lo
	s_and_b32 vcc_lo, s7, s6
                                        ; implicit-def: $vgpr29_vgpr30
	v_cndmask_b32_e32 v25, v25, v31, vcc_lo
	v_bfi_b32 v23, 0x7fffffff, v23, v8
	s_delay_alu instid0(VALU_DEP_3) | instskip(NEXT) | instid1(VALU_DEP_1)
	v_cndmask_b32_e64 v18, v24, v18, s3
                                        ; implicit-def: $vgpr31_vgpr32
	v_cndmask_b32_e32 v26, v18, v23, vcc_lo
	v_cndmask_b32_e64 v24, 0xfff00000, v6, s4
	v_cndmask_b32_e64 v23, 0, v5, s4
.LBB180_14:                             ;   in Loop: Header=BB180_5 Depth=1
	s_and_not1_saveexec_b32 vcc_hi, s5
	s_cbranch_execz .LBB180_18
; %bb.15:                               ;   in Loop: Header=BB180_5 Depth=1
	v_dual_mov_b32 v25, v17 :: v_dual_and_b32 v18, 0x7ffffff8, v32
	v_and_b32_e32 v26, 0x7ffffff8, v30
	s_mov_b32 s93, 0
	s_delay_alu instid0(VALU_DEP_2) | instskip(SKIP_1) | instid1(VALU_DEP_3)
	v_add_f64 v[23:24], v[31:32], -v[17:18]
	v_mov_b32_e32 v31, v17
	v_add_f64 v[27:28], v[29:30], -v[25:26]
	v_mov_b32_e32 v33, v17
	v_add_f64 v[35:36], v[17:18], v[17:18]
	v_add_f64 v[43:44], v[25:26], v[25:26]
	v_mul_f64 v[29:30], v[25:26], v[25:26]
	v_and_b32_e32 v32, -8, v24
	v_and_b32_e32 v34, -8, v28
	s_delay_alu instid0(VALU_DEP_2) | instskip(SKIP_1) | instid1(VALU_DEP_3)
	v_add_f64 v[45:46], v[23:24], -v[31:32]
	v_add_f64 v[49:50], v[31:32], v[31:32]
	v_add_f64 v[47:48], v[27:28], -v[33:34]
	v_add_f64 v[51:52], v[33:34], v[33:34]
	v_mul_f64 v[23:24], v[17:18], v[17:18]
	v_mul_f64 v[41:42], v[35:36], v[31:32]
	;; [unrolled: 1-line block ×11, first 2 shown]
.LBB180_16:                             ;   Parent Loop BB180_5 Depth=1
                                        ; =>  This Inner Loop Header: Depth=2
	v_cmp_nlt_f64_e32 vcc_lo, v[23:24], v[29:30]
	v_dual_cndmask_b32 v48, v24, v30 :: v_dual_cndmask_b32 v47, v23, v29
	v_dual_cndmask_b32 v24, v30, v24 :: v_dual_cndmask_b32 v23, v29, v23
	s_delay_alu instid0(VALU_DEP_2) | instskip(NEXT) | instid1(VALU_DEP_1)
	v_cmp_nlt_f64_e64 s3, v[47:48], v[41:42]
	v_cndmask_b32_e64 v50, v48, v42, s3
	v_cndmask_b32_e64 v49, v47, v41, s3
	;; [unrolled: 1-line block ×4, first 2 shown]
	s_and_b32 s3, vcc_lo, s3
	s_delay_alu instid0(VALU_DEP_3) | instskip(NEXT) | instid1(VALU_DEP_1)
	v_cmp_nlt_f64_e64 s4, v[49:50], v[27:28]
	v_cndmask_b32_e64 v48, v50, v28, s4
	v_cndmask_b32_e64 v47, v49, v27, s4
	;; [unrolled: 1-line block ×4, first 2 shown]
	s_delay_alu instid0(VALU_DEP_3) | instskip(NEXT) | instid1(VALU_DEP_1)
	v_cmp_nlt_f64_e64 s5, v[47:48], v[39:40]
	v_cndmask_b32_e64 v50, v48, v40, s5
	v_cndmask_b32_e64 v49, v47, v39, s5
	;; [unrolled: 1-line block ×4, first 2 shown]
	s_and_b32 s4, s4, s5
	s_delay_alu instid0(VALU_DEP_3) | instskip(NEXT) | instid1(VALU_DEP_1)
	v_cmp_nlt_f64_e64 s6, v[49:50], v[25:26]
	v_cndmask_b32_e64 v48, v50, v26, s6
	v_cndmask_b32_e64 v47, v49, v25, s6
	;; [unrolled: 1-line block ×4, first 2 shown]
	s_delay_alu instid0(VALU_DEP_3) | instskip(NEXT) | instid1(VALU_DEP_1)
	v_cmp_nlt_f64_e64 s7, v[47:48], v[37:38]
	v_cndmask_b32_e64 v50, v48, v38, s7
	v_cndmask_b32_e64 v49, v47, v37, s7
	v_cndmask_b32_e64 v26, v38, v48, s7
	v_cndmask_b32_e64 v25, v37, v47, s7
	s_and_b32 s5, s6, s7
	s_delay_alu instid0(VALU_DEP_3) | instskip(NEXT) | instid1(VALU_DEP_1)
	v_cmp_nlt_f64_e64 s8, v[49:50], v[35:36]
	v_cndmask_b32_e64 v48, v50, v36, s8
	v_cndmask_b32_e64 v47, v49, v35, s8
	v_cndmask_b32_e64 v38, v36, v50, s8
	v_cndmask_b32_e64 v37, v35, v49, s8
	s_and_b32 s5, s5, s8
	;; [unrolled: 7-line block ×4, first 2 shown]
	s_delay_alu instid0(VALU_DEP_3) | instskip(NEXT) | instid1(VALU_DEP_1)
	v_cmp_nlt_f64_e64 s11, v[47:48], v[43:44]
	v_cndmask_b32_e64 v50, v48, v44, s11
	v_cndmask_b32_e64 v49, v47, v43, s11
	s_and_b32 s5, s5, s11
	v_cndmask_b32_e64 v32, v44, v48, s11
	v_cndmask_b32_e64 v31, v43, v47, s11
	s_delay_alu instid0(VALU_DEP_3) | instskip(NEXT) | instid1(VALU_DEP_1)
	v_cmp_nlt_f64_e64 s12, v[49:50], v[45:46]
	v_cndmask_b32_e64 v48, v50, v46, s12
	v_cndmask_b32_e64 v47, v49, v45, s12
	s_and_b32 s5, s5, s12
	v_cndmask_b32_e64 v44, v46, v50, s12
	s_and_b32 s4, s5, s4
	;; [unrolled: 2-line block ×3, first 2 shown]
	v_dual_mov_b32 v45, v47 :: v_dual_mov_b32 v46, v48
	s_and_b32 s3, exec_lo, s3
	s_delay_alu instid0(SALU_CYCLE_1) | instskip(NEXT) | instid1(SALU_CYCLE_1)
	s_or_b32 s93, s3, s93
	s_and_not1_b32 exec_lo, exec_lo, s93
	s_cbranch_execnz .LBB180_16
; %bb.17:                               ;   in Loop: Header=BB180_5 Depth=1
	s_or_b32 exec_lo, exec_lo, s93
	v_add_f64 v[23:24], v[23:24], -1.0
	s_mov_b32 s93, s23
	s_mov_b32 s12, s82
	v_cmp_gt_i32_e64 s3, 0, v6
	v_cmp_class_f64_e64 s5, v[5:6], 0x204
	v_cmp_class_f64_e64 s4, v[7:8], 0x204
	s_delay_alu instid0(VALU_DEP_4) | instskip(NEXT) | instid1(VALU_DEP_1)
	v_add_f64 v[23:24], v[23:24], v[29:30]
	v_add_f64 v[23:24], v[23:24], v[41:42]
	s_delay_alu instid0(VALU_DEP_1) | instskip(NEXT) | instid1(VALU_DEP_1)
	v_add_f64 v[23:24], v[23:24], v[27:28]
	v_add_f64 v[23:24], v[23:24], v[39:40]
	s_delay_alu instid0(VALU_DEP_1) | instskip(NEXT) | instid1(VALU_DEP_1)
	;; [unrolled: 3-line block ×5, first 2 shown]
	v_add_f64 v[24:25], v[47:48], v[23:24]
	v_add_f64 v[26:27], v[24:25], 1.0
	s_delay_alu instid0(VALU_DEP_1) | instskip(SKIP_2) | instid1(VALU_DEP_3)
	v_frexp_mant_f64_e32 v[28:29], v[26:27]
	v_frexp_exp_i32_f64_e32 v18, v[26:27]
	v_add_f64 v[30:31], v[26:27], -1.0
	v_cmp_gt_f64_e32 vcc_lo, s[22:23], v[28:29]
	s_delay_alu instid0(VALU_DEP_2) | instskip(SKIP_2) | instid1(VALU_DEP_3)
	v_add_f64 v[28:29], v[30:31], -v[26:27]
	v_add_f64 v[30:31], v[24:25], -v[30:31]
	v_subrev_co_ci_u32_e32 v18, vcc_lo, 0, v18, vcc_lo
	v_add_f64 v[28:29], v[28:29], 1.0
	s_delay_alu instid0(VALU_DEP_2) | instskip(NEXT) | instid1(VALU_DEP_1)
	v_sub_nc_u32_e32 v23, 0, v18
	v_ldexp_f64 v[26:27], v[26:27], v23
	s_delay_alu instid0(VALU_DEP_3) | instskip(NEXT) | instid1(VALU_DEP_2)
	v_add_f64 v[28:29], v[30:31], v[28:29]
	v_add_f64 v[32:33], v[26:27], 1.0
	v_add_f64 v[38:39], v[26:27], -1.0
	s_delay_alu instid0(VALU_DEP_3) | instskip(NEXT) | instid1(VALU_DEP_3)
	v_ldexp_f64 v[28:29], v[28:29], v23
	v_add_f64 v[30:31], v[32:33], -1.0
	s_delay_alu instid0(VALU_DEP_3) | instskip(NEXT) | instid1(VALU_DEP_2)
	v_add_f64 v[40:41], v[38:39], 1.0
	v_add_f64 v[30:31], v[26:27], -v[30:31]
	s_delay_alu instid0(VALU_DEP_2) | instskip(NEXT) | instid1(VALU_DEP_2)
	v_add_f64 v[26:27], v[26:27], -v[40:41]
	v_add_f64 v[30:31], v[28:29], v[30:31]
	s_delay_alu instid0(VALU_DEP_2) | instskip(NEXT) | instid1(VALU_DEP_2)
	v_add_f64 v[26:27], v[28:29], v[26:27]
	v_add_f64 v[34:35], v[32:33], v[30:31]
	s_delay_alu instid0(VALU_DEP_2) | instskip(NEXT) | instid1(VALU_DEP_2)
	v_add_f64 v[40:41], v[38:39], v[26:27]
	v_rcp_f64_e32 v[36:37], v[34:35]
	v_add_f64 v[32:33], v[34:35], -v[32:33]
	s_delay_alu instid0(VALU_DEP_2) | instskip(NEXT) | instid1(VALU_DEP_2)
	v_add_f64 v[38:39], v[40:41], -v[38:39]
	v_add_f64 v[30:31], v[30:31], -v[32:33]
	s_waitcnt_depctr 0xfff
	v_fma_f64 v[42:43], -v[34:35], v[36:37], 1.0
	v_add_f64 v[26:27], v[26:27], -v[38:39]
	s_delay_alu instid0(VALU_DEP_2) | instskip(NEXT) | instid1(VALU_DEP_1)
	v_fma_f64 v[36:37], v[42:43], v[36:37], v[36:37]
	v_fma_f64 v[28:29], -v[34:35], v[36:37], 1.0
	s_delay_alu instid0(VALU_DEP_1) | instskip(NEXT) | instid1(VALU_DEP_1)
	v_fma_f64 v[28:29], v[28:29], v[36:37], v[36:37]
	v_mul_f64 v[36:37], v[40:41], v[28:29]
	s_delay_alu instid0(VALU_DEP_1) | instskip(NEXT) | instid1(VALU_DEP_1)
	v_mul_f64 v[42:43], v[34:35], v[36:37]
	v_fma_f64 v[32:33], v[36:37], v[34:35], -v[42:43]
	s_delay_alu instid0(VALU_DEP_1) | instskip(NEXT) | instid1(VALU_DEP_1)
	v_fma_f64 v[32:33], v[36:37], v[30:31], v[32:33]
	v_add_f64 v[44:45], v[42:43], v[32:33]
	s_delay_alu instid0(VALU_DEP_1) | instskip(SKIP_2) | instid1(VALU_DEP_3)
	v_add_f64 v[46:47], v[40:41], -v[44:45]
	v_add_f64 v[38:39], v[44:45], -v[42:43]
	v_max_f64 v[42:43], |v[7:8]|, |v[7:8]|
	v_add_f64 v[40:41], v[40:41], -v[46:47]
	s_delay_alu instid0(VALU_DEP_3) | instskip(NEXT) | instid1(VALU_DEP_2)
	v_add_f64 v[32:33], v[38:39], -v[32:33]
	v_add_f64 v[40:41], v[40:41], -v[44:45]
	v_max_f64 v[44:45], |v[5:6]|, |v[5:6]|
	v_cndmask_b32_e64 v5, 0x3fe921fb, v56, s3
	s_delay_alu instid0(VALU_DEP_1) | instskip(NEXT) | instid1(VALU_DEP_4)
	v_bfi_b32 v5, 0x7fffffff, v5, v8
	v_add_f64 v[26:27], v[26:27], v[40:41]
	s_delay_alu instid0(VALU_DEP_4) | instskip(SKIP_1) | instid1(VALU_DEP_3)
	v_max_f64 v[48:49], v[44:45], v[42:43]
	v_min_f64 v[42:43], v[44:45], v[42:43]
	v_add_f64 v[26:27], v[32:33], v[26:27]
	s_delay_alu instid0(VALU_DEP_1) | instskip(NEXT) | instid1(VALU_DEP_1)
	v_add_f64 v[32:33], v[46:47], v[26:27]
	v_mul_f64 v[38:39], v[28:29], v[32:33]
	v_add_f64 v[46:47], v[46:47], -v[32:33]
	s_delay_alu instid0(VALU_DEP_2) | instskip(NEXT) | instid1(VALU_DEP_2)
	v_mul_f64 v[40:41], v[34:35], v[38:39]
	v_add_f64 v[26:27], v[26:27], v[46:47]
	s_delay_alu instid0(VALU_DEP_2) | instskip(NEXT) | instid1(VALU_DEP_1)
	v_fma_f64 v[34:35], v[38:39], v[34:35], -v[40:41]
	v_fma_f64 v[30:31], v[38:39], v[30:31], v[34:35]
	v_div_scale_f64 v[34:35], null, v[48:49], v[48:49], v[42:43]
	s_delay_alu instid0(VALU_DEP_2) | instskip(NEXT) | instid1(VALU_DEP_2)
	v_add_f64 v[44:45], v[40:41], v[30:31]
	v_rcp_f64_e32 v[50:51], v[34:35]
	s_delay_alu instid0(VALU_DEP_1)
	v_add_f64 v[52:53], v[32:33], -v[44:45]
	v_add_f64 v[40:41], v[44:45], -v[40:41]
	s_waitcnt_depctr 0xfff
	v_fma_f64 v[57:58], -v[34:35], v[50:51], 1.0
	v_add_f64 v[32:33], v[32:33], -v[52:53]
	v_add_f64 v[30:31], v[40:41], -v[30:31]
	s_delay_alu instid0(VALU_DEP_3) | instskip(NEXT) | instid1(VALU_DEP_3)
	v_fma_f64 v[50:51], v[50:51], v[57:58], v[50:51]
	v_add_f64 v[32:33], v[32:33], -v[44:45]
	s_delay_alu instid0(VALU_DEP_2) | instskip(NEXT) | instid1(VALU_DEP_2)
	v_fma_f64 v[44:45], -v[34:35], v[50:51], 1.0
	v_add_f64 v[26:27], v[26:27], v[32:33]
	v_div_scale_f64 v[32:33], vcc_lo, v[42:43], v[48:49], v[42:43]
	s_delay_alu instid0(VALU_DEP_3) | instskip(SKIP_1) | instid1(VALU_DEP_4)
	v_fma_f64 v[40:41], v[50:51], v[44:45], v[50:51]
	v_add_f64 v[44:45], v[36:37], v[38:39]
	v_add_f64 v[26:27], v[30:31], v[26:27]
	s_delay_alu instid0(VALU_DEP_3) | instskip(NEXT) | instid1(VALU_DEP_3)
	v_mul_f64 v[30:31], v[32:33], v[40:41]
	v_add_f64 v[36:37], v[44:45], -v[36:37]
	s_delay_alu instid0(VALU_DEP_3) | instskip(NEXT) | instid1(VALU_DEP_3)
	v_add_f64 v[26:27], v[52:53], v[26:27]
	v_fma_f64 v[32:33], -v[34:35], v[30:31], v[32:33]
	s_delay_alu instid0(VALU_DEP_3) | instskip(NEXT) | instid1(VALU_DEP_3)
	v_add_f64 v[34:35], v[38:39], -v[36:37]
	v_mul_f64 v[26:27], v[28:29], v[26:27]
	s_delay_alu instid0(VALU_DEP_3) | instskip(SKIP_1) | instid1(VALU_DEP_3)
	v_div_fmas_f64 v[28:29], v[32:33], v[40:41], v[30:31]
	v_cmp_eq_f64_e32 vcc_lo, 0x7ff00000, v[24:25]
	v_add_f64 v[26:27], v[34:35], v[26:27]
	s_delay_alu instid0(VALU_DEP_3) | instskip(NEXT) | instid1(VALU_DEP_2)
	v_div_fixup_f64 v[28:29], v[28:29], v[48:49], v[42:43]
	v_add_f64 v[30:31], v[44:45], v[26:27]
	s_delay_alu instid0(VALU_DEP_2) | instskip(NEXT) | instid1(VALU_DEP_2)
	v_mul_f64 v[32:33], v[28:29], v[28:29]
	v_mul_f64 v[34:35], v[30:31], v[30:31]
	s_delay_alu instid0(VALU_DEP_2) | instskip(NEXT) | instid1(VALU_DEP_2)
	v_fma_f64 v[36:37], v[32:33], s[44:45], s[42:43]
	v_fma_f64 v[38:39], v[34:35], s[26:27], s[24:25]
	v_mul_f64 v[40:41], v[30:31], v[34:35]
	s_delay_alu instid0(VALU_DEP_3) | instskip(NEXT) | instid1(VALU_DEP_3)
	v_fma_f64 v[36:37], v[32:33], v[36:37], s[46:47]
	v_fma_f64 v[38:39], v[34:35], v[38:39], s[28:29]
	s_delay_alu instid0(VALU_DEP_2) | instskip(NEXT) | instid1(VALU_DEP_2)
	v_fma_f64 v[36:37], v[32:33], v[36:37], s[48:49]
	v_fma_f64 v[38:39], v[34:35], v[38:39], s[30:31]
	s_delay_alu instid0(VALU_DEP_2) | instskip(NEXT) | instid1(VALU_DEP_2)
	;; [unrolled: 3-line block ×4, first 2 shown]
	v_fma_f64 v[36:37], v[32:33], v[36:37], s[54:55]
	v_fma_f64 v[34:35], v[34:35], v[38:39], s[92:93]
	v_ldexp_f64 v[38:39], v[30:31], 1
	v_add_f64 v[30:31], v[30:31], -v[44:45]
	s_delay_alu instid0(VALU_DEP_4) | instskip(NEXT) | instid1(VALU_DEP_4)
	v_fma_f64 v[36:37], v[32:33], v[36:37], s[56:57]
	v_mul_f64 v[34:35], v[40:41], v[34:35]
	v_cvt_f64_i32_e32 v[40:41], v18
	s_delay_alu instid0(VALU_DEP_4) | instskip(NEXT) | instid1(VALU_DEP_4)
	v_add_f64 v[26:27], v[26:27], -v[30:31]
	v_fma_f64 v[36:37], v[32:33], v[36:37], s[58:59]
	v_ashrrev_i32_e32 v18, 31, v6
	s_delay_alu instid0(VALU_DEP_1) | instskip(SKIP_4) | instid1(VALU_DEP_4)
	v_and_b32_e32 v6, 0x400921fb, v18
	v_add_f64 v[42:43], v[38:39], v[34:35]
	v_mul_f64 v[44:45], v[40:41], s[38:39]
	v_ldexp_f64 v[26:27], v[26:27], 1
	v_fma_f64 v[36:37], v[32:33], v[36:37], s[60:61]
	v_add_f64 v[30:31], v[42:43], -v[38:39]
	s_delay_alu instid0(VALU_DEP_4) | instskip(NEXT) | instid1(VALU_DEP_3)
	v_fma_f64 v[38:39], v[40:41], s[38:39], -v[44:45]
	v_fma_f64 v[36:37], v[32:33], v[36:37], s[62:63]
	s_delay_alu instid0(VALU_DEP_3) | instskip(NEXT) | instid1(VALU_DEP_2)
	v_add_f64 v[30:31], v[34:35], -v[30:31]
	v_fma_f64 v[34:35], v[32:33], v[36:37], s[64:65]
	s_delay_alu instid0(VALU_DEP_4) | instskip(NEXT) | instid1(VALU_DEP_3)
	v_fma_f64 v[36:37], v[40:41], s[40:41], v[38:39]
	v_add_f64 v[26:27], v[26:27], v[30:31]
	s_delay_alu instid0(VALU_DEP_3) | instskip(NEXT) | instid1(VALU_DEP_3)
	v_fma_f64 v[30:31], v[32:33], v[34:35], s[66:67]
	v_add_f64 v[34:35], v[44:45], v[36:37]
	s_delay_alu instid0(VALU_DEP_3) | instskip(NEXT) | instid1(VALU_DEP_3)
	v_add_f64 v[38:39], v[42:43], v[26:27]
	v_fma_f64 v[30:31], v[32:33], v[30:31], s[68:69]
	s_delay_alu instid0(VALU_DEP_3) | instskip(NEXT) | instid1(VALU_DEP_3)
	v_add_f64 v[44:45], v[34:35], -v[44:45]
	v_add_f64 v[40:41], v[34:35], v[38:39]
	v_add_f64 v[42:43], v[38:39], -v[42:43]
	s_delay_alu instid0(VALU_DEP_4) | instskip(NEXT) | instid1(VALU_DEP_4)
	v_fma_f64 v[30:31], v[32:33], v[30:31], s[70:71]
	v_add_f64 v[36:37], v[36:37], -v[44:45]
	s_delay_alu instid0(VALU_DEP_4) | instskip(NEXT) | instid1(VALU_DEP_4)
	v_add_f64 v[46:47], v[40:41], -v[34:35]
	v_add_f64 v[26:27], v[26:27], -v[42:43]
	s_delay_alu instid0(VALU_DEP_4) | instskip(NEXT) | instid1(VALU_DEP_3)
	v_fma_f64 v[30:31], v[32:33], v[30:31], s[72:73]
	v_add_f64 v[48:49], v[40:41], -v[46:47]
	v_add_f64 v[38:39], v[38:39], -v[46:47]
	s_delay_alu instid0(VALU_DEP_4) | instskip(NEXT) | instid1(VALU_DEP_4)
	v_add_f64 v[42:43], v[36:37], v[26:27]
	v_fma_f64 v[30:31], v[32:33], v[30:31], s[74:75]
	s_delay_alu instid0(VALU_DEP_4) | instskip(NEXT) | instid1(VALU_DEP_2)
	v_add_f64 v[34:35], v[34:35], -v[48:49]
	v_fma_f64 v[30:31], v[32:33], v[30:31], s[76:77]
	s_delay_alu instid0(VALU_DEP_2) | instskip(SKIP_1) | instid1(VALU_DEP_3)
	v_add_f64 v[34:35], v[38:39], v[34:35]
	v_add_f64 v[38:39], v[42:43], -v[36:37]
	v_fma_f64 v[30:31], v[32:33], v[30:31], s[78:79]
	s_delay_alu instid0(VALU_DEP_3) | instskip(NEXT) | instid1(VALU_DEP_3)
	v_add_f64 v[34:35], v[42:43], v[34:35]
	v_add_f64 v[42:43], v[42:43], -v[38:39]
	v_add_f64 v[26:27], v[26:27], -v[38:39]
	s_delay_alu instid0(VALU_DEP_4) | instskip(NEXT) | instid1(VALU_DEP_4)
	v_fma_f64 v[30:31], v[32:33], v[30:31], s[80:81]
	v_add_f64 v[44:45], v[40:41], v[34:35]
	s_delay_alu instid0(VALU_DEP_2) | instskip(SKIP_1) | instid1(VALU_DEP_3)
	v_mul_f64 v[30:31], v[32:33], v[30:31]
	v_add_f64 v[32:33], v[36:37], -v[42:43]
	v_add_f64 v[36:37], v[44:45], -v[40:41]
	s_delay_alu instid0(VALU_DEP_3) | instskip(NEXT) | instid1(VALU_DEP_3)
	v_fma_f64 v[28:29], v[28:29], v[30:31], v[28:29]
	v_add_f64 v[26:27], v[26:27], v[32:33]
	s_delay_alu instid0(VALU_DEP_3) | instskip(NEXT) | instid1(VALU_DEP_3)
	v_add_f64 v[30:31], v[34:35], -v[36:37]
	v_add_f64 v[32:33], -v[28:29], s[82:83]
	s_delay_alu instid0(VALU_DEP_2) | instskip(NEXT) | instid1(VALU_DEP_2)
	v_add_f64 v[26:27], v[26:27], v[30:31]
	v_cndmask_b32_e64 v29, v29, v33, s2
	s_delay_alu instid0(VALU_DEP_3) | instskip(SKIP_1) | instid1(VALU_DEP_2)
	v_cndmask_b32_e64 v28, v28, v32, s2
	v_cndmask_b32_e64 v32, 0x54442d18, v55, s3
	v_add_f64 v[30:31], -v[28:29], s[12:13]
	v_add_f64 v[26:27], v[44:45], v[26:27]
	v_and_b32_e32 v23, 0x54442d18, v18
	s_delay_alu instid0(VALU_DEP_3) | instskip(NEXT) | instid1(VALU_DEP_4)
	v_cndmask_b32_e64 v30, v28, v30, s3
	v_cndmask_b32_e64 v18, v29, v31, s3
	v_cmp_nge_f64_e64 s3, -1.0, v[24:25]
	v_dual_cndmask_b32 v26, v26, v24 :: v_dual_cndmask_b32 v27, v27, v25
	v_cmp_eq_f64_e32 vcc_lo, 0, v[7:8]
	s_delay_alu instid0(VALU_DEP_2) | instskip(SKIP_3) | instid1(VALU_DEP_4)
	v_mul_f64 v[27:28], v[26:27], 0.5
	v_cndmask_b32_e32 v29, v30, v23, vcc_lo
	v_cndmask_b32_e32 v6, v18, v6, vcc_lo
	v_cmp_ngt_f64_e32 vcc_lo, -1.0, v[24:25]
	v_cndmask_b32_e64 v23, 0, v27, s3
	v_cmp_neq_f64_e64 s3, -1.0, v[24:25]
	v_cndmask_b32_e32 v18, 0x7ff80000, v28, vcc_lo
	s_and_b32 vcc_lo, s5, s4
	v_dual_cndmask_b32 v25, v29, v32 :: v_dual_cndmask_b32 v26, v6, v5
	s_delay_alu instid0(VALU_DEP_2)
	v_cndmask_b32_e64 v24, 0xfff00000, v18, s3
.LBB180_18:                             ;   in Loop: Header=BB180_5 Depth=1
	s_or_b32 exec_lo, exec_lo, vcc_hi
.LBB180_19:                             ;   in Loop: Header=BB180_5 Depth=1
	s_delay_alu instid0(SALU_CYCLE_1)
	s_or_b32 exec_lo, exec_lo, s104
.LBB180_20:                             ;   in Loop: Header=BB180_5 Depth=1
	s_and_not1_saveexec_b32 s5, s103
	s_cbranch_execz .LBB180_22
; %bb.21:                               ;   in Loop: Header=BB180_5 Depth=1
	v_max_f64 v[23:24], |v[7:8]|, |v[7:8]|
	v_max_f64 v[25:26], |v[5:6]|, |v[5:6]|
	v_cmp_class_f64_e64 s6, v[5:6], 0x204
	v_cmp_class_f64_e64 s7, v[7:8], 0x204
	s_mov_b32 s93, s23
	s_mov_b32 s12, s82
	v_cmp_eq_f64_e64 s4, 0, v[7:8]
	s_delay_alu instid0(VALU_DEP_4) | instskip(SKIP_1) | instid1(VALU_DEP_4)
	v_max_f64 v[27:28], v[25:26], v[23:24]
	v_min_f64 v[23:24], v[25:26], v[23:24]
	s_or_b32 s8, s6, s7
	s_delay_alu instid0(VALU_DEP_2) | instskip(NEXT) | instid1(VALU_DEP_1)
	v_frexp_exp_i32_f64_e32 v18, v[27:28]
	v_sub_nc_u32_e32 v31, 0, v18
	s_delay_alu instid0(VALU_DEP_1) | instskip(SKIP_1) | instid1(VALU_DEP_2)
	v_ldexp_f64 v[29:30], |v[7:8]|, v31
	v_ldexp_f64 v[31:32], |v[5:6]|, v31
	v_mul_f64 v[29:30], v[29:30], v[29:30]
	s_delay_alu instid0(VALU_DEP_1) | instskip(NEXT) | instid1(VALU_DEP_1)
	v_fma_f64 v[29:30], v[31:32], v[31:32], v[29:30]
	v_rsq_f64_e32 v[31:32], v[29:30]
	v_cmp_eq_f64_e32 vcc_lo, 0, v[29:30]
	s_waitcnt_depctr 0xfff
	v_mul_f64 v[33:34], v[29:30], v[31:32]
	v_mul_f64 v[31:32], v[31:32], 0.5
	s_delay_alu instid0(VALU_DEP_1) | instskip(NEXT) | instid1(VALU_DEP_1)
	v_fma_f64 v[35:36], -v[31:32], v[33:34], 0.5
	v_fma_f64 v[33:34], v[33:34], v[35:36], v[33:34]
	v_fma_f64 v[31:32], v[31:32], v[35:36], v[31:32]
	s_delay_alu instid0(VALU_DEP_2) | instskip(NEXT) | instid1(VALU_DEP_1)
	v_fma_f64 v[35:36], -v[33:34], v[33:34], v[29:30]
	v_fma_f64 v[31:32], v[35:36], v[31:32], v[33:34]
	s_delay_alu instid0(VALU_DEP_1) | instskip(SKIP_1) | instid1(VALU_DEP_2)
	v_dual_cndmask_b32 v30, v32, v30 :: v_dual_cndmask_b32 v29, v31, v29
	v_div_scale_f64 v[51:52], vcc_lo, v[23:24], v[27:28], v[23:24]
	v_ldexp_f64 v[29:30], v[29:30], v18
	s_delay_alu instid0(VALU_DEP_1) | instskip(NEXT) | instid1(VALU_DEP_2)
	v_cndmask_b32_e64 v32, v30, 0x7ff00000, s8
	v_cndmask_b32_e64 v31, v29, 0, s8
	s_delay_alu instid0(VALU_DEP_1) | instskip(SKIP_1) | instid1(VALU_DEP_2)
	v_frexp_mant_f64_e32 v[33:34], v[31:32]
	v_frexp_exp_i32_f64_e32 v5, v[31:32]
	v_cmp_gt_f64_e64 s3, s[22:23], v[33:34]
	s_delay_alu instid0(VALU_DEP_1) | instskip(NEXT) | instid1(VALU_DEP_1)
	v_cndmask_b32_e64 v18, 0x3ff00000, 2.0, s3
	v_mul_f64 v[33:34], v[33:34], v[17:18]
	s_delay_alu instid0(VALU_DEP_1) | instskip(SKIP_1) | instid1(VALU_DEP_2)
	v_add_f64 v[35:36], v[33:34], 1.0
	v_add_f64 v[41:42], v[33:34], -1.0
	v_rcp_f64_e32 v[37:38], v[35:36]
	v_add_f64 v[43:44], v[35:36], -1.0
	s_delay_alu instid0(VALU_DEP_1) | instskip(SKIP_2) | instid1(VALU_DEP_1)
	v_add_f64 v[33:34], v[33:34], -v[43:44]
	s_waitcnt_depctr 0xfff
	v_fma_f64 v[39:40], -v[35:36], v[37:38], 1.0
	v_fma_f64 v[37:38], v[39:40], v[37:38], v[37:38]
	s_delay_alu instid0(VALU_DEP_1) | instskip(NEXT) | instid1(VALU_DEP_1)
	v_fma_f64 v[39:40], -v[35:36], v[37:38], 1.0
	v_fma_f64 v[37:38], v[39:40], v[37:38], v[37:38]
	v_div_scale_f64 v[39:40], null, v[27:28], v[27:28], v[23:24]
	s_delay_alu instid0(VALU_DEP_2) | instskip(NEXT) | instid1(VALU_DEP_2)
	v_mul_f64 v[25:26], v[41:42], v[37:38]
	v_rcp_f64_e32 v[47:48], v[39:40]
	s_delay_alu instid0(VALU_DEP_1) | instskip(SKIP_3) | instid1(VALU_DEP_1)
	v_mul_f64 v[45:46], v[35:36], v[25:26]
	s_waitcnt_depctr 0xfff
	v_fma_f64 v[43:44], -v[39:40], v[47:48], 1.0
	v_fma_f64 v[35:36], v[25:26], v[35:36], -v[45:46]
	v_fma_f64 v[33:34], v[25:26], v[33:34], v[35:36]
	s_delay_alu instid0(VALU_DEP_3) | instskip(NEXT) | instid1(VALU_DEP_2)
	v_fma_f64 v[35:36], v[47:48], v[43:44], v[47:48]
	v_add_f64 v[43:44], v[45:46], v[33:34]
	s_delay_alu instid0(VALU_DEP_2) | instskip(NEXT) | instid1(VALU_DEP_2)
	v_fma_f64 v[47:48], -v[39:40], v[35:36], 1.0
	v_add_f64 v[49:50], v[41:42], -v[43:44]
	s_delay_alu instid0(VALU_DEP_2) | instskip(SKIP_1) | instid1(VALU_DEP_3)
	v_fma_f64 v[35:36], v[35:36], v[47:48], v[35:36]
	v_add_f64 v[45:46], v[43:44], -v[45:46]
	v_add_f64 v[41:42], v[41:42], -v[49:50]
	s_delay_alu instid0(VALU_DEP_3) | instskip(NEXT) | instid1(VALU_DEP_3)
	v_mul_f64 v[47:48], v[51:52], v[35:36]
	v_add_f64 v[33:34], v[45:46], -v[33:34]
	s_delay_alu instid0(VALU_DEP_3) | instskip(NEXT) | instid1(VALU_DEP_3)
	v_add_f64 v[41:42], v[41:42], -v[43:44]
	v_fma_f64 v[39:40], -v[39:40], v[47:48], v[51:52]
	s_delay_alu instid0(VALU_DEP_2) | instskip(NEXT) | instid1(VALU_DEP_2)
	v_add_f64 v[33:34], v[33:34], v[41:42]
	v_div_fmas_f64 v[35:36], v[39:40], v[35:36], v[47:48]
	v_subrev_co_ci_u32_e64 v5, vcc_lo, 0, v5, s3
	v_cmp_class_f64_e64 s3, v[29:30], 0x204
	v_cmp_gt_i32_e32 vcc_lo, 0, v6
	v_add_f64 v[33:34], v[49:50], v[33:34]
	v_div_fixup_f64 v[23:24], v[35:36], v[27:28], v[23:24]
	s_delay_alu instid0(VALU_DEP_2) | instskip(NEXT) | instid1(VALU_DEP_2)
	v_mul_f64 v[27:28], v[37:38], v[33:34]
	v_mul_f64 v[33:34], v[23:24], v[23:24]
	s_delay_alu instid0(VALU_DEP_2) | instskip(NEXT) | instid1(VALU_DEP_2)
	v_add_f64 v[35:36], v[25:26], v[27:28]
	v_fma_f64 v[37:38], v[33:34], s[44:45], s[42:43]
	s_delay_alu instid0(VALU_DEP_2) | instskip(NEXT) | instid1(VALU_DEP_2)
	v_mul_f64 v[39:40], v[35:36], v[35:36]
	v_fma_f64 v[37:38], v[33:34], v[37:38], s[46:47]
	v_add_f64 v[25:26], v[35:36], -v[25:26]
	s_delay_alu instid0(VALU_DEP_3) | instskip(NEXT) | instid1(VALU_DEP_3)
	v_fma_f64 v[41:42], v[39:40], s[26:27], s[24:25]
	v_fma_f64 v[37:38], v[33:34], v[37:38], s[48:49]
	v_mul_f64 v[43:44], v[35:36], v[39:40]
	s_delay_alu instid0(VALU_DEP_4) | instskip(NEXT) | instid1(VALU_DEP_4)
	v_add_f64 v[25:26], v[27:28], -v[25:26]
	v_fma_f64 v[41:42], v[39:40], v[41:42], s[28:29]
	s_delay_alu instid0(VALU_DEP_4) | instskip(NEXT) | instid1(VALU_DEP_3)
	v_fma_f64 v[37:38], v[33:34], v[37:38], s[50:51]
	v_ldexp_f64 v[25:26], v[25:26], 1
	s_delay_alu instid0(VALU_DEP_3) | instskip(NEXT) | instid1(VALU_DEP_3)
	v_fma_f64 v[41:42], v[39:40], v[41:42], s[30:31]
	v_fma_f64 v[37:38], v[33:34], v[37:38], s[52:53]
	s_delay_alu instid0(VALU_DEP_2) | instskip(NEXT) | instid1(VALU_DEP_2)
	v_fma_f64 v[41:42], v[39:40], v[41:42], s[34:35]
	v_fma_f64 v[37:38], v[33:34], v[37:38], s[54:55]
	s_delay_alu instid0(VALU_DEP_2) | instskip(NEXT) | instid1(VALU_DEP_2)
	;; [unrolled: 3-line block ×3, first 2 shown]
	v_fma_f64 v[39:40], v[39:40], v[41:42], s[92:93]
	v_fma_f64 v[37:38], v[33:34], v[37:38], s[58:59]
	v_ldexp_f64 v[41:42], v[35:36], 1
	s_delay_alu instid0(VALU_DEP_3) | instskip(NEXT) | instid1(VALU_DEP_3)
	v_mul_f64 v[39:40], v[43:44], v[39:40]
	v_fma_f64 v[37:38], v[33:34], v[37:38], s[60:61]
	v_cvt_f64_i32_e32 v[43:44], v5
	v_ashrrev_i32_e32 v5, 31, v6
	v_cndmask_b32_e32 v6, 0x54442d18, v55, vcc_lo
	v_add_f64 v[35:36], v[41:42], v[39:40]
	v_fma_f64 v[37:38], v[33:34], v[37:38], s[62:63]
	v_mul_f64 v[45:46], v[43:44], s[38:39]
	s_delay_alu instid0(VALU_DEP_3) | instskip(NEXT) | instid1(VALU_DEP_3)
	v_add_f64 v[27:28], v[35:36], -v[41:42]
	v_fma_f64 v[37:38], v[33:34], v[37:38], s[64:65]
	s_delay_alu instid0(VALU_DEP_3) | instskip(NEXT) | instid1(VALU_DEP_3)
	v_fma_f64 v[41:42], v[43:44], s[38:39], -v[45:46]
	v_add_f64 v[27:28], v[39:40], -v[27:28]
	s_delay_alu instid0(VALU_DEP_3) | instskip(NEXT) | instid1(VALU_DEP_3)
	v_fma_f64 v[37:38], v[33:34], v[37:38], s[66:67]
	v_fma_f64 v[39:40], v[43:44], s[40:41], v[41:42]
	s_delay_alu instid0(VALU_DEP_3) | instskip(NEXT) | instid1(VALU_DEP_3)
	v_add_f64 v[25:26], v[25:26], v[27:28]
	v_fma_f64 v[27:28], v[33:34], v[37:38], s[68:69]
	s_delay_alu instid0(VALU_DEP_3) | instskip(NEXT) | instid1(VALU_DEP_3)
	v_add_f64 v[37:38], v[45:46], v[39:40]
	v_add_f64 v[41:42], v[35:36], v[25:26]
	s_delay_alu instid0(VALU_DEP_3) | instskip(NEXT) | instid1(VALU_DEP_3)
	v_fma_f64 v[27:28], v[33:34], v[27:28], s[70:71]
	v_add_f64 v[45:46], v[37:38], -v[45:46]
	s_delay_alu instid0(VALU_DEP_3) | instskip(NEXT) | instid1(VALU_DEP_3)
	v_add_f64 v[43:44], v[37:38], v[41:42]
	v_fma_f64 v[27:28], v[33:34], v[27:28], s[72:73]
	v_add_f64 v[35:36], v[41:42], -v[35:36]
	s_delay_alu instid0(VALU_DEP_4) | instskip(NEXT) | instid1(VALU_DEP_4)
	v_add_f64 v[39:40], v[39:40], -v[45:46]
	v_add_f64 v[47:48], v[43:44], -v[37:38]
	s_delay_alu instid0(VALU_DEP_4) | instskip(NEXT) | instid1(VALU_DEP_4)
	v_fma_f64 v[27:28], v[33:34], v[27:28], s[74:75]
	v_add_f64 v[25:26], v[25:26], -v[35:36]
	s_delay_alu instid0(VALU_DEP_3) | instskip(NEXT) | instid1(VALU_DEP_3)
	v_add_f64 v[49:50], v[43:44], -v[47:48]
	v_fma_f64 v[27:28], v[33:34], v[27:28], s[76:77]
	v_add_f64 v[35:36], v[41:42], -v[47:48]
	s_delay_alu instid0(VALU_DEP_4) | instskip(NEXT) | instid1(VALU_DEP_4)
	v_add_f64 v[41:42], v[39:40], v[25:26]
	v_add_f64 v[37:38], v[37:38], -v[49:50]
	s_delay_alu instid0(VALU_DEP_4) | instskip(NEXT) | instid1(VALU_DEP_2)
	v_fma_f64 v[27:28], v[33:34], v[27:28], s[78:79]
	v_add_f64 v[35:36], v[35:36], v[37:38]
	s_delay_alu instid0(VALU_DEP_2) | instskip(SKIP_1) | instid1(VALU_DEP_3)
	v_fma_f64 v[27:28], v[33:34], v[27:28], s[80:81]
	v_add_f64 v[37:38], v[41:42], -v[39:40]
	v_add_f64 v[35:36], v[41:42], v[35:36]
	s_delay_alu instid0(VALU_DEP_3) | instskip(NEXT) | instid1(VALU_DEP_3)
	v_mul_f64 v[27:28], v[33:34], v[27:28]
	v_add_f64 v[33:34], v[41:42], -v[37:38]
	v_add_f64 v[25:26], v[25:26], -v[37:38]
	s_delay_alu instid0(VALU_DEP_4) | instskip(NEXT) | instid1(VALU_DEP_4)
	v_add_f64 v[41:42], v[43:44], v[35:36]
	v_fma_f64 v[23:24], v[23:24], v[27:28], v[23:24]
	s_delay_alu instid0(VALU_DEP_4) | instskip(NEXT) | instid1(VALU_DEP_3)
	v_add_f64 v[27:28], v[39:40], -v[33:34]
	v_add_f64 v[33:34], v[41:42], -v[43:44]
	s_delay_alu instid0(VALU_DEP_3) | instskip(NEXT) | instid1(VALU_DEP_3)
	v_add_f64 v[37:38], -v[23:24], s[82:83]
	v_add_f64 v[25:26], v[25:26], v[27:28]
	s_delay_alu instid0(VALU_DEP_3) | instskip(NEXT) | instid1(VALU_DEP_3)
	v_add_f64 v[27:28], v[35:36], -v[33:34]
	v_cndmask_b32_e64 v24, v24, v38, s2
	s_delay_alu instid0(VALU_DEP_4) | instskip(NEXT) | instid1(VALU_DEP_3)
	v_cndmask_b32_e64 v23, v23, v37, s2
	v_add_f64 v[25:26], v[25:26], v[27:28]
	s_delay_alu instid0(VALU_DEP_2) | instskip(SKIP_2) | instid1(VALU_DEP_4)
	v_add_f64 v[27:28], -v[23:24], s[12:13]
	v_and_b32_e32 v18, 0x54442d18, v5
	v_and_b32_e32 v5, 0x400921fb, v5
	v_add_f64 v[25:26], v[41:42], v[25:26]
	s_delay_alu instid0(VALU_DEP_4) | instskip(SKIP_2) | instid1(VALU_DEP_3)
	v_dual_cndmask_b32 v24, v24, v28 :: v_dual_cndmask_b32 v23, v23, v27
	v_cndmask_b32_e32 v27, 0x3fe921fb, v56, vcc_lo
	v_cmp_ngt_f64_e32 vcc_lo, 0, v[31:32]
	v_cndmask_b32_e64 v5, v24, v5, s4
	s_delay_alu instid0(VALU_DEP_4) | instskip(NEXT) | instid1(VALU_DEP_4)
	v_cndmask_b32_e64 v18, v23, v18, s4
	v_bfi_b32 v27, 0x7fffffff, v27, v8
	v_cndmask_b32_e64 v26, v26, v30, s3
	v_cndmask_b32_e64 v25, v25, v29, s3
	v_cmp_nge_f64_e64 s3, 0, v[31:32]
	s_delay_alu instid0(VALU_DEP_3) | instskip(NEXT) | instid1(VALU_DEP_3)
	v_cndmask_b32_e64 v26, v26, 0x7ff00000, s8
	v_cndmask_b32_e64 v23, v25, 0, s8
	s_delay_alu instid0(VALU_DEP_2) | instskip(SKIP_2) | instid1(VALU_DEP_3)
	v_cndmask_b32_e32 v24, 0x7ff80000, v26, vcc_lo
	s_and_b32 vcc_lo, s6, s7
	v_dual_cndmask_b32 v26, v5, v27 :: v_dual_cndmask_b32 v25, v18, v6
	v_cndmask_b32_e64 v23, 0, v23, s3
	v_cmp_neq_f64_e64 s3, 0, v[31:32]
	s_delay_alu instid0(VALU_DEP_1)
	v_cndmask_b32_e64 v24, 0xfff00000, v24, s3
.LBB180_22:                             ;   in Loop: Header=BB180_5 Depth=1
	s_or_b32 exec_lo, exec_lo, s5
                                        ; implicit-def: $vgpr29_vgpr30
.LBB180_23:                             ;   in Loop: Header=BB180_5 Depth=1
	s_and_not1_saveexec_b32 s5, s99
	s_cbranch_execz .LBB180_29
; %bb.24:                               ;   in Loop: Header=BB180_5 Depth=1
                                        ; implicit-def: $vgpr23_vgpr24
                                        ; implicit-def: $vgpr25_vgpr26
	s_mov_b32 s3, exec_lo
	v_cmpx_ngt_f64_e32 s[86:87], v[29:30]
	s_xor_b32 s6, exec_lo, s3
	s_cbranch_execz .LBB180_26
; %bb.25:                               ;   in Loop: Header=BB180_5 Depth=1
	v_mul_f64 v[23:24], v[29:30], v[29:30]
	s_mov_b32 s93, s23
	s_mov_b32 s12, s82
	v_cmp_eq_f64_e64 s4, 0, v[7:8]
	v_cmp_class_f64_e64 s7, v[7:8], 0x204
	v_cmp_class_f64_e64 s8, v[5:6], 0x204
	v_cmp_gt_i32_e64 s3, 0, v6
	v_add_f64 v[25:26], v[23:24], 1.0
	s_delay_alu instid0(VALU_DEP_1) | instskip(SKIP_2) | instid1(VALU_DEP_3)
	v_frexp_mant_f64_e32 v[27:28], v[25:26]
	v_frexp_exp_i32_f64_e32 v18, v[25:26]
	v_add_f64 v[29:30], v[25:26], -1.0
	v_cmp_gt_f64_e32 vcc_lo, s[22:23], v[27:28]
	s_delay_alu instid0(VALU_DEP_2) | instskip(SKIP_2) | instid1(VALU_DEP_3)
	v_add_f64 v[27:28], v[29:30], -v[25:26]
	v_add_f64 v[29:30], v[23:24], -v[29:30]
	v_subrev_co_ci_u32_e32 v18, vcc_lo, 0, v18, vcc_lo
	v_add_f64 v[27:28], v[27:28], 1.0
	s_delay_alu instid0(VALU_DEP_2) | instskip(NEXT) | instid1(VALU_DEP_1)
	v_sub_nc_u32_e32 v33, 0, v18
	v_ldexp_f64 v[25:26], v[25:26], v33
	s_delay_alu instid0(VALU_DEP_3) | instskip(NEXT) | instid1(VALU_DEP_2)
	v_add_f64 v[27:28], v[29:30], v[27:28]
	v_add_f64 v[31:32], v[25:26], 1.0
	v_add_f64 v[37:38], v[25:26], -1.0
	s_delay_alu instid0(VALU_DEP_3) | instskip(NEXT) | instid1(VALU_DEP_3)
	v_ldexp_f64 v[27:28], v[27:28], v33
	v_add_f64 v[29:30], v[31:32], -1.0
	s_delay_alu instid0(VALU_DEP_3) | instskip(NEXT) | instid1(VALU_DEP_2)
	v_add_f64 v[39:40], v[37:38], 1.0
	v_add_f64 v[29:30], v[25:26], -v[29:30]
	s_delay_alu instid0(VALU_DEP_2) | instskip(NEXT) | instid1(VALU_DEP_2)
	v_add_f64 v[25:26], v[25:26], -v[39:40]
	v_add_f64 v[29:30], v[27:28], v[29:30]
	s_delay_alu instid0(VALU_DEP_2) | instskip(NEXT) | instid1(VALU_DEP_2)
	v_add_f64 v[25:26], v[27:28], v[25:26]
	v_add_f64 v[33:34], v[31:32], v[29:30]
	s_delay_alu instid0(VALU_DEP_2) | instskip(NEXT) | instid1(VALU_DEP_2)
	v_add_f64 v[39:40], v[37:38], v[25:26]
	v_rcp_f64_e32 v[35:36], v[33:34]
	v_add_f64 v[31:32], v[31:32], -v[33:34]
	s_delay_alu instid0(VALU_DEP_2) | instskip(NEXT) | instid1(VALU_DEP_2)
	v_add_f64 v[37:38], v[37:38], -v[39:40]
	v_add_f64 v[29:30], v[29:30], v[31:32]
	s_waitcnt_depctr 0xfff
	v_fma_f64 v[41:42], -v[33:34], v[35:36], 1.0
	v_add_f64 v[25:26], v[25:26], v[37:38]
	s_delay_alu instid0(VALU_DEP_2) | instskip(NEXT) | instid1(VALU_DEP_1)
	v_fma_f64 v[35:36], v[41:42], v[35:36], v[35:36]
	v_fma_f64 v[27:28], -v[33:34], v[35:36], 1.0
	s_delay_alu instid0(VALU_DEP_1) | instskip(NEXT) | instid1(VALU_DEP_1)
	v_fma_f64 v[27:28], v[27:28], v[35:36], v[35:36]
	v_mul_f64 v[35:36], v[39:40], v[27:28]
	s_delay_alu instid0(VALU_DEP_1) | instskip(NEXT) | instid1(VALU_DEP_1)
	v_mul_f64 v[41:42], v[33:34], v[35:36]
	v_fma_f64 v[31:32], v[35:36], v[33:34], -v[41:42]
	s_delay_alu instid0(VALU_DEP_1) | instskip(NEXT) | instid1(VALU_DEP_1)
	v_fma_f64 v[31:32], v[35:36], v[29:30], v[31:32]
	v_add_f64 v[43:44], v[41:42], v[31:32]
	s_delay_alu instid0(VALU_DEP_1) | instskip(SKIP_2) | instid1(VALU_DEP_3)
	v_add_f64 v[45:46], v[39:40], -v[43:44]
	v_add_f64 v[37:38], v[43:44], -v[41:42]
	v_max_f64 v[41:42], |v[7:8]|, |v[7:8]|
	v_add_f64 v[39:40], v[39:40], -v[45:46]
	s_delay_alu instid0(VALU_DEP_3) | instskip(NEXT) | instid1(VALU_DEP_2)
	v_add_f64 v[31:32], v[37:38], -v[31:32]
	v_add_f64 v[39:40], v[39:40], -v[43:44]
	v_max_f64 v[43:44], |v[5:6]|, |v[5:6]|
	s_delay_alu instid0(VALU_DEP_2) | instskip(NEXT) | instid1(VALU_DEP_2)
	v_add_f64 v[25:26], v[25:26], v[39:40]
	v_max_f64 v[47:48], v[43:44], v[41:42]
	v_min_f64 v[41:42], v[43:44], v[41:42]
	s_delay_alu instid0(VALU_DEP_3) | instskip(NEXT) | instid1(VALU_DEP_1)
	v_add_f64 v[25:26], v[31:32], v[25:26]
	v_add_f64 v[31:32], v[45:46], v[25:26]
	s_delay_alu instid0(VALU_DEP_1) | instskip(SKIP_1) | instid1(VALU_DEP_2)
	v_mul_f64 v[37:38], v[27:28], v[31:32]
	v_add_f64 v[45:46], v[45:46], -v[31:32]
	v_mul_f64 v[39:40], v[33:34], v[37:38]
	s_delay_alu instid0(VALU_DEP_2) | instskip(NEXT) | instid1(VALU_DEP_2)
	v_add_f64 v[25:26], v[25:26], v[45:46]
	v_fma_f64 v[33:34], v[37:38], v[33:34], -v[39:40]
	s_delay_alu instid0(VALU_DEP_1) | instskip(SKIP_1) | instid1(VALU_DEP_2)
	v_fma_f64 v[29:30], v[37:38], v[29:30], v[33:34]
	v_div_scale_f64 v[33:34], null, v[47:48], v[47:48], v[41:42]
	v_add_f64 v[43:44], v[39:40], v[29:30]
	s_delay_alu instid0(VALU_DEP_2) | instskip(NEXT) | instid1(VALU_DEP_1)
	v_rcp_f64_e32 v[49:50], v[33:34]
	v_add_f64 v[51:52], v[31:32], -v[43:44]
	v_add_f64 v[39:40], v[43:44], -v[39:40]
	s_waitcnt_depctr 0xfff
	v_fma_f64 v[53:54], -v[33:34], v[49:50], 1.0
	v_add_f64 v[31:32], v[31:32], -v[51:52]
	v_add_f64 v[29:30], v[39:40], -v[29:30]
	s_delay_alu instid0(VALU_DEP_3) | instskip(NEXT) | instid1(VALU_DEP_3)
	v_fma_f64 v[49:50], v[49:50], v[53:54], v[49:50]
	v_add_f64 v[31:32], v[31:32], -v[43:44]
	s_delay_alu instid0(VALU_DEP_2) | instskip(NEXT) | instid1(VALU_DEP_2)
	v_fma_f64 v[43:44], -v[33:34], v[49:50], 1.0
	v_add_f64 v[25:26], v[25:26], v[31:32]
	v_div_scale_f64 v[31:32], vcc_lo, v[41:42], v[47:48], v[41:42]
	s_delay_alu instid0(VALU_DEP_3) | instskip(SKIP_1) | instid1(VALU_DEP_4)
	v_fma_f64 v[39:40], v[49:50], v[43:44], v[49:50]
	v_add_f64 v[43:44], v[35:36], v[37:38]
	v_add_f64 v[25:26], v[29:30], v[25:26]
	s_delay_alu instid0(VALU_DEP_3) | instskip(NEXT) | instid1(VALU_DEP_3)
	v_mul_f64 v[29:30], v[31:32], v[39:40]
	v_add_f64 v[35:36], v[43:44], -v[35:36]
	s_delay_alu instid0(VALU_DEP_3) | instskip(NEXT) | instid1(VALU_DEP_3)
	v_add_f64 v[25:26], v[51:52], v[25:26]
	v_fma_f64 v[31:32], -v[33:34], v[29:30], v[31:32]
	s_delay_alu instid0(VALU_DEP_3) | instskip(NEXT) | instid1(VALU_DEP_3)
	v_add_f64 v[33:34], v[37:38], -v[35:36]
	v_mul_f64 v[25:26], v[27:28], v[25:26]
	s_delay_alu instid0(VALU_DEP_3) | instskip(SKIP_1) | instid1(VALU_DEP_3)
	v_div_fmas_f64 v[27:28], v[31:32], v[39:40], v[29:30]
	v_cmp_eq_f64_e32 vcc_lo, 0x7ff00000, v[23:24]
	v_add_f64 v[25:26], v[33:34], v[25:26]
	s_delay_alu instid0(VALU_DEP_3) | instskip(NEXT) | instid1(VALU_DEP_2)
	v_div_fixup_f64 v[27:28], v[27:28], v[47:48], v[41:42]
	v_add_f64 v[29:30], v[43:44], v[25:26]
	s_delay_alu instid0(VALU_DEP_2) | instskip(NEXT) | instid1(VALU_DEP_2)
	v_mul_f64 v[31:32], v[27:28], v[27:28]
	v_mul_f64 v[33:34], v[29:30], v[29:30]
	s_delay_alu instid0(VALU_DEP_2) | instskip(NEXT) | instid1(VALU_DEP_2)
	v_fma_f64 v[35:36], v[31:32], s[44:45], s[42:43]
	v_fma_f64 v[37:38], v[33:34], s[26:27], s[24:25]
	v_mul_f64 v[39:40], v[29:30], v[33:34]
	s_delay_alu instid0(VALU_DEP_3) | instskip(NEXT) | instid1(VALU_DEP_3)
	v_fma_f64 v[35:36], v[31:32], v[35:36], s[46:47]
	v_fma_f64 v[37:38], v[33:34], v[37:38], s[28:29]
	s_delay_alu instid0(VALU_DEP_2) | instskip(NEXT) | instid1(VALU_DEP_2)
	v_fma_f64 v[35:36], v[31:32], v[35:36], s[48:49]
	v_fma_f64 v[37:38], v[33:34], v[37:38], s[30:31]
	s_delay_alu instid0(VALU_DEP_2) | instskip(NEXT) | instid1(VALU_DEP_2)
	;; [unrolled: 3-line block ×4, first 2 shown]
	v_fma_f64 v[35:36], v[31:32], v[35:36], s[54:55]
	v_fma_f64 v[33:34], v[33:34], v[37:38], s[92:93]
	v_ldexp_f64 v[37:38], v[29:30], 1
	v_add_f64 v[29:30], v[29:30], -v[43:44]
	s_delay_alu instid0(VALU_DEP_4) | instskip(NEXT) | instid1(VALU_DEP_4)
	v_fma_f64 v[35:36], v[31:32], v[35:36], s[56:57]
	v_mul_f64 v[33:34], v[39:40], v[33:34]
	v_cvt_f64_i32_e32 v[39:40], v18
	s_delay_alu instid0(VALU_DEP_4) | instskip(NEXT) | instid1(VALU_DEP_4)
	v_add_f64 v[25:26], v[25:26], -v[29:30]
	v_fma_f64 v[35:36], v[31:32], v[35:36], s[58:59]
	v_ashrrev_i32_e32 v18, 31, v6
	v_add_f64 v[41:42], v[37:38], v[33:34]
	v_mul_f64 v[43:44], v[39:40], s[38:39]
	v_ldexp_f64 v[25:26], v[25:26], 1
	v_fma_f64 v[35:36], v[31:32], v[35:36], s[60:61]
	s_delay_alu instid0(VALU_DEP_4) | instskip(NEXT) | instid1(VALU_DEP_4)
	v_add_f64 v[29:30], v[41:42], -v[37:38]
	v_fma_f64 v[37:38], v[39:40], s[38:39], -v[43:44]
	s_delay_alu instid0(VALU_DEP_3) | instskip(NEXT) | instid1(VALU_DEP_3)
	v_fma_f64 v[35:36], v[31:32], v[35:36], s[62:63]
	v_add_f64 v[29:30], v[33:34], -v[29:30]
	s_delay_alu instid0(VALU_DEP_2) | instskip(NEXT) | instid1(VALU_DEP_4)
	v_fma_f64 v[33:34], v[31:32], v[35:36], s[64:65]
	v_fma_f64 v[35:36], v[39:40], s[40:41], v[37:38]
	s_delay_alu instid0(VALU_DEP_3) | instskip(NEXT) | instid1(VALU_DEP_3)
	v_add_f64 v[25:26], v[25:26], v[29:30]
	v_fma_f64 v[29:30], v[31:32], v[33:34], s[66:67]
	s_delay_alu instid0(VALU_DEP_3) | instskip(NEXT) | instid1(VALU_DEP_3)
	v_add_f64 v[33:34], v[43:44], v[35:36]
	v_add_f64 v[37:38], v[41:42], v[25:26]
	s_delay_alu instid0(VALU_DEP_3) | instskip(NEXT) | instid1(VALU_DEP_3)
	v_fma_f64 v[29:30], v[31:32], v[29:30], s[68:69]
	v_add_f64 v[43:44], v[33:34], -v[43:44]
	s_delay_alu instid0(VALU_DEP_3) | instskip(SKIP_1) | instid1(VALU_DEP_4)
	v_add_f64 v[39:40], v[33:34], v[37:38]
	v_add_f64 v[41:42], v[37:38], -v[41:42]
	v_fma_f64 v[29:30], v[31:32], v[29:30], s[70:71]
	s_delay_alu instid0(VALU_DEP_4) | instskip(NEXT) | instid1(VALU_DEP_4)
	v_add_f64 v[35:36], v[35:36], -v[43:44]
	v_add_f64 v[45:46], v[39:40], -v[33:34]
	s_delay_alu instid0(VALU_DEP_4) | instskip(NEXT) | instid1(VALU_DEP_4)
	v_add_f64 v[25:26], v[25:26], -v[41:42]
	v_fma_f64 v[29:30], v[31:32], v[29:30], s[72:73]
	s_delay_alu instid0(VALU_DEP_3) | instskip(SKIP_1) | instid1(VALU_DEP_4)
	v_add_f64 v[47:48], v[39:40], -v[45:46]
	v_add_f64 v[37:38], v[37:38], -v[45:46]
	v_add_f64 v[41:42], v[35:36], v[25:26]
	s_delay_alu instid0(VALU_DEP_4) | instskip(NEXT) | instid1(VALU_DEP_4)
	v_fma_f64 v[29:30], v[31:32], v[29:30], s[74:75]
	v_add_f64 v[33:34], v[33:34], -v[47:48]
	s_delay_alu instid0(VALU_DEP_2) | instskip(NEXT) | instid1(VALU_DEP_2)
	v_fma_f64 v[29:30], v[31:32], v[29:30], s[76:77]
	v_add_f64 v[33:34], v[37:38], v[33:34]
	v_add_f64 v[37:38], v[41:42], -v[35:36]
	s_delay_alu instid0(VALU_DEP_3) | instskip(NEXT) | instid1(VALU_DEP_3)
	v_fma_f64 v[29:30], v[31:32], v[29:30], s[78:79]
	v_add_f64 v[33:34], v[41:42], v[33:34]
	s_delay_alu instid0(VALU_DEP_3) | instskip(SKIP_1) | instid1(VALU_DEP_4)
	v_add_f64 v[41:42], v[41:42], -v[37:38]
	v_add_f64 v[25:26], v[25:26], -v[37:38]
	v_fma_f64 v[29:30], v[31:32], v[29:30], s[80:81]
	s_delay_alu instid0(VALU_DEP_4) | instskip(NEXT) | instid1(VALU_DEP_2)
	v_add_f64 v[43:44], v[39:40], v[33:34]
	v_mul_f64 v[29:30], v[31:32], v[29:30]
	v_add_f64 v[31:32], v[35:36], -v[41:42]
	s_delay_alu instid0(VALU_DEP_3) | instskip(NEXT) | instid1(VALU_DEP_3)
	v_add_f64 v[35:36], v[43:44], -v[39:40]
	v_fma_f64 v[27:28], v[27:28], v[29:30], v[27:28]
	s_delay_alu instid0(VALU_DEP_3) | instskip(NEXT) | instid1(VALU_DEP_3)
	v_add_f64 v[25:26], v[25:26], v[31:32]
	v_add_f64 v[29:30], v[33:34], -v[35:36]
	s_delay_alu instid0(VALU_DEP_3) | instskip(NEXT) | instid1(VALU_DEP_2)
	v_add_f64 v[31:32], -v[27:28], s[82:83]
	v_add_f64 v[25:26], v[25:26], v[29:30]
	s_delay_alu instid0(VALU_DEP_2) | instskip(NEXT) | instid1(VALU_DEP_3)
	v_cndmask_b32_e64 v28, v28, v32, s2
	v_cndmask_b32_e64 v27, v27, v31, s2
	;; [unrolled: 1-line block ×3, first 2 shown]
	s_delay_alu instid0(VALU_DEP_2) | instskip(SKIP_2) | instid1(VALU_DEP_3)
	v_add_f64 v[29:30], -v[27:28], s[12:13]
	v_add_f64 v[25:26], v[43:44], v[25:26]
	v_and_b32_e32 v32, 0x54442d18, v18
	v_cndmask_b32_e64 v27, v27, v29, s3
	s_delay_alu instid0(VALU_DEP_3) | instskip(NEXT) | instid1(VALU_DEP_2)
	v_cndmask_b32_e32 v5, v25, v23, vcc_lo
	v_cndmask_b32_e64 v25, v27, v32, s4
	v_cndmask_b32_e32 v6, v26, v24, vcc_lo
	s_and_b32 vcc_lo, s8, s7
	s_delay_alu instid0(VALU_DEP_2) | instskip(NEXT) | instid1(VALU_DEP_2)
	v_cndmask_b32_e32 v25, v25, v31, vcc_lo
	v_mul_f64 v[23:24], v[5:6], 0.5
	v_cndmask_b32_e64 v5, 0x3fe921fb, v56, s3
	v_and_b32_e32 v6, 0x400921fb, v18
	v_cndmask_b32_e64 v18, v28, v30, s3
                                        ; implicit-def: $vgpr29_vgpr30
	s_delay_alu instid0(VALU_DEP_3) | instskip(NEXT) | instid1(VALU_DEP_2)
	v_bfi_b32 v5, 0x7fffffff, v5, v8
	v_cndmask_b32_e64 v6, v18, v6, s4
	s_delay_alu instid0(VALU_DEP_1)
	v_cndmask_b32_e32 v26, v6, v5, vcc_lo
.LBB180_26:                             ;   in Loop: Header=BB180_5 Depth=1
	s_and_not1_saveexec_b32 s4, s6
	s_cbranch_execz .LBB180_28
; %bb.27:                               ;   in Loop: Header=BB180_5 Depth=1
	v_max_f64 v[23:24], |v[7:8]|, |v[7:8]|
	v_max_f64 v[25:26], |v[5:6]|, |v[5:6]|
	s_mov_b32 s12, s82
	v_cmp_eq_f64_e64 s3, 0, v[7:8]
	v_cmp_class_f64_e64 s6, v[7:8], 0x204
	v_cmp_class_f64_e64 s7, v[5:6], 0x204
	v_ashrrev_i32_e32 v18, 31, v6
	v_max_f64 v[27:28], v[25:26], v[23:24]
	v_min_f64 v[23:24], v[25:26], v[23:24]
	s_delay_alu instid0(VALU_DEP_1) | instskip(SKIP_1) | instid1(VALU_DEP_2)
	v_div_scale_f64 v[25:26], null, v[27:28], v[27:28], v[23:24]
	v_div_scale_f64 v[35:36], vcc_lo, v[23:24], v[27:28], v[23:24]
	v_rcp_f64_e32 v[31:32], v[25:26]
	s_waitcnt_depctr 0xfff
	v_fma_f64 v[33:34], -v[25:26], v[31:32], 1.0
	s_delay_alu instid0(VALU_DEP_1) | instskip(NEXT) | instid1(VALU_DEP_1)
	v_fma_f64 v[31:32], v[31:32], v[33:34], v[31:32]
	v_fma_f64 v[33:34], -v[25:26], v[31:32], 1.0
	s_delay_alu instid0(VALU_DEP_1) | instskip(NEXT) | instid1(VALU_DEP_1)
	v_fma_f64 v[31:32], v[31:32], v[33:34], v[31:32]
	v_mul_f64 v[33:34], v[35:36], v[31:32]
	s_delay_alu instid0(VALU_DEP_1) | instskip(NEXT) | instid1(VALU_DEP_1)
	v_fma_f64 v[25:26], -v[25:26], v[33:34], v[35:36]
	v_div_fmas_f64 v[25:26], v[25:26], v[31:32], v[33:34]
	v_cmp_gt_i32_e32 vcc_lo, 0, v6
	v_and_b32_e32 v32, 0x54442d18, v18
	v_and_b32_e32 v6, 0x400921fb, v18
	v_cndmask_b32_e32 v31, 0x54442d18, v55, vcc_lo
	v_cndmask_b32_e32 v5, 0x3fe921fb, v56, vcc_lo
	s_delay_alu instid0(VALU_DEP_1) | instskip(SKIP_1) | instid1(VALU_DEP_1)
	v_bfi_b32 v5, 0x7fffffff, v5, v8
	v_div_fixup_f64 v[23:24], v[25:26], v[27:28], v[23:24]
	v_mul_f64 v[25:26], v[23:24], v[23:24]
	s_delay_alu instid0(VALU_DEP_1) | instskip(NEXT) | instid1(VALU_DEP_1)
	v_fma_f64 v[27:28], v[25:26], s[44:45], s[42:43]
	v_fma_f64 v[27:28], v[25:26], v[27:28], s[46:47]
	s_delay_alu instid0(VALU_DEP_1) | instskip(NEXT) | instid1(VALU_DEP_1)
	v_fma_f64 v[27:28], v[25:26], v[27:28], s[48:49]
	v_fma_f64 v[27:28], v[25:26], v[27:28], s[50:51]
	;; [unrolled: 3-line block ×9, first 2 shown]
	s_delay_alu instid0(VALU_DEP_1) | instskip(NEXT) | instid1(VALU_DEP_1)
	v_fma_f64 v[27:28], v[25:26], v[27:28], s[80:81]
	v_mul_f64 v[25:26], v[25:26], v[27:28]
	s_delay_alu instid0(VALU_DEP_1) | instskip(NEXT) | instid1(VALU_DEP_1)
	v_fma_f64 v[23:24], v[23:24], v[25:26], v[23:24]
	v_add_f64 v[25:26], -v[23:24], s[82:83]
	s_delay_alu instid0(VALU_DEP_1) | instskip(NEXT) | instid1(VALU_DEP_2)
	v_cndmask_b32_e64 v26, v24, v26, s2
	v_cndmask_b32_e64 v25, v23, v25, s2
	v_mul_f64 v[23:24], v[29:30], 0.5
	s_delay_alu instid0(VALU_DEP_2) | instskip(NEXT) | instid1(VALU_DEP_2)
	v_add_f64 v[27:28], -v[25:26], s[12:13]
	v_mul_f64 v[23:24], v[29:30], v[23:24]
	s_delay_alu instid0(VALU_DEP_2) | instskip(NEXT) | instid1(VALU_DEP_1)
	v_cndmask_b32_e32 v25, v25, v27, vcc_lo
	v_cndmask_b32_e64 v25, v25, v32, s3
	s_delay_alu instid0(VALU_DEP_4) | instskip(SKIP_1) | instid1(VALU_DEP_2)
	v_cndmask_b32_e32 v18, v26, v28, vcc_lo
	s_and_b32 vcc_lo, s7, s6
	v_cndmask_b32_e32 v25, v25, v31, vcc_lo
	s_delay_alu instid0(VALU_DEP_2) | instskip(NEXT) | instid1(VALU_DEP_1)
	v_cndmask_b32_e64 v6, v18, v6, s3
	v_cndmask_b32_e32 v26, v6, v5, vcc_lo
.LBB180_28:                             ;   in Loop: Header=BB180_5 Depth=1
	s_or_b32 exec_lo, exec_lo, s4
.LBB180_29:                             ;   in Loop: Header=BB180_5 Depth=1
	s_delay_alu instid0(SALU_CYCLE_1)
	s_or_b32 exec_lo, exec_lo, s5
.LBB180_30:                             ;   in Loop: Header=BB180_5 Depth=1
	s_and_not1_saveexec_b32 s5, s98
	s_cbranch_execz .LBB180_32
; %bb.31:                               ;   in Loop: Header=BB180_5 Depth=1
	v_div_scale_f64 v[23:24], null, s[88:89], s[88:89], v[5:6]
	v_div_scale_f64 v[25:26], null, s[88:89], s[88:89], v[7:8]
	v_div_scale_f64 v[35:36], vcc_lo, v[5:6], s[88:89], v[5:6]
	v_max_f64 v[41:42], |v[5:6]|, |v[5:6]|
	s_mov_b32 s93, s23
	s_mov_b32 s12, s82
	s_delay_alu instid0(VALU_DEP_4) | instskip(NEXT) | instid1(VALU_DEP_3)
	v_rcp_f64_e32 v[27:28], v[23:24]
	v_rcp_f64_e32 v[29:30], v[25:26]
	s_waitcnt_depctr 0xfff
	v_fma_f64 v[31:32], -v[23:24], v[27:28], 1.0
	v_fma_f64 v[33:34], -v[25:26], v[29:30], 1.0
	s_delay_alu instid0(VALU_DEP_2) | instskip(NEXT) | instid1(VALU_DEP_2)
	v_fma_f64 v[27:28], v[27:28], v[31:32], v[27:28]
	v_fma_f64 v[29:30], v[29:30], v[33:34], v[29:30]
	s_delay_alu instid0(VALU_DEP_2) | instskip(NEXT) | instid1(VALU_DEP_2)
	v_fma_f64 v[31:32], -v[23:24], v[27:28], 1.0
	v_fma_f64 v[33:34], -v[25:26], v[29:30], 1.0
	s_delay_alu instid0(VALU_DEP_2) | instskip(SKIP_1) | instid1(VALU_DEP_3)
	v_fma_f64 v[27:28], v[27:28], v[31:32], v[27:28]
	v_div_scale_f64 v[31:32], s3, v[7:8], s[88:89], v[7:8]
	v_fma_f64 v[29:30], v[29:30], v[33:34], v[29:30]
	s_delay_alu instid0(VALU_DEP_3) | instskip(NEXT) | instid1(VALU_DEP_2)
	v_mul_f64 v[33:34], v[35:36], v[27:28]
	v_mul_f64 v[37:38], v[31:32], v[29:30]
	s_delay_alu instid0(VALU_DEP_2) | instskip(NEXT) | instid1(VALU_DEP_2)
	v_fma_f64 v[23:24], -v[23:24], v[33:34], v[35:36]
	v_fma_f64 v[25:26], -v[25:26], v[37:38], v[31:32]
	s_delay_alu instid0(VALU_DEP_2) | instskip(SKIP_1) | instid1(VALU_DEP_2)
	v_div_fmas_f64 v[23:24], v[23:24], v[27:28], v[33:34]
	s_mov_b32 vcc_lo, s3
	v_div_fmas_f64 v[25:26], v[25:26], v[29:30], v[37:38]
	s_delay_alu instid0(VALU_DEP_2) | instskip(NEXT) | instid1(VALU_DEP_2)
	v_div_fixup_f64 v[23:24], v[23:24], s[88:89], v[5:6]
	v_div_fixup_f64 v[25:26], v[25:26], s[88:89], v[7:8]
	s_delay_alu instid0(VALU_DEP_2) | instskip(NEXT) | instid1(VALU_DEP_2)
	v_cmp_class_f64_e64 s4, v[23:24], 0x204
	v_max_f64 v[27:28], |v[23:24]|, |v[25:26]|
	v_cmp_o_f64_e64 s3, v[23:24], v[25:26]
	v_cmp_class_f64_e64 s6, v[25:26], 0x204
	s_delay_alu instid0(VALU_DEP_3) | instskip(NEXT) | instid1(VALU_DEP_2)
	v_frexp_exp_i32_f64_e32 v18, v[27:28]
	s_or_b32 s6, s4, s6
	s_delay_alu instid0(VALU_DEP_1) | instskip(NEXT) | instid1(VALU_DEP_1)
	v_sub_nc_u32_e32 v29, 0, v18
	v_ldexp_f64 v[27:28], |v[25:26]|, v29
	v_ldexp_f64 v[29:30], |v[23:24]|, v29
	s_delay_alu instid0(VALU_DEP_2) | instskip(NEXT) | instid1(VALU_DEP_1)
	v_mul_f64 v[27:28], v[27:28], v[27:28]
	v_fma_f64 v[27:28], v[29:30], v[29:30], v[27:28]
	s_delay_alu instid0(VALU_DEP_1) | instskip(SKIP_4) | instid1(VALU_DEP_1)
	v_rsq_f64_e32 v[29:30], v[27:28]
	v_cmp_eq_f64_e32 vcc_lo, 0, v[27:28]
	s_waitcnt_depctr 0xfff
	v_mul_f64 v[31:32], v[27:28], v[29:30]
	v_mul_f64 v[29:30], v[29:30], 0.5
	v_fma_f64 v[33:34], -v[29:30], v[31:32], 0.5
	s_delay_alu instid0(VALU_DEP_1) | instskip(SKIP_1) | instid1(VALU_DEP_2)
	v_fma_f64 v[31:32], v[31:32], v[33:34], v[31:32]
	v_fma_f64 v[29:30], v[29:30], v[33:34], v[29:30]
	v_fma_f64 v[33:34], -v[31:32], v[31:32], v[27:28]
	s_delay_alu instid0(VALU_DEP_1) | instskip(NEXT) | instid1(VALU_DEP_1)
	v_fma_f64 v[29:30], v[33:34], v[29:30], v[31:32]
	v_dual_cndmask_b32 v28, v30, v28 :: v_dual_cndmask_b32 v27, v29, v27
	s_delay_alu instid0(VALU_DEP_1) | instskip(NEXT) | instid1(VALU_DEP_1)
	v_ldexp_f64 v[27:28], v[27:28], v18
	v_cndmask_b32_e64 v23, 0, v27, s3
	s_delay_alu instid0(VALU_DEP_2) | instskip(SKIP_1) | instid1(VALU_DEP_3)
	v_cndmask_b32_e64 v53, 0x7ff80000, v28, s3
	v_and_b32_e32 v28, 0x7fffffff, v28
	v_cndmask_b32_e64 v24, v23, 0, s6
	s_delay_alu instid0(VALU_DEP_3) | instskip(NEXT) | instid1(VALU_DEP_1)
	v_cndmask_b32_e64 v25, v53, 0x7ff00000, s6
	v_frexp_mant_f64_e32 v[29:30], v[24:25]
	s_delay_alu instid0(VALU_DEP_1) | instskip(NEXT) | instid1(VALU_DEP_1)
	v_cmp_gt_f64_e64 s4, s[22:23], v[29:30]
	v_cndmask_b32_e64 v18, 0x3ff00000, 2.0, s4
	s_delay_alu instid0(VALU_DEP_1) | instskip(SKIP_1) | instid1(VALU_DEP_2)
	v_mul_f64 v[29:30], v[29:30], v[17:18]
	v_frexp_exp_i32_f64_e32 v18, v[24:25]
	v_add_f64 v[31:32], v[29:30], 1.0
	v_add_f64 v[37:38], v[29:30], -1.0
	s_delay_alu instid0(VALU_DEP_2) | instskip(SKIP_1) | instid1(VALU_DEP_1)
	v_rcp_f64_e32 v[33:34], v[31:32]
	v_add_f64 v[43:44], v[31:32], -1.0
	v_add_f64 v[29:30], v[29:30], -v[43:44]
	s_waitcnt_depctr 0xfff
	v_fma_f64 v[35:36], -v[31:32], v[33:34], 1.0
	s_delay_alu instid0(VALU_DEP_1) | instskip(NEXT) | instid1(VALU_DEP_1)
	v_fma_f64 v[33:34], v[35:36], v[33:34], v[33:34]
	v_fma_f64 v[35:36], -v[31:32], v[33:34], 1.0
	s_delay_alu instid0(VALU_DEP_1) | instskip(SKIP_1) | instid1(VALU_DEP_2)
	v_fma_f64 v[33:34], v[35:36], v[33:34], v[33:34]
	v_max_f64 v[35:36], |v[7:8]|, |v[7:8]|
	v_mul_f64 v[39:40], v[37:38], v[33:34]
	s_delay_alu instid0(VALU_DEP_2) | instskip(SKIP_1) | instid1(VALU_DEP_3)
	v_max_f64 v[47:48], v[41:42], v[35:36]
	v_min_f64 v[35:36], v[41:42], v[35:36]
	v_mul_f64 v[45:46], v[31:32], v[39:40]
	s_delay_alu instid0(VALU_DEP_2) | instskip(NEXT) | instid1(VALU_DEP_2)
	v_div_scale_f64 v[41:42], null, v[47:48], v[47:48], v[35:36]
	v_fma_f64 v[31:32], v[39:40], v[31:32], -v[45:46]
	s_delay_alu instid0(VALU_DEP_1) | instskip(NEXT) | instid1(VALU_DEP_3)
	v_fma_f64 v[29:30], v[39:40], v[29:30], v[31:32]
	v_rcp_f64_e32 v[31:32], v[41:42]
	s_delay_alu instid0(VALU_DEP_1) | instskip(SKIP_4) | instid1(VALU_DEP_3)
	v_add_f64 v[43:44], v[45:46], v[29:30]
	s_waitcnt_depctr 0xfff
	v_fma_f64 v[49:50], -v[41:42], v[31:32], 1.0
	v_add_f64 v[51:52], v[37:38], -v[43:44]
	v_add_f64 v[45:46], v[43:44], -v[45:46]
	v_fma_f64 v[31:32], v[31:32], v[49:50], v[31:32]
	s_delay_alu instid0(VALU_DEP_3) | instskip(NEXT) | instid1(VALU_DEP_3)
	v_add_f64 v[37:38], v[37:38], -v[51:52]
	v_add_f64 v[29:30], v[45:46], -v[29:30]
	s_delay_alu instid0(VALU_DEP_3) | instskip(NEXT) | instid1(VALU_DEP_3)
	v_fma_f64 v[49:50], -v[41:42], v[31:32], 1.0
	v_add_f64 v[37:38], v[37:38], -v[43:44]
	v_div_scale_f64 v[43:44], vcc_lo, v[35:36], v[47:48], v[35:36]
	s_delay_alu instid0(VALU_DEP_3) | instskip(NEXT) | instid1(VALU_DEP_3)
	v_fma_f64 v[31:32], v[31:32], v[49:50], v[31:32]
	v_add_f64 v[29:30], v[29:30], v[37:38]
	s_delay_alu instid0(VALU_DEP_2) | instskip(NEXT) | instid1(VALU_DEP_2)
	v_mul_f64 v[37:38], v[43:44], v[31:32]
	v_add_f64 v[29:30], v[51:52], v[29:30]
	s_delay_alu instid0(VALU_DEP_2) | instskip(NEXT) | instid1(VALU_DEP_2)
	v_fma_f64 v[41:42], -v[41:42], v[37:38], v[43:44]
	v_mul_f64 v[29:30], v[33:34], v[29:30]
	s_delay_alu instid0(VALU_DEP_2)
	v_div_fmas_f64 v[31:32], v[41:42], v[31:32], v[37:38]
	v_subrev_co_ci_u32_e64 v18, vcc_lo, 0, v18, s4
	v_cmp_eq_f64_e32 vcc_lo, 0x7ff00000, v[27:28]
	v_cmp_class_f64_e64 s4, v[5:6], 0x204
	v_add_f64 v[33:34], v[39:40], v[29:30]
	v_div_fixup_f64 v[31:32], v[31:32], v[47:48], v[35:36]
	s_and_b32 vcc_lo, s3, vcc_lo
	v_cmp_class_f64_e64 s3, v[7:8], 0x204
	s_delay_alu instid0(VALU_DEP_3) | instskip(NEXT) | instid1(VALU_DEP_3)
	v_mul_f64 v[35:36], v[33:34], v[33:34]
	v_mul_f64 v[37:38], v[31:32], v[31:32]
	s_delay_alu instid0(VALU_DEP_2) | instskip(SKIP_1) | instid1(VALU_DEP_3)
	v_fma_f64 v[41:42], v[35:36], s[26:27], s[24:25]
	v_mul_f64 v[45:46], v[33:34], v[35:36]
	v_fma_f64 v[43:44], v[37:38], s[44:45], s[42:43]
	s_delay_alu instid0(VALU_DEP_3) | instskip(NEXT) | instid1(VALU_DEP_2)
	v_fma_f64 v[41:42], v[35:36], v[41:42], s[28:29]
	v_fma_f64 v[43:44], v[37:38], v[43:44], s[46:47]
	s_delay_alu instid0(VALU_DEP_2) | instskip(NEXT) | instid1(VALU_DEP_2)
	v_fma_f64 v[41:42], v[35:36], v[41:42], s[30:31]
	v_fma_f64 v[43:44], v[37:38], v[43:44], s[48:49]
	s_delay_alu instid0(VALU_DEP_2) | instskip(NEXT) | instid1(VALU_DEP_2)
	;; [unrolled: 3-line block ×4, first 2 shown]
	v_fma_f64 v[35:36], v[35:36], v[41:42], s[92:93]
	v_fma_f64 v[41:42], v[37:38], v[43:44], s[54:55]
	v_ldexp_f64 v[43:44], v[33:34], 1
	v_add_f64 v[33:34], v[33:34], -v[39:40]
	s_delay_alu instid0(VALU_DEP_4)
	v_mul_f64 v[35:36], v[45:46], v[35:36]
	v_cvt_f64_i32_e32 v[45:46], v18
	v_ashrrev_i32_e32 v18, 31, v6
	v_fma_f64 v[41:42], v[37:38], v[41:42], s[56:57]
	v_add_f64 v[29:30], v[29:30], -v[33:34]
	v_add_f64 v[39:40], v[43:44], v[35:36]
	v_mul_f64 v[47:48], v[45:46], s[38:39]
	s_delay_alu instid0(VALU_DEP_4) | instskip(NEXT) | instid1(VALU_DEP_4)
	v_fma_f64 v[41:42], v[37:38], v[41:42], s[58:59]
	v_ldexp_f64 v[29:30], v[29:30], 1
	s_delay_alu instid0(VALU_DEP_4) | instskip(NEXT) | instid1(VALU_DEP_4)
	v_add_f64 v[33:34], v[39:40], -v[43:44]
	v_fma_f64 v[43:44], v[45:46], s[38:39], -v[47:48]
	s_delay_alu instid0(VALU_DEP_4) | instskip(NEXT) | instid1(VALU_DEP_3)
	v_fma_f64 v[41:42], v[37:38], v[41:42], s[60:61]
	v_add_f64 v[33:34], v[35:36], -v[33:34]
	s_delay_alu instid0(VALU_DEP_2) | instskip(NEXT) | instid1(VALU_DEP_4)
	v_fma_f64 v[35:36], v[37:38], v[41:42], s[62:63]
	v_fma_f64 v[41:42], v[45:46], s[40:41], v[43:44]
	s_delay_alu instid0(VALU_DEP_3) | instskip(NEXT) | instid1(VALU_DEP_3)
	v_add_f64 v[29:30], v[29:30], v[33:34]
	v_fma_f64 v[33:34], v[37:38], v[35:36], s[64:65]
	s_delay_alu instid0(VALU_DEP_3) | instskip(NEXT) | instid1(VALU_DEP_3)
	v_add_f64 v[35:36], v[47:48], v[41:42]
	v_add_f64 v[43:44], v[39:40], v[29:30]
	s_delay_alu instid0(VALU_DEP_3) | instskip(NEXT) | instid1(VALU_DEP_3)
	v_fma_f64 v[33:34], v[37:38], v[33:34], s[66:67]
	v_add_f64 v[47:48], v[35:36], -v[47:48]
	s_delay_alu instid0(VALU_DEP_3) | instskip(SKIP_1) | instid1(VALU_DEP_4)
	v_add_f64 v[45:46], v[35:36], v[43:44]
	v_add_f64 v[39:40], v[43:44], -v[39:40]
	v_fma_f64 v[33:34], v[37:38], v[33:34], s[68:69]
	s_delay_alu instid0(VALU_DEP_4) | instskip(NEXT) | instid1(VALU_DEP_4)
	v_add_f64 v[41:42], v[41:42], -v[47:48]
	v_add_f64 v[49:50], v[45:46], -v[35:36]
	s_delay_alu instid0(VALU_DEP_4) | instskip(NEXT) | instid1(VALU_DEP_4)
	v_add_f64 v[29:30], v[29:30], -v[39:40]
	v_fma_f64 v[33:34], v[37:38], v[33:34], s[70:71]
	s_delay_alu instid0(VALU_DEP_3) | instskip(SKIP_1) | instid1(VALU_DEP_4)
	v_add_f64 v[51:52], v[45:46], -v[49:50]
	v_add_f64 v[39:40], v[43:44], -v[49:50]
	v_add_f64 v[43:44], v[41:42], v[29:30]
	s_delay_alu instid0(VALU_DEP_4) | instskip(NEXT) | instid1(VALU_DEP_4)
	v_fma_f64 v[33:34], v[37:38], v[33:34], s[72:73]
	v_add_f64 v[35:36], v[35:36], -v[51:52]
	s_delay_alu instid0(VALU_DEP_2) | instskip(NEXT) | instid1(VALU_DEP_2)
	v_fma_f64 v[33:34], v[37:38], v[33:34], s[74:75]
	v_add_f64 v[35:36], v[39:40], v[35:36]
	v_add_f64 v[39:40], v[43:44], -v[41:42]
	s_delay_alu instid0(VALU_DEP_3) | instskip(NEXT) | instid1(VALU_DEP_3)
	v_fma_f64 v[33:34], v[37:38], v[33:34], s[76:77]
	v_add_f64 v[35:36], v[43:44], v[35:36]
	s_delay_alu instid0(VALU_DEP_3) | instskip(SKIP_1) | instid1(VALU_DEP_4)
	v_add_f64 v[43:44], v[43:44], -v[39:40]
	v_add_f64 v[29:30], v[29:30], -v[39:40]
	v_fma_f64 v[33:34], v[37:38], v[33:34], s[78:79]
	s_delay_alu instid0(VALU_DEP_4) | instskip(NEXT) | instid1(VALU_DEP_4)
	v_add_f64 v[47:48], v[45:46], v[35:36]
	v_add_f64 v[39:40], v[41:42], -v[43:44]
	s_delay_alu instid0(VALU_DEP_3) | instskip(NEXT) | instid1(VALU_DEP_3)
	v_fma_f64 v[33:34], v[37:38], v[33:34], s[80:81]
	v_add_f64 v[41:42], v[47:48], -v[45:46]
	s_delay_alu instid0(VALU_DEP_3) | instskip(NEXT) | instid1(VALU_DEP_3)
	v_add_f64 v[29:30], v[29:30], v[39:40]
	v_mul_f64 v[33:34], v[37:38], v[33:34]
	s_delay_alu instid0(VALU_DEP_3) | instskip(NEXT) | instid1(VALU_DEP_2)
	v_add_f64 v[35:36], v[35:36], -v[41:42]
	v_fma_f64 v[31:32], v[31:32], v[33:34], v[31:32]
	s_delay_alu instid0(VALU_DEP_2) | instskip(NEXT) | instid1(VALU_DEP_2)
	v_add_f64 v[29:30], v[29:30], v[35:36]
	v_add_f64 v[33:34], -v[31:32], s[82:83]
	s_delay_alu instid0(VALU_DEP_2) | instskip(NEXT) | instid1(VALU_DEP_2)
	v_add_f64 v[26:27], v[47:48], v[29:30]
	v_cndmask_b32_e64 v29, v32, v34, s2
	s_delay_alu instid0(VALU_DEP_3) | instskip(SKIP_1) | instid1(VALU_DEP_2)
	v_cndmask_b32_e64 v28, v31, v33, s2
	v_cmp_eq_f64_e64 s2, 0, v[7:8]
	v_add_f64 v[30:31], -v[28:29], s[12:13]
	v_dual_cndmask_b32 v27, v27, v53 :: v_dual_cndmask_b32 v26, v26, v23
	v_and_b32_e32 v23, 0x54442d18, v18
	v_cmp_gt_i32_e32 vcc_lo, 0, v6
	s_delay_alu instid0(VALU_DEP_3) | instskip(SKIP_3) | instid1(VALU_DEP_2)
	v_add_f64 v[26:27], v[26:27], 1.0
	v_cndmask_b32_e32 v32, 0x54442d18, v55, vcc_lo
	v_cndmask_b32_e32 v28, v28, v30, vcc_lo
	;; [unrolled: 1-line block ×3, first 2 shown]
	v_cndmask_b32_e64 v28, v28, v23, s2
	v_and_b32_e32 v6, 0x400921fb, v18
	v_cndmask_b32_e32 v18, v29, v31, vcc_lo
	v_cmp_ngt_f64_e32 vcc_lo, 0, v[24:25]
	v_bfi_b32 v5, 0x7fffffff, v5, v8
	s_delay_alu instid0(VALU_DEP_3) | instskip(SKIP_3) | instid1(VALU_DEP_1)
	v_cndmask_b32_e64 v6, v18, v6, s2
	v_cmp_nge_f64_e64 s2, 0, v[24:25]
	v_cndmask_b32_e64 v18, v26, 0, s6
	v_cndmask_b32_e64 v27, v27, 0x7ff00000, s6
	v_cndmask_b32_e32 v27, 0x7ff80000, v27, vcc_lo
	s_and_b32 vcc_lo, s4, s3
	v_cndmask_b32_e32 v26, v6, v5, vcc_lo
	v_cndmask_b32_e64 v23, 0, v18, s2
	v_cmp_neq_f64_e64 s2, 0, v[24:25]
	v_cndmask_b32_e32 v25, v28, v32, vcc_lo
	s_delay_alu instid0(VALU_DEP_2)
	v_cndmask_b32_e64 v24, 0xfff00000, v27, s2
.LBB180_32:                             ;   in Loop: Header=BB180_5 Depth=1
	s_or_b32 exec_lo, exec_lo, s5
.LBB180_33:                             ;   in Loop: Header=BB180_5 Depth=1
	s_and_not1_saveexec_b32 s2, s97
	s_cbranch_execz .LBB180_39
; %bb.34:                               ;   in Loop: Header=BB180_5 Depth=1
	v_cmp_ngt_f64_e64 s3, 0x20000000, |v[5:6]|
	v_cmp_ngt_f64_e64 s4, 0x20000000, |v[7:8]|
                                        ; implicit-def: $vgpr27_vgpr28
	s_delay_alu instid0(VALU_DEP_1) | instskip(NEXT) | instid1(SALU_CYCLE_1)
	s_or_b32 s3, s3, s4
	s_and_saveexec_b32 s4, s3
	s_delay_alu instid0(SALU_CYCLE_1)
	s_xor_b32 s3, exec_lo, s4
; %bb.35:                               ;   in Loop: Header=BB180_5 Depth=1
	v_mul_f64 v[23:24], v[7:8], v[7:8]
	s_delay_alu instid0(VALU_DEP_1)
	v_fma_f64 v[27:28], v[5:6], v[5:6], v[23:24]
; %bb.36:                               ;   in Loop: Header=BB180_5 Depth=1
	s_and_not1_saveexec_b32 s3, s3
; %bb.37:                               ;   in Loop: Header=BB180_5 Depth=1
	v_mul_f64 v[23:24], v[7:8], 4.0
	v_mul_f64 v[5:6], v[5:6], 4.0
	s_delay_alu instid0(VALU_DEP_2) | instskip(NEXT) | instid1(VALU_DEP_1)
	v_mul_f64 v[23:24], v[23:24], v[23:24]
	v_fma_f64 v[5:6], v[5:6], v[5:6], v[23:24]
	s_delay_alu instid0(VALU_DEP_1)
	v_ldexp_f64 v[27:28], v[5:6], -4
; %bb.38:                               ;   in Loop: Header=BB180_5 Depth=1
	s_or_b32 exec_lo, exec_lo, s3
	s_delay_alu instid0(VALU_DEP_1) | instskip(SKIP_2) | instid1(VALU_DEP_2)
	v_frexp_mant_f64_e32 v[5:6], v[27:28]
	s_mov_b32 s93, s23
	v_frexp_exp_i32_f64_e32 v7, v[27:28]
	v_cmp_gt_f64_e32 vcc_lo, s[22:23], v[5:6]
	v_cndmask_b32_e64 v18, 0x3ff00000, 2.0, vcc_lo
	s_delay_alu instid0(VALU_DEP_3) | instskip(SKIP_1) | instid1(VALU_DEP_3)
	v_subrev_co_ci_u32_e32 v7, vcc_lo, 0, v7, vcc_lo
	v_cmp_class_f64_e64 vcc_lo, v[27:28], 0x204
	v_mul_f64 v[5:6], v[5:6], v[17:18]
	s_delay_alu instid0(VALU_DEP_1) | instskip(SKIP_1) | instid1(VALU_DEP_2)
	v_add_f64 v[23:24], v[5:6], 1.0
	v_add_f64 v[31:32], v[5:6], -1.0
	v_rcp_f64_e32 v[25:26], v[23:24]
	v_add_f64 v[33:34], v[23:24], -1.0
	s_delay_alu instid0(VALU_DEP_1) | instskip(SKIP_2) | instid1(VALU_DEP_1)
	v_add_f64 v[5:6], v[5:6], -v[33:34]
	s_waitcnt_depctr 0xfff
	v_fma_f64 v[29:30], -v[23:24], v[25:26], 1.0
	v_fma_f64 v[25:26], v[29:30], v[25:26], v[25:26]
	s_delay_alu instid0(VALU_DEP_1) | instskip(NEXT) | instid1(VALU_DEP_1)
	v_fma_f64 v[29:30], -v[23:24], v[25:26], 1.0
	v_fma_f64 v[25:26], v[29:30], v[25:26], v[25:26]
	s_delay_alu instid0(VALU_DEP_1) | instskip(NEXT) | instid1(VALU_DEP_1)
	v_mul_f64 v[29:30], v[31:32], v[25:26]
	v_mul_f64 v[35:36], v[23:24], v[29:30]
	s_delay_alu instid0(VALU_DEP_1) | instskip(NEXT) | instid1(VALU_DEP_1)
	v_fma_f64 v[23:24], v[29:30], v[23:24], -v[35:36]
	v_fma_f64 v[5:6], v[29:30], v[5:6], v[23:24]
	s_delay_alu instid0(VALU_DEP_1) | instskip(NEXT) | instid1(VALU_DEP_1)
	v_add_f64 v[23:24], v[35:36], v[5:6]
	v_add_f64 v[33:34], v[31:32], -v[23:24]
	v_add_f64 v[35:36], v[23:24], -v[35:36]
	s_delay_alu instid0(VALU_DEP_2) | instskip(NEXT) | instid1(VALU_DEP_2)
	v_add_f64 v[31:32], v[31:32], -v[33:34]
	v_add_f64 v[5:6], v[35:36], -v[5:6]
	s_delay_alu instid0(VALU_DEP_2) | instskip(NEXT) | instid1(VALU_DEP_1)
	v_add_f64 v[23:24], v[31:32], -v[23:24]
	v_add_f64 v[5:6], v[5:6], v[23:24]
	s_delay_alu instid0(VALU_DEP_1) | instskip(NEXT) | instid1(VALU_DEP_1)
	v_add_f64 v[5:6], v[33:34], v[5:6]
	v_mul_f64 v[5:6], v[25:26], v[5:6]
	s_delay_alu instid0(VALU_DEP_1) | instskip(NEXT) | instid1(VALU_DEP_1)
	v_add_f64 v[23:24], v[29:30], v[5:6]
	v_mul_f64 v[25:26], v[23:24], v[23:24]
	s_delay_alu instid0(VALU_DEP_1) | instskip(SKIP_1) | instid1(VALU_DEP_2)
	v_fma_f64 v[31:32], v[25:26], s[26:27], s[24:25]
	v_mul_f64 v[33:34], v[23:24], v[25:26]
	v_fma_f64 v[31:32], v[25:26], v[31:32], s[28:29]
	s_delay_alu instid0(VALU_DEP_1) | instskip(NEXT) | instid1(VALU_DEP_1)
	v_fma_f64 v[31:32], v[25:26], v[31:32], s[30:31]
	v_fma_f64 v[31:32], v[25:26], v[31:32], s[34:35]
	s_delay_alu instid0(VALU_DEP_1) | instskip(NEXT) | instid1(VALU_DEP_1)
	v_fma_f64 v[31:32], v[25:26], v[31:32], s[36:37]
	v_fma_f64 v[25:26], v[25:26], v[31:32], s[92:93]
	v_ldexp_f64 v[31:32], v[23:24], 1
	v_add_f64 v[23:24], v[23:24], -v[29:30]
	s_delay_alu instid0(VALU_DEP_3) | instskip(SKIP_1) | instid1(VALU_DEP_3)
	v_mul_f64 v[25:26], v[33:34], v[25:26]
	v_cvt_f64_i32_e32 v[33:34], v7
	v_add_f64 v[5:6], v[5:6], -v[23:24]
	s_delay_alu instid0(VALU_DEP_3) | instskip(NEXT) | instid1(VALU_DEP_3)
	v_add_f64 v[29:30], v[31:32], v[25:26]
	v_mul_f64 v[35:36], v[33:34], s[38:39]
	s_delay_alu instid0(VALU_DEP_3) | instskip(NEXT) | instid1(VALU_DEP_3)
	v_ldexp_f64 v[5:6], v[5:6], 1
	v_add_f64 v[23:24], v[29:30], -v[31:32]
	s_delay_alu instid0(VALU_DEP_3) | instskip(NEXT) | instid1(VALU_DEP_2)
	v_fma_f64 v[31:32], v[33:34], s[38:39], -v[35:36]
	v_add_f64 v[23:24], v[25:26], -v[23:24]
	s_delay_alu instid0(VALU_DEP_2) | instskip(NEXT) | instid1(VALU_DEP_2)
	v_fma_f64 v[25:26], v[33:34], s[40:41], v[31:32]
	v_add_f64 v[5:6], v[5:6], v[23:24]
	s_delay_alu instid0(VALU_DEP_2) | instskip(NEXT) | instid1(VALU_DEP_2)
	v_add_f64 v[23:24], v[35:36], v[25:26]
	v_add_f64 v[31:32], v[29:30], v[5:6]
	s_delay_alu instid0(VALU_DEP_2) | instskip(NEXT) | instid1(VALU_DEP_2)
	v_add_f64 v[35:36], v[23:24], -v[35:36]
	v_add_f64 v[33:34], v[23:24], v[31:32]
	v_add_f64 v[29:30], v[31:32], -v[29:30]
	s_delay_alu instid0(VALU_DEP_3) | instskip(NEXT) | instid1(VALU_DEP_3)
	v_add_f64 v[25:26], v[25:26], -v[35:36]
	v_add_f64 v[37:38], v[33:34], -v[23:24]
	s_delay_alu instid0(VALU_DEP_3) | instskip(NEXT) | instid1(VALU_DEP_2)
	v_add_f64 v[5:6], v[5:6], -v[29:30]
	v_add_f64 v[39:40], v[33:34], -v[37:38]
	;; [unrolled: 1-line block ×3, first 2 shown]
	s_delay_alu instid0(VALU_DEP_3) | instskip(NEXT) | instid1(VALU_DEP_3)
	v_add_f64 v[31:32], v[25:26], v[5:6]
	v_add_f64 v[23:24], v[23:24], -v[39:40]
	s_delay_alu instid0(VALU_DEP_1) | instskip(NEXT) | instid1(VALU_DEP_3)
	v_add_f64 v[23:24], v[29:30], v[23:24]
	v_add_f64 v[29:30], v[31:32], -v[25:26]
	s_delay_alu instid0(VALU_DEP_2) | instskip(NEXT) | instid1(VALU_DEP_2)
	v_add_f64 v[23:24], v[31:32], v[23:24]
	v_add_f64 v[31:32], v[31:32], -v[29:30]
	v_add_f64 v[5:6], v[5:6], -v[29:30]
	s_delay_alu instid0(VALU_DEP_3) | instskip(NEXT) | instid1(VALU_DEP_3)
	v_add_f64 v[35:36], v[33:34], v[23:24]
	v_add_f64 v[25:26], v[25:26], -v[31:32]
	s_delay_alu instid0(VALU_DEP_2) | instskip(NEXT) | instid1(VALU_DEP_2)
	v_add_f64 v[29:30], v[35:36], -v[33:34]
	v_add_f64 v[5:6], v[5:6], v[25:26]
	v_mov_b32_e32 v25, 0
	v_mov_b32_e32 v26, 0x7ff80000
	s_delay_alu instid0(VALU_DEP_4) | instskip(NEXT) | instid1(VALU_DEP_1)
	v_add_f64 v[23:24], v[23:24], -v[29:30]
	v_add_f64 v[5:6], v[5:6], v[23:24]
	s_delay_alu instid0(VALU_DEP_1) | instskip(NEXT) | instid1(VALU_DEP_1)
	v_add_f64 v[5:6], v[35:36], v[5:6]
	v_dual_cndmask_b32 v5, v5, v27 :: v_dual_cndmask_b32 v6, v6, v28
	v_cmp_ngt_f64_e32 vcc_lo, 0, v[27:28]
	s_delay_alu instid0(VALU_DEP_2) | instskip(SKIP_1) | instid1(VALU_DEP_4)
	v_cndmask_b32_e32 v6, 0x7ff80000, v6, vcc_lo
	v_cmp_nge_f64_e32 vcc_lo, 0, v[27:28]
	v_cndmask_b32_e32 v23, 0, v5, vcc_lo
	v_cmp_neq_f64_e32 vcc_lo, 0, v[27:28]
	s_delay_alu instid0(VALU_DEP_4)
	v_cndmask_b32_e32 v24, 0xfff00000, v6, vcc_lo
.LBB180_39:                             ;   in Loop: Header=BB180_5 Depth=1
	s_or_b32 exec_lo, exec_lo, s2
                                        ; implicit-def: $vgpr5_vgpr6
                                        ; implicit-def: $vgpr27_vgpr28
	s_delay_alu instid0(SALU_CYCLE_1)
	s_mov_b32 s2, exec_lo
	s_waitcnt vmcnt(2)
	v_cmpx_o_f64_e32 v[9:10], v[11:12]
	s_xor_b32 s97, exec_lo, s2
	s_cbranch_execz .LBB180_67
; %bb.40:                               ;   in Loop: Header=BB180_5 Depth=1
	v_cmp_lt_f64_e64 s2, |v[9:10]|, |v[11:12]|
	v_and_b32_e32 v7, 0x7fffffff, v10
	v_dual_mov_b32 v29, v11 :: v_dual_and_b32 v18, 0x7fffffff, v12
                                        ; implicit-def: $vgpr5_vgpr6
                                        ; implicit-def: $vgpr27_vgpr28
	s_mov_b32 s3, exec_lo
	s_delay_alu instid0(VALU_DEP_1) | instskip(NEXT) | instid1(VALU_DEP_2)
	v_cndmask_b32_e64 v32, v18, v7, s2
	v_cndmask_b32_e64 v31, v29, v9, s2
	s_delay_alu instid0(VALU_DEP_1)
	v_cmpx_nlt_f64_e32 s[14:15], v[31:32]
	s_xor_b32 s98, exec_lo, s3
	s_cbranch_execz .LBB180_64
; %bb.41:                               ;   in Loop: Header=BB180_5 Depth=1
	v_cndmask_b32_e64 v34, v7, v18, s2
	v_cndmask_b32_e64 v33, v9, v29, s2
                                        ; implicit-def: $vgpr5_vgpr6
                                        ; implicit-def: $vgpr27_vgpr28
	s_mov_b32 s3, exec_lo
	s_delay_alu instid0(VALU_DEP_1)
	v_cmpx_neq_f64_e32 1.0, v[33:34]
	s_xor_b32 s99, exec_lo, s3
	s_cbranch_execz .LBB180_57
; %bb.42:                               ;   in Loop: Header=BB180_5 Depth=1
	v_max_f64 v[5:6], v[31:32], v[31:32]
	v_max_f64 v[27:28], v[33:34], v[33:34]
	s_delay_alu instid0(VALU_DEP_1) | instskip(SKIP_1) | instid1(VALU_DEP_2)
	v_min_f64 v[29:30], v[27:28], v[5:6]
	v_max_f64 v[5:6], v[27:28], v[5:6]
                                        ; implicit-def: $vgpr27_vgpr28
	v_cmp_ngt_f64_e32 vcc_lo, s[18:19], v[29:30]
	s_delay_alu instid0(VALU_DEP_2) | instskip(NEXT) | instid1(VALU_DEP_1)
	v_cmp_nlt_f64_e64 s3, s[20:21], v[5:6]
                                        ; implicit-def: $vgpr5_vgpr6
	s_and_b32 s3, s3, vcc_lo
	s_delay_alu instid0(SALU_CYCLE_1) | instskip(NEXT) | instid1(SALU_CYCLE_1)
	s_and_saveexec_b32 s4, s3
	s_xor_b32 s103, exec_lo, s4
	s_cbranch_execz .LBB180_54
; %bb.43:                               ;   in Loop: Header=BB180_5 Depth=1
                                        ; implicit-def: $vgpr5_vgpr6
                                        ; implicit-def: $vgpr27_vgpr28
	s_mov_b32 s3, exec_lo
	v_cmpx_le_f64_e32 1.0, v[33:34]
	s_xor_b32 s4, exec_lo, s3
	s_cbranch_execz .LBB180_45
; %bb.44:                               ;   in Loop: Header=BB180_5 Depth=1
	v_add_f64 v[5:6], v[33:34], -1.0
	v_add_f64 v[27:28], v[33:34], 1.0
	s_mov_b32 s93, s23
	v_cmp_gt_i32_e64 s3, 0, v10
	s_mov_b32 s12, s82
	v_cmp_class_f64_e64 s6, v[9:10], 0x204
	v_cmp_class_f64_e64 s5, v[11:12], 0x204
	s_delay_alu instid0(VALU_DEP_4) | instskip(NEXT) | instid1(VALU_DEP_1)
	v_mul_f64 v[5:6], v[5:6], v[27:28]
	v_fma_f64 v[6:7], v[31:32], v[31:32], v[5:6]
	s_delay_alu instid0(VALU_DEP_1) | instskip(NEXT) | instid1(VALU_DEP_1)
	v_add_f64 v[27:28], v[6:7], 1.0
	v_frexp_mant_f64_e32 v[29:30], v[27:28]
	v_frexp_exp_i32_f64_e32 v5, v[27:28]
	v_add_f64 v[31:32], v[27:28], -1.0
	s_delay_alu instid0(VALU_DEP_3) | instskip(NEXT) | instid1(VALU_DEP_2)
	v_cmp_gt_f64_e32 vcc_lo, s[22:23], v[29:30]
	v_add_f64 v[29:30], v[31:32], -v[27:28]
	v_add_f64 v[31:32], v[6:7], -v[31:32]
	v_subrev_co_ci_u32_e32 v5, vcc_lo, 0, v5, vcc_lo
	s_delay_alu instid0(VALU_DEP_3) | instskip(NEXT) | instid1(VALU_DEP_2)
	v_add_f64 v[29:30], v[29:30], 1.0
	v_sub_nc_u32_e32 v18, 0, v5
	s_delay_alu instid0(VALU_DEP_1) | instskip(NEXT) | instid1(VALU_DEP_3)
	v_ldexp_f64 v[27:28], v[27:28], v18
	v_add_f64 v[29:30], v[31:32], v[29:30]
	s_delay_alu instid0(VALU_DEP_2) | instskip(SKIP_1) | instid1(VALU_DEP_3)
	v_add_f64 v[33:34], v[27:28], 1.0
	v_add_f64 v[39:40], v[27:28], -1.0
	v_ldexp_f64 v[29:30], v[29:30], v18
	v_cndmask_b32_e64 v18, 0x54442d18, v55, s3
	s_delay_alu instid0(VALU_DEP_4) | instskip(NEXT) | instid1(VALU_DEP_4)
	v_add_f64 v[31:32], v[33:34], -1.0
	v_add_f64 v[41:42], v[39:40], 1.0
	s_delay_alu instid0(VALU_DEP_2) | instskip(NEXT) | instid1(VALU_DEP_2)
	v_add_f64 v[31:32], v[27:28], -v[31:32]
	v_add_f64 v[27:28], v[27:28], -v[41:42]
	s_delay_alu instid0(VALU_DEP_2) | instskip(NEXT) | instid1(VALU_DEP_2)
	v_add_f64 v[31:32], v[29:30], v[31:32]
	v_add_f64 v[27:28], v[29:30], v[27:28]
	s_delay_alu instid0(VALU_DEP_2) | instskip(NEXT) | instid1(VALU_DEP_2)
	v_add_f64 v[35:36], v[33:34], v[31:32]
	v_add_f64 v[41:42], v[39:40], v[27:28]
	s_delay_alu instid0(VALU_DEP_2) | instskip(SKIP_1) | instid1(VALU_DEP_2)
	v_rcp_f64_e32 v[37:38], v[35:36]
	v_add_f64 v[33:34], v[35:36], -v[33:34]
	v_add_f64 v[39:40], v[41:42], -v[39:40]
	s_delay_alu instid0(VALU_DEP_2) | instskip(SKIP_3) | instid1(VALU_DEP_2)
	v_add_f64 v[31:32], v[31:32], -v[33:34]
	s_waitcnt_depctr 0xfff
	v_fma_f64 v[43:44], -v[35:36], v[37:38], 1.0
	v_add_f64 v[27:28], v[27:28], -v[39:40]
	v_fma_f64 v[37:38], v[43:44], v[37:38], v[37:38]
	s_delay_alu instid0(VALU_DEP_1) | instskip(NEXT) | instid1(VALU_DEP_1)
	v_fma_f64 v[29:30], -v[35:36], v[37:38], 1.0
	v_fma_f64 v[29:30], v[29:30], v[37:38], v[37:38]
	s_delay_alu instid0(VALU_DEP_1) | instskip(NEXT) | instid1(VALU_DEP_1)
	v_mul_f64 v[37:38], v[41:42], v[29:30]
	v_mul_f64 v[43:44], v[35:36], v[37:38]
	s_delay_alu instid0(VALU_DEP_1) | instskip(NEXT) | instid1(VALU_DEP_1)
	v_fma_f64 v[33:34], v[37:38], v[35:36], -v[43:44]
	v_fma_f64 v[33:34], v[37:38], v[31:32], v[33:34]
	s_delay_alu instid0(VALU_DEP_1) | instskip(NEXT) | instid1(VALU_DEP_1)
	v_add_f64 v[45:46], v[43:44], v[33:34]
	v_add_f64 v[47:48], v[41:42], -v[45:46]
	v_add_f64 v[39:40], v[45:46], -v[43:44]
	v_max_f64 v[43:44], |v[11:12]|, |v[11:12]|
	s_delay_alu instid0(VALU_DEP_3) | instskip(NEXT) | instid1(VALU_DEP_3)
	v_add_f64 v[41:42], v[41:42], -v[47:48]
	v_add_f64 v[33:34], v[39:40], -v[33:34]
	s_delay_alu instid0(VALU_DEP_2) | instskip(SKIP_2) | instid1(VALU_DEP_1)
	v_add_f64 v[41:42], v[41:42], -v[45:46]
	v_max_f64 v[45:46], |v[9:10]|, |v[9:10]|
	v_cndmask_b32_e64 v9, 0x3fe921fb, v56, s3
	v_bfi_b32 v9, 0x7fffffff, v9, v12
	s_delay_alu instid0(VALU_DEP_4) | instskip(NEXT) | instid1(VALU_DEP_4)
	v_add_f64 v[27:28], v[27:28], v[41:42]
	v_max_f64 v[49:50], v[45:46], v[43:44]
	v_min_f64 v[43:44], v[45:46], v[43:44]
	s_delay_alu instid0(VALU_DEP_3) | instskip(NEXT) | instid1(VALU_DEP_1)
	v_add_f64 v[27:28], v[33:34], v[27:28]
	v_add_f64 v[33:34], v[47:48], v[27:28]
	s_delay_alu instid0(VALU_DEP_1) | instskip(SKIP_1) | instid1(VALU_DEP_2)
	v_mul_f64 v[39:40], v[29:30], v[33:34]
	v_add_f64 v[47:48], v[47:48], -v[33:34]
	v_mul_f64 v[41:42], v[35:36], v[39:40]
	s_delay_alu instid0(VALU_DEP_2) | instskip(NEXT) | instid1(VALU_DEP_2)
	v_add_f64 v[27:28], v[27:28], v[47:48]
	v_fma_f64 v[35:36], v[39:40], v[35:36], -v[41:42]
	s_delay_alu instid0(VALU_DEP_1) | instskip(SKIP_1) | instid1(VALU_DEP_2)
	v_fma_f64 v[31:32], v[39:40], v[31:32], v[35:36]
	v_div_scale_f64 v[35:36], null, v[49:50], v[49:50], v[43:44]
	v_add_f64 v[45:46], v[41:42], v[31:32]
	s_delay_alu instid0(VALU_DEP_2) | instskip(NEXT) | instid1(VALU_DEP_1)
	v_rcp_f64_e32 v[51:52], v[35:36]
	v_add_f64 v[53:54], v[33:34], -v[45:46]
	v_add_f64 v[41:42], v[45:46], -v[41:42]
	s_waitcnt_depctr 0xfff
	v_fma_f64 v[57:58], -v[35:36], v[51:52], 1.0
	v_add_f64 v[33:34], v[33:34], -v[53:54]
	v_add_f64 v[31:32], v[41:42], -v[31:32]
	s_delay_alu instid0(VALU_DEP_3) | instskip(NEXT) | instid1(VALU_DEP_3)
	v_fma_f64 v[51:52], v[51:52], v[57:58], v[51:52]
	v_add_f64 v[33:34], v[33:34], -v[45:46]
	s_delay_alu instid0(VALU_DEP_2) | instskip(NEXT) | instid1(VALU_DEP_2)
	v_fma_f64 v[45:46], -v[35:36], v[51:52], 1.0
	v_add_f64 v[27:28], v[27:28], v[33:34]
	v_div_scale_f64 v[33:34], vcc_lo, v[43:44], v[49:50], v[43:44]
	s_delay_alu instid0(VALU_DEP_3) | instskip(SKIP_1) | instid1(VALU_DEP_4)
	v_fma_f64 v[41:42], v[51:52], v[45:46], v[51:52]
	v_add_f64 v[45:46], v[37:38], v[39:40]
	v_add_f64 v[27:28], v[31:32], v[27:28]
	s_delay_alu instid0(VALU_DEP_3) | instskip(NEXT) | instid1(VALU_DEP_3)
	v_mul_f64 v[31:32], v[33:34], v[41:42]
	v_add_f64 v[37:38], v[45:46], -v[37:38]
	s_delay_alu instid0(VALU_DEP_3) | instskip(NEXT) | instid1(VALU_DEP_3)
	v_add_f64 v[27:28], v[53:54], v[27:28]
	v_fma_f64 v[33:34], -v[35:36], v[31:32], v[33:34]
	s_delay_alu instid0(VALU_DEP_3) | instskip(NEXT) | instid1(VALU_DEP_3)
	v_add_f64 v[35:36], v[39:40], -v[37:38]
	v_mul_f64 v[27:28], v[29:30], v[27:28]
	s_delay_alu instid0(VALU_DEP_3) | instskip(SKIP_1) | instid1(VALU_DEP_3)
	v_div_fmas_f64 v[29:30], v[33:34], v[41:42], v[31:32]
	v_cmp_eq_f64_e32 vcc_lo, 0x7ff00000, v[6:7]
	v_add_f64 v[27:28], v[35:36], v[27:28]
	s_delay_alu instid0(VALU_DEP_3) | instskip(NEXT) | instid1(VALU_DEP_2)
	v_div_fixup_f64 v[29:30], v[29:30], v[49:50], v[43:44]
	v_add_f64 v[31:32], v[45:46], v[27:28]
	s_delay_alu instid0(VALU_DEP_2) | instskip(NEXT) | instid1(VALU_DEP_2)
	v_mul_f64 v[33:34], v[29:30], v[29:30]
	v_mul_f64 v[35:36], v[31:32], v[31:32]
	s_delay_alu instid0(VALU_DEP_2) | instskip(NEXT) | instid1(VALU_DEP_2)
	v_fma_f64 v[37:38], v[33:34], s[44:45], s[42:43]
	v_fma_f64 v[39:40], v[35:36], s[26:27], s[24:25]
	v_mul_f64 v[41:42], v[31:32], v[35:36]
	s_delay_alu instid0(VALU_DEP_3) | instskip(NEXT) | instid1(VALU_DEP_3)
	v_fma_f64 v[37:38], v[33:34], v[37:38], s[46:47]
	v_fma_f64 v[39:40], v[35:36], v[39:40], s[28:29]
	s_delay_alu instid0(VALU_DEP_2) | instskip(NEXT) | instid1(VALU_DEP_2)
	v_fma_f64 v[37:38], v[33:34], v[37:38], s[48:49]
	v_fma_f64 v[39:40], v[35:36], v[39:40], s[30:31]
	s_delay_alu instid0(VALU_DEP_2) | instskip(NEXT) | instid1(VALU_DEP_2)
	;; [unrolled: 3-line block ×4, first 2 shown]
	v_fma_f64 v[37:38], v[33:34], v[37:38], s[54:55]
	v_fma_f64 v[35:36], v[35:36], v[39:40], s[92:93]
	v_ldexp_f64 v[39:40], v[31:32], 1
	v_add_f64 v[31:32], v[31:32], -v[45:46]
	s_delay_alu instid0(VALU_DEP_4) | instskip(NEXT) | instid1(VALU_DEP_4)
	v_fma_f64 v[37:38], v[33:34], v[37:38], s[56:57]
	v_mul_f64 v[35:36], v[41:42], v[35:36]
	v_cvt_f64_i32_e32 v[41:42], v5
	s_delay_alu instid0(VALU_DEP_4) | instskip(NEXT) | instid1(VALU_DEP_4)
	v_add_f64 v[27:28], v[27:28], -v[31:32]
	v_fma_f64 v[37:38], v[33:34], v[37:38], s[58:59]
	v_ashrrev_i32_e32 v5, 31, v10
	v_add_f64 v[43:44], v[39:40], v[35:36]
	v_mul_f64 v[45:46], v[41:42], s[38:39]
	v_ldexp_f64 v[27:28], v[27:28], 1
	v_fma_f64 v[37:38], v[33:34], v[37:38], s[60:61]
	s_delay_alu instid0(VALU_DEP_4) | instskip(NEXT) | instid1(VALU_DEP_4)
	v_add_f64 v[31:32], v[43:44], -v[39:40]
	v_fma_f64 v[39:40], v[41:42], s[38:39], -v[45:46]
	s_delay_alu instid0(VALU_DEP_3) | instskip(NEXT) | instid1(VALU_DEP_3)
	v_fma_f64 v[37:38], v[33:34], v[37:38], s[62:63]
	v_add_f64 v[31:32], v[35:36], -v[31:32]
	s_delay_alu instid0(VALU_DEP_2) | instskip(NEXT) | instid1(VALU_DEP_4)
	v_fma_f64 v[35:36], v[33:34], v[37:38], s[64:65]
	v_fma_f64 v[37:38], v[41:42], s[40:41], v[39:40]
	s_delay_alu instid0(VALU_DEP_3) | instskip(NEXT) | instid1(VALU_DEP_3)
	v_add_f64 v[27:28], v[27:28], v[31:32]
	v_fma_f64 v[31:32], v[33:34], v[35:36], s[66:67]
	s_delay_alu instid0(VALU_DEP_3) | instskip(NEXT) | instid1(VALU_DEP_3)
	v_add_f64 v[35:36], v[45:46], v[37:38]
	v_add_f64 v[39:40], v[43:44], v[27:28]
	s_delay_alu instid0(VALU_DEP_3) | instskip(NEXT) | instid1(VALU_DEP_3)
	v_fma_f64 v[31:32], v[33:34], v[31:32], s[68:69]
	v_add_f64 v[45:46], v[35:36], -v[45:46]
	s_delay_alu instid0(VALU_DEP_3) | instskip(SKIP_1) | instid1(VALU_DEP_4)
	v_add_f64 v[41:42], v[35:36], v[39:40]
	v_add_f64 v[43:44], v[39:40], -v[43:44]
	v_fma_f64 v[31:32], v[33:34], v[31:32], s[70:71]
	s_delay_alu instid0(VALU_DEP_4) | instskip(NEXT) | instid1(VALU_DEP_4)
	v_add_f64 v[37:38], v[37:38], -v[45:46]
	v_add_f64 v[47:48], v[41:42], -v[35:36]
	s_delay_alu instid0(VALU_DEP_4) | instskip(NEXT) | instid1(VALU_DEP_4)
	v_add_f64 v[27:28], v[27:28], -v[43:44]
	v_fma_f64 v[31:32], v[33:34], v[31:32], s[72:73]
	s_delay_alu instid0(VALU_DEP_3) | instskip(SKIP_1) | instid1(VALU_DEP_4)
	v_add_f64 v[49:50], v[41:42], -v[47:48]
	v_add_f64 v[39:40], v[39:40], -v[47:48]
	v_add_f64 v[43:44], v[37:38], v[27:28]
	s_delay_alu instid0(VALU_DEP_4) | instskip(NEXT) | instid1(VALU_DEP_4)
	v_fma_f64 v[31:32], v[33:34], v[31:32], s[74:75]
	v_add_f64 v[35:36], v[35:36], -v[49:50]
	s_delay_alu instid0(VALU_DEP_2) | instskip(NEXT) | instid1(VALU_DEP_2)
	v_fma_f64 v[31:32], v[33:34], v[31:32], s[76:77]
	v_add_f64 v[35:36], v[39:40], v[35:36]
	v_add_f64 v[39:40], v[43:44], -v[37:38]
	s_delay_alu instid0(VALU_DEP_3) | instskip(NEXT) | instid1(VALU_DEP_3)
	v_fma_f64 v[31:32], v[33:34], v[31:32], s[78:79]
	v_add_f64 v[35:36], v[43:44], v[35:36]
	s_delay_alu instid0(VALU_DEP_3) | instskip(SKIP_1) | instid1(VALU_DEP_4)
	v_add_f64 v[43:44], v[43:44], -v[39:40]
	v_add_f64 v[27:28], v[27:28], -v[39:40]
	v_fma_f64 v[31:32], v[33:34], v[31:32], s[80:81]
	s_delay_alu instid0(VALU_DEP_4) | instskip(NEXT) | instid1(VALU_DEP_2)
	v_add_f64 v[45:46], v[41:42], v[35:36]
	v_mul_f64 v[31:32], v[33:34], v[31:32]
	v_add_f64 v[33:34], v[37:38], -v[43:44]
	s_delay_alu instid0(VALU_DEP_3) | instskip(NEXT) | instid1(VALU_DEP_3)
	v_add_f64 v[37:38], v[45:46], -v[41:42]
	v_fma_f64 v[29:30], v[29:30], v[31:32], v[29:30]
	s_delay_alu instid0(VALU_DEP_3) | instskip(NEXT) | instid1(VALU_DEP_3)
	v_add_f64 v[27:28], v[27:28], v[33:34]
	v_add_f64 v[31:32], v[35:36], -v[37:38]
	s_delay_alu instid0(VALU_DEP_3) | instskip(NEXT) | instid1(VALU_DEP_2)
	v_add_f64 v[33:34], -v[29:30], s[82:83]
	v_add_f64 v[27:28], v[27:28], v[31:32]
	s_delay_alu instid0(VALU_DEP_2) | instskip(NEXT) | instid1(VALU_DEP_3)
	v_cndmask_b32_e64 v30, v30, v34, s2
	v_cndmask_b32_e64 v29, v29, v33, s2
	s_delay_alu instid0(VALU_DEP_1) | instskip(NEXT) | instid1(VALU_DEP_4)
	v_add_f64 v[31:32], -v[29:30], s[12:13]
	v_add_f64 v[27:28], v[45:46], v[27:28]
	v_and_b32_e32 v33, 0x54442d18, v5
	v_and_b32_e32 v5, 0x400921fb, v5
	s_delay_alu instid0(VALU_DEP_4) | instskip(SKIP_4) | instid1(VALU_DEP_2)
	v_cndmask_b32_e64 v29, v29, v31, s3
	v_cndmask_b32_e64 v10, v30, v32, s3
	v_cmp_nge_f64_e64 s3, -1.0, v[6:7]
                                        ; implicit-def: $vgpr31_vgpr32
	v_dual_cndmask_b32 v28, v28, v7 :: v_dual_cndmask_b32 v27, v27, v6
	v_cmp_eq_f64_e32 vcc_lo, 0, v[11:12]
	v_mul_f64 v[27:28], v[27:28], 0.5
	v_cndmask_b32_e32 v29, v29, v33, vcc_lo
	v_cndmask_b32_e32 v5, v10, v5, vcc_lo
	v_cmp_ngt_f64_e32 vcc_lo, -1.0, v[6:7]
                                        ; implicit-def: $vgpr33_vgpr34
	s_delay_alu instid0(VALU_DEP_4) | instskip(SKIP_1) | instid1(VALU_DEP_3)
	v_cndmask_b32_e32 v10, 0x7ff80000, v28, vcc_lo
	s_and_b32 vcc_lo, s6, s5
	v_cndmask_b32_e32 v28, v5, v9, vcc_lo
	v_cndmask_b32_e64 v5, 0, v27, s3
	v_cmp_neq_f64_e64 s3, -1.0, v[6:7]
	v_cndmask_b32_e32 v27, v29, v18, vcc_lo
	s_delay_alu instid0(VALU_DEP_2)
	v_cndmask_b32_e64 v6, 0xfff00000, v10, s3
.LBB180_45:                             ;   in Loop: Header=BB180_5 Depth=1
	s_and_not1_saveexec_b32 s104, s4
	s_cbranch_execz .LBB180_53
; %bb.46:                               ;   in Loop: Header=BB180_5 Depth=1
	v_mul_f64 v[5:6], v[31:32], v[31:32]
                                        ; implicit-def: $vgpr27_vgpr28
	s_mov_b32 s3, exec_lo
	s_delay_alu instid0(VALU_DEP_1) | instskip(NEXT) | instid1(VALU_DEP_1)
	v_fma_f64 v[29:30], v[33:34], v[33:34], v[5:6]
                                        ; implicit-def: $vgpr5_vgpr6
	v_cmpx_ge_f64_e32 s[84:85], v[29:30]
	s_xor_b32 s5, exec_lo, s3
	s_cbranch_execz .LBB180_48
; %bb.47:                               ;   in Loop: Header=BB180_5 Depth=1
	v_frexp_mant_f64_e32 v[5:6], v[29:30]
	v_max_f64 v[37:38], |v[9:10]|, |v[9:10]|
	s_mov_b32 s93, s23
	v_frexp_exp_i32_f64_e32 v7, v[29:30]
	s_mov_b32 s12, s82
	v_cmp_class_f64_e64 s6, v[11:12], 0x204
	v_cmp_class_f64_e64 s7, v[9:10], 0x204
	v_cmp_neq_f64_e64 s4, 0, v[29:30]
	v_cmp_gt_f64_e64 s3, s[22:23], v[5:6]
	s_delay_alu instid0(VALU_DEP_1) | instskip(NEXT) | instid1(VALU_DEP_1)
	v_cndmask_b32_e64 v18, 0x3ff00000, 2.0, s3
	v_mul_f64 v[5:6], v[5:6], v[17:18]
	s_delay_alu instid0(VALU_DEP_1) | instskip(SKIP_1) | instid1(VALU_DEP_2)
	v_add_f64 v[27:28], v[5:6], 1.0
	v_add_f64 v[35:36], v[5:6], -1.0
	v_rcp_f64_e32 v[31:32], v[27:28]
	s_waitcnt_depctr 0xfff
	v_fma_f64 v[33:34], -v[27:28], v[31:32], 1.0
	s_delay_alu instid0(VALU_DEP_1) | instskip(NEXT) | instid1(VALU_DEP_1)
	v_fma_f64 v[31:32], v[33:34], v[31:32], v[31:32]
	v_fma_f64 v[33:34], -v[27:28], v[31:32], 1.0
	s_delay_alu instid0(VALU_DEP_1) | instskip(SKIP_1) | instid1(VALU_DEP_2)
	v_fma_f64 v[31:32], v[33:34], v[31:32], v[31:32]
	v_max_f64 v[33:34], |v[11:12]|, |v[11:12]|
	v_mul_f64 v[39:40], v[35:36], v[31:32]
	s_delay_alu instid0(VALU_DEP_2) | instskip(SKIP_2) | instid1(VALU_DEP_4)
	v_max_f64 v[41:42], v[37:38], v[33:34]
	v_min_f64 v[33:34], v[37:38], v[33:34]
	v_add_f64 v[37:38], v[27:28], -1.0
	v_mul_f64 v[43:44], v[27:28], v[39:40]
	s_delay_alu instid0(VALU_DEP_3) | instskip(NEXT) | instid1(VALU_DEP_3)
	v_div_scale_f64 v[45:46], null, v[41:42], v[41:42], v[33:34]
	v_add_f64 v[5:6], v[5:6], -v[37:38]
	v_div_scale_f64 v[51:52], vcc_lo, v[33:34], v[41:42], v[33:34]
	s_delay_alu instid0(VALU_DEP_4) | instskip(NEXT) | instid1(VALU_DEP_4)
	v_fma_f64 v[27:28], v[39:40], v[27:28], -v[43:44]
	v_rcp_f64_e32 v[37:38], v[45:46]
	s_delay_alu instid0(VALU_DEP_1) | instskip(SKIP_3) | instid1(VALU_DEP_2)
	v_fma_f64 v[5:6], v[39:40], v[5:6], v[27:28]
	s_waitcnt_depctr 0xfff
	v_fma_f64 v[27:28], -v[45:46], v[37:38], 1.0
	v_add_f64 v[47:48], v[43:44], v[5:6]
	v_fma_f64 v[27:28], v[37:38], v[27:28], v[37:38]
	s_delay_alu instid0(VALU_DEP_2) | instskip(SKIP_1) | instid1(VALU_DEP_3)
	v_add_f64 v[37:38], v[35:36], -v[47:48]
	v_add_f64 v[43:44], v[47:48], -v[43:44]
	v_fma_f64 v[49:50], -v[45:46], v[27:28], 1.0
	s_delay_alu instid0(VALU_DEP_3) | instskip(NEXT) | instid1(VALU_DEP_3)
	v_add_f64 v[35:36], v[35:36], -v[37:38]
	v_add_f64 v[5:6], v[43:44], -v[5:6]
	s_delay_alu instid0(VALU_DEP_3) | instskip(NEXT) | instid1(VALU_DEP_3)
	v_fma_f64 v[27:28], v[27:28], v[49:50], v[27:28]
	v_add_f64 v[35:36], v[35:36], -v[47:48]
	s_delay_alu instid0(VALU_DEP_2) | instskip(NEXT) | instid1(VALU_DEP_2)
	v_mul_f64 v[43:44], v[51:52], v[27:28]
	v_add_f64 v[5:6], v[5:6], v[35:36]
	s_delay_alu instid0(VALU_DEP_2) | instskip(NEXT) | instid1(VALU_DEP_2)
	v_fma_f64 v[35:36], -v[45:46], v[43:44], v[51:52]
	v_add_f64 v[5:6], v[37:38], v[5:6]
	s_delay_alu instid0(VALU_DEP_2)
	v_div_fmas_f64 v[27:28], v[35:36], v[27:28], v[43:44]
	v_subrev_co_ci_u32_e64 v7, vcc_lo, 0, v7, s3
	v_cmp_eq_f64_e64 s3, 0, v[11:12]
	v_cmp_gt_i32_e32 vcc_lo, 0, v10
	v_cndmask_b32_e32 v9, 0x3fe921fb, v56, vcc_lo
	v_cndmask_b32_e32 v18, 0x54442d18, v55, vcc_lo
	s_delay_alu instid0(VALU_DEP_2) | instskip(SKIP_2) | instid1(VALU_DEP_2)
	v_bfi_b32 v9, 0x7fffffff, v9, v12
	v_mul_f64 v[5:6], v[31:32], v[5:6]
	v_div_fixup_f64 v[27:28], v[27:28], v[41:42], v[33:34]
	v_add_f64 v[31:32], v[39:40], v[5:6]
	s_delay_alu instid0(VALU_DEP_2) | instskip(NEXT) | instid1(VALU_DEP_2)
	v_mul_f64 v[33:34], v[27:28], v[27:28]
	v_mul_f64 v[35:36], v[31:32], v[31:32]
	s_delay_alu instid0(VALU_DEP_2) | instskip(NEXT) | instid1(VALU_DEP_2)
	v_fma_f64 v[37:38], v[33:34], s[44:45], s[42:43]
	v_fma_f64 v[41:42], v[35:36], s[26:27], s[24:25]
	v_mul_f64 v[43:44], v[31:32], v[35:36]
	s_delay_alu instid0(VALU_DEP_3) | instskip(NEXT) | instid1(VALU_DEP_3)
	v_fma_f64 v[37:38], v[33:34], v[37:38], s[46:47]
	v_fma_f64 v[41:42], v[35:36], v[41:42], s[28:29]
	s_delay_alu instid0(VALU_DEP_2) | instskip(NEXT) | instid1(VALU_DEP_2)
	v_fma_f64 v[37:38], v[33:34], v[37:38], s[48:49]
	v_fma_f64 v[41:42], v[35:36], v[41:42], s[30:31]
	s_delay_alu instid0(VALU_DEP_2) | instskip(NEXT) | instid1(VALU_DEP_2)
	;; [unrolled: 3-line block ×4, first 2 shown]
	v_fma_f64 v[37:38], v[33:34], v[37:38], s[54:55]
	v_fma_f64 v[35:36], v[35:36], v[41:42], s[92:93]
	v_ldexp_f64 v[41:42], v[31:32], 1
	v_add_f64 v[31:32], v[31:32], -v[39:40]
	s_delay_alu instid0(VALU_DEP_4) | instskip(NEXT) | instid1(VALU_DEP_4)
	v_fma_f64 v[37:38], v[33:34], v[37:38], s[56:57]
	v_mul_f64 v[35:36], v[43:44], v[35:36]
	v_cvt_f64_i32_e32 v[43:44], v7
	s_delay_alu instid0(VALU_DEP_4)
	v_add_f64 v[5:6], v[5:6], -v[31:32]
	v_ashrrev_i32_e32 v7, 31, v10
	v_fma_f64 v[37:38], v[33:34], v[37:38], s[58:59]
	v_add_f64 v[39:40], v[41:42], v[35:36]
	v_mul_f64 v[45:46], v[43:44], s[38:39]
	v_ldexp_f64 v[5:6], v[5:6], 1
	s_delay_alu instid0(VALU_DEP_4) | instskip(NEXT) | instid1(VALU_DEP_4)
	v_fma_f64 v[37:38], v[33:34], v[37:38], s[60:61]
	v_add_f64 v[31:32], v[39:40], -v[41:42]
	s_delay_alu instid0(VALU_DEP_4) | instskip(NEXT) | instid1(VALU_DEP_3)
	v_fma_f64 v[41:42], v[43:44], s[38:39], -v[45:46]
	v_fma_f64 v[37:38], v[33:34], v[37:38], s[62:63]
	s_delay_alu instid0(VALU_DEP_3) | instskip(NEXT) | instid1(VALU_DEP_2)
	v_add_f64 v[31:32], v[35:36], -v[31:32]
	v_fma_f64 v[35:36], v[33:34], v[37:38], s[64:65]
	s_delay_alu instid0(VALU_DEP_4) | instskip(NEXT) | instid1(VALU_DEP_3)
	v_fma_f64 v[37:38], v[43:44], s[40:41], v[41:42]
	v_add_f64 v[5:6], v[5:6], v[31:32]
	s_delay_alu instid0(VALU_DEP_3) | instskip(NEXT) | instid1(VALU_DEP_3)
	v_fma_f64 v[31:32], v[33:34], v[35:36], s[66:67]
	v_add_f64 v[35:36], v[45:46], v[37:38]
	s_delay_alu instid0(VALU_DEP_3) | instskip(NEXT) | instid1(VALU_DEP_3)
	v_add_f64 v[41:42], v[39:40], v[5:6]
	v_fma_f64 v[31:32], v[33:34], v[31:32], s[68:69]
	s_delay_alu instid0(VALU_DEP_3) | instskip(NEXT) | instid1(VALU_DEP_3)
	v_add_f64 v[45:46], v[35:36], -v[45:46]
	v_add_f64 v[43:44], v[35:36], v[41:42]
	v_add_f64 v[39:40], v[41:42], -v[39:40]
	s_delay_alu instid0(VALU_DEP_4) | instskip(NEXT) | instid1(VALU_DEP_4)
	v_fma_f64 v[31:32], v[33:34], v[31:32], s[70:71]
	v_add_f64 v[37:38], v[37:38], -v[45:46]
	s_delay_alu instid0(VALU_DEP_4) | instskip(NEXT) | instid1(VALU_DEP_4)
	v_add_f64 v[47:48], v[43:44], -v[35:36]
	v_add_f64 v[5:6], v[5:6], -v[39:40]
	s_delay_alu instid0(VALU_DEP_4) | instskip(NEXT) | instid1(VALU_DEP_3)
	v_fma_f64 v[31:32], v[33:34], v[31:32], s[72:73]
	v_add_f64 v[49:50], v[43:44], -v[47:48]
	v_add_f64 v[39:40], v[41:42], -v[47:48]
	s_delay_alu instid0(VALU_DEP_4) | instskip(NEXT) | instid1(VALU_DEP_4)
	v_add_f64 v[41:42], v[37:38], v[5:6]
	v_fma_f64 v[31:32], v[33:34], v[31:32], s[74:75]
	s_delay_alu instid0(VALU_DEP_4) | instskip(NEXT) | instid1(VALU_DEP_2)
	v_add_f64 v[35:36], v[35:36], -v[49:50]
	v_fma_f64 v[31:32], v[33:34], v[31:32], s[76:77]
	s_delay_alu instid0(VALU_DEP_2) | instskip(SKIP_1) | instid1(VALU_DEP_3)
	v_add_f64 v[35:36], v[39:40], v[35:36]
	v_add_f64 v[39:40], v[41:42], -v[37:38]
	v_fma_f64 v[31:32], v[33:34], v[31:32], s[78:79]
	s_delay_alu instid0(VALU_DEP_3) | instskip(NEXT) | instid1(VALU_DEP_3)
	v_add_f64 v[35:36], v[41:42], v[35:36]
	v_add_f64 v[41:42], v[41:42], -v[39:40]
	v_add_f64 v[5:6], v[5:6], -v[39:40]
	s_delay_alu instid0(VALU_DEP_4) | instskip(NEXT) | instid1(VALU_DEP_4)
	v_fma_f64 v[31:32], v[33:34], v[31:32], s[80:81]
	v_add_f64 v[45:46], v[43:44], v[35:36]
	s_delay_alu instid0(VALU_DEP_2) | instskip(SKIP_1) | instid1(VALU_DEP_3)
	v_mul_f64 v[31:32], v[33:34], v[31:32]
	v_add_f64 v[33:34], v[37:38], -v[41:42]
	v_add_f64 v[37:38], v[45:46], -v[43:44]
	s_delay_alu instid0(VALU_DEP_3) | instskip(NEXT) | instid1(VALU_DEP_3)
	v_fma_f64 v[27:28], v[27:28], v[31:32], v[27:28]
	v_add_f64 v[5:6], v[5:6], v[33:34]
	s_delay_alu instid0(VALU_DEP_3) | instskip(NEXT) | instid1(VALU_DEP_3)
	v_add_f64 v[31:32], v[35:36], -v[37:38]
	v_add_f64 v[33:34], -v[27:28], s[82:83]
	s_delay_alu instid0(VALU_DEP_2) | instskip(NEXT) | instid1(VALU_DEP_2)
	v_add_f64 v[5:6], v[5:6], v[31:32]
	v_cndmask_b32_e64 v28, v28, v34, s2
	s_delay_alu instid0(VALU_DEP_3) | instskip(NEXT) | instid1(VALU_DEP_1)
	v_cndmask_b32_e64 v27, v27, v33, s2
	v_add_f64 v[31:32], -v[27:28], s[12:13]
	v_and_b32_e32 v33, 0x54442d18, v7
	v_and_b32_e32 v7, 0x400921fb, v7
	v_add_f64 v[5:6], v[45:46], v[5:6]
	s_delay_alu instid0(VALU_DEP_4) | instskip(SKIP_1) | instid1(VALU_DEP_1)
	v_dual_cndmask_b32 v10, v28, v32 :: v_dual_cndmask_b32 v27, v27, v31
	s_and_b32 vcc_lo, s7, s6
                                        ; implicit-def: $vgpr31_vgpr32
	v_cndmask_b32_e64 v7, v10, v7, s3
	s_delay_alu instid0(VALU_DEP_2) | instskip(NEXT) | instid1(VALU_DEP_2)
	v_cndmask_b32_e64 v27, v27, v33, s3
                                        ; implicit-def: $vgpr33_vgpr34
	v_cndmask_b32_e32 v28, v7, v9, vcc_lo
	s_delay_alu instid0(VALU_DEP_2) | instskip(SKIP_1) | instid1(VALU_DEP_1)
	v_cndmask_b32_e32 v27, v27, v18, vcc_lo
	v_mul_f64 v[5:6], v[5:6], 0.5
	v_cndmask_b32_e64 v6, 0xfff00000, v6, s4
	s_delay_alu instid0(VALU_DEP_2)
	v_cndmask_b32_e64 v5, 0, v5, s4
.LBB180_48:                             ;   in Loop: Header=BB180_5 Depth=1
	s_and_not1_saveexec_b32 vcc_hi, s5
	s_cbranch_execz .LBB180_52
; %bb.49:                               ;   in Loop: Header=BB180_5 Depth=1
	v_dual_mov_b32 v27, v17 :: v_dual_and_b32 v18, 0x7ffffff8, v34
	v_and_b32_e32 v28, 0x7ffffff8, v32
	s_mov_b32 s93, 0
	s_delay_alu instid0(VALU_DEP_2) | instskip(SKIP_1) | instid1(VALU_DEP_3)
	v_add_f64 v[5:6], v[33:34], -v[17:18]
	v_mov_b32_e32 v33, v17
	v_add_f64 v[29:30], v[31:32], -v[27:28]
	v_mov_b32_e32 v35, v17
	v_add_f64 v[37:38], v[17:18], v[17:18]
	v_add_f64 v[45:46], v[27:28], v[27:28]
	v_mul_f64 v[31:32], v[27:28], v[27:28]
	v_and_b32_e32 v34, -8, v6
	v_and_b32_e32 v36, -8, v30
	s_delay_alu instid0(VALU_DEP_2) | instskip(SKIP_1) | instid1(VALU_DEP_3)
	v_add_f64 v[47:48], v[5:6], -v[33:34]
	v_add_f64 v[51:52], v[33:34], v[33:34]
	v_add_f64 v[49:50], v[29:30], -v[35:36]
	v_add_f64 v[53:54], v[35:36], v[35:36]
	v_mul_f64 v[5:6], v[17:18], v[17:18]
	v_mul_f64 v[43:44], v[37:38], v[33:34]
	;; [unrolled: 1-line block ×11, first 2 shown]
.LBB180_50:                             ;   Parent Loop BB180_5 Depth=1
                                        ; =>  This Inner Loop Header: Depth=2
	v_cmp_nlt_f64_e32 vcc_lo, v[5:6], v[31:32]
	v_dual_cndmask_b32 v50, v6, v32 :: v_dual_cndmask_b32 v49, v5, v31
	v_dual_cndmask_b32 v6, v32, v6 :: v_dual_cndmask_b32 v5, v31, v5
	s_delay_alu instid0(VALU_DEP_2) | instskip(NEXT) | instid1(VALU_DEP_1)
	v_cmp_nlt_f64_e64 s3, v[49:50], v[43:44]
	v_cndmask_b32_e64 v52, v50, v44, s3
	v_cndmask_b32_e64 v51, v49, v43, s3
	;; [unrolled: 1-line block ×4, first 2 shown]
	s_and_b32 s3, vcc_lo, s3
	s_delay_alu instid0(VALU_DEP_3) | instskip(NEXT) | instid1(VALU_DEP_1)
	v_cmp_nlt_f64_e64 s4, v[51:52], v[29:30]
	v_cndmask_b32_e64 v50, v52, v30, s4
	v_cndmask_b32_e64 v49, v51, v29, s4
	v_cndmask_b32_e64 v44, v30, v52, s4
	v_cndmask_b32_e64 v43, v29, v51, s4
	s_delay_alu instid0(VALU_DEP_3) | instskip(NEXT) | instid1(VALU_DEP_1)
	v_cmp_nlt_f64_e64 s5, v[49:50], v[41:42]
	v_cndmask_b32_e64 v52, v50, v42, s5
	v_cndmask_b32_e64 v51, v49, v41, s5
	;; [unrolled: 1-line block ×4, first 2 shown]
	s_and_b32 s4, s4, s5
	s_delay_alu instid0(VALU_DEP_3) | instskip(NEXT) | instid1(VALU_DEP_1)
	v_cmp_nlt_f64_e64 s6, v[51:52], v[27:28]
	v_cndmask_b32_e64 v50, v52, v28, s6
	v_cndmask_b32_e64 v49, v51, v27, s6
	;; [unrolled: 1-line block ×4, first 2 shown]
	s_delay_alu instid0(VALU_DEP_3) | instskip(NEXT) | instid1(VALU_DEP_1)
	v_cmp_nlt_f64_e64 s7, v[49:50], v[39:40]
	v_cndmask_b32_e64 v52, v50, v40, s7
	v_cndmask_b32_e64 v51, v49, v39, s7
	v_cndmask_b32_e64 v28, v40, v50, s7
	v_cndmask_b32_e64 v27, v39, v49, s7
	s_and_b32 s5, s6, s7
	s_delay_alu instid0(VALU_DEP_3) | instskip(NEXT) | instid1(VALU_DEP_1)
	v_cmp_nlt_f64_e64 s8, v[51:52], v[37:38]
	v_cndmask_b32_e64 v50, v52, v38, s8
	v_cndmask_b32_e64 v49, v51, v37, s8
	v_cndmask_b32_e64 v40, v38, v52, s8
	v_cndmask_b32_e64 v39, v37, v51, s8
	s_and_b32 s5, s5, s8
	;; [unrolled: 7-line block ×4, first 2 shown]
	s_delay_alu instid0(VALU_DEP_3) | instskip(NEXT) | instid1(VALU_DEP_1)
	v_cmp_nlt_f64_e64 s11, v[49:50], v[45:46]
	v_cndmask_b32_e64 v52, v50, v46, s11
	v_cndmask_b32_e64 v51, v49, v45, s11
	s_and_b32 s5, s5, s11
	v_cndmask_b32_e64 v34, v46, v50, s11
	v_cndmask_b32_e64 v33, v45, v49, s11
	s_delay_alu instid0(VALU_DEP_3) | instskip(NEXT) | instid1(VALU_DEP_1)
	v_cmp_nlt_f64_e64 s12, v[51:52], v[47:48]
	v_cndmask_b32_e64 v50, v52, v48, s12
	v_cndmask_b32_e64 v49, v51, v47, s12
	s_and_b32 s5, s5, s12
	v_cndmask_b32_e64 v46, v48, v52, s12
	s_and_b32 s4, s5, s4
	;; [unrolled: 2-line block ×3, first 2 shown]
	v_dual_mov_b32 v47, v49 :: v_dual_mov_b32 v48, v50
	s_and_b32 s3, exec_lo, s3
	s_delay_alu instid0(SALU_CYCLE_1) | instskip(NEXT) | instid1(SALU_CYCLE_1)
	s_or_b32 s93, s3, s93
	s_and_not1_b32 exec_lo, exec_lo, s93
	s_cbranch_execnz .LBB180_50
; %bb.51:                               ;   in Loop: Header=BB180_5 Depth=1
	s_or_b32 exec_lo, exec_lo, s93
	v_add_f64 v[5:6], v[5:6], -1.0
	s_mov_b32 s93, s23
	v_cmp_gt_i32_e64 s3, 0, v10
	s_mov_b32 s12, s82
	v_cmp_class_f64_e64 s5, v[9:10], 0x204
	v_cmp_class_f64_e64 s4, v[11:12], 0x204
	s_delay_alu instid0(VALU_DEP_4) | instskip(NEXT) | instid1(VALU_DEP_1)
	v_add_f64 v[5:6], v[5:6], v[31:32]
	v_add_f64 v[5:6], v[5:6], v[43:44]
	s_delay_alu instid0(VALU_DEP_1) | instskip(NEXT) | instid1(VALU_DEP_1)
	v_add_f64 v[5:6], v[5:6], v[29:30]
	v_add_f64 v[5:6], v[5:6], v[41:42]
	s_delay_alu instid0(VALU_DEP_1) | instskip(NEXT) | instid1(VALU_DEP_1)
	;; [unrolled: 3-line block ×5, first 2 shown]
	v_add_f64 v[6:7], v[49:50], v[5:6]
	v_add_f64 v[27:28], v[6:7], 1.0
	s_delay_alu instid0(VALU_DEP_1) | instskip(SKIP_2) | instid1(VALU_DEP_3)
	v_frexp_mant_f64_e32 v[29:30], v[27:28]
	v_frexp_exp_i32_f64_e32 v5, v[27:28]
	v_add_f64 v[31:32], v[27:28], -1.0
	v_cmp_gt_f64_e32 vcc_lo, s[22:23], v[29:30]
	s_delay_alu instid0(VALU_DEP_2) | instskip(SKIP_2) | instid1(VALU_DEP_3)
	v_add_f64 v[29:30], v[31:32], -v[27:28]
	v_add_f64 v[31:32], v[6:7], -v[31:32]
	v_subrev_co_ci_u32_e32 v5, vcc_lo, 0, v5, vcc_lo
	v_add_f64 v[29:30], v[29:30], 1.0
	s_delay_alu instid0(VALU_DEP_2) | instskip(NEXT) | instid1(VALU_DEP_1)
	v_sub_nc_u32_e32 v18, 0, v5
	v_ldexp_f64 v[27:28], v[27:28], v18
	s_delay_alu instid0(VALU_DEP_3) | instskip(NEXT) | instid1(VALU_DEP_2)
	v_add_f64 v[29:30], v[31:32], v[29:30]
	v_add_f64 v[33:34], v[27:28], 1.0
	v_add_f64 v[39:40], v[27:28], -1.0
	s_delay_alu instid0(VALU_DEP_3) | instskip(SKIP_1) | instid1(VALU_DEP_4)
	v_ldexp_f64 v[29:30], v[29:30], v18
	v_cndmask_b32_e64 v18, 0x54442d18, v55, s3
	v_add_f64 v[31:32], v[33:34], -1.0
	s_delay_alu instid0(VALU_DEP_4) | instskip(NEXT) | instid1(VALU_DEP_2)
	v_add_f64 v[41:42], v[39:40], 1.0
	v_add_f64 v[31:32], v[27:28], -v[31:32]
	s_delay_alu instid0(VALU_DEP_2) | instskip(NEXT) | instid1(VALU_DEP_2)
	v_add_f64 v[27:28], v[27:28], -v[41:42]
	v_add_f64 v[31:32], v[29:30], v[31:32]
	s_delay_alu instid0(VALU_DEP_2) | instskip(NEXT) | instid1(VALU_DEP_2)
	v_add_f64 v[27:28], v[29:30], v[27:28]
	v_add_f64 v[35:36], v[33:34], v[31:32]
	s_delay_alu instid0(VALU_DEP_2) | instskip(NEXT) | instid1(VALU_DEP_2)
	v_add_f64 v[41:42], v[39:40], v[27:28]
	v_rcp_f64_e32 v[37:38], v[35:36]
	v_add_f64 v[33:34], v[35:36], -v[33:34]
	s_delay_alu instid0(VALU_DEP_2) | instskip(NEXT) | instid1(VALU_DEP_2)
	v_add_f64 v[39:40], v[41:42], -v[39:40]
	v_add_f64 v[31:32], v[31:32], -v[33:34]
	s_waitcnt_depctr 0xfff
	v_fma_f64 v[43:44], -v[35:36], v[37:38], 1.0
	v_add_f64 v[27:28], v[27:28], -v[39:40]
	s_delay_alu instid0(VALU_DEP_2) | instskip(NEXT) | instid1(VALU_DEP_1)
	v_fma_f64 v[37:38], v[43:44], v[37:38], v[37:38]
	v_fma_f64 v[29:30], -v[35:36], v[37:38], 1.0
	s_delay_alu instid0(VALU_DEP_1) | instskip(NEXT) | instid1(VALU_DEP_1)
	v_fma_f64 v[29:30], v[29:30], v[37:38], v[37:38]
	v_mul_f64 v[37:38], v[41:42], v[29:30]
	s_delay_alu instid0(VALU_DEP_1) | instskip(NEXT) | instid1(VALU_DEP_1)
	v_mul_f64 v[43:44], v[35:36], v[37:38]
	v_fma_f64 v[33:34], v[37:38], v[35:36], -v[43:44]
	s_delay_alu instid0(VALU_DEP_1) | instskip(NEXT) | instid1(VALU_DEP_1)
	v_fma_f64 v[33:34], v[37:38], v[31:32], v[33:34]
	v_add_f64 v[45:46], v[43:44], v[33:34]
	s_delay_alu instid0(VALU_DEP_1) | instskip(SKIP_2) | instid1(VALU_DEP_3)
	v_add_f64 v[47:48], v[41:42], -v[45:46]
	v_add_f64 v[39:40], v[45:46], -v[43:44]
	v_max_f64 v[43:44], |v[11:12]|, |v[11:12]|
	v_add_f64 v[41:42], v[41:42], -v[47:48]
	s_delay_alu instid0(VALU_DEP_3) | instskip(NEXT) | instid1(VALU_DEP_2)
	v_add_f64 v[33:34], v[39:40], -v[33:34]
	v_add_f64 v[41:42], v[41:42], -v[45:46]
	v_max_f64 v[45:46], |v[9:10]|, |v[9:10]|
	v_cndmask_b32_e64 v9, 0x3fe921fb, v56, s3
	s_delay_alu instid0(VALU_DEP_1) | instskip(NEXT) | instid1(VALU_DEP_4)
	v_bfi_b32 v9, 0x7fffffff, v9, v12
	v_add_f64 v[27:28], v[27:28], v[41:42]
	s_delay_alu instid0(VALU_DEP_4) | instskip(SKIP_1) | instid1(VALU_DEP_3)
	v_max_f64 v[49:50], v[45:46], v[43:44]
	v_min_f64 v[43:44], v[45:46], v[43:44]
	v_add_f64 v[27:28], v[33:34], v[27:28]
	s_delay_alu instid0(VALU_DEP_1) | instskip(NEXT) | instid1(VALU_DEP_1)
	v_add_f64 v[33:34], v[47:48], v[27:28]
	v_mul_f64 v[39:40], v[29:30], v[33:34]
	v_add_f64 v[47:48], v[47:48], -v[33:34]
	s_delay_alu instid0(VALU_DEP_2) | instskip(NEXT) | instid1(VALU_DEP_2)
	v_mul_f64 v[41:42], v[35:36], v[39:40]
	v_add_f64 v[27:28], v[27:28], v[47:48]
	s_delay_alu instid0(VALU_DEP_2) | instskip(NEXT) | instid1(VALU_DEP_1)
	v_fma_f64 v[35:36], v[39:40], v[35:36], -v[41:42]
	v_fma_f64 v[31:32], v[39:40], v[31:32], v[35:36]
	v_div_scale_f64 v[35:36], null, v[49:50], v[49:50], v[43:44]
	s_delay_alu instid0(VALU_DEP_2) | instskip(NEXT) | instid1(VALU_DEP_2)
	v_add_f64 v[45:46], v[41:42], v[31:32]
	v_rcp_f64_e32 v[51:52], v[35:36]
	s_delay_alu instid0(VALU_DEP_1)
	v_add_f64 v[53:54], v[33:34], -v[45:46]
	v_add_f64 v[41:42], v[45:46], -v[41:42]
	s_waitcnt_depctr 0xfff
	v_fma_f64 v[57:58], -v[35:36], v[51:52], 1.0
	v_add_f64 v[33:34], v[33:34], -v[53:54]
	v_add_f64 v[31:32], v[41:42], -v[31:32]
	s_delay_alu instid0(VALU_DEP_3) | instskip(NEXT) | instid1(VALU_DEP_3)
	v_fma_f64 v[51:52], v[51:52], v[57:58], v[51:52]
	v_add_f64 v[33:34], v[33:34], -v[45:46]
	s_delay_alu instid0(VALU_DEP_2) | instskip(NEXT) | instid1(VALU_DEP_2)
	v_fma_f64 v[45:46], -v[35:36], v[51:52], 1.0
	v_add_f64 v[27:28], v[27:28], v[33:34]
	v_div_scale_f64 v[33:34], vcc_lo, v[43:44], v[49:50], v[43:44]
	s_delay_alu instid0(VALU_DEP_3) | instskip(SKIP_1) | instid1(VALU_DEP_4)
	v_fma_f64 v[41:42], v[51:52], v[45:46], v[51:52]
	v_add_f64 v[45:46], v[37:38], v[39:40]
	v_add_f64 v[27:28], v[31:32], v[27:28]
	s_delay_alu instid0(VALU_DEP_3) | instskip(NEXT) | instid1(VALU_DEP_3)
	v_mul_f64 v[31:32], v[33:34], v[41:42]
	v_add_f64 v[37:38], v[45:46], -v[37:38]
	s_delay_alu instid0(VALU_DEP_3) | instskip(NEXT) | instid1(VALU_DEP_3)
	v_add_f64 v[27:28], v[53:54], v[27:28]
	v_fma_f64 v[33:34], -v[35:36], v[31:32], v[33:34]
	s_delay_alu instid0(VALU_DEP_3) | instskip(NEXT) | instid1(VALU_DEP_3)
	v_add_f64 v[35:36], v[39:40], -v[37:38]
	v_mul_f64 v[27:28], v[29:30], v[27:28]
	s_delay_alu instid0(VALU_DEP_3) | instskip(SKIP_1) | instid1(VALU_DEP_3)
	v_div_fmas_f64 v[29:30], v[33:34], v[41:42], v[31:32]
	v_cmp_eq_f64_e32 vcc_lo, 0x7ff00000, v[6:7]
	v_add_f64 v[27:28], v[35:36], v[27:28]
	s_delay_alu instid0(VALU_DEP_3) | instskip(NEXT) | instid1(VALU_DEP_2)
	v_div_fixup_f64 v[29:30], v[29:30], v[49:50], v[43:44]
	v_add_f64 v[31:32], v[45:46], v[27:28]
	s_delay_alu instid0(VALU_DEP_2) | instskip(NEXT) | instid1(VALU_DEP_2)
	v_mul_f64 v[33:34], v[29:30], v[29:30]
	v_mul_f64 v[35:36], v[31:32], v[31:32]
	s_delay_alu instid0(VALU_DEP_2) | instskip(NEXT) | instid1(VALU_DEP_2)
	v_fma_f64 v[37:38], v[33:34], s[44:45], s[42:43]
	v_fma_f64 v[39:40], v[35:36], s[26:27], s[24:25]
	v_mul_f64 v[41:42], v[31:32], v[35:36]
	s_delay_alu instid0(VALU_DEP_3) | instskip(NEXT) | instid1(VALU_DEP_3)
	v_fma_f64 v[37:38], v[33:34], v[37:38], s[46:47]
	v_fma_f64 v[39:40], v[35:36], v[39:40], s[28:29]
	s_delay_alu instid0(VALU_DEP_2) | instskip(NEXT) | instid1(VALU_DEP_2)
	v_fma_f64 v[37:38], v[33:34], v[37:38], s[48:49]
	v_fma_f64 v[39:40], v[35:36], v[39:40], s[30:31]
	s_delay_alu instid0(VALU_DEP_2) | instskip(NEXT) | instid1(VALU_DEP_2)
	;; [unrolled: 3-line block ×4, first 2 shown]
	v_fma_f64 v[37:38], v[33:34], v[37:38], s[54:55]
	v_fma_f64 v[35:36], v[35:36], v[39:40], s[92:93]
	v_ldexp_f64 v[39:40], v[31:32], 1
	v_add_f64 v[31:32], v[31:32], -v[45:46]
	s_delay_alu instid0(VALU_DEP_4) | instskip(NEXT) | instid1(VALU_DEP_4)
	v_fma_f64 v[37:38], v[33:34], v[37:38], s[56:57]
	v_mul_f64 v[35:36], v[41:42], v[35:36]
	v_cvt_f64_i32_e32 v[41:42], v5
	s_delay_alu instid0(VALU_DEP_4) | instskip(NEXT) | instid1(VALU_DEP_4)
	v_add_f64 v[27:28], v[27:28], -v[31:32]
	v_fma_f64 v[37:38], v[33:34], v[37:38], s[58:59]
	v_ashrrev_i32_e32 v5, 31, v10
	v_add_f64 v[43:44], v[39:40], v[35:36]
	v_mul_f64 v[45:46], v[41:42], s[38:39]
	v_ldexp_f64 v[27:28], v[27:28], 1
	v_fma_f64 v[37:38], v[33:34], v[37:38], s[60:61]
	s_delay_alu instid0(VALU_DEP_4) | instskip(NEXT) | instid1(VALU_DEP_4)
	v_add_f64 v[31:32], v[43:44], -v[39:40]
	v_fma_f64 v[39:40], v[41:42], s[38:39], -v[45:46]
	s_delay_alu instid0(VALU_DEP_3) | instskip(NEXT) | instid1(VALU_DEP_3)
	v_fma_f64 v[37:38], v[33:34], v[37:38], s[62:63]
	v_add_f64 v[31:32], v[35:36], -v[31:32]
	s_delay_alu instid0(VALU_DEP_2) | instskip(NEXT) | instid1(VALU_DEP_4)
	v_fma_f64 v[35:36], v[33:34], v[37:38], s[64:65]
	v_fma_f64 v[37:38], v[41:42], s[40:41], v[39:40]
	s_delay_alu instid0(VALU_DEP_3) | instskip(NEXT) | instid1(VALU_DEP_3)
	v_add_f64 v[27:28], v[27:28], v[31:32]
	v_fma_f64 v[31:32], v[33:34], v[35:36], s[66:67]
	s_delay_alu instid0(VALU_DEP_3) | instskip(NEXT) | instid1(VALU_DEP_3)
	v_add_f64 v[35:36], v[45:46], v[37:38]
	v_add_f64 v[39:40], v[43:44], v[27:28]
	s_delay_alu instid0(VALU_DEP_3) | instskip(NEXT) | instid1(VALU_DEP_3)
	v_fma_f64 v[31:32], v[33:34], v[31:32], s[68:69]
	v_add_f64 v[45:46], v[35:36], -v[45:46]
	s_delay_alu instid0(VALU_DEP_3) | instskip(SKIP_1) | instid1(VALU_DEP_4)
	v_add_f64 v[41:42], v[35:36], v[39:40]
	v_add_f64 v[43:44], v[39:40], -v[43:44]
	v_fma_f64 v[31:32], v[33:34], v[31:32], s[70:71]
	s_delay_alu instid0(VALU_DEP_4) | instskip(NEXT) | instid1(VALU_DEP_4)
	v_add_f64 v[37:38], v[37:38], -v[45:46]
	v_add_f64 v[47:48], v[41:42], -v[35:36]
	s_delay_alu instid0(VALU_DEP_4) | instskip(NEXT) | instid1(VALU_DEP_4)
	v_add_f64 v[27:28], v[27:28], -v[43:44]
	v_fma_f64 v[31:32], v[33:34], v[31:32], s[72:73]
	s_delay_alu instid0(VALU_DEP_3) | instskip(SKIP_1) | instid1(VALU_DEP_4)
	v_add_f64 v[49:50], v[41:42], -v[47:48]
	v_add_f64 v[39:40], v[39:40], -v[47:48]
	v_add_f64 v[43:44], v[37:38], v[27:28]
	s_delay_alu instid0(VALU_DEP_4) | instskip(NEXT) | instid1(VALU_DEP_4)
	v_fma_f64 v[31:32], v[33:34], v[31:32], s[74:75]
	v_add_f64 v[35:36], v[35:36], -v[49:50]
	s_delay_alu instid0(VALU_DEP_2) | instskip(NEXT) | instid1(VALU_DEP_2)
	v_fma_f64 v[31:32], v[33:34], v[31:32], s[76:77]
	v_add_f64 v[35:36], v[39:40], v[35:36]
	v_add_f64 v[39:40], v[43:44], -v[37:38]
	s_delay_alu instid0(VALU_DEP_3) | instskip(NEXT) | instid1(VALU_DEP_3)
	v_fma_f64 v[31:32], v[33:34], v[31:32], s[78:79]
	v_add_f64 v[35:36], v[43:44], v[35:36]
	s_delay_alu instid0(VALU_DEP_3) | instskip(SKIP_1) | instid1(VALU_DEP_4)
	v_add_f64 v[43:44], v[43:44], -v[39:40]
	v_add_f64 v[27:28], v[27:28], -v[39:40]
	v_fma_f64 v[31:32], v[33:34], v[31:32], s[80:81]
	s_delay_alu instid0(VALU_DEP_4) | instskip(NEXT) | instid1(VALU_DEP_2)
	v_add_f64 v[45:46], v[41:42], v[35:36]
	v_mul_f64 v[31:32], v[33:34], v[31:32]
	v_add_f64 v[33:34], v[37:38], -v[43:44]
	s_delay_alu instid0(VALU_DEP_3) | instskip(NEXT) | instid1(VALU_DEP_3)
	v_add_f64 v[37:38], v[45:46], -v[41:42]
	v_fma_f64 v[29:30], v[29:30], v[31:32], v[29:30]
	s_delay_alu instid0(VALU_DEP_3) | instskip(NEXT) | instid1(VALU_DEP_3)
	v_add_f64 v[27:28], v[27:28], v[33:34]
	v_add_f64 v[31:32], v[35:36], -v[37:38]
	s_delay_alu instid0(VALU_DEP_3) | instskip(NEXT) | instid1(VALU_DEP_2)
	v_add_f64 v[33:34], -v[29:30], s[82:83]
	v_add_f64 v[27:28], v[27:28], v[31:32]
	s_delay_alu instid0(VALU_DEP_2) | instskip(NEXT) | instid1(VALU_DEP_3)
	v_cndmask_b32_e64 v30, v30, v34, s2
	v_cndmask_b32_e64 v29, v29, v33, s2
	s_delay_alu instid0(VALU_DEP_1) | instskip(NEXT) | instid1(VALU_DEP_4)
	v_add_f64 v[31:32], -v[29:30], s[12:13]
	v_add_f64 v[27:28], v[45:46], v[27:28]
	v_and_b32_e32 v33, 0x54442d18, v5
	v_and_b32_e32 v5, 0x400921fb, v5
	s_delay_alu instid0(VALU_DEP_4) | instskip(SKIP_4) | instid1(VALU_DEP_2)
	v_cndmask_b32_e64 v29, v29, v31, s3
	v_cndmask_b32_e64 v10, v30, v32, s3
	v_cmp_nge_f64_e64 s3, -1.0, v[6:7]
	v_dual_cndmask_b32 v28, v28, v7 :: v_dual_cndmask_b32 v27, v27, v6
	v_cmp_eq_f64_e32 vcc_lo, 0, v[11:12]
	v_mul_f64 v[27:28], v[27:28], 0.5
	v_cndmask_b32_e32 v29, v29, v33, vcc_lo
	v_cndmask_b32_e32 v5, v10, v5, vcc_lo
	v_cmp_ngt_f64_e32 vcc_lo, -1.0, v[6:7]
	s_delay_alu instid0(VALU_DEP_4) | instskip(SKIP_1) | instid1(VALU_DEP_3)
	v_cndmask_b32_e32 v10, 0x7ff80000, v28, vcc_lo
	s_and_b32 vcc_lo, s5, s4
	v_cndmask_b32_e32 v28, v5, v9, vcc_lo
	v_cndmask_b32_e64 v5, 0, v27, s3
	v_cmp_neq_f64_e64 s3, -1.0, v[6:7]
	v_cndmask_b32_e32 v27, v29, v18, vcc_lo
	s_delay_alu instid0(VALU_DEP_2)
	v_cndmask_b32_e64 v6, 0xfff00000, v10, s3
.LBB180_52:                             ;   in Loop: Header=BB180_5 Depth=1
	s_or_b32 exec_lo, exec_lo, vcc_hi
.LBB180_53:                             ;   in Loop: Header=BB180_5 Depth=1
	s_delay_alu instid0(SALU_CYCLE_1)
	s_or_b32 exec_lo, exec_lo, s104
.LBB180_54:                             ;   in Loop: Header=BB180_5 Depth=1
	s_and_not1_saveexec_b32 s5, s103
	s_cbranch_execz .LBB180_56
; %bb.55:                               ;   in Loop: Header=BB180_5 Depth=1
	v_max_f64 v[5:6], |v[11:12]|, |v[11:12]|
	v_max_f64 v[27:28], |v[9:10]|, |v[9:10]|
	v_cmp_class_f64_e64 s6, v[9:10], 0x204
	v_cmp_class_f64_e64 s7, v[11:12], 0x204
	s_mov_b32 s93, s23
	s_mov_b32 s12, s82
	v_cmp_eq_f64_e64 s4, 0, v[11:12]
	s_delay_alu instid0(VALU_DEP_4) | instskip(SKIP_1) | instid1(VALU_DEP_4)
	v_max_f64 v[29:30], v[27:28], v[5:6]
	v_min_f64 v[5:6], v[27:28], v[5:6]
	s_or_b32 s8, s6, s7
	s_delay_alu instid0(VALU_DEP_2) | instskip(NEXT) | instid1(VALU_DEP_1)
	v_frexp_exp_i32_f64_e32 v7, v[29:30]
	v_sub_nc_u32_e32 v18, 0, v7
	s_delay_alu instid0(VALU_DEP_1) | instskip(SKIP_1) | instid1(VALU_DEP_2)
	v_ldexp_f64 v[31:32], |v[11:12]|, v18
	v_ldexp_f64 v[33:34], |v[9:10]|, v18
	v_mul_f64 v[31:32], v[31:32], v[31:32]
	s_delay_alu instid0(VALU_DEP_1) | instskip(NEXT) | instid1(VALU_DEP_1)
	v_fma_f64 v[31:32], v[33:34], v[33:34], v[31:32]
	v_rsq_f64_e32 v[33:34], v[31:32]
	v_cmp_eq_f64_e32 vcc_lo, 0, v[31:32]
	s_waitcnt_depctr 0xfff
	v_mul_f64 v[35:36], v[31:32], v[33:34]
	v_mul_f64 v[33:34], v[33:34], 0.5
	s_delay_alu instid0(VALU_DEP_1) | instskip(NEXT) | instid1(VALU_DEP_1)
	v_fma_f64 v[37:38], -v[33:34], v[35:36], 0.5
	v_fma_f64 v[35:36], v[35:36], v[37:38], v[35:36]
	v_fma_f64 v[33:34], v[33:34], v[37:38], v[33:34]
	s_delay_alu instid0(VALU_DEP_2) | instskip(NEXT) | instid1(VALU_DEP_1)
	v_fma_f64 v[37:38], -v[35:36], v[35:36], v[31:32]
	v_fma_f64 v[33:34], v[37:38], v[33:34], v[35:36]
	s_delay_alu instid0(VALU_DEP_1) | instskip(SKIP_1) | instid1(VALU_DEP_2)
	v_dual_cndmask_b32 v32, v34, v32 :: v_dual_cndmask_b32 v31, v33, v31
	v_div_scale_f64 v[53:54], vcc_lo, v[5:6], v[29:30], v[5:6]
	v_ldexp_f64 v[31:32], v[31:32], v7
	s_delay_alu instid0(VALU_DEP_1) | instskip(NEXT) | instid1(VALU_DEP_2)
	v_cndmask_b32_e64 v34, v32, 0x7ff00000, s8
	v_cndmask_b32_e64 v33, v31, 0, s8
	s_delay_alu instid0(VALU_DEP_1) | instskip(SKIP_1) | instid1(VALU_DEP_2)
	v_frexp_mant_f64_e32 v[35:36], v[33:34]
	v_frexp_exp_i32_f64_e32 v7, v[33:34]
	v_cmp_gt_f64_e64 s3, s[22:23], v[35:36]
	s_delay_alu instid0(VALU_DEP_1) | instskip(NEXT) | instid1(VALU_DEP_1)
	v_cndmask_b32_e64 v18, 0x3ff00000, 2.0, s3
	v_mul_f64 v[35:36], v[35:36], v[17:18]
	s_delay_alu instid0(VALU_DEP_1) | instskip(SKIP_1) | instid1(VALU_DEP_2)
	v_add_f64 v[37:38], v[35:36], 1.0
	v_add_f64 v[43:44], v[35:36], -1.0
	v_rcp_f64_e32 v[39:40], v[37:38]
	v_add_f64 v[45:46], v[37:38], -1.0
	s_delay_alu instid0(VALU_DEP_1) | instskip(SKIP_2) | instid1(VALU_DEP_1)
	v_add_f64 v[35:36], v[35:36], -v[45:46]
	s_waitcnt_depctr 0xfff
	v_fma_f64 v[41:42], -v[37:38], v[39:40], 1.0
	v_fma_f64 v[39:40], v[41:42], v[39:40], v[39:40]
	s_delay_alu instid0(VALU_DEP_1) | instskip(NEXT) | instid1(VALU_DEP_1)
	v_fma_f64 v[41:42], -v[37:38], v[39:40], 1.0
	v_fma_f64 v[39:40], v[41:42], v[39:40], v[39:40]
	v_div_scale_f64 v[41:42], null, v[29:30], v[29:30], v[5:6]
	s_delay_alu instid0(VALU_DEP_2) | instskip(NEXT) | instid1(VALU_DEP_2)
	v_mul_f64 v[27:28], v[43:44], v[39:40]
	v_rcp_f64_e32 v[49:50], v[41:42]
	s_delay_alu instid0(VALU_DEP_1) | instskip(SKIP_3) | instid1(VALU_DEP_1)
	v_mul_f64 v[47:48], v[37:38], v[27:28]
	s_waitcnt_depctr 0xfff
	v_fma_f64 v[45:46], -v[41:42], v[49:50], 1.0
	v_fma_f64 v[37:38], v[27:28], v[37:38], -v[47:48]
	v_fma_f64 v[35:36], v[27:28], v[35:36], v[37:38]
	s_delay_alu instid0(VALU_DEP_3) | instskip(NEXT) | instid1(VALU_DEP_2)
	v_fma_f64 v[37:38], v[49:50], v[45:46], v[49:50]
	v_add_f64 v[45:46], v[47:48], v[35:36]
	s_delay_alu instid0(VALU_DEP_2) | instskip(NEXT) | instid1(VALU_DEP_2)
	v_fma_f64 v[49:50], -v[41:42], v[37:38], 1.0
	v_add_f64 v[51:52], v[43:44], -v[45:46]
	s_delay_alu instid0(VALU_DEP_2) | instskip(SKIP_1) | instid1(VALU_DEP_3)
	v_fma_f64 v[37:38], v[37:38], v[49:50], v[37:38]
	v_add_f64 v[47:48], v[45:46], -v[47:48]
	v_add_f64 v[43:44], v[43:44], -v[51:52]
	s_delay_alu instid0(VALU_DEP_3) | instskip(NEXT) | instid1(VALU_DEP_3)
	v_mul_f64 v[49:50], v[53:54], v[37:38]
	v_add_f64 v[35:36], v[47:48], -v[35:36]
	s_delay_alu instid0(VALU_DEP_3) | instskip(NEXT) | instid1(VALU_DEP_3)
	v_add_f64 v[43:44], v[43:44], -v[45:46]
	v_fma_f64 v[41:42], -v[41:42], v[49:50], v[53:54]
	s_delay_alu instid0(VALU_DEP_2) | instskip(NEXT) | instid1(VALU_DEP_2)
	v_add_f64 v[35:36], v[35:36], v[43:44]
	v_div_fmas_f64 v[37:38], v[41:42], v[37:38], v[49:50]
	v_subrev_co_ci_u32_e64 v7, vcc_lo, 0, v7, s3
	v_cmp_class_f64_e64 s3, v[31:32], 0x204
	v_cmp_gt_i32_e32 vcc_lo, 0, v10
	v_cndmask_b32_e32 v9, 0x54442d18, v55, vcc_lo
	v_cndmask_b32_e32 v18, 0x3fe921fb, v56, vcc_lo
	s_delay_alu instid0(VALU_DEP_1) | instskip(SKIP_2) | instid1(VALU_DEP_2)
	v_bfi_b32 v18, 0x7fffffff, v18, v12
	v_add_f64 v[35:36], v[51:52], v[35:36]
	v_div_fixup_f64 v[5:6], v[37:38], v[29:30], v[5:6]
	v_mul_f64 v[29:30], v[39:40], v[35:36]
	s_delay_alu instid0(VALU_DEP_2) | instskip(NEXT) | instid1(VALU_DEP_2)
	v_mul_f64 v[35:36], v[5:6], v[5:6]
	v_add_f64 v[37:38], v[27:28], v[29:30]
	s_delay_alu instid0(VALU_DEP_2) | instskip(NEXT) | instid1(VALU_DEP_2)
	v_fma_f64 v[39:40], v[35:36], s[44:45], s[42:43]
	v_mul_f64 v[41:42], v[37:38], v[37:38]
	s_delay_alu instid0(VALU_DEP_2) | instskip(SKIP_1) | instid1(VALU_DEP_3)
	v_fma_f64 v[39:40], v[35:36], v[39:40], s[46:47]
	v_add_f64 v[27:28], v[37:38], -v[27:28]
	v_fma_f64 v[43:44], v[41:42], s[26:27], s[24:25]
	s_delay_alu instid0(VALU_DEP_3) | instskip(SKIP_1) | instid1(VALU_DEP_4)
	v_fma_f64 v[39:40], v[35:36], v[39:40], s[48:49]
	v_mul_f64 v[45:46], v[37:38], v[41:42]
	v_add_f64 v[27:28], v[29:30], -v[27:28]
	s_delay_alu instid0(VALU_DEP_4) | instskip(NEXT) | instid1(VALU_DEP_4)
	v_fma_f64 v[43:44], v[41:42], v[43:44], s[28:29]
	v_fma_f64 v[39:40], v[35:36], v[39:40], s[50:51]
	s_delay_alu instid0(VALU_DEP_3) | instskip(NEXT) | instid1(VALU_DEP_3)
	v_ldexp_f64 v[27:28], v[27:28], 1
	v_fma_f64 v[43:44], v[41:42], v[43:44], s[30:31]
	s_delay_alu instid0(VALU_DEP_3) | instskip(NEXT) | instid1(VALU_DEP_2)
	v_fma_f64 v[39:40], v[35:36], v[39:40], s[52:53]
	v_fma_f64 v[43:44], v[41:42], v[43:44], s[34:35]
	s_delay_alu instid0(VALU_DEP_2) | instskip(NEXT) | instid1(VALU_DEP_2)
	v_fma_f64 v[39:40], v[35:36], v[39:40], s[54:55]
	v_fma_f64 v[43:44], v[41:42], v[43:44], s[36:37]
	s_delay_alu instid0(VALU_DEP_2) | instskip(NEXT) | instid1(VALU_DEP_2)
	v_fma_f64 v[39:40], v[35:36], v[39:40], s[56:57]
	v_fma_f64 v[41:42], v[41:42], v[43:44], s[92:93]
	s_delay_alu instid0(VALU_DEP_2) | instskip(SKIP_1) | instid1(VALU_DEP_3)
	v_fma_f64 v[39:40], v[35:36], v[39:40], s[58:59]
	v_ldexp_f64 v[43:44], v[37:38], 1
	v_mul_f64 v[41:42], v[45:46], v[41:42]
	s_delay_alu instid0(VALU_DEP_3) | instskip(SKIP_2) | instid1(VALU_DEP_4)
	v_fma_f64 v[39:40], v[35:36], v[39:40], s[60:61]
	v_cvt_f64_i32_e32 v[45:46], v7
	v_ashrrev_i32_e32 v7, 31, v10
	v_add_f64 v[37:38], v[43:44], v[41:42]
	s_delay_alu instid0(VALU_DEP_4) | instskip(NEXT) | instid1(VALU_DEP_4)
	v_fma_f64 v[39:40], v[35:36], v[39:40], s[62:63]
	v_mul_f64 v[47:48], v[45:46], s[38:39]
	s_delay_alu instid0(VALU_DEP_3) | instskip(NEXT) | instid1(VALU_DEP_3)
	v_add_f64 v[29:30], v[37:38], -v[43:44]
	v_fma_f64 v[39:40], v[35:36], v[39:40], s[64:65]
	s_delay_alu instid0(VALU_DEP_3) | instskip(NEXT) | instid1(VALU_DEP_3)
	v_fma_f64 v[43:44], v[45:46], s[38:39], -v[47:48]
	v_add_f64 v[29:30], v[41:42], -v[29:30]
	s_delay_alu instid0(VALU_DEP_3) | instskip(NEXT) | instid1(VALU_DEP_3)
	v_fma_f64 v[39:40], v[35:36], v[39:40], s[66:67]
	v_fma_f64 v[41:42], v[45:46], s[40:41], v[43:44]
	s_delay_alu instid0(VALU_DEP_3) | instskip(NEXT) | instid1(VALU_DEP_3)
	v_add_f64 v[27:28], v[27:28], v[29:30]
	v_fma_f64 v[29:30], v[35:36], v[39:40], s[68:69]
	s_delay_alu instid0(VALU_DEP_3) | instskip(NEXT) | instid1(VALU_DEP_3)
	v_add_f64 v[39:40], v[47:48], v[41:42]
	v_add_f64 v[43:44], v[37:38], v[27:28]
	s_delay_alu instid0(VALU_DEP_3) | instskip(NEXT) | instid1(VALU_DEP_3)
	v_fma_f64 v[29:30], v[35:36], v[29:30], s[70:71]
	v_add_f64 v[47:48], v[39:40], -v[47:48]
	s_delay_alu instid0(VALU_DEP_3) | instskip(NEXT) | instid1(VALU_DEP_3)
	v_add_f64 v[45:46], v[39:40], v[43:44]
	v_fma_f64 v[29:30], v[35:36], v[29:30], s[72:73]
	v_add_f64 v[37:38], v[43:44], -v[37:38]
	s_delay_alu instid0(VALU_DEP_4) | instskip(NEXT) | instid1(VALU_DEP_4)
	v_add_f64 v[41:42], v[41:42], -v[47:48]
	v_add_f64 v[49:50], v[45:46], -v[39:40]
	s_delay_alu instid0(VALU_DEP_4) | instskip(NEXT) | instid1(VALU_DEP_4)
	v_fma_f64 v[29:30], v[35:36], v[29:30], s[74:75]
	v_add_f64 v[27:28], v[27:28], -v[37:38]
	s_delay_alu instid0(VALU_DEP_3) | instskip(NEXT) | instid1(VALU_DEP_3)
	v_add_f64 v[51:52], v[45:46], -v[49:50]
	v_fma_f64 v[29:30], v[35:36], v[29:30], s[76:77]
	v_add_f64 v[37:38], v[43:44], -v[49:50]
	s_delay_alu instid0(VALU_DEP_4) | instskip(NEXT) | instid1(VALU_DEP_4)
	v_add_f64 v[43:44], v[41:42], v[27:28]
	v_add_f64 v[39:40], v[39:40], -v[51:52]
	s_delay_alu instid0(VALU_DEP_4) | instskip(NEXT) | instid1(VALU_DEP_2)
	v_fma_f64 v[29:30], v[35:36], v[29:30], s[78:79]
	v_add_f64 v[37:38], v[37:38], v[39:40]
	s_delay_alu instid0(VALU_DEP_2) | instskip(SKIP_1) | instid1(VALU_DEP_3)
	v_fma_f64 v[29:30], v[35:36], v[29:30], s[80:81]
	v_add_f64 v[39:40], v[43:44], -v[41:42]
	v_add_f64 v[37:38], v[43:44], v[37:38]
	s_delay_alu instid0(VALU_DEP_3) | instskip(NEXT) | instid1(VALU_DEP_3)
	v_mul_f64 v[29:30], v[35:36], v[29:30]
	v_add_f64 v[35:36], v[43:44], -v[39:40]
	v_add_f64 v[27:28], v[27:28], -v[39:40]
	s_delay_alu instid0(VALU_DEP_4) | instskip(NEXT) | instid1(VALU_DEP_4)
	v_add_f64 v[43:44], v[45:46], v[37:38]
	v_fma_f64 v[5:6], v[5:6], v[29:30], v[5:6]
	s_delay_alu instid0(VALU_DEP_4) | instskip(NEXT) | instid1(VALU_DEP_3)
	v_add_f64 v[29:30], v[41:42], -v[35:36]
	v_add_f64 v[35:36], v[43:44], -v[45:46]
	s_delay_alu instid0(VALU_DEP_3) | instskip(NEXT) | instid1(VALU_DEP_3)
	v_add_f64 v[39:40], -v[5:6], s[82:83]
	v_add_f64 v[27:28], v[27:28], v[29:30]
	s_delay_alu instid0(VALU_DEP_3) | instskip(NEXT) | instid1(VALU_DEP_3)
	v_add_f64 v[29:30], v[37:38], -v[35:36]
	v_cndmask_b32_e64 v6, v6, v40, s2
	s_delay_alu instid0(VALU_DEP_4) | instskip(NEXT) | instid1(VALU_DEP_3)
	v_cndmask_b32_e64 v5, v5, v39, s2
	v_add_f64 v[27:28], v[27:28], v[29:30]
	s_delay_alu instid0(VALU_DEP_2) | instskip(SKIP_2) | instid1(VALU_DEP_4)
	v_add_f64 v[29:30], -v[5:6], s[12:13]
	v_and_b32_e32 v10, 0x54442d18, v7
	v_and_b32_e32 v7, 0x400921fb, v7
	v_add_f64 v[27:28], v[43:44], v[27:28]
	s_delay_alu instid0(VALU_DEP_4) | instskip(SKIP_1) | instid1(VALU_DEP_2)
	v_dual_cndmask_b32 v6, v6, v30 :: v_dual_cndmask_b32 v5, v5, v29
	v_cmp_ngt_f64_e32 vcc_lo, 0, v[33:34]
	v_cndmask_b32_e64 v10, v5, v10, s4
	s_delay_alu instid0(VALU_DEP_3) | instskip(SKIP_3) | instid1(VALU_DEP_3)
	v_cndmask_b32_e64 v5, v6, v7, s4
	v_cndmask_b32_e64 v28, v28, v32, s3
	v_cndmask_b32_e64 v27, v27, v31, s3
	v_cmp_nge_f64_e64 s3, 0, v[33:34]
	v_cndmask_b32_e64 v28, v28, 0x7ff00000, s8
	s_delay_alu instid0(VALU_DEP_3) | instskip(NEXT) | instid1(VALU_DEP_2)
	v_cndmask_b32_e64 v6, v27, 0, s8
	v_cndmask_b32_e32 v7, 0x7ff80000, v28, vcc_lo
	s_and_b32 vcc_lo, s6, s7
	v_dual_cndmask_b32 v28, v5, v18 :: v_dual_cndmask_b32 v27, v10, v9
	s_delay_alu instid0(VALU_DEP_3) | instskip(SKIP_1) | instid1(VALU_DEP_1)
	v_cndmask_b32_e64 v5, 0, v6, s3
	v_cmp_neq_f64_e64 s3, 0, v[33:34]
	v_cndmask_b32_e64 v6, 0xfff00000, v7, s3
.LBB180_56:                             ;   in Loop: Header=BB180_5 Depth=1
	s_or_b32 exec_lo, exec_lo, s5
                                        ; implicit-def: $vgpr31_vgpr32
.LBB180_57:                             ;   in Loop: Header=BB180_5 Depth=1
	s_and_not1_saveexec_b32 s5, s99
	s_cbranch_execz .LBB180_63
; %bb.58:                               ;   in Loop: Header=BB180_5 Depth=1
                                        ; implicit-def: $vgpr5_vgpr6
                                        ; implicit-def: $vgpr27_vgpr28
	s_mov_b32 s3, exec_lo
	v_cmpx_ngt_f64_e32 s[86:87], v[31:32]
	s_xor_b32 s6, exec_lo, s3
	s_cbranch_execz .LBB180_60
; %bb.59:                               ;   in Loop: Header=BB180_5 Depth=1
	v_mul_f64 v[5:6], v[31:32], v[31:32]
	s_mov_b32 s93, s23
	s_mov_b32 s12, s82
	v_cmp_eq_f64_e64 s4, 0, v[11:12]
	v_cmp_class_f64_e64 s7, v[11:12], 0x204
	v_cmp_class_f64_e64 s8, v[9:10], 0x204
	v_cmp_gt_i32_e64 s3, 0, v10
	v_add_f64 v[27:28], v[5:6], 1.0
	s_delay_alu instid0(VALU_DEP_1) | instskip(SKIP_2) | instid1(VALU_DEP_3)
	v_frexp_mant_f64_e32 v[29:30], v[27:28]
	v_frexp_exp_i32_f64_e32 v7, v[27:28]
	v_add_f64 v[31:32], v[27:28], -1.0
	v_cmp_gt_f64_e32 vcc_lo, s[22:23], v[29:30]
	s_delay_alu instid0(VALU_DEP_2) | instskip(SKIP_2) | instid1(VALU_DEP_3)
	v_add_f64 v[29:30], v[31:32], -v[27:28]
	v_add_f64 v[31:32], v[5:6], -v[31:32]
	v_subrev_co_ci_u32_e32 v7, vcc_lo, 0, v7, vcc_lo
	v_add_f64 v[29:30], v[29:30], 1.0
	s_delay_alu instid0(VALU_DEP_2) | instskip(NEXT) | instid1(VALU_DEP_1)
	v_sub_nc_u32_e32 v18, 0, v7
	v_ldexp_f64 v[27:28], v[27:28], v18
	s_delay_alu instid0(VALU_DEP_3) | instskip(NEXT) | instid1(VALU_DEP_2)
	v_add_f64 v[29:30], v[31:32], v[29:30]
	v_add_f64 v[33:34], v[27:28], 1.0
	v_add_f64 v[39:40], v[27:28], -1.0
	s_delay_alu instid0(VALU_DEP_3) | instskip(SKIP_1) | instid1(VALU_DEP_4)
	v_ldexp_f64 v[29:30], v[29:30], v18
	v_cndmask_b32_e64 v18, 0x54442d18, v55, s3
	v_add_f64 v[31:32], v[33:34], -1.0
	s_delay_alu instid0(VALU_DEP_4) | instskip(NEXT) | instid1(VALU_DEP_2)
	v_add_f64 v[41:42], v[39:40], 1.0
	v_add_f64 v[31:32], v[27:28], -v[31:32]
	s_delay_alu instid0(VALU_DEP_2) | instskip(NEXT) | instid1(VALU_DEP_2)
	v_add_f64 v[27:28], v[27:28], -v[41:42]
	v_add_f64 v[31:32], v[29:30], v[31:32]
	s_delay_alu instid0(VALU_DEP_2) | instskip(NEXT) | instid1(VALU_DEP_2)
	v_add_f64 v[27:28], v[29:30], v[27:28]
	v_add_f64 v[35:36], v[33:34], v[31:32]
	s_delay_alu instid0(VALU_DEP_2) | instskip(NEXT) | instid1(VALU_DEP_2)
	v_add_f64 v[41:42], v[39:40], v[27:28]
	v_rcp_f64_e32 v[37:38], v[35:36]
	v_add_f64 v[33:34], v[33:34], -v[35:36]
	s_delay_alu instid0(VALU_DEP_2) | instskip(NEXT) | instid1(VALU_DEP_2)
	v_add_f64 v[39:40], v[39:40], -v[41:42]
	v_add_f64 v[31:32], v[31:32], v[33:34]
	s_waitcnt_depctr 0xfff
	v_fma_f64 v[43:44], -v[35:36], v[37:38], 1.0
	v_add_f64 v[27:28], v[27:28], v[39:40]
	s_delay_alu instid0(VALU_DEP_2) | instskip(NEXT) | instid1(VALU_DEP_1)
	v_fma_f64 v[37:38], v[43:44], v[37:38], v[37:38]
	v_fma_f64 v[29:30], -v[35:36], v[37:38], 1.0
	s_delay_alu instid0(VALU_DEP_1) | instskip(NEXT) | instid1(VALU_DEP_1)
	v_fma_f64 v[29:30], v[29:30], v[37:38], v[37:38]
	v_mul_f64 v[37:38], v[41:42], v[29:30]
	s_delay_alu instid0(VALU_DEP_1) | instskip(NEXT) | instid1(VALU_DEP_1)
	v_mul_f64 v[43:44], v[35:36], v[37:38]
	v_fma_f64 v[33:34], v[37:38], v[35:36], -v[43:44]
	s_delay_alu instid0(VALU_DEP_1) | instskip(NEXT) | instid1(VALU_DEP_1)
	v_fma_f64 v[33:34], v[37:38], v[31:32], v[33:34]
	v_add_f64 v[45:46], v[43:44], v[33:34]
	s_delay_alu instid0(VALU_DEP_1) | instskip(SKIP_2) | instid1(VALU_DEP_3)
	v_add_f64 v[47:48], v[41:42], -v[45:46]
	v_add_f64 v[39:40], v[45:46], -v[43:44]
	v_max_f64 v[43:44], |v[11:12]|, |v[11:12]|
	v_add_f64 v[41:42], v[41:42], -v[47:48]
	s_delay_alu instid0(VALU_DEP_3) | instskip(NEXT) | instid1(VALU_DEP_2)
	v_add_f64 v[33:34], v[39:40], -v[33:34]
	v_add_f64 v[41:42], v[41:42], -v[45:46]
	v_max_f64 v[45:46], |v[9:10]|, |v[9:10]|
	v_cndmask_b32_e64 v9, 0x3fe921fb, v56, s3
	s_delay_alu instid0(VALU_DEP_1) | instskip(NEXT) | instid1(VALU_DEP_4)
	v_bfi_b32 v9, 0x7fffffff, v9, v12
	v_add_f64 v[27:28], v[27:28], v[41:42]
	s_delay_alu instid0(VALU_DEP_4) | instskip(SKIP_1) | instid1(VALU_DEP_3)
	v_max_f64 v[49:50], v[45:46], v[43:44]
	v_min_f64 v[43:44], v[45:46], v[43:44]
	v_add_f64 v[27:28], v[33:34], v[27:28]
	s_delay_alu instid0(VALU_DEP_1) | instskip(NEXT) | instid1(VALU_DEP_1)
	v_add_f64 v[33:34], v[47:48], v[27:28]
	v_mul_f64 v[39:40], v[29:30], v[33:34]
	v_add_f64 v[47:48], v[47:48], -v[33:34]
	s_delay_alu instid0(VALU_DEP_2) | instskip(NEXT) | instid1(VALU_DEP_2)
	v_mul_f64 v[41:42], v[35:36], v[39:40]
	v_add_f64 v[27:28], v[27:28], v[47:48]
	s_delay_alu instid0(VALU_DEP_2) | instskip(NEXT) | instid1(VALU_DEP_1)
	v_fma_f64 v[35:36], v[39:40], v[35:36], -v[41:42]
	v_fma_f64 v[31:32], v[39:40], v[31:32], v[35:36]
	v_div_scale_f64 v[35:36], null, v[49:50], v[49:50], v[43:44]
	s_delay_alu instid0(VALU_DEP_2) | instskip(NEXT) | instid1(VALU_DEP_2)
	v_add_f64 v[45:46], v[41:42], v[31:32]
	v_rcp_f64_e32 v[51:52], v[35:36]
	s_delay_alu instid0(VALU_DEP_1)
	v_add_f64 v[53:54], v[33:34], -v[45:46]
	v_add_f64 v[41:42], v[45:46], -v[41:42]
	s_waitcnt_depctr 0xfff
	v_fma_f64 v[57:58], -v[35:36], v[51:52], 1.0
	v_add_f64 v[33:34], v[33:34], -v[53:54]
	v_add_f64 v[31:32], v[41:42], -v[31:32]
	s_delay_alu instid0(VALU_DEP_3) | instskip(NEXT) | instid1(VALU_DEP_3)
	v_fma_f64 v[51:52], v[51:52], v[57:58], v[51:52]
	v_add_f64 v[33:34], v[33:34], -v[45:46]
	s_delay_alu instid0(VALU_DEP_2) | instskip(NEXT) | instid1(VALU_DEP_2)
	v_fma_f64 v[45:46], -v[35:36], v[51:52], 1.0
	v_add_f64 v[27:28], v[27:28], v[33:34]
	v_div_scale_f64 v[33:34], vcc_lo, v[43:44], v[49:50], v[43:44]
	s_delay_alu instid0(VALU_DEP_3) | instskip(SKIP_1) | instid1(VALU_DEP_4)
	v_fma_f64 v[41:42], v[51:52], v[45:46], v[51:52]
	v_add_f64 v[45:46], v[37:38], v[39:40]
	v_add_f64 v[27:28], v[31:32], v[27:28]
	s_delay_alu instid0(VALU_DEP_3) | instskip(NEXT) | instid1(VALU_DEP_3)
	v_mul_f64 v[31:32], v[33:34], v[41:42]
	v_add_f64 v[37:38], v[45:46], -v[37:38]
	s_delay_alu instid0(VALU_DEP_3) | instskip(NEXT) | instid1(VALU_DEP_3)
	v_add_f64 v[27:28], v[53:54], v[27:28]
	v_fma_f64 v[33:34], -v[35:36], v[31:32], v[33:34]
	s_delay_alu instid0(VALU_DEP_3) | instskip(NEXT) | instid1(VALU_DEP_3)
	v_add_f64 v[35:36], v[39:40], -v[37:38]
	v_mul_f64 v[27:28], v[29:30], v[27:28]
	s_delay_alu instid0(VALU_DEP_3) | instskip(SKIP_1) | instid1(VALU_DEP_3)
	v_div_fmas_f64 v[29:30], v[33:34], v[41:42], v[31:32]
	v_cmp_eq_f64_e32 vcc_lo, 0x7ff00000, v[5:6]
	v_add_f64 v[27:28], v[35:36], v[27:28]
	s_delay_alu instid0(VALU_DEP_3) | instskip(NEXT) | instid1(VALU_DEP_2)
	v_div_fixup_f64 v[29:30], v[29:30], v[49:50], v[43:44]
	v_add_f64 v[31:32], v[45:46], v[27:28]
	s_delay_alu instid0(VALU_DEP_2) | instskip(NEXT) | instid1(VALU_DEP_2)
	v_mul_f64 v[33:34], v[29:30], v[29:30]
	v_mul_f64 v[35:36], v[31:32], v[31:32]
	s_delay_alu instid0(VALU_DEP_2) | instskip(NEXT) | instid1(VALU_DEP_2)
	v_fma_f64 v[37:38], v[33:34], s[44:45], s[42:43]
	v_fma_f64 v[39:40], v[35:36], s[26:27], s[24:25]
	v_mul_f64 v[41:42], v[31:32], v[35:36]
	s_delay_alu instid0(VALU_DEP_3) | instskip(NEXT) | instid1(VALU_DEP_3)
	v_fma_f64 v[37:38], v[33:34], v[37:38], s[46:47]
	v_fma_f64 v[39:40], v[35:36], v[39:40], s[28:29]
	s_delay_alu instid0(VALU_DEP_2) | instskip(NEXT) | instid1(VALU_DEP_2)
	v_fma_f64 v[37:38], v[33:34], v[37:38], s[48:49]
	v_fma_f64 v[39:40], v[35:36], v[39:40], s[30:31]
	s_delay_alu instid0(VALU_DEP_2) | instskip(NEXT) | instid1(VALU_DEP_2)
	;; [unrolled: 3-line block ×4, first 2 shown]
	v_fma_f64 v[37:38], v[33:34], v[37:38], s[54:55]
	v_fma_f64 v[35:36], v[35:36], v[39:40], s[92:93]
	v_ldexp_f64 v[39:40], v[31:32], 1
	v_add_f64 v[31:32], v[31:32], -v[45:46]
	s_delay_alu instid0(VALU_DEP_4) | instskip(NEXT) | instid1(VALU_DEP_4)
	v_fma_f64 v[37:38], v[33:34], v[37:38], s[56:57]
	v_mul_f64 v[35:36], v[41:42], v[35:36]
	v_cvt_f64_i32_e32 v[41:42], v7
	s_delay_alu instid0(VALU_DEP_4) | instskip(NEXT) | instid1(VALU_DEP_4)
	v_add_f64 v[27:28], v[27:28], -v[31:32]
	v_fma_f64 v[37:38], v[33:34], v[37:38], s[58:59]
	v_ashrrev_i32_e32 v7, 31, v10
	v_add_f64 v[43:44], v[39:40], v[35:36]
	v_mul_f64 v[45:46], v[41:42], s[38:39]
	v_ldexp_f64 v[27:28], v[27:28], 1
	v_fma_f64 v[37:38], v[33:34], v[37:38], s[60:61]
	s_delay_alu instid0(VALU_DEP_4) | instskip(NEXT) | instid1(VALU_DEP_4)
	v_add_f64 v[31:32], v[43:44], -v[39:40]
	v_fma_f64 v[39:40], v[41:42], s[38:39], -v[45:46]
	s_delay_alu instid0(VALU_DEP_3) | instskip(NEXT) | instid1(VALU_DEP_3)
	v_fma_f64 v[37:38], v[33:34], v[37:38], s[62:63]
	v_add_f64 v[31:32], v[35:36], -v[31:32]
	s_delay_alu instid0(VALU_DEP_2) | instskip(NEXT) | instid1(VALU_DEP_4)
	v_fma_f64 v[35:36], v[33:34], v[37:38], s[64:65]
	v_fma_f64 v[37:38], v[41:42], s[40:41], v[39:40]
	s_delay_alu instid0(VALU_DEP_3) | instskip(NEXT) | instid1(VALU_DEP_3)
	v_add_f64 v[27:28], v[27:28], v[31:32]
	v_fma_f64 v[31:32], v[33:34], v[35:36], s[66:67]
	s_delay_alu instid0(VALU_DEP_3) | instskip(NEXT) | instid1(VALU_DEP_3)
	v_add_f64 v[35:36], v[45:46], v[37:38]
	v_add_f64 v[39:40], v[43:44], v[27:28]
	s_delay_alu instid0(VALU_DEP_3) | instskip(NEXT) | instid1(VALU_DEP_3)
	v_fma_f64 v[31:32], v[33:34], v[31:32], s[68:69]
	v_add_f64 v[45:46], v[35:36], -v[45:46]
	s_delay_alu instid0(VALU_DEP_3) | instskip(SKIP_1) | instid1(VALU_DEP_4)
	v_add_f64 v[41:42], v[35:36], v[39:40]
	v_add_f64 v[43:44], v[39:40], -v[43:44]
	v_fma_f64 v[31:32], v[33:34], v[31:32], s[70:71]
	s_delay_alu instid0(VALU_DEP_4) | instskip(NEXT) | instid1(VALU_DEP_4)
	v_add_f64 v[37:38], v[37:38], -v[45:46]
	v_add_f64 v[47:48], v[41:42], -v[35:36]
	s_delay_alu instid0(VALU_DEP_4) | instskip(NEXT) | instid1(VALU_DEP_4)
	v_add_f64 v[27:28], v[27:28], -v[43:44]
	v_fma_f64 v[31:32], v[33:34], v[31:32], s[72:73]
	s_delay_alu instid0(VALU_DEP_3) | instskip(SKIP_1) | instid1(VALU_DEP_4)
	v_add_f64 v[49:50], v[41:42], -v[47:48]
	v_add_f64 v[39:40], v[39:40], -v[47:48]
	v_add_f64 v[43:44], v[37:38], v[27:28]
	s_delay_alu instid0(VALU_DEP_4) | instskip(NEXT) | instid1(VALU_DEP_4)
	v_fma_f64 v[31:32], v[33:34], v[31:32], s[74:75]
	v_add_f64 v[35:36], v[35:36], -v[49:50]
	s_delay_alu instid0(VALU_DEP_2) | instskip(NEXT) | instid1(VALU_DEP_2)
	v_fma_f64 v[31:32], v[33:34], v[31:32], s[76:77]
	v_add_f64 v[35:36], v[39:40], v[35:36]
	v_add_f64 v[39:40], v[43:44], -v[37:38]
	s_delay_alu instid0(VALU_DEP_3) | instskip(NEXT) | instid1(VALU_DEP_3)
	v_fma_f64 v[31:32], v[33:34], v[31:32], s[78:79]
	v_add_f64 v[35:36], v[43:44], v[35:36]
	s_delay_alu instid0(VALU_DEP_3) | instskip(SKIP_1) | instid1(VALU_DEP_4)
	v_add_f64 v[43:44], v[43:44], -v[39:40]
	v_add_f64 v[27:28], v[27:28], -v[39:40]
	v_fma_f64 v[31:32], v[33:34], v[31:32], s[80:81]
	s_delay_alu instid0(VALU_DEP_4) | instskip(NEXT) | instid1(VALU_DEP_2)
	v_add_f64 v[45:46], v[41:42], v[35:36]
	v_mul_f64 v[31:32], v[33:34], v[31:32]
	v_add_f64 v[33:34], v[37:38], -v[43:44]
	s_delay_alu instid0(VALU_DEP_3) | instskip(NEXT) | instid1(VALU_DEP_3)
	v_add_f64 v[37:38], v[45:46], -v[41:42]
	v_fma_f64 v[29:30], v[29:30], v[31:32], v[29:30]
	s_delay_alu instid0(VALU_DEP_3) | instskip(NEXT) | instid1(VALU_DEP_3)
	v_add_f64 v[27:28], v[27:28], v[33:34]
	v_add_f64 v[31:32], v[35:36], -v[37:38]
	s_delay_alu instid0(VALU_DEP_3) | instskip(NEXT) | instid1(VALU_DEP_2)
	v_add_f64 v[33:34], -v[29:30], s[82:83]
	v_add_f64 v[27:28], v[27:28], v[31:32]
	s_delay_alu instid0(VALU_DEP_2) | instskip(NEXT) | instid1(VALU_DEP_3)
	v_cndmask_b32_e64 v30, v30, v34, s2
	v_cndmask_b32_e64 v29, v29, v33, s2
	s_delay_alu instid0(VALU_DEP_1) | instskip(NEXT) | instid1(VALU_DEP_4)
	v_add_f64 v[31:32], -v[29:30], s[12:13]
	v_add_f64 v[27:28], v[45:46], v[27:28]
	v_and_b32_e32 v33, 0x54442d18, v7
	v_and_b32_e32 v7, 0x400921fb, v7
	s_delay_alu instid0(VALU_DEP_4) | instskip(SKIP_1) | instid1(VALU_DEP_1)
	v_cndmask_b32_e64 v29, v29, v31, s3
	v_cndmask_b32_e64 v10, v30, v32, s3
                                        ; implicit-def: $vgpr31_vgpr32
	v_cndmask_b32_e64 v7, v10, v7, s4
	v_dual_cndmask_b32 v6, v28, v6 :: v_dual_cndmask_b32 v5, v27, v5
	s_delay_alu instid0(VALU_DEP_4) | instskip(SKIP_1) | instid1(VALU_DEP_3)
	v_cndmask_b32_e64 v27, v29, v33, s4
	s_and_b32 vcc_lo, s8, s7
	v_cndmask_b32_e32 v28, v7, v9, vcc_lo
	s_delay_alu instid0(VALU_DEP_3) | instskip(NEXT) | instid1(VALU_DEP_3)
	v_mul_f64 v[5:6], v[5:6], 0.5
	v_cndmask_b32_e32 v27, v27, v18, vcc_lo
.LBB180_60:                             ;   in Loop: Header=BB180_5 Depth=1
	s_and_not1_saveexec_b32 s4, s6
	s_cbranch_execz .LBB180_62
; %bb.61:                               ;   in Loop: Header=BB180_5 Depth=1
	v_max_f64 v[5:6], |v[11:12]|, |v[11:12]|
	v_max_f64 v[27:28], |v[9:10]|, |v[9:10]|
	s_mov_b32 s12, s82
	v_cmp_eq_f64_e64 s3, 0, v[11:12]
	v_cmp_class_f64_e64 s6, v[11:12], 0x204
	v_cmp_class_f64_e64 s7, v[9:10], 0x204
	v_ashrrev_i32_e32 v18, 31, v10
	v_max_f64 v[29:30], v[27:28], v[5:6]
	v_min_f64 v[5:6], v[27:28], v[5:6]
	s_delay_alu instid0(VALU_DEP_1) | instskip(SKIP_1) | instid1(VALU_DEP_2)
	v_div_scale_f64 v[27:28], null, v[29:30], v[29:30], v[5:6]
	v_div_scale_f64 v[37:38], vcc_lo, v[5:6], v[29:30], v[5:6]
	v_rcp_f64_e32 v[33:34], v[27:28]
	s_waitcnt_depctr 0xfff
	v_fma_f64 v[35:36], -v[27:28], v[33:34], 1.0
	s_delay_alu instid0(VALU_DEP_1) | instskip(NEXT) | instid1(VALU_DEP_1)
	v_fma_f64 v[33:34], v[33:34], v[35:36], v[33:34]
	v_fma_f64 v[35:36], -v[27:28], v[33:34], 1.0
	s_delay_alu instid0(VALU_DEP_1) | instskip(NEXT) | instid1(VALU_DEP_1)
	v_fma_f64 v[33:34], v[33:34], v[35:36], v[33:34]
	v_mul_f64 v[35:36], v[37:38], v[33:34]
	s_delay_alu instid0(VALU_DEP_1) | instskip(NEXT) | instid1(VALU_DEP_1)
	v_fma_f64 v[27:28], -v[27:28], v[35:36], v[37:38]
	v_div_fmas_f64 v[27:28], v[27:28], v[33:34], v[35:36]
	v_cmp_gt_i32_e32 vcc_lo, 0, v10
	v_and_b32_e32 v34, 0x54442d18, v18
	v_and_b32_e32 v10, 0x400921fb, v18
	v_cndmask_b32_e32 v33, 0x54442d18, v55, vcc_lo
	v_cndmask_b32_e32 v9, 0x3fe921fb, v56, vcc_lo
	s_delay_alu instid0(VALU_DEP_1) | instskip(SKIP_1) | instid1(VALU_DEP_1)
	v_bfi_b32 v9, 0x7fffffff, v9, v12
	v_div_fixup_f64 v[5:6], v[27:28], v[29:30], v[5:6]
	v_mul_f64 v[27:28], v[5:6], v[5:6]
	s_delay_alu instid0(VALU_DEP_1) | instskip(NEXT) | instid1(VALU_DEP_1)
	v_fma_f64 v[29:30], v[27:28], s[44:45], s[42:43]
	v_fma_f64 v[29:30], v[27:28], v[29:30], s[46:47]
	s_delay_alu instid0(VALU_DEP_1) | instskip(NEXT) | instid1(VALU_DEP_1)
	v_fma_f64 v[29:30], v[27:28], v[29:30], s[48:49]
	v_fma_f64 v[29:30], v[27:28], v[29:30], s[50:51]
	;; [unrolled: 3-line block ×9, first 2 shown]
	s_delay_alu instid0(VALU_DEP_1) | instskip(NEXT) | instid1(VALU_DEP_1)
	v_fma_f64 v[29:30], v[27:28], v[29:30], s[80:81]
	v_mul_f64 v[27:28], v[27:28], v[29:30]
	v_mul_f64 v[29:30], v[31:32], 0.5
	s_delay_alu instid0(VALU_DEP_2) | instskip(NEXT) | instid1(VALU_DEP_1)
	v_fma_f64 v[5:6], v[5:6], v[27:28], v[5:6]
	v_add_f64 v[27:28], -v[5:6], s[82:83]
	s_delay_alu instid0(VALU_DEP_1) | instskip(NEXT) | instid1(VALU_DEP_2)
	v_cndmask_b32_e64 v7, v6, v28, s2
	v_cndmask_b32_e64 v6, v5, v27, s2
	s_delay_alu instid0(VALU_DEP_1) | instskip(NEXT) | instid1(VALU_DEP_1)
	v_add_f64 v[27:28], -v[6:7], s[12:13]
	v_cndmask_b32_e32 v27, v6, v27, vcc_lo
	v_mul_f64 v[5:6], v[31:32], v[29:30]
	s_delay_alu instid0(VALU_DEP_3) | instskip(SKIP_1) | instid1(VALU_DEP_3)
	v_cndmask_b32_e32 v7, v7, v28, vcc_lo
	s_and_b32 vcc_lo, s7, s6
	v_cndmask_b32_e64 v18, v27, v34, s3
	s_delay_alu instid0(VALU_DEP_2) | instskip(NEXT) | instid1(VALU_DEP_2)
	v_cndmask_b32_e64 v7, v7, v10, s3
	v_cndmask_b32_e32 v27, v18, v33, vcc_lo
	s_delay_alu instid0(VALU_DEP_2)
	v_cndmask_b32_e32 v28, v7, v9, vcc_lo
.LBB180_62:                             ;   in Loop: Header=BB180_5 Depth=1
	s_or_b32 exec_lo, exec_lo, s4
.LBB180_63:                             ;   in Loop: Header=BB180_5 Depth=1
	s_delay_alu instid0(SALU_CYCLE_1)
	s_or_b32 exec_lo, exec_lo, s5
.LBB180_64:                             ;   in Loop: Header=BB180_5 Depth=1
	s_and_not1_saveexec_b32 s5, s98
	s_cbranch_execz .LBB180_66
; %bb.65:                               ;   in Loop: Header=BB180_5 Depth=1
	v_div_scale_f64 v[5:6], null, s[88:89], s[88:89], v[9:10]
	v_div_scale_f64 v[27:28], null, s[88:89], s[88:89], v[11:12]
	v_div_scale_f64 v[37:38], vcc_lo, v[9:10], s[88:89], v[9:10]
	v_max_f64 v[41:42], |v[9:10]|, |v[9:10]|
	s_mov_b32 s93, s23
	s_mov_b32 s12, s82
	s_delay_alu instid0(VALU_DEP_4) | instskip(NEXT) | instid1(VALU_DEP_3)
	v_rcp_f64_e32 v[29:30], v[5:6]
	v_rcp_f64_e32 v[31:32], v[27:28]
	s_waitcnt_depctr 0xfff
	v_fma_f64 v[33:34], -v[5:6], v[29:30], 1.0
	v_fma_f64 v[35:36], -v[27:28], v[31:32], 1.0
	s_delay_alu instid0(VALU_DEP_2) | instskip(NEXT) | instid1(VALU_DEP_2)
	v_fma_f64 v[29:30], v[29:30], v[33:34], v[29:30]
	v_fma_f64 v[31:32], v[31:32], v[35:36], v[31:32]
	s_delay_alu instid0(VALU_DEP_2) | instskip(NEXT) | instid1(VALU_DEP_2)
	v_fma_f64 v[33:34], -v[5:6], v[29:30], 1.0
	v_fma_f64 v[35:36], -v[27:28], v[31:32], 1.0
	s_delay_alu instid0(VALU_DEP_2) | instskip(SKIP_1) | instid1(VALU_DEP_3)
	v_fma_f64 v[29:30], v[29:30], v[33:34], v[29:30]
	v_div_scale_f64 v[33:34], s3, v[11:12], s[88:89], v[11:12]
	v_fma_f64 v[31:32], v[31:32], v[35:36], v[31:32]
	s_delay_alu instid0(VALU_DEP_3) | instskip(NEXT) | instid1(VALU_DEP_2)
	v_mul_f64 v[35:36], v[37:38], v[29:30]
	v_mul_f64 v[39:40], v[33:34], v[31:32]
	s_delay_alu instid0(VALU_DEP_2) | instskip(NEXT) | instid1(VALU_DEP_2)
	v_fma_f64 v[5:6], -v[5:6], v[35:36], v[37:38]
	v_fma_f64 v[27:28], -v[27:28], v[39:40], v[33:34]
	s_delay_alu instid0(VALU_DEP_2) | instskip(SKIP_1) | instid1(VALU_DEP_2)
	v_div_fmas_f64 v[5:6], v[5:6], v[29:30], v[35:36]
	s_mov_b32 vcc_lo, s3
	v_div_fmas_f64 v[27:28], v[27:28], v[31:32], v[39:40]
	s_delay_alu instid0(VALU_DEP_2) | instskip(NEXT) | instid1(VALU_DEP_2)
	v_div_fixup_f64 v[5:6], v[5:6], s[88:89], v[9:10]
	v_div_fixup_f64 v[27:28], v[27:28], s[88:89], v[11:12]
	s_delay_alu instid0(VALU_DEP_2) | instskip(NEXT) | instid1(VALU_DEP_2)
	v_cmp_class_f64_e64 s4, v[5:6], 0x204
	v_max_f64 v[29:30], |v[5:6]|, |v[27:28]|
	v_cmp_o_f64_e64 s3, v[5:6], v[27:28]
	v_cmp_class_f64_e64 s6, v[27:28], 0x204
	s_delay_alu instid0(VALU_DEP_3) | instskip(NEXT) | instid1(VALU_DEP_2)
	v_frexp_exp_i32_f64_e32 v7, v[29:30]
	s_or_b32 s6, s4, s6
	s_delay_alu instid0(VALU_DEP_1) | instskip(NEXT) | instid1(VALU_DEP_1)
	v_sub_nc_u32_e32 v18, 0, v7
	v_ldexp_f64 v[29:30], |v[27:28]|, v18
	v_ldexp_f64 v[31:32], |v[5:6]|, v18
	s_delay_alu instid0(VALU_DEP_2) | instskip(NEXT) | instid1(VALU_DEP_1)
	v_mul_f64 v[29:30], v[29:30], v[29:30]
	v_fma_f64 v[29:30], v[31:32], v[31:32], v[29:30]
	s_delay_alu instid0(VALU_DEP_1) | instskip(SKIP_4) | instid1(VALU_DEP_1)
	v_rsq_f64_e32 v[31:32], v[29:30]
	v_cmp_eq_f64_e32 vcc_lo, 0, v[29:30]
	s_waitcnt_depctr 0xfff
	v_mul_f64 v[33:34], v[29:30], v[31:32]
	v_mul_f64 v[31:32], v[31:32], 0.5
	v_fma_f64 v[35:36], -v[31:32], v[33:34], 0.5
	s_delay_alu instid0(VALU_DEP_1) | instskip(SKIP_1) | instid1(VALU_DEP_2)
	v_fma_f64 v[33:34], v[33:34], v[35:36], v[33:34]
	v_fma_f64 v[31:32], v[31:32], v[35:36], v[31:32]
	v_fma_f64 v[35:36], -v[33:34], v[33:34], v[29:30]
	s_delay_alu instid0(VALU_DEP_1) | instskip(NEXT) | instid1(VALU_DEP_1)
	v_fma_f64 v[31:32], v[35:36], v[31:32], v[33:34]
	v_dual_cndmask_b32 v30, v32, v30 :: v_dual_cndmask_b32 v29, v31, v29
	s_delay_alu instid0(VALU_DEP_1) | instskip(NEXT) | instid1(VALU_DEP_1)
	v_ldexp_f64 v[29:30], v[29:30], v7
	v_cndmask_b32_e64 v5, 0, v29, s3
	s_delay_alu instid0(VALU_DEP_2) | instskip(NEXT) | instid1(VALU_DEP_2)
	v_cndmask_b32_e64 v53, 0x7ff80000, v30, s3
	v_cndmask_b32_e64 v6, v5, 0, s6
	s_delay_alu instid0(VALU_DEP_2) | instskip(NEXT) | instid1(VALU_DEP_1)
	v_cndmask_b32_e64 v7, v53, 0x7ff00000, s6
	v_frexp_mant_f64_e32 v[27:28], v[6:7]
	s_delay_alu instid0(VALU_DEP_1) | instskip(NEXT) | instid1(VALU_DEP_1)
	v_cmp_gt_f64_e64 s4, s[22:23], v[27:28]
	v_cndmask_b32_e64 v18, 0x3ff00000, 2.0, s4
	s_delay_alu instid0(VALU_DEP_1) | instskip(SKIP_1) | instid1(VALU_DEP_2)
	v_mul_f64 v[27:28], v[27:28], v[17:18]
	v_frexp_exp_i32_f64_e32 v18, v[6:7]
	v_add_f64 v[31:32], v[27:28], 1.0
	v_add_f64 v[37:38], v[27:28], -1.0
	s_delay_alu instid0(VALU_DEP_2) | instskip(SKIP_1) | instid1(VALU_DEP_1)
	v_rcp_f64_e32 v[33:34], v[31:32]
	v_add_f64 v[43:44], v[31:32], -1.0
	v_add_f64 v[27:28], v[27:28], -v[43:44]
	s_waitcnt_depctr 0xfff
	v_fma_f64 v[35:36], -v[31:32], v[33:34], 1.0
	s_delay_alu instid0(VALU_DEP_1) | instskip(NEXT) | instid1(VALU_DEP_1)
	v_fma_f64 v[33:34], v[35:36], v[33:34], v[33:34]
	v_fma_f64 v[35:36], -v[31:32], v[33:34], 1.0
	s_delay_alu instid0(VALU_DEP_1) | instskip(SKIP_1) | instid1(VALU_DEP_2)
	v_fma_f64 v[33:34], v[35:36], v[33:34], v[33:34]
	v_max_f64 v[35:36], |v[11:12]|, |v[11:12]|
	v_mul_f64 v[39:40], v[37:38], v[33:34]
	s_delay_alu instid0(VALU_DEP_2) | instskip(SKIP_1) | instid1(VALU_DEP_3)
	v_max_f64 v[47:48], v[41:42], v[35:36]
	v_min_f64 v[35:36], v[41:42], v[35:36]
	v_mul_f64 v[45:46], v[31:32], v[39:40]
	s_delay_alu instid0(VALU_DEP_2) | instskip(NEXT) | instid1(VALU_DEP_2)
	v_div_scale_f64 v[41:42], null, v[47:48], v[47:48], v[35:36]
	v_fma_f64 v[31:32], v[39:40], v[31:32], -v[45:46]
	s_delay_alu instid0(VALU_DEP_1) | instskip(NEXT) | instid1(VALU_DEP_3)
	v_fma_f64 v[27:28], v[39:40], v[27:28], v[31:32]
	v_rcp_f64_e32 v[31:32], v[41:42]
	s_delay_alu instid0(VALU_DEP_1) | instskip(SKIP_4) | instid1(VALU_DEP_3)
	v_add_f64 v[43:44], v[45:46], v[27:28]
	s_waitcnt_depctr 0xfff
	v_fma_f64 v[49:50], -v[41:42], v[31:32], 1.0
	v_add_f64 v[51:52], v[37:38], -v[43:44]
	v_add_f64 v[45:46], v[43:44], -v[45:46]
	v_fma_f64 v[31:32], v[31:32], v[49:50], v[31:32]
	s_delay_alu instid0(VALU_DEP_3) | instskip(NEXT) | instid1(VALU_DEP_3)
	v_add_f64 v[37:38], v[37:38], -v[51:52]
	v_add_f64 v[27:28], v[45:46], -v[27:28]
	s_delay_alu instid0(VALU_DEP_3) | instskip(NEXT) | instid1(VALU_DEP_3)
	v_fma_f64 v[49:50], -v[41:42], v[31:32], 1.0
	v_add_f64 v[37:38], v[37:38], -v[43:44]
	v_div_scale_f64 v[43:44], vcc_lo, v[35:36], v[47:48], v[35:36]
	s_delay_alu instid0(VALU_DEP_3) | instskip(NEXT) | instid1(VALU_DEP_3)
	v_fma_f64 v[31:32], v[31:32], v[49:50], v[31:32]
	v_add_f64 v[27:28], v[27:28], v[37:38]
	s_delay_alu instid0(VALU_DEP_2) | instskip(NEXT) | instid1(VALU_DEP_2)
	v_mul_f64 v[37:38], v[43:44], v[31:32]
	v_add_f64 v[27:28], v[51:52], v[27:28]
	s_delay_alu instid0(VALU_DEP_2) | instskip(NEXT) | instid1(VALU_DEP_2)
	v_fma_f64 v[41:42], -v[41:42], v[37:38], v[43:44]
	v_mul_f64 v[27:28], v[33:34], v[27:28]
	s_delay_alu instid0(VALU_DEP_2) | instskip(SKIP_2) | instid1(VALU_DEP_4)
	v_div_fmas_f64 v[31:32], v[41:42], v[31:32], v[37:38]
	v_subrev_co_ci_u32_e64 v18, vcc_lo, 0, v18, s4
	v_cmp_class_f64_e64 s4, v[9:10], 0x204
	v_add_f64 v[33:34], v[39:40], v[27:28]
	s_delay_alu instid0(VALU_DEP_4) | instskip(NEXT) | instid1(VALU_DEP_2)
	v_div_fixup_f64 v[31:32], v[31:32], v[47:48], v[35:36]
	v_mul_f64 v[35:36], v[33:34], v[33:34]
	s_delay_alu instid0(VALU_DEP_2) | instskip(NEXT) | instid1(VALU_DEP_2)
	v_mul_f64 v[37:38], v[31:32], v[31:32]
	v_fma_f64 v[41:42], v[35:36], s[26:27], s[24:25]
	v_mul_f64 v[45:46], v[33:34], v[35:36]
	s_delay_alu instid0(VALU_DEP_3) | instskip(NEXT) | instid1(VALU_DEP_3)
	v_fma_f64 v[43:44], v[37:38], s[44:45], s[42:43]
	v_fma_f64 v[41:42], v[35:36], v[41:42], s[28:29]
	s_delay_alu instid0(VALU_DEP_2) | instskip(NEXT) | instid1(VALU_DEP_2)
	v_fma_f64 v[43:44], v[37:38], v[43:44], s[46:47]
	v_fma_f64 v[41:42], v[35:36], v[41:42], s[30:31]
	s_delay_alu instid0(VALU_DEP_2) | instskip(NEXT) | instid1(VALU_DEP_2)
	;; [unrolled: 3-line block ×4, first 2 shown]
	v_fma_f64 v[43:44], v[37:38], v[43:44], s[52:53]
	v_fma_f64 v[35:36], v[35:36], v[41:42], s[92:93]
	s_delay_alu instid0(VALU_DEP_2) | instskip(SKIP_2) | instid1(VALU_DEP_4)
	v_fma_f64 v[41:42], v[37:38], v[43:44], s[54:55]
	v_ldexp_f64 v[43:44], v[33:34], 1
	v_add_f64 v[33:34], v[33:34], -v[39:40]
	v_mul_f64 v[35:36], v[45:46], v[35:36]
	v_cvt_f64_i32_e32 v[45:46], v18
	v_ashrrev_i32_e32 v18, 31, v10
	v_fma_f64 v[41:42], v[37:38], v[41:42], s[56:57]
	v_add_f64 v[27:28], v[27:28], -v[33:34]
	v_add_f64 v[39:40], v[43:44], v[35:36]
	v_mul_f64 v[47:48], v[45:46], s[38:39]
	s_delay_alu instid0(VALU_DEP_4) | instskip(NEXT) | instid1(VALU_DEP_4)
	v_fma_f64 v[41:42], v[37:38], v[41:42], s[58:59]
	v_ldexp_f64 v[27:28], v[27:28], 1
	s_delay_alu instid0(VALU_DEP_4) | instskip(NEXT) | instid1(VALU_DEP_4)
	v_add_f64 v[33:34], v[39:40], -v[43:44]
	v_fma_f64 v[43:44], v[45:46], s[38:39], -v[47:48]
	s_delay_alu instid0(VALU_DEP_4) | instskip(NEXT) | instid1(VALU_DEP_3)
	v_fma_f64 v[41:42], v[37:38], v[41:42], s[60:61]
	v_add_f64 v[33:34], v[35:36], -v[33:34]
	s_delay_alu instid0(VALU_DEP_2) | instskip(NEXT) | instid1(VALU_DEP_4)
	v_fma_f64 v[35:36], v[37:38], v[41:42], s[62:63]
	v_fma_f64 v[41:42], v[45:46], s[40:41], v[43:44]
	s_delay_alu instid0(VALU_DEP_3) | instskip(NEXT) | instid1(VALU_DEP_3)
	v_add_f64 v[27:28], v[27:28], v[33:34]
	v_fma_f64 v[33:34], v[37:38], v[35:36], s[64:65]
	s_delay_alu instid0(VALU_DEP_3) | instskip(NEXT) | instid1(VALU_DEP_3)
	v_add_f64 v[35:36], v[47:48], v[41:42]
	v_add_f64 v[43:44], v[39:40], v[27:28]
	s_delay_alu instid0(VALU_DEP_3) | instskip(NEXT) | instid1(VALU_DEP_3)
	v_fma_f64 v[33:34], v[37:38], v[33:34], s[66:67]
	v_add_f64 v[47:48], v[35:36], -v[47:48]
	s_delay_alu instid0(VALU_DEP_3) | instskip(SKIP_1) | instid1(VALU_DEP_4)
	v_add_f64 v[45:46], v[35:36], v[43:44]
	v_add_f64 v[39:40], v[43:44], -v[39:40]
	v_fma_f64 v[33:34], v[37:38], v[33:34], s[68:69]
	s_delay_alu instid0(VALU_DEP_4) | instskip(NEXT) | instid1(VALU_DEP_4)
	v_add_f64 v[41:42], v[41:42], -v[47:48]
	v_add_f64 v[49:50], v[45:46], -v[35:36]
	s_delay_alu instid0(VALU_DEP_4) | instskip(NEXT) | instid1(VALU_DEP_4)
	v_add_f64 v[27:28], v[27:28], -v[39:40]
	v_fma_f64 v[33:34], v[37:38], v[33:34], s[70:71]
	s_delay_alu instid0(VALU_DEP_3) | instskip(SKIP_1) | instid1(VALU_DEP_4)
	v_add_f64 v[51:52], v[45:46], -v[49:50]
	v_add_f64 v[39:40], v[43:44], -v[49:50]
	v_add_f64 v[43:44], v[41:42], v[27:28]
	s_delay_alu instid0(VALU_DEP_4) | instskip(NEXT) | instid1(VALU_DEP_4)
	v_fma_f64 v[33:34], v[37:38], v[33:34], s[72:73]
	v_add_f64 v[35:36], v[35:36], -v[51:52]
	s_delay_alu instid0(VALU_DEP_2) | instskip(NEXT) | instid1(VALU_DEP_2)
	v_fma_f64 v[33:34], v[37:38], v[33:34], s[74:75]
	v_add_f64 v[35:36], v[39:40], v[35:36]
	v_add_f64 v[39:40], v[43:44], -v[41:42]
	s_delay_alu instid0(VALU_DEP_3) | instskip(NEXT) | instid1(VALU_DEP_3)
	v_fma_f64 v[33:34], v[37:38], v[33:34], s[76:77]
	v_add_f64 v[35:36], v[43:44], v[35:36]
	s_delay_alu instid0(VALU_DEP_3) | instskip(SKIP_1) | instid1(VALU_DEP_4)
	v_add_f64 v[43:44], v[43:44], -v[39:40]
	v_add_f64 v[27:28], v[27:28], -v[39:40]
	v_fma_f64 v[33:34], v[37:38], v[33:34], s[78:79]
	s_delay_alu instid0(VALU_DEP_4) | instskip(NEXT) | instid1(VALU_DEP_4)
	v_add_f64 v[47:48], v[45:46], v[35:36]
	v_add_f64 v[39:40], v[41:42], -v[43:44]
	s_delay_alu instid0(VALU_DEP_3) | instskip(NEXT) | instid1(VALU_DEP_3)
	v_fma_f64 v[33:34], v[37:38], v[33:34], s[80:81]
	v_add_f64 v[41:42], v[47:48], -v[45:46]
	s_delay_alu instid0(VALU_DEP_3) | instskip(NEXT) | instid1(VALU_DEP_3)
	v_add_f64 v[27:28], v[27:28], v[39:40]
	v_mul_f64 v[33:34], v[37:38], v[33:34]
	s_delay_alu instid0(VALU_DEP_3) | instskip(NEXT) | instid1(VALU_DEP_2)
	v_add_f64 v[35:36], v[35:36], -v[41:42]
	v_fma_f64 v[31:32], v[31:32], v[33:34], v[31:32]
	s_delay_alu instid0(VALU_DEP_2) | instskip(NEXT) | instid1(VALU_DEP_2)
	v_add_f64 v[27:28], v[27:28], v[35:36]
	v_add_f64 v[33:34], -v[31:32], s[82:83]
	s_delay_alu instid0(VALU_DEP_2) | instskip(SKIP_1) | instid1(VALU_DEP_1)
	v_add_f64 v[27:28], v[47:48], v[27:28]
	v_and_b32_e32 v30, 0x7fffffff, v30
	v_cmp_eq_f64_e32 vcc_lo, 0x7ff00000, v[29:30]
	s_delay_alu instid0(VALU_DEP_4) | instskip(SKIP_2) | instid1(VALU_DEP_2)
	v_cndmask_b32_e64 v30, v32, v34, s2
	v_cndmask_b32_e64 v29, v31, v33, s2
	v_cmp_eq_f64_e64 s2, 0, v[11:12]
	v_add_f64 v[31:32], -v[29:30], s[12:13]
	s_and_b32 vcc_lo, s3, vcc_lo
	v_cmp_class_f64_e64 s3, v[11:12], 0x204
	v_cndmask_b32_e32 v27, v27, v5, vcc_lo
	v_dual_cndmask_b32 v28, v28, v53 :: v_dual_and_b32 v5, 0x54442d18, v18
	v_cmp_gt_i32_e32 vcc_lo, 0, v10
	v_and_b32_e32 v10, 0x400921fb, v18
	s_delay_alu instid0(VALU_DEP_3) | instskip(SKIP_3) | instid1(VALU_DEP_3)
	v_add_f64 v[27:28], v[27:28], 1.0
	v_cndmask_b32_e32 v29, v29, v31, vcc_lo
	v_cndmask_b32_e32 v33, 0x54442d18, v55, vcc_lo
	;; [unrolled: 1-line block ×3, first 2 shown]
	v_cndmask_b32_e64 v29, v29, v5, s2
	v_cndmask_b32_e32 v18, v30, v32, vcc_lo
	v_cmp_ngt_f64_e32 vcc_lo, 0, v[6:7]
	s_delay_alu instid0(VALU_DEP_4) | instskip(NEXT) | instid1(VALU_DEP_3)
	v_bfi_b32 v9, 0x7fffffff, v9, v12
	v_cndmask_b32_e64 v5, v18, v10, s2
	v_cmp_nge_f64_e64 s2, 0, v[6:7]
	v_cndmask_b32_e64 v28, v28, 0x7ff00000, s6
	v_cndmask_b32_e64 v10, v27, 0, s6
	s_delay_alu instid0(VALU_DEP_2)
	v_cndmask_b32_e32 v18, 0x7ff80000, v28, vcc_lo
	s_and_b32 vcc_lo, s4, s3
	v_cndmask_b32_e32 v27, v29, v33, vcc_lo
	v_cndmask_b32_e32 v28, v5, v9, vcc_lo
	v_cndmask_b32_e64 v5, 0, v10, s2
	v_cmp_neq_f64_e64 s2, 0, v[6:7]
	s_delay_alu instid0(VALU_DEP_1)
	v_cndmask_b32_e64 v6, 0xfff00000, v18, s2
.LBB180_66:                             ;   in Loop: Header=BB180_5 Depth=1
	s_or_b32 exec_lo, exec_lo, s5
.LBB180_67:                             ;   in Loop: Header=BB180_5 Depth=1
	s_and_not1_saveexec_b32 s2, s97
	s_cbranch_execz .LBB180_73
; %bb.68:                               ;   in Loop: Header=BB180_5 Depth=1
	v_cmp_ngt_f64_e64 s3, 0x20000000, |v[9:10]|
	v_cmp_ngt_f64_e64 s4, 0x20000000, |v[11:12]|
                                        ; implicit-def: $vgpr6_vgpr7
	s_delay_alu instid0(VALU_DEP_1) | instskip(NEXT) | instid1(SALU_CYCLE_1)
	s_or_b32 s3, s3, s4
	s_and_saveexec_b32 s4, s3
	s_delay_alu instid0(SALU_CYCLE_1)
	s_xor_b32 s3, exec_lo, s4
; %bb.69:                               ;   in Loop: Header=BB180_5 Depth=1
	v_mul_f64 v[5:6], v[11:12], v[11:12]
	s_delay_alu instid0(VALU_DEP_1)
	v_fma_f64 v[6:7], v[9:10], v[9:10], v[5:6]
; %bb.70:                               ;   in Loop: Header=BB180_5 Depth=1
	s_and_not1_saveexec_b32 s3, s3
; %bb.71:                               ;   in Loop: Header=BB180_5 Depth=1
	v_mul_f64 v[5:6], v[11:12], 4.0
	v_mul_f64 v[9:10], v[9:10], 4.0
	s_delay_alu instid0(VALU_DEP_2) | instskip(NEXT) | instid1(VALU_DEP_1)
	v_mul_f64 v[5:6], v[5:6], v[5:6]
	v_fma_f64 v[5:6], v[9:10], v[9:10], v[5:6]
	s_delay_alu instid0(VALU_DEP_1)
	v_ldexp_f64 v[6:7], v[5:6], -4
; %bb.72:                               ;   in Loop: Header=BB180_5 Depth=1
	s_or_b32 exec_lo, exec_lo, s3
	s_delay_alu instid0(VALU_DEP_1) | instskip(SKIP_2) | instid1(VALU_DEP_2)
	v_frexp_mant_f64_e32 v[9:10], v[6:7]
	s_mov_b32 s93, s23
	v_frexp_exp_i32_f64_e32 v5, v[6:7]
	v_cmp_gt_f64_e32 vcc_lo, s[22:23], v[9:10]
	v_cndmask_b32_e64 v18, 0x3ff00000, 2.0, vcc_lo
	s_delay_alu instid0(VALU_DEP_3) | instskip(SKIP_1) | instid1(VALU_DEP_3)
	v_subrev_co_ci_u32_e32 v5, vcc_lo, 0, v5, vcc_lo
	v_cmp_class_f64_e64 vcc_lo, v[6:7], 0x204
	v_mul_f64 v[9:10], v[9:10], v[17:18]
	s_delay_alu instid0(VALU_DEP_1) | instskip(SKIP_1) | instid1(VALU_DEP_2)
	v_add_f64 v[27:28], v[9:10], 1.0
	v_add_f64 v[33:34], v[9:10], -1.0
	v_rcp_f64_e32 v[29:30], v[27:28]
	v_add_f64 v[35:36], v[27:28], -1.0
	s_delay_alu instid0(VALU_DEP_1) | instskip(SKIP_2) | instid1(VALU_DEP_1)
	v_add_f64 v[9:10], v[9:10], -v[35:36]
	s_waitcnt_depctr 0xfff
	v_fma_f64 v[31:32], -v[27:28], v[29:30], 1.0
	v_fma_f64 v[29:30], v[31:32], v[29:30], v[29:30]
	s_delay_alu instid0(VALU_DEP_1) | instskip(NEXT) | instid1(VALU_DEP_1)
	v_fma_f64 v[31:32], -v[27:28], v[29:30], 1.0
	v_fma_f64 v[29:30], v[31:32], v[29:30], v[29:30]
	s_delay_alu instid0(VALU_DEP_1) | instskip(NEXT) | instid1(VALU_DEP_1)
	v_mul_f64 v[31:32], v[33:34], v[29:30]
	v_mul_f64 v[37:38], v[27:28], v[31:32]
	s_delay_alu instid0(VALU_DEP_1) | instskip(NEXT) | instid1(VALU_DEP_1)
	v_fma_f64 v[27:28], v[31:32], v[27:28], -v[37:38]
	v_fma_f64 v[9:10], v[31:32], v[9:10], v[27:28]
	s_delay_alu instid0(VALU_DEP_1) | instskip(NEXT) | instid1(VALU_DEP_1)
	v_add_f64 v[27:28], v[37:38], v[9:10]
	v_add_f64 v[35:36], v[33:34], -v[27:28]
	v_add_f64 v[37:38], v[27:28], -v[37:38]
	s_delay_alu instid0(VALU_DEP_2) | instskip(NEXT) | instid1(VALU_DEP_2)
	v_add_f64 v[33:34], v[33:34], -v[35:36]
	v_add_f64 v[9:10], v[37:38], -v[9:10]
	s_delay_alu instid0(VALU_DEP_2) | instskip(NEXT) | instid1(VALU_DEP_1)
	v_add_f64 v[27:28], v[33:34], -v[27:28]
	v_add_f64 v[9:10], v[9:10], v[27:28]
	s_delay_alu instid0(VALU_DEP_1) | instskip(NEXT) | instid1(VALU_DEP_1)
	v_add_f64 v[9:10], v[35:36], v[9:10]
	v_mul_f64 v[9:10], v[29:30], v[9:10]
	s_delay_alu instid0(VALU_DEP_1) | instskip(NEXT) | instid1(VALU_DEP_1)
	v_add_f64 v[27:28], v[31:32], v[9:10]
	v_mul_f64 v[29:30], v[27:28], v[27:28]
	s_delay_alu instid0(VALU_DEP_1) | instskip(SKIP_1) | instid1(VALU_DEP_2)
	v_fma_f64 v[33:34], v[29:30], s[26:27], s[24:25]
	v_mul_f64 v[35:36], v[27:28], v[29:30]
	v_fma_f64 v[33:34], v[29:30], v[33:34], s[28:29]
	s_delay_alu instid0(VALU_DEP_1) | instskip(NEXT) | instid1(VALU_DEP_1)
	v_fma_f64 v[33:34], v[29:30], v[33:34], s[30:31]
	v_fma_f64 v[33:34], v[29:30], v[33:34], s[34:35]
	s_delay_alu instid0(VALU_DEP_1) | instskip(NEXT) | instid1(VALU_DEP_1)
	v_fma_f64 v[33:34], v[29:30], v[33:34], s[36:37]
	v_fma_f64 v[29:30], v[29:30], v[33:34], s[92:93]
	v_ldexp_f64 v[33:34], v[27:28], 1
	v_add_f64 v[27:28], v[27:28], -v[31:32]
	s_delay_alu instid0(VALU_DEP_3) | instskip(SKIP_1) | instid1(VALU_DEP_3)
	v_mul_f64 v[29:30], v[35:36], v[29:30]
	v_cvt_f64_i32_e32 v[35:36], v5
	v_add_f64 v[9:10], v[9:10], -v[27:28]
	s_delay_alu instid0(VALU_DEP_3) | instskip(NEXT) | instid1(VALU_DEP_3)
	v_add_f64 v[31:32], v[33:34], v[29:30]
	v_mul_f64 v[37:38], v[35:36], s[38:39]
	s_delay_alu instid0(VALU_DEP_3) | instskip(NEXT) | instid1(VALU_DEP_3)
	v_ldexp_f64 v[9:10], v[9:10], 1
	v_add_f64 v[27:28], v[31:32], -v[33:34]
	s_delay_alu instid0(VALU_DEP_3) | instskip(NEXT) | instid1(VALU_DEP_2)
	v_fma_f64 v[33:34], v[35:36], s[38:39], -v[37:38]
	v_add_f64 v[27:28], v[29:30], -v[27:28]
	s_delay_alu instid0(VALU_DEP_2) | instskip(NEXT) | instid1(VALU_DEP_2)
	v_fma_f64 v[29:30], v[35:36], s[40:41], v[33:34]
	v_add_f64 v[9:10], v[9:10], v[27:28]
	s_delay_alu instid0(VALU_DEP_2) | instskip(NEXT) | instid1(VALU_DEP_2)
	v_add_f64 v[27:28], v[37:38], v[29:30]
	v_add_f64 v[33:34], v[31:32], v[9:10]
	s_delay_alu instid0(VALU_DEP_2) | instskip(NEXT) | instid1(VALU_DEP_2)
	v_add_f64 v[37:38], v[27:28], -v[37:38]
	v_add_f64 v[35:36], v[27:28], v[33:34]
	v_add_f64 v[31:32], v[33:34], -v[31:32]
	s_delay_alu instid0(VALU_DEP_3) | instskip(NEXT) | instid1(VALU_DEP_3)
	v_add_f64 v[29:30], v[29:30], -v[37:38]
	v_add_f64 v[39:40], v[35:36], -v[27:28]
	s_delay_alu instid0(VALU_DEP_3) | instskip(NEXT) | instid1(VALU_DEP_2)
	v_add_f64 v[9:10], v[9:10], -v[31:32]
	v_add_f64 v[41:42], v[35:36], -v[39:40]
	;; [unrolled: 1-line block ×3, first 2 shown]
	s_delay_alu instid0(VALU_DEP_3) | instskip(NEXT) | instid1(VALU_DEP_3)
	v_add_f64 v[33:34], v[29:30], v[9:10]
	v_add_f64 v[27:28], v[27:28], -v[41:42]
	s_delay_alu instid0(VALU_DEP_1) | instskip(NEXT) | instid1(VALU_DEP_3)
	v_add_f64 v[27:28], v[31:32], v[27:28]
	v_add_f64 v[31:32], v[33:34], -v[29:30]
	s_delay_alu instid0(VALU_DEP_2) | instskip(NEXT) | instid1(VALU_DEP_2)
	v_add_f64 v[27:28], v[33:34], v[27:28]
	v_add_f64 v[33:34], v[33:34], -v[31:32]
	v_add_f64 v[9:10], v[9:10], -v[31:32]
	s_delay_alu instid0(VALU_DEP_3) | instskip(NEXT) | instid1(VALU_DEP_3)
	v_add_f64 v[37:38], v[35:36], v[27:28]
	v_add_f64 v[29:30], v[29:30], -v[33:34]
	s_delay_alu instid0(VALU_DEP_2) | instskip(NEXT) | instid1(VALU_DEP_2)
	v_add_f64 v[31:32], v[37:38], -v[35:36]
	v_add_f64 v[9:10], v[9:10], v[29:30]
	s_delay_alu instid0(VALU_DEP_2) | instskip(NEXT) | instid1(VALU_DEP_1)
	v_add_f64 v[27:28], v[27:28], -v[31:32]
	v_add_f64 v[9:10], v[9:10], v[27:28]
	s_delay_alu instid0(VALU_DEP_1) | instskip(NEXT) | instid1(VALU_DEP_1)
	v_add_f64 v[9:10], v[37:38], v[9:10]
	v_cndmask_b32_e32 v5, v9, v6, vcc_lo
	s_delay_alu instid0(VALU_DEP_2) | instskip(SKIP_1) | instid1(VALU_DEP_2)
	v_cndmask_b32_e32 v9, v10, v7, vcc_lo
	v_cmp_ngt_f64_e32 vcc_lo, 0, v[6:7]
	v_cndmask_b32_e32 v9, 0x7ff80000, v9, vcc_lo
	v_cmp_nge_f64_e32 vcc_lo, 0, v[6:7]
	v_mov_b32_e32 v27, 0
	v_dual_mov_b32 v28, 0x7ff80000 :: v_dual_cndmask_b32 v5, 0, v5
	v_cmp_neq_f64_e32 vcc_lo, 0, v[6:7]
	v_cndmask_b32_e32 v6, 0xfff00000, v9, vcc_lo
.LBB180_73:                             ;   in Loop: Header=BB180_5 Depth=1
	s_or_b32 exec_lo, exec_lo, s2
                                        ; implicit-def: $vgpr9_vgpr10
                                        ; implicit-def: $vgpr29_vgpr30
	s_delay_alu instid0(SALU_CYCLE_1)
	s_mov_b32 s2, exec_lo
	s_waitcnt vmcnt(0)
	v_cmpx_o_f64_e32 v[13:14], v[15:16]
	s_xor_b32 s97, exec_lo, s2
	s_cbranch_execz .LBB180_101
; %bb.74:                               ;   in Loop: Header=BB180_5 Depth=1
	v_cmp_lt_f64_e64 s2, |v[13:14]|, |v[15:16]|
	v_dual_mov_b32 v18, v15 :: v_dual_and_b32 v7, 0x7fffffff, v14
	v_and_b32_e32 v11, 0x7fffffff, v16
                                        ; implicit-def: $vgpr9_vgpr10
                                        ; implicit-def: $vgpr29_vgpr30
	s_mov_b32 s3, exec_lo
	s_delay_alu instid0(VALU_DEP_1) | instskip(NEXT) | instid1(VALU_DEP_3)
	v_cndmask_b32_e64 v34, v11, v7, s2
	v_cndmask_b32_e64 v33, v18, v13, s2
	s_delay_alu instid0(VALU_DEP_1)
	v_cmpx_nlt_f64_e32 s[14:15], v[33:34]
	s_xor_b32 s98, exec_lo, s3
	s_cbranch_execz .LBB180_98
; %bb.75:                               ;   in Loop: Header=BB180_5 Depth=1
	v_cndmask_b32_e64 v36, v7, v11, s2
	v_cndmask_b32_e64 v35, v13, v18, s2
                                        ; implicit-def: $vgpr9_vgpr10
                                        ; implicit-def: $vgpr29_vgpr30
	s_mov_b32 s3, exec_lo
	s_delay_alu instid0(VALU_DEP_1)
	v_cmpx_neq_f64_e32 1.0, v[35:36]
	s_xor_b32 s99, exec_lo, s3
	s_cbranch_execz .LBB180_91
; %bb.76:                               ;   in Loop: Header=BB180_5 Depth=1
	v_max_f64 v[9:10], v[33:34], v[33:34]
	v_max_f64 v[29:30], v[35:36], v[35:36]
	s_delay_alu instid0(VALU_DEP_1) | instskip(SKIP_1) | instid1(VALU_DEP_2)
	v_min_f64 v[31:32], v[29:30], v[9:10]
	v_max_f64 v[9:10], v[29:30], v[9:10]
                                        ; implicit-def: $vgpr29_vgpr30
	v_cmp_ngt_f64_e32 vcc_lo, s[18:19], v[31:32]
	s_delay_alu instid0(VALU_DEP_2) | instskip(NEXT) | instid1(VALU_DEP_1)
	v_cmp_nlt_f64_e64 s3, s[20:21], v[9:10]
                                        ; implicit-def: $vgpr9_vgpr10
	s_and_b32 s3, s3, vcc_lo
	s_delay_alu instid0(SALU_CYCLE_1) | instskip(NEXT) | instid1(SALU_CYCLE_1)
	s_and_saveexec_b32 s4, s3
	s_xor_b32 s103, exec_lo, s4
	s_cbranch_execz .LBB180_88
; %bb.77:                               ;   in Loop: Header=BB180_5 Depth=1
                                        ; implicit-def: $vgpr9_vgpr10
                                        ; implicit-def: $vgpr29_vgpr30
	s_mov_b32 s3, exec_lo
	v_cmpx_le_f64_e32 1.0, v[35:36]
	s_xor_b32 s4, exec_lo, s3
	s_cbranch_execz .LBB180_79
; %bb.78:                               ;   in Loop: Header=BB180_5 Depth=1
	v_add_f64 v[9:10], v[35:36], -1.0
	v_add_f64 v[29:30], v[35:36], 1.0
	s_mov_b32 s93, s23
	s_mov_b32 s12, s82
	v_cmp_gt_i32_e64 s3, 0, v14
	v_cmp_class_f64_e64 s6, v[13:14], 0x204
	v_cmp_class_f64_e64 s5, v[15:16], 0x204
	s_delay_alu instid0(VALU_DEP_3) | instskip(SKIP_1) | instid1(VALU_DEP_1)
	v_cndmask_b32_e64 v18, 0x54442d18, v55, s3
	v_mul_f64 v[9:10], v[9:10], v[29:30]
	v_fma_f64 v[10:11], v[33:34], v[33:34], v[9:10]
	s_delay_alu instid0(VALU_DEP_1) | instskip(NEXT) | instid1(VALU_DEP_1)
	v_add_f64 v[29:30], v[10:11], 1.0
	v_frexp_mant_f64_e32 v[31:32], v[29:30]
	v_frexp_exp_i32_f64_e32 v7, v[29:30]
	v_add_f64 v[33:34], v[29:30], -1.0
	s_delay_alu instid0(VALU_DEP_3) | instskip(NEXT) | instid1(VALU_DEP_2)
	v_cmp_gt_f64_e32 vcc_lo, s[22:23], v[31:32]
	v_add_f64 v[31:32], v[33:34], -v[29:30]
	v_add_f64 v[33:34], v[10:11], -v[33:34]
	v_subrev_co_ci_u32_e32 v7, vcc_lo, 0, v7, vcc_lo
	s_delay_alu instid0(VALU_DEP_3) | instskip(NEXT) | instid1(VALU_DEP_2)
	v_add_f64 v[31:32], v[31:32], 1.0
	v_sub_nc_u32_e32 v9, 0, v7
	s_delay_alu instid0(VALU_DEP_1) | instskip(NEXT) | instid1(VALU_DEP_3)
	v_ldexp_f64 v[29:30], v[29:30], v9
	v_add_f64 v[31:32], v[33:34], v[31:32]
	s_delay_alu instid0(VALU_DEP_2) | instskip(SKIP_1) | instid1(VALU_DEP_3)
	v_add_f64 v[35:36], v[29:30], 1.0
	v_add_f64 v[41:42], v[29:30], -1.0
	v_ldexp_f64 v[31:32], v[31:32], v9
	s_delay_alu instid0(VALU_DEP_3) | instskip(NEXT) | instid1(VALU_DEP_3)
	v_add_f64 v[33:34], v[35:36], -1.0
	v_add_f64 v[43:44], v[41:42], 1.0
	s_delay_alu instid0(VALU_DEP_2) | instskip(NEXT) | instid1(VALU_DEP_2)
	v_add_f64 v[33:34], v[29:30], -v[33:34]
	v_add_f64 v[29:30], v[29:30], -v[43:44]
	s_delay_alu instid0(VALU_DEP_2) | instskip(NEXT) | instid1(VALU_DEP_2)
	v_add_f64 v[33:34], v[31:32], v[33:34]
	v_add_f64 v[29:30], v[31:32], v[29:30]
	s_delay_alu instid0(VALU_DEP_2) | instskip(NEXT) | instid1(VALU_DEP_2)
	v_add_f64 v[37:38], v[35:36], v[33:34]
	v_add_f64 v[43:44], v[41:42], v[29:30]
	s_delay_alu instid0(VALU_DEP_2) | instskip(SKIP_1) | instid1(VALU_DEP_2)
	v_rcp_f64_e32 v[39:40], v[37:38]
	v_add_f64 v[35:36], v[37:38], -v[35:36]
	v_add_f64 v[41:42], v[43:44], -v[41:42]
	s_delay_alu instid0(VALU_DEP_2) | instskip(SKIP_3) | instid1(VALU_DEP_2)
	v_add_f64 v[33:34], v[33:34], -v[35:36]
	s_waitcnt_depctr 0xfff
	v_fma_f64 v[45:46], -v[37:38], v[39:40], 1.0
	v_add_f64 v[29:30], v[29:30], -v[41:42]
	v_fma_f64 v[39:40], v[45:46], v[39:40], v[39:40]
	s_delay_alu instid0(VALU_DEP_1) | instskip(NEXT) | instid1(VALU_DEP_1)
	v_fma_f64 v[31:32], -v[37:38], v[39:40], 1.0
	v_fma_f64 v[31:32], v[31:32], v[39:40], v[39:40]
	s_delay_alu instid0(VALU_DEP_1) | instskip(NEXT) | instid1(VALU_DEP_1)
	v_mul_f64 v[39:40], v[43:44], v[31:32]
	v_mul_f64 v[45:46], v[37:38], v[39:40]
	s_delay_alu instid0(VALU_DEP_1) | instskip(NEXT) | instid1(VALU_DEP_1)
	v_fma_f64 v[35:36], v[39:40], v[37:38], -v[45:46]
	v_fma_f64 v[35:36], v[39:40], v[33:34], v[35:36]
	s_delay_alu instid0(VALU_DEP_1) | instskip(NEXT) | instid1(VALU_DEP_1)
	v_add_f64 v[47:48], v[45:46], v[35:36]
	v_add_f64 v[49:50], v[43:44], -v[47:48]
	v_add_f64 v[41:42], v[47:48], -v[45:46]
	v_max_f64 v[45:46], |v[15:16]|, |v[15:16]|
	s_delay_alu instid0(VALU_DEP_3) | instskip(NEXT) | instid1(VALU_DEP_3)
	v_add_f64 v[43:44], v[43:44], -v[49:50]
	v_add_f64 v[35:36], v[41:42], -v[35:36]
	s_delay_alu instid0(VALU_DEP_2) | instskip(SKIP_2) | instid1(VALU_DEP_1)
	v_add_f64 v[43:44], v[43:44], -v[47:48]
	v_max_f64 v[47:48], |v[13:14]|, |v[13:14]|
	v_cndmask_b32_e64 v13, 0x3fe921fb, v56, s3
	v_bfi_b32 v13, 0x7fffffff, v13, v16
	s_delay_alu instid0(VALU_DEP_4) | instskip(NEXT) | instid1(VALU_DEP_4)
	v_add_f64 v[29:30], v[29:30], v[43:44]
	v_max_f64 v[51:52], v[47:48], v[45:46]
	v_min_f64 v[45:46], v[47:48], v[45:46]
	s_delay_alu instid0(VALU_DEP_3) | instskip(NEXT) | instid1(VALU_DEP_1)
	v_add_f64 v[29:30], v[35:36], v[29:30]
	v_add_f64 v[35:36], v[49:50], v[29:30]
	s_delay_alu instid0(VALU_DEP_1) | instskip(SKIP_1) | instid1(VALU_DEP_2)
	v_mul_f64 v[41:42], v[31:32], v[35:36]
	v_add_f64 v[49:50], v[49:50], -v[35:36]
	v_mul_f64 v[43:44], v[37:38], v[41:42]
	s_delay_alu instid0(VALU_DEP_2) | instskip(NEXT) | instid1(VALU_DEP_2)
	v_add_f64 v[29:30], v[29:30], v[49:50]
	v_fma_f64 v[37:38], v[41:42], v[37:38], -v[43:44]
	s_delay_alu instid0(VALU_DEP_1) | instskip(SKIP_1) | instid1(VALU_DEP_2)
	v_fma_f64 v[33:34], v[41:42], v[33:34], v[37:38]
	v_div_scale_f64 v[37:38], null, v[51:52], v[51:52], v[45:46]
	v_add_f64 v[47:48], v[43:44], v[33:34]
	s_delay_alu instid0(VALU_DEP_2) | instskip(NEXT) | instid1(VALU_DEP_1)
	v_rcp_f64_e32 v[53:54], v[37:38]
	v_add_f64 v[57:58], v[35:36], -v[47:48]
	v_add_f64 v[43:44], v[47:48], -v[43:44]
	s_waitcnt_depctr 0xfff
	v_fma_f64 v[59:60], -v[37:38], v[53:54], 1.0
	v_add_f64 v[35:36], v[35:36], -v[57:58]
	v_add_f64 v[33:34], v[43:44], -v[33:34]
	s_delay_alu instid0(VALU_DEP_3) | instskip(NEXT) | instid1(VALU_DEP_3)
	v_fma_f64 v[53:54], v[53:54], v[59:60], v[53:54]
	v_add_f64 v[35:36], v[35:36], -v[47:48]
	s_delay_alu instid0(VALU_DEP_2) | instskip(NEXT) | instid1(VALU_DEP_2)
	v_fma_f64 v[47:48], -v[37:38], v[53:54], 1.0
	v_add_f64 v[29:30], v[29:30], v[35:36]
	v_div_scale_f64 v[35:36], vcc_lo, v[45:46], v[51:52], v[45:46]
	s_delay_alu instid0(VALU_DEP_3) | instskip(SKIP_1) | instid1(VALU_DEP_4)
	v_fma_f64 v[43:44], v[53:54], v[47:48], v[53:54]
	v_add_f64 v[47:48], v[39:40], v[41:42]
	v_add_f64 v[29:30], v[33:34], v[29:30]
	s_delay_alu instid0(VALU_DEP_3) | instskip(NEXT) | instid1(VALU_DEP_3)
	v_mul_f64 v[33:34], v[35:36], v[43:44]
	v_add_f64 v[39:40], v[47:48], -v[39:40]
	s_delay_alu instid0(VALU_DEP_3) | instskip(NEXT) | instid1(VALU_DEP_3)
	v_add_f64 v[29:30], v[57:58], v[29:30]
	v_fma_f64 v[35:36], -v[37:38], v[33:34], v[35:36]
	s_delay_alu instid0(VALU_DEP_3) | instskip(NEXT) | instid1(VALU_DEP_3)
	v_add_f64 v[37:38], v[41:42], -v[39:40]
	v_mul_f64 v[29:30], v[31:32], v[29:30]
	s_delay_alu instid0(VALU_DEP_3) | instskip(SKIP_1) | instid1(VALU_DEP_3)
	v_div_fmas_f64 v[31:32], v[35:36], v[43:44], v[33:34]
	v_cmp_eq_f64_e32 vcc_lo, 0x7ff00000, v[10:11]
	v_add_f64 v[29:30], v[37:38], v[29:30]
	s_delay_alu instid0(VALU_DEP_3) | instskip(NEXT) | instid1(VALU_DEP_2)
	v_div_fixup_f64 v[31:32], v[31:32], v[51:52], v[45:46]
	v_add_f64 v[33:34], v[47:48], v[29:30]
	s_delay_alu instid0(VALU_DEP_2) | instskip(NEXT) | instid1(VALU_DEP_2)
	v_mul_f64 v[35:36], v[31:32], v[31:32]
	v_mul_f64 v[37:38], v[33:34], v[33:34]
	s_delay_alu instid0(VALU_DEP_2) | instskip(NEXT) | instid1(VALU_DEP_2)
	v_fma_f64 v[39:40], v[35:36], s[44:45], s[42:43]
	v_fma_f64 v[41:42], v[37:38], s[26:27], s[24:25]
	v_mul_f64 v[43:44], v[33:34], v[37:38]
	s_delay_alu instid0(VALU_DEP_3) | instskip(NEXT) | instid1(VALU_DEP_3)
	v_fma_f64 v[39:40], v[35:36], v[39:40], s[46:47]
	v_fma_f64 v[41:42], v[37:38], v[41:42], s[28:29]
	s_delay_alu instid0(VALU_DEP_2) | instskip(NEXT) | instid1(VALU_DEP_2)
	v_fma_f64 v[39:40], v[35:36], v[39:40], s[48:49]
	v_fma_f64 v[41:42], v[37:38], v[41:42], s[30:31]
	s_delay_alu instid0(VALU_DEP_2) | instskip(NEXT) | instid1(VALU_DEP_2)
	;; [unrolled: 3-line block ×4, first 2 shown]
	v_fma_f64 v[39:40], v[35:36], v[39:40], s[54:55]
	v_fma_f64 v[37:38], v[37:38], v[41:42], s[92:93]
	v_ldexp_f64 v[41:42], v[33:34], 1
	v_add_f64 v[33:34], v[33:34], -v[47:48]
	s_delay_alu instid0(VALU_DEP_4) | instskip(NEXT) | instid1(VALU_DEP_4)
	v_fma_f64 v[39:40], v[35:36], v[39:40], s[56:57]
	v_mul_f64 v[37:38], v[43:44], v[37:38]
	v_cvt_f64_i32_e32 v[43:44], v7
	s_delay_alu instid0(VALU_DEP_4) | instskip(NEXT) | instid1(VALU_DEP_4)
	v_add_f64 v[29:30], v[29:30], -v[33:34]
	v_fma_f64 v[39:40], v[35:36], v[39:40], s[58:59]
	v_ashrrev_i32_e32 v7, 31, v14
	s_delay_alu instid0(VALU_DEP_1)
	v_and_b32_e32 v9, 0x54442d18, v7
	v_and_b32_e32 v7, 0x400921fb, v7
	v_add_f64 v[45:46], v[41:42], v[37:38]
	v_mul_f64 v[47:48], v[43:44], s[38:39]
	v_ldexp_f64 v[29:30], v[29:30], 1
	v_fma_f64 v[39:40], v[35:36], v[39:40], s[60:61]
	s_delay_alu instid0(VALU_DEP_4) | instskip(NEXT) | instid1(VALU_DEP_4)
	v_add_f64 v[33:34], v[45:46], -v[41:42]
	v_fma_f64 v[41:42], v[43:44], s[38:39], -v[47:48]
	s_delay_alu instid0(VALU_DEP_3) | instskip(NEXT) | instid1(VALU_DEP_3)
	v_fma_f64 v[39:40], v[35:36], v[39:40], s[62:63]
	v_add_f64 v[33:34], v[37:38], -v[33:34]
	s_delay_alu instid0(VALU_DEP_2) | instskip(NEXT) | instid1(VALU_DEP_4)
	v_fma_f64 v[37:38], v[35:36], v[39:40], s[64:65]
	v_fma_f64 v[39:40], v[43:44], s[40:41], v[41:42]
	s_delay_alu instid0(VALU_DEP_3) | instskip(NEXT) | instid1(VALU_DEP_3)
	v_add_f64 v[29:30], v[29:30], v[33:34]
	v_fma_f64 v[33:34], v[35:36], v[37:38], s[66:67]
	s_delay_alu instid0(VALU_DEP_3) | instskip(NEXT) | instid1(VALU_DEP_3)
	v_add_f64 v[37:38], v[47:48], v[39:40]
	v_add_f64 v[41:42], v[45:46], v[29:30]
	s_delay_alu instid0(VALU_DEP_3) | instskip(NEXT) | instid1(VALU_DEP_3)
	v_fma_f64 v[33:34], v[35:36], v[33:34], s[68:69]
	v_add_f64 v[47:48], v[37:38], -v[47:48]
	s_delay_alu instid0(VALU_DEP_3) | instskip(SKIP_1) | instid1(VALU_DEP_4)
	v_add_f64 v[43:44], v[37:38], v[41:42]
	v_add_f64 v[45:46], v[41:42], -v[45:46]
	v_fma_f64 v[33:34], v[35:36], v[33:34], s[70:71]
	s_delay_alu instid0(VALU_DEP_4) | instskip(NEXT) | instid1(VALU_DEP_4)
	v_add_f64 v[39:40], v[39:40], -v[47:48]
	v_add_f64 v[49:50], v[43:44], -v[37:38]
	s_delay_alu instid0(VALU_DEP_4) | instskip(NEXT) | instid1(VALU_DEP_4)
	v_add_f64 v[29:30], v[29:30], -v[45:46]
	v_fma_f64 v[33:34], v[35:36], v[33:34], s[72:73]
	s_delay_alu instid0(VALU_DEP_3) | instskip(SKIP_1) | instid1(VALU_DEP_4)
	v_add_f64 v[51:52], v[43:44], -v[49:50]
	v_add_f64 v[41:42], v[41:42], -v[49:50]
	v_add_f64 v[45:46], v[39:40], v[29:30]
	s_delay_alu instid0(VALU_DEP_4) | instskip(NEXT) | instid1(VALU_DEP_4)
	v_fma_f64 v[33:34], v[35:36], v[33:34], s[74:75]
	v_add_f64 v[37:38], v[37:38], -v[51:52]
	s_delay_alu instid0(VALU_DEP_2) | instskip(NEXT) | instid1(VALU_DEP_2)
	v_fma_f64 v[33:34], v[35:36], v[33:34], s[76:77]
	v_add_f64 v[37:38], v[41:42], v[37:38]
	v_add_f64 v[41:42], v[45:46], -v[39:40]
	s_delay_alu instid0(VALU_DEP_3) | instskip(NEXT) | instid1(VALU_DEP_3)
	v_fma_f64 v[33:34], v[35:36], v[33:34], s[78:79]
	v_add_f64 v[37:38], v[45:46], v[37:38]
	s_delay_alu instid0(VALU_DEP_3) | instskip(SKIP_1) | instid1(VALU_DEP_4)
	v_add_f64 v[45:46], v[45:46], -v[41:42]
	v_add_f64 v[29:30], v[29:30], -v[41:42]
	v_fma_f64 v[33:34], v[35:36], v[33:34], s[80:81]
	s_delay_alu instid0(VALU_DEP_4) | instskip(NEXT) | instid1(VALU_DEP_2)
	v_add_f64 v[47:48], v[43:44], v[37:38]
	v_mul_f64 v[33:34], v[35:36], v[33:34]
	v_add_f64 v[35:36], v[39:40], -v[45:46]
	s_delay_alu instid0(VALU_DEP_3) | instskip(NEXT) | instid1(VALU_DEP_3)
	v_add_f64 v[39:40], v[47:48], -v[43:44]
	v_fma_f64 v[31:32], v[31:32], v[33:34], v[31:32]
	s_delay_alu instid0(VALU_DEP_3) | instskip(NEXT) | instid1(VALU_DEP_3)
	v_add_f64 v[29:30], v[29:30], v[35:36]
	v_add_f64 v[33:34], v[37:38], -v[39:40]
	s_delay_alu instid0(VALU_DEP_3) | instskip(NEXT) | instid1(VALU_DEP_2)
	v_add_f64 v[35:36], -v[31:32], s[82:83]
	v_add_f64 v[29:30], v[29:30], v[33:34]
	s_delay_alu instid0(VALU_DEP_2) | instskip(NEXT) | instid1(VALU_DEP_3)
	v_cndmask_b32_e64 v32, v32, v36, s2
	v_cndmask_b32_e64 v31, v31, v35, s2
                                        ; implicit-def: $vgpr35_vgpr36
	s_delay_alu instid0(VALU_DEP_1) | instskip(NEXT) | instid1(VALU_DEP_4)
	v_add_f64 v[33:34], -v[31:32], s[12:13]
	v_add_f64 v[29:30], v[47:48], v[29:30]
	s_delay_alu instid0(VALU_DEP_2) | instskip(NEXT) | instid1(VALU_DEP_3)
	v_cndmask_b32_e64 v31, v31, v33, s3
	v_cndmask_b32_e64 v14, v32, v34, s3
	v_cmp_nge_f64_e64 s3, -1.0, v[10:11]
                                        ; implicit-def: $vgpr33_vgpr34
	s_delay_alu instid0(VALU_DEP_4) | instskip(SKIP_1) | instid1(VALU_DEP_2)
	v_dual_cndmask_b32 v30, v30, v11 :: v_dual_cndmask_b32 v29, v29, v10
	v_cmp_eq_f64_e32 vcc_lo, 0, v[15:16]
	v_mul_f64 v[29:30], v[29:30], 0.5
	v_cndmask_b32_e32 v31, v31, v9, vcc_lo
	v_cndmask_b32_e32 v7, v14, v7, vcc_lo
	v_cmp_ngt_f64_e32 vcc_lo, -1.0, v[10:11]
	s_delay_alu instid0(VALU_DEP_4)
	v_cndmask_b32_e64 v9, 0, v29, s3
	v_cmp_neq_f64_e64 s3, -1.0, v[10:11]
	v_cndmask_b32_e32 v14, 0x7ff80000, v30, vcc_lo
	s_and_b32 vcc_lo, s6, s5
	v_cndmask_b32_e32 v30, v7, v13, vcc_lo
	v_cndmask_b32_e32 v29, v31, v18, vcc_lo
	s_delay_alu instid0(VALU_DEP_3)
	v_cndmask_b32_e64 v10, 0xfff00000, v14, s3
.LBB180_79:                             ;   in Loop: Header=BB180_5 Depth=1
	s_and_not1_saveexec_b32 s104, s4
	s_cbranch_execz .LBB180_87
; %bb.80:                               ;   in Loop: Header=BB180_5 Depth=1
	v_mul_f64 v[9:10], v[33:34], v[33:34]
                                        ; implicit-def: $vgpr29_vgpr30
	s_mov_b32 s3, exec_lo
	s_delay_alu instid0(VALU_DEP_1) | instskip(NEXT) | instid1(VALU_DEP_1)
	v_fma_f64 v[31:32], v[35:36], v[35:36], v[9:10]
                                        ; implicit-def: $vgpr9_vgpr10
	v_cmpx_ge_f64_e32 s[84:85], v[31:32]
	s_xor_b32 s5, exec_lo, s3
	s_cbranch_execz .LBB180_82
; %bb.81:                               ;   in Loop: Header=BB180_5 Depth=1
	v_frexp_mant_f64_e32 v[9:10], v[31:32]
	v_max_f64 v[39:40], |v[13:14]|, |v[13:14]|
	s_mov_b32 s93, s23
	v_frexp_exp_i32_f64_e32 v7, v[31:32]
	s_mov_b32 s12, s82
	v_cmp_class_f64_e64 s6, v[15:16], 0x204
	v_cmp_class_f64_e64 s7, v[13:14], 0x204
	v_cmp_neq_f64_e64 s4, 0, v[31:32]
	v_cmp_gt_f64_e64 s3, s[22:23], v[9:10]
	s_delay_alu instid0(VALU_DEP_1) | instskip(NEXT) | instid1(VALU_DEP_1)
	v_cndmask_b32_e64 v18, 0x3ff00000, 2.0, s3
	v_mul_f64 v[9:10], v[9:10], v[17:18]
	s_delay_alu instid0(VALU_DEP_1) | instskip(SKIP_1) | instid1(VALU_DEP_2)
	v_add_f64 v[29:30], v[9:10], 1.0
	v_add_f64 v[37:38], v[9:10], -1.0
	v_rcp_f64_e32 v[33:34], v[29:30]
	s_waitcnt_depctr 0xfff
	v_fma_f64 v[35:36], -v[29:30], v[33:34], 1.0
	s_delay_alu instid0(VALU_DEP_1) | instskip(NEXT) | instid1(VALU_DEP_1)
	v_fma_f64 v[33:34], v[35:36], v[33:34], v[33:34]
	v_fma_f64 v[35:36], -v[29:30], v[33:34], 1.0
	s_delay_alu instid0(VALU_DEP_1) | instskip(SKIP_1) | instid1(VALU_DEP_2)
	v_fma_f64 v[33:34], v[35:36], v[33:34], v[33:34]
	v_max_f64 v[35:36], |v[15:16]|, |v[15:16]|
	v_mul_f64 v[41:42], v[37:38], v[33:34]
	s_delay_alu instid0(VALU_DEP_2) | instskip(SKIP_2) | instid1(VALU_DEP_4)
	v_max_f64 v[43:44], v[39:40], v[35:36]
	v_min_f64 v[35:36], v[39:40], v[35:36]
	v_add_f64 v[39:40], v[29:30], -1.0
	v_mul_f64 v[45:46], v[29:30], v[41:42]
	s_delay_alu instid0(VALU_DEP_3) | instskip(NEXT) | instid1(VALU_DEP_3)
	v_div_scale_f64 v[47:48], null, v[43:44], v[43:44], v[35:36]
	v_add_f64 v[9:10], v[9:10], -v[39:40]
	v_div_scale_f64 v[53:54], vcc_lo, v[35:36], v[43:44], v[35:36]
	s_delay_alu instid0(VALU_DEP_4) | instskip(NEXT) | instid1(VALU_DEP_4)
	v_fma_f64 v[29:30], v[41:42], v[29:30], -v[45:46]
	v_rcp_f64_e32 v[39:40], v[47:48]
	s_delay_alu instid0(VALU_DEP_1) | instskip(SKIP_3) | instid1(VALU_DEP_2)
	v_fma_f64 v[9:10], v[41:42], v[9:10], v[29:30]
	s_waitcnt_depctr 0xfff
	v_fma_f64 v[29:30], -v[47:48], v[39:40], 1.0
	v_add_f64 v[49:50], v[45:46], v[9:10]
	v_fma_f64 v[29:30], v[39:40], v[29:30], v[39:40]
	s_delay_alu instid0(VALU_DEP_2) | instskip(SKIP_1) | instid1(VALU_DEP_3)
	v_add_f64 v[39:40], v[37:38], -v[49:50]
	v_add_f64 v[45:46], v[49:50], -v[45:46]
	v_fma_f64 v[51:52], -v[47:48], v[29:30], 1.0
	s_delay_alu instid0(VALU_DEP_3) | instskip(NEXT) | instid1(VALU_DEP_3)
	v_add_f64 v[37:38], v[37:38], -v[39:40]
	v_add_f64 v[9:10], v[45:46], -v[9:10]
	s_delay_alu instid0(VALU_DEP_3) | instskip(NEXT) | instid1(VALU_DEP_3)
	v_fma_f64 v[29:30], v[29:30], v[51:52], v[29:30]
	v_add_f64 v[37:38], v[37:38], -v[49:50]
	s_delay_alu instid0(VALU_DEP_2) | instskip(NEXT) | instid1(VALU_DEP_2)
	v_mul_f64 v[45:46], v[53:54], v[29:30]
	v_add_f64 v[9:10], v[9:10], v[37:38]
	s_delay_alu instid0(VALU_DEP_2) | instskip(NEXT) | instid1(VALU_DEP_2)
	v_fma_f64 v[37:38], -v[47:48], v[45:46], v[53:54]
	v_add_f64 v[9:10], v[39:40], v[9:10]
	s_delay_alu instid0(VALU_DEP_2)
	v_div_fmas_f64 v[29:30], v[37:38], v[29:30], v[45:46]
	v_subrev_co_ci_u32_e64 v7, vcc_lo, 0, v7, s3
	v_cmp_eq_f64_e64 s3, 0, v[15:16]
	v_cmp_gt_i32_e32 vcc_lo, 0, v14
	v_cndmask_b32_e32 v13, 0x3fe921fb, v56, vcc_lo
	v_cndmask_b32_e32 v11, 0x54442d18, v55, vcc_lo
	s_delay_alu instid0(VALU_DEP_2) | instskip(SKIP_2) | instid1(VALU_DEP_2)
	v_bfi_b32 v13, 0x7fffffff, v13, v16
	v_mul_f64 v[9:10], v[33:34], v[9:10]
	v_div_fixup_f64 v[29:30], v[29:30], v[43:44], v[35:36]
	v_add_f64 v[33:34], v[41:42], v[9:10]
	s_delay_alu instid0(VALU_DEP_2) | instskip(NEXT) | instid1(VALU_DEP_2)
	v_mul_f64 v[35:36], v[29:30], v[29:30]
	v_mul_f64 v[37:38], v[33:34], v[33:34]
	s_delay_alu instid0(VALU_DEP_2) | instskip(NEXT) | instid1(VALU_DEP_2)
	v_fma_f64 v[39:40], v[35:36], s[44:45], s[42:43]
	v_fma_f64 v[43:44], v[37:38], s[26:27], s[24:25]
	v_mul_f64 v[45:46], v[33:34], v[37:38]
	s_delay_alu instid0(VALU_DEP_3) | instskip(NEXT) | instid1(VALU_DEP_3)
	v_fma_f64 v[39:40], v[35:36], v[39:40], s[46:47]
	v_fma_f64 v[43:44], v[37:38], v[43:44], s[28:29]
	s_delay_alu instid0(VALU_DEP_2) | instskip(NEXT) | instid1(VALU_DEP_2)
	v_fma_f64 v[39:40], v[35:36], v[39:40], s[48:49]
	v_fma_f64 v[43:44], v[37:38], v[43:44], s[30:31]
	s_delay_alu instid0(VALU_DEP_2) | instskip(NEXT) | instid1(VALU_DEP_2)
	v_fma_f64 v[39:40], v[35:36], v[39:40], s[50:51]
	v_fma_f64 v[43:44], v[37:38], v[43:44], s[34:35]
	s_delay_alu instid0(VALU_DEP_2) | instskip(NEXT) | instid1(VALU_DEP_2)
	v_fma_f64 v[39:40], v[35:36], v[39:40], s[52:53]
	v_fma_f64 v[43:44], v[37:38], v[43:44], s[36:37]
	s_delay_alu instid0(VALU_DEP_2) | instskip(NEXT) | instid1(VALU_DEP_2)
	v_fma_f64 v[39:40], v[35:36], v[39:40], s[54:55]
	v_fma_f64 v[37:38], v[37:38], v[43:44], s[92:93]
	v_ldexp_f64 v[43:44], v[33:34], 1
	v_add_f64 v[33:34], v[33:34], -v[41:42]
	s_delay_alu instid0(VALU_DEP_4) | instskip(NEXT) | instid1(VALU_DEP_4)
	v_fma_f64 v[39:40], v[35:36], v[39:40], s[56:57]
	v_mul_f64 v[37:38], v[45:46], v[37:38]
	v_cvt_f64_i32_e32 v[45:46], v7
	s_delay_alu instid0(VALU_DEP_4)
	v_add_f64 v[9:10], v[9:10], -v[33:34]
	v_ashrrev_i32_e32 v7, 31, v14
	v_fma_f64 v[39:40], v[35:36], v[39:40], s[58:59]
	v_add_f64 v[41:42], v[43:44], v[37:38]
	v_mul_f64 v[47:48], v[45:46], s[38:39]
	v_ldexp_f64 v[9:10], v[9:10], 1
	s_delay_alu instid0(VALU_DEP_4) | instskip(NEXT) | instid1(VALU_DEP_4)
	v_fma_f64 v[39:40], v[35:36], v[39:40], s[60:61]
	v_add_f64 v[33:34], v[41:42], -v[43:44]
	s_delay_alu instid0(VALU_DEP_4) | instskip(NEXT) | instid1(VALU_DEP_3)
	v_fma_f64 v[43:44], v[45:46], s[38:39], -v[47:48]
	v_fma_f64 v[39:40], v[35:36], v[39:40], s[62:63]
	s_delay_alu instid0(VALU_DEP_3) | instskip(NEXT) | instid1(VALU_DEP_2)
	v_add_f64 v[33:34], v[37:38], -v[33:34]
	v_fma_f64 v[37:38], v[35:36], v[39:40], s[64:65]
	s_delay_alu instid0(VALU_DEP_4) | instskip(NEXT) | instid1(VALU_DEP_3)
	v_fma_f64 v[39:40], v[45:46], s[40:41], v[43:44]
	v_add_f64 v[9:10], v[9:10], v[33:34]
	s_delay_alu instid0(VALU_DEP_3) | instskip(NEXT) | instid1(VALU_DEP_3)
	v_fma_f64 v[33:34], v[35:36], v[37:38], s[66:67]
	v_add_f64 v[37:38], v[47:48], v[39:40]
	s_delay_alu instid0(VALU_DEP_3) | instskip(NEXT) | instid1(VALU_DEP_3)
	v_add_f64 v[43:44], v[41:42], v[9:10]
	v_fma_f64 v[33:34], v[35:36], v[33:34], s[68:69]
	s_delay_alu instid0(VALU_DEP_3) | instskip(NEXT) | instid1(VALU_DEP_3)
	v_add_f64 v[47:48], v[37:38], -v[47:48]
	v_add_f64 v[45:46], v[37:38], v[43:44]
	v_add_f64 v[41:42], v[43:44], -v[41:42]
	s_delay_alu instid0(VALU_DEP_4) | instskip(NEXT) | instid1(VALU_DEP_4)
	v_fma_f64 v[33:34], v[35:36], v[33:34], s[70:71]
	v_add_f64 v[39:40], v[39:40], -v[47:48]
	s_delay_alu instid0(VALU_DEP_4) | instskip(NEXT) | instid1(VALU_DEP_4)
	v_add_f64 v[49:50], v[45:46], -v[37:38]
	v_add_f64 v[9:10], v[9:10], -v[41:42]
	s_delay_alu instid0(VALU_DEP_4) | instskip(NEXT) | instid1(VALU_DEP_3)
	v_fma_f64 v[33:34], v[35:36], v[33:34], s[72:73]
	v_add_f64 v[51:52], v[45:46], -v[49:50]
	v_add_f64 v[41:42], v[43:44], -v[49:50]
	s_delay_alu instid0(VALU_DEP_4) | instskip(NEXT) | instid1(VALU_DEP_4)
	v_add_f64 v[43:44], v[39:40], v[9:10]
	v_fma_f64 v[33:34], v[35:36], v[33:34], s[74:75]
	s_delay_alu instid0(VALU_DEP_4) | instskip(NEXT) | instid1(VALU_DEP_2)
	v_add_f64 v[37:38], v[37:38], -v[51:52]
	v_fma_f64 v[33:34], v[35:36], v[33:34], s[76:77]
	s_delay_alu instid0(VALU_DEP_2) | instskip(SKIP_1) | instid1(VALU_DEP_3)
	v_add_f64 v[37:38], v[41:42], v[37:38]
	v_add_f64 v[41:42], v[43:44], -v[39:40]
	v_fma_f64 v[33:34], v[35:36], v[33:34], s[78:79]
	s_delay_alu instid0(VALU_DEP_3) | instskip(NEXT) | instid1(VALU_DEP_3)
	v_add_f64 v[37:38], v[43:44], v[37:38]
	v_add_f64 v[43:44], v[43:44], -v[41:42]
	v_add_f64 v[9:10], v[9:10], -v[41:42]
	s_delay_alu instid0(VALU_DEP_4) | instskip(NEXT) | instid1(VALU_DEP_4)
	v_fma_f64 v[33:34], v[35:36], v[33:34], s[80:81]
	v_add_f64 v[47:48], v[45:46], v[37:38]
	s_delay_alu instid0(VALU_DEP_2) | instskip(SKIP_1) | instid1(VALU_DEP_3)
	v_mul_f64 v[33:34], v[35:36], v[33:34]
	v_add_f64 v[35:36], v[39:40], -v[43:44]
	v_add_f64 v[39:40], v[47:48], -v[45:46]
	s_delay_alu instid0(VALU_DEP_3) | instskip(NEXT) | instid1(VALU_DEP_3)
	v_fma_f64 v[29:30], v[29:30], v[33:34], v[29:30]
	v_add_f64 v[9:10], v[9:10], v[35:36]
	s_delay_alu instid0(VALU_DEP_3) | instskip(NEXT) | instid1(VALU_DEP_3)
	v_add_f64 v[33:34], v[37:38], -v[39:40]
	v_add_f64 v[35:36], -v[29:30], s[82:83]
	s_delay_alu instid0(VALU_DEP_2) | instskip(NEXT) | instid1(VALU_DEP_2)
	v_add_f64 v[9:10], v[9:10], v[33:34]
	v_cndmask_b32_e64 v30, v30, v36, s2
	s_delay_alu instid0(VALU_DEP_3) | instskip(NEXT) | instid1(VALU_DEP_1)
	v_cndmask_b32_e64 v29, v29, v35, s2
                                        ; implicit-def: $vgpr35_vgpr36
	v_add_f64 v[33:34], -v[29:30], s[12:13]
	v_and_b32_e32 v18, 0x54442d18, v7
	v_and_b32_e32 v7, 0x400921fb, v7
	v_add_f64 v[9:10], v[47:48], v[9:10]
	s_delay_alu instid0(VALU_DEP_4) | instskip(SKIP_1) | instid1(VALU_DEP_1)
	v_dual_cndmask_b32 v14, v30, v34 :: v_dual_cndmask_b32 v29, v29, v33
	s_and_b32 vcc_lo, s7, s6
                                        ; implicit-def: $vgpr33_vgpr34
	v_cndmask_b32_e64 v7, v14, v7, s3
	s_delay_alu instid0(VALU_DEP_2) | instskip(NEXT) | instid1(VALU_DEP_1)
	v_cndmask_b32_e64 v18, v29, v18, s3
	v_dual_cndmask_b32 v30, v7, v13 :: v_dual_cndmask_b32 v29, v18, v11
	v_mul_f64 v[9:10], v[9:10], 0.5
	s_delay_alu instid0(VALU_DEP_1) | instskip(NEXT) | instid1(VALU_DEP_2)
	v_cndmask_b32_e64 v10, 0xfff00000, v10, s4
	v_cndmask_b32_e64 v9, 0, v9, s4
.LBB180_82:                             ;   in Loop: Header=BB180_5 Depth=1
	s_and_not1_saveexec_b32 vcc_hi, s5
	s_cbranch_execz .LBB180_86
; %bb.83:                               ;   in Loop: Header=BB180_5 Depth=1
	v_dual_mov_b32 v29, v17 :: v_dual_and_b32 v18, 0x7ffffff8, v36
	v_and_b32_e32 v30, 0x7ffffff8, v34
	s_mov_b32 s93, 0
	s_delay_alu instid0(VALU_DEP_2) | instskip(SKIP_1) | instid1(VALU_DEP_3)
	v_add_f64 v[9:10], v[35:36], -v[17:18]
	v_mov_b32_e32 v35, v17
	v_add_f64 v[31:32], v[33:34], -v[29:30]
	v_mov_b32_e32 v37, v17
	v_add_f64 v[39:40], v[17:18], v[17:18]
	v_add_f64 v[47:48], v[29:30], v[29:30]
	v_mul_f64 v[33:34], v[29:30], v[29:30]
	v_and_b32_e32 v36, -8, v10
	v_and_b32_e32 v38, -8, v32
	s_delay_alu instid0(VALU_DEP_2) | instskip(SKIP_1) | instid1(VALU_DEP_3)
	v_add_f64 v[49:50], v[9:10], -v[35:36]
	v_add_f64 v[53:54], v[35:36], v[35:36]
	v_add_f64 v[51:52], v[31:32], -v[37:38]
	v_add_f64 v[57:58], v[37:38], v[37:38]
	v_mul_f64 v[9:10], v[17:18], v[17:18]
	v_mul_f64 v[45:46], v[39:40], v[35:36]
	;; [unrolled: 1-line block ×11, first 2 shown]
.LBB180_84:                             ;   Parent Loop BB180_5 Depth=1
                                        ; =>  This Inner Loop Header: Depth=2
	v_cmp_nlt_f64_e32 vcc_lo, v[9:10], v[33:34]
	v_dual_cndmask_b32 v52, v10, v34 :: v_dual_cndmask_b32 v51, v9, v33
	v_dual_cndmask_b32 v10, v34, v10 :: v_dual_cndmask_b32 v9, v33, v9
	s_delay_alu instid0(VALU_DEP_2) | instskip(NEXT) | instid1(VALU_DEP_1)
	v_cmp_nlt_f64_e64 s3, v[51:52], v[45:46]
	v_cndmask_b32_e64 v54, v52, v46, s3
	v_cndmask_b32_e64 v53, v51, v45, s3
	;; [unrolled: 1-line block ×4, first 2 shown]
	s_and_b32 s3, vcc_lo, s3
	s_delay_alu instid0(VALU_DEP_3) | instskip(NEXT) | instid1(VALU_DEP_1)
	v_cmp_nlt_f64_e64 s4, v[53:54], v[31:32]
	v_cndmask_b32_e64 v52, v54, v32, s4
	v_cndmask_b32_e64 v51, v53, v31, s4
	;; [unrolled: 1-line block ×4, first 2 shown]
	s_delay_alu instid0(VALU_DEP_3) | instskip(NEXT) | instid1(VALU_DEP_1)
	v_cmp_nlt_f64_e64 s5, v[51:52], v[43:44]
	v_cndmask_b32_e64 v54, v52, v44, s5
	v_cndmask_b32_e64 v53, v51, v43, s5
	;; [unrolled: 1-line block ×4, first 2 shown]
	s_and_b32 s4, s4, s5
	s_delay_alu instid0(VALU_DEP_3) | instskip(NEXT) | instid1(VALU_DEP_1)
	v_cmp_nlt_f64_e64 s6, v[53:54], v[29:30]
	v_cndmask_b32_e64 v52, v54, v30, s6
	v_cndmask_b32_e64 v51, v53, v29, s6
	;; [unrolled: 1-line block ×4, first 2 shown]
	s_delay_alu instid0(VALU_DEP_3) | instskip(NEXT) | instid1(VALU_DEP_1)
	v_cmp_nlt_f64_e64 s7, v[51:52], v[41:42]
	v_cndmask_b32_e64 v54, v52, v42, s7
	v_cndmask_b32_e64 v53, v51, v41, s7
	v_cndmask_b32_e64 v30, v42, v52, s7
	v_cndmask_b32_e64 v29, v41, v51, s7
	s_and_b32 s5, s6, s7
	s_delay_alu instid0(VALU_DEP_3) | instskip(NEXT) | instid1(VALU_DEP_1)
	v_cmp_nlt_f64_e64 s8, v[53:54], v[39:40]
	v_cndmask_b32_e64 v52, v54, v40, s8
	v_cndmask_b32_e64 v51, v53, v39, s8
	v_cndmask_b32_e64 v42, v40, v54, s8
	v_cndmask_b32_e64 v41, v39, v53, s8
	s_and_b32 s5, s5, s8
	;; [unrolled: 7-line block ×4, first 2 shown]
	s_delay_alu instid0(VALU_DEP_3) | instskip(NEXT) | instid1(VALU_DEP_1)
	v_cmp_nlt_f64_e64 s11, v[51:52], v[47:48]
	v_cndmask_b32_e64 v54, v52, v48, s11
	v_cndmask_b32_e64 v53, v51, v47, s11
	s_and_b32 s5, s5, s11
	v_cndmask_b32_e64 v36, v48, v52, s11
	v_cndmask_b32_e64 v35, v47, v51, s11
	s_delay_alu instid0(VALU_DEP_3) | instskip(NEXT) | instid1(VALU_DEP_1)
	v_cmp_nlt_f64_e64 s12, v[53:54], v[49:50]
	v_cndmask_b32_e64 v52, v54, v50, s12
	v_cndmask_b32_e64 v51, v53, v49, s12
	s_and_b32 s5, s5, s12
	v_cndmask_b32_e64 v48, v50, v54, s12
	s_and_b32 s4, s5, s4
	;; [unrolled: 2-line block ×3, first 2 shown]
	v_dual_mov_b32 v49, v51 :: v_dual_mov_b32 v50, v52
	s_and_b32 s3, exec_lo, s3
	s_delay_alu instid0(SALU_CYCLE_1) | instskip(NEXT) | instid1(SALU_CYCLE_1)
	s_or_b32 s93, s3, s93
	s_and_not1_b32 exec_lo, exec_lo, s93
	s_cbranch_execnz .LBB180_84
; %bb.85:                               ;   in Loop: Header=BB180_5 Depth=1
	s_or_b32 exec_lo, exec_lo, s93
	v_add_f64 v[9:10], v[9:10], -1.0
	s_mov_b32 s93, s23
	s_mov_b32 s12, s82
	v_cmp_gt_i32_e64 s3, 0, v14
	v_cmp_class_f64_e64 s5, v[13:14], 0x204
	v_cmp_class_f64_e64 s4, v[15:16], 0x204
	s_delay_alu instid0(VALU_DEP_3) | instskip(SKIP_1) | instid1(VALU_DEP_1)
	v_cndmask_b32_e64 v18, 0x54442d18, v55, s3
	v_add_f64 v[9:10], v[9:10], v[33:34]
	v_add_f64 v[9:10], v[9:10], v[45:46]
	s_delay_alu instid0(VALU_DEP_1) | instskip(NEXT) | instid1(VALU_DEP_1)
	v_add_f64 v[9:10], v[9:10], v[31:32]
	v_add_f64 v[9:10], v[9:10], v[43:44]
	s_delay_alu instid0(VALU_DEP_1) | instskip(NEXT) | instid1(VALU_DEP_1)
	;; [unrolled: 3-line block ×5, first 2 shown]
	v_add_f64 v[10:11], v[51:52], v[9:10]
	v_add_f64 v[29:30], v[10:11], 1.0
	s_delay_alu instid0(VALU_DEP_1) | instskip(SKIP_2) | instid1(VALU_DEP_3)
	v_frexp_mant_f64_e32 v[31:32], v[29:30]
	v_frexp_exp_i32_f64_e32 v7, v[29:30]
	v_add_f64 v[33:34], v[29:30], -1.0
	v_cmp_gt_f64_e32 vcc_lo, s[22:23], v[31:32]
	s_delay_alu instid0(VALU_DEP_2) | instskip(SKIP_2) | instid1(VALU_DEP_3)
	v_add_f64 v[31:32], v[33:34], -v[29:30]
	v_add_f64 v[33:34], v[10:11], -v[33:34]
	v_subrev_co_ci_u32_e32 v7, vcc_lo, 0, v7, vcc_lo
	v_add_f64 v[31:32], v[31:32], 1.0
	s_delay_alu instid0(VALU_DEP_2) | instskip(NEXT) | instid1(VALU_DEP_1)
	v_sub_nc_u32_e32 v9, 0, v7
	v_ldexp_f64 v[29:30], v[29:30], v9
	s_delay_alu instid0(VALU_DEP_3) | instskip(NEXT) | instid1(VALU_DEP_2)
	v_add_f64 v[31:32], v[33:34], v[31:32]
	v_add_f64 v[35:36], v[29:30], 1.0
	v_add_f64 v[41:42], v[29:30], -1.0
	s_delay_alu instid0(VALU_DEP_3) | instskip(NEXT) | instid1(VALU_DEP_3)
	v_ldexp_f64 v[31:32], v[31:32], v9
	v_add_f64 v[33:34], v[35:36], -1.0
	s_delay_alu instid0(VALU_DEP_3) | instskip(NEXT) | instid1(VALU_DEP_2)
	v_add_f64 v[43:44], v[41:42], 1.0
	v_add_f64 v[33:34], v[29:30], -v[33:34]
	s_delay_alu instid0(VALU_DEP_2) | instskip(NEXT) | instid1(VALU_DEP_2)
	v_add_f64 v[29:30], v[29:30], -v[43:44]
	v_add_f64 v[33:34], v[31:32], v[33:34]
	s_delay_alu instid0(VALU_DEP_2) | instskip(NEXT) | instid1(VALU_DEP_2)
	v_add_f64 v[29:30], v[31:32], v[29:30]
	v_add_f64 v[37:38], v[35:36], v[33:34]
	s_delay_alu instid0(VALU_DEP_2) | instskip(NEXT) | instid1(VALU_DEP_2)
	v_add_f64 v[43:44], v[41:42], v[29:30]
	v_rcp_f64_e32 v[39:40], v[37:38]
	v_add_f64 v[35:36], v[37:38], -v[35:36]
	s_delay_alu instid0(VALU_DEP_2) | instskip(NEXT) | instid1(VALU_DEP_2)
	v_add_f64 v[41:42], v[43:44], -v[41:42]
	v_add_f64 v[33:34], v[33:34], -v[35:36]
	s_waitcnt_depctr 0xfff
	v_fma_f64 v[45:46], -v[37:38], v[39:40], 1.0
	v_add_f64 v[29:30], v[29:30], -v[41:42]
	s_delay_alu instid0(VALU_DEP_2) | instskip(NEXT) | instid1(VALU_DEP_1)
	v_fma_f64 v[39:40], v[45:46], v[39:40], v[39:40]
	v_fma_f64 v[31:32], -v[37:38], v[39:40], 1.0
	s_delay_alu instid0(VALU_DEP_1) | instskip(NEXT) | instid1(VALU_DEP_1)
	v_fma_f64 v[31:32], v[31:32], v[39:40], v[39:40]
	v_mul_f64 v[39:40], v[43:44], v[31:32]
	s_delay_alu instid0(VALU_DEP_1) | instskip(NEXT) | instid1(VALU_DEP_1)
	v_mul_f64 v[45:46], v[37:38], v[39:40]
	v_fma_f64 v[35:36], v[39:40], v[37:38], -v[45:46]
	s_delay_alu instid0(VALU_DEP_1) | instskip(NEXT) | instid1(VALU_DEP_1)
	v_fma_f64 v[35:36], v[39:40], v[33:34], v[35:36]
	v_add_f64 v[47:48], v[45:46], v[35:36]
	s_delay_alu instid0(VALU_DEP_1) | instskip(SKIP_2) | instid1(VALU_DEP_3)
	v_add_f64 v[49:50], v[43:44], -v[47:48]
	v_add_f64 v[41:42], v[47:48], -v[45:46]
	v_max_f64 v[45:46], |v[15:16]|, |v[15:16]|
	v_add_f64 v[43:44], v[43:44], -v[49:50]
	s_delay_alu instid0(VALU_DEP_3) | instskip(NEXT) | instid1(VALU_DEP_2)
	v_add_f64 v[35:36], v[41:42], -v[35:36]
	v_add_f64 v[43:44], v[43:44], -v[47:48]
	v_max_f64 v[47:48], |v[13:14]|, |v[13:14]|
	v_cndmask_b32_e64 v13, 0x3fe921fb, v56, s3
	s_delay_alu instid0(VALU_DEP_1) | instskip(NEXT) | instid1(VALU_DEP_4)
	v_bfi_b32 v13, 0x7fffffff, v13, v16
	v_add_f64 v[29:30], v[29:30], v[43:44]
	s_delay_alu instid0(VALU_DEP_4) | instskip(SKIP_1) | instid1(VALU_DEP_3)
	v_max_f64 v[51:52], v[47:48], v[45:46]
	v_min_f64 v[45:46], v[47:48], v[45:46]
	v_add_f64 v[29:30], v[35:36], v[29:30]
	s_delay_alu instid0(VALU_DEP_1) | instskip(NEXT) | instid1(VALU_DEP_1)
	v_add_f64 v[35:36], v[49:50], v[29:30]
	v_mul_f64 v[41:42], v[31:32], v[35:36]
	v_add_f64 v[49:50], v[49:50], -v[35:36]
	s_delay_alu instid0(VALU_DEP_2) | instskip(NEXT) | instid1(VALU_DEP_2)
	v_mul_f64 v[43:44], v[37:38], v[41:42]
	v_add_f64 v[29:30], v[29:30], v[49:50]
	s_delay_alu instid0(VALU_DEP_2) | instskip(NEXT) | instid1(VALU_DEP_1)
	v_fma_f64 v[37:38], v[41:42], v[37:38], -v[43:44]
	v_fma_f64 v[33:34], v[41:42], v[33:34], v[37:38]
	v_div_scale_f64 v[37:38], null, v[51:52], v[51:52], v[45:46]
	s_delay_alu instid0(VALU_DEP_2) | instskip(NEXT) | instid1(VALU_DEP_2)
	v_add_f64 v[47:48], v[43:44], v[33:34]
	v_rcp_f64_e32 v[53:54], v[37:38]
	s_delay_alu instid0(VALU_DEP_1)
	v_add_f64 v[57:58], v[35:36], -v[47:48]
	v_add_f64 v[43:44], v[47:48], -v[43:44]
	s_waitcnt_depctr 0xfff
	v_fma_f64 v[59:60], -v[37:38], v[53:54], 1.0
	v_add_f64 v[35:36], v[35:36], -v[57:58]
	v_add_f64 v[33:34], v[43:44], -v[33:34]
	s_delay_alu instid0(VALU_DEP_3) | instskip(NEXT) | instid1(VALU_DEP_3)
	v_fma_f64 v[53:54], v[53:54], v[59:60], v[53:54]
	v_add_f64 v[35:36], v[35:36], -v[47:48]
	s_delay_alu instid0(VALU_DEP_2) | instskip(NEXT) | instid1(VALU_DEP_2)
	v_fma_f64 v[47:48], -v[37:38], v[53:54], 1.0
	v_add_f64 v[29:30], v[29:30], v[35:36]
	v_div_scale_f64 v[35:36], vcc_lo, v[45:46], v[51:52], v[45:46]
	s_delay_alu instid0(VALU_DEP_3) | instskip(SKIP_1) | instid1(VALU_DEP_4)
	v_fma_f64 v[43:44], v[53:54], v[47:48], v[53:54]
	v_add_f64 v[47:48], v[39:40], v[41:42]
	v_add_f64 v[29:30], v[33:34], v[29:30]
	s_delay_alu instid0(VALU_DEP_3) | instskip(NEXT) | instid1(VALU_DEP_3)
	v_mul_f64 v[33:34], v[35:36], v[43:44]
	v_add_f64 v[39:40], v[47:48], -v[39:40]
	s_delay_alu instid0(VALU_DEP_3) | instskip(NEXT) | instid1(VALU_DEP_3)
	v_add_f64 v[29:30], v[57:58], v[29:30]
	v_fma_f64 v[35:36], -v[37:38], v[33:34], v[35:36]
	s_delay_alu instid0(VALU_DEP_3) | instskip(NEXT) | instid1(VALU_DEP_3)
	v_add_f64 v[37:38], v[41:42], -v[39:40]
	v_mul_f64 v[29:30], v[31:32], v[29:30]
	s_delay_alu instid0(VALU_DEP_3) | instskip(SKIP_1) | instid1(VALU_DEP_3)
	v_div_fmas_f64 v[31:32], v[35:36], v[43:44], v[33:34]
	v_cmp_eq_f64_e32 vcc_lo, 0x7ff00000, v[10:11]
	v_add_f64 v[29:30], v[37:38], v[29:30]
	s_delay_alu instid0(VALU_DEP_3) | instskip(NEXT) | instid1(VALU_DEP_2)
	v_div_fixup_f64 v[31:32], v[31:32], v[51:52], v[45:46]
	v_add_f64 v[33:34], v[47:48], v[29:30]
	s_delay_alu instid0(VALU_DEP_2) | instskip(NEXT) | instid1(VALU_DEP_2)
	v_mul_f64 v[35:36], v[31:32], v[31:32]
	v_mul_f64 v[37:38], v[33:34], v[33:34]
	s_delay_alu instid0(VALU_DEP_2) | instskip(NEXT) | instid1(VALU_DEP_2)
	v_fma_f64 v[39:40], v[35:36], s[44:45], s[42:43]
	v_fma_f64 v[41:42], v[37:38], s[26:27], s[24:25]
	v_mul_f64 v[43:44], v[33:34], v[37:38]
	s_delay_alu instid0(VALU_DEP_3) | instskip(NEXT) | instid1(VALU_DEP_3)
	v_fma_f64 v[39:40], v[35:36], v[39:40], s[46:47]
	v_fma_f64 v[41:42], v[37:38], v[41:42], s[28:29]
	s_delay_alu instid0(VALU_DEP_2) | instskip(NEXT) | instid1(VALU_DEP_2)
	v_fma_f64 v[39:40], v[35:36], v[39:40], s[48:49]
	v_fma_f64 v[41:42], v[37:38], v[41:42], s[30:31]
	s_delay_alu instid0(VALU_DEP_2) | instskip(NEXT) | instid1(VALU_DEP_2)
	;; [unrolled: 3-line block ×4, first 2 shown]
	v_fma_f64 v[39:40], v[35:36], v[39:40], s[54:55]
	v_fma_f64 v[37:38], v[37:38], v[41:42], s[92:93]
	v_ldexp_f64 v[41:42], v[33:34], 1
	v_add_f64 v[33:34], v[33:34], -v[47:48]
	s_delay_alu instid0(VALU_DEP_4) | instskip(NEXT) | instid1(VALU_DEP_4)
	v_fma_f64 v[39:40], v[35:36], v[39:40], s[56:57]
	v_mul_f64 v[37:38], v[43:44], v[37:38]
	v_cvt_f64_i32_e32 v[43:44], v7
	s_delay_alu instid0(VALU_DEP_4) | instskip(NEXT) | instid1(VALU_DEP_4)
	v_add_f64 v[29:30], v[29:30], -v[33:34]
	v_fma_f64 v[39:40], v[35:36], v[39:40], s[58:59]
	v_ashrrev_i32_e32 v7, 31, v14
	s_delay_alu instid0(VALU_DEP_1)
	v_and_b32_e32 v9, 0x54442d18, v7
	v_and_b32_e32 v7, 0x400921fb, v7
	v_add_f64 v[45:46], v[41:42], v[37:38]
	v_mul_f64 v[47:48], v[43:44], s[38:39]
	v_ldexp_f64 v[29:30], v[29:30], 1
	v_fma_f64 v[39:40], v[35:36], v[39:40], s[60:61]
	s_delay_alu instid0(VALU_DEP_4) | instskip(NEXT) | instid1(VALU_DEP_4)
	v_add_f64 v[33:34], v[45:46], -v[41:42]
	v_fma_f64 v[41:42], v[43:44], s[38:39], -v[47:48]
	s_delay_alu instid0(VALU_DEP_3) | instskip(NEXT) | instid1(VALU_DEP_3)
	v_fma_f64 v[39:40], v[35:36], v[39:40], s[62:63]
	v_add_f64 v[33:34], v[37:38], -v[33:34]
	s_delay_alu instid0(VALU_DEP_2) | instskip(NEXT) | instid1(VALU_DEP_4)
	v_fma_f64 v[37:38], v[35:36], v[39:40], s[64:65]
	v_fma_f64 v[39:40], v[43:44], s[40:41], v[41:42]
	s_delay_alu instid0(VALU_DEP_3) | instskip(NEXT) | instid1(VALU_DEP_3)
	v_add_f64 v[29:30], v[29:30], v[33:34]
	v_fma_f64 v[33:34], v[35:36], v[37:38], s[66:67]
	s_delay_alu instid0(VALU_DEP_3) | instskip(NEXT) | instid1(VALU_DEP_3)
	v_add_f64 v[37:38], v[47:48], v[39:40]
	v_add_f64 v[41:42], v[45:46], v[29:30]
	s_delay_alu instid0(VALU_DEP_3) | instskip(NEXT) | instid1(VALU_DEP_3)
	v_fma_f64 v[33:34], v[35:36], v[33:34], s[68:69]
	v_add_f64 v[47:48], v[37:38], -v[47:48]
	s_delay_alu instid0(VALU_DEP_3) | instskip(SKIP_1) | instid1(VALU_DEP_4)
	v_add_f64 v[43:44], v[37:38], v[41:42]
	v_add_f64 v[45:46], v[41:42], -v[45:46]
	v_fma_f64 v[33:34], v[35:36], v[33:34], s[70:71]
	s_delay_alu instid0(VALU_DEP_4) | instskip(NEXT) | instid1(VALU_DEP_4)
	v_add_f64 v[39:40], v[39:40], -v[47:48]
	v_add_f64 v[49:50], v[43:44], -v[37:38]
	s_delay_alu instid0(VALU_DEP_4) | instskip(NEXT) | instid1(VALU_DEP_4)
	v_add_f64 v[29:30], v[29:30], -v[45:46]
	v_fma_f64 v[33:34], v[35:36], v[33:34], s[72:73]
	s_delay_alu instid0(VALU_DEP_3) | instskip(SKIP_1) | instid1(VALU_DEP_4)
	v_add_f64 v[51:52], v[43:44], -v[49:50]
	v_add_f64 v[41:42], v[41:42], -v[49:50]
	v_add_f64 v[45:46], v[39:40], v[29:30]
	s_delay_alu instid0(VALU_DEP_4) | instskip(NEXT) | instid1(VALU_DEP_4)
	v_fma_f64 v[33:34], v[35:36], v[33:34], s[74:75]
	v_add_f64 v[37:38], v[37:38], -v[51:52]
	s_delay_alu instid0(VALU_DEP_2) | instskip(NEXT) | instid1(VALU_DEP_2)
	v_fma_f64 v[33:34], v[35:36], v[33:34], s[76:77]
	v_add_f64 v[37:38], v[41:42], v[37:38]
	v_add_f64 v[41:42], v[45:46], -v[39:40]
	s_delay_alu instid0(VALU_DEP_3) | instskip(NEXT) | instid1(VALU_DEP_3)
	v_fma_f64 v[33:34], v[35:36], v[33:34], s[78:79]
	v_add_f64 v[37:38], v[45:46], v[37:38]
	s_delay_alu instid0(VALU_DEP_3) | instskip(SKIP_1) | instid1(VALU_DEP_4)
	v_add_f64 v[45:46], v[45:46], -v[41:42]
	v_add_f64 v[29:30], v[29:30], -v[41:42]
	v_fma_f64 v[33:34], v[35:36], v[33:34], s[80:81]
	s_delay_alu instid0(VALU_DEP_4) | instskip(NEXT) | instid1(VALU_DEP_2)
	v_add_f64 v[47:48], v[43:44], v[37:38]
	v_mul_f64 v[33:34], v[35:36], v[33:34]
	v_add_f64 v[35:36], v[39:40], -v[45:46]
	s_delay_alu instid0(VALU_DEP_3) | instskip(NEXT) | instid1(VALU_DEP_3)
	v_add_f64 v[39:40], v[47:48], -v[43:44]
	v_fma_f64 v[31:32], v[31:32], v[33:34], v[31:32]
	s_delay_alu instid0(VALU_DEP_3) | instskip(NEXT) | instid1(VALU_DEP_3)
	v_add_f64 v[29:30], v[29:30], v[35:36]
	v_add_f64 v[33:34], v[37:38], -v[39:40]
	s_delay_alu instid0(VALU_DEP_3) | instskip(NEXT) | instid1(VALU_DEP_2)
	v_add_f64 v[35:36], -v[31:32], s[82:83]
	v_add_f64 v[29:30], v[29:30], v[33:34]
	s_delay_alu instid0(VALU_DEP_2) | instskip(NEXT) | instid1(VALU_DEP_3)
	v_cndmask_b32_e64 v32, v32, v36, s2
	v_cndmask_b32_e64 v31, v31, v35, s2
	s_delay_alu instid0(VALU_DEP_1) | instskip(NEXT) | instid1(VALU_DEP_4)
	v_add_f64 v[33:34], -v[31:32], s[12:13]
	v_add_f64 v[29:30], v[47:48], v[29:30]
	s_delay_alu instid0(VALU_DEP_2) | instskip(NEXT) | instid1(VALU_DEP_3)
	v_cndmask_b32_e64 v31, v31, v33, s3
	v_cndmask_b32_e64 v14, v32, v34, s3
	v_cmp_nge_f64_e64 s3, -1.0, v[10:11]
	s_delay_alu instid0(VALU_DEP_4) | instskip(SKIP_1) | instid1(VALU_DEP_2)
	v_dual_cndmask_b32 v30, v30, v11 :: v_dual_cndmask_b32 v29, v29, v10
	v_cmp_eq_f64_e32 vcc_lo, 0, v[15:16]
	v_mul_f64 v[29:30], v[29:30], 0.5
	v_cndmask_b32_e32 v31, v31, v9, vcc_lo
	v_cndmask_b32_e32 v7, v14, v7, vcc_lo
	v_cmp_ngt_f64_e32 vcc_lo, -1.0, v[10:11]
	s_delay_alu instid0(VALU_DEP_4)
	v_cndmask_b32_e64 v9, 0, v29, s3
	v_cmp_neq_f64_e64 s3, -1.0, v[10:11]
	v_cndmask_b32_e32 v14, 0x7ff80000, v30, vcc_lo
	s_and_b32 vcc_lo, s5, s4
	v_cndmask_b32_e32 v30, v7, v13, vcc_lo
	v_cndmask_b32_e32 v29, v31, v18, vcc_lo
	s_delay_alu instid0(VALU_DEP_3)
	v_cndmask_b32_e64 v10, 0xfff00000, v14, s3
.LBB180_86:                             ;   in Loop: Header=BB180_5 Depth=1
	s_or_b32 exec_lo, exec_lo, vcc_hi
.LBB180_87:                             ;   in Loop: Header=BB180_5 Depth=1
	s_delay_alu instid0(SALU_CYCLE_1)
	s_or_b32 exec_lo, exec_lo, s104
.LBB180_88:                             ;   in Loop: Header=BB180_5 Depth=1
	s_and_not1_saveexec_b32 s5, s103
	s_cbranch_execz .LBB180_90
; %bb.89:                               ;   in Loop: Header=BB180_5 Depth=1
	v_max_f64 v[9:10], |v[15:16]|, |v[15:16]|
	v_max_f64 v[29:30], |v[13:14]|, |v[13:14]|
	v_cmp_class_f64_e64 s6, v[13:14], 0x204
	v_cmp_class_f64_e64 s7, v[15:16], 0x204
	s_mov_b32 s93, s23
	s_mov_b32 s12, s82
	v_cmp_eq_f64_e64 s4, 0, v[15:16]
	s_delay_alu instid0(VALU_DEP_4) | instskip(SKIP_1) | instid1(VALU_DEP_4)
	v_max_f64 v[31:32], v[29:30], v[9:10]
	v_min_f64 v[9:10], v[29:30], v[9:10]
	s_or_b32 s8, s6, s7
	s_delay_alu instid0(VALU_DEP_2) | instskip(NEXT) | instid1(VALU_DEP_1)
	v_frexp_exp_i32_f64_e32 v7, v[31:32]
	v_sub_nc_u32_e32 v11, 0, v7
	s_delay_alu instid0(VALU_DEP_1) | instskip(SKIP_1) | instid1(VALU_DEP_2)
	v_ldexp_f64 v[33:34], |v[15:16]|, v11
	v_ldexp_f64 v[35:36], |v[13:14]|, v11
	v_mul_f64 v[33:34], v[33:34], v[33:34]
	s_delay_alu instid0(VALU_DEP_1) | instskip(NEXT) | instid1(VALU_DEP_1)
	v_fma_f64 v[33:34], v[35:36], v[35:36], v[33:34]
	v_rsq_f64_e32 v[35:36], v[33:34]
	v_cmp_eq_f64_e32 vcc_lo, 0, v[33:34]
	s_waitcnt_depctr 0xfff
	v_mul_f64 v[37:38], v[33:34], v[35:36]
	v_mul_f64 v[35:36], v[35:36], 0.5
	s_delay_alu instid0(VALU_DEP_1) | instskip(NEXT) | instid1(VALU_DEP_1)
	v_fma_f64 v[39:40], -v[35:36], v[37:38], 0.5
	v_fma_f64 v[37:38], v[37:38], v[39:40], v[37:38]
	v_fma_f64 v[35:36], v[35:36], v[39:40], v[35:36]
	s_delay_alu instid0(VALU_DEP_2) | instskip(NEXT) | instid1(VALU_DEP_1)
	v_fma_f64 v[39:40], -v[37:38], v[37:38], v[33:34]
	v_fma_f64 v[35:36], v[39:40], v[35:36], v[37:38]
	s_delay_alu instid0(VALU_DEP_1) | instskip(SKIP_1) | instid1(VALU_DEP_2)
	v_dual_cndmask_b32 v34, v36, v34 :: v_dual_cndmask_b32 v33, v35, v33
	v_div_scale_f64 v[57:58], vcc_lo, v[9:10], v[31:32], v[9:10]
	v_ldexp_f64 v[33:34], v[33:34], v7
	s_delay_alu instid0(VALU_DEP_1) | instskip(NEXT) | instid1(VALU_DEP_2)
	v_cndmask_b32_e64 v36, v34, 0x7ff00000, s8
	v_cndmask_b32_e64 v35, v33, 0, s8
	s_delay_alu instid0(VALU_DEP_1) | instskip(SKIP_1) | instid1(VALU_DEP_2)
	v_frexp_mant_f64_e32 v[37:38], v[35:36]
	v_frexp_exp_i32_f64_e32 v7, v[35:36]
	v_cmp_gt_f64_e64 s3, s[22:23], v[37:38]
	s_delay_alu instid0(VALU_DEP_1) | instskip(NEXT) | instid1(VALU_DEP_1)
	v_cndmask_b32_e64 v18, 0x3ff00000, 2.0, s3
	v_mul_f64 v[37:38], v[37:38], v[17:18]
	s_delay_alu instid0(VALU_DEP_1) | instskip(SKIP_1) | instid1(VALU_DEP_2)
	v_add_f64 v[39:40], v[37:38], 1.0
	v_add_f64 v[45:46], v[37:38], -1.0
	v_rcp_f64_e32 v[41:42], v[39:40]
	v_add_f64 v[47:48], v[39:40], -1.0
	s_delay_alu instid0(VALU_DEP_1) | instskip(SKIP_2) | instid1(VALU_DEP_1)
	v_add_f64 v[37:38], v[37:38], -v[47:48]
	s_waitcnt_depctr 0xfff
	v_fma_f64 v[43:44], -v[39:40], v[41:42], 1.0
	v_fma_f64 v[41:42], v[43:44], v[41:42], v[41:42]
	s_delay_alu instid0(VALU_DEP_1) | instskip(NEXT) | instid1(VALU_DEP_1)
	v_fma_f64 v[43:44], -v[39:40], v[41:42], 1.0
	v_fma_f64 v[41:42], v[43:44], v[41:42], v[41:42]
	v_div_scale_f64 v[43:44], null, v[31:32], v[31:32], v[9:10]
	s_delay_alu instid0(VALU_DEP_2) | instskip(NEXT) | instid1(VALU_DEP_2)
	v_mul_f64 v[29:30], v[45:46], v[41:42]
	v_rcp_f64_e32 v[51:52], v[43:44]
	s_delay_alu instid0(VALU_DEP_1) | instskip(SKIP_3) | instid1(VALU_DEP_1)
	v_mul_f64 v[49:50], v[39:40], v[29:30]
	s_waitcnt_depctr 0xfff
	v_fma_f64 v[47:48], -v[43:44], v[51:52], 1.0
	v_fma_f64 v[39:40], v[29:30], v[39:40], -v[49:50]
	v_fma_f64 v[37:38], v[29:30], v[37:38], v[39:40]
	s_delay_alu instid0(VALU_DEP_3) | instskip(NEXT) | instid1(VALU_DEP_2)
	v_fma_f64 v[39:40], v[51:52], v[47:48], v[51:52]
	v_add_f64 v[47:48], v[49:50], v[37:38]
	s_delay_alu instid0(VALU_DEP_2) | instskip(NEXT) | instid1(VALU_DEP_2)
	v_fma_f64 v[51:52], -v[43:44], v[39:40], 1.0
	v_add_f64 v[53:54], v[45:46], -v[47:48]
	s_delay_alu instid0(VALU_DEP_2) | instskip(SKIP_1) | instid1(VALU_DEP_3)
	v_fma_f64 v[39:40], v[39:40], v[51:52], v[39:40]
	v_add_f64 v[49:50], v[47:48], -v[49:50]
	v_add_f64 v[45:46], v[45:46], -v[53:54]
	s_delay_alu instid0(VALU_DEP_3) | instskip(NEXT) | instid1(VALU_DEP_3)
	v_mul_f64 v[51:52], v[57:58], v[39:40]
	v_add_f64 v[37:38], v[49:50], -v[37:38]
	s_delay_alu instid0(VALU_DEP_3) | instskip(NEXT) | instid1(VALU_DEP_3)
	v_add_f64 v[45:46], v[45:46], -v[47:48]
	v_fma_f64 v[43:44], -v[43:44], v[51:52], v[57:58]
	s_delay_alu instid0(VALU_DEP_2) | instskip(NEXT) | instid1(VALU_DEP_2)
	v_add_f64 v[37:38], v[37:38], v[45:46]
	v_div_fmas_f64 v[39:40], v[43:44], v[39:40], v[51:52]
	v_subrev_co_ci_u32_e64 v7, vcc_lo, 0, v7, s3
	v_cmp_class_f64_e64 s3, v[33:34], 0x204
	v_cmp_gt_i32_e32 vcc_lo, 0, v14
	v_cndmask_b32_e32 v11, 0x54442d18, v55, vcc_lo
	v_add_f64 v[37:38], v[53:54], v[37:38]
	v_div_fixup_f64 v[9:10], v[39:40], v[31:32], v[9:10]
	s_delay_alu instid0(VALU_DEP_2) | instskip(NEXT) | instid1(VALU_DEP_2)
	v_mul_f64 v[31:32], v[41:42], v[37:38]
	v_mul_f64 v[37:38], v[9:10], v[9:10]
	s_delay_alu instid0(VALU_DEP_2) | instskip(NEXT) | instid1(VALU_DEP_2)
	v_add_f64 v[39:40], v[29:30], v[31:32]
	v_fma_f64 v[41:42], v[37:38], s[44:45], s[42:43]
	s_delay_alu instid0(VALU_DEP_2) | instskip(NEXT) | instid1(VALU_DEP_2)
	v_mul_f64 v[43:44], v[39:40], v[39:40]
	v_fma_f64 v[41:42], v[37:38], v[41:42], s[46:47]
	v_add_f64 v[29:30], v[39:40], -v[29:30]
	s_delay_alu instid0(VALU_DEP_3) | instskip(NEXT) | instid1(VALU_DEP_3)
	v_fma_f64 v[45:46], v[43:44], s[26:27], s[24:25]
	v_fma_f64 v[41:42], v[37:38], v[41:42], s[48:49]
	v_mul_f64 v[47:48], v[39:40], v[43:44]
	s_delay_alu instid0(VALU_DEP_4) | instskip(NEXT) | instid1(VALU_DEP_4)
	v_add_f64 v[29:30], v[31:32], -v[29:30]
	v_fma_f64 v[45:46], v[43:44], v[45:46], s[28:29]
	s_delay_alu instid0(VALU_DEP_4) | instskip(NEXT) | instid1(VALU_DEP_3)
	v_fma_f64 v[41:42], v[37:38], v[41:42], s[50:51]
	v_ldexp_f64 v[29:30], v[29:30], 1
	s_delay_alu instid0(VALU_DEP_3) | instskip(NEXT) | instid1(VALU_DEP_3)
	v_fma_f64 v[45:46], v[43:44], v[45:46], s[30:31]
	v_fma_f64 v[41:42], v[37:38], v[41:42], s[52:53]
	s_delay_alu instid0(VALU_DEP_2) | instskip(NEXT) | instid1(VALU_DEP_2)
	v_fma_f64 v[45:46], v[43:44], v[45:46], s[34:35]
	v_fma_f64 v[41:42], v[37:38], v[41:42], s[54:55]
	s_delay_alu instid0(VALU_DEP_2) | instskip(NEXT) | instid1(VALU_DEP_2)
	;; [unrolled: 3-line block ×3, first 2 shown]
	v_fma_f64 v[43:44], v[43:44], v[45:46], s[92:93]
	v_fma_f64 v[41:42], v[37:38], v[41:42], s[58:59]
	v_ldexp_f64 v[45:46], v[39:40], 1
	s_delay_alu instid0(VALU_DEP_3) | instskip(NEXT) | instid1(VALU_DEP_3)
	v_mul_f64 v[43:44], v[47:48], v[43:44]
	v_fma_f64 v[41:42], v[37:38], v[41:42], s[60:61]
	v_cvt_f64_i32_e32 v[47:48], v7
	v_ashrrev_i32_e32 v7, 31, v14
	v_cndmask_b32_e32 v14, 0x3fe921fb, v56, vcc_lo
	s_delay_alu instid0(VALU_DEP_1) | instskip(SKIP_3) | instid1(VALU_DEP_3)
	v_bfi_b32 v14, 0x7fffffff, v14, v16
	v_add_f64 v[39:40], v[45:46], v[43:44]
	v_fma_f64 v[41:42], v[37:38], v[41:42], s[62:63]
	v_mul_f64 v[49:50], v[47:48], s[38:39]
	v_add_f64 v[31:32], v[39:40], -v[45:46]
	s_delay_alu instid0(VALU_DEP_3) | instskip(NEXT) | instid1(VALU_DEP_3)
	v_fma_f64 v[41:42], v[37:38], v[41:42], s[64:65]
	v_fma_f64 v[45:46], v[47:48], s[38:39], -v[49:50]
	s_delay_alu instid0(VALU_DEP_3) | instskip(NEXT) | instid1(VALU_DEP_3)
	v_add_f64 v[31:32], v[43:44], -v[31:32]
	v_fma_f64 v[41:42], v[37:38], v[41:42], s[66:67]
	s_delay_alu instid0(VALU_DEP_3) | instskip(NEXT) | instid1(VALU_DEP_3)
	v_fma_f64 v[43:44], v[47:48], s[40:41], v[45:46]
	v_add_f64 v[29:30], v[29:30], v[31:32]
	s_delay_alu instid0(VALU_DEP_3) | instskip(NEXT) | instid1(VALU_DEP_3)
	v_fma_f64 v[31:32], v[37:38], v[41:42], s[68:69]
	v_add_f64 v[41:42], v[49:50], v[43:44]
	s_delay_alu instid0(VALU_DEP_3) | instskip(NEXT) | instid1(VALU_DEP_3)
	v_add_f64 v[45:46], v[39:40], v[29:30]
	v_fma_f64 v[31:32], v[37:38], v[31:32], s[70:71]
	s_delay_alu instid0(VALU_DEP_3) | instskip(NEXT) | instid1(VALU_DEP_3)
	v_add_f64 v[49:50], v[41:42], -v[49:50]
	v_add_f64 v[47:48], v[41:42], v[45:46]
	s_delay_alu instid0(VALU_DEP_3) | instskip(SKIP_1) | instid1(VALU_DEP_4)
	v_fma_f64 v[31:32], v[37:38], v[31:32], s[72:73]
	v_add_f64 v[39:40], v[45:46], -v[39:40]
	v_add_f64 v[43:44], v[43:44], -v[49:50]
	s_delay_alu instid0(VALU_DEP_4) | instskip(NEXT) | instid1(VALU_DEP_4)
	v_add_f64 v[51:52], v[47:48], -v[41:42]
	v_fma_f64 v[31:32], v[37:38], v[31:32], s[74:75]
	s_delay_alu instid0(VALU_DEP_4) | instskip(NEXT) | instid1(VALU_DEP_3)
	v_add_f64 v[29:30], v[29:30], -v[39:40]
	v_add_f64 v[53:54], v[47:48], -v[51:52]
	s_delay_alu instid0(VALU_DEP_3) | instskip(SKIP_1) | instid1(VALU_DEP_4)
	v_fma_f64 v[31:32], v[37:38], v[31:32], s[76:77]
	v_add_f64 v[39:40], v[45:46], -v[51:52]
	v_add_f64 v[45:46], v[43:44], v[29:30]
	s_delay_alu instid0(VALU_DEP_4) | instskip(NEXT) | instid1(VALU_DEP_4)
	v_add_f64 v[41:42], v[41:42], -v[53:54]
	v_fma_f64 v[31:32], v[37:38], v[31:32], s[78:79]
	s_delay_alu instid0(VALU_DEP_2) | instskip(NEXT) | instid1(VALU_DEP_2)
	v_add_f64 v[39:40], v[39:40], v[41:42]
	v_fma_f64 v[31:32], v[37:38], v[31:32], s[80:81]
	v_add_f64 v[41:42], v[45:46], -v[43:44]
	s_delay_alu instid0(VALU_DEP_3) | instskip(NEXT) | instid1(VALU_DEP_3)
	v_add_f64 v[39:40], v[45:46], v[39:40]
	v_mul_f64 v[31:32], v[37:38], v[31:32]
	s_delay_alu instid0(VALU_DEP_3) | instskip(SKIP_1) | instid1(VALU_DEP_4)
	v_add_f64 v[37:38], v[45:46], -v[41:42]
	v_add_f64 v[29:30], v[29:30], -v[41:42]
	v_add_f64 v[45:46], v[47:48], v[39:40]
	s_delay_alu instid0(VALU_DEP_4) | instskip(NEXT) | instid1(VALU_DEP_4)
	v_fma_f64 v[9:10], v[9:10], v[31:32], v[9:10]
	v_add_f64 v[31:32], v[43:44], -v[37:38]
	s_delay_alu instid0(VALU_DEP_3) | instskip(NEXT) | instid1(VALU_DEP_3)
	v_add_f64 v[37:38], v[45:46], -v[47:48]
	v_add_f64 v[41:42], -v[9:10], s[82:83]
	s_delay_alu instid0(VALU_DEP_3) | instskip(NEXT) | instid1(VALU_DEP_3)
	v_add_f64 v[29:30], v[29:30], v[31:32]
	v_add_f64 v[31:32], v[39:40], -v[37:38]
	s_delay_alu instid0(VALU_DEP_3) | instskip(NEXT) | instid1(VALU_DEP_4)
	v_cndmask_b32_e64 v10, v10, v42, s2
	v_cndmask_b32_e64 v9, v9, v41, s2
	s_delay_alu instid0(VALU_DEP_3) | instskip(NEXT) | instid1(VALU_DEP_2)
	v_add_f64 v[29:30], v[29:30], v[31:32]
	v_add_f64 v[31:32], -v[9:10], s[12:13]
	v_and_b32_e32 v13, 0x54442d18, v7
	v_and_b32_e32 v7, 0x400921fb, v7
	s_delay_alu instid0(VALU_DEP_4) | instskip(NEXT) | instid1(VALU_DEP_4)
	v_add_f64 v[29:30], v[45:46], v[29:30]
	v_cndmask_b32_e32 v10, v10, v32, vcc_lo
	s_delay_alu instid0(VALU_DEP_1)
	v_cndmask_b32_e64 v7, v10, v7, s4
	v_cndmask_b32_e32 v9, v9, v31, vcc_lo
	v_cmp_ngt_f64_e32 vcc_lo, 0, v[35:36]
	v_cndmask_b32_e64 v18, v30, v34, s3
	v_cndmask_b32_e64 v29, v29, v33, s3
	v_cmp_nge_f64_e64 s3, 0, v[35:36]
	s_delay_alu instid0(VALU_DEP_3) | instskip(NEXT) | instid1(VALU_DEP_1)
	v_cndmask_b32_e64 v18, v18, 0x7ff00000, s8
	v_cndmask_b32_e32 v10, 0x7ff80000, v18, vcc_lo
	s_and_b32 vcc_lo, s6, s7
	v_cndmask_b32_e32 v30, v7, v14, vcc_lo
	v_cndmask_b32_e64 v13, v9, v13, s4
	v_cndmask_b32_e64 v9, v29, 0, s8
	s_delay_alu instid0(VALU_DEP_2) | instskip(NEXT) | instid1(VALU_DEP_2)
	v_cndmask_b32_e32 v29, v13, v11, vcc_lo
	v_cndmask_b32_e64 v9, 0, v9, s3
	v_cmp_neq_f64_e64 s3, 0, v[35:36]
	s_delay_alu instid0(VALU_DEP_1)
	v_cndmask_b32_e64 v10, 0xfff00000, v10, s3
.LBB180_90:                             ;   in Loop: Header=BB180_5 Depth=1
	s_or_b32 exec_lo, exec_lo, s5
                                        ; implicit-def: $vgpr33_vgpr34
.LBB180_91:                             ;   in Loop: Header=BB180_5 Depth=1
	s_and_not1_saveexec_b32 s5, s99
	s_cbranch_execz .LBB180_97
; %bb.92:                               ;   in Loop: Header=BB180_5 Depth=1
                                        ; implicit-def: $vgpr9_vgpr10
                                        ; implicit-def: $vgpr29_vgpr30
	s_mov_b32 s3, exec_lo
	v_cmpx_ngt_f64_e32 s[86:87], v[33:34]
	s_xor_b32 s6, exec_lo, s3
	s_cbranch_execz .LBB180_94
; %bb.93:                               ;   in Loop: Header=BB180_5 Depth=1
	v_mul_f64 v[9:10], v[33:34], v[33:34]
	s_mov_b32 s93, s23
	s_mov_b32 s12, s82
	v_cmp_eq_f64_e64 s4, 0, v[15:16]
	v_cmp_class_f64_e64 s7, v[15:16], 0x204
	v_cmp_class_f64_e64 s8, v[13:14], 0x204
	v_cmp_gt_i32_e64 s3, 0, v14
	v_add_f64 v[29:30], v[9:10], 1.0
	s_delay_alu instid0(VALU_DEP_1) | instskip(SKIP_2) | instid1(VALU_DEP_3)
	v_frexp_mant_f64_e32 v[31:32], v[29:30]
	v_frexp_exp_i32_f64_e32 v7, v[29:30]
	v_add_f64 v[33:34], v[29:30], -1.0
	v_cmp_gt_f64_e32 vcc_lo, s[22:23], v[31:32]
	s_delay_alu instid0(VALU_DEP_2) | instskip(SKIP_2) | instid1(VALU_DEP_3)
	v_add_f64 v[31:32], v[33:34], -v[29:30]
	v_add_f64 v[33:34], v[9:10], -v[33:34]
	v_subrev_co_ci_u32_e32 v7, vcc_lo, 0, v7, vcc_lo
	v_add_f64 v[31:32], v[31:32], 1.0
	s_delay_alu instid0(VALU_DEP_2) | instskip(NEXT) | instid1(VALU_DEP_1)
	v_sub_nc_u32_e32 v11, 0, v7
	v_ldexp_f64 v[29:30], v[29:30], v11
	s_delay_alu instid0(VALU_DEP_3) | instskip(NEXT) | instid1(VALU_DEP_2)
	v_add_f64 v[31:32], v[33:34], v[31:32]
	v_add_f64 v[35:36], v[29:30], 1.0
	v_add_f64 v[41:42], v[29:30], -1.0
	s_delay_alu instid0(VALU_DEP_3) | instskip(SKIP_1) | instid1(VALU_DEP_4)
	v_ldexp_f64 v[31:32], v[31:32], v11
	v_cndmask_b32_e64 v11, 0x54442d18, v55, s3
	v_add_f64 v[33:34], v[35:36], -1.0
	s_delay_alu instid0(VALU_DEP_4) | instskip(NEXT) | instid1(VALU_DEP_2)
	v_add_f64 v[43:44], v[41:42], 1.0
	v_add_f64 v[33:34], v[29:30], -v[33:34]
	s_delay_alu instid0(VALU_DEP_2) | instskip(NEXT) | instid1(VALU_DEP_2)
	v_add_f64 v[29:30], v[29:30], -v[43:44]
	v_add_f64 v[33:34], v[31:32], v[33:34]
	s_delay_alu instid0(VALU_DEP_2) | instskip(NEXT) | instid1(VALU_DEP_2)
	v_add_f64 v[29:30], v[31:32], v[29:30]
	v_add_f64 v[37:38], v[35:36], v[33:34]
	s_delay_alu instid0(VALU_DEP_2) | instskip(NEXT) | instid1(VALU_DEP_2)
	v_add_f64 v[43:44], v[41:42], v[29:30]
	v_rcp_f64_e32 v[39:40], v[37:38]
	v_add_f64 v[35:36], v[35:36], -v[37:38]
	s_delay_alu instid0(VALU_DEP_2) | instskip(NEXT) | instid1(VALU_DEP_2)
	v_add_f64 v[41:42], v[41:42], -v[43:44]
	v_add_f64 v[33:34], v[33:34], v[35:36]
	s_waitcnt_depctr 0xfff
	v_fma_f64 v[45:46], -v[37:38], v[39:40], 1.0
	v_add_f64 v[29:30], v[29:30], v[41:42]
	s_delay_alu instid0(VALU_DEP_2) | instskip(NEXT) | instid1(VALU_DEP_1)
	v_fma_f64 v[39:40], v[45:46], v[39:40], v[39:40]
	v_fma_f64 v[31:32], -v[37:38], v[39:40], 1.0
	s_delay_alu instid0(VALU_DEP_1) | instskip(NEXT) | instid1(VALU_DEP_1)
	v_fma_f64 v[31:32], v[31:32], v[39:40], v[39:40]
	v_mul_f64 v[39:40], v[43:44], v[31:32]
	s_delay_alu instid0(VALU_DEP_1) | instskip(NEXT) | instid1(VALU_DEP_1)
	v_mul_f64 v[45:46], v[37:38], v[39:40]
	v_fma_f64 v[35:36], v[39:40], v[37:38], -v[45:46]
	s_delay_alu instid0(VALU_DEP_1) | instskip(NEXT) | instid1(VALU_DEP_1)
	v_fma_f64 v[35:36], v[39:40], v[33:34], v[35:36]
	v_add_f64 v[47:48], v[45:46], v[35:36]
	s_delay_alu instid0(VALU_DEP_1) | instskip(SKIP_2) | instid1(VALU_DEP_3)
	v_add_f64 v[49:50], v[43:44], -v[47:48]
	v_add_f64 v[41:42], v[47:48], -v[45:46]
	v_max_f64 v[45:46], |v[15:16]|, |v[15:16]|
	v_add_f64 v[43:44], v[43:44], -v[49:50]
	s_delay_alu instid0(VALU_DEP_3) | instskip(NEXT) | instid1(VALU_DEP_2)
	v_add_f64 v[35:36], v[41:42], -v[35:36]
	v_add_f64 v[43:44], v[43:44], -v[47:48]
	v_max_f64 v[47:48], |v[13:14]|, |v[13:14]|
	v_cndmask_b32_e64 v13, 0x3fe921fb, v56, s3
	s_delay_alu instid0(VALU_DEP_1) | instskip(NEXT) | instid1(VALU_DEP_4)
	v_bfi_b32 v13, 0x7fffffff, v13, v16
	v_add_f64 v[29:30], v[29:30], v[43:44]
	s_delay_alu instid0(VALU_DEP_4) | instskip(SKIP_1) | instid1(VALU_DEP_3)
	v_max_f64 v[51:52], v[47:48], v[45:46]
	v_min_f64 v[45:46], v[47:48], v[45:46]
	v_add_f64 v[29:30], v[35:36], v[29:30]
	s_delay_alu instid0(VALU_DEP_1) | instskip(NEXT) | instid1(VALU_DEP_1)
	v_add_f64 v[35:36], v[49:50], v[29:30]
	v_mul_f64 v[41:42], v[31:32], v[35:36]
	v_add_f64 v[49:50], v[49:50], -v[35:36]
	s_delay_alu instid0(VALU_DEP_2) | instskip(NEXT) | instid1(VALU_DEP_2)
	v_mul_f64 v[43:44], v[37:38], v[41:42]
	v_add_f64 v[29:30], v[29:30], v[49:50]
	s_delay_alu instid0(VALU_DEP_2) | instskip(NEXT) | instid1(VALU_DEP_1)
	v_fma_f64 v[37:38], v[41:42], v[37:38], -v[43:44]
	v_fma_f64 v[33:34], v[41:42], v[33:34], v[37:38]
	v_div_scale_f64 v[37:38], null, v[51:52], v[51:52], v[45:46]
	s_delay_alu instid0(VALU_DEP_2) | instskip(NEXT) | instid1(VALU_DEP_2)
	v_add_f64 v[47:48], v[43:44], v[33:34]
	v_rcp_f64_e32 v[53:54], v[37:38]
	s_delay_alu instid0(VALU_DEP_1)
	v_add_f64 v[57:58], v[35:36], -v[47:48]
	v_add_f64 v[43:44], v[47:48], -v[43:44]
	s_waitcnt_depctr 0xfff
	v_fma_f64 v[59:60], -v[37:38], v[53:54], 1.0
	v_add_f64 v[35:36], v[35:36], -v[57:58]
	v_add_f64 v[33:34], v[43:44], -v[33:34]
	s_delay_alu instid0(VALU_DEP_3) | instskip(NEXT) | instid1(VALU_DEP_3)
	v_fma_f64 v[53:54], v[53:54], v[59:60], v[53:54]
	v_add_f64 v[35:36], v[35:36], -v[47:48]
	s_delay_alu instid0(VALU_DEP_2) | instskip(NEXT) | instid1(VALU_DEP_2)
	v_fma_f64 v[47:48], -v[37:38], v[53:54], 1.0
	v_add_f64 v[29:30], v[29:30], v[35:36]
	v_div_scale_f64 v[35:36], vcc_lo, v[45:46], v[51:52], v[45:46]
	s_delay_alu instid0(VALU_DEP_3) | instskip(SKIP_1) | instid1(VALU_DEP_4)
	v_fma_f64 v[43:44], v[53:54], v[47:48], v[53:54]
	v_add_f64 v[47:48], v[39:40], v[41:42]
	v_add_f64 v[29:30], v[33:34], v[29:30]
	s_delay_alu instid0(VALU_DEP_3) | instskip(NEXT) | instid1(VALU_DEP_3)
	v_mul_f64 v[33:34], v[35:36], v[43:44]
	v_add_f64 v[39:40], v[47:48], -v[39:40]
	s_delay_alu instid0(VALU_DEP_3) | instskip(NEXT) | instid1(VALU_DEP_3)
	v_add_f64 v[29:30], v[57:58], v[29:30]
	v_fma_f64 v[35:36], -v[37:38], v[33:34], v[35:36]
	s_delay_alu instid0(VALU_DEP_3) | instskip(NEXT) | instid1(VALU_DEP_3)
	v_add_f64 v[37:38], v[41:42], -v[39:40]
	v_mul_f64 v[29:30], v[31:32], v[29:30]
	s_delay_alu instid0(VALU_DEP_3) | instskip(SKIP_1) | instid1(VALU_DEP_3)
	v_div_fmas_f64 v[31:32], v[35:36], v[43:44], v[33:34]
	v_cmp_eq_f64_e32 vcc_lo, 0x7ff00000, v[9:10]
	v_add_f64 v[29:30], v[37:38], v[29:30]
	s_delay_alu instid0(VALU_DEP_3) | instskip(NEXT) | instid1(VALU_DEP_2)
	v_div_fixup_f64 v[31:32], v[31:32], v[51:52], v[45:46]
	v_add_f64 v[33:34], v[47:48], v[29:30]
	s_delay_alu instid0(VALU_DEP_2) | instskip(NEXT) | instid1(VALU_DEP_2)
	v_mul_f64 v[35:36], v[31:32], v[31:32]
	v_mul_f64 v[37:38], v[33:34], v[33:34]
	s_delay_alu instid0(VALU_DEP_2) | instskip(NEXT) | instid1(VALU_DEP_2)
	v_fma_f64 v[39:40], v[35:36], s[44:45], s[42:43]
	v_fma_f64 v[41:42], v[37:38], s[26:27], s[24:25]
	v_mul_f64 v[43:44], v[33:34], v[37:38]
	s_delay_alu instid0(VALU_DEP_3) | instskip(NEXT) | instid1(VALU_DEP_3)
	v_fma_f64 v[39:40], v[35:36], v[39:40], s[46:47]
	v_fma_f64 v[41:42], v[37:38], v[41:42], s[28:29]
	s_delay_alu instid0(VALU_DEP_2) | instskip(NEXT) | instid1(VALU_DEP_2)
	v_fma_f64 v[39:40], v[35:36], v[39:40], s[48:49]
	v_fma_f64 v[41:42], v[37:38], v[41:42], s[30:31]
	s_delay_alu instid0(VALU_DEP_2) | instskip(NEXT) | instid1(VALU_DEP_2)
	;; [unrolled: 3-line block ×4, first 2 shown]
	v_fma_f64 v[39:40], v[35:36], v[39:40], s[54:55]
	v_fma_f64 v[37:38], v[37:38], v[41:42], s[92:93]
	v_ldexp_f64 v[41:42], v[33:34], 1
	v_add_f64 v[33:34], v[33:34], -v[47:48]
	s_delay_alu instid0(VALU_DEP_4) | instskip(NEXT) | instid1(VALU_DEP_4)
	v_fma_f64 v[39:40], v[35:36], v[39:40], s[56:57]
	v_mul_f64 v[37:38], v[43:44], v[37:38]
	v_cvt_f64_i32_e32 v[43:44], v7
	s_delay_alu instid0(VALU_DEP_4) | instskip(NEXT) | instid1(VALU_DEP_4)
	v_add_f64 v[29:30], v[29:30], -v[33:34]
	v_fma_f64 v[39:40], v[35:36], v[39:40], s[58:59]
	v_ashrrev_i32_e32 v7, 31, v14
	v_add_f64 v[45:46], v[41:42], v[37:38]
	v_mul_f64 v[47:48], v[43:44], s[38:39]
	v_ldexp_f64 v[29:30], v[29:30], 1
	v_fma_f64 v[39:40], v[35:36], v[39:40], s[60:61]
	s_delay_alu instid0(VALU_DEP_4) | instskip(NEXT) | instid1(VALU_DEP_4)
	v_add_f64 v[33:34], v[45:46], -v[41:42]
	v_fma_f64 v[41:42], v[43:44], s[38:39], -v[47:48]
	s_delay_alu instid0(VALU_DEP_3) | instskip(NEXT) | instid1(VALU_DEP_3)
	v_fma_f64 v[39:40], v[35:36], v[39:40], s[62:63]
	v_add_f64 v[33:34], v[37:38], -v[33:34]
	s_delay_alu instid0(VALU_DEP_2) | instskip(NEXT) | instid1(VALU_DEP_4)
	v_fma_f64 v[37:38], v[35:36], v[39:40], s[64:65]
	v_fma_f64 v[39:40], v[43:44], s[40:41], v[41:42]
	s_delay_alu instid0(VALU_DEP_3) | instskip(NEXT) | instid1(VALU_DEP_3)
	v_add_f64 v[29:30], v[29:30], v[33:34]
	v_fma_f64 v[33:34], v[35:36], v[37:38], s[66:67]
	s_delay_alu instid0(VALU_DEP_3) | instskip(NEXT) | instid1(VALU_DEP_3)
	v_add_f64 v[37:38], v[47:48], v[39:40]
	v_add_f64 v[41:42], v[45:46], v[29:30]
	s_delay_alu instid0(VALU_DEP_3) | instskip(NEXT) | instid1(VALU_DEP_3)
	v_fma_f64 v[33:34], v[35:36], v[33:34], s[68:69]
	v_add_f64 v[47:48], v[37:38], -v[47:48]
	s_delay_alu instid0(VALU_DEP_3) | instskip(SKIP_1) | instid1(VALU_DEP_4)
	v_add_f64 v[43:44], v[37:38], v[41:42]
	v_add_f64 v[45:46], v[41:42], -v[45:46]
	v_fma_f64 v[33:34], v[35:36], v[33:34], s[70:71]
	s_delay_alu instid0(VALU_DEP_4) | instskip(NEXT) | instid1(VALU_DEP_4)
	v_add_f64 v[39:40], v[39:40], -v[47:48]
	v_add_f64 v[49:50], v[43:44], -v[37:38]
	s_delay_alu instid0(VALU_DEP_4) | instskip(NEXT) | instid1(VALU_DEP_4)
	v_add_f64 v[29:30], v[29:30], -v[45:46]
	v_fma_f64 v[33:34], v[35:36], v[33:34], s[72:73]
	s_delay_alu instid0(VALU_DEP_3) | instskip(SKIP_1) | instid1(VALU_DEP_4)
	v_add_f64 v[51:52], v[43:44], -v[49:50]
	v_add_f64 v[41:42], v[41:42], -v[49:50]
	v_add_f64 v[45:46], v[39:40], v[29:30]
	s_delay_alu instid0(VALU_DEP_4) | instskip(NEXT) | instid1(VALU_DEP_4)
	v_fma_f64 v[33:34], v[35:36], v[33:34], s[74:75]
	v_add_f64 v[37:38], v[37:38], -v[51:52]
	s_delay_alu instid0(VALU_DEP_2) | instskip(NEXT) | instid1(VALU_DEP_2)
	v_fma_f64 v[33:34], v[35:36], v[33:34], s[76:77]
	v_add_f64 v[37:38], v[41:42], v[37:38]
	v_add_f64 v[41:42], v[45:46], -v[39:40]
	s_delay_alu instid0(VALU_DEP_3) | instskip(NEXT) | instid1(VALU_DEP_3)
	v_fma_f64 v[33:34], v[35:36], v[33:34], s[78:79]
	v_add_f64 v[37:38], v[45:46], v[37:38]
	s_delay_alu instid0(VALU_DEP_3) | instskip(SKIP_1) | instid1(VALU_DEP_4)
	v_add_f64 v[45:46], v[45:46], -v[41:42]
	v_add_f64 v[29:30], v[29:30], -v[41:42]
	v_fma_f64 v[33:34], v[35:36], v[33:34], s[80:81]
	s_delay_alu instid0(VALU_DEP_4) | instskip(NEXT) | instid1(VALU_DEP_2)
	v_add_f64 v[47:48], v[43:44], v[37:38]
	v_mul_f64 v[33:34], v[35:36], v[33:34]
	v_add_f64 v[35:36], v[39:40], -v[45:46]
	s_delay_alu instid0(VALU_DEP_3) | instskip(NEXT) | instid1(VALU_DEP_3)
	v_add_f64 v[39:40], v[47:48], -v[43:44]
	v_fma_f64 v[31:32], v[31:32], v[33:34], v[31:32]
	s_delay_alu instid0(VALU_DEP_3) | instskip(NEXT) | instid1(VALU_DEP_3)
	v_add_f64 v[29:30], v[29:30], v[35:36]
	v_add_f64 v[33:34], v[37:38], -v[39:40]
	s_delay_alu instid0(VALU_DEP_3) | instskip(NEXT) | instid1(VALU_DEP_2)
	v_add_f64 v[35:36], -v[31:32], s[82:83]
	v_add_f64 v[29:30], v[29:30], v[33:34]
	s_delay_alu instid0(VALU_DEP_2) | instskip(NEXT) | instid1(VALU_DEP_3)
	v_cndmask_b32_e64 v32, v32, v36, s2
	v_cndmask_b32_e64 v31, v31, v35, s2
	s_delay_alu instid0(VALU_DEP_1) | instskip(NEXT) | instid1(VALU_DEP_4)
	v_add_f64 v[33:34], -v[31:32], s[12:13]
	v_add_f64 v[29:30], v[47:48], v[29:30]
	v_and_b32_e32 v18, 0x54442d18, v7
	v_and_b32_e32 v7, 0x400921fb, v7
	s_delay_alu instid0(VALU_DEP_4) | instskip(SKIP_1) | instid1(VALU_DEP_1)
	v_cndmask_b32_e64 v31, v31, v33, s3
	v_cndmask_b32_e64 v14, v32, v34, s3
                                        ; implicit-def: $vgpr33_vgpr34
	v_cndmask_b32_e64 v7, v14, v7, s4
	v_dual_cndmask_b32 v9, v29, v9 :: v_dual_cndmask_b32 v10, v30, v10
	s_delay_alu instid0(VALU_DEP_4) | instskip(SKIP_1) | instid1(VALU_DEP_3)
	v_cndmask_b32_e64 v18, v31, v18, s4
	s_and_b32 vcc_lo, s8, s7
	v_cndmask_b32_e32 v30, v7, v13, vcc_lo
	s_delay_alu instid0(VALU_DEP_3) | instskip(NEXT) | instid1(VALU_DEP_3)
	v_mul_f64 v[9:10], v[9:10], 0.5
	v_cndmask_b32_e32 v29, v18, v11, vcc_lo
.LBB180_94:                             ;   in Loop: Header=BB180_5 Depth=1
	s_and_not1_saveexec_b32 s4, s6
	s_cbranch_execz .LBB180_96
; %bb.95:                               ;   in Loop: Header=BB180_5 Depth=1
	v_max_f64 v[9:10], |v[15:16]|, |v[15:16]|
	v_max_f64 v[29:30], |v[13:14]|, |v[13:14]|
	s_mov_b32 s12, s82
	v_cmp_class_f64_e64 s6, v[15:16], 0x204
	v_cmp_class_f64_e64 s7, v[13:14], 0x204
	v_cmp_eq_f64_e64 s3, 0, v[15:16]
	v_ashrrev_i32_e32 v7, 31, v14
	v_max_f64 v[31:32], v[29:30], v[9:10]
	v_min_f64 v[9:10], v[29:30], v[9:10]
	s_delay_alu instid0(VALU_DEP_1) | instskip(SKIP_1) | instid1(VALU_DEP_2)
	v_div_scale_f64 v[29:30], null, v[31:32], v[31:32], v[9:10]
	v_div_scale_f64 v[39:40], vcc_lo, v[9:10], v[31:32], v[9:10]
	v_rcp_f64_e32 v[35:36], v[29:30]
	s_waitcnt_depctr 0xfff
	v_fma_f64 v[37:38], -v[29:30], v[35:36], 1.0
	s_delay_alu instid0(VALU_DEP_1) | instskip(NEXT) | instid1(VALU_DEP_1)
	v_fma_f64 v[35:36], v[35:36], v[37:38], v[35:36]
	v_fma_f64 v[37:38], -v[29:30], v[35:36], 1.0
	s_delay_alu instid0(VALU_DEP_1) | instskip(NEXT) | instid1(VALU_DEP_1)
	v_fma_f64 v[35:36], v[35:36], v[37:38], v[35:36]
	v_mul_f64 v[37:38], v[39:40], v[35:36]
	s_delay_alu instid0(VALU_DEP_1) | instskip(NEXT) | instid1(VALU_DEP_1)
	v_fma_f64 v[29:30], -v[29:30], v[37:38], v[39:40]
	v_div_fmas_f64 v[29:30], v[29:30], v[35:36], v[37:38]
	v_cmp_gt_i32_e32 vcc_lo, 0, v14
	v_cndmask_b32_e32 v13, 0x3fe921fb, v56, vcc_lo
	v_cndmask_b32_e32 v18, 0x54442d18, v55, vcc_lo
	s_delay_alu instid0(VALU_DEP_2) | instskip(SKIP_1) | instid1(VALU_DEP_1)
	v_bfi_b32 v13, 0x7fffffff, v13, v16
	v_div_fixup_f64 v[9:10], v[29:30], v[31:32], v[9:10]
	v_mul_f64 v[29:30], v[9:10], v[9:10]
	s_delay_alu instid0(VALU_DEP_1) | instskip(NEXT) | instid1(VALU_DEP_1)
	v_fma_f64 v[31:32], v[29:30], s[44:45], s[42:43]
	v_fma_f64 v[31:32], v[29:30], v[31:32], s[46:47]
	s_delay_alu instid0(VALU_DEP_1) | instskip(NEXT) | instid1(VALU_DEP_1)
	v_fma_f64 v[31:32], v[29:30], v[31:32], s[48:49]
	v_fma_f64 v[31:32], v[29:30], v[31:32], s[50:51]
	;; [unrolled: 3-line block ×9, first 2 shown]
	s_delay_alu instid0(VALU_DEP_1) | instskip(NEXT) | instid1(VALU_DEP_1)
	v_fma_f64 v[31:32], v[29:30], v[31:32], s[80:81]
	v_mul_f64 v[29:30], v[29:30], v[31:32]
	v_mul_f64 v[31:32], v[33:34], 0.5
	s_delay_alu instid0(VALU_DEP_2) | instskip(NEXT) | instid1(VALU_DEP_1)
	v_fma_f64 v[9:10], v[9:10], v[29:30], v[9:10]
	v_add_f64 v[29:30], -v[9:10], s[82:83]
	s_delay_alu instid0(VALU_DEP_1) | instskip(NEXT) | instid1(VALU_DEP_2)
	v_cndmask_b32_e64 v11, v10, v30, s2
	v_cndmask_b32_e64 v10, v9, v29, s2
	s_delay_alu instid0(VALU_DEP_1) | instskip(NEXT) | instid1(VALU_DEP_1)
	v_add_f64 v[29:30], -v[10:11], s[12:13]
	v_cndmask_b32_e32 v29, v10, v29, vcc_lo
	v_mul_f64 v[9:10], v[33:34], v[31:32]
	s_delay_alu instid0(VALU_DEP_3) | instskip(SKIP_3) | instid1(VALU_DEP_1)
	v_cndmask_b32_e32 v11, v11, v30, vcc_lo
	s_and_b32 vcc_lo, s7, s6
	v_and_b32_e32 v35, 0x54442d18, v7
	v_and_b32_e32 v7, 0x400921fb, v7
	v_cndmask_b32_e64 v7, v11, v7, s3
	s_delay_alu instid0(VALU_DEP_1) | instskip(NEXT) | instid1(VALU_DEP_4)
	v_cndmask_b32_e32 v30, v7, v13, vcc_lo
	v_cndmask_b32_e64 v14, v29, v35, s3
	s_delay_alu instid0(VALU_DEP_1)
	v_cndmask_b32_e32 v29, v14, v18, vcc_lo
.LBB180_96:                             ;   in Loop: Header=BB180_5 Depth=1
	s_or_b32 exec_lo, exec_lo, s4
.LBB180_97:                             ;   in Loop: Header=BB180_5 Depth=1
	s_delay_alu instid0(SALU_CYCLE_1)
	s_or_b32 exec_lo, exec_lo, s5
.LBB180_98:                             ;   in Loop: Header=BB180_5 Depth=1
	s_and_not1_saveexec_b32 s5, s98
	s_cbranch_execz .LBB180_100
; %bb.99:                               ;   in Loop: Header=BB180_5 Depth=1
	v_div_scale_f64 v[9:10], null, s[88:89], s[88:89], v[13:14]
	v_div_scale_f64 v[29:30], null, s[88:89], s[88:89], v[15:16]
	v_div_scale_f64 v[39:40], vcc_lo, v[13:14], s[88:89], v[13:14]
	v_max_f64 v[43:44], |v[13:14]|, |v[13:14]|
	s_mov_b32 s93, s23
	s_mov_b32 s12, s82
	s_delay_alu instid0(VALU_DEP_4) | instskip(NEXT) | instid1(VALU_DEP_3)
	v_rcp_f64_e32 v[31:32], v[9:10]
	v_rcp_f64_e32 v[33:34], v[29:30]
	s_waitcnt_depctr 0xfff
	v_fma_f64 v[35:36], -v[9:10], v[31:32], 1.0
	v_fma_f64 v[37:38], -v[29:30], v[33:34], 1.0
	s_delay_alu instid0(VALU_DEP_2) | instskip(NEXT) | instid1(VALU_DEP_2)
	v_fma_f64 v[31:32], v[31:32], v[35:36], v[31:32]
	v_fma_f64 v[33:34], v[33:34], v[37:38], v[33:34]
	s_delay_alu instid0(VALU_DEP_2) | instskip(NEXT) | instid1(VALU_DEP_2)
	v_fma_f64 v[35:36], -v[9:10], v[31:32], 1.0
	v_fma_f64 v[37:38], -v[29:30], v[33:34], 1.0
	s_delay_alu instid0(VALU_DEP_2) | instskip(SKIP_1) | instid1(VALU_DEP_3)
	v_fma_f64 v[31:32], v[31:32], v[35:36], v[31:32]
	v_div_scale_f64 v[35:36], s3, v[15:16], s[88:89], v[15:16]
	v_fma_f64 v[33:34], v[33:34], v[37:38], v[33:34]
	s_delay_alu instid0(VALU_DEP_3) | instskip(NEXT) | instid1(VALU_DEP_2)
	v_mul_f64 v[37:38], v[39:40], v[31:32]
	v_mul_f64 v[41:42], v[35:36], v[33:34]
	s_delay_alu instid0(VALU_DEP_2) | instskip(NEXT) | instid1(VALU_DEP_2)
	v_fma_f64 v[9:10], -v[9:10], v[37:38], v[39:40]
	v_fma_f64 v[29:30], -v[29:30], v[41:42], v[35:36]
	s_delay_alu instid0(VALU_DEP_2) | instskip(SKIP_1) | instid1(VALU_DEP_2)
	v_div_fmas_f64 v[9:10], v[9:10], v[31:32], v[37:38]
	s_mov_b32 vcc_lo, s3
	v_div_fmas_f64 v[29:30], v[29:30], v[33:34], v[41:42]
	s_delay_alu instid0(VALU_DEP_2) | instskip(NEXT) | instid1(VALU_DEP_2)
	v_div_fixup_f64 v[9:10], v[9:10], s[88:89], v[13:14]
	v_div_fixup_f64 v[29:30], v[29:30], s[88:89], v[15:16]
	s_delay_alu instid0(VALU_DEP_2) | instskip(NEXT) | instid1(VALU_DEP_2)
	v_cmp_class_f64_e64 s4, v[9:10], 0x204
	v_max_f64 v[31:32], |v[9:10]|, |v[29:30]|
	v_cmp_o_f64_e64 s3, v[9:10], v[29:30]
	v_cmp_class_f64_e64 s6, v[29:30], 0x204
	s_delay_alu instid0(VALU_DEP_3) | instskip(NEXT) | instid1(VALU_DEP_2)
	v_frexp_exp_i32_f64_e32 v7, v[31:32]
	s_or_b32 s6, s4, s6
	s_delay_alu instid0(VALU_DEP_1) | instskip(NEXT) | instid1(VALU_DEP_1)
	v_sub_nc_u32_e32 v11, 0, v7
	v_ldexp_f64 v[31:32], |v[29:30]|, v11
	v_ldexp_f64 v[33:34], |v[9:10]|, v11
	s_delay_alu instid0(VALU_DEP_2) | instskip(NEXT) | instid1(VALU_DEP_1)
	v_mul_f64 v[31:32], v[31:32], v[31:32]
	v_fma_f64 v[31:32], v[33:34], v[33:34], v[31:32]
	s_delay_alu instid0(VALU_DEP_1) | instskip(SKIP_4) | instid1(VALU_DEP_1)
	v_rsq_f64_e32 v[33:34], v[31:32]
	v_cmp_eq_f64_e32 vcc_lo, 0, v[31:32]
	s_waitcnt_depctr 0xfff
	v_mul_f64 v[35:36], v[31:32], v[33:34]
	v_mul_f64 v[33:34], v[33:34], 0.5
	v_fma_f64 v[37:38], -v[33:34], v[35:36], 0.5
	s_delay_alu instid0(VALU_DEP_1) | instskip(SKIP_1) | instid1(VALU_DEP_2)
	v_fma_f64 v[35:36], v[35:36], v[37:38], v[35:36]
	v_fma_f64 v[33:34], v[33:34], v[37:38], v[33:34]
	v_fma_f64 v[37:38], -v[35:36], v[35:36], v[31:32]
	s_delay_alu instid0(VALU_DEP_1) | instskip(NEXT) | instid1(VALU_DEP_1)
	v_fma_f64 v[33:34], v[37:38], v[33:34], v[35:36]
	v_dual_cndmask_b32 v32, v34, v32 :: v_dual_cndmask_b32 v31, v33, v31
	s_delay_alu instid0(VALU_DEP_1) | instskip(NEXT) | instid1(VALU_DEP_1)
	v_ldexp_f64 v[31:32], v[31:32], v7
	v_cndmask_b32_e64 v7, 0, v31, s3
	s_delay_alu instid0(VALU_DEP_2) | instskip(NEXT) | instid1(VALU_DEP_2)
	v_cndmask_b32_e64 v9, 0x7ff80000, v32, s3
	v_cndmask_b32_e64 v10, v7, 0, s6
	s_delay_alu instid0(VALU_DEP_2) | instskip(NEXT) | instid1(VALU_DEP_1)
	v_cndmask_b32_e64 v11, v9, 0x7ff00000, s6
	v_frexp_mant_f64_e32 v[29:30], v[10:11]
	s_delay_alu instid0(VALU_DEP_1) | instskip(NEXT) | instid1(VALU_DEP_1)
	v_cmp_gt_f64_e64 s4, s[22:23], v[29:30]
	v_cndmask_b32_e64 v18, 0x3ff00000, 2.0, s4
	s_delay_alu instid0(VALU_DEP_1) | instskip(SKIP_1) | instid1(VALU_DEP_2)
	v_mul_f64 v[29:30], v[29:30], v[17:18]
	v_frexp_exp_i32_f64_e32 v18, v[10:11]
	v_add_f64 v[33:34], v[29:30], 1.0
	v_add_f64 v[39:40], v[29:30], -1.0
	s_delay_alu instid0(VALU_DEP_2) | instskip(SKIP_1) | instid1(VALU_DEP_1)
	v_rcp_f64_e32 v[35:36], v[33:34]
	v_add_f64 v[45:46], v[33:34], -1.0
	v_add_f64 v[29:30], v[29:30], -v[45:46]
	s_waitcnt_depctr 0xfff
	v_fma_f64 v[37:38], -v[33:34], v[35:36], 1.0
	s_delay_alu instid0(VALU_DEP_1) | instskip(NEXT) | instid1(VALU_DEP_1)
	v_fma_f64 v[35:36], v[37:38], v[35:36], v[35:36]
	v_fma_f64 v[37:38], -v[33:34], v[35:36], 1.0
	s_delay_alu instid0(VALU_DEP_1) | instskip(SKIP_1) | instid1(VALU_DEP_2)
	v_fma_f64 v[35:36], v[37:38], v[35:36], v[35:36]
	v_max_f64 v[37:38], |v[15:16]|, |v[15:16]|
	v_mul_f64 v[41:42], v[39:40], v[35:36]
	s_delay_alu instid0(VALU_DEP_2) | instskip(SKIP_1) | instid1(VALU_DEP_3)
	v_max_f64 v[49:50], v[43:44], v[37:38]
	v_min_f64 v[37:38], v[43:44], v[37:38]
	v_mul_f64 v[47:48], v[33:34], v[41:42]
	s_delay_alu instid0(VALU_DEP_2) | instskip(NEXT) | instid1(VALU_DEP_2)
	v_div_scale_f64 v[43:44], null, v[49:50], v[49:50], v[37:38]
	v_fma_f64 v[33:34], v[41:42], v[33:34], -v[47:48]
	s_delay_alu instid0(VALU_DEP_1) | instskip(NEXT) | instid1(VALU_DEP_3)
	v_fma_f64 v[29:30], v[41:42], v[29:30], v[33:34]
	v_rcp_f64_e32 v[33:34], v[43:44]
	s_delay_alu instid0(VALU_DEP_1) | instskip(SKIP_4) | instid1(VALU_DEP_3)
	v_add_f64 v[45:46], v[47:48], v[29:30]
	s_waitcnt_depctr 0xfff
	v_fma_f64 v[51:52], -v[43:44], v[33:34], 1.0
	v_add_f64 v[53:54], v[39:40], -v[45:46]
	v_add_f64 v[47:48], v[45:46], -v[47:48]
	v_fma_f64 v[33:34], v[33:34], v[51:52], v[33:34]
	s_delay_alu instid0(VALU_DEP_3) | instskip(NEXT) | instid1(VALU_DEP_3)
	v_add_f64 v[39:40], v[39:40], -v[53:54]
	v_add_f64 v[29:30], v[47:48], -v[29:30]
	s_delay_alu instid0(VALU_DEP_3) | instskip(NEXT) | instid1(VALU_DEP_3)
	v_fma_f64 v[51:52], -v[43:44], v[33:34], 1.0
	v_add_f64 v[39:40], v[39:40], -v[45:46]
	v_div_scale_f64 v[45:46], vcc_lo, v[37:38], v[49:50], v[37:38]
	s_delay_alu instid0(VALU_DEP_3) | instskip(NEXT) | instid1(VALU_DEP_3)
	v_fma_f64 v[33:34], v[33:34], v[51:52], v[33:34]
	v_add_f64 v[29:30], v[29:30], v[39:40]
	s_delay_alu instid0(VALU_DEP_2) | instskip(NEXT) | instid1(VALU_DEP_2)
	v_mul_f64 v[39:40], v[45:46], v[33:34]
	v_add_f64 v[29:30], v[53:54], v[29:30]
	s_delay_alu instid0(VALU_DEP_2) | instskip(NEXT) | instid1(VALU_DEP_2)
	v_fma_f64 v[43:44], -v[43:44], v[39:40], v[45:46]
	v_mul_f64 v[29:30], v[35:36], v[29:30]
	s_delay_alu instid0(VALU_DEP_2) | instskip(SKIP_2) | instid1(VALU_DEP_4)
	v_div_fmas_f64 v[33:34], v[43:44], v[33:34], v[39:40]
	v_subrev_co_ci_u32_e64 v18, vcc_lo, 0, v18, s4
	v_cmp_class_f64_e64 s4, v[13:14], 0x204
	v_add_f64 v[35:36], v[41:42], v[29:30]
	s_delay_alu instid0(VALU_DEP_4) | instskip(NEXT) | instid1(VALU_DEP_2)
	v_div_fixup_f64 v[33:34], v[33:34], v[49:50], v[37:38]
	v_mul_f64 v[37:38], v[35:36], v[35:36]
	s_delay_alu instid0(VALU_DEP_2) | instskip(NEXT) | instid1(VALU_DEP_2)
	v_mul_f64 v[39:40], v[33:34], v[33:34]
	v_fma_f64 v[43:44], v[37:38], s[26:27], s[24:25]
	v_mul_f64 v[47:48], v[35:36], v[37:38]
	s_delay_alu instid0(VALU_DEP_3) | instskip(NEXT) | instid1(VALU_DEP_3)
	v_fma_f64 v[45:46], v[39:40], s[44:45], s[42:43]
	v_fma_f64 v[43:44], v[37:38], v[43:44], s[28:29]
	s_delay_alu instid0(VALU_DEP_2) | instskip(NEXT) | instid1(VALU_DEP_2)
	v_fma_f64 v[45:46], v[39:40], v[45:46], s[46:47]
	v_fma_f64 v[43:44], v[37:38], v[43:44], s[30:31]
	s_delay_alu instid0(VALU_DEP_2) | instskip(NEXT) | instid1(VALU_DEP_2)
	;; [unrolled: 3-line block ×4, first 2 shown]
	v_fma_f64 v[45:46], v[39:40], v[45:46], s[52:53]
	v_fma_f64 v[37:38], v[37:38], v[43:44], s[92:93]
	s_delay_alu instid0(VALU_DEP_2) | instskip(SKIP_2) | instid1(VALU_DEP_4)
	v_fma_f64 v[43:44], v[39:40], v[45:46], s[54:55]
	v_ldexp_f64 v[45:46], v[35:36], 1
	v_add_f64 v[35:36], v[35:36], -v[41:42]
	v_mul_f64 v[37:38], v[47:48], v[37:38]
	v_cvt_f64_i32_e32 v[47:48], v18
	v_ashrrev_i32_e32 v18, 31, v14
	v_fma_f64 v[43:44], v[39:40], v[43:44], s[56:57]
	v_add_f64 v[29:30], v[29:30], -v[35:36]
	v_add_f64 v[41:42], v[45:46], v[37:38]
	v_mul_f64 v[49:50], v[47:48], s[38:39]
	s_delay_alu instid0(VALU_DEP_4) | instskip(NEXT) | instid1(VALU_DEP_4)
	v_fma_f64 v[43:44], v[39:40], v[43:44], s[58:59]
	v_ldexp_f64 v[29:30], v[29:30], 1
	s_delay_alu instid0(VALU_DEP_4) | instskip(NEXT) | instid1(VALU_DEP_4)
	v_add_f64 v[35:36], v[41:42], -v[45:46]
	v_fma_f64 v[45:46], v[47:48], s[38:39], -v[49:50]
	s_delay_alu instid0(VALU_DEP_4) | instskip(NEXT) | instid1(VALU_DEP_3)
	v_fma_f64 v[43:44], v[39:40], v[43:44], s[60:61]
	v_add_f64 v[35:36], v[37:38], -v[35:36]
	s_delay_alu instid0(VALU_DEP_2) | instskip(NEXT) | instid1(VALU_DEP_4)
	v_fma_f64 v[37:38], v[39:40], v[43:44], s[62:63]
	v_fma_f64 v[43:44], v[47:48], s[40:41], v[45:46]
	s_delay_alu instid0(VALU_DEP_3) | instskip(NEXT) | instid1(VALU_DEP_3)
	v_add_f64 v[29:30], v[29:30], v[35:36]
	v_fma_f64 v[35:36], v[39:40], v[37:38], s[64:65]
	s_delay_alu instid0(VALU_DEP_3) | instskip(NEXT) | instid1(VALU_DEP_3)
	v_add_f64 v[37:38], v[49:50], v[43:44]
	v_add_f64 v[45:46], v[41:42], v[29:30]
	s_delay_alu instid0(VALU_DEP_3) | instskip(NEXT) | instid1(VALU_DEP_3)
	v_fma_f64 v[35:36], v[39:40], v[35:36], s[66:67]
	v_add_f64 v[49:50], v[37:38], -v[49:50]
	s_delay_alu instid0(VALU_DEP_3) | instskip(SKIP_1) | instid1(VALU_DEP_4)
	v_add_f64 v[47:48], v[37:38], v[45:46]
	v_add_f64 v[41:42], v[45:46], -v[41:42]
	v_fma_f64 v[35:36], v[39:40], v[35:36], s[68:69]
	s_delay_alu instid0(VALU_DEP_4) | instskip(NEXT) | instid1(VALU_DEP_4)
	v_add_f64 v[43:44], v[43:44], -v[49:50]
	v_add_f64 v[51:52], v[47:48], -v[37:38]
	s_delay_alu instid0(VALU_DEP_4) | instskip(NEXT) | instid1(VALU_DEP_4)
	v_add_f64 v[29:30], v[29:30], -v[41:42]
	v_fma_f64 v[35:36], v[39:40], v[35:36], s[70:71]
	s_delay_alu instid0(VALU_DEP_3) | instskip(SKIP_1) | instid1(VALU_DEP_4)
	v_add_f64 v[53:54], v[47:48], -v[51:52]
	v_add_f64 v[41:42], v[45:46], -v[51:52]
	v_add_f64 v[45:46], v[43:44], v[29:30]
	s_delay_alu instid0(VALU_DEP_4) | instskip(NEXT) | instid1(VALU_DEP_4)
	v_fma_f64 v[35:36], v[39:40], v[35:36], s[72:73]
	v_add_f64 v[37:38], v[37:38], -v[53:54]
	s_delay_alu instid0(VALU_DEP_2) | instskip(NEXT) | instid1(VALU_DEP_2)
	v_fma_f64 v[35:36], v[39:40], v[35:36], s[74:75]
	v_add_f64 v[37:38], v[41:42], v[37:38]
	v_add_f64 v[41:42], v[45:46], -v[43:44]
	s_delay_alu instid0(VALU_DEP_3) | instskip(NEXT) | instid1(VALU_DEP_3)
	v_fma_f64 v[35:36], v[39:40], v[35:36], s[76:77]
	v_add_f64 v[37:38], v[45:46], v[37:38]
	s_delay_alu instid0(VALU_DEP_3) | instskip(SKIP_1) | instid1(VALU_DEP_4)
	v_add_f64 v[45:46], v[45:46], -v[41:42]
	v_add_f64 v[29:30], v[29:30], -v[41:42]
	v_fma_f64 v[35:36], v[39:40], v[35:36], s[78:79]
	s_delay_alu instid0(VALU_DEP_4) | instskip(NEXT) | instid1(VALU_DEP_4)
	v_add_f64 v[49:50], v[47:48], v[37:38]
	v_add_f64 v[41:42], v[43:44], -v[45:46]
	s_delay_alu instid0(VALU_DEP_3) | instskip(NEXT) | instid1(VALU_DEP_3)
	v_fma_f64 v[35:36], v[39:40], v[35:36], s[80:81]
	v_add_f64 v[43:44], v[49:50], -v[47:48]
	s_delay_alu instid0(VALU_DEP_3) | instskip(NEXT) | instid1(VALU_DEP_3)
	v_add_f64 v[29:30], v[29:30], v[41:42]
	v_mul_f64 v[35:36], v[39:40], v[35:36]
	s_delay_alu instid0(VALU_DEP_3) | instskip(NEXT) | instid1(VALU_DEP_2)
	v_add_f64 v[37:38], v[37:38], -v[43:44]
	v_fma_f64 v[33:34], v[33:34], v[35:36], v[33:34]
	s_delay_alu instid0(VALU_DEP_2) | instskip(NEXT) | instid1(VALU_DEP_2)
	v_add_f64 v[29:30], v[29:30], v[37:38]
	v_add_f64 v[35:36], -v[33:34], s[82:83]
	s_delay_alu instid0(VALU_DEP_2) | instskip(SKIP_1) | instid1(VALU_DEP_1)
	v_add_f64 v[29:30], v[49:50], v[29:30]
	v_and_b32_e32 v32, 0x7fffffff, v32
	v_cmp_eq_f64_e32 vcc_lo, 0x7ff00000, v[31:32]
	s_delay_alu instid0(VALU_DEP_4) | instskip(SKIP_2) | instid1(VALU_DEP_2)
	v_cndmask_b32_e64 v32, v34, v36, s2
	v_cndmask_b32_e64 v31, v33, v35, s2
	v_cmp_eq_f64_e64 s2, 0, v[15:16]
	v_add_f64 v[33:34], -v[31:32], s[12:13]
	s_and_b32 vcc_lo, s3, vcc_lo
	v_cmp_class_f64_e64 s3, v[15:16], 0x204
	v_dual_cndmask_b32 v29, v29, v7 :: v_dual_cndmask_b32 v30, v30, v9
	v_and_b32_e32 v9, 0x54442d18, v18
	v_cmp_gt_i32_e32 vcc_lo, 0, v14
	v_and_b32_e32 v14, 0x400921fb, v18
	s_delay_alu instid0(VALU_DEP_4) | instskip(SKIP_3) | instid1(VALU_DEP_3)
	v_add_f64 v[29:30], v[29:30], 1.0
	v_cndmask_b32_e32 v31, v31, v33, vcc_lo
	v_cndmask_b32_e32 v7, 0x54442d18, v55, vcc_lo
	;; [unrolled: 1-line block ×3, first 2 shown]
	v_cndmask_b32_e64 v31, v31, v9, s2
	v_cndmask_b32_e32 v18, v32, v34, vcc_lo
	v_cmp_ngt_f64_e32 vcc_lo, 0, v[10:11]
	s_delay_alu instid0(VALU_DEP_4) | instskip(NEXT) | instid1(VALU_DEP_3)
	v_bfi_b32 v13, 0x7fffffff, v13, v16
	v_cndmask_b32_e64 v9, v18, v14, s2
	v_cmp_nge_f64_e64 s2, 0, v[10:11]
	v_cndmask_b32_e64 v30, v30, 0x7ff00000, s6
	v_cndmask_b32_e64 v14, v29, 0, s6
	s_delay_alu instid0(VALU_DEP_2) | instskip(SKIP_2) | instid1(VALU_DEP_3)
	v_cndmask_b32_e32 v18, 0x7ff80000, v30, vcc_lo
	s_and_b32 vcc_lo, s4, s3
	v_dual_cndmask_b32 v29, v31, v7 :: v_dual_cndmask_b32 v30, v9, v13
	v_cndmask_b32_e64 v9, 0, v14, s2
	v_cmp_neq_f64_e64 s2, 0, v[10:11]
	s_delay_alu instid0(VALU_DEP_1)
	v_cndmask_b32_e64 v10, 0xfff00000, v18, s2
.LBB180_100:                            ;   in Loop: Header=BB180_5 Depth=1
	s_or_b32 exec_lo, exec_lo, s5
.LBB180_101:                            ;   in Loop: Header=BB180_5 Depth=1
	s_and_not1_saveexec_b32 s2, s97
	s_cbranch_execz .LBB180_107
; %bb.102:                              ;   in Loop: Header=BB180_5 Depth=1
	v_cmp_ngt_f64_e64 s3, 0x20000000, |v[13:14]|
	v_cmp_ngt_f64_e64 s4, 0x20000000, |v[15:16]|
                                        ; implicit-def: $vgpr10_vgpr11
	s_delay_alu instid0(VALU_DEP_1) | instskip(NEXT) | instid1(SALU_CYCLE_1)
	s_or_b32 s3, s3, s4
	s_and_saveexec_b32 s4, s3
	s_delay_alu instid0(SALU_CYCLE_1)
	s_xor_b32 s3, exec_lo, s4
; %bb.103:                              ;   in Loop: Header=BB180_5 Depth=1
	v_mul_f64 v[9:10], v[15:16], v[15:16]
	s_delay_alu instid0(VALU_DEP_1)
	v_fma_f64 v[10:11], v[13:14], v[13:14], v[9:10]
; %bb.104:                              ;   in Loop: Header=BB180_5 Depth=1
	s_and_not1_saveexec_b32 s3, s3
; %bb.105:                              ;   in Loop: Header=BB180_5 Depth=1
	v_mul_f64 v[9:10], v[15:16], 4.0
	v_mul_f64 v[13:14], v[13:14], 4.0
	s_delay_alu instid0(VALU_DEP_2) | instskip(NEXT) | instid1(VALU_DEP_1)
	v_mul_f64 v[9:10], v[9:10], v[9:10]
	v_fma_f64 v[9:10], v[13:14], v[13:14], v[9:10]
	s_delay_alu instid0(VALU_DEP_1)
	v_ldexp_f64 v[10:11], v[9:10], -4
; %bb.106:                              ;   in Loop: Header=BB180_5 Depth=1
	s_or_b32 exec_lo, exec_lo, s3
	s_delay_alu instid0(VALU_DEP_1) | instskip(SKIP_2) | instid1(VALU_DEP_2)
	v_frexp_mant_f64_e32 v[13:14], v[10:11]
	s_mov_b32 s93, s23
	v_frexp_exp_i32_f64_e32 v7, v[10:11]
	v_cmp_gt_f64_e32 vcc_lo, s[22:23], v[13:14]
	v_cndmask_b32_e64 v18, 0x3ff00000, 2.0, vcc_lo
	s_delay_alu instid0(VALU_DEP_3) | instskip(SKIP_1) | instid1(VALU_DEP_3)
	v_subrev_co_ci_u32_e32 v7, vcc_lo, 0, v7, vcc_lo
	v_cmp_class_f64_e64 vcc_lo, v[10:11], 0x204
	v_mul_f64 v[13:14], v[13:14], v[17:18]
	s_delay_alu instid0(VALU_DEP_1) | instskip(SKIP_1) | instid1(VALU_DEP_2)
	v_add_f64 v[29:30], v[13:14], 1.0
	v_add_f64 v[35:36], v[13:14], -1.0
	v_rcp_f64_e32 v[31:32], v[29:30]
	v_add_f64 v[37:38], v[29:30], -1.0
	s_delay_alu instid0(VALU_DEP_1) | instskip(SKIP_2) | instid1(VALU_DEP_1)
	v_add_f64 v[13:14], v[13:14], -v[37:38]
	s_waitcnt_depctr 0xfff
	v_fma_f64 v[33:34], -v[29:30], v[31:32], 1.0
	v_fma_f64 v[31:32], v[33:34], v[31:32], v[31:32]
	s_delay_alu instid0(VALU_DEP_1) | instskip(NEXT) | instid1(VALU_DEP_1)
	v_fma_f64 v[33:34], -v[29:30], v[31:32], 1.0
	v_fma_f64 v[31:32], v[33:34], v[31:32], v[31:32]
	s_delay_alu instid0(VALU_DEP_1) | instskip(NEXT) | instid1(VALU_DEP_1)
	v_mul_f64 v[33:34], v[35:36], v[31:32]
	v_mul_f64 v[39:40], v[29:30], v[33:34]
	s_delay_alu instid0(VALU_DEP_1) | instskip(NEXT) | instid1(VALU_DEP_1)
	v_fma_f64 v[29:30], v[33:34], v[29:30], -v[39:40]
	v_fma_f64 v[13:14], v[33:34], v[13:14], v[29:30]
	s_delay_alu instid0(VALU_DEP_1) | instskip(NEXT) | instid1(VALU_DEP_1)
	v_add_f64 v[29:30], v[39:40], v[13:14]
	v_add_f64 v[37:38], v[35:36], -v[29:30]
	v_add_f64 v[39:40], v[29:30], -v[39:40]
	s_delay_alu instid0(VALU_DEP_2) | instskip(NEXT) | instid1(VALU_DEP_2)
	v_add_f64 v[35:36], v[35:36], -v[37:38]
	v_add_f64 v[13:14], v[39:40], -v[13:14]
	s_delay_alu instid0(VALU_DEP_2) | instskip(NEXT) | instid1(VALU_DEP_1)
	v_add_f64 v[29:30], v[35:36], -v[29:30]
	v_add_f64 v[13:14], v[13:14], v[29:30]
	s_delay_alu instid0(VALU_DEP_1) | instskip(NEXT) | instid1(VALU_DEP_1)
	v_add_f64 v[13:14], v[37:38], v[13:14]
	v_mul_f64 v[13:14], v[31:32], v[13:14]
	s_delay_alu instid0(VALU_DEP_1) | instskip(NEXT) | instid1(VALU_DEP_1)
	v_add_f64 v[29:30], v[33:34], v[13:14]
	v_mul_f64 v[31:32], v[29:30], v[29:30]
	s_delay_alu instid0(VALU_DEP_1) | instskip(SKIP_1) | instid1(VALU_DEP_2)
	v_fma_f64 v[35:36], v[31:32], s[26:27], s[24:25]
	v_mul_f64 v[37:38], v[29:30], v[31:32]
	v_fma_f64 v[35:36], v[31:32], v[35:36], s[28:29]
	s_delay_alu instid0(VALU_DEP_1) | instskip(NEXT) | instid1(VALU_DEP_1)
	v_fma_f64 v[35:36], v[31:32], v[35:36], s[30:31]
	v_fma_f64 v[35:36], v[31:32], v[35:36], s[34:35]
	s_delay_alu instid0(VALU_DEP_1) | instskip(NEXT) | instid1(VALU_DEP_1)
	v_fma_f64 v[35:36], v[31:32], v[35:36], s[36:37]
	v_fma_f64 v[31:32], v[31:32], v[35:36], s[92:93]
	v_ldexp_f64 v[35:36], v[29:30], 1
	v_add_f64 v[29:30], v[29:30], -v[33:34]
	s_delay_alu instid0(VALU_DEP_3) | instskip(SKIP_1) | instid1(VALU_DEP_3)
	v_mul_f64 v[31:32], v[37:38], v[31:32]
	v_cvt_f64_i32_e32 v[37:38], v7
	v_add_f64 v[13:14], v[13:14], -v[29:30]
	s_delay_alu instid0(VALU_DEP_3) | instskip(NEXT) | instid1(VALU_DEP_3)
	v_add_f64 v[33:34], v[35:36], v[31:32]
	v_mul_f64 v[39:40], v[37:38], s[38:39]
	s_delay_alu instid0(VALU_DEP_3) | instskip(NEXT) | instid1(VALU_DEP_3)
	v_ldexp_f64 v[13:14], v[13:14], 1
	v_add_f64 v[29:30], v[33:34], -v[35:36]
	s_delay_alu instid0(VALU_DEP_3) | instskip(NEXT) | instid1(VALU_DEP_2)
	v_fma_f64 v[35:36], v[37:38], s[38:39], -v[39:40]
	v_add_f64 v[29:30], v[31:32], -v[29:30]
	s_delay_alu instid0(VALU_DEP_2) | instskip(NEXT) | instid1(VALU_DEP_2)
	v_fma_f64 v[31:32], v[37:38], s[40:41], v[35:36]
	v_add_f64 v[13:14], v[13:14], v[29:30]
	s_delay_alu instid0(VALU_DEP_2) | instskip(NEXT) | instid1(VALU_DEP_2)
	v_add_f64 v[29:30], v[39:40], v[31:32]
	v_add_f64 v[35:36], v[33:34], v[13:14]
	s_delay_alu instid0(VALU_DEP_2) | instskip(NEXT) | instid1(VALU_DEP_2)
	v_add_f64 v[39:40], v[29:30], -v[39:40]
	v_add_f64 v[37:38], v[29:30], v[35:36]
	v_add_f64 v[33:34], v[35:36], -v[33:34]
	s_delay_alu instid0(VALU_DEP_3) | instskip(NEXT) | instid1(VALU_DEP_3)
	v_add_f64 v[31:32], v[31:32], -v[39:40]
	v_add_f64 v[41:42], v[37:38], -v[29:30]
	s_delay_alu instid0(VALU_DEP_3) | instskip(NEXT) | instid1(VALU_DEP_2)
	v_add_f64 v[13:14], v[13:14], -v[33:34]
	v_add_f64 v[43:44], v[37:38], -v[41:42]
	;; [unrolled: 1-line block ×3, first 2 shown]
	s_delay_alu instid0(VALU_DEP_3) | instskip(NEXT) | instid1(VALU_DEP_3)
	v_add_f64 v[35:36], v[31:32], v[13:14]
	v_add_f64 v[29:30], v[29:30], -v[43:44]
	s_delay_alu instid0(VALU_DEP_1) | instskip(NEXT) | instid1(VALU_DEP_3)
	v_add_f64 v[29:30], v[33:34], v[29:30]
	v_add_f64 v[33:34], v[35:36], -v[31:32]
	s_delay_alu instid0(VALU_DEP_2) | instskip(NEXT) | instid1(VALU_DEP_2)
	v_add_f64 v[29:30], v[35:36], v[29:30]
	v_add_f64 v[35:36], v[35:36], -v[33:34]
	v_add_f64 v[13:14], v[13:14], -v[33:34]
	s_delay_alu instid0(VALU_DEP_3) | instskip(NEXT) | instid1(VALU_DEP_3)
	v_add_f64 v[39:40], v[37:38], v[29:30]
	v_add_f64 v[31:32], v[31:32], -v[35:36]
	s_delay_alu instid0(VALU_DEP_2) | instskip(NEXT) | instid1(VALU_DEP_2)
	v_add_f64 v[33:34], v[39:40], -v[37:38]
	v_add_f64 v[13:14], v[13:14], v[31:32]
	s_delay_alu instid0(VALU_DEP_2) | instskip(NEXT) | instid1(VALU_DEP_1)
	v_add_f64 v[29:30], v[29:30], -v[33:34]
	v_add_f64 v[13:14], v[13:14], v[29:30]
	s_delay_alu instid0(VALU_DEP_1) | instskip(NEXT) | instid1(VALU_DEP_1)
	v_add_f64 v[13:14], v[39:40], v[13:14]
	v_cndmask_b32_e32 v7, v13, v10, vcc_lo
	s_delay_alu instid0(VALU_DEP_2) | instskip(SKIP_1) | instid1(VALU_DEP_2)
	v_cndmask_b32_e32 v9, v14, v11, vcc_lo
	v_cmp_ngt_f64_e32 vcc_lo, 0, v[10:11]
	v_cndmask_b32_e32 v13, 0x7ff80000, v9, vcc_lo
	v_cmp_nge_f64_e32 vcc_lo, 0, v[10:11]
	v_mov_b32_e32 v29, 0
	v_dual_mov_b32 v30, 0x7ff80000 :: v_dual_cndmask_b32 v9, 0, v7
	v_cmp_neq_f64_e32 vcc_lo, 0, v[10:11]
	v_cndmask_b32_e32 v10, 0xfff00000, v13, vcc_lo
.LBB180_107:                            ;   in Loop: Header=BB180_5 Depth=1
	s_or_b32 exec_lo, exec_lo, s2
                                        ; implicit-def: $vgpr13_vgpr14
                                        ; implicit-def: $vgpr31_vgpr32
	s_delay_alu instid0(SALU_CYCLE_1)
	s_mov_b32 s2, exec_lo
	v_cmpx_o_f64_e32 v[1:2], v[3:4]
	s_xor_b32 s97, exec_lo, s2
	s_cbranch_execz .LBB180_135
; %bb.108:                              ;   in Loop: Header=BB180_5 Depth=1
	v_cmp_lt_f64_e64 s2, |v[1:2]|, |v[3:4]|
	v_and_b32_e32 v7, 0x7fffffff, v2
	v_and_b32_e32 v11, 0x7fffffff, v4
	v_mov_b32_e32 v15, v3
                                        ; implicit-def: $vgpr13_vgpr14
                                        ; implicit-def: $vgpr31_vgpr32
	s_mov_b32 s3, exec_lo
	s_delay_alu instid0(VALU_DEP_2) | instskip(NEXT) | instid1(VALU_DEP_2)
	v_cndmask_b32_e64 v36, v11, v7, s2
	v_cndmask_b32_e64 v35, v15, v1, s2
	s_delay_alu instid0(VALU_DEP_1)
	v_cmpx_nlt_f64_e32 s[14:15], v[35:36]
	s_xor_b32 s98, exec_lo, s3
	s_cbranch_execz .LBB180_132
; %bb.109:                              ;   in Loop: Header=BB180_5 Depth=1
	v_cndmask_b32_e64 v38, v7, v11, s2
	v_cndmask_b32_e64 v37, v1, v15, s2
                                        ; implicit-def: $vgpr13_vgpr14
                                        ; implicit-def: $vgpr31_vgpr32
	s_mov_b32 s3, exec_lo
	s_delay_alu instid0(VALU_DEP_1)
	v_cmpx_neq_f64_e32 1.0, v[37:38]
	s_xor_b32 s99, exec_lo, s3
	s_cbranch_execz .LBB180_125
; %bb.110:                              ;   in Loop: Header=BB180_5 Depth=1
	v_max_f64 v[13:14], v[35:36], v[35:36]
	v_max_f64 v[31:32], v[37:38], v[37:38]
	s_delay_alu instid0(VALU_DEP_1) | instskip(SKIP_1) | instid1(VALU_DEP_2)
	v_min_f64 v[33:34], v[31:32], v[13:14]
	v_max_f64 v[13:14], v[31:32], v[13:14]
                                        ; implicit-def: $vgpr31_vgpr32
	v_cmp_ngt_f64_e32 vcc_lo, s[18:19], v[33:34]
	s_delay_alu instid0(VALU_DEP_2) | instskip(NEXT) | instid1(VALU_DEP_1)
	v_cmp_nlt_f64_e64 s3, s[20:21], v[13:14]
                                        ; implicit-def: $vgpr13_vgpr14
	s_and_b32 s3, s3, vcc_lo
	s_delay_alu instid0(SALU_CYCLE_1) | instskip(NEXT) | instid1(SALU_CYCLE_1)
	s_and_saveexec_b32 s4, s3
	s_xor_b32 s103, exec_lo, s4
	s_cbranch_execz .LBB180_122
; %bb.111:                              ;   in Loop: Header=BB180_5 Depth=1
                                        ; implicit-def: $vgpr13_vgpr14
                                        ; implicit-def: $vgpr31_vgpr32
	s_mov_b32 s3, exec_lo
	v_cmpx_le_f64_e32 1.0, v[37:38]
	s_xor_b32 s4, exec_lo, s3
	s_cbranch_execz .LBB180_113
; %bb.112:                              ;   in Loop: Header=BB180_5 Depth=1
	v_add_f64 v[13:14], v[37:38], -1.0
	v_add_f64 v[31:32], v[37:38], 1.0
	s_mov_b32 s93, s23
	s_mov_b32 s12, s82
	v_cmp_gt_i32_e64 s3, 0, v2
	v_cmp_class_f64_e64 s6, v[1:2], 0x204
	v_cmp_class_f64_e64 s5, v[3:4], 0x204
	s_delay_alu instid0(VALU_DEP_4) | instskip(NEXT) | instid1(VALU_DEP_1)
	v_mul_f64 v[13:14], v[13:14], v[31:32]
	v_fma_f64 v[14:15], v[35:36], v[35:36], v[13:14]
	s_delay_alu instid0(VALU_DEP_1) | instskip(NEXT) | instid1(VALU_DEP_1)
	v_add_f64 v[31:32], v[14:15], 1.0
	v_frexp_mant_f64_e32 v[33:34], v[31:32]
	v_frexp_exp_i32_f64_e32 v7, v[31:32]
	v_add_f64 v[35:36], v[31:32], -1.0
	s_delay_alu instid0(VALU_DEP_3) | instskip(NEXT) | instid1(VALU_DEP_2)
	v_cmp_gt_f64_e32 vcc_lo, s[22:23], v[33:34]
	v_add_f64 v[33:34], v[35:36], -v[31:32]
	v_add_f64 v[35:36], v[14:15], -v[35:36]
	v_subrev_co_ci_u32_e32 v7, vcc_lo, 0, v7, vcc_lo
	s_delay_alu instid0(VALU_DEP_3) | instskip(NEXT) | instid1(VALU_DEP_2)
	v_add_f64 v[33:34], v[33:34], 1.0
	v_sub_nc_u32_e32 v11, 0, v7
	s_delay_alu instid0(VALU_DEP_1) | instskip(NEXT) | instid1(VALU_DEP_3)
	v_ldexp_f64 v[31:32], v[31:32], v11
	v_add_f64 v[33:34], v[35:36], v[33:34]
	s_delay_alu instid0(VALU_DEP_2) | instskip(SKIP_1) | instid1(VALU_DEP_3)
	v_add_f64 v[37:38], v[31:32], 1.0
	v_add_f64 v[43:44], v[31:32], -1.0
	v_ldexp_f64 v[33:34], v[33:34], v11
	v_cndmask_b32_e64 v11, 0x54442d18, v55, s3
	s_delay_alu instid0(VALU_DEP_4) | instskip(NEXT) | instid1(VALU_DEP_4)
	v_add_f64 v[35:36], v[37:38], -1.0
	v_add_f64 v[45:46], v[43:44], 1.0
	s_delay_alu instid0(VALU_DEP_2) | instskip(NEXT) | instid1(VALU_DEP_2)
	v_add_f64 v[35:36], v[31:32], -v[35:36]
	v_add_f64 v[31:32], v[31:32], -v[45:46]
	s_delay_alu instid0(VALU_DEP_2) | instskip(NEXT) | instid1(VALU_DEP_2)
	v_add_f64 v[35:36], v[33:34], v[35:36]
	v_add_f64 v[31:32], v[33:34], v[31:32]
	s_delay_alu instid0(VALU_DEP_2) | instskip(NEXT) | instid1(VALU_DEP_2)
	v_add_f64 v[39:40], v[37:38], v[35:36]
	v_add_f64 v[45:46], v[43:44], v[31:32]
	s_delay_alu instid0(VALU_DEP_2) | instskip(SKIP_1) | instid1(VALU_DEP_2)
	v_rcp_f64_e32 v[41:42], v[39:40]
	v_add_f64 v[37:38], v[39:40], -v[37:38]
	v_add_f64 v[43:44], v[45:46], -v[43:44]
	s_delay_alu instid0(VALU_DEP_2) | instskip(SKIP_3) | instid1(VALU_DEP_2)
	v_add_f64 v[35:36], v[35:36], -v[37:38]
	s_waitcnt_depctr 0xfff
	v_fma_f64 v[47:48], -v[39:40], v[41:42], 1.0
	v_add_f64 v[31:32], v[31:32], -v[43:44]
	v_fma_f64 v[41:42], v[47:48], v[41:42], v[41:42]
	s_delay_alu instid0(VALU_DEP_1) | instskip(NEXT) | instid1(VALU_DEP_1)
	v_fma_f64 v[33:34], -v[39:40], v[41:42], 1.0
	v_fma_f64 v[33:34], v[33:34], v[41:42], v[41:42]
	s_delay_alu instid0(VALU_DEP_1) | instskip(NEXT) | instid1(VALU_DEP_1)
	v_mul_f64 v[41:42], v[45:46], v[33:34]
	v_mul_f64 v[47:48], v[39:40], v[41:42]
	s_delay_alu instid0(VALU_DEP_1) | instskip(NEXT) | instid1(VALU_DEP_1)
	v_fma_f64 v[37:38], v[41:42], v[39:40], -v[47:48]
	v_fma_f64 v[37:38], v[41:42], v[35:36], v[37:38]
	s_delay_alu instid0(VALU_DEP_1) | instskip(NEXT) | instid1(VALU_DEP_1)
	v_add_f64 v[49:50], v[47:48], v[37:38]
	v_add_f64 v[51:52], v[45:46], -v[49:50]
	v_add_f64 v[43:44], v[49:50], -v[47:48]
	v_max_f64 v[47:48], |v[3:4]|, |v[3:4]|
	s_delay_alu instid0(VALU_DEP_3) | instskip(NEXT) | instid1(VALU_DEP_3)
	v_add_f64 v[45:46], v[45:46], -v[51:52]
	v_add_f64 v[37:38], v[43:44], -v[37:38]
	s_delay_alu instid0(VALU_DEP_2) | instskip(SKIP_2) | instid1(VALU_DEP_1)
	v_add_f64 v[45:46], v[45:46], -v[49:50]
	v_max_f64 v[49:50], |v[1:2]|, |v[1:2]|
	v_cndmask_b32_e64 v1, 0x3fe921fb, v56, s3
	v_bfi_b32 v1, 0x7fffffff, v1, v4
	s_delay_alu instid0(VALU_DEP_4) | instskip(NEXT) | instid1(VALU_DEP_4)
	v_add_f64 v[31:32], v[31:32], v[45:46]
	v_max_f64 v[53:54], v[49:50], v[47:48]
	v_min_f64 v[47:48], v[49:50], v[47:48]
	s_delay_alu instid0(VALU_DEP_3) | instskip(NEXT) | instid1(VALU_DEP_1)
	v_add_f64 v[31:32], v[37:38], v[31:32]
	v_add_f64 v[37:38], v[51:52], v[31:32]
	s_delay_alu instid0(VALU_DEP_1) | instskip(SKIP_1) | instid1(VALU_DEP_2)
	v_mul_f64 v[43:44], v[33:34], v[37:38]
	v_add_f64 v[51:52], v[51:52], -v[37:38]
	v_mul_f64 v[45:46], v[39:40], v[43:44]
	s_delay_alu instid0(VALU_DEP_2) | instskip(NEXT) | instid1(VALU_DEP_2)
	v_add_f64 v[31:32], v[31:32], v[51:52]
	v_fma_f64 v[39:40], v[43:44], v[39:40], -v[45:46]
	s_delay_alu instid0(VALU_DEP_1) | instskip(SKIP_1) | instid1(VALU_DEP_2)
	v_fma_f64 v[35:36], v[43:44], v[35:36], v[39:40]
	v_div_scale_f64 v[39:40], null, v[53:54], v[53:54], v[47:48]
	v_add_f64 v[49:50], v[45:46], v[35:36]
	s_delay_alu instid0(VALU_DEP_2) | instskip(NEXT) | instid1(VALU_DEP_1)
	v_rcp_f64_e32 v[57:58], v[39:40]
	v_add_f64 v[59:60], v[37:38], -v[49:50]
	v_add_f64 v[45:46], v[49:50], -v[45:46]
	s_waitcnt_depctr 0xfff
	v_fma_f64 v[61:62], -v[39:40], v[57:58], 1.0
	v_add_f64 v[37:38], v[37:38], -v[59:60]
	v_add_f64 v[35:36], v[45:46], -v[35:36]
	s_delay_alu instid0(VALU_DEP_3) | instskip(NEXT) | instid1(VALU_DEP_3)
	v_fma_f64 v[57:58], v[57:58], v[61:62], v[57:58]
	v_add_f64 v[37:38], v[37:38], -v[49:50]
	s_delay_alu instid0(VALU_DEP_2) | instskip(NEXT) | instid1(VALU_DEP_2)
	v_fma_f64 v[49:50], -v[39:40], v[57:58], 1.0
	v_add_f64 v[31:32], v[31:32], v[37:38]
	v_div_scale_f64 v[37:38], vcc_lo, v[47:48], v[53:54], v[47:48]
	s_delay_alu instid0(VALU_DEP_3) | instskip(SKIP_1) | instid1(VALU_DEP_4)
	v_fma_f64 v[45:46], v[57:58], v[49:50], v[57:58]
	v_add_f64 v[49:50], v[41:42], v[43:44]
	v_add_f64 v[31:32], v[35:36], v[31:32]
	s_delay_alu instid0(VALU_DEP_3) | instskip(NEXT) | instid1(VALU_DEP_3)
	v_mul_f64 v[35:36], v[37:38], v[45:46]
	v_add_f64 v[41:42], v[49:50], -v[41:42]
	s_delay_alu instid0(VALU_DEP_3) | instskip(NEXT) | instid1(VALU_DEP_3)
	v_add_f64 v[31:32], v[59:60], v[31:32]
	v_fma_f64 v[37:38], -v[39:40], v[35:36], v[37:38]
	s_delay_alu instid0(VALU_DEP_3) | instskip(NEXT) | instid1(VALU_DEP_3)
	v_add_f64 v[39:40], v[43:44], -v[41:42]
	v_mul_f64 v[31:32], v[33:34], v[31:32]
	s_delay_alu instid0(VALU_DEP_3) | instskip(SKIP_1) | instid1(VALU_DEP_3)
	v_div_fmas_f64 v[33:34], v[37:38], v[45:46], v[35:36]
	v_cmp_eq_f64_e32 vcc_lo, 0x7ff00000, v[14:15]
	v_add_f64 v[31:32], v[39:40], v[31:32]
	s_delay_alu instid0(VALU_DEP_3) | instskip(NEXT) | instid1(VALU_DEP_2)
	v_div_fixup_f64 v[33:34], v[33:34], v[53:54], v[47:48]
	v_add_f64 v[35:36], v[49:50], v[31:32]
	s_delay_alu instid0(VALU_DEP_2) | instskip(NEXT) | instid1(VALU_DEP_2)
	v_mul_f64 v[37:38], v[33:34], v[33:34]
	v_mul_f64 v[39:40], v[35:36], v[35:36]
	s_delay_alu instid0(VALU_DEP_2) | instskip(NEXT) | instid1(VALU_DEP_2)
	v_fma_f64 v[41:42], v[37:38], s[44:45], s[42:43]
	v_fma_f64 v[43:44], v[39:40], s[26:27], s[24:25]
	v_mul_f64 v[45:46], v[35:36], v[39:40]
	s_delay_alu instid0(VALU_DEP_3) | instskip(NEXT) | instid1(VALU_DEP_3)
	v_fma_f64 v[41:42], v[37:38], v[41:42], s[46:47]
	v_fma_f64 v[43:44], v[39:40], v[43:44], s[28:29]
	s_delay_alu instid0(VALU_DEP_2) | instskip(NEXT) | instid1(VALU_DEP_2)
	v_fma_f64 v[41:42], v[37:38], v[41:42], s[48:49]
	v_fma_f64 v[43:44], v[39:40], v[43:44], s[30:31]
	s_delay_alu instid0(VALU_DEP_2) | instskip(NEXT) | instid1(VALU_DEP_2)
	;; [unrolled: 3-line block ×4, first 2 shown]
	v_fma_f64 v[41:42], v[37:38], v[41:42], s[54:55]
	v_fma_f64 v[39:40], v[39:40], v[43:44], s[92:93]
	v_ldexp_f64 v[43:44], v[35:36], 1
	v_add_f64 v[35:36], v[35:36], -v[49:50]
	s_delay_alu instid0(VALU_DEP_4) | instskip(NEXT) | instid1(VALU_DEP_4)
	v_fma_f64 v[41:42], v[37:38], v[41:42], s[56:57]
	v_mul_f64 v[39:40], v[45:46], v[39:40]
	v_cvt_f64_i32_e32 v[45:46], v7
	s_delay_alu instid0(VALU_DEP_4) | instskip(NEXT) | instid1(VALU_DEP_4)
	v_add_f64 v[31:32], v[31:32], -v[35:36]
	v_fma_f64 v[41:42], v[37:38], v[41:42], s[58:59]
	v_ashrrev_i32_e32 v7, 31, v2
	s_delay_alu instid0(VALU_DEP_1) | instskip(SKIP_4) | instid1(VALU_DEP_4)
	v_and_b32_e32 v2, 0x400921fb, v7
	v_add_f64 v[47:48], v[43:44], v[39:40]
	v_mul_f64 v[49:50], v[45:46], s[38:39]
	v_ldexp_f64 v[31:32], v[31:32], 1
	v_fma_f64 v[41:42], v[37:38], v[41:42], s[60:61]
	v_add_f64 v[35:36], v[47:48], -v[43:44]
	s_delay_alu instid0(VALU_DEP_4) | instskip(NEXT) | instid1(VALU_DEP_3)
	v_fma_f64 v[43:44], v[45:46], s[38:39], -v[49:50]
	v_fma_f64 v[41:42], v[37:38], v[41:42], s[62:63]
	s_delay_alu instid0(VALU_DEP_3) | instskip(NEXT) | instid1(VALU_DEP_2)
	v_add_f64 v[35:36], v[39:40], -v[35:36]
	v_fma_f64 v[39:40], v[37:38], v[41:42], s[64:65]
	s_delay_alu instid0(VALU_DEP_4) | instskip(NEXT) | instid1(VALU_DEP_3)
	v_fma_f64 v[41:42], v[45:46], s[40:41], v[43:44]
	v_add_f64 v[31:32], v[31:32], v[35:36]
	s_delay_alu instid0(VALU_DEP_3) | instskip(NEXT) | instid1(VALU_DEP_3)
	v_fma_f64 v[35:36], v[37:38], v[39:40], s[66:67]
	v_add_f64 v[39:40], v[49:50], v[41:42]
	s_delay_alu instid0(VALU_DEP_3) | instskip(NEXT) | instid1(VALU_DEP_3)
	v_add_f64 v[43:44], v[47:48], v[31:32]
	v_fma_f64 v[35:36], v[37:38], v[35:36], s[68:69]
	s_delay_alu instid0(VALU_DEP_3) | instskip(NEXT) | instid1(VALU_DEP_3)
	v_add_f64 v[49:50], v[39:40], -v[49:50]
	v_add_f64 v[45:46], v[39:40], v[43:44]
	v_add_f64 v[47:48], v[43:44], -v[47:48]
	s_delay_alu instid0(VALU_DEP_4) | instskip(NEXT) | instid1(VALU_DEP_4)
	v_fma_f64 v[35:36], v[37:38], v[35:36], s[70:71]
	v_add_f64 v[41:42], v[41:42], -v[49:50]
	s_delay_alu instid0(VALU_DEP_4) | instskip(NEXT) | instid1(VALU_DEP_4)
	v_add_f64 v[51:52], v[45:46], -v[39:40]
	v_add_f64 v[31:32], v[31:32], -v[47:48]
	s_delay_alu instid0(VALU_DEP_4) | instskip(NEXT) | instid1(VALU_DEP_3)
	v_fma_f64 v[35:36], v[37:38], v[35:36], s[72:73]
	v_add_f64 v[53:54], v[45:46], -v[51:52]
	v_add_f64 v[43:44], v[43:44], -v[51:52]
	s_delay_alu instid0(VALU_DEP_4) | instskip(NEXT) | instid1(VALU_DEP_4)
	v_add_f64 v[47:48], v[41:42], v[31:32]
	v_fma_f64 v[35:36], v[37:38], v[35:36], s[74:75]
	s_delay_alu instid0(VALU_DEP_4) | instskip(NEXT) | instid1(VALU_DEP_2)
	v_add_f64 v[39:40], v[39:40], -v[53:54]
	v_fma_f64 v[35:36], v[37:38], v[35:36], s[76:77]
	s_delay_alu instid0(VALU_DEP_2) | instskip(SKIP_1) | instid1(VALU_DEP_3)
	v_add_f64 v[39:40], v[43:44], v[39:40]
	v_add_f64 v[43:44], v[47:48], -v[41:42]
	v_fma_f64 v[35:36], v[37:38], v[35:36], s[78:79]
	s_delay_alu instid0(VALU_DEP_3) | instskip(NEXT) | instid1(VALU_DEP_3)
	v_add_f64 v[39:40], v[47:48], v[39:40]
	v_add_f64 v[47:48], v[47:48], -v[43:44]
	v_add_f64 v[31:32], v[31:32], -v[43:44]
	s_delay_alu instid0(VALU_DEP_4) | instskip(NEXT) | instid1(VALU_DEP_4)
	v_fma_f64 v[35:36], v[37:38], v[35:36], s[80:81]
	v_add_f64 v[49:50], v[45:46], v[39:40]
	s_delay_alu instid0(VALU_DEP_2) | instskip(SKIP_1) | instid1(VALU_DEP_3)
	v_mul_f64 v[35:36], v[37:38], v[35:36]
	v_add_f64 v[37:38], v[41:42], -v[47:48]
	v_add_f64 v[41:42], v[49:50], -v[45:46]
	s_delay_alu instid0(VALU_DEP_3) | instskip(NEXT) | instid1(VALU_DEP_3)
	v_fma_f64 v[33:34], v[33:34], v[35:36], v[33:34]
	v_add_f64 v[31:32], v[31:32], v[37:38]
	s_delay_alu instid0(VALU_DEP_3) | instskip(NEXT) | instid1(VALU_DEP_3)
	v_add_f64 v[35:36], v[39:40], -v[41:42]
	v_add_f64 v[37:38], -v[33:34], s[82:83]
	s_delay_alu instid0(VALU_DEP_2) | instskip(NEXT) | instid1(VALU_DEP_2)
	v_add_f64 v[31:32], v[31:32], v[35:36]
	v_cndmask_b32_e64 v34, v34, v38, s2
	s_delay_alu instid0(VALU_DEP_3) | instskip(NEXT) | instid1(VALU_DEP_1)
	v_cndmask_b32_e64 v33, v33, v37, s2
                                        ; implicit-def: $vgpr37_vgpr38
	v_add_f64 v[35:36], -v[33:34], s[12:13]
	s_delay_alu instid0(VALU_DEP_4) | instskip(NEXT) | instid1(VALU_DEP_2)
	v_add_f64 v[31:32], v[49:50], v[31:32]
	v_cndmask_b32_e64 v18, v33, v35, s3
	s_delay_alu instid0(VALU_DEP_2)
	v_dual_cndmask_b32 v32, v32, v15 :: v_dual_cndmask_b32 v31, v31, v14
	v_cmp_eq_f64_e32 vcc_lo, 0, v[3:4]
	v_and_b32_e32 v13, 0x54442d18, v7
	v_cndmask_b32_e64 v7, v34, v36, s3
	v_cmp_nge_f64_e64 s3, -1.0, v[14:15]
	v_mul_f64 v[31:32], v[31:32], 0.5
                                        ; implicit-def: $vgpr35_vgpr36
	s_delay_alu instid0(VALU_DEP_3) | instskip(SKIP_2) | instid1(VALU_DEP_4)
	v_cndmask_b32_e32 v2, v7, v2, vcc_lo
	v_cndmask_b32_e32 v18, v18, v13, vcc_lo
	v_cmp_ngt_f64_e32 vcc_lo, -1.0, v[14:15]
	v_cndmask_b32_e64 v13, 0, v31, s3
	v_cmp_neq_f64_e64 s3, -1.0, v[14:15]
	v_cndmask_b32_e32 v7, 0x7ff80000, v32, vcc_lo
	s_and_b32 vcc_lo, s6, s5
	v_cndmask_b32_e32 v32, v2, v1, vcc_lo
	v_cndmask_b32_e32 v31, v18, v11, vcc_lo
	s_delay_alu instid0(VALU_DEP_3)
	v_cndmask_b32_e64 v14, 0xfff00000, v7, s3
.LBB180_113:                            ;   in Loop: Header=BB180_5 Depth=1
	s_and_not1_saveexec_b32 s104, s4
	s_cbranch_execz .LBB180_121
; %bb.114:                              ;   in Loop: Header=BB180_5 Depth=1
	v_mul_f64 v[13:14], v[35:36], v[35:36]
                                        ; implicit-def: $vgpr31_vgpr32
	s_mov_b32 s3, exec_lo
	s_delay_alu instid0(VALU_DEP_1) | instskip(NEXT) | instid1(VALU_DEP_1)
	v_fma_f64 v[33:34], v[37:38], v[37:38], v[13:14]
                                        ; implicit-def: $vgpr13_vgpr14
	v_cmpx_ge_f64_e32 s[84:85], v[33:34]
	s_xor_b32 s5, exec_lo, s3
	s_cbranch_execz .LBB180_116
; %bb.115:                              ;   in Loop: Header=BB180_5 Depth=1
	v_frexp_mant_f64_e32 v[13:14], v[33:34]
	v_max_f64 v[41:42], |v[1:2]|, |v[1:2]|
	s_mov_b32 s93, s23
	v_frexp_exp_i32_f64_e32 v7, v[33:34]
	s_mov_b32 s12, s82
	v_cmp_class_f64_e64 s6, v[3:4], 0x204
	v_cmp_class_f64_e64 s7, v[1:2], 0x204
	v_cmp_neq_f64_e64 s4, 0, v[33:34]
	v_cmp_gt_f64_e64 s3, s[22:23], v[13:14]
	s_delay_alu instid0(VALU_DEP_1) | instskip(NEXT) | instid1(VALU_DEP_1)
	v_cndmask_b32_e64 v18, 0x3ff00000, 2.0, s3
	v_mul_f64 v[13:14], v[13:14], v[17:18]
	s_delay_alu instid0(VALU_DEP_1) | instskip(SKIP_1) | instid1(VALU_DEP_2)
	v_add_f64 v[31:32], v[13:14], 1.0
	v_add_f64 v[39:40], v[13:14], -1.0
	v_rcp_f64_e32 v[35:36], v[31:32]
	s_waitcnt_depctr 0xfff
	v_fma_f64 v[37:38], -v[31:32], v[35:36], 1.0
	s_delay_alu instid0(VALU_DEP_1) | instskip(NEXT) | instid1(VALU_DEP_1)
	v_fma_f64 v[35:36], v[37:38], v[35:36], v[35:36]
	v_fma_f64 v[37:38], -v[31:32], v[35:36], 1.0
	s_delay_alu instid0(VALU_DEP_1) | instskip(SKIP_1) | instid1(VALU_DEP_2)
	v_fma_f64 v[35:36], v[37:38], v[35:36], v[35:36]
	v_max_f64 v[37:38], |v[3:4]|, |v[3:4]|
	v_mul_f64 v[43:44], v[39:40], v[35:36]
	s_delay_alu instid0(VALU_DEP_2) | instskip(SKIP_2) | instid1(VALU_DEP_4)
	v_max_f64 v[45:46], v[41:42], v[37:38]
	v_min_f64 v[37:38], v[41:42], v[37:38]
	v_add_f64 v[41:42], v[31:32], -1.0
	v_mul_f64 v[47:48], v[31:32], v[43:44]
	s_delay_alu instid0(VALU_DEP_3) | instskip(NEXT) | instid1(VALU_DEP_3)
	v_div_scale_f64 v[49:50], null, v[45:46], v[45:46], v[37:38]
	v_add_f64 v[13:14], v[13:14], -v[41:42]
	v_div_scale_f64 v[57:58], vcc_lo, v[37:38], v[45:46], v[37:38]
	s_delay_alu instid0(VALU_DEP_4) | instskip(NEXT) | instid1(VALU_DEP_4)
	v_fma_f64 v[31:32], v[43:44], v[31:32], -v[47:48]
	v_rcp_f64_e32 v[41:42], v[49:50]
	s_delay_alu instid0(VALU_DEP_1) | instskip(SKIP_3) | instid1(VALU_DEP_2)
	v_fma_f64 v[13:14], v[43:44], v[13:14], v[31:32]
	s_waitcnt_depctr 0xfff
	v_fma_f64 v[31:32], -v[49:50], v[41:42], 1.0
	v_add_f64 v[51:52], v[47:48], v[13:14]
	v_fma_f64 v[31:32], v[41:42], v[31:32], v[41:42]
	s_delay_alu instid0(VALU_DEP_2) | instskip(SKIP_1) | instid1(VALU_DEP_3)
	v_add_f64 v[41:42], v[39:40], -v[51:52]
	v_add_f64 v[47:48], v[51:52], -v[47:48]
	v_fma_f64 v[53:54], -v[49:50], v[31:32], 1.0
	s_delay_alu instid0(VALU_DEP_3) | instskip(NEXT) | instid1(VALU_DEP_3)
	v_add_f64 v[39:40], v[39:40], -v[41:42]
	v_add_f64 v[13:14], v[47:48], -v[13:14]
	s_delay_alu instid0(VALU_DEP_3) | instskip(NEXT) | instid1(VALU_DEP_3)
	v_fma_f64 v[31:32], v[31:32], v[53:54], v[31:32]
	v_add_f64 v[39:40], v[39:40], -v[51:52]
	s_delay_alu instid0(VALU_DEP_2) | instskip(NEXT) | instid1(VALU_DEP_2)
	v_mul_f64 v[47:48], v[57:58], v[31:32]
	v_add_f64 v[13:14], v[13:14], v[39:40]
	s_delay_alu instid0(VALU_DEP_2) | instskip(NEXT) | instid1(VALU_DEP_2)
	v_fma_f64 v[39:40], -v[49:50], v[47:48], v[57:58]
	v_add_f64 v[13:14], v[41:42], v[13:14]
	s_delay_alu instid0(VALU_DEP_2)
	v_div_fmas_f64 v[31:32], v[39:40], v[31:32], v[47:48]
	v_subrev_co_ci_u32_e64 v7, vcc_lo, 0, v7, s3
	v_cmp_eq_f64_e64 s3, 0, v[3:4]
	v_cmp_gt_i32_e32 vcc_lo, 0, v2
	v_cndmask_b32_e32 v11, 0x54442d18, v55, vcc_lo
	v_mul_f64 v[13:14], v[35:36], v[13:14]
	v_div_fixup_f64 v[31:32], v[31:32], v[45:46], v[37:38]
	s_delay_alu instid0(VALU_DEP_2) | instskip(NEXT) | instid1(VALU_DEP_2)
	v_add_f64 v[35:36], v[43:44], v[13:14]
	v_mul_f64 v[37:38], v[31:32], v[31:32]
	s_delay_alu instid0(VALU_DEP_2) | instskip(NEXT) | instid1(VALU_DEP_2)
	v_mul_f64 v[39:40], v[35:36], v[35:36]
	v_fma_f64 v[41:42], v[37:38], s[44:45], s[42:43]
	s_delay_alu instid0(VALU_DEP_2) | instskip(SKIP_1) | instid1(VALU_DEP_3)
	v_fma_f64 v[45:46], v[39:40], s[26:27], s[24:25]
	v_mul_f64 v[47:48], v[35:36], v[39:40]
	v_fma_f64 v[41:42], v[37:38], v[41:42], s[46:47]
	s_delay_alu instid0(VALU_DEP_3) | instskip(NEXT) | instid1(VALU_DEP_2)
	v_fma_f64 v[45:46], v[39:40], v[45:46], s[28:29]
	v_fma_f64 v[41:42], v[37:38], v[41:42], s[48:49]
	s_delay_alu instid0(VALU_DEP_2) | instskip(NEXT) | instid1(VALU_DEP_2)
	v_fma_f64 v[45:46], v[39:40], v[45:46], s[30:31]
	v_fma_f64 v[41:42], v[37:38], v[41:42], s[50:51]
	s_delay_alu instid0(VALU_DEP_2) | instskip(NEXT) | instid1(VALU_DEP_2)
	;; [unrolled: 3-line block ×3, first 2 shown]
	v_fma_f64 v[45:46], v[39:40], v[45:46], s[36:37]
	v_fma_f64 v[41:42], v[37:38], v[41:42], s[54:55]
	s_delay_alu instid0(VALU_DEP_2) | instskip(SKIP_2) | instid1(VALU_DEP_4)
	v_fma_f64 v[39:40], v[39:40], v[45:46], s[92:93]
	v_ldexp_f64 v[45:46], v[35:36], 1
	v_add_f64 v[35:36], v[35:36], -v[43:44]
	v_fma_f64 v[41:42], v[37:38], v[41:42], s[56:57]
	s_delay_alu instid0(VALU_DEP_4) | instskip(SKIP_1) | instid1(VALU_DEP_4)
	v_mul_f64 v[39:40], v[47:48], v[39:40]
	v_cvt_f64_i32_e32 v[47:48], v7
	v_add_f64 v[13:14], v[13:14], -v[35:36]
	v_ashrrev_i32_e32 v7, 31, v2
	v_fma_f64 v[41:42], v[37:38], v[41:42], s[58:59]
	v_add_f64 v[43:44], v[45:46], v[39:40]
	v_mul_f64 v[49:50], v[47:48], s[38:39]
	v_ldexp_f64 v[13:14], v[13:14], 1
	s_delay_alu instid0(VALU_DEP_4) | instskip(NEXT) | instid1(VALU_DEP_4)
	v_fma_f64 v[41:42], v[37:38], v[41:42], s[60:61]
	v_add_f64 v[35:36], v[43:44], -v[45:46]
	s_delay_alu instid0(VALU_DEP_4) | instskip(NEXT) | instid1(VALU_DEP_3)
	v_fma_f64 v[45:46], v[47:48], s[38:39], -v[49:50]
	v_fma_f64 v[41:42], v[37:38], v[41:42], s[62:63]
	s_delay_alu instid0(VALU_DEP_3) | instskip(NEXT) | instid1(VALU_DEP_2)
	v_add_f64 v[35:36], v[39:40], -v[35:36]
	v_fma_f64 v[39:40], v[37:38], v[41:42], s[64:65]
	s_delay_alu instid0(VALU_DEP_4) | instskip(NEXT) | instid1(VALU_DEP_3)
	v_fma_f64 v[41:42], v[47:48], s[40:41], v[45:46]
	v_add_f64 v[13:14], v[13:14], v[35:36]
	s_delay_alu instid0(VALU_DEP_3) | instskip(NEXT) | instid1(VALU_DEP_3)
	v_fma_f64 v[35:36], v[37:38], v[39:40], s[66:67]
	v_add_f64 v[39:40], v[49:50], v[41:42]
	s_delay_alu instid0(VALU_DEP_3) | instskip(NEXT) | instid1(VALU_DEP_3)
	v_add_f64 v[45:46], v[43:44], v[13:14]
	v_fma_f64 v[35:36], v[37:38], v[35:36], s[68:69]
	s_delay_alu instid0(VALU_DEP_3) | instskip(NEXT) | instid1(VALU_DEP_3)
	v_add_f64 v[49:50], v[39:40], -v[49:50]
	v_add_f64 v[47:48], v[39:40], v[45:46]
	v_add_f64 v[43:44], v[45:46], -v[43:44]
	s_delay_alu instid0(VALU_DEP_4) | instskip(NEXT) | instid1(VALU_DEP_4)
	v_fma_f64 v[35:36], v[37:38], v[35:36], s[70:71]
	v_add_f64 v[41:42], v[41:42], -v[49:50]
	s_delay_alu instid0(VALU_DEP_4) | instskip(NEXT) | instid1(VALU_DEP_4)
	v_add_f64 v[51:52], v[47:48], -v[39:40]
	v_add_f64 v[13:14], v[13:14], -v[43:44]
	s_delay_alu instid0(VALU_DEP_4) | instskip(NEXT) | instid1(VALU_DEP_3)
	v_fma_f64 v[35:36], v[37:38], v[35:36], s[72:73]
	v_add_f64 v[53:54], v[47:48], -v[51:52]
	v_add_f64 v[43:44], v[45:46], -v[51:52]
	s_delay_alu instid0(VALU_DEP_4) | instskip(NEXT) | instid1(VALU_DEP_4)
	v_add_f64 v[45:46], v[41:42], v[13:14]
	v_fma_f64 v[35:36], v[37:38], v[35:36], s[74:75]
	s_delay_alu instid0(VALU_DEP_4) | instskip(NEXT) | instid1(VALU_DEP_2)
	v_add_f64 v[39:40], v[39:40], -v[53:54]
	v_fma_f64 v[35:36], v[37:38], v[35:36], s[76:77]
	s_delay_alu instid0(VALU_DEP_2) | instskip(SKIP_1) | instid1(VALU_DEP_3)
	v_add_f64 v[39:40], v[43:44], v[39:40]
	v_add_f64 v[43:44], v[45:46], -v[41:42]
	v_fma_f64 v[35:36], v[37:38], v[35:36], s[78:79]
	s_delay_alu instid0(VALU_DEP_3) | instskip(NEXT) | instid1(VALU_DEP_3)
	v_add_f64 v[39:40], v[45:46], v[39:40]
	v_add_f64 v[45:46], v[45:46], -v[43:44]
	v_add_f64 v[13:14], v[13:14], -v[43:44]
	s_delay_alu instid0(VALU_DEP_4) | instskip(NEXT) | instid1(VALU_DEP_4)
	v_fma_f64 v[35:36], v[37:38], v[35:36], s[80:81]
	v_add_f64 v[49:50], v[47:48], v[39:40]
	s_delay_alu instid0(VALU_DEP_2) | instskip(SKIP_1) | instid1(VALU_DEP_3)
	v_mul_f64 v[35:36], v[37:38], v[35:36]
	v_add_f64 v[37:38], v[41:42], -v[45:46]
	v_add_f64 v[41:42], v[49:50], -v[47:48]
	s_delay_alu instid0(VALU_DEP_3) | instskip(NEXT) | instid1(VALU_DEP_3)
	v_fma_f64 v[31:32], v[31:32], v[35:36], v[31:32]
	v_add_f64 v[13:14], v[13:14], v[37:38]
	s_delay_alu instid0(VALU_DEP_3) | instskip(NEXT) | instid1(VALU_DEP_3)
	v_add_f64 v[35:36], v[39:40], -v[41:42]
	v_add_f64 v[37:38], -v[31:32], s[82:83]
	s_delay_alu instid0(VALU_DEP_2) | instskip(NEXT) | instid1(VALU_DEP_2)
	v_add_f64 v[13:14], v[13:14], v[35:36]
	v_cndmask_b32_e64 v32, v32, v38, s2
	s_delay_alu instid0(VALU_DEP_3) | instskip(NEXT) | instid1(VALU_DEP_1)
	v_cndmask_b32_e64 v31, v31, v37, s2
                                        ; implicit-def: $vgpr37_vgpr38
	v_add_f64 v[35:36], -v[31:32], s[12:13]
	v_and_b32_e32 v15, 0x54442d18, v7
	v_and_b32_e32 v7, 0x400921fb, v7
	v_add_f64 v[13:14], v[49:50], v[13:14]
	s_delay_alu instid0(VALU_DEP_4) | instskip(NEXT) | instid1(VALU_DEP_2)
	v_cndmask_b32_e32 v18, v31, v35, vcc_lo
	v_mul_f64 v[1:2], v[13:14], 0.5
	v_cndmask_b32_e32 v14, v32, v36, vcc_lo
	v_cndmask_b32_e32 v13, 0x3fe921fb, v56, vcc_lo
	s_delay_alu instid0(VALU_DEP_4) | instskip(SKIP_1) | instid1(VALU_DEP_3)
	v_cndmask_b32_e64 v15, v18, v15, s3
	s_and_b32 vcc_lo, s7, s6
                                        ; implicit-def: $vgpr35_vgpr36
	v_cndmask_b32_e64 v7, v14, v7, s3
	s_delay_alu instid0(VALU_DEP_3) | instskip(NEXT) | instid1(VALU_DEP_3)
	v_bfi_b32 v13, 0x7fffffff, v13, v4
	v_cndmask_b32_e32 v31, v15, v11, vcc_lo
	s_delay_alu instid0(VALU_DEP_2)
	v_cndmask_b32_e32 v32, v7, v13, vcc_lo
	v_cndmask_b32_e64 v14, 0xfff00000, v2, s4
	v_cndmask_b32_e64 v13, 0, v1, s4
.LBB180_116:                            ;   in Loop: Header=BB180_5 Depth=1
	s_and_not1_saveexec_b32 vcc_hi, s5
	s_cbranch_execz .LBB180_120
; %bb.117:                              ;   in Loop: Header=BB180_5 Depth=1
	v_dual_mov_b32 v31, v17 :: v_dual_and_b32 v18, 0x7ffffff8, v38
	v_and_b32_e32 v32, 0x7ffffff8, v36
	s_mov_b32 s93, 0
	s_delay_alu instid0(VALU_DEP_2) | instskip(SKIP_1) | instid1(VALU_DEP_3)
	v_add_f64 v[13:14], v[37:38], -v[17:18]
	v_mov_b32_e32 v37, v17
	v_add_f64 v[33:34], v[35:36], -v[31:32]
	v_mov_b32_e32 v39, v17
	v_add_f64 v[41:42], v[17:18], v[17:18]
	v_add_f64 v[49:50], v[31:32], v[31:32]
	v_mul_f64 v[35:36], v[31:32], v[31:32]
	v_and_b32_e32 v38, -8, v14
	v_and_b32_e32 v40, -8, v34
	s_delay_alu instid0(VALU_DEP_2) | instskip(SKIP_1) | instid1(VALU_DEP_3)
	v_add_f64 v[51:52], v[13:14], -v[37:38]
	v_add_f64 v[57:58], v[37:38], v[37:38]
	v_add_f64 v[53:54], v[33:34], -v[39:40]
	v_add_f64 v[59:60], v[39:40], v[39:40]
	v_mul_f64 v[13:14], v[17:18], v[17:18]
	v_mul_f64 v[47:48], v[41:42], v[37:38]
	;; [unrolled: 1-line block ×11, first 2 shown]
.LBB180_118:                            ;   Parent Loop BB180_5 Depth=1
                                        ; =>  This Inner Loop Header: Depth=2
	v_cmp_nlt_f64_e32 vcc_lo, v[13:14], v[35:36]
	v_dual_cndmask_b32 v54, v14, v36 :: v_dual_cndmask_b32 v53, v13, v35
	v_dual_cndmask_b32 v14, v36, v14 :: v_dual_cndmask_b32 v13, v35, v13
	s_delay_alu instid0(VALU_DEP_2) | instskip(NEXT) | instid1(VALU_DEP_1)
	v_cmp_nlt_f64_e64 s3, v[53:54], v[47:48]
	v_cndmask_b32_e64 v58, v54, v48, s3
	v_cndmask_b32_e64 v57, v53, v47, s3
	;; [unrolled: 1-line block ×4, first 2 shown]
	s_and_b32 s3, vcc_lo, s3
	s_delay_alu instid0(VALU_DEP_3) | instskip(NEXT) | instid1(VALU_DEP_1)
	v_cmp_nlt_f64_e64 s4, v[57:58], v[33:34]
	v_cndmask_b32_e64 v54, v58, v34, s4
	v_cndmask_b32_e64 v53, v57, v33, s4
	;; [unrolled: 1-line block ×4, first 2 shown]
	s_delay_alu instid0(VALU_DEP_3) | instskip(NEXT) | instid1(VALU_DEP_1)
	v_cmp_nlt_f64_e64 s5, v[53:54], v[45:46]
	v_cndmask_b32_e64 v58, v54, v46, s5
	v_cndmask_b32_e64 v57, v53, v45, s5
	;; [unrolled: 1-line block ×4, first 2 shown]
	s_and_b32 s4, s4, s5
	s_delay_alu instid0(VALU_DEP_3) | instskip(NEXT) | instid1(VALU_DEP_1)
	v_cmp_nlt_f64_e64 s6, v[57:58], v[31:32]
	v_cndmask_b32_e64 v54, v58, v32, s6
	v_cndmask_b32_e64 v53, v57, v31, s6
	v_cndmask_b32_e64 v46, v32, v58, s6
	v_cndmask_b32_e64 v45, v31, v57, s6
	s_delay_alu instid0(VALU_DEP_3) | instskip(NEXT) | instid1(VALU_DEP_1)
	v_cmp_nlt_f64_e64 s7, v[53:54], v[43:44]
	v_cndmask_b32_e64 v58, v54, v44, s7
	v_cndmask_b32_e64 v57, v53, v43, s7
	v_cndmask_b32_e64 v32, v44, v54, s7
	v_cndmask_b32_e64 v31, v43, v53, s7
	s_and_b32 s5, s6, s7
	s_delay_alu instid0(VALU_DEP_3) | instskip(NEXT) | instid1(VALU_DEP_1)
	v_cmp_nlt_f64_e64 s8, v[57:58], v[41:42]
	v_cndmask_b32_e64 v54, v58, v42, s8
	v_cndmask_b32_e64 v53, v57, v41, s8
	v_cndmask_b32_e64 v44, v42, v58, s8
	v_cndmask_b32_e64 v43, v41, v57, s8
	s_and_b32 s5, s5, s8
	;; [unrolled: 7-line block ×4, first 2 shown]
	s_delay_alu instid0(VALU_DEP_3) | instskip(NEXT) | instid1(VALU_DEP_1)
	v_cmp_nlt_f64_e64 s11, v[53:54], v[49:50]
	v_cndmask_b32_e64 v58, v54, v50, s11
	v_cndmask_b32_e64 v57, v53, v49, s11
	s_and_b32 s5, s5, s11
	v_cndmask_b32_e64 v38, v50, v54, s11
	v_cndmask_b32_e64 v37, v49, v53, s11
	s_delay_alu instid0(VALU_DEP_3) | instskip(NEXT) | instid1(VALU_DEP_1)
	v_cmp_nlt_f64_e64 s12, v[57:58], v[51:52]
	v_cndmask_b32_e64 v54, v58, v52, s12
	v_cndmask_b32_e64 v53, v57, v51, s12
	s_and_b32 s5, s5, s12
	v_cndmask_b32_e64 v50, v52, v58, s12
	s_and_b32 s4, s5, s4
	;; [unrolled: 2-line block ×3, first 2 shown]
	v_dual_mov_b32 v51, v53 :: v_dual_mov_b32 v52, v54
	s_and_b32 s3, exec_lo, s3
	s_delay_alu instid0(SALU_CYCLE_1) | instskip(NEXT) | instid1(SALU_CYCLE_1)
	s_or_b32 s93, s3, s93
	s_and_not1_b32 exec_lo, exec_lo, s93
	s_cbranch_execnz .LBB180_118
; %bb.119:                              ;   in Loop: Header=BB180_5 Depth=1
	s_or_b32 exec_lo, exec_lo, s93
	v_add_f64 v[13:14], v[13:14], -1.0
	s_mov_b32 s93, s23
	s_mov_b32 s12, s82
	v_cmp_gt_i32_e64 s3, 0, v2
	v_cmp_class_f64_e64 s5, v[1:2], 0x204
	v_cmp_class_f64_e64 s4, v[3:4], 0x204
	s_delay_alu instid0(VALU_DEP_4) | instskip(NEXT) | instid1(VALU_DEP_1)
	v_add_f64 v[13:14], v[13:14], v[35:36]
	v_add_f64 v[13:14], v[13:14], v[47:48]
	s_delay_alu instid0(VALU_DEP_1) | instskip(NEXT) | instid1(VALU_DEP_1)
	v_add_f64 v[13:14], v[13:14], v[33:34]
	v_add_f64 v[13:14], v[13:14], v[45:46]
	s_delay_alu instid0(VALU_DEP_1) | instskip(NEXT) | instid1(VALU_DEP_1)
	;; [unrolled: 3-line block ×5, first 2 shown]
	v_add_f64 v[14:15], v[53:54], v[13:14]
	v_add_f64 v[31:32], v[14:15], 1.0
	s_delay_alu instid0(VALU_DEP_1) | instskip(SKIP_2) | instid1(VALU_DEP_3)
	v_frexp_mant_f64_e32 v[33:34], v[31:32]
	v_frexp_exp_i32_f64_e32 v7, v[31:32]
	v_add_f64 v[35:36], v[31:32], -1.0
	v_cmp_gt_f64_e32 vcc_lo, s[22:23], v[33:34]
	s_delay_alu instid0(VALU_DEP_2) | instskip(SKIP_2) | instid1(VALU_DEP_3)
	v_add_f64 v[33:34], v[35:36], -v[31:32]
	v_add_f64 v[35:36], v[14:15], -v[35:36]
	v_subrev_co_ci_u32_e32 v7, vcc_lo, 0, v7, vcc_lo
	v_add_f64 v[33:34], v[33:34], 1.0
	s_delay_alu instid0(VALU_DEP_2) | instskip(NEXT) | instid1(VALU_DEP_1)
	v_sub_nc_u32_e32 v11, 0, v7
	v_ldexp_f64 v[31:32], v[31:32], v11
	s_delay_alu instid0(VALU_DEP_3) | instskip(NEXT) | instid1(VALU_DEP_2)
	v_add_f64 v[33:34], v[35:36], v[33:34]
	v_add_f64 v[37:38], v[31:32], 1.0
	v_add_f64 v[43:44], v[31:32], -1.0
	s_delay_alu instid0(VALU_DEP_3) | instskip(SKIP_1) | instid1(VALU_DEP_4)
	v_ldexp_f64 v[33:34], v[33:34], v11
	v_cndmask_b32_e64 v11, 0x54442d18, v55, s3
	v_add_f64 v[35:36], v[37:38], -1.0
	s_delay_alu instid0(VALU_DEP_4) | instskip(NEXT) | instid1(VALU_DEP_2)
	v_add_f64 v[45:46], v[43:44], 1.0
	v_add_f64 v[35:36], v[31:32], -v[35:36]
	s_delay_alu instid0(VALU_DEP_2) | instskip(NEXT) | instid1(VALU_DEP_2)
	v_add_f64 v[31:32], v[31:32], -v[45:46]
	v_add_f64 v[35:36], v[33:34], v[35:36]
	s_delay_alu instid0(VALU_DEP_2) | instskip(NEXT) | instid1(VALU_DEP_2)
	v_add_f64 v[31:32], v[33:34], v[31:32]
	v_add_f64 v[39:40], v[37:38], v[35:36]
	s_delay_alu instid0(VALU_DEP_2) | instskip(NEXT) | instid1(VALU_DEP_2)
	v_add_f64 v[45:46], v[43:44], v[31:32]
	v_rcp_f64_e32 v[41:42], v[39:40]
	v_add_f64 v[37:38], v[39:40], -v[37:38]
	s_delay_alu instid0(VALU_DEP_2) | instskip(NEXT) | instid1(VALU_DEP_2)
	v_add_f64 v[43:44], v[45:46], -v[43:44]
	v_add_f64 v[35:36], v[35:36], -v[37:38]
	s_waitcnt_depctr 0xfff
	v_fma_f64 v[47:48], -v[39:40], v[41:42], 1.0
	v_add_f64 v[31:32], v[31:32], -v[43:44]
	s_delay_alu instid0(VALU_DEP_2) | instskip(NEXT) | instid1(VALU_DEP_1)
	v_fma_f64 v[41:42], v[47:48], v[41:42], v[41:42]
	v_fma_f64 v[33:34], -v[39:40], v[41:42], 1.0
	s_delay_alu instid0(VALU_DEP_1) | instskip(NEXT) | instid1(VALU_DEP_1)
	v_fma_f64 v[33:34], v[33:34], v[41:42], v[41:42]
	v_mul_f64 v[41:42], v[45:46], v[33:34]
	s_delay_alu instid0(VALU_DEP_1) | instskip(NEXT) | instid1(VALU_DEP_1)
	v_mul_f64 v[47:48], v[39:40], v[41:42]
	v_fma_f64 v[37:38], v[41:42], v[39:40], -v[47:48]
	s_delay_alu instid0(VALU_DEP_1) | instskip(NEXT) | instid1(VALU_DEP_1)
	v_fma_f64 v[37:38], v[41:42], v[35:36], v[37:38]
	v_add_f64 v[49:50], v[47:48], v[37:38]
	s_delay_alu instid0(VALU_DEP_1) | instskip(SKIP_2) | instid1(VALU_DEP_3)
	v_add_f64 v[51:52], v[45:46], -v[49:50]
	v_add_f64 v[43:44], v[49:50], -v[47:48]
	v_max_f64 v[47:48], |v[3:4]|, |v[3:4]|
	v_add_f64 v[45:46], v[45:46], -v[51:52]
	s_delay_alu instid0(VALU_DEP_3) | instskip(NEXT) | instid1(VALU_DEP_2)
	v_add_f64 v[37:38], v[43:44], -v[37:38]
	v_add_f64 v[45:46], v[45:46], -v[49:50]
	v_max_f64 v[49:50], |v[1:2]|, |v[1:2]|
	v_cndmask_b32_e64 v1, 0x3fe921fb, v56, s3
	s_delay_alu instid0(VALU_DEP_1) | instskip(NEXT) | instid1(VALU_DEP_4)
	v_bfi_b32 v1, 0x7fffffff, v1, v4
	v_add_f64 v[31:32], v[31:32], v[45:46]
	s_delay_alu instid0(VALU_DEP_4) | instskip(SKIP_1) | instid1(VALU_DEP_3)
	v_max_f64 v[53:54], v[49:50], v[47:48]
	v_min_f64 v[47:48], v[49:50], v[47:48]
	v_add_f64 v[31:32], v[37:38], v[31:32]
	s_delay_alu instid0(VALU_DEP_1) | instskip(NEXT) | instid1(VALU_DEP_1)
	v_add_f64 v[37:38], v[51:52], v[31:32]
	v_mul_f64 v[43:44], v[33:34], v[37:38]
	v_add_f64 v[51:52], v[51:52], -v[37:38]
	s_delay_alu instid0(VALU_DEP_2) | instskip(NEXT) | instid1(VALU_DEP_2)
	v_mul_f64 v[45:46], v[39:40], v[43:44]
	v_add_f64 v[31:32], v[31:32], v[51:52]
	s_delay_alu instid0(VALU_DEP_2) | instskip(NEXT) | instid1(VALU_DEP_1)
	v_fma_f64 v[39:40], v[43:44], v[39:40], -v[45:46]
	v_fma_f64 v[35:36], v[43:44], v[35:36], v[39:40]
	v_div_scale_f64 v[39:40], null, v[53:54], v[53:54], v[47:48]
	s_delay_alu instid0(VALU_DEP_2) | instskip(NEXT) | instid1(VALU_DEP_2)
	v_add_f64 v[49:50], v[45:46], v[35:36]
	v_rcp_f64_e32 v[57:58], v[39:40]
	s_delay_alu instid0(VALU_DEP_1)
	v_add_f64 v[59:60], v[37:38], -v[49:50]
	v_add_f64 v[45:46], v[49:50], -v[45:46]
	s_waitcnt_depctr 0xfff
	v_fma_f64 v[61:62], -v[39:40], v[57:58], 1.0
	v_add_f64 v[37:38], v[37:38], -v[59:60]
	v_add_f64 v[35:36], v[45:46], -v[35:36]
	s_delay_alu instid0(VALU_DEP_3) | instskip(NEXT) | instid1(VALU_DEP_3)
	v_fma_f64 v[57:58], v[57:58], v[61:62], v[57:58]
	v_add_f64 v[37:38], v[37:38], -v[49:50]
	s_delay_alu instid0(VALU_DEP_2) | instskip(NEXT) | instid1(VALU_DEP_2)
	v_fma_f64 v[49:50], -v[39:40], v[57:58], 1.0
	v_add_f64 v[31:32], v[31:32], v[37:38]
	v_div_scale_f64 v[37:38], vcc_lo, v[47:48], v[53:54], v[47:48]
	s_delay_alu instid0(VALU_DEP_3) | instskip(SKIP_1) | instid1(VALU_DEP_4)
	v_fma_f64 v[45:46], v[57:58], v[49:50], v[57:58]
	v_add_f64 v[49:50], v[41:42], v[43:44]
	v_add_f64 v[31:32], v[35:36], v[31:32]
	s_delay_alu instid0(VALU_DEP_3) | instskip(NEXT) | instid1(VALU_DEP_3)
	v_mul_f64 v[35:36], v[37:38], v[45:46]
	v_add_f64 v[41:42], v[49:50], -v[41:42]
	s_delay_alu instid0(VALU_DEP_3) | instskip(NEXT) | instid1(VALU_DEP_3)
	v_add_f64 v[31:32], v[59:60], v[31:32]
	v_fma_f64 v[37:38], -v[39:40], v[35:36], v[37:38]
	s_delay_alu instid0(VALU_DEP_3) | instskip(NEXT) | instid1(VALU_DEP_3)
	v_add_f64 v[39:40], v[43:44], -v[41:42]
	v_mul_f64 v[31:32], v[33:34], v[31:32]
	s_delay_alu instid0(VALU_DEP_3) | instskip(SKIP_1) | instid1(VALU_DEP_3)
	v_div_fmas_f64 v[33:34], v[37:38], v[45:46], v[35:36]
	v_cmp_eq_f64_e32 vcc_lo, 0x7ff00000, v[14:15]
	v_add_f64 v[31:32], v[39:40], v[31:32]
	s_delay_alu instid0(VALU_DEP_3) | instskip(NEXT) | instid1(VALU_DEP_2)
	v_div_fixup_f64 v[33:34], v[33:34], v[53:54], v[47:48]
	v_add_f64 v[35:36], v[49:50], v[31:32]
	s_delay_alu instid0(VALU_DEP_2) | instskip(NEXT) | instid1(VALU_DEP_2)
	v_mul_f64 v[37:38], v[33:34], v[33:34]
	v_mul_f64 v[39:40], v[35:36], v[35:36]
	s_delay_alu instid0(VALU_DEP_2) | instskip(NEXT) | instid1(VALU_DEP_2)
	v_fma_f64 v[41:42], v[37:38], s[44:45], s[42:43]
	v_fma_f64 v[43:44], v[39:40], s[26:27], s[24:25]
	v_mul_f64 v[45:46], v[35:36], v[39:40]
	s_delay_alu instid0(VALU_DEP_3) | instskip(NEXT) | instid1(VALU_DEP_3)
	v_fma_f64 v[41:42], v[37:38], v[41:42], s[46:47]
	v_fma_f64 v[43:44], v[39:40], v[43:44], s[28:29]
	s_delay_alu instid0(VALU_DEP_2) | instskip(NEXT) | instid1(VALU_DEP_2)
	v_fma_f64 v[41:42], v[37:38], v[41:42], s[48:49]
	v_fma_f64 v[43:44], v[39:40], v[43:44], s[30:31]
	s_delay_alu instid0(VALU_DEP_2) | instskip(NEXT) | instid1(VALU_DEP_2)
	;; [unrolled: 3-line block ×4, first 2 shown]
	v_fma_f64 v[41:42], v[37:38], v[41:42], s[54:55]
	v_fma_f64 v[39:40], v[39:40], v[43:44], s[92:93]
	v_ldexp_f64 v[43:44], v[35:36], 1
	v_add_f64 v[35:36], v[35:36], -v[49:50]
	s_delay_alu instid0(VALU_DEP_4) | instskip(NEXT) | instid1(VALU_DEP_4)
	v_fma_f64 v[41:42], v[37:38], v[41:42], s[56:57]
	v_mul_f64 v[39:40], v[45:46], v[39:40]
	v_cvt_f64_i32_e32 v[45:46], v7
	s_delay_alu instid0(VALU_DEP_4) | instskip(NEXT) | instid1(VALU_DEP_4)
	v_add_f64 v[31:32], v[31:32], -v[35:36]
	v_fma_f64 v[41:42], v[37:38], v[41:42], s[58:59]
	v_ashrrev_i32_e32 v7, 31, v2
	s_delay_alu instid0(VALU_DEP_1) | instskip(SKIP_4) | instid1(VALU_DEP_4)
	v_and_b32_e32 v2, 0x400921fb, v7
	v_add_f64 v[47:48], v[43:44], v[39:40]
	v_mul_f64 v[49:50], v[45:46], s[38:39]
	v_ldexp_f64 v[31:32], v[31:32], 1
	v_fma_f64 v[41:42], v[37:38], v[41:42], s[60:61]
	v_add_f64 v[35:36], v[47:48], -v[43:44]
	s_delay_alu instid0(VALU_DEP_4) | instskip(NEXT) | instid1(VALU_DEP_3)
	v_fma_f64 v[43:44], v[45:46], s[38:39], -v[49:50]
	v_fma_f64 v[41:42], v[37:38], v[41:42], s[62:63]
	s_delay_alu instid0(VALU_DEP_3) | instskip(NEXT) | instid1(VALU_DEP_2)
	v_add_f64 v[35:36], v[39:40], -v[35:36]
	v_fma_f64 v[39:40], v[37:38], v[41:42], s[64:65]
	s_delay_alu instid0(VALU_DEP_4) | instskip(NEXT) | instid1(VALU_DEP_3)
	v_fma_f64 v[41:42], v[45:46], s[40:41], v[43:44]
	v_add_f64 v[31:32], v[31:32], v[35:36]
	s_delay_alu instid0(VALU_DEP_3) | instskip(NEXT) | instid1(VALU_DEP_3)
	v_fma_f64 v[35:36], v[37:38], v[39:40], s[66:67]
	v_add_f64 v[39:40], v[49:50], v[41:42]
	s_delay_alu instid0(VALU_DEP_3) | instskip(NEXT) | instid1(VALU_DEP_3)
	v_add_f64 v[43:44], v[47:48], v[31:32]
	v_fma_f64 v[35:36], v[37:38], v[35:36], s[68:69]
	s_delay_alu instid0(VALU_DEP_3) | instskip(NEXT) | instid1(VALU_DEP_3)
	v_add_f64 v[49:50], v[39:40], -v[49:50]
	v_add_f64 v[45:46], v[39:40], v[43:44]
	v_add_f64 v[47:48], v[43:44], -v[47:48]
	s_delay_alu instid0(VALU_DEP_4) | instskip(NEXT) | instid1(VALU_DEP_4)
	v_fma_f64 v[35:36], v[37:38], v[35:36], s[70:71]
	v_add_f64 v[41:42], v[41:42], -v[49:50]
	s_delay_alu instid0(VALU_DEP_4) | instskip(NEXT) | instid1(VALU_DEP_4)
	v_add_f64 v[51:52], v[45:46], -v[39:40]
	v_add_f64 v[31:32], v[31:32], -v[47:48]
	s_delay_alu instid0(VALU_DEP_4) | instskip(NEXT) | instid1(VALU_DEP_3)
	v_fma_f64 v[35:36], v[37:38], v[35:36], s[72:73]
	v_add_f64 v[53:54], v[45:46], -v[51:52]
	v_add_f64 v[43:44], v[43:44], -v[51:52]
	s_delay_alu instid0(VALU_DEP_4) | instskip(NEXT) | instid1(VALU_DEP_4)
	v_add_f64 v[47:48], v[41:42], v[31:32]
	v_fma_f64 v[35:36], v[37:38], v[35:36], s[74:75]
	s_delay_alu instid0(VALU_DEP_4) | instskip(NEXT) | instid1(VALU_DEP_2)
	v_add_f64 v[39:40], v[39:40], -v[53:54]
	v_fma_f64 v[35:36], v[37:38], v[35:36], s[76:77]
	s_delay_alu instid0(VALU_DEP_2) | instskip(SKIP_1) | instid1(VALU_DEP_3)
	v_add_f64 v[39:40], v[43:44], v[39:40]
	v_add_f64 v[43:44], v[47:48], -v[41:42]
	v_fma_f64 v[35:36], v[37:38], v[35:36], s[78:79]
	s_delay_alu instid0(VALU_DEP_3) | instskip(NEXT) | instid1(VALU_DEP_3)
	v_add_f64 v[39:40], v[47:48], v[39:40]
	v_add_f64 v[47:48], v[47:48], -v[43:44]
	v_add_f64 v[31:32], v[31:32], -v[43:44]
	s_delay_alu instid0(VALU_DEP_4) | instskip(NEXT) | instid1(VALU_DEP_4)
	v_fma_f64 v[35:36], v[37:38], v[35:36], s[80:81]
	v_add_f64 v[49:50], v[45:46], v[39:40]
	s_delay_alu instid0(VALU_DEP_2) | instskip(SKIP_1) | instid1(VALU_DEP_3)
	v_mul_f64 v[35:36], v[37:38], v[35:36]
	v_add_f64 v[37:38], v[41:42], -v[47:48]
	v_add_f64 v[41:42], v[49:50], -v[45:46]
	s_delay_alu instid0(VALU_DEP_3) | instskip(NEXT) | instid1(VALU_DEP_3)
	v_fma_f64 v[33:34], v[33:34], v[35:36], v[33:34]
	v_add_f64 v[31:32], v[31:32], v[37:38]
	s_delay_alu instid0(VALU_DEP_3) | instskip(NEXT) | instid1(VALU_DEP_3)
	v_add_f64 v[35:36], v[39:40], -v[41:42]
	v_add_f64 v[37:38], -v[33:34], s[82:83]
	s_delay_alu instid0(VALU_DEP_2) | instskip(NEXT) | instid1(VALU_DEP_2)
	v_add_f64 v[31:32], v[31:32], v[35:36]
	v_cndmask_b32_e64 v34, v34, v38, s2
	s_delay_alu instid0(VALU_DEP_3) | instskip(NEXT) | instid1(VALU_DEP_1)
	v_cndmask_b32_e64 v33, v33, v37, s2
	v_add_f64 v[35:36], -v[33:34], s[12:13]
	s_delay_alu instid0(VALU_DEP_4) | instskip(NEXT) | instid1(VALU_DEP_2)
	v_add_f64 v[31:32], v[49:50], v[31:32]
	v_cndmask_b32_e64 v18, v33, v35, s3
	s_delay_alu instid0(VALU_DEP_2)
	v_dual_cndmask_b32 v32, v32, v15 :: v_dual_cndmask_b32 v31, v31, v14
	v_cmp_eq_f64_e32 vcc_lo, 0, v[3:4]
	v_and_b32_e32 v13, 0x54442d18, v7
	v_cndmask_b32_e64 v7, v34, v36, s3
	v_cmp_nge_f64_e64 s3, -1.0, v[14:15]
	v_mul_f64 v[31:32], v[31:32], 0.5
	s_delay_alu instid0(VALU_DEP_3) | instskip(SKIP_2) | instid1(VALU_DEP_4)
	v_cndmask_b32_e32 v2, v7, v2, vcc_lo
	v_cndmask_b32_e32 v18, v18, v13, vcc_lo
	v_cmp_ngt_f64_e32 vcc_lo, -1.0, v[14:15]
	v_cndmask_b32_e64 v13, 0, v31, s3
	v_cmp_neq_f64_e64 s3, -1.0, v[14:15]
	v_cndmask_b32_e32 v7, 0x7ff80000, v32, vcc_lo
	s_and_b32 vcc_lo, s5, s4
	v_cndmask_b32_e32 v32, v2, v1, vcc_lo
	v_cndmask_b32_e32 v31, v18, v11, vcc_lo
	s_delay_alu instid0(VALU_DEP_3)
	v_cndmask_b32_e64 v14, 0xfff00000, v7, s3
.LBB180_120:                            ;   in Loop: Header=BB180_5 Depth=1
	s_or_b32 exec_lo, exec_lo, vcc_hi
.LBB180_121:                            ;   in Loop: Header=BB180_5 Depth=1
	s_delay_alu instid0(SALU_CYCLE_1)
	s_or_b32 exec_lo, exec_lo, s104
.LBB180_122:                            ;   in Loop: Header=BB180_5 Depth=1
	s_and_not1_saveexec_b32 s5, s103
	s_cbranch_execz .LBB180_124
; %bb.123:                              ;   in Loop: Header=BB180_5 Depth=1
	v_max_f64 v[13:14], |v[3:4]|, |v[3:4]|
	v_max_f64 v[31:32], |v[1:2]|, |v[1:2]|
	v_cmp_class_f64_e64 s6, v[1:2], 0x204
	v_cmp_class_f64_e64 s7, v[3:4], 0x204
	s_mov_b32 s93, s23
	s_mov_b32 s12, s82
	v_cmp_eq_f64_e64 s4, 0, v[3:4]
	s_delay_alu instid0(VALU_DEP_4) | instskip(SKIP_1) | instid1(VALU_DEP_4)
	v_max_f64 v[33:34], v[31:32], v[13:14]
	v_min_f64 v[13:14], v[31:32], v[13:14]
	s_or_b32 s8, s6, s7
	s_delay_alu instid0(VALU_DEP_2) | instskip(NEXT) | instid1(VALU_DEP_1)
	v_frexp_exp_i32_f64_e32 v7, v[33:34]
	v_sub_nc_u32_e32 v11, 0, v7
	s_delay_alu instid0(VALU_DEP_1) | instskip(SKIP_1) | instid1(VALU_DEP_2)
	v_ldexp_f64 v[35:36], |v[3:4]|, v11
	v_ldexp_f64 v[37:38], |v[1:2]|, v11
	v_mul_f64 v[35:36], v[35:36], v[35:36]
	s_delay_alu instid0(VALU_DEP_1) | instskip(NEXT) | instid1(VALU_DEP_1)
	v_fma_f64 v[35:36], v[37:38], v[37:38], v[35:36]
	v_rsq_f64_e32 v[37:38], v[35:36]
	v_cmp_eq_f64_e32 vcc_lo, 0, v[35:36]
	s_waitcnt_depctr 0xfff
	v_mul_f64 v[39:40], v[35:36], v[37:38]
	v_mul_f64 v[37:38], v[37:38], 0.5
	s_delay_alu instid0(VALU_DEP_1) | instskip(NEXT) | instid1(VALU_DEP_1)
	v_fma_f64 v[41:42], -v[37:38], v[39:40], 0.5
	v_fma_f64 v[39:40], v[39:40], v[41:42], v[39:40]
	v_fma_f64 v[37:38], v[37:38], v[41:42], v[37:38]
	s_delay_alu instid0(VALU_DEP_2) | instskip(NEXT) | instid1(VALU_DEP_1)
	v_fma_f64 v[41:42], -v[39:40], v[39:40], v[35:36]
	v_fma_f64 v[37:38], v[41:42], v[37:38], v[39:40]
	s_delay_alu instid0(VALU_DEP_1) | instskip(SKIP_1) | instid1(VALU_DEP_2)
	v_dual_cndmask_b32 v36, v38, v36 :: v_dual_cndmask_b32 v35, v37, v35
	v_div_scale_f64 v[59:60], vcc_lo, v[13:14], v[33:34], v[13:14]
	v_ldexp_f64 v[35:36], v[35:36], v7
	s_delay_alu instid0(VALU_DEP_1) | instskip(NEXT) | instid1(VALU_DEP_2)
	v_cndmask_b32_e64 v38, v36, 0x7ff00000, s8
	v_cndmask_b32_e64 v37, v35, 0, s8
	s_delay_alu instid0(VALU_DEP_1) | instskip(SKIP_1) | instid1(VALU_DEP_2)
	v_frexp_mant_f64_e32 v[39:40], v[37:38]
	v_frexp_exp_i32_f64_e32 v1, v[37:38]
	v_cmp_gt_f64_e64 s3, s[22:23], v[39:40]
	s_delay_alu instid0(VALU_DEP_1) | instskip(NEXT) | instid1(VALU_DEP_1)
	v_cndmask_b32_e64 v18, 0x3ff00000, 2.0, s3
	v_mul_f64 v[39:40], v[39:40], v[17:18]
	s_delay_alu instid0(VALU_DEP_1) | instskip(SKIP_1) | instid1(VALU_DEP_2)
	v_add_f64 v[41:42], v[39:40], 1.0
	v_add_f64 v[47:48], v[39:40], -1.0
	v_rcp_f64_e32 v[43:44], v[41:42]
	v_add_f64 v[49:50], v[41:42], -1.0
	s_delay_alu instid0(VALU_DEP_1) | instskip(SKIP_2) | instid1(VALU_DEP_1)
	v_add_f64 v[39:40], v[39:40], -v[49:50]
	s_waitcnt_depctr 0xfff
	v_fma_f64 v[45:46], -v[41:42], v[43:44], 1.0
	v_fma_f64 v[43:44], v[45:46], v[43:44], v[43:44]
	s_delay_alu instid0(VALU_DEP_1) | instskip(NEXT) | instid1(VALU_DEP_1)
	v_fma_f64 v[45:46], -v[41:42], v[43:44], 1.0
	v_fma_f64 v[43:44], v[45:46], v[43:44], v[43:44]
	v_div_scale_f64 v[45:46], null, v[33:34], v[33:34], v[13:14]
	s_delay_alu instid0(VALU_DEP_2) | instskip(NEXT) | instid1(VALU_DEP_2)
	v_mul_f64 v[31:32], v[47:48], v[43:44]
	v_rcp_f64_e32 v[53:54], v[45:46]
	s_delay_alu instid0(VALU_DEP_1) | instskip(SKIP_3) | instid1(VALU_DEP_1)
	v_mul_f64 v[51:52], v[41:42], v[31:32]
	s_waitcnt_depctr 0xfff
	v_fma_f64 v[49:50], -v[45:46], v[53:54], 1.0
	v_fma_f64 v[41:42], v[31:32], v[41:42], -v[51:52]
	v_fma_f64 v[39:40], v[31:32], v[39:40], v[41:42]
	s_delay_alu instid0(VALU_DEP_3) | instskip(NEXT) | instid1(VALU_DEP_2)
	v_fma_f64 v[41:42], v[53:54], v[49:50], v[53:54]
	v_add_f64 v[49:50], v[51:52], v[39:40]
	s_delay_alu instid0(VALU_DEP_2) | instskip(NEXT) | instid1(VALU_DEP_2)
	v_fma_f64 v[53:54], -v[45:46], v[41:42], 1.0
	v_add_f64 v[57:58], v[47:48], -v[49:50]
	s_delay_alu instid0(VALU_DEP_2) | instskip(SKIP_1) | instid1(VALU_DEP_3)
	v_fma_f64 v[41:42], v[41:42], v[53:54], v[41:42]
	v_add_f64 v[51:52], v[49:50], -v[51:52]
	v_add_f64 v[47:48], v[47:48], -v[57:58]
	s_delay_alu instid0(VALU_DEP_3) | instskip(NEXT) | instid1(VALU_DEP_3)
	v_mul_f64 v[53:54], v[59:60], v[41:42]
	v_add_f64 v[39:40], v[51:52], -v[39:40]
	s_delay_alu instid0(VALU_DEP_3) | instskip(NEXT) | instid1(VALU_DEP_3)
	v_add_f64 v[47:48], v[47:48], -v[49:50]
	v_fma_f64 v[45:46], -v[45:46], v[53:54], v[59:60]
	s_delay_alu instid0(VALU_DEP_2) | instskip(NEXT) | instid1(VALU_DEP_2)
	v_add_f64 v[39:40], v[39:40], v[47:48]
	v_div_fmas_f64 v[41:42], v[45:46], v[41:42], v[53:54]
	v_subrev_co_ci_u32_e64 v1, vcc_lo, 0, v1, s3
	v_cmp_class_f64_e64 s3, v[35:36], 0x204
	v_cmp_gt_i32_e32 vcc_lo, 0, v2
	v_add_f64 v[39:40], v[57:58], v[39:40]
	v_div_fixup_f64 v[13:14], v[41:42], v[33:34], v[13:14]
	s_delay_alu instid0(VALU_DEP_2) | instskip(NEXT) | instid1(VALU_DEP_2)
	v_mul_f64 v[33:34], v[43:44], v[39:40]
	v_mul_f64 v[39:40], v[13:14], v[13:14]
	s_delay_alu instid0(VALU_DEP_2) | instskip(NEXT) | instid1(VALU_DEP_2)
	v_add_f64 v[41:42], v[31:32], v[33:34]
	v_fma_f64 v[43:44], v[39:40], s[44:45], s[42:43]
	s_delay_alu instid0(VALU_DEP_2) | instskip(NEXT) | instid1(VALU_DEP_2)
	v_mul_f64 v[45:46], v[41:42], v[41:42]
	v_fma_f64 v[43:44], v[39:40], v[43:44], s[46:47]
	v_add_f64 v[31:32], v[41:42], -v[31:32]
	s_delay_alu instid0(VALU_DEP_3) | instskip(NEXT) | instid1(VALU_DEP_3)
	v_fma_f64 v[47:48], v[45:46], s[26:27], s[24:25]
	v_fma_f64 v[43:44], v[39:40], v[43:44], s[48:49]
	v_mul_f64 v[49:50], v[41:42], v[45:46]
	s_delay_alu instid0(VALU_DEP_4) | instskip(NEXT) | instid1(VALU_DEP_4)
	v_add_f64 v[31:32], v[33:34], -v[31:32]
	v_fma_f64 v[47:48], v[45:46], v[47:48], s[28:29]
	s_delay_alu instid0(VALU_DEP_4) | instskip(NEXT) | instid1(VALU_DEP_3)
	v_fma_f64 v[43:44], v[39:40], v[43:44], s[50:51]
	v_ldexp_f64 v[31:32], v[31:32], 1
	s_delay_alu instid0(VALU_DEP_3) | instskip(NEXT) | instid1(VALU_DEP_3)
	v_fma_f64 v[47:48], v[45:46], v[47:48], s[30:31]
	v_fma_f64 v[43:44], v[39:40], v[43:44], s[52:53]
	s_delay_alu instid0(VALU_DEP_2) | instskip(NEXT) | instid1(VALU_DEP_2)
	v_fma_f64 v[47:48], v[45:46], v[47:48], s[34:35]
	v_fma_f64 v[43:44], v[39:40], v[43:44], s[54:55]
	s_delay_alu instid0(VALU_DEP_2) | instskip(NEXT) | instid1(VALU_DEP_2)
	;; [unrolled: 3-line block ×3, first 2 shown]
	v_fma_f64 v[45:46], v[45:46], v[47:48], s[92:93]
	v_fma_f64 v[43:44], v[39:40], v[43:44], s[58:59]
	v_ldexp_f64 v[47:48], v[41:42], 1
	s_delay_alu instid0(VALU_DEP_3) | instskip(NEXT) | instid1(VALU_DEP_3)
	v_mul_f64 v[45:46], v[49:50], v[45:46]
	v_fma_f64 v[43:44], v[39:40], v[43:44], s[60:61]
	v_cvt_f64_i32_e32 v[49:50], v1
	v_ashrrev_i32_e32 v1, 31, v2
	s_delay_alu instid0(VALU_DEP_1) | instskip(SKIP_4) | instid1(VALU_DEP_3)
	v_dual_cndmask_b32 v2, 0x54442d18, v55 :: v_dual_and_b32 v7, 0x54442d18, v1
	v_and_b32_e32 v1, 0x400921fb, v1
	v_add_f64 v[41:42], v[47:48], v[45:46]
	v_fma_f64 v[43:44], v[39:40], v[43:44], s[62:63]
	v_mul_f64 v[51:52], v[49:50], s[38:39]
	v_add_f64 v[33:34], v[41:42], -v[47:48]
	s_delay_alu instid0(VALU_DEP_3) | instskip(NEXT) | instid1(VALU_DEP_3)
	v_fma_f64 v[43:44], v[39:40], v[43:44], s[64:65]
	v_fma_f64 v[47:48], v[49:50], s[38:39], -v[51:52]
	s_delay_alu instid0(VALU_DEP_3) | instskip(NEXT) | instid1(VALU_DEP_3)
	v_add_f64 v[33:34], v[45:46], -v[33:34]
	v_fma_f64 v[43:44], v[39:40], v[43:44], s[66:67]
	s_delay_alu instid0(VALU_DEP_3) | instskip(NEXT) | instid1(VALU_DEP_3)
	v_fma_f64 v[45:46], v[49:50], s[40:41], v[47:48]
	v_add_f64 v[31:32], v[31:32], v[33:34]
	s_delay_alu instid0(VALU_DEP_3) | instskip(NEXT) | instid1(VALU_DEP_3)
	v_fma_f64 v[33:34], v[39:40], v[43:44], s[68:69]
	v_add_f64 v[43:44], v[51:52], v[45:46]
	s_delay_alu instid0(VALU_DEP_3) | instskip(NEXT) | instid1(VALU_DEP_3)
	v_add_f64 v[47:48], v[41:42], v[31:32]
	v_fma_f64 v[33:34], v[39:40], v[33:34], s[70:71]
	s_delay_alu instid0(VALU_DEP_3) | instskip(NEXT) | instid1(VALU_DEP_3)
	v_add_f64 v[51:52], v[43:44], -v[51:52]
	v_add_f64 v[49:50], v[43:44], v[47:48]
	s_delay_alu instid0(VALU_DEP_3) | instskip(SKIP_1) | instid1(VALU_DEP_4)
	v_fma_f64 v[33:34], v[39:40], v[33:34], s[72:73]
	v_add_f64 v[41:42], v[47:48], -v[41:42]
	v_add_f64 v[45:46], v[45:46], -v[51:52]
	s_delay_alu instid0(VALU_DEP_4) | instskip(NEXT) | instid1(VALU_DEP_4)
	v_add_f64 v[53:54], v[49:50], -v[43:44]
	v_fma_f64 v[33:34], v[39:40], v[33:34], s[74:75]
	s_delay_alu instid0(VALU_DEP_4) | instskip(NEXT) | instid1(VALU_DEP_3)
	v_add_f64 v[31:32], v[31:32], -v[41:42]
	v_add_f64 v[57:58], v[49:50], -v[53:54]
	s_delay_alu instid0(VALU_DEP_3) | instskip(SKIP_1) | instid1(VALU_DEP_4)
	v_fma_f64 v[33:34], v[39:40], v[33:34], s[76:77]
	v_add_f64 v[41:42], v[47:48], -v[53:54]
	v_add_f64 v[47:48], v[45:46], v[31:32]
	s_delay_alu instid0(VALU_DEP_4) | instskip(NEXT) | instid1(VALU_DEP_4)
	v_add_f64 v[43:44], v[43:44], -v[57:58]
	v_fma_f64 v[33:34], v[39:40], v[33:34], s[78:79]
	s_delay_alu instid0(VALU_DEP_2) | instskip(NEXT) | instid1(VALU_DEP_2)
	v_add_f64 v[41:42], v[41:42], v[43:44]
	v_fma_f64 v[33:34], v[39:40], v[33:34], s[80:81]
	v_add_f64 v[43:44], v[47:48], -v[45:46]
	s_delay_alu instid0(VALU_DEP_3) | instskip(NEXT) | instid1(VALU_DEP_3)
	v_add_f64 v[41:42], v[47:48], v[41:42]
	v_mul_f64 v[33:34], v[39:40], v[33:34]
	s_delay_alu instid0(VALU_DEP_3) | instskip(SKIP_1) | instid1(VALU_DEP_4)
	v_add_f64 v[39:40], v[47:48], -v[43:44]
	v_add_f64 v[31:32], v[31:32], -v[43:44]
	v_add_f64 v[47:48], v[49:50], v[41:42]
	s_delay_alu instid0(VALU_DEP_4) | instskip(NEXT) | instid1(VALU_DEP_4)
	v_fma_f64 v[13:14], v[13:14], v[33:34], v[13:14]
	v_add_f64 v[33:34], v[45:46], -v[39:40]
	s_delay_alu instid0(VALU_DEP_3) | instskip(NEXT) | instid1(VALU_DEP_3)
	v_add_f64 v[39:40], v[47:48], -v[49:50]
	v_add_f64 v[43:44], -v[13:14], s[82:83]
	s_delay_alu instid0(VALU_DEP_3) | instskip(NEXT) | instid1(VALU_DEP_3)
	v_add_f64 v[31:32], v[31:32], v[33:34]
	v_add_f64 v[33:34], v[41:42], -v[39:40]
	s_delay_alu instid0(VALU_DEP_3) | instskip(NEXT) | instid1(VALU_DEP_4)
	v_cndmask_b32_e64 v14, v14, v44, s2
	v_cndmask_b32_e64 v13, v13, v43, s2
	s_delay_alu instid0(VALU_DEP_3) | instskip(NEXT) | instid1(VALU_DEP_2)
	v_add_f64 v[31:32], v[31:32], v[33:34]
	v_add_f64 v[33:34], -v[13:14], s[12:13]
	s_delay_alu instid0(VALU_DEP_2) | instskip(NEXT) | instid1(VALU_DEP_2)
	v_add_f64 v[31:32], v[47:48], v[31:32]
	v_dual_cndmask_b32 v11, v13, v33 :: v_dual_cndmask_b32 v14, v14, v34
	v_cndmask_b32_e32 v13, 0x3fe921fb, v56, vcc_lo
	v_cmp_ngt_f64_e32 vcc_lo, 0, v[37:38]
	s_delay_alu instid0(VALU_DEP_3) | instskip(NEXT) | instid1(VALU_DEP_4)
	v_cndmask_b32_e64 v7, v11, v7, s4
	v_cndmask_b32_e64 v1, v14, v1, s4
	s_delay_alu instid0(VALU_DEP_4) | instskip(SKIP_3) | instid1(VALU_DEP_3)
	v_bfi_b32 v13, 0x7fffffff, v13, v4
	v_cndmask_b32_e64 v15, v32, v36, s3
	v_cndmask_b32_e64 v18, v31, v35, s3
	v_cmp_nge_f64_e64 s3, 0, v[37:38]
	v_cndmask_b32_e64 v15, v15, 0x7ff00000, s8
	s_delay_alu instid0(VALU_DEP_3) | instskip(NEXT) | instid1(VALU_DEP_2)
	v_cndmask_b32_e64 v11, v18, 0, s8
	v_cndmask_b32_e32 v14, 0x7ff80000, v15, vcc_lo
	s_and_b32 vcc_lo, s6, s7
	v_dual_cndmask_b32 v32, v1, v13 :: v_dual_cndmask_b32 v31, v7, v2
	s_delay_alu instid0(VALU_DEP_3) | instskip(SKIP_1) | instid1(VALU_DEP_1)
	v_cndmask_b32_e64 v13, 0, v11, s3
	v_cmp_neq_f64_e64 s3, 0, v[37:38]
	v_cndmask_b32_e64 v14, 0xfff00000, v14, s3
.LBB180_124:                            ;   in Loop: Header=BB180_5 Depth=1
	s_or_b32 exec_lo, exec_lo, s5
                                        ; implicit-def: $vgpr35_vgpr36
.LBB180_125:                            ;   in Loop: Header=BB180_5 Depth=1
	s_and_not1_saveexec_b32 s5, s99
	s_cbranch_execz .LBB180_131
; %bb.126:                              ;   in Loop: Header=BB180_5 Depth=1
                                        ; implicit-def: $vgpr13_vgpr14
                                        ; implicit-def: $vgpr31_vgpr32
	s_mov_b32 s3, exec_lo
	v_cmpx_ngt_f64_e32 s[86:87], v[35:36]
	s_xor_b32 s6, exec_lo, s3
	s_cbranch_execz .LBB180_128
; %bb.127:                              ;   in Loop: Header=BB180_5 Depth=1
	v_mul_f64 v[13:14], v[35:36], v[35:36]
	s_mov_b32 s93, s23
	s_mov_b32 s12, s82
	v_cmp_eq_f64_e64 s4, 0, v[3:4]
	v_cmp_class_f64_e64 s7, v[3:4], 0x204
	v_cmp_class_f64_e64 s8, v[1:2], 0x204
	v_cmp_gt_i32_e64 s3, 0, v2
	v_add_f64 v[31:32], v[13:14], 1.0
	s_delay_alu instid0(VALU_DEP_1) | instskip(SKIP_2) | instid1(VALU_DEP_3)
	v_frexp_mant_f64_e32 v[33:34], v[31:32]
	v_frexp_exp_i32_f64_e32 v7, v[31:32]
	v_add_f64 v[35:36], v[31:32], -1.0
	v_cmp_gt_f64_e32 vcc_lo, s[22:23], v[33:34]
	s_delay_alu instid0(VALU_DEP_2) | instskip(SKIP_2) | instid1(VALU_DEP_3)
	v_add_f64 v[33:34], v[35:36], -v[31:32]
	v_add_f64 v[35:36], v[13:14], -v[35:36]
	v_subrev_co_ci_u32_e32 v7, vcc_lo, 0, v7, vcc_lo
	v_add_f64 v[33:34], v[33:34], 1.0
	s_delay_alu instid0(VALU_DEP_2) | instskip(NEXT) | instid1(VALU_DEP_1)
	v_sub_nc_u32_e32 v11, 0, v7
	v_ldexp_f64 v[31:32], v[31:32], v11
	s_delay_alu instid0(VALU_DEP_3) | instskip(NEXT) | instid1(VALU_DEP_2)
	v_add_f64 v[33:34], v[35:36], v[33:34]
	v_add_f64 v[37:38], v[31:32], 1.0
	v_add_f64 v[43:44], v[31:32], -1.0
	s_delay_alu instid0(VALU_DEP_3) | instskip(SKIP_1) | instid1(VALU_DEP_4)
	v_ldexp_f64 v[33:34], v[33:34], v11
	v_cndmask_b32_e64 v11, 0x54442d18, v55, s3
	v_add_f64 v[35:36], v[37:38], -1.0
	s_delay_alu instid0(VALU_DEP_4) | instskip(NEXT) | instid1(VALU_DEP_2)
	v_add_f64 v[45:46], v[43:44], 1.0
	v_add_f64 v[35:36], v[31:32], -v[35:36]
	s_delay_alu instid0(VALU_DEP_2) | instskip(NEXT) | instid1(VALU_DEP_2)
	v_add_f64 v[31:32], v[31:32], -v[45:46]
	v_add_f64 v[35:36], v[33:34], v[35:36]
	s_delay_alu instid0(VALU_DEP_2) | instskip(NEXT) | instid1(VALU_DEP_2)
	v_add_f64 v[31:32], v[33:34], v[31:32]
	v_add_f64 v[39:40], v[37:38], v[35:36]
	s_delay_alu instid0(VALU_DEP_2) | instskip(NEXT) | instid1(VALU_DEP_2)
	v_add_f64 v[45:46], v[43:44], v[31:32]
	v_rcp_f64_e32 v[41:42], v[39:40]
	v_add_f64 v[37:38], v[37:38], -v[39:40]
	s_delay_alu instid0(VALU_DEP_2) | instskip(NEXT) | instid1(VALU_DEP_2)
	v_add_f64 v[43:44], v[43:44], -v[45:46]
	v_add_f64 v[35:36], v[35:36], v[37:38]
	s_waitcnt_depctr 0xfff
	v_fma_f64 v[47:48], -v[39:40], v[41:42], 1.0
	v_add_f64 v[31:32], v[31:32], v[43:44]
	s_delay_alu instid0(VALU_DEP_2) | instskip(NEXT) | instid1(VALU_DEP_1)
	v_fma_f64 v[41:42], v[47:48], v[41:42], v[41:42]
	v_fma_f64 v[33:34], -v[39:40], v[41:42], 1.0
	s_delay_alu instid0(VALU_DEP_1) | instskip(NEXT) | instid1(VALU_DEP_1)
	v_fma_f64 v[33:34], v[33:34], v[41:42], v[41:42]
	v_mul_f64 v[41:42], v[45:46], v[33:34]
	s_delay_alu instid0(VALU_DEP_1) | instskip(NEXT) | instid1(VALU_DEP_1)
	v_mul_f64 v[47:48], v[39:40], v[41:42]
	v_fma_f64 v[37:38], v[41:42], v[39:40], -v[47:48]
	s_delay_alu instid0(VALU_DEP_1) | instskip(NEXT) | instid1(VALU_DEP_1)
	v_fma_f64 v[37:38], v[41:42], v[35:36], v[37:38]
	v_add_f64 v[49:50], v[47:48], v[37:38]
	s_delay_alu instid0(VALU_DEP_1) | instskip(SKIP_2) | instid1(VALU_DEP_3)
	v_add_f64 v[51:52], v[45:46], -v[49:50]
	v_add_f64 v[43:44], v[49:50], -v[47:48]
	v_max_f64 v[47:48], |v[3:4]|, |v[3:4]|
	v_add_f64 v[45:46], v[45:46], -v[51:52]
	s_delay_alu instid0(VALU_DEP_3) | instskip(NEXT) | instid1(VALU_DEP_2)
	v_add_f64 v[37:38], v[43:44], -v[37:38]
	v_add_f64 v[45:46], v[45:46], -v[49:50]
	v_max_f64 v[49:50], |v[1:2]|, |v[1:2]|
	s_delay_alu instid0(VALU_DEP_2) | instskip(NEXT) | instid1(VALU_DEP_2)
	v_add_f64 v[31:32], v[31:32], v[45:46]
	v_max_f64 v[53:54], v[49:50], v[47:48]
	v_min_f64 v[47:48], v[49:50], v[47:48]
	s_delay_alu instid0(VALU_DEP_3) | instskip(NEXT) | instid1(VALU_DEP_1)
	v_add_f64 v[31:32], v[37:38], v[31:32]
	v_add_f64 v[37:38], v[51:52], v[31:32]
	s_delay_alu instid0(VALU_DEP_1) | instskip(SKIP_1) | instid1(VALU_DEP_2)
	v_mul_f64 v[43:44], v[33:34], v[37:38]
	v_add_f64 v[51:52], v[51:52], -v[37:38]
	v_mul_f64 v[45:46], v[39:40], v[43:44]
	s_delay_alu instid0(VALU_DEP_2) | instskip(NEXT) | instid1(VALU_DEP_2)
	v_add_f64 v[31:32], v[31:32], v[51:52]
	v_fma_f64 v[39:40], v[43:44], v[39:40], -v[45:46]
	s_delay_alu instid0(VALU_DEP_1) | instskip(SKIP_1) | instid1(VALU_DEP_2)
	v_fma_f64 v[35:36], v[43:44], v[35:36], v[39:40]
	v_div_scale_f64 v[39:40], null, v[53:54], v[53:54], v[47:48]
	v_add_f64 v[49:50], v[45:46], v[35:36]
	s_delay_alu instid0(VALU_DEP_2) | instskip(NEXT) | instid1(VALU_DEP_1)
	v_rcp_f64_e32 v[57:58], v[39:40]
	v_add_f64 v[59:60], v[37:38], -v[49:50]
	v_add_f64 v[45:46], v[49:50], -v[45:46]
	s_waitcnt_depctr 0xfff
	v_fma_f64 v[61:62], -v[39:40], v[57:58], 1.0
	v_add_f64 v[37:38], v[37:38], -v[59:60]
	v_add_f64 v[35:36], v[45:46], -v[35:36]
	s_delay_alu instid0(VALU_DEP_3) | instskip(NEXT) | instid1(VALU_DEP_3)
	v_fma_f64 v[57:58], v[57:58], v[61:62], v[57:58]
	v_add_f64 v[37:38], v[37:38], -v[49:50]
	s_delay_alu instid0(VALU_DEP_2) | instskip(NEXT) | instid1(VALU_DEP_2)
	v_fma_f64 v[49:50], -v[39:40], v[57:58], 1.0
	v_add_f64 v[31:32], v[31:32], v[37:38]
	v_div_scale_f64 v[37:38], vcc_lo, v[47:48], v[53:54], v[47:48]
	s_delay_alu instid0(VALU_DEP_3) | instskip(SKIP_1) | instid1(VALU_DEP_4)
	v_fma_f64 v[45:46], v[57:58], v[49:50], v[57:58]
	v_add_f64 v[49:50], v[41:42], v[43:44]
	v_add_f64 v[31:32], v[35:36], v[31:32]
	s_delay_alu instid0(VALU_DEP_3) | instskip(NEXT) | instid1(VALU_DEP_3)
	v_mul_f64 v[35:36], v[37:38], v[45:46]
	v_add_f64 v[41:42], v[49:50], -v[41:42]
	s_delay_alu instid0(VALU_DEP_3) | instskip(NEXT) | instid1(VALU_DEP_3)
	v_add_f64 v[31:32], v[59:60], v[31:32]
	v_fma_f64 v[37:38], -v[39:40], v[35:36], v[37:38]
	s_delay_alu instid0(VALU_DEP_3) | instskip(NEXT) | instid1(VALU_DEP_3)
	v_add_f64 v[39:40], v[43:44], -v[41:42]
	v_mul_f64 v[31:32], v[33:34], v[31:32]
	s_delay_alu instid0(VALU_DEP_3) | instskip(SKIP_1) | instid1(VALU_DEP_3)
	v_div_fmas_f64 v[33:34], v[37:38], v[45:46], v[35:36]
	v_cmp_eq_f64_e32 vcc_lo, 0x7ff00000, v[13:14]
	v_add_f64 v[31:32], v[39:40], v[31:32]
	s_delay_alu instid0(VALU_DEP_3) | instskip(NEXT) | instid1(VALU_DEP_2)
	v_div_fixup_f64 v[33:34], v[33:34], v[53:54], v[47:48]
	v_add_f64 v[35:36], v[49:50], v[31:32]
	s_delay_alu instid0(VALU_DEP_2) | instskip(NEXT) | instid1(VALU_DEP_2)
	v_mul_f64 v[37:38], v[33:34], v[33:34]
	v_mul_f64 v[39:40], v[35:36], v[35:36]
	s_delay_alu instid0(VALU_DEP_2) | instskip(NEXT) | instid1(VALU_DEP_2)
	v_fma_f64 v[41:42], v[37:38], s[44:45], s[42:43]
	v_fma_f64 v[43:44], v[39:40], s[26:27], s[24:25]
	v_mul_f64 v[45:46], v[35:36], v[39:40]
	s_delay_alu instid0(VALU_DEP_3) | instskip(NEXT) | instid1(VALU_DEP_3)
	v_fma_f64 v[41:42], v[37:38], v[41:42], s[46:47]
	v_fma_f64 v[43:44], v[39:40], v[43:44], s[28:29]
	s_delay_alu instid0(VALU_DEP_2) | instskip(NEXT) | instid1(VALU_DEP_2)
	v_fma_f64 v[41:42], v[37:38], v[41:42], s[48:49]
	v_fma_f64 v[43:44], v[39:40], v[43:44], s[30:31]
	s_delay_alu instid0(VALU_DEP_2) | instskip(NEXT) | instid1(VALU_DEP_2)
	;; [unrolled: 3-line block ×4, first 2 shown]
	v_fma_f64 v[41:42], v[37:38], v[41:42], s[54:55]
	v_fma_f64 v[39:40], v[39:40], v[43:44], s[92:93]
	v_ldexp_f64 v[43:44], v[35:36], 1
	v_add_f64 v[35:36], v[35:36], -v[49:50]
	s_delay_alu instid0(VALU_DEP_4) | instskip(NEXT) | instid1(VALU_DEP_4)
	v_fma_f64 v[41:42], v[37:38], v[41:42], s[56:57]
	v_mul_f64 v[39:40], v[45:46], v[39:40]
	v_cvt_f64_i32_e32 v[45:46], v7
	s_delay_alu instid0(VALU_DEP_4) | instskip(NEXT) | instid1(VALU_DEP_4)
	v_add_f64 v[31:32], v[31:32], -v[35:36]
	v_fma_f64 v[41:42], v[37:38], v[41:42], s[58:59]
	v_ashrrev_i32_e32 v7, 31, v2
	v_add_f64 v[47:48], v[43:44], v[39:40]
	v_mul_f64 v[49:50], v[45:46], s[38:39]
	v_ldexp_f64 v[31:32], v[31:32], 1
	v_fma_f64 v[41:42], v[37:38], v[41:42], s[60:61]
	s_delay_alu instid0(VALU_DEP_4) | instskip(NEXT) | instid1(VALU_DEP_4)
	v_add_f64 v[35:36], v[47:48], -v[43:44]
	v_fma_f64 v[43:44], v[45:46], s[38:39], -v[49:50]
	s_delay_alu instid0(VALU_DEP_3) | instskip(NEXT) | instid1(VALU_DEP_3)
	v_fma_f64 v[41:42], v[37:38], v[41:42], s[62:63]
	v_add_f64 v[35:36], v[39:40], -v[35:36]
	s_delay_alu instid0(VALU_DEP_2) | instskip(NEXT) | instid1(VALU_DEP_4)
	v_fma_f64 v[39:40], v[37:38], v[41:42], s[64:65]
	v_fma_f64 v[41:42], v[45:46], s[40:41], v[43:44]
	s_delay_alu instid0(VALU_DEP_3) | instskip(NEXT) | instid1(VALU_DEP_3)
	v_add_f64 v[31:32], v[31:32], v[35:36]
	v_fma_f64 v[35:36], v[37:38], v[39:40], s[66:67]
	s_delay_alu instid0(VALU_DEP_3) | instskip(NEXT) | instid1(VALU_DEP_3)
	v_add_f64 v[39:40], v[49:50], v[41:42]
	v_add_f64 v[43:44], v[47:48], v[31:32]
	s_delay_alu instid0(VALU_DEP_3) | instskip(NEXT) | instid1(VALU_DEP_3)
	v_fma_f64 v[35:36], v[37:38], v[35:36], s[68:69]
	v_add_f64 v[49:50], v[39:40], -v[49:50]
	s_delay_alu instid0(VALU_DEP_3) | instskip(SKIP_1) | instid1(VALU_DEP_4)
	v_add_f64 v[45:46], v[39:40], v[43:44]
	v_add_f64 v[47:48], v[43:44], -v[47:48]
	v_fma_f64 v[35:36], v[37:38], v[35:36], s[70:71]
	s_delay_alu instid0(VALU_DEP_4) | instskip(NEXT) | instid1(VALU_DEP_4)
	v_add_f64 v[41:42], v[41:42], -v[49:50]
	v_add_f64 v[51:52], v[45:46], -v[39:40]
	s_delay_alu instid0(VALU_DEP_4) | instskip(NEXT) | instid1(VALU_DEP_4)
	v_add_f64 v[31:32], v[31:32], -v[47:48]
	v_fma_f64 v[35:36], v[37:38], v[35:36], s[72:73]
	s_delay_alu instid0(VALU_DEP_3) | instskip(SKIP_1) | instid1(VALU_DEP_4)
	v_add_f64 v[53:54], v[45:46], -v[51:52]
	v_add_f64 v[43:44], v[43:44], -v[51:52]
	v_add_f64 v[47:48], v[41:42], v[31:32]
	s_delay_alu instid0(VALU_DEP_4) | instskip(NEXT) | instid1(VALU_DEP_4)
	v_fma_f64 v[35:36], v[37:38], v[35:36], s[74:75]
	v_add_f64 v[39:40], v[39:40], -v[53:54]
	s_delay_alu instid0(VALU_DEP_2) | instskip(NEXT) | instid1(VALU_DEP_2)
	v_fma_f64 v[35:36], v[37:38], v[35:36], s[76:77]
	v_add_f64 v[39:40], v[43:44], v[39:40]
	v_add_f64 v[43:44], v[47:48], -v[41:42]
	s_delay_alu instid0(VALU_DEP_3) | instskip(NEXT) | instid1(VALU_DEP_3)
	v_fma_f64 v[35:36], v[37:38], v[35:36], s[78:79]
	v_add_f64 v[39:40], v[47:48], v[39:40]
	s_delay_alu instid0(VALU_DEP_3) | instskip(SKIP_1) | instid1(VALU_DEP_4)
	v_add_f64 v[47:48], v[47:48], -v[43:44]
	v_add_f64 v[31:32], v[31:32], -v[43:44]
	v_fma_f64 v[35:36], v[37:38], v[35:36], s[80:81]
	s_delay_alu instid0(VALU_DEP_4) | instskip(NEXT) | instid1(VALU_DEP_2)
	v_add_f64 v[49:50], v[45:46], v[39:40]
	v_mul_f64 v[35:36], v[37:38], v[35:36]
	v_add_f64 v[37:38], v[41:42], -v[47:48]
	s_delay_alu instid0(VALU_DEP_3) | instskip(NEXT) | instid1(VALU_DEP_3)
	v_add_f64 v[41:42], v[49:50], -v[45:46]
	v_fma_f64 v[33:34], v[33:34], v[35:36], v[33:34]
	s_delay_alu instid0(VALU_DEP_3) | instskip(NEXT) | instid1(VALU_DEP_3)
	v_add_f64 v[31:32], v[31:32], v[37:38]
	v_add_f64 v[35:36], v[39:40], -v[41:42]
	s_delay_alu instid0(VALU_DEP_3) | instskip(NEXT) | instid1(VALU_DEP_2)
	v_add_f64 v[37:38], -v[33:34], s[82:83]
	v_add_f64 v[31:32], v[31:32], v[35:36]
	s_delay_alu instid0(VALU_DEP_2) | instskip(NEXT) | instid1(VALU_DEP_3)
	v_cndmask_b32_e64 v34, v34, v38, s2
	v_cndmask_b32_e64 v33, v33, v37, s2
	s_delay_alu instid0(VALU_DEP_1) | instskip(NEXT) | instid1(VALU_DEP_4)
	v_add_f64 v[35:36], -v[33:34], s[12:13]
	v_add_f64 v[31:32], v[49:50], v[31:32]
	v_and_b32_e32 v15, 0x54442d18, v7
	s_delay_alu instid0(VALU_DEP_3) | instskip(NEXT) | instid1(VALU_DEP_3)
	v_cndmask_b32_e64 v18, v33, v35, s3
	v_dual_cndmask_b32 v2, v32, v14 :: v_dual_cndmask_b32 v1, v31, v13
	s_delay_alu instid0(VALU_DEP_2) | instskip(SKIP_1) | instid1(VALU_DEP_2)
	v_cndmask_b32_e64 v15, v18, v15, s4
	s_and_b32 vcc_lo, s8, s7
	v_mul_f64 v[13:14], v[1:2], 0.5
	v_and_b32_e32 v2, 0x400921fb, v7
	v_cndmask_b32_e64 v1, 0x3fe921fb, v56, s3
	v_cndmask_b32_e64 v7, v34, v36, s3
                                        ; implicit-def: $vgpr35_vgpr36
	v_cndmask_b32_e32 v31, v15, v11, vcc_lo
	s_delay_alu instid0(VALU_DEP_3) | instskip(NEXT) | instid1(VALU_DEP_3)
	v_bfi_b32 v1, 0x7fffffff, v1, v4
	v_cndmask_b32_e64 v2, v7, v2, s4
	s_delay_alu instid0(VALU_DEP_1)
	v_cndmask_b32_e32 v32, v2, v1, vcc_lo
.LBB180_128:                            ;   in Loop: Header=BB180_5 Depth=1
	s_and_not1_saveexec_b32 s4, s6
	s_cbranch_execz .LBB180_130
; %bb.129:                              ;   in Loop: Header=BB180_5 Depth=1
	v_max_f64 v[13:14], |v[3:4]|, |v[3:4]|
	v_max_f64 v[31:32], |v[1:2]|, |v[1:2]|
	s_mov_b32 s12, s82
	v_cmp_eq_f64_e64 s3, 0, v[3:4]
	v_cmp_class_f64_e64 s6, v[3:4], 0x204
	v_cmp_class_f64_e64 s7, v[1:2], 0x204
	v_ashrrev_i32_e32 v7, 31, v2
	v_max_f64 v[33:34], v[31:32], v[13:14]
	v_min_f64 v[13:14], v[31:32], v[13:14]
	s_delay_alu instid0(VALU_DEP_1) | instskip(SKIP_1) | instid1(VALU_DEP_2)
	v_div_scale_f64 v[31:32], null, v[33:34], v[33:34], v[13:14]
	v_div_scale_f64 v[41:42], vcc_lo, v[13:14], v[33:34], v[13:14]
	v_rcp_f64_e32 v[37:38], v[31:32]
	s_waitcnt_depctr 0xfff
	v_fma_f64 v[39:40], -v[31:32], v[37:38], 1.0
	s_delay_alu instid0(VALU_DEP_1) | instskip(NEXT) | instid1(VALU_DEP_1)
	v_fma_f64 v[37:38], v[37:38], v[39:40], v[37:38]
	v_fma_f64 v[39:40], -v[31:32], v[37:38], 1.0
	s_delay_alu instid0(VALU_DEP_1) | instskip(NEXT) | instid1(VALU_DEP_1)
	v_fma_f64 v[37:38], v[37:38], v[39:40], v[37:38]
	v_mul_f64 v[39:40], v[41:42], v[37:38]
	s_delay_alu instid0(VALU_DEP_1) | instskip(NEXT) | instid1(VALU_DEP_1)
	v_fma_f64 v[31:32], -v[31:32], v[39:40], v[41:42]
	v_div_fmas_f64 v[31:32], v[31:32], v[37:38], v[39:40]
	v_cmp_gt_i32_e32 vcc_lo, 0, v2
	v_and_b32_e32 v2, 0x400921fb, v7
	v_cndmask_b32_e32 v1, 0x3fe921fb, v56, vcc_lo
	v_cndmask_b32_e32 v11, 0x54442d18, v55, vcc_lo
	s_delay_alu instid0(VALU_DEP_2) | instskip(SKIP_1) | instid1(VALU_DEP_1)
	v_bfi_b32 v1, 0x7fffffff, v1, v4
	v_div_fixup_f64 v[13:14], v[31:32], v[33:34], v[13:14]
	v_mul_f64 v[31:32], v[13:14], v[13:14]
	s_delay_alu instid0(VALU_DEP_1) | instskip(NEXT) | instid1(VALU_DEP_1)
	v_fma_f64 v[33:34], v[31:32], s[44:45], s[42:43]
	v_fma_f64 v[33:34], v[31:32], v[33:34], s[46:47]
	s_delay_alu instid0(VALU_DEP_1) | instskip(NEXT) | instid1(VALU_DEP_1)
	v_fma_f64 v[33:34], v[31:32], v[33:34], s[48:49]
	v_fma_f64 v[33:34], v[31:32], v[33:34], s[50:51]
	;; [unrolled: 3-line block ×9, first 2 shown]
	s_delay_alu instid0(VALU_DEP_1) | instskip(NEXT) | instid1(VALU_DEP_1)
	v_fma_f64 v[33:34], v[31:32], v[33:34], s[80:81]
	v_mul_f64 v[31:32], v[31:32], v[33:34]
	v_mul_f64 v[33:34], v[35:36], 0.5
	s_delay_alu instid0(VALU_DEP_2) | instskip(NEXT) | instid1(VALU_DEP_1)
	v_fma_f64 v[13:14], v[13:14], v[31:32], v[13:14]
	v_add_f64 v[31:32], -v[13:14], s[82:83]
	s_delay_alu instid0(VALU_DEP_1) | instskip(NEXT) | instid1(VALU_DEP_2)
	v_cndmask_b32_e64 v15, v14, v32, s2
	v_cndmask_b32_e64 v14, v13, v31, s2
	s_delay_alu instid0(VALU_DEP_1) | instskip(NEXT) | instid1(VALU_DEP_1)
	v_add_f64 v[31:32], -v[14:15], s[12:13]
	v_dual_cndmask_b32 v7, v15, v32 :: v_dual_and_b32 v18, 0x54442d18, v7
	s_delay_alu instid0(VALU_DEP_2) | instskip(SKIP_2) | instid1(VALU_DEP_3)
	v_cndmask_b32_e32 v31, v14, v31, vcc_lo
	v_mul_f64 v[13:14], v[35:36], v[33:34]
	s_and_b32 vcc_lo, s7, s6
	v_cndmask_b32_e64 v2, v7, v2, s3
	s_delay_alu instid0(VALU_DEP_3) | instskip(NEXT) | instid1(VALU_DEP_1)
	v_cndmask_b32_e64 v15, v31, v18, s3
	v_dual_cndmask_b32 v32, v2, v1 :: v_dual_cndmask_b32 v31, v15, v11
.LBB180_130:                            ;   in Loop: Header=BB180_5 Depth=1
	s_or_b32 exec_lo, exec_lo, s4
.LBB180_131:                            ;   in Loop: Header=BB180_5 Depth=1
	s_delay_alu instid0(SALU_CYCLE_1)
	s_or_b32 exec_lo, exec_lo, s5
.LBB180_132:                            ;   in Loop: Header=BB180_5 Depth=1
	s_and_not1_saveexec_b32 s5, s98
	s_cbranch_execz .LBB180_134
; %bb.133:                              ;   in Loop: Header=BB180_5 Depth=1
	v_div_scale_f64 v[13:14], null, s[88:89], s[88:89], v[1:2]
	v_div_scale_f64 v[31:32], null, s[88:89], s[88:89], v[3:4]
	v_div_scale_f64 v[41:42], vcc_lo, v[1:2], s[88:89], v[1:2]
	v_max_f64 v[45:46], |v[1:2]|, |v[1:2]|
	s_mov_b32 s93, s23
	s_mov_b32 s12, s82
	s_delay_alu instid0(VALU_DEP_4) | instskip(NEXT) | instid1(VALU_DEP_3)
	v_rcp_f64_e32 v[33:34], v[13:14]
	v_rcp_f64_e32 v[35:36], v[31:32]
	s_waitcnt_depctr 0xfff
	v_fma_f64 v[37:38], -v[13:14], v[33:34], 1.0
	v_fma_f64 v[39:40], -v[31:32], v[35:36], 1.0
	s_delay_alu instid0(VALU_DEP_2) | instskip(NEXT) | instid1(VALU_DEP_2)
	v_fma_f64 v[33:34], v[33:34], v[37:38], v[33:34]
	v_fma_f64 v[35:36], v[35:36], v[39:40], v[35:36]
	s_delay_alu instid0(VALU_DEP_2) | instskip(NEXT) | instid1(VALU_DEP_2)
	v_fma_f64 v[37:38], -v[13:14], v[33:34], 1.0
	v_fma_f64 v[39:40], -v[31:32], v[35:36], 1.0
	s_delay_alu instid0(VALU_DEP_2) | instskip(SKIP_1) | instid1(VALU_DEP_3)
	v_fma_f64 v[33:34], v[33:34], v[37:38], v[33:34]
	v_div_scale_f64 v[37:38], s3, v[3:4], s[88:89], v[3:4]
	v_fma_f64 v[35:36], v[35:36], v[39:40], v[35:36]
	s_delay_alu instid0(VALU_DEP_3) | instskip(NEXT) | instid1(VALU_DEP_2)
	v_mul_f64 v[39:40], v[41:42], v[33:34]
	v_mul_f64 v[43:44], v[37:38], v[35:36]
	s_delay_alu instid0(VALU_DEP_2) | instskip(NEXT) | instid1(VALU_DEP_2)
	v_fma_f64 v[13:14], -v[13:14], v[39:40], v[41:42]
	v_fma_f64 v[31:32], -v[31:32], v[43:44], v[37:38]
	s_delay_alu instid0(VALU_DEP_2) | instskip(SKIP_1) | instid1(VALU_DEP_2)
	v_div_fmas_f64 v[13:14], v[13:14], v[33:34], v[39:40]
	s_mov_b32 vcc_lo, s3
	v_div_fmas_f64 v[31:32], v[31:32], v[35:36], v[43:44]
	s_delay_alu instid0(VALU_DEP_2) | instskip(NEXT) | instid1(VALU_DEP_2)
	v_div_fixup_f64 v[13:14], v[13:14], s[88:89], v[1:2]
	v_div_fixup_f64 v[31:32], v[31:32], s[88:89], v[3:4]
	s_delay_alu instid0(VALU_DEP_2) | instskip(NEXT) | instid1(VALU_DEP_2)
	v_cmp_class_f64_e64 s4, v[13:14], 0x204
	v_max_f64 v[33:34], |v[13:14]|, |v[31:32]|
	v_cmp_o_f64_e64 s3, v[13:14], v[31:32]
	v_cmp_class_f64_e64 s6, v[31:32], 0x204
	s_delay_alu instid0(VALU_DEP_3) | instskip(NEXT) | instid1(VALU_DEP_2)
	v_frexp_exp_i32_f64_e32 v7, v[33:34]
	s_or_b32 s6, s4, s6
	s_delay_alu instid0(VALU_DEP_1) | instskip(NEXT) | instid1(VALU_DEP_1)
	v_sub_nc_u32_e32 v11, 0, v7
	v_ldexp_f64 v[33:34], |v[31:32]|, v11
	v_ldexp_f64 v[35:36], |v[13:14]|, v11
	s_delay_alu instid0(VALU_DEP_2) | instskip(NEXT) | instid1(VALU_DEP_1)
	v_mul_f64 v[33:34], v[33:34], v[33:34]
	v_fma_f64 v[33:34], v[35:36], v[35:36], v[33:34]
	s_delay_alu instid0(VALU_DEP_1) | instskip(SKIP_4) | instid1(VALU_DEP_1)
	v_rsq_f64_e32 v[35:36], v[33:34]
	v_cmp_eq_f64_e32 vcc_lo, 0, v[33:34]
	s_waitcnt_depctr 0xfff
	v_mul_f64 v[37:38], v[33:34], v[35:36]
	v_mul_f64 v[35:36], v[35:36], 0.5
	v_fma_f64 v[39:40], -v[35:36], v[37:38], 0.5
	s_delay_alu instid0(VALU_DEP_1) | instskip(SKIP_1) | instid1(VALU_DEP_2)
	v_fma_f64 v[37:38], v[37:38], v[39:40], v[37:38]
	v_fma_f64 v[35:36], v[35:36], v[39:40], v[35:36]
	v_fma_f64 v[39:40], -v[37:38], v[37:38], v[33:34]
	s_delay_alu instid0(VALU_DEP_1) | instskip(NEXT) | instid1(VALU_DEP_1)
	v_fma_f64 v[35:36], v[39:40], v[35:36], v[37:38]
	v_dual_cndmask_b32 v34, v36, v34 :: v_dual_cndmask_b32 v33, v35, v33
	s_delay_alu instid0(VALU_DEP_1) | instskip(NEXT) | instid1(VALU_DEP_1)
	v_ldexp_f64 v[33:34], v[33:34], v7
	v_cndmask_b32_e64 v7, 0, v33, s3
	s_delay_alu instid0(VALU_DEP_2) | instskip(NEXT) | instid1(VALU_DEP_2)
	v_cndmask_b32_e64 v11, 0x7ff80000, v34, s3
	v_cndmask_b32_e64 v14, v7, 0, s6
	s_delay_alu instid0(VALU_DEP_2) | instskip(NEXT) | instid1(VALU_DEP_1)
	v_cndmask_b32_e64 v15, v11, 0x7ff00000, s6
	v_frexp_mant_f64_e32 v[31:32], v[14:15]
	v_frexp_exp_i32_f64_e32 v13, v[14:15]
	s_delay_alu instid0(VALU_DEP_2) | instskip(NEXT) | instid1(VALU_DEP_1)
	v_cmp_gt_f64_e64 s4, s[22:23], v[31:32]
	v_cndmask_b32_e64 v18, 0x3ff00000, 2.0, s4
	s_delay_alu instid0(VALU_DEP_1) | instskip(NEXT) | instid1(VALU_DEP_1)
	v_mul_f64 v[31:32], v[31:32], v[17:18]
	v_add_f64 v[35:36], v[31:32], 1.0
	v_add_f64 v[41:42], v[31:32], -1.0
	s_delay_alu instid0(VALU_DEP_2) | instskip(SKIP_1) | instid1(VALU_DEP_1)
	v_rcp_f64_e32 v[37:38], v[35:36]
	v_add_f64 v[47:48], v[35:36], -1.0
	v_add_f64 v[31:32], v[31:32], -v[47:48]
	s_waitcnt_depctr 0xfff
	v_fma_f64 v[39:40], -v[35:36], v[37:38], 1.0
	s_delay_alu instid0(VALU_DEP_1) | instskip(NEXT) | instid1(VALU_DEP_1)
	v_fma_f64 v[37:38], v[39:40], v[37:38], v[37:38]
	v_fma_f64 v[39:40], -v[35:36], v[37:38], 1.0
	s_delay_alu instid0(VALU_DEP_1) | instskip(SKIP_1) | instid1(VALU_DEP_2)
	v_fma_f64 v[37:38], v[39:40], v[37:38], v[37:38]
	v_max_f64 v[39:40], |v[3:4]|, |v[3:4]|
	v_mul_f64 v[43:44], v[41:42], v[37:38]
	s_delay_alu instid0(VALU_DEP_2) | instskip(SKIP_1) | instid1(VALU_DEP_3)
	v_max_f64 v[51:52], v[45:46], v[39:40]
	v_min_f64 v[39:40], v[45:46], v[39:40]
	v_mul_f64 v[49:50], v[35:36], v[43:44]
	s_delay_alu instid0(VALU_DEP_2) | instskip(NEXT) | instid1(VALU_DEP_2)
	v_div_scale_f64 v[45:46], null, v[51:52], v[51:52], v[39:40]
	v_fma_f64 v[35:36], v[43:44], v[35:36], -v[49:50]
	s_delay_alu instid0(VALU_DEP_1) | instskip(NEXT) | instid1(VALU_DEP_3)
	v_fma_f64 v[31:32], v[43:44], v[31:32], v[35:36]
	v_rcp_f64_e32 v[35:36], v[45:46]
	s_delay_alu instid0(VALU_DEP_1) | instskip(SKIP_4) | instid1(VALU_DEP_3)
	v_add_f64 v[47:48], v[49:50], v[31:32]
	s_waitcnt_depctr 0xfff
	v_fma_f64 v[53:54], -v[45:46], v[35:36], 1.0
	v_add_f64 v[57:58], v[41:42], -v[47:48]
	v_add_f64 v[49:50], v[47:48], -v[49:50]
	v_fma_f64 v[35:36], v[35:36], v[53:54], v[35:36]
	s_delay_alu instid0(VALU_DEP_3) | instskip(NEXT) | instid1(VALU_DEP_3)
	v_add_f64 v[41:42], v[41:42], -v[57:58]
	v_add_f64 v[31:32], v[49:50], -v[31:32]
	s_delay_alu instid0(VALU_DEP_3) | instskip(NEXT) | instid1(VALU_DEP_3)
	v_fma_f64 v[53:54], -v[45:46], v[35:36], 1.0
	v_add_f64 v[41:42], v[41:42], -v[47:48]
	v_div_scale_f64 v[47:48], vcc_lo, v[39:40], v[51:52], v[39:40]
	s_delay_alu instid0(VALU_DEP_3) | instskip(NEXT) | instid1(VALU_DEP_3)
	v_fma_f64 v[35:36], v[35:36], v[53:54], v[35:36]
	v_add_f64 v[31:32], v[31:32], v[41:42]
	s_delay_alu instid0(VALU_DEP_2) | instskip(NEXT) | instid1(VALU_DEP_2)
	v_mul_f64 v[41:42], v[47:48], v[35:36]
	v_add_f64 v[31:32], v[57:58], v[31:32]
	s_delay_alu instid0(VALU_DEP_2) | instskip(NEXT) | instid1(VALU_DEP_2)
	v_fma_f64 v[45:46], -v[45:46], v[41:42], v[47:48]
	v_mul_f64 v[31:32], v[37:38], v[31:32]
	s_delay_alu instid0(VALU_DEP_2) | instskip(SKIP_2) | instid1(VALU_DEP_4)
	v_div_fmas_f64 v[35:36], v[45:46], v[35:36], v[41:42]
	v_subrev_co_ci_u32_e64 v13, vcc_lo, 0, v13, s4
	v_cmp_class_f64_e64 s4, v[1:2], 0x204
	v_add_f64 v[37:38], v[43:44], v[31:32]
	s_delay_alu instid0(VALU_DEP_4) | instskip(NEXT) | instid1(VALU_DEP_2)
	v_div_fixup_f64 v[35:36], v[35:36], v[51:52], v[39:40]
	v_mul_f64 v[39:40], v[37:38], v[37:38]
	s_delay_alu instid0(VALU_DEP_2) | instskip(NEXT) | instid1(VALU_DEP_2)
	v_mul_f64 v[41:42], v[35:36], v[35:36]
	v_fma_f64 v[45:46], v[39:40], s[26:27], s[24:25]
	v_mul_f64 v[49:50], v[37:38], v[39:40]
	s_delay_alu instid0(VALU_DEP_3) | instskip(NEXT) | instid1(VALU_DEP_3)
	v_fma_f64 v[47:48], v[41:42], s[44:45], s[42:43]
	v_fma_f64 v[45:46], v[39:40], v[45:46], s[28:29]
	s_delay_alu instid0(VALU_DEP_2) | instskip(NEXT) | instid1(VALU_DEP_2)
	v_fma_f64 v[47:48], v[41:42], v[47:48], s[46:47]
	v_fma_f64 v[45:46], v[39:40], v[45:46], s[30:31]
	s_delay_alu instid0(VALU_DEP_2) | instskip(NEXT) | instid1(VALU_DEP_2)
	;; [unrolled: 3-line block ×4, first 2 shown]
	v_fma_f64 v[47:48], v[41:42], v[47:48], s[52:53]
	v_fma_f64 v[39:40], v[39:40], v[45:46], s[92:93]
	s_delay_alu instid0(VALU_DEP_2) | instskip(SKIP_2) | instid1(VALU_DEP_4)
	v_fma_f64 v[45:46], v[41:42], v[47:48], s[54:55]
	v_ldexp_f64 v[47:48], v[37:38], 1
	v_add_f64 v[37:38], v[37:38], -v[43:44]
	v_mul_f64 v[39:40], v[49:50], v[39:40]
	v_cvt_f64_i32_e32 v[49:50], v13
	v_ashrrev_i32_e32 v13, 31, v2
	v_fma_f64 v[45:46], v[41:42], v[45:46], s[56:57]
	v_add_f64 v[31:32], v[31:32], -v[37:38]
	v_add_f64 v[43:44], v[47:48], v[39:40]
	v_mul_f64 v[51:52], v[49:50], s[38:39]
	s_delay_alu instid0(VALU_DEP_4) | instskip(NEXT) | instid1(VALU_DEP_4)
	v_fma_f64 v[45:46], v[41:42], v[45:46], s[58:59]
	v_ldexp_f64 v[31:32], v[31:32], 1
	s_delay_alu instid0(VALU_DEP_4) | instskip(NEXT) | instid1(VALU_DEP_4)
	v_add_f64 v[37:38], v[43:44], -v[47:48]
	v_fma_f64 v[47:48], v[49:50], s[38:39], -v[51:52]
	s_delay_alu instid0(VALU_DEP_4) | instskip(NEXT) | instid1(VALU_DEP_3)
	v_fma_f64 v[45:46], v[41:42], v[45:46], s[60:61]
	v_add_f64 v[37:38], v[39:40], -v[37:38]
	s_delay_alu instid0(VALU_DEP_2) | instskip(NEXT) | instid1(VALU_DEP_4)
	v_fma_f64 v[39:40], v[41:42], v[45:46], s[62:63]
	v_fma_f64 v[45:46], v[49:50], s[40:41], v[47:48]
	s_delay_alu instid0(VALU_DEP_3) | instskip(NEXT) | instid1(VALU_DEP_3)
	v_add_f64 v[31:32], v[31:32], v[37:38]
	v_fma_f64 v[37:38], v[41:42], v[39:40], s[64:65]
	s_delay_alu instid0(VALU_DEP_3) | instskip(NEXT) | instid1(VALU_DEP_3)
	v_add_f64 v[39:40], v[51:52], v[45:46]
	v_add_f64 v[47:48], v[43:44], v[31:32]
	s_delay_alu instid0(VALU_DEP_3) | instskip(NEXT) | instid1(VALU_DEP_3)
	v_fma_f64 v[37:38], v[41:42], v[37:38], s[66:67]
	v_add_f64 v[51:52], v[39:40], -v[51:52]
	s_delay_alu instid0(VALU_DEP_3) | instskip(SKIP_1) | instid1(VALU_DEP_4)
	v_add_f64 v[49:50], v[39:40], v[47:48]
	v_add_f64 v[43:44], v[47:48], -v[43:44]
	v_fma_f64 v[37:38], v[41:42], v[37:38], s[68:69]
	s_delay_alu instid0(VALU_DEP_4) | instskip(NEXT) | instid1(VALU_DEP_4)
	v_add_f64 v[45:46], v[45:46], -v[51:52]
	v_add_f64 v[53:54], v[49:50], -v[39:40]
	s_delay_alu instid0(VALU_DEP_4) | instskip(NEXT) | instid1(VALU_DEP_4)
	v_add_f64 v[31:32], v[31:32], -v[43:44]
	v_fma_f64 v[37:38], v[41:42], v[37:38], s[70:71]
	s_delay_alu instid0(VALU_DEP_3) | instskip(SKIP_1) | instid1(VALU_DEP_4)
	v_add_f64 v[57:58], v[49:50], -v[53:54]
	v_add_f64 v[43:44], v[47:48], -v[53:54]
	v_add_f64 v[47:48], v[45:46], v[31:32]
	s_delay_alu instid0(VALU_DEP_4) | instskip(NEXT) | instid1(VALU_DEP_4)
	v_fma_f64 v[37:38], v[41:42], v[37:38], s[72:73]
	v_add_f64 v[39:40], v[39:40], -v[57:58]
	s_delay_alu instid0(VALU_DEP_2) | instskip(NEXT) | instid1(VALU_DEP_2)
	v_fma_f64 v[37:38], v[41:42], v[37:38], s[74:75]
	v_add_f64 v[39:40], v[43:44], v[39:40]
	v_add_f64 v[43:44], v[47:48], -v[45:46]
	s_delay_alu instid0(VALU_DEP_3) | instskip(NEXT) | instid1(VALU_DEP_3)
	v_fma_f64 v[37:38], v[41:42], v[37:38], s[76:77]
	v_add_f64 v[39:40], v[47:48], v[39:40]
	s_delay_alu instid0(VALU_DEP_3) | instskip(SKIP_1) | instid1(VALU_DEP_4)
	v_add_f64 v[47:48], v[47:48], -v[43:44]
	v_add_f64 v[31:32], v[31:32], -v[43:44]
	v_fma_f64 v[37:38], v[41:42], v[37:38], s[78:79]
	s_delay_alu instid0(VALU_DEP_4) | instskip(NEXT) | instid1(VALU_DEP_4)
	v_add_f64 v[51:52], v[49:50], v[39:40]
	v_add_f64 v[43:44], v[45:46], -v[47:48]
	s_delay_alu instid0(VALU_DEP_3) | instskip(NEXT) | instid1(VALU_DEP_3)
	v_fma_f64 v[37:38], v[41:42], v[37:38], s[80:81]
	v_add_f64 v[45:46], v[51:52], -v[49:50]
	s_delay_alu instid0(VALU_DEP_3) | instskip(NEXT) | instid1(VALU_DEP_3)
	v_add_f64 v[31:32], v[31:32], v[43:44]
	v_mul_f64 v[37:38], v[41:42], v[37:38]
	s_delay_alu instid0(VALU_DEP_3) | instskip(NEXT) | instid1(VALU_DEP_2)
	v_add_f64 v[39:40], v[39:40], -v[45:46]
	v_fma_f64 v[35:36], v[35:36], v[37:38], v[35:36]
	s_delay_alu instid0(VALU_DEP_2) | instskip(NEXT) | instid1(VALU_DEP_2)
	v_add_f64 v[31:32], v[31:32], v[39:40]
	v_add_f64 v[37:38], -v[35:36], s[82:83]
	s_delay_alu instid0(VALU_DEP_2) | instskip(SKIP_1) | instid1(VALU_DEP_1)
	v_add_f64 v[31:32], v[51:52], v[31:32]
	v_and_b32_e32 v34, 0x7fffffff, v34
	v_cmp_eq_f64_e32 vcc_lo, 0x7ff00000, v[33:34]
	s_delay_alu instid0(VALU_DEP_4) | instskip(SKIP_2) | instid1(VALU_DEP_2)
	v_cndmask_b32_e64 v34, v36, v38, s2
	v_cndmask_b32_e64 v33, v35, v37, s2
	v_cmp_eq_f64_e64 s2, 0, v[3:4]
	v_add_f64 v[35:36], -v[33:34], s[12:13]
	s_and_b32 vcc_lo, s3, vcc_lo
	v_cmp_class_f64_e64 s3, v[3:4], 0x204
	v_cndmask_b32_e32 v31, v31, v7, vcc_lo
	v_dual_cndmask_b32 v32, v32, v11 :: v_dual_and_b32 v11, 0x54442d18, v13
	v_cmp_gt_i32_e32 vcc_lo, 0, v2
	s_delay_alu instid0(VALU_DEP_2)
	v_add_f64 v[31:32], v[31:32], 1.0
	v_cndmask_b32_e32 v7, 0x54442d18, v55, vcc_lo
	v_cndmask_b32_e32 v18, v33, v35, vcc_lo
	v_dual_cndmask_b32 v13, v34, v36 :: v_dual_and_b32 v2, 0x400921fb, v13
	v_cndmask_b32_e32 v1, 0x3fe921fb, v56, vcc_lo
	v_cmp_ngt_f64_e32 vcc_lo, 0, v[14:15]
	s_delay_alu instid0(VALU_DEP_4) | instskip(NEXT) | instid1(VALU_DEP_4)
	v_cndmask_b32_e64 v11, v18, v11, s2
	v_cndmask_b32_e64 v2, v13, v2, s2
	v_cmp_nge_f64_e64 s2, 0, v[14:15]
	v_bfi_b32 v1, 0x7fffffff, v1, v4
	v_cndmask_b32_e64 v13, v31, 0, s6
	v_cndmask_b32_e64 v32, v32, 0x7ff00000, s6
	s_delay_alu instid0(VALU_DEP_1)
	v_cndmask_b32_e32 v18, 0x7ff80000, v32, vcc_lo
	s_and_b32 vcc_lo, s4, s3
	v_cndmask_b32_e32 v31, v11, v7, vcc_lo
	v_cndmask_b32_e64 v13, 0, v13, s2
	v_cmp_neq_f64_e64 s2, 0, v[14:15]
	v_cndmask_b32_e32 v32, v2, v1, vcc_lo
	s_delay_alu instid0(VALU_DEP_2)
	v_cndmask_b32_e64 v14, 0xfff00000, v18, s2
.LBB180_134:                            ;   in Loop: Header=BB180_5 Depth=1
	s_or_b32 exec_lo, exec_lo, s5
.LBB180_135:                            ;   in Loop: Header=BB180_5 Depth=1
	s_and_not1_saveexec_b32 s2, s97
	s_cbranch_execz .LBB180_4
; %bb.136:                              ;   in Loop: Header=BB180_5 Depth=1
	v_cmp_ngt_f64_e64 s3, 0x20000000, |v[1:2]|
	v_cmp_ngt_f64_e64 s4, 0x20000000, |v[3:4]|
                                        ; implicit-def: $vgpr14_vgpr15
	s_delay_alu instid0(VALU_DEP_1) | instskip(NEXT) | instid1(SALU_CYCLE_1)
	s_or_b32 s3, s3, s4
	s_and_saveexec_b32 s4, s3
	s_delay_alu instid0(SALU_CYCLE_1)
	s_xor_b32 s3, exec_lo, s4
; %bb.137:                              ;   in Loop: Header=BB180_5 Depth=1
	v_mul_f64 v[13:14], v[3:4], v[3:4]
	s_delay_alu instid0(VALU_DEP_1)
	v_fma_f64 v[14:15], v[1:2], v[1:2], v[13:14]
; %bb.138:                              ;   in Loop: Header=BB180_5 Depth=1
	s_and_not1_saveexec_b32 s3, s3
	s_cbranch_execz .LBB180_3
; %bb.139:                              ;   in Loop: Header=BB180_5 Depth=1
	v_mul_f64 v[13:14], v[3:4], 4.0
	v_mul_f64 v[1:2], v[1:2], 4.0
	s_delay_alu instid0(VALU_DEP_2) | instskip(NEXT) | instid1(VALU_DEP_1)
	v_mul_f64 v[13:14], v[13:14], v[13:14]
	v_fma_f64 v[1:2], v[1:2], v[1:2], v[13:14]
	s_delay_alu instid0(VALU_DEP_1)
	v_ldexp_f64 v[14:15], v[1:2], -4
	s_branch .LBB180_3
.LBB180_140:
	s_or_b32 exec_lo, exec_lo, s94
	s_mov_b32 s2, 0
.LBB180_141:
	s_delay_alu instid0(SALU_CYCLE_1)
	s_and_not1_b32 vcc_lo, exec_lo, s2
	s_cbranch_vccnz .LBB180_297
; %bb.142:
	v_cmp_lt_i64_e64 s2, s[16:17], 1
	s_delay_alu instid0(VALU_DEP_1)
	s_and_b32 vcc_lo, exec_lo, s2
	s_cbranch_vccnz .LBB180_297
; %bb.143:
	s_load_b32 s0, s[0:1], 0xc5c
	v_cmp_gt_u64_e64 s1, 0x10000, s[16:17]
	v_dual_mov_b32 v17, 0 :: v_dual_mov_b32 v60, 0x4002d97c
	v_mov_b32_e32 v59, 0x7f3321d2
	s_mov_b32 s18, 0x85ebc8a0
	s_mov_b32 s12, 0x4ad4b81f
	;; [unrolled: 1-line block ×15, first 2 shown]
	s_waitcnt lgkmcnt(0)
	s_and_b32 s103, s0, 0xffff
	s_and_b32 s0, s1, exec_lo
	s_mov_b32 s54, 0xa595c56f
	s_mov_b32 s56, 0xa57d9582
	;; [unrolled: 1-line block ×24, first 2 shown]
	s_cselect_b32 s31, s17, 0
	s_cselect_b32 s30, s16, 0x10000
	s_lshl_b32 s104, s103, 1
	s_mul_i32 vcc_hi, s103, 3
	s_lshl_b32 s88, s103, 2
	s_mov_b32 s35, 0x3fc7474d
	s_mov_b32 s37, 0x3fcc71c0
	;; [unrolled: 1-line block ×29, first 2 shown]
	s_mov_b64 s[96:97], 0
	s_mov_b32 s98, 0x55555780
	s_mov_b32 s15, 0x400921fb
	s_branch .LBB180_145
.LBB180_144:                            ;   in Loop: Header=BB180_145 Depth=1
	s_or_b32 exec_lo, exec_lo, s1
	s_add_u32 s96, s96, s88
	s_addc_u32 s97, s97, 0
	s_delay_alu instid0(SALU_CYCLE_1) | instskip(SKIP_1) | instid1(VALU_DEP_1)
	v_cmp_ge_i64_e64 s0, s[96:97], s[16:17]
	v_cmp_lt_u64_e64 s1, 0xffff, s[96:97]
	s_or_b32 s0, s0, s1
	s_delay_alu instid0(SALU_CYCLE_1)
	s_and_b32 vcc_lo, exec_lo, s0
	s_cbranch_vccnz .LBB180_297
.LBB180_145:                            ; =>This Loop Header: Depth=1
                                        ;     Child Loop BB180_164 Depth 2
                                        ;     Child Loop BB180_198 Depth 2
	;; [unrolled: 1-line block ×4, first 2 shown]
	v_add_co_u32 v25, s0, s96, v0
	s_delay_alu instid0(VALU_DEP_1) | instskip(SKIP_2) | instid1(VALU_DEP_3)
	v_add_co_ci_u32_e64 v26, null, s97, 0, s0
	v_mov_b32_e32 v7, 0
	v_mov_b32_e32 v8, 0
	v_cmp_gt_u64_e64 s3, s[30:31], v[25:26]
	s_delay_alu instid0(VALU_DEP_2) | instskip(SKIP_1) | instid1(VALU_DEP_3)
	v_dual_mov_b32 v16, v8 :: v_dual_mov_b32 v15, v7
	v_dual_mov_b32 v14, v8 :: v_dual_mov_b32 v13, v7
	s_and_saveexec_b32 s0, s3
	s_cbranch_execz .LBB180_147
; %bb.146:                              ;   in Loop: Header=BB180_145 Depth=1
	v_lshlrev_b64 v[1:2], 4, v[25:26]
	s_delay_alu instid0(VALU_DEP_1) | instskip(NEXT) | instid1(VALU_DEP_2)
	v_add_co_u32 v1, vcc_lo, s33, v1
	v_add_co_ci_u32_e32 v2, vcc_lo, s100, v2, vcc_lo
	global_load_b128 v[13:16], v[1:2], off
.LBB180_147:                            ;   in Loop: Header=BB180_145 Depth=1
	s_or_b32 exec_lo, exec_lo, s0
	v_add_co_u32 v23, vcc_lo, v25, s103
	v_add_co_ci_u32_e32 v24, vcc_lo, 0, v26, vcc_lo
	v_dual_mov_b32 v5, v7 :: v_dual_mov_b32 v6, v8
	s_delay_alu instid0(VALU_DEP_2) | instskip(NEXT) | instid1(VALU_DEP_1)
	v_cmp_gt_u64_e64 s2, s[30:31], v[23:24]
	s_and_saveexec_b32 s0, s2
	s_cbranch_execz .LBB180_149
; %bb.148:                              ;   in Loop: Header=BB180_145 Depth=1
	v_lshlrev_b64 v[1:2], 4, v[23:24]
	s_delay_alu instid0(VALU_DEP_1) | instskip(NEXT) | instid1(VALU_DEP_2)
	v_add_co_u32 v1, vcc_lo, s33, v1
	v_add_co_ci_u32_e32 v2, vcc_lo, s100, v2, vcc_lo
	global_load_b128 v[5:8], v[1:2], off
.LBB180_149:                            ;   in Loop: Header=BB180_145 Depth=1
	s_or_b32 exec_lo, exec_lo, s0
	v_add_co_u32 v21, vcc_lo, v25, s104
	v_add_co_ci_u32_e32 v22, vcc_lo, 0, v26, vcc_lo
	v_mov_b32_e32 v3, 0
	v_mov_b32_e32 v4, 0
	s_delay_alu instid0(VALU_DEP_3) | instskip(NEXT) | instid1(VALU_DEP_2)
	v_cmp_gt_u64_e64 s1, s[30:31], v[21:22]
	v_dual_mov_b32 v12, v4 :: v_dual_mov_b32 v11, v3
	v_dual_mov_b32 v10, v4 :: v_dual_mov_b32 v9, v3
	s_delay_alu instid0(VALU_DEP_3)
	s_and_saveexec_b32 s0, s1
	s_cbranch_execz .LBB180_151
; %bb.150:                              ;   in Loop: Header=BB180_145 Depth=1
	v_lshlrev_b64 v[1:2], 4, v[21:22]
	s_delay_alu instid0(VALU_DEP_1) | instskip(NEXT) | instid1(VALU_DEP_2)
	v_add_co_u32 v1, vcc_lo, s33, v1
	v_add_co_ci_u32_e32 v2, vcc_lo, s100, v2, vcc_lo
	global_load_b128 v[9:12], v[1:2], off
.LBB180_151:                            ;   in Loop: Header=BB180_145 Depth=1
	s_or_b32 exec_lo, exec_lo, s0
	v_add_co_u32 v19, vcc_lo, v25, vcc_hi
	v_add_co_ci_u32_e32 v20, vcc_lo, 0, v26, vcc_lo
	v_dual_mov_b32 v1, v3 :: v_dual_mov_b32 v2, v4
	s_delay_alu instid0(VALU_DEP_2) | instskip(NEXT) | instid1(VALU_DEP_1)
	v_cmp_gt_u64_e64 s0, s[30:31], v[19:20]
	s_and_saveexec_b32 s4, s0
	s_cbranch_execz .LBB180_153
; %bb.152:                              ;   in Loop: Header=BB180_145 Depth=1
	v_lshlrev_b64 v[1:2], 4, v[19:20]
	s_delay_alu instid0(VALU_DEP_1) | instskip(NEXT) | instid1(VALU_DEP_2)
	v_add_co_u32 v1, vcc_lo, s33, v1
	v_add_co_ci_u32_e32 v2, vcc_lo, s100, v2, vcc_lo
	global_load_b128 v[1:4], v[1:2], off
.LBB180_153:                            ;   in Loop: Header=BB180_145 Depth=1
	s_or_b32 exec_lo, exec_lo, s4
                                        ; implicit-def: $vgpr27_vgpr28
                                        ; implicit-def: $vgpr29_vgpr30
	s_delay_alu instid0(SALU_CYCLE_1)
	s_mov_b32 s4, exec_lo
	s_waitcnt vmcnt(0)
	v_cmpx_o_f64_e32 v[13:14], v[15:16]
	s_xor_b32 s89, exec_lo, s4
	s_cbranch_execz .LBB180_181
; %bb.154:                              ;   in Loop: Header=BB180_145 Depth=1
	v_cmp_lt_f64_e64 s4, |v[13:14]|, |v[15:16]|
	v_and_b32_e32 v18, 0x7fffffff, v14
	v_dual_mov_b32 v32, v15 :: v_dual_and_b32 v31, 0x7fffffff, v16
                                        ; implicit-def: $vgpr27_vgpr28
                                        ; implicit-def: $vgpr29_vgpr30
	s_mov_b32 s5, exec_lo
	s_delay_alu instid0(VALU_DEP_1) | instskip(NEXT) | instid1(VALU_DEP_2)
	v_cndmask_b32_e64 v34, v31, v18, s4
	v_cndmask_b32_e64 v33, v32, v13, s4
	s_delay_alu instid0(VALU_DEP_1)
	v_cmpx_nlt_f64_e32 s[18:19], v[33:34]
	s_xor_b32 s20, exec_lo, s5
	s_cbranch_execz .LBB180_178
; %bb.155:                              ;   in Loop: Header=BB180_145 Depth=1
	v_cndmask_b32_e64 v36, v18, v31, s4
	v_cndmask_b32_e64 v35, v13, v32, s4
                                        ; implicit-def: $vgpr27_vgpr28
                                        ; implicit-def: $vgpr29_vgpr30
	s_mov_b32 s5, exec_lo
	s_delay_alu instid0(VALU_DEP_1)
	v_cmpx_neq_f64_e32 1.0, v[35:36]
	s_xor_b32 s21, exec_lo, s5
	s_cbranch_execz .LBB180_171
; %bb.156:                              ;   in Loop: Header=BB180_145 Depth=1
	v_max_f64 v[27:28], v[33:34], v[33:34]
	v_max_f64 v[29:30], v[35:36], v[35:36]
	s_mov_b32 s6, 0xc57e649a
	s_mov_b32 s7, 0x4a511b0e
	s_delay_alu instid0(VALU_DEP_1) | instskip(SKIP_1) | instid1(VALU_DEP_2)
	v_min_f64 v[31:32], v[29:30], v[27:28]
	v_max_f64 v[27:28], v[29:30], v[27:28]
                                        ; implicit-def: $vgpr29_vgpr30
	v_cmp_ngt_f64_e32 vcc_lo, s[12:13], v[31:32]
	s_delay_alu instid0(VALU_DEP_2) | instskip(NEXT) | instid1(VALU_DEP_1)
	v_cmp_nlt_f64_e64 s5, s[6:7], v[27:28]
                                        ; implicit-def: $vgpr27_vgpr28
	s_and_b32 s5, s5, vcc_lo
	s_delay_alu instid0(SALU_CYCLE_1) | instskip(NEXT) | instid1(SALU_CYCLE_1)
	s_and_saveexec_b32 s6, s5
	s_xor_b32 s22, exec_lo, s6
	s_cbranch_execz .LBB180_168
; %bb.157:                              ;   in Loop: Header=BB180_145 Depth=1
                                        ; implicit-def: $vgpr27_vgpr28
                                        ; implicit-def: $vgpr29_vgpr30
	s_mov_b32 s5, exec_lo
	v_cmpx_le_f64_e32 1.0, v[35:36]
	s_xor_b32 s6, exec_lo, s5
	s_cbranch_execz .LBB180_159
; %bb.158:                              ;   in Loop: Header=BB180_145 Depth=1
	v_add_f64 v[27:28], v[35:36], -1.0
	v_add_f64 v[29:30], v[35:36], 1.0
	s_mov_b32 s99, s25
	s_mov_b32 s14, s86
	v_cmp_gt_i32_e64 s5, 0, v14
	v_cmp_class_f64_e64 s8, v[13:14], 0x204
	v_cmp_class_f64_e64 s7, v[15:16], 0x204
	s_delay_alu instid0(VALU_DEP_4) | instskip(NEXT) | instid1(VALU_DEP_1)
	v_mul_f64 v[27:28], v[27:28], v[29:30]
	v_fma_f64 v[28:29], v[33:34], v[33:34], v[27:28]
	s_delay_alu instid0(VALU_DEP_1) | instskip(NEXT) | instid1(VALU_DEP_1)
	v_add_f64 v[30:31], v[28:29], 1.0
	v_frexp_mant_f64_e32 v[32:33], v[30:31]
	v_frexp_exp_i32_f64_e32 v18, v[30:31]
	v_add_f64 v[34:35], v[30:31], -1.0
	s_delay_alu instid0(VALU_DEP_3) | instskip(NEXT) | instid1(VALU_DEP_2)
	v_cmp_gt_f64_e32 vcc_lo, s[24:25], v[32:33]
	v_add_f64 v[32:33], v[34:35], -v[30:31]
	v_add_f64 v[34:35], v[28:29], -v[34:35]
	v_subrev_co_ci_u32_e32 v18, vcc_lo, 0, v18, vcc_lo
	s_delay_alu instid0(VALU_DEP_3) | instskip(NEXT) | instid1(VALU_DEP_2)
	v_add_f64 v[32:33], v[32:33], 1.0
	v_sub_nc_u32_e32 v27, 0, v18
	s_delay_alu instid0(VALU_DEP_1) | instskip(NEXT) | instid1(VALU_DEP_3)
	v_ldexp_f64 v[30:31], v[30:31], v27
	v_add_f64 v[32:33], v[34:35], v[32:33]
	s_delay_alu instid0(VALU_DEP_2) | instskip(SKIP_1) | instid1(VALU_DEP_3)
	v_add_f64 v[36:37], v[30:31], 1.0
	v_add_f64 v[42:43], v[30:31], -1.0
	v_ldexp_f64 v[32:33], v[32:33], v27
	s_delay_alu instid0(VALU_DEP_3) | instskip(NEXT) | instid1(VALU_DEP_3)
	v_add_f64 v[34:35], v[36:37], -1.0
	v_add_f64 v[44:45], v[42:43], 1.0
	s_delay_alu instid0(VALU_DEP_2) | instskip(NEXT) | instid1(VALU_DEP_2)
	v_add_f64 v[34:35], v[30:31], -v[34:35]
	v_add_f64 v[30:31], v[30:31], -v[44:45]
	s_delay_alu instid0(VALU_DEP_2) | instskip(NEXT) | instid1(VALU_DEP_2)
	v_add_f64 v[34:35], v[32:33], v[34:35]
	v_add_f64 v[30:31], v[32:33], v[30:31]
	s_delay_alu instid0(VALU_DEP_2) | instskip(NEXT) | instid1(VALU_DEP_2)
	v_add_f64 v[38:39], v[36:37], v[34:35]
	v_add_f64 v[44:45], v[42:43], v[30:31]
	s_delay_alu instid0(VALU_DEP_2) | instskip(SKIP_1) | instid1(VALU_DEP_2)
	v_rcp_f64_e32 v[40:41], v[38:39]
	v_add_f64 v[36:37], v[38:39], -v[36:37]
	v_add_f64 v[42:43], v[44:45], -v[42:43]
	s_delay_alu instid0(VALU_DEP_2) | instskip(SKIP_3) | instid1(VALU_DEP_2)
	v_add_f64 v[34:35], v[34:35], -v[36:37]
	s_waitcnt_depctr 0xfff
	v_fma_f64 v[46:47], -v[38:39], v[40:41], 1.0
	v_add_f64 v[30:31], v[30:31], -v[42:43]
	v_fma_f64 v[40:41], v[46:47], v[40:41], v[40:41]
	s_delay_alu instid0(VALU_DEP_1) | instskip(NEXT) | instid1(VALU_DEP_1)
	v_fma_f64 v[32:33], -v[38:39], v[40:41], 1.0
	v_fma_f64 v[32:33], v[32:33], v[40:41], v[40:41]
	s_delay_alu instid0(VALU_DEP_1) | instskip(NEXT) | instid1(VALU_DEP_1)
	v_mul_f64 v[40:41], v[44:45], v[32:33]
	v_mul_f64 v[46:47], v[38:39], v[40:41]
	s_delay_alu instid0(VALU_DEP_1) | instskip(NEXT) | instid1(VALU_DEP_1)
	v_fma_f64 v[36:37], v[40:41], v[38:39], -v[46:47]
	v_fma_f64 v[36:37], v[40:41], v[34:35], v[36:37]
	s_delay_alu instid0(VALU_DEP_1) | instskip(NEXT) | instid1(VALU_DEP_1)
	v_add_f64 v[48:49], v[46:47], v[36:37]
	v_add_f64 v[50:51], v[44:45], -v[48:49]
	v_add_f64 v[42:43], v[48:49], -v[46:47]
	v_max_f64 v[46:47], |v[15:16]|, |v[15:16]|
	s_delay_alu instid0(VALU_DEP_3) | instskip(NEXT) | instid1(VALU_DEP_3)
	v_add_f64 v[44:45], v[44:45], -v[50:51]
	v_add_f64 v[36:37], v[42:43], -v[36:37]
	s_delay_alu instid0(VALU_DEP_2) | instskip(SKIP_2) | instid1(VALU_DEP_1)
	v_add_f64 v[44:45], v[44:45], -v[48:49]
	v_max_f64 v[48:49], |v[13:14]|, |v[13:14]|
	v_cndmask_b32_e64 v13, 0x3fe921fb, v60, s5
	v_bfi_b32 v13, 0x7fffffff, v13, v16
	s_delay_alu instid0(VALU_DEP_4) | instskip(NEXT) | instid1(VALU_DEP_4)
	v_add_f64 v[30:31], v[30:31], v[44:45]
	v_max_f64 v[52:53], v[48:49], v[46:47]
	v_min_f64 v[46:47], v[48:49], v[46:47]
	s_delay_alu instid0(VALU_DEP_3) | instskip(NEXT) | instid1(VALU_DEP_1)
	v_add_f64 v[30:31], v[36:37], v[30:31]
	v_add_f64 v[36:37], v[50:51], v[30:31]
	s_delay_alu instid0(VALU_DEP_1) | instskip(SKIP_1) | instid1(VALU_DEP_2)
	v_mul_f64 v[42:43], v[32:33], v[36:37]
	v_add_f64 v[50:51], v[50:51], -v[36:37]
	v_mul_f64 v[44:45], v[38:39], v[42:43]
	s_delay_alu instid0(VALU_DEP_2) | instskip(NEXT) | instid1(VALU_DEP_2)
	v_add_f64 v[30:31], v[30:31], v[50:51]
	v_fma_f64 v[38:39], v[42:43], v[38:39], -v[44:45]
	s_delay_alu instid0(VALU_DEP_1) | instskip(SKIP_1) | instid1(VALU_DEP_2)
	v_fma_f64 v[34:35], v[42:43], v[34:35], v[38:39]
	v_div_scale_f64 v[38:39], null, v[52:53], v[52:53], v[46:47]
	v_add_f64 v[48:49], v[44:45], v[34:35]
	s_delay_alu instid0(VALU_DEP_2) | instskip(NEXT) | instid1(VALU_DEP_1)
	v_rcp_f64_e32 v[54:55], v[38:39]
	v_add_f64 v[56:57], v[36:37], -v[48:49]
	v_add_f64 v[44:45], v[48:49], -v[44:45]
	s_waitcnt_depctr 0xfff
	v_fma_f64 v[61:62], -v[38:39], v[54:55], 1.0
	v_add_f64 v[36:37], v[36:37], -v[56:57]
	v_add_f64 v[34:35], v[44:45], -v[34:35]
	s_delay_alu instid0(VALU_DEP_3) | instskip(NEXT) | instid1(VALU_DEP_3)
	v_fma_f64 v[54:55], v[54:55], v[61:62], v[54:55]
	v_add_f64 v[36:37], v[36:37], -v[48:49]
	s_delay_alu instid0(VALU_DEP_2) | instskip(NEXT) | instid1(VALU_DEP_2)
	v_fma_f64 v[48:49], -v[38:39], v[54:55], 1.0
	v_add_f64 v[30:31], v[30:31], v[36:37]
	v_div_scale_f64 v[36:37], vcc_lo, v[46:47], v[52:53], v[46:47]
	s_delay_alu instid0(VALU_DEP_3) | instskip(SKIP_1) | instid1(VALU_DEP_4)
	v_fma_f64 v[44:45], v[54:55], v[48:49], v[54:55]
	v_add_f64 v[48:49], v[40:41], v[42:43]
	v_add_f64 v[30:31], v[34:35], v[30:31]
	s_delay_alu instid0(VALU_DEP_3) | instskip(NEXT) | instid1(VALU_DEP_3)
	v_mul_f64 v[34:35], v[36:37], v[44:45]
	v_add_f64 v[40:41], v[48:49], -v[40:41]
	s_delay_alu instid0(VALU_DEP_3) | instskip(NEXT) | instid1(VALU_DEP_3)
	v_add_f64 v[30:31], v[56:57], v[30:31]
	v_fma_f64 v[36:37], -v[38:39], v[34:35], v[36:37]
	s_delay_alu instid0(VALU_DEP_3) | instskip(NEXT) | instid1(VALU_DEP_3)
	v_add_f64 v[38:39], v[42:43], -v[40:41]
	v_mul_f64 v[30:31], v[32:33], v[30:31]
	s_delay_alu instid0(VALU_DEP_3) | instskip(SKIP_1) | instid1(VALU_DEP_3)
	v_div_fmas_f64 v[32:33], v[36:37], v[44:45], v[34:35]
	v_cmp_eq_f64_e32 vcc_lo, 0x7ff00000, v[28:29]
	v_add_f64 v[30:31], v[38:39], v[30:31]
	s_delay_alu instid0(VALU_DEP_3) | instskip(NEXT) | instid1(VALU_DEP_2)
	v_div_fixup_f64 v[32:33], v[32:33], v[52:53], v[46:47]
	v_add_f64 v[34:35], v[48:49], v[30:31]
	s_delay_alu instid0(VALU_DEP_2) | instskip(NEXT) | instid1(VALU_DEP_2)
	v_mul_f64 v[36:37], v[32:33], v[32:33]
	v_mul_f64 v[38:39], v[34:35], v[34:35]
	s_delay_alu instid0(VALU_DEP_2) | instskip(NEXT) | instid1(VALU_DEP_2)
	v_fma_f64 v[40:41], v[36:37], s[48:49], s[46:47]
	v_fma_f64 v[42:43], v[38:39], s[28:29], s[26:27]
	v_mul_f64 v[44:45], v[34:35], v[38:39]
	s_delay_alu instid0(VALU_DEP_3) | instskip(NEXT) | instid1(VALU_DEP_3)
	v_fma_f64 v[40:41], v[36:37], v[40:41], s[50:51]
	v_fma_f64 v[42:43], v[38:39], v[42:43], s[34:35]
	s_delay_alu instid0(VALU_DEP_2) | instskip(NEXT) | instid1(VALU_DEP_2)
	v_fma_f64 v[40:41], v[36:37], v[40:41], s[52:53]
	v_fma_f64 v[42:43], v[38:39], v[42:43], s[36:37]
	s_delay_alu instid0(VALU_DEP_2) | instskip(NEXT) | instid1(VALU_DEP_2)
	;; [unrolled: 3-line block ×4, first 2 shown]
	v_fma_f64 v[40:41], v[36:37], v[40:41], s[58:59]
	v_fma_f64 v[38:39], v[38:39], v[42:43], s[98:99]
	v_ldexp_f64 v[42:43], v[34:35], 1
	v_add_f64 v[34:35], v[34:35], -v[48:49]
	s_delay_alu instid0(VALU_DEP_4) | instskip(NEXT) | instid1(VALU_DEP_4)
	v_fma_f64 v[40:41], v[36:37], v[40:41], s[60:61]
	v_mul_f64 v[38:39], v[44:45], v[38:39]
	v_cvt_f64_i32_e32 v[44:45], v18
	s_delay_alu instid0(VALU_DEP_4) | instskip(NEXT) | instid1(VALU_DEP_4)
	v_add_f64 v[30:31], v[30:31], -v[34:35]
	v_fma_f64 v[40:41], v[36:37], v[40:41], s[62:63]
	v_ashrrev_i32_e32 v18, 31, v14
	s_delay_alu instid0(VALU_DEP_1) | instskip(SKIP_4) | instid1(VALU_DEP_4)
	v_and_b32_e32 v14, 0x400921fb, v18
	v_add_f64 v[46:47], v[42:43], v[38:39]
	v_mul_f64 v[48:49], v[44:45], s[42:43]
	v_ldexp_f64 v[30:31], v[30:31], 1
	v_fma_f64 v[40:41], v[36:37], v[40:41], s[64:65]
	v_add_f64 v[34:35], v[46:47], -v[42:43]
	s_delay_alu instid0(VALU_DEP_4) | instskip(NEXT) | instid1(VALU_DEP_3)
	v_fma_f64 v[42:43], v[44:45], s[42:43], -v[48:49]
	v_fma_f64 v[40:41], v[36:37], v[40:41], s[66:67]
	s_delay_alu instid0(VALU_DEP_3) | instskip(NEXT) | instid1(VALU_DEP_2)
	v_add_f64 v[34:35], v[38:39], -v[34:35]
	v_fma_f64 v[38:39], v[36:37], v[40:41], s[68:69]
	s_delay_alu instid0(VALU_DEP_4) | instskip(NEXT) | instid1(VALU_DEP_3)
	v_fma_f64 v[40:41], v[44:45], s[44:45], v[42:43]
	v_add_f64 v[30:31], v[30:31], v[34:35]
	s_delay_alu instid0(VALU_DEP_3) | instskip(NEXT) | instid1(VALU_DEP_3)
	v_fma_f64 v[34:35], v[36:37], v[38:39], s[70:71]
	v_add_f64 v[38:39], v[48:49], v[40:41]
	s_delay_alu instid0(VALU_DEP_3) | instskip(NEXT) | instid1(VALU_DEP_3)
	v_add_f64 v[42:43], v[46:47], v[30:31]
	v_fma_f64 v[34:35], v[36:37], v[34:35], s[72:73]
	s_delay_alu instid0(VALU_DEP_3) | instskip(NEXT) | instid1(VALU_DEP_3)
	v_add_f64 v[48:49], v[38:39], -v[48:49]
	v_add_f64 v[44:45], v[38:39], v[42:43]
	v_add_f64 v[46:47], v[42:43], -v[46:47]
	s_delay_alu instid0(VALU_DEP_4) | instskip(NEXT) | instid1(VALU_DEP_4)
	v_fma_f64 v[34:35], v[36:37], v[34:35], s[74:75]
	v_add_f64 v[40:41], v[40:41], -v[48:49]
	s_delay_alu instid0(VALU_DEP_4) | instskip(NEXT) | instid1(VALU_DEP_4)
	v_add_f64 v[50:51], v[44:45], -v[38:39]
	v_add_f64 v[30:31], v[30:31], -v[46:47]
	s_delay_alu instid0(VALU_DEP_4) | instskip(NEXT) | instid1(VALU_DEP_3)
	v_fma_f64 v[34:35], v[36:37], v[34:35], s[76:77]
	v_add_f64 v[52:53], v[44:45], -v[50:51]
	v_add_f64 v[42:43], v[42:43], -v[50:51]
	s_delay_alu instid0(VALU_DEP_4) | instskip(NEXT) | instid1(VALU_DEP_4)
	v_add_f64 v[46:47], v[40:41], v[30:31]
	v_fma_f64 v[34:35], v[36:37], v[34:35], s[78:79]
	s_delay_alu instid0(VALU_DEP_4) | instskip(NEXT) | instid1(VALU_DEP_2)
	v_add_f64 v[38:39], v[38:39], -v[52:53]
	v_fma_f64 v[34:35], v[36:37], v[34:35], s[80:81]
	s_delay_alu instid0(VALU_DEP_2) | instskip(SKIP_1) | instid1(VALU_DEP_3)
	v_add_f64 v[38:39], v[42:43], v[38:39]
	v_add_f64 v[42:43], v[46:47], -v[40:41]
	v_fma_f64 v[34:35], v[36:37], v[34:35], s[82:83]
	s_delay_alu instid0(VALU_DEP_3) | instskip(NEXT) | instid1(VALU_DEP_3)
	v_add_f64 v[38:39], v[46:47], v[38:39]
	v_add_f64 v[46:47], v[46:47], -v[42:43]
	v_add_f64 v[30:31], v[30:31], -v[42:43]
	s_delay_alu instid0(VALU_DEP_4) | instskip(NEXT) | instid1(VALU_DEP_4)
	v_fma_f64 v[34:35], v[36:37], v[34:35], s[84:85]
	v_add_f64 v[48:49], v[44:45], v[38:39]
	s_delay_alu instid0(VALU_DEP_2) | instskip(SKIP_1) | instid1(VALU_DEP_3)
	v_mul_f64 v[34:35], v[36:37], v[34:35]
	v_add_f64 v[36:37], v[40:41], -v[46:47]
	v_add_f64 v[40:41], v[48:49], -v[44:45]
	s_delay_alu instid0(VALU_DEP_3) | instskip(NEXT) | instid1(VALU_DEP_3)
	v_fma_f64 v[32:33], v[32:33], v[34:35], v[32:33]
	v_add_f64 v[30:31], v[30:31], v[36:37]
	s_delay_alu instid0(VALU_DEP_3) | instskip(NEXT) | instid1(VALU_DEP_3)
	v_add_f64 v[34:35], v[38:39], -v[40:41]
	v_add_f64 v[36:37], -v[32:33], s[86:87]
	s_delay_alu instid0(VALU_DEP_2) | instskip(NEXT) | instid1(VALU_DEP_2)
	v_add_f64 v[30:31], v[30:31], v[34:35]
	v_cndmask_b32_e64 v33, v33, v37, s4
	s_delay_alu instid0(VALU_DEP_3) | instskip(SKIP_1) | instid1(VALU_DEP_2)
	v_cndmask_b32_e64 v32, v32, v36, s4
	v_cndmask_b32_e64 v36, 0x54442d18, v59, s5
	v_add_f64 v[34:35], -v[32:33], s[14:15]
	v_add_f64 v[30:31], v[48:49], v[30:31]
	v_and_b32_e32 v27, 0x54442d18, v18
	s_delay_alu instid0(VALU_DEP_3) | instskip(NEXT) | instid1(VALU_DEP_4)
	v_cndmask_b32_e64 v34, v32, v34, s5
	v_cndmask_b32_e64 v18, v33, v35, s5
	v_cmp_nge_f64_e64 s5, -1.0, v[28:29]
	v_dual_cndmask_b32 v30, v30, v28 :: v_dual_cndmask_b32 v31, v31, v29
	v_cmp_eq_f64_e32 vcc_lo, 0, v[15:16]
	s_delay_alu instid0(VALU_DEP_2) | instskip(SKIP_3) | instid1(VALU_DEP_4)
	v_mul_f64 v[31:32], v[30:31], 0.5
	v_cndmask_b32_e32 v33, v34, v27, vcc_lo
	v_cndmask_b32_e32 v14, v18, v14, vcc_lo
	v_cmp_ngt_f64_e32 vcc_lo, -1.0, v[28:29]
	v_cndmask_b32_e64 v27, 0, v31, s5
	v_cmp_neq_f64_e64 s5, -1.0, v[28:29]
	v_cndmask_b32_e32 v18, 0x7ff80000, v32, vcc_lo
	s_and_b32 vcc_lo, s7, s8
	v_dual_cndmask_b32 v29, v33, v36 :: v_dual_cndmask_b32 v30, v14, v13
	s_delay_alu instid0(VALU_DEP_2)
	v_cndmask_b32_e64 v28, 0xfff00000, v18, s5
                                        ; implicit-def: $vgpr33_vgpr34
                                        ; implicit-def: $vgpr35_vgpr36
.LBB180_159:                            ;   in Loop: Header=BB180_145 Depth=1
	s_and_not1_saveexec_b32 s23, s6
	s_cbranch_execz .LBB180_167
; %bb.160:                              ;   in Loop: Header=BB180_145 Depth=1
	v_mul_f64 v[27:28], v[33:34], v[33:34]
	s_mov_b32 s6, 0x66666666
	s_mov_b32 s7, 0x3fe66666
                                        ; implicit-def: $vgpr29_vgpr30
	s_mov_b32 s5, exec_lo
	s_delay_alu instid0(VALU_DEP_1) | instskip(NEXT) | instid1(VALU_DEP_1)
	v_fma_f64 v[31:32], v[35:36], v[35:36], v[27:28]
                                        ; implicit-def: $vgpr27_vgpr28
	v_cmpx_ge_f64_e32 s[6:7], v[31:32]
	s_xor_b32 s7, exec_lo, s5
	s_cbranch_execz .LBB180_162
; %bb.161:                              ;   in Loop: Header=BB180_145 Depth=1
	v_frexp_mant_f64_e32 v[27:28], v[31:32]
	v_max_f64 v[39:40], |v[13:14]|, |v[13:14]|
	s_mov_b32 s99, s25
	s_mov_b32 s14, s86
	v_cmp_class_f64_e64 s8, v[15:16], 0x204
	v_cmp_class_f64_e64 s9, v[13:14], 0x204
	v_cmp_neq_f64_e64 s6, 0, v[31:32]
	v_cmp_gt_f64_e64 s5, s[24:25], v[27:28]
	s_delay_alu instid0(VALU_DEP_1) | instskip(NEXT) | instid1(VALU_DEP_1)
	v_cndmask_b32_e64 v18, 0x3ff00000, 2.0, s5
	v_mul_f64 v[27:28], v[27:28], v[17:18]
	v_frexp_exp_i32_f64_e32 v18, v[31:32]
	s_delay_alu instid0(VALU_DEP_2) | instskip(SKIP_1) | instid1(VALU_DEP_2)
	v_add_f64 v[29:30], v[27:28], 1.0
	v_add_f64 v[37:38], v[27:28], -1.0
	v_rcp_f64_e32 v[33:34], v[29:30]
	s_waitcnt_depctr 0xfff
	v_fma_f64 v[35:36], -v[29:30], v[33:34], 1.0
	s_delay_alu instid0(VALU_DEP_1) | instskip(NEXT) | instid1(VALU_DEP_1)
	v_fma_f64 v[33:34], v[35:36], v[33:34], v[33:34]
	v_fma_f64 v[35:36], -v[29:30], v[33:34], 1.0
	s_delay_alu instid0(VALU_DEP_1) | instskip(SKIP_1) | instid1(VALU_DEP_2)
	v_fma_f64 v[33:34], v[35:36], v[33:34], v[33:34]
	v_max_f64 v[35:36], |v[15:16]|, |v[15:16]|
	v_mul_f64 v[41:42], v[37:38], v[33:34]
	s_delay_alu instid0(VALU_DEP_2) | instskip(SKIP_2) | instid1(VALU_DEP_4)
	v_max_f64 v[43:44], v[39:40], v[35:36]
	v_min_f64 v[35:36], v[39:40], v[35:36]
	v_add_f64 v[39:40], v[29:30], -1.0
	v_mul_f64 v[45:46], v[29:30], v[41:42]
	s_delay_alu instid0(VALU_DEP_3) | instskip(NEXT) | instid1(VALU_DEP_3)
	v_div_scale_f64 v[47:48], null, v[43:44], v[43:44], v[35:36]
	v_add_f64 v[27:28], v[27:28], -v[39:40]
	v_div_scale_f64 v[53:54], vcc_lo, v[35:36], v[43:44], v[35:36]
	s_delay_alu instid0(VALU_DEP_4) | instskip(NEXT) | instid1(VALU_DEP_4)
	v_fma_f64 v[29:30], v[41:42], v[29:30], -v[45:46]
	v_rcp_f64_e32 v[39:40], v[47:48]
	s_delay_alu instid0(VALU_DEP_1) | instskip(SKIP_3) | instid1(VALU_DEP_2)
	v_fma_f64 v[27:28], v[41:42], v[27:28], v[29:30]
	s_waitcnt_depctr 0xfff
	v_fma_f64 v[29:30], -v[47:48], v[39:40], 1.0
	v_add_f64 v[49:50], v[45:46], v[27:28]
	v_fma_f64 v[29:30], v[39:40], v[29:30], v[39:40]
	s_delay_alu instid0(VALU_DEP_2) | instskip(SKIP_1) | instid1(VALU_DEP_3)
	v_add_f64 v[39:40], v[37:38], -v[49:50]
	v_add_f64 v[45:46], v[49:50], -v[45:46]
	v_fma_f64 v[51:52], -v[47:48], v[29:30], 1.0
	s_delay_alu instid0(VALU_DEP_3) | instskip(NEXT) | instid1(VALU_DEP_3)
	v_add_f64 v[37:38], v[37:38], -v[39:40]
	v_add_f64 v[27:28], v[45:46], -v[27:28]
	s_delay_alu instid0(VALU_DEP_3) | instskip(NEXT) | instid1(VALU_DEP_3)
	v_fma_f64 v[29:30], v[29:30], v[51:52], v[29:30]
	v_add_f64 v[37:38], v[37:38], -v[49:50]
	s_delay_alu instid0(VALU_DEP_2) | instskip(NEXT) | instid1(VALU_DEP_2)
	v_mul_f64 v[45:46], v[53:54], v[29:30]
	v_add_f64 v[27:28], v[27:28], v[37:38]
	s_delay_alu instid0(VALU_DEP_2) | instskip(NEXT) | instid1(VALU_DEP_2)
	v_fma_f64 v[37:38], -v[47:48], v[45:46], v[53:54]
	v_add_f64 v[27:28], v[39:40], v[27:28]
	s_delay_alu instid0(VALU_DEP_2)
	v_div_fmas_f64 v[29:30], v[37:38], v[29:30], v[45:46]
	v_subrev_co_ci_u32_e64 v18, vcc_lo, 0, v18, s5
	v_cmp_eq_f64_e64 s5, 0, v[15:16]
	v_cmp_gt_i32_e32 vcc_lo, 0, v14
	v_mul_f64 v[27:28], v[33:34], v[27:28]
	v_div_fixup_f64 v[29:30], v[29:30], v[43:44], v[35:36]
	s_delay_alu instid0(VALU_DEP_2) | instskip(NEXT) | instid1(VALU_DEP_2)
	v_add_f64 v[33:34], v[41:42], v[27:28]
	v_mul_f64 v[35:36], v[29:30], v[29:30]
	s_delay_alu instid0(VALU_DEP_2) | instskip(NEXT) | instid1(VALU_DEP_2)
	v_mul_f64 v[37:38], v[33:34], v[33:34]
	v_fma_f64 v[39:40], v[35:36], s[48:49], s[46:47]
	s_delay_alu instid0(VALU_DEP_2) | instskip(SKIP_1) | instid1(VALU_DEP_3)
	v_fma_f64 v[43:44], v[37:38], s[28:29], s[26:27]
	v_mul_f64 v[45:46], v[33:34], v[37:38]
	v_fma_f64 v[39:40], v[35:36], v[39:40], s[50:51]
	s_delay_alu instid0(VALU_DEP_3) | instskip(NEXT) | instid1(VALU_DEP_2)
	v_fma_f64 v[43:44], v[37:38], v[43:44], s[34:35]
	v_fma_f64 v[39:40], v[35:36], v[39:40], s[52:53]
	s_delay_alu instid0(VALU_DEP_2) | instskip(NEXT) | instid1(VALU_DEP_2)
	v_fma_f64 v[43:44], v[37:38], v[43:44], s[36:37]
	v_fma_f64 v[39:40], v[35:36], v[39:40], s[54:55]
	s_delay_alu instid0(VALU_DEP_2) | instskip(NEXT) | instid1(VALU_DEP_2)
	;; [unrolled: 3-line block ×3, first 2 shown]
	v_fma_f64 v[43:44], v[37:38], v[43:44], s[40:41]
	v_fma_f64 v[39:40], v[35:36], v[39:40], s[58:59]
	s_delay_alu instid0(VALU_DEP_2) | instskip(SKIP_2) | instid1(VALU_DEP_4)
	v_fma_f64 v[37:38], v[37:38], v[43:44], s[98:99]
	v_ldexp_f64 v[43:44], v[33:34], 1
	v_add_f64 v[33:34], v[33:34], -v[41:42]
	v_fma_f64 v[39:40], v[35:36], v[39:40], s[60:61]
	s_delay_alu instid0(VALU_DEP_4) | instskip(SKIP_1) | instid1(VALU_DEP_4)
	v_mul_f64 v[37:38], v[45:46], v[37:38]
	v_cvt_f64_i32_e32 v[45:46], v18
	v_add_f64 v[27:28], v[27:28], -v[33:34]
	v_ashrrev_i32_e32 v18, 31, v14
	v_fma_f64 v[39:40], v[35:36], v[39:40], s[62:63]
	v_add_f64 v[41:42], v[43:44], v[37:38]
	v_mul_f64 v[47:48], v[45:46], s[42:43]
	v_ldexp_f64 v[27:28], v[27:28], 1
	s_delay_alu instid0(VALU_DEP_4) | instskip(NEXT) | instid1(VALU_DEP_4)
	v_fma_f64 v[39:40], v[35:36], v[39:40], s[64:65]
	v_add_f64 v[33:34], v[41:42], -v[43:44]
	s_delay_alu instid0(VALU_DEP_4) | instskip(NEXT) | instid1(VALU_DEP_3)
	v_fma_f64 v[43:44], v[45:46], s[42:43], -v[47:48]
	v_fma_f64 v[39:40], v[35:36], v[39:40], s[66:67]
	s_delay_alu instid0(VALU_DEP_3) | instskip(NEXT) | instid1(VALU_DEP_2)
	v_add_f64 v[33:34], v[37:38], -v[33:34]
	v_fma_f64 v[37:38], v[35:36], v[39:40], s[68:69]
	s_delay_alu instid0(VALU_DEP_4) | instskip(NEXT) | instid1(VALU_DEP_3)
	v_fma_f64 v[39:40], v[45:46], s[44:45], v[43:44]
	v_add_f64 v[27:28], v[27:28], v[33:34]
	s_delay_alu instid0(VALU_DEP_3) | instskip(NEXT) | instid1(VALU_DEP_3)
	v_fma_f64 v[33:34], v[35:36], v[37:38], s[70:71]
	v_add_f64 v[37:38], v[47:48], v[39:40]
	s_delay_alu instid0(VALU_DEP_3) | instskip(NEXT) | instid1(VALU_DEP_3)
	v_add_f64 v[43:44], v[41:42], v[27:28]
	v_fma_f64 v[33:34], v[35:36], v[33:34], s[72:73]
	s_delay_alu instid0(VALU_DEP_3) | instskip(NEXT) | instid1(VALU_DEP_3)
	v_add_f64 v[47:48], v[37:38], -v[47:48]
	v_add_f64 v[45:46], v[37:38], v[43:44]
	v_add_f64 v[41:42], v[43:44], -v[41:42]
	s_delay_alu instid0(VALU_DEP_4) | instskip(NEXT) | instid1(VALU_DEP_4)
	v_fma_f64 v[33:34], v[35:36], v[33:34], s[74:75]
	v_add_f64 v[39:40], v[39:40], -v[47:48]
	s_delay_alu instid0(VALU_DEP_4) | instskip(NEXT) | instid1(VALU_DEP_4)
	v_add_f64 v[49:50], v[45:46], -v[37:38]
	v_add_f64 v[27:28], v[27:28], -v[41:42]
	s_delay_alu instid0(VALU_DEP_4) | instskip(NEXT) | instid1(VALU_DEP_3)
	v_fma_f64 v[33:34], v[35:36], v[33:34], s[76:77]
	v_add_f64 v[51:52], v[45:46], -v[49:50]
	v_add_f64 v[41:42], v[43:44], -v[49:50]
	s_delay_alu instid0(VALU_DEP_4) | instskip(NEXT) | instid1(VALU_DEP_4)
	v_add_f64 v[43:44], v[39:40], v[27:28]
	v_fma_f64 v[33:34], v[35:36], v[33:34], s[78:79]
	s_delay_alu instid0(VALU_DEP_4) | instskip(NEXT) | instid1(VALU_DEP_2)
	v_add_f64 v[37:38], v[37:38], -v[51:52]
	v_fma_f64 v[33:34], v[35:36], v[33:34], s[80:81]
	s_delay_alu instid0(VALU_DEP_2) | instskip(SKIP_1) | instid1(VALU_DEP_3)
	v_add_f64 v[37:38], v[41:42], v[37:38]
	v_add_f64 v[41:42], v[43:44], -v[39:40]
	v_fma_f64 v[33:34], v[35:36], v[33:34], s[82:83]
	s_delay_alu instid0(VALU_DEP_3) | instskip(NEXT) | instid1(VALU_DEP_3)
	v_add_f64 v[37:38], v[43:44], v[37:38]
	v_add_f64 v[43:44], v[43:44], -v[41:42]
	v_add_f64 v[27:28], v[27:28], -v[41:42]
	s_delay_alu instid0(VALU_DEP_4) | instskip(NEXT) | instid1(VALU_DEP_4)
	v_fma_f64 v[33:34], v[35:36], v[33:34], s[84:85]
	v_add_f64 v[47:48], v[45:46], v[37:38]
	s_delay_alu instid0(VALU_DEP_2) | instskip(SKIP_1) | instid1(VALU_DEP_3)
	v_mul_f64 v[33:34], v[35:36], v[33:34]
	v_add_f64 v[35:36], v[39:40], -v[43:44]
	v_add_f64 v[39:40], v[47:48], -v[45:46]
	s_delay_alu instid0(VALU_DEP_3) | instskip(NEXT) | instid1(VALU_DEP_3)
	v_fma_f64 v[29:30], v[29:30], v[33:34], v[29:30]
	v_add_f64 v[27:28], v[27:28], v[35:36]
	s_delay_alu instid0(VALU_DEP_3) | instskip(NEXT) | instid1(VALU_DEP_3)
	v_add_f64 v[33:34], v[37:38], -v[39:40]
	v_add_f64 v[35:36], -v[29:30], s[86:87]
	s_delay_alu instid0(VALU_DEP_2) | instskip(NEXT) | instid1(VALU_DEP_2)
	v_add_f64 v[27:28], v[27:28], v[33:34]
	v_cndmask_b32_e64 v30, v30, v36, s4
	s_delay_alu instid0(VALU_DEP_3) | instskip(SKIP_2) | instid1(VALU_DEP_3)
	v_cndmask_b32_e64 v29, v29, v35, s4
	v_dual_cndmask_b32 v35, 0x54442d18, v59 :: v_dual_and_b32 v36, 0x54442d18, v18
	v_and_b32_e32 v18, 0x400921fb, v18
	v_add_f64 v[33:34], -v[29:30], s[14:15]
	v_add_f64 v[27:28], v[47:48], v[27:28]
	s_delay_alu instid0(VALU_DEP_2) | instskip(NEXT) | instid1(VALU_DEP_1)
	v_cndmask_b32_e32 v29, v29, v33, vcc_lo
	v_cndmask_b32_e64 v29, v29, v36, s5
	s_delay_alu instid0(VALU_DEP_3) | instskip(SKIP_4) | instid1(VALU_DEP_3)
	v_mul_f64 v[13:14], v[27:28], 0.5
	v_cndmask_b32_e32 v27, 0x3fe921fb, v60, vcc_lo
	v_cndmask_b32_e32 v28, v30, v34, vcc_lo
	s_and_b32 vcc_lo, s8, s9
                                        ; implicit-def: $vgpr33_vgpr34
	v_cndmask_b32_e32 v29, v29, v35, vcc_lo
	v_bfi_b32 v27, 0x7fffffff, v27, v16
	s_delay_alu instid0(VALU_DEP_3) | instskip(NEXT) | instid1(VALU_DEP_1)
	v_cndmask_b32_e64 v18, v28, v18, s5
                                        ; implicit-def: $vgpr35_vgpr36
	v_cndmask_b32_e32 v30, v18, v27, vcc_lo
	v_cndmask_b32_e64 v28, 0xfff00000, v14, s6
	v_cndmask_b32_e64 v27, 0, v13, s6
.LBB180_162:                            ;   in Loop: Header=BB180_145 Depth=1
	s_and_not1_saveexec_b32 s90, s7
	s_cbranch_execz .LBB180_166
; %bb.163:                              ;   in Loop: Header=BB180_145 Depth=1
	v_dual_mov_b32 v29, v17 :: v_dual_and_b32 v18, 0x7ffffff8, v36
	v_and_b32_e32 v30, 0x7ffffff8, v34
	s_mov_b32 s91, 0
	s_delay_alu instid0(VALU_DEP_2) | instskip(SKIP_1) | instid1(VALU_DEP_3)
	v_add_f64 v[27:28], v[35:36], -v[17:18]
	v_mov_b32_e32 v35, v17
	v_add_f64 v[31:32], v[33:34], -v[29:30]
	v_mov_b32_e32 v37, v17
	v_add_f64 v[39:40], v[17:18], v[17:18]
	v_add_f64 v[47:48], v[29:30], v[29:30]
	v_mul_f64 v[33:34], v[29:30], v[29:30]
	v_and_b32_e32 v36, -8, v28
	v_and_b32_e32 v38, -8, v32
	s_delay_alu instid0(VALU_DEP_2) | instskip(SKIP_1) | instid1(VALU_DEP_3)
	v_add_f64 v[49:50], v[27:28], -v[35:36]
	v_add_f64 v[53:54], v[35:36], v[35:36]
	v_add_f64 v[51:52], v[31:32], -v[37:38]
	v_add_f64 v[55:56], v[37:38], v[37:38]
	v_mul_f64 v[27:28], v[17:18], v[17:18]
	v_mul_f64 v[45:46], v[39:40], v[35:36]
	;; [unrolled: 1-line block ×11, first 2 shown]
.LBB180_164:                            ;   Parent Loop BB180_145 Depth=1
                                        ; =>  This Inner Loop Header: Depth=2
	v_cmp_nlt_f64_e32 vcc_lo, v[27:28], v[33:34]
	v_dual_cndmask_b32 v52, v28, v34 :: v_dual_cndmask_b32 v51, v27, v33
	v_dual_cndmask_b32 v28, v34, v28 :: v_dual_cndmask_b32 v27, v33, v27
	s_delay_alu instid0(VALU_DEP_2) | instskip(NEXT) | instid1(VALU_DEP_1)
	v_cmp_nlt_f64_e64 s5, v[51:52], v[45:46]
	v_cndmask_b32_e64 v54, v52, v46, s5
	v_cndmask_b32_e64 v53, v51, v45, s5
	;; [unrolled: 1-line block ×4, first 2 shown]
	s_and_b32 s5, vcc_lo, s5
	s_delay_alu instid0(VALU_DEP_3) | instskip(NEXT) | instid1(VALU_DEP_1)
	v_cmp_nlt_f64_e64 s6, v[53:54], v[31:32]
	v_cndmask_b32_e64 v52, v54, v32, s6
	v_cndmask_b32_e64 v51, v53, v31, s6
	;; [unrolled: 1-line block ×4, first 2 shown]
	s_delay_alu instid0(VALU_DEP_3) | instskip(NEXT) | instid1(VALU_DEP_1)
	v_cmp_nlt_f64_e64 s7, v[51:52], v[43:44]
	v_cndmask_b32_e64 v54, v52, v44, s7
	v_cndmask_b32_e64 v53, v51, v43, s7
	;; [unrolled: 1-line block ×4, first 2 shown]
	s_and_b32 s6, s6, s7
	s_delay_alu instid0(VALU_DEP_3) | instskip(NEXT) | instid1(VALU_DEP_1)
	v_cmp_nlt_f64_e64 s8, v[53:54], v[29:30]
	v_cndmask_b32_e64 v52, v54, v30, s8
	v_cndmask_b32_e64 v51, v53, v29, s8
	;; [unrolled: 1-line block ×4, first 2 shown]
	s_delay_alu instid0(VALU_DEP_3) | instskip(NEXT) | instid1(VALU_DEP_1)
	v_cmp_nlt_f64_e64 s9, v[51:52], v[41:42]
	v_cndmask_b32_e64 v54, v52, v42, s9
	v_cndmask_b32_e64 v53, v51, v41, s9
	v_cndmask_b32_e64 v30, v42, v52, s9
	v_cndmask_b32_e64 v29, v41, v51, s9
	s_and_b32 s7, s8, s9
	s_delay_alu instid0(VALU_DEP_3) | instskip(NEXT) | instid1(VALU_DEP_1)
	v_cmp_nlt_f64_e64 s10, v[53:54], v[39:40]
	v_cndmask_b32_e64 v52, v54, v40, s10
	v_cndmask_b32_e64 v51, v53, v39, s10
	v_cndmask_b32_e64 v42, v40, v54, s10
	v_cndmask_b32_e64 v41, v39, v53, s10
	s_and_b32 s7, s7, s10
	;; [unrolled: 7-line block ×4, first 2 shown]
	s_delay_alu instid0(VALU_DEP_3) | instskip(NEXT) | instid1(VALU_DEP_1)
	v_cmp_nlt_f64_e64 s13, v[51:52], v[47:48]
	v_cndmask_b32_e64 v54, v52, v48, s13
	v_cndmask_b32_e64 v53, v51, v47, s13
	s_and_b32 s7, s7, s13
	v_cndmask_b32_e64 v36, v48, v52, s13
	v_cndmask_b32_e64 v35, v47, v51, s13
	s_delay_alu instid0(VALU_DEP_3) | instskip(NEXT) | instid1(VALU_DEP_1)
	v_cmp_nlt_f64_e64 s14, v[53:54], v[49:50]
	v_cndmask_b32_e64 v52, v54, v50, s14
	v_cndmask_b32_e64 v51, v53, v49, s14
	s_and_b32 s7, s7, s14
	v_cndmask_b32_e64 v48, v50, v54, s14
	s_and_b32 s6, s7, s6
	;; [unrolled: 2-line block ×3, first 2 shown]
	v_dual_mov_b32 v49, v51 :: v_dual_mov_b32 v50, v52
	s_and_b32 s5, exec_lo, s5
	s_delay_alu instid0(SALU_CYCLE_1) | instskip(NEXT) | instid1(SALU_CYCLE_1)
	s_or_b32 s91, s5, s91
	s_and_not1_b32 exec_lo, exec_lo, s91
	s_cbranch_execnz .LBB180_164
; %bb.165:                              ;   in Loop: Header=BB180_145 Depth=1
	s_or_b32 exec_lo, exec_lo, s91
	v_add_f64 v[27:28], v[27:28], -1.0
	s_mov_b32 s99, s25
	s_mov_b32 s14, s86
	v_cmp_gt_i32_e64 s5, 0, v14
	v_cmp_class_f64_e64 s7, v[13:14], 0x204
	v_cmp_class_f64_e64 s6, v[15:16], 0x204
	s_mov_b32 s12, 0x4ad4b81f
	s_mov_b32 s13, 0x358dee7a
	s_delay_alu instid0(VALU_DEP_4) | instskip(NEXT) | instid1(VALU_DEP_1)
	v_add_f64 v[27:28], v[27:28], v[33:34]
	v_add_f64 v[27:28], v[27:28], v[45:46]
	s_delay_alu instid0(VALU_DEP_1) | instskip(NEXT) | instid1(VALU_DEP_1)
	v_add_f64 v[27:28], v[27:28], v[31:32]
	v_add_f64 v[27:28], v[27:28], v[43:44]
	s_delay_alu instid0(VALU_DEP_1) | instskip(NEXT) | instid1(VALU_DEP_1)
	;; [unrolled: 3-line block ×5, first 2 shown]
	v_add_f64 v[28:29], v[51:52], v[27:28]
	v_add_f64 v[30:31], v[28:29], 1.0
	s_delay_alu instid0(VALU_DEP_1) | instskip(SKIP_2) | instid1(VALU_DEP_3)
	v_frexp_mant_f64_e32 v[32:33], v[30:31]
	v_frexp_exp_i32_f64_e32 v18, v[30:31]
	v_add_f64 v[34:35], v[30:31], -1.0
	v_cmp_gt_f64_e32 vcc_lo, s[24:25], v[32:33]
	s_delay_alu instid0(VALU_DEP_2) | instskip(SKIP_2) | instid1(VALU_DEP_3)
	v_add_f64 v[32:33], v[34:35], -v[30:31]
	v_add_f64 v[34:35], v[28:29], -v[34:35]
	v_subrev_co_ci_u32_e32 v18, vcc_lo, 0, v18, vcc_lo
	v_add_f64 v[32:33], v[32:33], 1.0
	s_delay_alu instid0(VALU_DEP_2) | instskip(NEXT) | instid1(VALU_DEP_1)
	v_sub_nc_u32_e32 v27, 0, v18
	v_ldexp_f64 v[30:31], v[30:31], v27
	s_delay_alu instid0(VALU_DEP_3) | instskip(NEXT) | instid1(VALU_DEP_2)
	v_add_f64 v[32:33], v[34:35], v[32:33]
	v_add_f64 v[36:37], v[30:31], 1.0
	v_add_f64 v[42:43], v[30:31], -1.0
	s_delay_alu instid0(VALU_DEP_3) | instskip(NEXT) | instid1(VALU_DEP_3)
	v_ldexp_f64 v[32:33], v[32:33], v27
	v_add_f64 v[34:35], v[36:37], -1.0
	s_delay_alu instid0(VALU_DEP_3) | instskip(NEXT) | instid1(VALU_DEP_2)
	v_add_f64 v[44:45], v[42:43], 1.0
	v_add_f64 v[34:35], v[30:31], -v[34:35]
	s_delay_alu instid0(VALU_DEP_2) | instskip(NEXT) | instid1(VALU_DEP_2)
	v_add_f64 v[30:31], v[30:31], -v[44:45]
	v_add_f64 v[34:35], v[32:33], v[34:35]
	s_delay_alu instid0(VALU_DEP_2) | instskip(NEXT) | instid1(VALU_DEP_2)
	v_add_f64 v[30:31], v[32:33], v[30:31]
	v_add_f64 v[38:39], v[36:37], v[34:35]
	s_delay_alu instid0(VALU_DEP_2) | instskip(NEXT) | instid1(VALU_DEP_2)
	v_add_f64 v[44:45], v[42:43], v[30:31]
	v_rcp_f64_e32 v[40:41], v[38:39]
	v_add_f64 v[36:37], v[38:39], -v[36:37]
	s_delay_alu instid0(VALU_DEP_2) | instskip(NEXT) | instid1(VALU_DEP_2)
	v_add_f64 v[42:43], v[44:45], -v[42:43]
	v_add_f64 v[34:35], v[34:35], -v[36:37]
	s_waitcnt_depctr 0xfff
	v_fma_f64 v[46:47], -v[38:39], v[40:41], 1.0
	v_add_f64 v[30:31], v[30:31], -v[42:43]
	s_delay_alu instid0(VALU_DEP_2) | instskip(NEXT) | instid1(VALU_DEP_1)
	v_fma_f64 v[40:41], v[46:47], v[40:41], v[40:41]
	v_fma_f64 v[32:33], -v[38:39], v[40:41], 1.0
	s_delay_alu instid0(VALU_DEP_1) | instskip(NEXT) | instid1(VALU_DEP_1)
	v_fma_f64 v[32:33], v[32:33], v[40:41], v[40:41]
	v_mul_f64 v[40:41], v[44:45], v[32:33]
	s_delay_alu instid0(VALU_DEP_1) | instskip(NEXT) | instid1(VALU_DEP_1)
	v_mul_f64 v[46:47], v[38:39], v[40:41]
	v_fma_f64 v[36:37], v[40:41], v[38:39], -v[46:47]
	s_delay_alu instid0(VALU_DEP_1) | instskip(NEXT) | instid1(VALU_DEP_1)
	v_fma_f64 v[36:37], v[40:41], v[34:35], v[36:37]
	v_add_f64 v[48:49], v[46:47], v[36:37]
	s_delay_alu instid0(VALU_DEP_1) | instskip(SKIP_2) | instid1(VALU_DEP_3)
	v_add_f64 v[50:51], v[44:45], -v[48:49]
	v_add_f64 v[42:43], v[48:49], -v[46:47]
	v_max_f64 v[46:47], |v[15:16]|, |v[15:16]|
	v_add_f64 v[44:45], v[44:45], -v[50:51]
	s_delay_alu instid0(VALU_DEP_3) | instskip(NEXT) | instid1(VALU_DEP_2)
	v_add_f64 v[36:37], v[42:43], -v[36:37]
	v_add_f64 v[44:45], v[44:45], -v[48:49]
	v_max_f64 v[48:49], |v[13:14]|, |v[13:14]|
	v_cndmask_b32_e64 v13, 0x3fe921fb, v60, s5
	s_delay_alu instid0(VALU_DEP_1) | instskip(NEXT) | instid1(VALU_DEP_4)
	v_bfi_b32 v13, 0x7fffffff, v13, v16
	v_add_f64 v[30:31], v[30:31], v[44:45]
	s_delay_alu instid0(VALU_DEP_4) | instskip(SKIP_1) | instid1(VALU_DEP_3)
	v_max_f64 v[52:53], v[48:49], v[46:47]
	v_min_f64 v[46:47], v[48:49], v[46:47]
	v_add_f64 v[30:31], v[36:37], v[30:31]
	s_delay_alu instid0(VALU_DEP_1) | instskip(NEXT) | instid1(VALU_DEP_1)
	v_add_f64 v[36:37], v[50:51], v[30:31]
	v_mul_f64 v[42:43], v[32:33], v[36:37]
	v_add_f64 v[50:51], v[50:51], -v[36:37]
	s_delay_alu instid0(VALU_DEP_2) | instskip(NEXT) | instid1(VALU_DEP_2)
	v_mul_f64 v[44:45], v[38:39], v[42:43]
	v_add_f64 v[30:31], v[30:31], v[50:51]
	s_delay_alu instid0(VALU_DEP_2) | instskip(NEXT) | instid1(VALU_DEP_1)
	v_fma_f64 v[38:39], v[42:43], v[38:39], -v[44:45]
	v_fma_f64 v[34:35], v[42:43], v[34:35], v[38:39]
	v_div_scale_f64 v[38:39], null, v[52:53], v[52:53], v[46:47]
	s_delay_alu instid0(VALU_DEP_2) | instskip(NEXT) | instid1(VALU_DEP_2)
	v_add_f64 v[48:49], v[44:45], v[34:35]
	v_rcp_f64_e32 v[54:55], v[38:39]
	s_delay_alu instid0(VALU_DEP_1)
	v_add_f64 v[56:57], v[36:37], -v[48:49]
	v_add_f64 v[44:45], v[48:49], -v[44:45]
	s_waitcnt_depctr 0xfff
	v_fma_f64 v[61:62], -v[38:39], v[54:55], 1.0
	v_add_f64 v[36:37], v[36:37], -v[56:57]
	v_add_f64 v[34:35], v[44:45], -v[34:35]
	s_delay_alu instid0(VALU_DEP_3) | instskip(NEXT) | instid1(VALU_DEP_3)
	v_fma_f64 v[54:55], v[54:55], v[61:62], v[54:55]
	v_add_f64 v[36:37], v[36:37], -v[48:49]
	s_delay_alu instid0(VALU_DEP_2) | instskip(NEXT) | instid1(VALU_DEP_2)
	v_fma_f64 v[48:49], -v[38:39], v[54:55], 1.0
	v_add_f64 v[30:31], v[30:31], v[36:37]
	v_div_scale_f64 v[36:37], vcc_lo, v[46:47], v[52:53], v[46:47]
	s_delay_alu instid0(VALU_DEP_3) | instskip(SKIP_1) | instid1(VALU_DEP_4)
	v_fma_f64 v[44:45], v[54:55], v[48:49], v[54:55]
	v_add_f64 v[48:49], v[40:41], v[42:43]
	v_add_f64 v[30:31], v[34:35], v[30:31]
	s_delay_alu instid0(VALU_DEP_3) | instskip(NEXT) | instid1(VALU_DEP_3)
	v_mul_f64 v[34:35], v[36:37], v[44:45]
	v_add_f64 v[40:41], v[48:49], -v[40:41]
	s_delay_alu instid0(VALU_DEP_3) | instskip(NEXT) | instid1(VALU_DEP_3)
	v_add_f64 v[30:31], v[56:57], v[30:31]
	v_fma_f64 v[36:37], -v[38:39], v[34:35], v[36:37]
	s_delay_alu instid0(VALU_DEP_3) | instskip(NEXT) | instid1(VALU_DEP_3)
	v_add_f64 v[38:39], v[42:43], -v[40:41]
	v_mul_f64 v[30:31], v[32:33], v[30:31]
	s_delay_alu instid0(VALU_DEP_3) | instskip(SKIP_1) | instid1(VALU_DEP_3)
	v_div_fmas_f64 v[32:33], v[36:37], v[44:45], v[34:35]
	v_cmp_eq_f64_e32 vcc_lo, 0x7ff00000, v[28:29]
	v_add_f64 v[30:31], v[38:39], v[30:31]
	s_delay_alu instid0(VALU_DEP_3) | instskip(NEXT) | instid1(VALU_DEP_2)
	v_div_fixup_f64 v[32:33], v[32:33], v[52:53], v[46:47]
	v_add_f64 v[34:35], v[48:49], v[30:31]
	s_delay_alu instid0(VALU_DEP_2) | instskip(NEXT) | instid1(VALU_DEP_2)
	v_mul_f64 v[36:37], v[32:33], v[32:33]
	v_mul_f64 v[38:39], v[34:35], v[34:35]
	s_delay_alu instid0(VALU_DEP_2) | instskip(NEXT) | instid1(VALU_DEP_2)
	v_fma_f64 v[40:41], v[36:37], s[48:49], s[46:47]
	v_fma_f64 v[42:43], v[38:39], s[28:29], s[26:27]
	v_mul_f64 v[44:45], v[34:35], v[38:39]
	s_delay_alu instid0(VALU_DEP_3) | instskip(NEXT) | instid1(VALU_DEP_3)
	v_fma_f64 v[40:41], v[36:37], v[40:41], s[50:51]
	v_fma_f64 v[42:43], v[38:39], v[42:43], s[34:35]
	s_delay_alu instid0(VALU_DEP_2) | instskip(NEXT) | instid1(VALU_DEP_2)
	v_fma_f64 v[40:41], v[36:37], v[40:41], s[52:53]
	v_fma_f64 v[42:43], v[38:39], v[42:43], s[36:37]
	s_delay_alu instid0(VALU_DEP_2) | instskip(NEXT) | instid1(VALU_DEP_2)
	;; [unrolled: 3-line block ×4, first 2 shown]
	v_fma_f64 v[40:41], v[36:37], v[40:41], s[58:59]
	v_fma_f64 v[38:39], v[38:39], v[42:43], s[98:99]
	v_ldexp_f64 v[42:43], v[34:35], 1
	v_add_f64 v[34:35], v[34:35], -v[48:49]
	s_delay_alu instid0(VALU_DEP_4) | instskip(NEXT) | instid1(VALU_DEP_4)
	v_fma_f64 v[40:41], v[36:37], v[40:41], s[60:61]
	v_mul_f64 v[38:39], v[44:45], v[38:39]
	v_cvt_f64_i32_e32 v[44:45], v18
	s_delay_alu instid0(VALU_DEP_4) | instskip(NEXT) | instid1(VALU_DEP_4)
	v_add_f64 v[30:31], v[30:31], -v[34:35]
	v_fma_f64 v[40:41], v[36:37], v[40:41], s[62:63]
	v_ashrrev_i32_e32 v18, 31, v14
	s_delay_alu instid0(VALU_DEP_1) | instskip(SKIP_4) | instid1(VALU_DEP_4)
	v_and_b32_e32 v14, 0x400921fb, v18
	v_add_f64 v[46:47], v[42:43], v[38:39]
	v_mul_f64 v[48:49], v[44:45], s[42:43]
	v_ldexp_f64 v[30:31], v[30:31], 1
	v_fma_f64 v[40:41], v[36:37], v[40:41], s[64:65]
	v_add_f64 v[34:35], v[46:47], -v[42:43]
	s_delay_alu instid0(VALU_DEP_4) | instskip(NEXT) | instid1(VALU_DEP_3)
	v_fma_f64 v[42:43], v[44:45], s[42:43], -v[48:49]
	v_fma_f64 v[40:41], v[36:37], v[40:41], s[66:67]
	s_delay_alu instid0(VALU_DEP_3) | instskip(NEXT) | instid1(VALU_DEP_2)
	v_add_f64 v[34:35], v[38:39], -v[34:35]
	v_fma_f64 v[38:39], v[36:37], v[40:41], s[68:69]
	s_delay_alu instid0(VALU_DEP_4) | instskip(NEXT) | instid1(VALU_DEP_3)
	v_fma_f64 v[40:41], v[44:45], s[44:45], v[42:43]
	v_add_f64 v[30:31], v[30:31], v[34:35]
	s_delay_alu instid0(VALU_DEP_3) | instskip(NEXT) | instid1(VALU_DEP_3)
	v_fma_f64 v[34:35], v[36:37], v[38:39], s[70:71]
	v_add_f64 v[38:39], v[48:49], v[40:41]
	s_delay_alu instid0(VALU_DEP_3) | instskip(NEXT) | instid1(VALU_DEP_3)
	v_add_f64 v[42:43], v[46:47], v[30:31]
	v_fma_f64 v[34:35], v[36:37], v[34:35], s[72:73]
	s_delay_alu instid0(VALU_DEP_3) | instskip(NEXT) | instid1(VALU_DEP_3)
	v_add_f64 v[48:49], v[38:39], -v[48:49]
	v_add_f64 v[44:45], v[38:39], v[42:43]
	v_add_f64 v[46:47], v[42:43], -v[46:47]
	s_delay_alu instid0(VALU_DEP_4) | instskip(NEXT) | instid1(VALU_DEP_4)
	v_fma_f64 v[34:35], v[36:37], v[34:35], s[74:75]
	v_add_f64 v[40:41], v[40:41], -v[48:49]
	s_delay_alu instid0(VALU_DEP_4) | instskip(NEXT) | instid1(VALU_DEP_4)
	v_add_f64 v[50:51], v[44:45], -v[38:39]
	v_add_f64 v[30:31], v[30:31], -v[46:47]
	s_delay_alu instid0(VALU_DEP_4) | instskip(NEXT) | instid1(VALU_DEP_3)
	v_fma_f64 v[34:35], v[36:37], v[34:35], s[76:77]
	v_add_f64 v[52:53], v[44:45], -v[50:51]
	v_add_f64 v[42:43], v[42:43], -v[50:51]
	s_delay_alu instid0(VALU_DEP_4) | instskip(NEXT) | instid1(VALU_DEP_4)
	v_add_f64 v[46:47], v[40:41], v[30:31]
	v_fma_f64 v[34:35], v[36:37], v[34:35], s[78:79]
	s_delay_alu instid0(VALU_DEP_4) | instskip(NEXT) | instid1(VALU_DEP_2)
	v_add_f64 v[38:39], v[38:39], -v[52:53]
	v_fma_f64 v[34:35], v[36:37], v[34:35], s[80:81]
	s_delay_alu instid0(VALU_DEP_2) | instskip(SKIP_1) | instid1(VALU_DEP_3)
	v_add_f64 v[38:39], v[42:43], v[38:39]
	v_add_f64 v[42:43], v[46:47], -v[40:41]
	v_fma_f64 v[34:35], v[36:37], v[34:35], s[82:83]
	s_delay_alu instid0(VALU_DEP_3) | instskip(NEXT) | instid1(VALU_DEP_3)
	v_add_f64 v[38:39], v[46:47], v[38:39]
	v_add_f64 v[46:47], v[46:47], -v[42:43]
	v_add_f64 v[30:31], v[30:31], -v[42:43]
	s_delay_alu instid0(VALU_DEP_4) | instskip(NEXT) | instid1(VALU_DEP_4)
	v_fma_f64 v[34:35], v[36:37], v[34:35], s[84:85]
	v_add_f64 v[48:49], v[44:45], v[38:39]
	s_delay_alu instid0(VALU_DEP_2) | instskip(SKIP_1) | instid1(VALU_DEP_3)
	v_mul_f64 v[34:35], v[36:37], v[34:35]
	v_add_f64 v[36:37], v[40:41], -v[46:47]
	v_add_f64 v[40:41], v[48:49], -v[44:45]
	s_delay_alu instid0(VALU_DEP_3) | instskip(NEXT) | instid1(VALU_DEP_3)
	v_fma_f64 v[32:33], v[32:33], v[34:35], v[32:33]
	v_add_f64 v[30:31], v[30:31], v[36:37]
	s_delay_alu instid0(VALU_DEP_3) | instskip(NEXT) | instid1(VALU_DEP_3)
	v_add_f64 v[34:35], v[38:39], -v[40:41]
	v_add_f64 v[36:37], -v[32:33], s[86:87]
	s_delay_alu instid0(VALU_DEP_2) | instskip(NEXT) | instid1(VALU_DEP_2)
	v_add_f64 v[30:31], v[30:31], v[34:35]
	v_cndmask_b32_e64 v33, v33, v37, s4
	s_delay_alu instid0(VALU_DEP_3) | instskip(SKIP_1) | instid1(VALU_DEP_2)
	v_cndmask_b32_e64 v32, v32, v36, s4
	v_cndmask_b32_e64 v36, 0x54442d18, v59, s5
	v_add_f64 v[34:35], -v[32:33], s[14:15]
	v_add_f64 v[30:31], v[48:49], v[30:31]
	v_and_b32_e32 v27, 0x54442d18, v18
	s_delay_alu instid0(VALU_DEP_3) | instskip(NEXT) | instid1(VALU_DEP_4)
	v_cndmask_b32_e64 v34, v32, v34, s5
	v_cndmask_b32_e64 v18, v33, v35, s5
	v_cmp_nge_f64_e64 s5, -1.0, v[28:29]
	v_dual_cndmask_b32 v30, v30, v28 :: v_dual_cndmask_b32 v31, v31, v29
	v_cmp_eq_f64_e32 vcc_lo, 0, v[15:16]
	s_delay_alu instid0(VALU_DEP_2) | instskip(SKIP_3) | instid1(VALU_DEP_4)
	v_mul_f64 v[31:32], v[30:31], 0.5
	v_cndmask_b32_e32 v33, v34, v27, vcc_lo
	v_cndmask_b32_e32 v14, v18, v14, vcc_lo
	v_cmp_ngt_f64_e32 vcc_lo, -1.0, v[28:29]
	v_cndmask_b32_e64 v27, 0, v31, s5
	v_cmp_neq_f64_e64 s5, -1.0, v[28:29]
	v_cndmask_b32_e32 v18, 0x7ff80000, v32, vcc_lo
	s_and_b32 vcc_lo, s6, s7
	v_dual_cndmask_b32 v29, v33, v36 :: v_dual_cndmask_b32 v30, v14, v13
	s_delay_alu instid0(VALU_DEP_2)
	v_cndmask_b32_e64 v28, 0xfff00000, v18, s5
.LBB180_166:                            ;   in Loop: Header=BB180_145 Depth=1
	s_or_b32 exec_lo, exec_lo, s90
.LBB180_167:                            ;   in Loop: Header=BB180_145 Depth=1
	s_delay_alu instid0(SALU_CYCLE_1)
	s_or_b32 exec_lo, exec_lo, s23
.LBB180_168:                            ;   in Loop: Header=BB180_145 Depth=1
	s_and_not1_saveexec_b32 s7, s22
	s_cbranch_execz .LBB180_170
; %bb.169:                              ;   in Loop: Header=BB180_145 Depth=1
	v_max_f64 v[27:28], |v[15:16]|, |v[15:16]|
	v_max_f64 v[29:30], |v[13:14]|, |v[13:14]|
	v_cmp_class_f64_e64 s8, v[13:14], 0x204
	v_cmp_class_f64_e64 s9, v[15:16], 0x204
	s_mov_b32 s99, s25
	s_mov_b32 s14, s86
	v_cmp_eq_f64_e64 s6, 0, v[15:16]
	s_delay_alu instid0(VALU_DEP_4) | instskip(SKIP_1) | instid1(VALU_DEP_4)
	v_max_f64 v[31:32], v[29:30], v[27:28]
	v_min_f64 v[27:28], v[29:30], v[27:28]
	s_or_b32 s10, s9, s8
	s_delay_alu instid0(VALU_DEP_2) | instskip(NEXT) | instid1(VALU_DEP_1)
	v_frexp_exp_i32_f64_e32 v18, v[31:32]
	v_sub_nc_u32_e32 v35, 0, v18
	s_delay_alu instid0(VALU_DEP_1) | instskip(SKIP_1) | instid1(VALU_DEP_2)
	v_ldexp_f64 v[33:34], |v[15:16]|, v35
	v_ldexp_f64 v[35:36], |v[13:14]|, v35
	v_mul_f64 v[33:34], v[33:34], v[33:34]
	s_delay_alu instid0(VALU_DEP_1) | instskip(NEXT) | instid1(VALU_DEP_1)
	v_fma_f64 v[33:34], v[35:36], v[35:36], v[33:34]
	v_rsq_f64_e32 v[35:36], v[33:34]
	v_cmp_eq_f64_e32 vcc_lo, 0, v[33:34]
	s_waitcnt_depctr 0xfff
	v_mul_f64 v[37:38], v[33:34], v[35:36]
	v_mul_f64 v[35:36], v[35:36], 0.5
	s_delay_alu instid0(VALU_DEP_1) | instskip(NEXT) | instid1(VALU_DEP_1)
	v_fma_f64 v[39:40], -v[35:36], v[37:38], 0.5
	v_fma_f64 v[37:38], v[37:38], v[39:40], v[37:38]
	v_fma_f64 v[35:36], v[35:36], v[39:40], v[35:36]
	s_delay_alu instid0(VALU_DEP_2) | instskip(NEXT) | instid1(VALU_DEP_1)
	v_fma_f64 v[39:40], -v[37:38], v[37:38], v[33:34]
	v_fma_f64 v[35:36], v[39:40], v[35:36], v[37:38]
	s_delay_alu instid0(VALU_DEP_1) | instskip(SKIP_1) | instid1(VALU_DEP_2)
	v_dual_cndmask_b32 v34, v36, v34 :: v_dual_cndmask_b32 v33, v35, v33
	v_div_scale_f64 v[55:56], vcc_lo, v[27:28], v[31:32], v[27:28]
	v_ldexp_f64 v[33:34], v[33:34], v18
	s_delay_alu instid0(VALU_DEP_1) | instskip(NEXT) | instid1(VALU_DEP_2)
	v_cndmask_b32_e64 v36, v34, 0x7ff00000, s10
	v_cndmask_b32_e64 v35, v33, 0, s10
	s_delay_alu instid0(VALU_DEP_1) | instskip(SKIP_1) | instid1(VALU_DEP_2)
	v_frexp_mant_f64_e32 v[37:38], v[35:36]
	v_frexp_exp_i32_f64_e32 v13, v[35:36]
	v_cmp_gt_f64_e64 s5, s[24:25], v[37:38]
	s_delay_alu instid0(VALU_DEP_1) | instskip(NEXT) | instid1(VALU_DEP_1)
	v_cndmask_b32_e64 v18, 0x3ff00000, 2.0, s5
	v_mul_f64 v[37:38], v[37:38], v[17:18]
	s_delay_alu instid0(VALU_DEP_1) | instskip(SKIP_1) | instid1(VALU_DEP_2)
	v_add_f64 v[39:40], v[37:38], 1.0
	v_add_f64 v[45:46], v[37:38], -1.0
	v_rcp_f64_e32 v[41:42], v[39:40]
	v_add_f64 v[47:48], v[39:40], -1.0
	s_delay_alu instid0(VALU_DEP_1) | instskip(SKIP_2) | instid1(VALU_DEP_1)
	v_add_f64 v[37:38], v[37:38], -v[47:48]
	s_waitcnt_depctr 0xfff
	v_fma_f64 v[43:44], -v[39:40], v[41:42], 1.0
	v_fma_f64 v[41:42], v[43:44], v[41:42], v[41:42]
	s_delay_alu instid0(VALU_DEP_1) | instskip(NEXT) | instid1(VALU_DEP_1)
	v_fma_f64 v[43:44], -v[39:40], v[41:42], 1.0
	v_fma_f64 v[41:42], v[43:44], v[41:42], v[41:42]
	v_div_scale_f64 v[43:44], null, v[31:32], v[31:32], v[27:28]
	s_delay_alu instid0(VALU_DEP_2) | instskip(NEXT) | instid1(VALU_DEP_2)
	v_mul_f64 v[29:30], v[45:46], v[41:42]
	v_rcp_f64_e32 v[51:52], v[43:44]
	s_delay_alu instid0(VALU_DEP_1) | instskip(SKIP_3) | instid1(VALU_DEP_1)
	v_mul_f64 v[49:50], v[39:40], v[29:30]
	s_waitcnt_depctr 0xfff
	v_fma_f64 v[47:48], -v[43:44], v[51:52], 1.0
	v_fma_f64 v[39:40], v[29:30], v[39:40], -v[49:50]
	v_fma_f64 v[37:38], v[29:30], v[37:38], v[39:40]
	s_delay_alu instid0(VALU_DEP_3) | instskip(NEXT) | instid1(VALU_DEP_2)
	v_fma_f64 v[39:40], v[51:52], v[47:48], v[51:52]
	v_add_f64 v[47:48], v[49:50], v[37:38]
	s_delay_alu instid0(VALU_DEP_2) | instskip(NEXT) | instid1(VALU_DEP_2)
	v_fma_f64 v[51:52], -v[43:44], v[39:40], 1.0
	v_add_f64 v[53:54], v[45:46], -v[47:48]
	s_delay_alu instid0(VALU_DEP_2) | instskip(SKIP_1) | instid1(VALU_DEP_3)
	v_fma_f64 v[39:40], v[39:40], v[51:52], v[39:40]
	v_add_f64 v[49:50], v[47:48], -v[49:50]
	v_add_f64 v[45:46], v[45:46], -v[53:54]
	s_delay_alu instid0(VALU_DEP_3) | instskip(NEXT) | instid1(VALU_DEP_3)
	v_mul_f64 v[51:52], v[55:56], v[39:40]
	v_add_f64 v[37:38], v[49:50], -v[37:38]
	s_delay_alu instid0(VALU_DEP_3) | instskip(NEXT) | instid1(VALU_DEP_3)
	v_add_f64 v[45:46], v[45:46], -v[47:48]
	v_fma_f64 v[43:44], -v[43:44], v[51:52], v[55:56]
	s_delay_alu instid0(VALU_DEP_2) | instskip(NEXT) | instid1(VALU_DEP_2)
	v_add_f64 v[37:38], v[37:38], v[45:46]
	v_div_fmas_f64 v[39:40], v[43:44], v[39:40], v[51:52]
	v_subrev_co_ci_u32_e64 v13, vcc_lo, 0, v13, s5
	v_cmp_class_f64_e64 s5, v[33:34], 0x204
	v_cmp_gt_i32_e32 vcc_lo, 0, v14
	v_add_f64 v[37:38], v[53:54], v[37:38]
	v_div_fixup_f64 v[27:28], v[39:40], v[31:32], v[27:28]
	s_delay_alu instid0(VALU_DEP_2) | instskip(NEXT) | instid1(VALU_DEP_2)
	v_mul_f64 v[31:32], v[41:42], v[37:38]
	v_mul_f64 v[37:38], v[27:28], v[27:28]
	s_delay_alu instid0(VALU_DEP_2) | instskip(NEXT) | instid1(VALU_DEP_2)
	v_add_f64 v[39:40], v[29:30], v[31:32]
	v_fma_f64 v[41:42], v[37:38], s[48:49], s[46:47]
	s_delay_alu instid0(VALU_DEP_2) | instskip(NEXT) | instid1(VALU_DEP_2)
	v_mul_f64 v[43:44], v[39:40], v[39:40]
	v_fma_f64 v[41:42], v[37:38], v[41:42], s[50:51]
	v_add_f64 v[29:30], v[39:40], -v[29:30]
	s_delay_alu instid0(VALU_DEP_3) | instskip(NEXT) | instid1(VALU_DEP_3)
	v_fma_f64 v[45:46], v[43:44], s[28:29], s[26:27]
	v_fma_f64 v[41:42], v[37:38], v[41:42], s[52:53]
	v_mul_f64 v[47:48], v[39:40], v[43:44]
	s_delay_alu instid0(VALU_DEP_4) | instskip(NEXT) | instid1(VALU_DEP_4)
	v_add_f64 v[29:30], v[31:32], -v[29:30]
	v_fma_f64 v[45:46], v[43:44], v[45:46], s[34:35]
	s_delay_alu instid0(VALU_DEP_4) | instskip(NEXT) | instid1(VALU_DEP_3)
	v_fma_f64 v[41:42], v[37:38], v[41:42], s[54:55]
	v_ldexp_f64 v[29:30], v[29:30], 1
	s_delay_alu instid0(VALU_DEP_3) | instskip(NEXT) | instid1(VALU_DEP_3)
	v_fma_f64 v[45:46], v[43:44], v[45:46], s[36:37]
	v_fma_f64 v[41:42], v[37:38], v[41:42], s[56:57]
	s_delay_alu instid0(VALU_DEP_2) | instskip(NEXT) | instid1(VALU_DEP_2)
	v_fma_f64 v[45:46], v[43:44], v[45:46], s[38:39]
	v_fma_f64 v[41:42], v[37:38], v[41:42], s[58:59]
	s_delay_alu instid0(VALU_DEP_2) | instskip(NEXT) | instid1(VALU_DEP_2)
	;; [unrolled: 3-line block ×3, first 2 shown]
	v_fma_f64 v[43:44], v[43:44], v[45:46], s[98:99]
	v_fma_f64 v[41:42], v[37:38], v[41:42], s[62:63]
	v_ldexp_f64 v[45:46], v[39:40], 1
	s_delay_alu instid0(VALU_DEP_3) | instskip(NEXT) | instid1(VALU_DEP_3)
	v_mul_f64 v[43:44], v[47:48], v[43:44]
	v_fma_f64 v[41:42], v[37:38], v[41:42], s[64:65]
	v_cvt_f64_i32_e32 v[47:48], v13
	v_ashrrev_i32_e32 v13, 31, v14
	v_cndmask_b32_e32 v14, 0x54442d18, v59, vcc_lo
	v_add_f64 v[39:40], v[45:46], v[43:44]
	v_fma_f64 v[41:42], v[37:38], v[41:42], s[66:67]
	v_mul_f64 v[49:50], v[47:48], s[42:43]
	s_delay_alu instid0(VALU_DEP_3) | instskip(NEXT) | instid1(VALU_DEP_3)
	v_add_f64 v[31:32], v[39:40], -v[45:46]
	v_fma_f64 v[41:42], v[37:38], v[41:42], s[68:69]
	s_delay_alu instid0(VALU_DEP_3) | instskip(NEXT) | instid1(VALU_DEP_3)
	v_fma_f64 v[45:46], v[47:48], s[42:43], -v[49:50]
	v_add_f64 v[31:32], v[43:44], -v[31:32]
	s_delay_alu instid0(VALU_DEP_3) | instskip(NEXT) | instid1(VALU_DEP_3)
	v_fma_f64 v[41:42], v[37:38], v[41:42], s[70:71]
	v_fma_f64 v[43:44], v[47:48], s[44:45], v[45:46]
	s_delay_alu instid0(VALU_DEP_3) | instskip(NEXT) | instid1(VALU_DEP_3)
	v_add_f64 v[29:30], v[29:30], v[31:32]
	v_fma_f64 v[31:32], v[37:38], v[41:42], s[72:73]
	s_delay_alu instid0(VALU_DEP_3) | instskip(NEXT) | instid1(VALU_DEP_3)
	v_add_f64 v[41:42], v[49:50], v[43:44]
	v_add_f64 v[45:46], v[39:40], v[29:30]
	s_delay_alu instid0(VALU_DEP_3) | instskip(NEXT) | instid1(VALU_DEP_3)
	v_fma_f64 v[31:32], v[37:38], v[31:32], s[74:75]
	v_add_f64 v[49:50], v[41:42], -v[49:50]
	s_delay_alu instid0(VALU_DEP_3) | instskip(NEXT) | instid1(VALU_DEP_3)
	v_add_f64 v[47:48], v[41:42], v[45:46]
	v_fma_f64 v[31:32], v[37:38], v[31:32], s[76:77]
	v_add_f64 v[39:40], v[45:46], -v[39:40]
	s_delay_alu instid0(VALU_DEP_4) | instskip(NEXT) | instid1(VALU_DEP_4)
	v_add_f64 v[43:44], v[43:44], -v[49:50]
	v_add_f64 v[51:52], v[47:48], -v[41:42]
	s_delay_alu instid0(VALU_DEP_4) | instskip(NEXT) | instid1(VALU_DEP_4)
	v_fma_f64 v[31:32], v[37:38], v[31:32], s[78:79]
	v_add_f64 v[29:30], v[29:30], -v[39:40]
	s_delay_alu instid0(VALU_DEP_3) | instskip(NEXT) | instid1(VALU_DEP_3)
	v_add_f64 v[53:54], v[47:48], -v[51:52]
	v_fma_f64 v[31:32], v[37:38], v[31:32], s[80:81]
	v_add_f64 v[39:40], v[45:46], -v[51:52]
	s_delay_alu instid0(VALU_DEP_4) | instskip(NEXT) | instid1(VALU_DEP_4)
	v_add_f64 v[45:46], v[43:44], v[29:30]
	v_add_f64 v[41:42], v[41:42], -v[53:54]
	s_delay_alu instid0(VALU_DEP_4) | instskip(NEXT) | instid1(VALU_DEP_2)
	v_fma_f64 v[31:32], v[37:38], v[31:32], s[82:83]
	v_add_f64 v[39:40], v[39:40], v[41:42]
	s_delay_alu instid0(VALU_DEP_2) | instskip(SKIP_1) | instid1(VALU_DEP_3)
	v_fma_f64 v[31:32], v[37:38], v[31:32], s[84:85]
	v_add_f64 v[41:42], v[45:46], -v[43:44]
	v_add_f64 v[39:40], v[45:46], v[39:40]
	s_delay_alu instid0(VALU_DEP_3) | instskip(NEXT) | instid1(VALU_DEP_3)
	v_mul_f64 v[31:32], v[37:38], v[31:32]
	v_add_f64 v[37:38], v[45:46], -v[41:42]
	v_add_f64 v[29:30], v[29:30], -v[41:42]
	s_delay_alu instid0(VALU_DEP_4) | instskip(NEXT) | instid1(VALU_DEP_4)
	v_add_f64 v[45:46], v[47:48], v[39:40]
	v_fma_f64 v[27:28], v[27:28], v[31:32], v[27:28]
	s_delay_alu instid0(VALU_DEP_4) | instskip(NEXT) | instid1(VALU_DEP_3)
	v_add_f64 v[31:32], v[43:44], -v[37:38]
	v_add_f64 v[37:38], v[45:46], -v[47:48]
	s_delay_alu instid0(VALU_DEP_3) | instskip(NEXT) | instid1(VALU_DEP_3)
	v_add_f64 v[41:42], -v[27:28], s[86:87]
	v_add_f64 v[29:30], v[29:30], v[31:32]
	s_delay_alu instid0(VALU_DEP_3) | instskip(NEXT) | instid1(VALU_DEP_3)
	v_add_f64 v[31:32], v[39:40], -v[37:38]
	v_cndmask_b32_e64 v28, v28, v42, s4
	s_delay_alu instid0(VALU_DEP_4) | instskip(NEXT) | instid1(VALU_DEP_3)
	v_cndmask_b32_e64 v27, v27, v41, s4
	v_add_f64 v[29:30], v[29:30], v[31:32]
	s_delay_alu instid0(VALU_DEP_2) | instskip(SKIP_2) | instid1(VALU_DEP_4)
	v_add_f64 v[31:32], -v[27:28], s[14:15]
	v_and_b32_e32 v18, 0x54442d18, v13
	v_and_b32_e32 v13, 0x400921fb, v13
	v_add_f64 v[29:30], v[45:46], v[29:30]
	s_delay_alu instid0(VALU_DEP_4) | instskip(SKIP_2) | instid1(VALU_DEP_3)
	v_dual_cndmask_b32 v28, v28, v32 :: v_dual_cndmask_b32 v27, v27, v31
	v_cndmask_b32_e32 v31, 0x3fe921fb, v60, vcc_lo
	v_cmp_ngt_f64_e32 vcc_lo, 0, v[35:36]
	v_cndmask_b32_e64 v13, v28, v13, s6
	s_delay_alu instid0(VALU_DEP_4) | instskip(NEXT) | instid1(VALU_DEP_4)
	v_cndmask_b32_e64 v18, v27, v18, s6
	v_bfi_b32 v31, 0x7fffffff, v31, v16
	v_cndmask_b32_e64 v30, v30, v34, s5
	v_cndmask_b32_e64 v29, v29, v33, s5
	v_cmp_nge_f64_e64 s5, 0, v[35:36]
	s_delay_alu instid0(VALU_DEP_3) | instskip(NEXT) | instid1(VALU_DEP_3)
	v_cndmask_b32_e64 v30, v30, 0x7ff00000, s10
	v_cndmask_b32_e64 v27, v29, 0, s10
	s_delay_alu instid0(VALU_DEP_2) | instskip(SKIP_2) | instid1(VALU_DEP_3)
	v_cndmask_b32_e32 v28, 0x7ff80000, v30, vcc_lo
	s_and_b32 vcc_lo, s9, s8
	v_dual_cndmask_b32 v30, v13, v31 :: v_dual_cndmask_b32 v29, v18, v14
	v_cndmask_b32_e64 v27, 0, v27, s5
	v_cmp_neq_f64_e64 s5, 0, v[35:36]
	s_delay_alu instid0(VALU_DEP_1)
	v_cndmask_b32_e64 v28, 0xfff00000, v28, s5
.LBB180_170:                            ;   in Loop: Header=BB180_145 Depth=1
	s_or_b32 exec_lo, exec_lo, s7
                                        ; implicit-def: $vgpr33_vgpr34
.LBB180_171:                            ;   in Loop: Header=BB180_145 Depth=1
	s_and_not1_saveexec_b32 s7, s21
	s_cbranch_execz .LBB180_177
; %bb.172:                              ;   in Loop: Header=BB180_145 Depth=1
	s_mov_b32 s8, 0x6a3f9475
	s_mov_b32 s9, 0x20ca2fe7
                                        ; implicit-def: $vgpr27_vgpr28
                                        ; implicit-def: $vgpr29_vgpr30
	s_mov_b32 s5, exec_lo
	v_cmpx_ngt_f64_e32 s[8:9], v[33:34]
	s_xor_b32 s8, exec_lo, s5
	s_cbranch_execz .LBB180_174
; %bb.173:                              ;   in Loop: Header=BB180_145 Depth=1
	v_mul_f64 v[27:28], v[33:34], v[33:34]
	s_mov_b32 s99, s25
	s_mov_b32 s14, s86
	v_cmp_eq_f64_e64 s6, 0, v[15:16]
	v_cmp_class_f64_e64 s9, v[15:16], 0x204
	v_cmp_class_f64_e64 s10, v[13:14], 0x204
	v_cmp_gt_i32_e64 s5, 0, v14
	v_add_f64 v[29:30], v[27:28], 1.0
	s_delay_alu instid0(VALU_DEP_1) | instskip(SKIP_2) | instid1(VALU_DEP_3)
	v_frexp_mant_f64_e32 v[31:32], v[29:30]
	v_frexp_exp_i32_f64_e32 v18, v[29:30]
	v_add_f64 v[33:34], v[29:30], -1.0
	v_cmp_gt_f64_e32 vcc_lo, s[24:25], v[31:32]
	s_delay_alu instid0(VALU_DEP_2) | instskip(SKIP_2) | instid1(VALU_DEP_3)
	v_add_f64 v[31:32], v[33:34], -v[29:30]
	v_add_f64 v[33:34], v[27:28], -v[33:34]
	v_subrev_co_ci_u32_e32 v18, vcc_lo, 0, v18, vcc_lo
	v_add_f64 v[31:32], v[31:32], 1.0
	s_delay_alu instid0(VALU_DEP_2) | instskip(NEXT) | instid1(VALU_DEP_1)
	v_sub_nc_u32_e32 v37, 0, v18
	v_ldexp_f64 v[29:30], v[29:30], v37
	s_delay_alu instid0(VALU_DEP_3) | instskip(NEXT) | instid1(VALU_DEP_2)
	v_add_f64 v[31:32], v[33:34], v[31:32]
	v_add_f64 v[35:36], v[29:30], 1.0
	v_add_f64 v[41:42], v[29:30], -1.0
	s_delay_alu instid0(VALU_DEP_3) | instskip(NEXT) | instid1(VALU_DEP_3)
	v_ldexp_f64 v[31:32], v[31:32], v37
	v_add_f64 v[33:34], v[35:36], -1.0
	s_delay_alu instid0(VALU_DEP_3) | instskip(NEXT) | instid1(VALU_DEP_2)
	v_add_f64 v[43:44], v[41:42], 1.0
	v_add_f64 v[33:34], v[29:30], -v[33:34]
	s_delay_alu instid0(VALU_DEP_2) | instskip(NEXT) | instid1(VALU_DEP_2)
	v_add_f64 v[29:30], v[29:30], -v[43:44]
	v_add_f64 v[33:34], v[31:32], v[33:34]
	s_delay_alu instid0(VALU_DEP_2) | instskip(NEXT) | instid1(VALU_DEP_2)
	v_add_f64 v[29:30], v[31:32], v[29:30]
	v_add_f64 v[37:38], v[35:36], v[33:34]
	s_delay_alu instid0(VALU_DEP_2) | instskip(NEXT) | instid1(VALU_DEP_2)
	v_add_f64 v[43:44], v[41:42], v[29:30]
	v_rcp_f64_e32 v[39:40], v[37:38]
	v_add_f64 v[35:36], v[35:36], -v[37:38]
	s_delay_alu instid0(VALU_DEP_2) | instskip(NEXT) | instid1(VALU_DEP_2)
	v_add_f64 v[41:42], v[41:42], -v[43:44]
	v_add_f64 v[33:34], v[33:34], v[35:36]
	s_waitcnt_depctr 0xfff
	v_fma_f64 v[45:46], -v[37:38], v[39:40], 1.0
	v_add_f64 v[29:30], v[29:30], v[41:42]
	s_delay_alu instid0(VALU_DEP_2) | instskip(NEXT) | instid1(VALU_DEP_1)
	v_fma_f64 v[39:40], v[45:46], v[39:40], v[39:40]
	v_fma_f64 v[31:32], -v[37:38], v[39:40], 1.0
	s_delay_alu instid0(VALU_DEP_1) | instskip(NEXT) | instid1(VALU_DEP_1)
	v_fma_f64 v[31:32], v[31:32], v[39:40], v[39:40]
	v_mul_f64 v[39:40], v[43:44], v[31:32]
	s_delay_alu instid0(VALU_DEP_1) | instskip(NEXT) | instid1(VALU_DEP_1)
	v_mul_f64 v[45:46], v[37:38], v[39:40]
	v_fma_f64 v[35:36], v[39:40], v[37:38], -v[45:46]
	s_delay_alu instid0(VALU_DEP_1) | instskip(NEXT) | instid1(VALU_DEP_1)
	v_fma_f64 v[35:36], v[39:40], v[33:34], v[35:36]
	v_add_f64 v[47:48], v[45:46], v[35:36]
	s_delay_alu instid0(VALU_DEP_1) | instskip(SKIP_2) | instid1(VALU_DEP_3)
	v_add_f64 v[49:50], v[43:44], -v[47:48]
	v_add_f64 v[41:42], v[47:48], -v[45:46]
	v_max_f64 v[45:46], |v[15:16]|, |v[15:16]|
	v_add_f64 v[43:44], v[43:44], -v[49:50]
	s_delay_alu instid0(VALU_DEP_3) | instskip(NEXT) | instid1(VALU_DEP_2)
	v_add_f64 v[35:36], v[41:42], -v[35:36]
	v_add_f64 v[43:44], v[43:44], -v[47:48]
	v_max_f64 v[47:48], |v[13:14]|, |v[13:14]|
	s_delay_alu instid0(VALU_DEP_2) | instskip(NEXT) | instid1(VALU_DEP_2)
	v_add_f64 v[29:30], v[29:30], v[43:44]
	v_max_f64 v[51:52], v[47:48], v[45:46]
	v_min_f64 v[45:46], v[47:48], v[45:46]
	s_delay_alu instid0(VALU_DEP_3) | instskip(NEXT) | instid1(VALU_DEP_1)
	v_add_f64 v[29:30], v[35:36], v[29:30]
	v_add_f64 v[35:36], v[49:50], v[29:30]
	s_delay_alu instid0(VALU_DEP_1) | instskip(SKIP_1) | instid1(VALU_DEP_2)
	v_mul_f64 v[41:42], v[31:32], v[35:36]
	v_add_f64 v[49:50], v[49:50], -v[35:36]
	v_mul_f64 v[43:44], v[37:38], v[41:42]
	s_delay_alu instid0(VALU_DEP_2) | instskip(NEXT) | instid1(VALU_DEP_2)
	v_add_f64 v[29:30], v[29:30], v[49:50]
	v_fma_f64 v[37:38], v[41:42], v[37:38], -v[43:44]
	s_delay_alu instid0(VALU_DEP_1) | instskip(SKIP_1) | instid1(VALU_DEP_2)
	v_fma_f64 v[33:34], v[41:42], v[33:34], v[37:38]
	v_div_scale_f64 v[37:38], null, v[51:52], v[51:52], v[45:46]
	v_add_f64 v[47:48], v[43:44], v[33:34]
	s_delay_alu instid0(VALU_DEP_2) | instskip(NEXT) | instid1(VALU_DEP_1)
	v_rcp_f64_e32 v[53:54], v[37:38]
	v_add_f64 v[55:56], v[35:36], -v[47:48]
	v_add_f64 v[43:44], v[47:48], -v[43:44]
	s_waitcnt_depctr 0xfff
	v_fma_f64 v[57:58], -v[37:38], v[53:54], 1.0
	v_add_f64 v[35:36], v[35:36], -v[55:56]
	v_add_f64 v[33:34], v[43:44], -v[33:34]
	s_delay_alu instid0(VALU_DEP_3) | instskip(NEXT) | instid1(VALU_DEP_3)
	v_fma_f64 v[53:54], v[53:54], v[57:58], v[53:54]
	v_add_f64 v[35:36], v[35:36], -v[47:48]
	s_delay_alu instid0(VALU_DEP_2) | instskip(NEXT) | instid1(VALU_DEP_2)
	v_fma_f64 v[47:48], -v[37:38], v[53:54], 1.0
	v_add_f64 v[29:30], v[29:30], v[35:36]
	v_div_scale_f64 v[35:36], vcc_lo, v[45:46], v[51:52], v[45:46]
	s_delay_alu instid0(VALU_DEP_3) | instskip(SKIP_1) | instid1(VALU_DEP_4)
	v_fma_f64 v[43:44], v[53:54], v[47:48], v[53:54]
	v_add_f64 v[47:48], v[39:40], v[41:42]
	v_add_f64 v[29:30], v[33:34], v[29:30]
	s_delay_alu instid0(VALU_DEP_3) | instskip(NEXT) | instid1(VALU_DEP_3)
	v_mul_f64 v[33:34], v[35:36], v[43:44]
	v_add_f64 v[39:40], v[47:48], -v[39:40]
	s_delay_alu instid0(VALU_DEP_3) | instskip(NEXT) | instid1(VALU_DEP_3)
	v_add_f64 v[29:30], v[55:56], v[29:30]
	v_fma_f64 v[35:36], -v[37:38], v[33:34], v[35:36]
	s_delay_alu instid0(VALU_DEP_3) | instskip(NEXT) | instid1(VALU_DEP_3)
	v_add_f64 v[37:38], v[41:42], -v[39:40]
	v_mul_f64 v[29:30], v[31:32], v[29:30]
	s_delay_alu instid0(VALU_DEP_3) | instskip(SKIP_1) | instid1(VALU_DEP_3)
	v_div_fmas_f64 v[31:32], v[35:36], v[43:44], v[33:34]
	v_cmp_eq_f64_e32 vcc_lo, 0x7ff00000, v[27:28]
	v_add_f64 v[29:30], v[37:38], v[29:30]
	s_delay_alu instid0(VALU_DEP_3) | instskip(NEXT) | instid1(VALU_DEP_2)
	v_div_fixup_f64 v[31:32], v[31:32], v[51:52], v[45:46]
	v_add_f64 v[33:34], v[47:48], v[29:30]
	s_delay_alu instid0(VALU_DEP_2) | instskip(NEXT) | instid1(VALU_DEP_2)
	v_mul_f64 v[35:36], v[31:32], v[31:32]
	v_mul_f64 v[37:38], v[33:34], v[33:34]
	s_delay_alu instid0(VALU_DEP_2) | instskip(NEXT) | instid1(VALU_DEP_2)
	v_fma_f64 v[39:40], v[35:36], s[48:49], s[46:47]
	v_fma_f64 v[41:42], v[37:38], s[28:29], s[26:27]
	v_mul_f64 v[43:44], v[33:34], v[37:38]
	s_delay_alu instid0(VALU_DEP_3) | instskip(NEXT) | instid1(VALU_DEP_3)
	v_fma_f64 v[39:40], v[35:36], v[39:40], s[50:51]
	v_fma_f64 v[41:42], v[37:38], v[41:42], s[34:35]
	s_delay_alu instid0(VALU_DEP_2) | instskip(NEXT) | instid1(VALU_DEP_2)
	v_fma_f64 v[39:40], v[35:36], v[39:40], s[52:53]
	v_fma_f64 v[41:42], v[37:38], v[41:42], s[36:37]
	s_delay_alu instid0(VALU_DEP_2) | instskip(NEXT) | instid1(VALU_DEP_2)
	;; [unrolled: 3-line block ×4, first 2 shown]
	v_fma_f64 v[39:40], v[35:36], v[39:40], s[58:59]
	v_fma_f64 v[37:38], v[37:38], v[41:42], s[98:99]
	v_ldexp_f64 v[41:42], v[33:34], 1
	v_add_f64 v[33:34], v[33:34], -v[47:48]
	s_delay_alu instid0(VALU_DEP_4) | instskip(NEXT) | instid1(VALU_DEP_4)
	v_fma_f64 v[39:40], v[35:36], v[39:40], s[60:61]
	v_mul_f64 v[37:38], v[43:44], v[37:38]
	v_cvt_f64_i32_e32 v[43:44], v18
	s_delay_alu instid0(VALU_DEP_4) | instskip(NEXT) | instid1(VALU_DEP_4)
	v_add_f64 v[29:30], v[29:30], -v[33:34]
	v_fma_f64 v[39:40], v[35:36], v[39:40], s[62:63]
	v_ashrrev_i32_e32 v18, 31, v14
	v_add_f64 v[45:46], v[41:42], v[37:38]
	v_mul_f64 v[47:48], v[43:44], s[42:43]
	v_ldexp_f64 v[29:30], v[29:30], 1
	v_fma_f64 v[39:40], v[35:36], v[39:40], s[64:65]
	s_delay_alu instid0(VALU_DEP_4) | instskip(NEXT) | instid1(VALU_DEP_4)
	v_add_f64 v[33:34], v[45:46], -v[41:42]
	v_fma_f64 v[41:42], v[43:44], s[42:43], -v[47:48]
	s_delay_alu instid0(VALU_DEP_3) | instskip(NEXT) | instid1(VALU_DEP_3)
	v_fma_f64 v[39:40], v[35:36], v[39:40], s[66:67]
	v_add_f64 v[33:34], v[37:38], -v[33:34]
	s_delay_alu instid0(VALU_DEP_2) | instskip(NEXT) | instid1(VALU_DEP_4)
	v_fma_f64 v[37:38], v[35:36], v[39:40], s[68:69]
	v_fma_f64 v[39:40], v[43:44], s[44:45], v[41:42]
	s_delay_alu instid0(VALU_DEP_3) | instskip(NEXT) | instid1(VALU_DEP_3)
	v_add_f64 v[29:30], v[29:30], v[33:34]
	v_fma_f64 v[33:34], v[35:36], v[37:38], s[70:71]
	s_delay_alu instid0(VALU_DEP_3) | instskip(NEXT) | instid1(VALU_DEP_3)
	v_add_f64 v[37:38], v[47:48], v[39:40]
	v_add_f64 v[41:42], v[45:46], v[29:30]
	s_delay_alu instid0(VALU_DEP_3) | instskip(NEXT) | instid1(VALU_DEP_3)
	v_fma_f64 v[33:34], v[35:36], v[33:34], s[72:73]
	v_add_f64 v[47:48], v[37:38], -v[47:48]
	s_delay_alu instid0(VALU_DEP_3) | instskip(SKIP_1) | instid1(VALU_DEP_4)
	v_add_f64 v[43:44], v[37:38], v[41:42]
	v_add_f64 v[45:46], v[41:42], -v[45:46]
	v_fma_f64 v[33:34], v[35:36], v[33:34], s[74:75]
	s_delay_alu instid0(VALU_DEP_4) | instskip(NEXT) | instid1(VALU_DEP_4)
	v_add_f64 v[39:40], v[39:40], -v[47:48]
	v_add_f64 v[49:50], v[43:44], -v[37:38]
	s_delay_alu instid0(VALU_DEP_4) | instskip(NEXT) | instid1(VALU_DEP_4)
	v_add_f64 v[29:30], v[29:30], -v[45:46]
	v_fma_f64 v[33:34], v[35:36], v[33:34], s[76:77]
	s_delay_alu instid0(VALU_DEP_3) | instskip(SKIP_1) | instid1(VALU_DEP_4)
	v_add_f64 v[51:52], v[43:44], -v[49:50]
	v_add_f64 v[41:42], v[41:42], -v[49:50]
	v_add_f64 v[45:46], v[39:40], v[29:30]
	s_delay_alu instid0(VALU_DEP_4) | instskip(NEXT) | instid1(VALU_DEP_4)
	v_fma_f64 v[33:34], v[35:36], v[33:34], s[78:79]
	v_add_f64 v[37:38], v[37:38], -v[51:52]
	s_delay_alu instid0(VALU_DEP_2) | instskip(NEXT) | instid1(VALU_DEP_2)
	v_fma_f64 v[33:34], v[35:36], v[33:34], s[80:81]
	v_add_f64 v[37:38], v[41:42], v[37:38]
	v_add_f64 v[41:42], v[45:46], -v[39:40]
	s_delay_alu instid0(VALU_DEP_3) | instskip(NEXT) | instid1(VALU_DEP_3)
	v_fma_f64 v[33:34], v[35:36], v[33:34], s[82:83]
	v_add_f64 v[37:38], v[45:46], v[37:38]
	s_delay_alu instid0(VALU_DEP_3) | instskip(SKIP_1) | instid1(VALU_DEP_4)
	v_add_f64 v[45:46], v[45:46], -v[41:42]
	v_add_f64 v[29:30], v[29:30], -v[41:42]
	v_fma_f64 v[33:34], v[35:36], v[33:34], s[84:85]
	s_delay_alu instid0(VALU_DEP_4) | instskip(NEXT) | instid1(VALU_DEP_2)
	v_add_f64 v[47:48], v[43:44], v[37:38]
	v_mul_f64 v[33:34], v[35:36], v[33:34]
	v_add_f64 v[35:36], v[39:40], -v[45:46]
	s_delay_alu instid0(VALU_DEP_3) | instskip(NEXT) | instid1(VALU_DEP_3)
	v_add_f64 v[39:40], v[47:48], -v[43:44]
	v_fma_f64 v[31:32], v[31:32], v[33:34], v[31:32]
	s_delay_alu instid0(VALU_DEP_3) | instskip(NEXT) | instid1(VALU_DEP_3)
	v_add_f64 v[29:30], v[29:30], v[35:36]
	v_add_f64 v[33:34], v[37:38], -v[39:40]
	s_delay_alu instid0(VALU_DEP_3) | instskip(NEXT) | instid1(VALU_DEP_2)
	v_add_f64 v[35:36], -v[31:32], s[86:87]
	v_add_f64 v[29:30], v[29:30], v[33:34]
	s_delay_alu instid0(VALU_DEP_2) | instskip(NEXT) | instid1(VALU_DEP_3)
	v_cndmask_b32_e64 v32, v32, v36, s4
	v_cndmask_b32_e64 v31, v31, v35, s4
	;; [unrolled: 1-line block ×3, first 2 shown]
	s_delay_alu instid0(VALU_DEP_2) | instskip(SKIP_2) | instid1(VALU_DEP_3)
	v_add_f64 v[33:34], -v[31:32], s[14:15]
	v_add_f64 v[29:30], v[47:48], v[29:30]
	v_and_b32_e32 v36, 0x54442d18, v18
	v_cndmask_b32_e64 v31, v31, v33, s5
	s_delay_alu instid0(VALU_DEP_3) | instskip(NEXT) | instid1(VALU_DEP_2)
	v_cndmask_b32_e32 v13, v29, v27, vcc_lo
	v_cndmask_b32_e64 v29, v31, v36, s6
	v_cndmask_b32_e32 v14, v30, v28, vcc_lo
	s_and_b32 vcc_lo, s9, s10
	s_delay_alu instid0(VALU_DEP_2) | instskip(NEXT) | instid1(VALU_DEP_2)
	v_cndmask_b32_e32 v29, v29, v35, vcc_lo
	v_mul_f64 v[27:28], v[13:14], 0.5
	v_cndmask_b32_e64 v13, 0x3fe921fb, v60, s5
	v_and_b32_e32 v14, 0x400921fb, v18
	v_cndmask_b32_e64 v18, v32, v34, s5
                                        ; implicit-def: $vgpr33_vgpr34
	s_delay_alu instid0(VALU_DEP_3) | instskip(NEXT) | instid1(VALU_DEP_2)
	v_bfi_b32 v13, 0x7fffffff, v13, v16
	v_cndmask_b32_e64 v14, v18, v14, s6
	s_delay_alu instid0(VALU_DEP_1)
	v_cndmask_b32_e32 v30, v14, v13, vcc_lo
.LBB180_174:                            ;   in Loop: Header=BB180_145 Depth=1
	s_and_not1_saveexec_b32 s6, s8
	s_cbranch_execz .LBB180_176
; %bb.175:                              ;   in Loop: Header=BB180_145 Depth=1
	v_max_f64 v[27:28], |v[15:16]|, |v[15:16]|
	v_max_f64 v[29:30], |v[13:14]|, |v[13:14]|
	s_mov_b32 s14, s86
	v_cmp_eq_f64_e64 s5, 0, v[15:16]
	v_cmp_class_f64_e64 s8, v[15:16], 0x204
	v_cmp_class_f64_e64 s9, v[13:14], 0x204
	v_ashrrev_i32_e32 v18, 31, v14
	v_max_f64 v[31:32], v[29:30], v[27:28]
	v_min_f64 v[27:28], v[29:30], v[27:28]
	s_delay_alu instid0(VALU_DEP_1) | instskip(SKIP_1) | instid1(VALU_DEP_2)
	v_div_scale_f64 v[29:30], null, v[31:32], v[31:32], v[27:28]
	v_div_scale_f64 v[39:40], vcc_lo, v[27:28], v[31:32], v[27:28]
	v_rcp_f64_e32 v[35:36], v[29:30]
	s_waitcnt_depctr 0xfff
	v_fma_f64 v[37:38], -v[29:30], v[35:36], 1.0
	s_delay_alu instid0(VALU_DEP_1) | instskip(NEXT) | instid1(VALU_DEP_1)
	v_fma_f64 v[35:36], v[35:36], v[37:38], v[35:36]
	v_fma_f64 v[37:38], -v[29:30], v[35:36], 1.0
	s_delay_alu instid0(VALU_DEP_1) | instskip(NEXT) | instid1(VALU_DEP_1)
	v_fma_f64 v[35:36], v[35:36], v[37:38], v[35:36]
	v_mul_f64 v[37:38], v[39:40], v[35:36]
	s_delay_alu instid0(VALU_DEP_1) | instskip(NEXT) | instid1(VALU_DEP_1)
	v_fma_f64 v[29:30], -v[29:30], v[37:38], v[39:40]
	v_div_fmas_f64 v[29:30], v[29:30], v[35:36], v[37:38]
	v_cmp_gt_i32_e32 vcc_lo, 0, v14
	v_and_b32_e32 v36, 0x54442d18, v18
	v_and_b32_e32 v14, 0x400921fb, v18
	v_cndmask_b32_e32 v35, 0x54442d18, v59, vcc_lo
	v_cndmask_b32_e32 v13, 0x3fe921fb, v60, vcc_lo
	s_delay_alu instid0(VALU_DEP_1) | instskip(SKIP_1) | instid1(VALU_DEP_1)
	v_bfi_b32 v13, 0x7fffffff, v13, v16
	v_div_fixup_f64 v[27:28], v[29:30], v[31:32], v[27:28]
	v_mul_f64 v[29:30], v[27:28], v[27:28]
	s_delay_alu instid0(VALU_DEP_1) | instskip(NEXT) | instid1(VALU_DEP_1)
	v_fma_f64 v[31:32], v[29:30], s[48:49], s[46:47]
	v_fma_f64 v[31:32], v[29:30], v[31:32], s[50:51]
	s_delay_alu instid0(VALU_DEP_1) | instskip(NEXT) | instid1(VALU_DEP_1)
	v_fma_f64 v[31:32], v[29:30], v[31:32], s[52:53]
	v_fma_f64 v[31:32], v[29:30], v[31:32], s[54:55]
	;; [unrolled: 3-line block ×9, first 2 shown]
	s_delay_alu instid0(VALU_DEP_1) | instskip(NEXT) | instid1(VALU_DEP_1)
	v_fma_f64 v[31:32], v[29:30], v[31:32], s[84:85]
	v_mul_f64 v[29:30], v[29:30], v[31:32]
	s_delay_alu instid0(VALU_DEP_1) | instskip(NEXT) | instid1(VALU_DEP_1)
	v_fma_f64 v[27:28], v[27:28], v[29:30], v[27:28]
	v_add_f64 v[29:30], -v[27:28], s[86:87]
	s_delay_alu instid0(VALU_DEP_1) | instskip(NEXT) | instid1(VALU_DEP_2)
	v_cndmask_b32_e64 v30, v28, v30, s4
	v_cndmask_b32_e64 v29, v27, v29, s4
	v_mul_f64 v[27:28], v[33:34], 0.5
	s_delay_alu instid0(VALU_DEP_2) | instskip(NEXT) | instid1(VALU_DEP_2)
	v_add_f64 v[31:32], -v[29:30], s[14:15]
	v_mul_f64 v[27:28], v[33:34], v[27:28]
	s_delay_alu instid0(VALU_DEP_2) | instskip(NEXT) | instid1(VALU_DEP_1)
	v_cndmask_b32_e32 v29, v29, v31, vcc_lo
	v_cndmask_b32_e64 v29, v29, v36, s5
	s_delay_alu instid0(VALU_DEP_4) | instskip(SKIP_1) | instid1(VALU_DEP_2)
	v_cndmask_b32_e32 v18, v30, v32, vcc_lo
	s_and_b32 vcc_lo, s8, s9
	v_cndmask_b32_e32 v29, v29, v35, vcc_lo
	s_delay_alu instid0(VALU_DEP_2) | instskip(NEXT) | instid1(VALU_DEP_1)
	v_cndmask_b32_e64 v14, v18, v14, s5
	v_cndmask_b32_e32 v30, v14, v13, vcc_lo
.LBB180_176:                            ;   in Loop: Header=BB180_145 Depth=1
	s_or_b32 exec_lo, exec_lo, s6
.LBB180_177:                            ;   in Loop: Header=BB180_145 Depth=1
	s_delay_alu instid0(SALU_CYCLE_1)
	s_or_b32 exec_lo, exec_lo, s7
.LBB180_178:                            ;   in Loop: Header=BB180_145 Depth=1
	s_and_not1_saveexec_b32 s7, s20
	s_cbranch_execz .LBB180_180
; %bb.179:                              ;   in Loop: Header=BB180_145 Depth=1
	v_div_scale_f64 v[27:28], null, s[92:93], s[92:93], v[13:14]
	v_div_scale_f64 v[29:30], null, s[92:93], s[92:93], v[15:16]
	v_div_scale_f64 v[39:40], vcc_lo, v[13:14], s[92:93], v[13:14]
	v_max_f64 v[45:46], |v[13:14]|, |v[13:14]|
	s_mov_b32 s99, s25
	s_mov_b32 s14, s86
	s_delay_alu instid0(VALU_DEP_4) | instskip(NEXT) | instid1(VALU_DEP_3)
	v_rcp_f64_e32 v[31:32], v[27:28]
	v_rcp_f64_e32 v[33:34], v[29:30]
	s_waitcnt_depctr 0xfff
	v_fma_f64 v[35:36], -v[27:28], v[31:32], 1.0
	v_fma_f64 v[37:38], -v[29:30], v[33:34], 1.0
	s_delay_alu instid0(VALU_DEP_2) | instskip(NEXT) | instid1(VALU_DEP_2)
	v_fma_f64 v[31:32], v[31:32], v[35:36], v[31:32]
	v_fma_f64 v[33:34], v[33:34], v[37:38], v[33:34]
	s_delay_alu instid0(VALU_DEP_2) | instskip(NEXT) | instid1(VALU_DEP_2)
	v_fma_f64 v[35:36], -v[27:28], v[31:32], 1.0
	v_fma_f64 v[37:38], -v[29:30], v[33:34], 1.0
	s_delay_alu instid0(VALU_DEP_2) | instskip(SKIP_1) | instid1(VALU_DEP_3)
	v_fma_f64 v[31:32], v[31:32], v[35:36], v[31:32]
	v_div_scale_f64 v[35:36], s5, v[15:16], s[92:93], v[15:16]
	v_fma_f64 v[33:34], v[33:34], v[37:38], v[33:34]
	s_delay_alu instid0(VALU_DEP_3) | instskip(NEXT) | instid1(VALU_DEP_2)
	v_mul_f64 v[37:38], v[39:40], v[31:32]
	v_mul_f64 v[41:42], v[35:36], v[33:34]
	s_delay_alu instid0(VALU_DEP_2) | instskip(NEXT) | instid1(VALU_DEP_2)
	v_fma_f64 v[27:28], -v[27:28], v[37:38], v[39:40]
	v_fma_f64 v[29:30], -v[29:30], v[41:42], v[35:36]
	s_delay_alu instid0(VALU_DEP_2) | instskip(SKIP_1) | instid1(VALU_DEP_2)
	v_div_fmas_f64 v[27:28], v[27:28], v[31:32], v[37:38]
	s_mov_b32 vcc_lo, s5
	v_div_fmas_f64 v[29:30], v[29:30], v[33:34], v[41:42]
	s_delay_alu instid0(VALU_DEP_2) | instskip(NEXT) | instid1(VALU_DEP_2)
	v_div_fixup_f64 v[27:28], v[27:28], s[92:93], v[13:14]
	v_div_fixup_f64 v[29:30], v[29:30], s[92:93], v[15:16]
	s_delay_alu instid0(VALU_DEP_2) | instskip(NEXT) | instid1(VALU_DEP_2)
	v_cmp_class_f64_e64 s6, v[27:28], 0x204
	v_max_f64 v[31:32], |v[27:28]|, |v[29:30]|
	v_cmp_o_f64_e64 s5, v[27:28], v[29:30]
	v_cmp_class_f64_e64 s8, v[29:30], 0x204
	s_delay_alu instid0(VALU_DEP_3) | instskip(NEXT) | instid1(VALU_DEP_2)
	v_frexp_exp_i32_f64_e32 v18, v[31:32]
	s_or_b32 s8, s8, s6
	s_delay_alu instid0(VALU_DEP_1) | instskip(NEXT) | instid1(VALU_DEP_1)
	v_sub_nc_u32_e32 v33, 0, v18
	v_ldexp_f64 v[31:32], |v[29:30]|, v33
	v_ldexp_f64 v[33:34], |v[27:28]|, v33
	s_delay_alu instid0(VALU_DEP_2) | instskip(NEXT) | instid1(VALU_DEP_1)
	v_mul_f64 v[31:32], v[31:32], v[31:32]
	v_fma_f64 v[31:32], v[33:34], v[33:34], v[31:32]
	s_delay_alu instid0(VALU_DEP_1) | instskip(SKIP_4) | instid1(VALU_DEP_1)
	v_rsq_f64_e32 v[33:34], v[31:32]
	v_cmp_eq_f64_e32 vcc_lo, 0, v[31:32]
	s_waitcnt_depctr 0xfff
	v_mul_f64 v[35:36], v[31:32], v[33:34]
	v_mul_f64 v[33:34], v[33:34], 0.5
	v_fma_f64 v[37:38], -v[33:34], v[35:36], 0.5
	s_delay_alu instid0(VALU_DEP_1) | instskip(SKIP_1) | instid1(VALU_DEP_2)
	v_fma_f64 v[35:36], v[35:36], v[37:38], v[35:36]
	v_fma_f64 v[33:34], v[33:34], v[37:38], v[33:34]
	v_fma_f64 v[37:38], -v[35:36], v[35:36], v[31:32]
	s_delay_alu instid0(VALU_DEP_1) | instskip(NEXT) | instid1(VALU_DEP_1)
	v_fma_f64 v[33:34], v[37:38], v[33:34], v[35:36]
	v_dual_cndmask_b32 v32, v34, v32 :: v_dual_cndmask_b32 v31, v33, v31
	s_delay_alu instid0(VALU_DEP_1) | instskip(NEXT) | instid1(VALU_DEP_1)
	v_ldexp_f64 v[31:32], v[31:32], v18
	v_cndmask_b32_e64 v27, 0, v31, s5
	s_delay_alu instid0(VALU_DEP_2) | instskip(SKIP_1) | instid1(VALU_DEP_3)
	v_cndmask_b32_e64 v57, 0x7ff80000, v32, s5
	v_and_b32_e32 v32, 0x7fffffff, v32
	v_cndmask_b32_e64 v28, v27, 0, s8
	s_delay_alu instid0(VALU_DEP_3) | instskip(NEXT) | instid1(VALU_DEP_1)
	v_cndmask_b32_e64 v29, v57, 0x7ff00000, s8
	v_frexp_mant_f64_e32 v[33:34], v[28:29]
	s_delay_alu instid0(VALU_DEP_1) | instskip(NEXT) | instid1(VALU_DEP_1)
	v_cmp_gt_f64_e64 s6, s[24:25], v[33:34]
	v_cndmask_b32_e64 v18, 0x3ff00000, 2.0, s6
	s_delay_alu instid0(VALU_DEP_1) | instskip(SKIP_1) | instid1(VALU_DEP_2)
	v_mul_f64 v[33:34], v[33:34], v[17:18]
	v_frexp_exp_i32_f64_e32 v18, v[28:29]
	v_add_f64 v[35:36], v[33:34], 1.0
	v_add_f64 v[41:42], v[33:34], -1.0
	s_delay_alu instid0(VALU_DEP_2) | instskip(SKIP_1) | instid1(VALU_DEP_1)
	v_rcp_f64_e32 v[37:38], v[35:36]
	v_add_f64 v[47:48], v[35:36], -1.0
	v_add_f64 v[33:34], v[33:34], -v[47:48]
	s_waitcnt_depctr 0xfff
	v_fma_f64 v[39:40], -v[35:36], v[37:38], 1.0
	s_delay_alu instid0(VALU_DEP_1) | instskip(NEXT) | instid1(VALU_DEP_1)
	v_fma_f64 v[37:38], v[39:40], v[37:38], v[37:38]
	v_fma_f64 v[39:40], -v[35:36], v[37:38], 1.0
	s_delay_alu instid0(VALU_DEP_1) | instskip(SKIP_1) | instid1(VALU_DEP_2)
	v_fma_f64 v[37:38], v[39:40], v[37:38], v[37:38]
	v_max_f64 v[39:40], |v[15:16]|, |v[15:16]|
	v_mul_f64 v[43:44], v[41:42], v[37:38]
	s_delay_alu instid0(VALU_DEP_2) | instskip(SKIP_1) | instid1(VALU_DEP_3)
	v_max_f64 v[51:52], v[45:46], v[39:40]
	v_min_f64 v[39:40], v[45:46], v[39:40]
	v_mul_f64 v[49:50], v[35:36], v[43:44]
	s_delay_alu instid0(VALU_DEP_2) | instskip(NEXT) | instid1(VALU_DEP_2)
	v_div_scale_f64 v[45:46], null, v[51:52], v[51:52], v[39:40]
	v_fma_f64 v[35:36], v[43:44], v[35:36], -v[49:50]
	s_delay_alu instid0(VALU_DEP_1) | instskip(NEXT) | instid1(VALU_DEP_3)
	v_fma_f64 v[33:34], v[43:44], v[33:34], v[35:36]
	v_rcp_f64_e32 v[35:36], v[45:46]
	s_delay_alu instid0(VALU_DEP_1) | instskip(SKIP_4) | instid1(VALU_DEP_3)
	v_add_f64 v[47:48], v[49:50], v[33:34]
	s_waitcnt_depctr 0xfff
	v_fma_f64 v[53:54], -v[45:46], v[35:36], 1.0
	v_add_f64 v[55:56], v[41:42], -v[47:48]
	v_add_f64 v[49:50], v[47:48], -v[49:50]
	v_fma_f64 v[35:36], v[35:36], v[53:54], v[35:36]
	s_delay_alu instid0(VALU_DEP_3) | instskip(NEXT) | instid1(VALU_DEP_3)
	v_add_f64 v[41:42], v[41:42], -v[55:56]
	v_add_f64 v[33:34], v[49:50], -v[33:34]
	s_delay_alu instid0(VALU_DEP_3) | instskip(NEXT) | instid1(VALU_DEP_3)
	v_fma_f64 v[53:54], -v[45:46], v[35:36], 1.0
	v_add_f64 v[41:42], v[41:42], -v[47:48]
	v_div_scale_f64 v[47:48], vcc_lo, v[39:40], v[51:52], v[39:40]
	s_delay_alu instid0(VALU_DEP_3) | instskip(NEXT) | instid1(VALU_DEP_3)
	v_fma_f64 v[35:36], v[35:36], v[53:54], v[35:36]
	v_add_f64 v[33:34], v[33:34], v[41:42]
	s_delay_alu instid0(VALU_DEP_2) | instskip(NEXT) | instid1(VALU_DEP_2)
	v_mul_f64 v[41:42], v[47:48], v[35:36]
	v_add_f64 v[33:34], v[55:56], v[33:34]
	s_delay_alu instid0(VALU_DEP_2) | instskip(NEXT) | instid1(VALU_DEP_2)
	v_fma_f64 v[45:46], -v[45:46], v[41:42], v[47:48]
	v_mul_f64 v[33:34], v[37:38], v[33:34]
	s_delay_alu instid0(VALU_DEP_2)
	v_div_fmas_f64 v[35:36], v[45:46], v[35:36], v[41:42]
	v_subrev_co_ci_u32_e64 v18, vcc_lo, 0, v18, s6
	v_cmp_eq_f64_e32 vcc_lo, 0x7ff00000, v[31:32]
	v_cmp_class_f64_e64 s6, v[13:14], 0x204
	v_add_f64 v[37:38], v[43:44], v[33:34]
	v_div_fixup_f64 v[35:36], v[35:36], v[51:52], v[39:40]
	s_and_b32 vcc_lo, s5, vcc_lo
	v_cmp_class_f64_e64 s5, v[15:16], 0x204
	s_delay_alu instid0(VALU_DEP_3) | instskip(NEXT) | instid1(VALU_DEP_3)
	v_mul_f64 v[39:40], v[37:38], v[37:38]
	v_mul_f64 v[41:42], v[35:36], v[35:36]
	s_delay_alu instid0(VALU_DEP_2) | instskip(SKIP_1) | instid1(VALU_DEP_3)
	v_fma_f64 v[45:46], v[39:40], s[28:29], s[26:27]
	v_mul_f64 v[49:50], v[37:38], v[39:40]
	v_fma_f64 v[47:48], v[41:42], s[48:49], s[46:47]
	s_delay_alu instid0(VALU_DEP_3) | instskip(NEXT) | instid1(VALU_DEP_2)
	v_fma_f64 v[45:46], v[39:40], v[45:46], s[34:35]
	v_fma_f64 v[47:48], v[41:42], v[47:48], s[50:51]
	s_delay_alu instid0(VALU_DEP_2) | instskip(NEXT) | instid1(VALU_DEP_2)
	v_fma_f64 v[45:46], v[39:40], v[45:46], s[36:37]
	v_fma_f64 v[47:48], v[41:42], v[47:48], s[52:53]
	s_delay_alu instid0(VALU_DEP_2) | instskip(NEXT) | instid1(VALU_DEP_2)
	;; [unrolled: 3-line block ×4, first 2 shown]
	v_fma_f64 v[39:40], v[39:40], v[45:46], s[98:99]
	v_fma_f64 v[45:46], v[41:42], v[47:48], s[58:59]
	v_ldexp_f64 v[47:48], v[37:38], 1
	v_add_f64 v[37:38], v[37:38], -v[43:44]
	s_delay_alu instid0(VALU_DEP_4)
	v_mul_f64 v[39:40], v[49:50], v[39:40]
	v_cvt_f64_i32_e32 v[49:50], v18
	v_ashrrev_i32_e32 v18, 31, v14
	v_fma_f64 v[45:46], v[41:42], v[45:46], s[60:61]
	v_add_f64 v[33:34], v[33:34], -v[37:38]
	v_add_f64 v[43:44], v[47:48], v[39:40]
	v_mul_f64 v[51:52], v[49:50], s[42:43]
	s_delay_alu instid0(VALU_DEP_4) | instskip(NEXT) | instid1(VALU_DEP_4)
	v_fma_f64 v[45:46], v[41:42], v[45:46], s[62:63]
	v_ldexp_f64 v[33:34], v[33:34], 1
	s_delay_alu instid0(VALU_DEP_4) | instskip(NEXT) | instid1(VALU_DEP_4)
	v_add_f64 v[37:38], v[43:44], -v[47:48]
	v_fma_f64 v[47:48], v[49:50], s[42:43], -v[51:52]
	s_delay_alu instid0(VALU_DEP_4) | instskip(NEXT) | instid1(VALU_DEP_3)
	v_fma_f64 v[45:46], v[41:42], v[45:46], s[64:65]
	v_add_f64 v[37:38], v[39:40], -v[37:38]
	s_delay_alu instid0(VALU_DEP_2) | instskip(NEXT) | instid1(VALU_DEP_4)
	v_fma_f64 v[39:40], v[41:42], v[45:46], s[66:67]
	v_fma_f64 v[45:46], v[49:50], s[44:45], v[47:48]
	s_delay_alu instid0(VALU_DEP_3) | instskip(NEXT) | instid1(VALU_DEP_3)
	v_add_f64 v[33:34], v[33:34], v[37:38]
	v_fma_f64 v[37:38], v[41:42], v[39:40], s[68:69]
	s_delay_alu instid0(VALU_DEP_3) | instskip(NEXT) | instid1(VALU_DEP_3)
	v_add_f64 v[39:40], v[51:52], v[45:46]
	v_add_f64 v[47:48], v[43:44], v[33:34]
	s_delay_alu instid0(VALU_DEP_3) | instskip(NEXT) | instid1(VALU_DEP_3)
	v_fma_f64 v[37:38], v[41:42], v[37:38], s[70:71]
	v_add_f64 v[51:52], v[39:40], -v[51:52]
	s_delay_alu instid0(VALU_DEP_3) | instskip(SKIP_1) | instid1(VALU_DEP_4)
	v_add_f64 v[49:50], v[39:40], v[47:48]
	v_add_f64 v[43:44], v[47:48], -v[43:44]
	v_fma_f64 v[37:38], v[41:42], v[37:38], s[72:73]
	s_delay_alu instid0(VALU_DEP_4) | instskip(NEXT) | instid1(VALU_DEP_4)
	v_add_f64 v[45:46], v[45:46], -v[51:52]
	v_add_f64 v[53:54], v[49:50], -v[39:40]
	s_delay_alu instid0(VALU_DEP_4) | instskip(NEXT) | instid1(VALU_DEP_4)
	v_add_f64 v[33:34], v[33:34], -v[43:44]
	v_fma_f64 v[37:38], v[41:42], v[37:38], s[74:75]
	s_delay_alu instid0(VALU_DEP_3) | instskip(SKIP_1) | instid1(VALU_DEP_4)
	v_add_f64 v[55:56], v[49:50], -v[53:54]
	v_add_f64 v[43:44], v[47:48], -v[53:54]
	v_add_f64 v[47:48], v[45:46], v[33:34]
	s_delay_alu instid0(VALU_DEP_4) | instskip(NEXT) | instid1(VALU_DEP_4)
	v_fma_f64 v[37:38], v[41:42], v[37:38], s[76:77]
	v_add_f64 v[39:40], v[39:40], -v[55:56]
	s_delay_alu instid0(VALU_DEP_2) | instskip(NEXT) | instid1(VALU_DEP_2)
	v_fma_f64 v[37:38], v[41:42], v[37:38], s[78:79]
	v_add_f64 v[39:40], v[43:44], v[39:40]
	v_add_f64 v[43:44], v[47:48], -v[45:46]
	s_delay_alu instid0(VALU_DEP_3) | instskip(NEXT) | instid1(VALU_DEP_3)
	v_fma_f64 v[37:38], v[41:42], v[37:38], s[80:81]
	v_add_f64 v[39:40], v[47:48], v[39:40]
	s_delay_alu instid0(VALU_DEP_3) | instskip(SKIP_1) | instid1(VALU_DEP_4)
	v_add_f64 v[47:48], v[47:48], -v[43:44]
	v_add_f64 v[33:34], v[33:34], -v[43:44]
	v_fma_f64 v[37:38], v[41:42], v[37:38], s[82:83]
	s_delay_alu instid0(VALU_DEP_4) | instskip(NEXT) | instid1(VALU_DEP_4)
	v_add_f64 v[51:52], v[49:50], v[39:40]
	v_add_f64 v[43:44], v[45:46], -v[47:48]
	s_delay_alu instid0(VALU_DEP_3) | instskip(NEXT) | instid1(VALU_DEP_3)
	v_fma_f64 v[37:38], v[41:42], v[37:38], s[84:85]
	v_add_f64 v[45:46], v[51:52], -v[49:50]
	s_delay_alu instid0(VALU_DEP_3) | instskip(NEXT) | instid1(VALU_DEP_3)
	v_add_f64 v[33:34], v[33:34], v[43:44]
	v_mul_f64 v[37:38], v[41:42], v[37:38]
	s_delay_alu instid0(VALU_DEP_3) | instskip(NEXT) | instid1(VALU_DEP_2)
	v_add_f64 v[39:40], v[39:40], -v[45:46]
	v_fma_f64 v[35:36], v[35:36], v[37:38], v[35:36]
	s_delay_alu instid0(VALU_DEP_2) | instskip(NEXT) | instid1(VALU_DEP_2)
	v_add_f64 v[33:34], v[33:34], v[39:40]
	v_add_f64 v[37:38], -v[35:36], s[86:87]
	s_delay_alu instid0(VALU_DEP_2) | instskip(NEXT) | instid1(VALU_DEP_2)
	v_add_f64 v[30:31], v[51:52], v[33:34]
	v_cndmask_b32_e64 v33, v36, v38, s4
	s_delay_alu instid0(VALU_DEP_3) | instskip(SKIP_1) | instid1(VALU_DEP_2)
	v_cndmask_b32_e64 v32, v35, v37, s4
	v_cmp_eq_f64_e64 s4, 0, v[15:16]
	v_add_f64 v[34:35], -v[32:33], s[14:15]
	v_dual_cndmask_b32 v31, v31, v57 :: v_dual_cndmask_b32 v30, v30, v27
	v_and_b32_e32 v27, 0x54442d18, v18
	v_cmp_gt_i32_e32 vcc_lo, 0, v14
	s_delay_alu instid0(VALU_DEP_3) | instskip(SKIP_3) | instid1(VALU_DEP_2)
	v_add_f64 v[30:31], v[30:31], 1.0
	v_cndmask_b32_e32 v36, 0x54442d18, v59, vcc_lo
	v_cndmask_b32_e32 v32, v32, v34, vcc_lo
	;; [unrolled: 1-line block ×3, first 2 shown]
	v_cndmask_b32_e64 v32, v32, v27, s4
	v_and_b32_e32 v14, 0x400921fb, v18
	v_cndmask_b32_e32 v18, v33, v35, vcc_lo
	v_cmp_ngt_f64_e32 vcc_lo, 0, v[28:29]
	v_bfi_b32 v13, 0x7fffffff, v13, v16
	s_delay_alu instid0(VALU_DEP_3) | instskip(SKIP_3) | instid1(VALU_DEP_1)
	v_cndmask_b32_e64 v14, v18, v14, s4
	v_cmp_nge_f64_e64 s4, 0, v[28:29]
	v_cndmask_b32_e64 v18, v30, 0, s8
	v_cndmask_b32_e64 v31, v31, 0x7ff00000, s8
	v_cndmask_b32_e32 v31, 0x7ff80000, v31, vcc_lo
	s_and_b32 vcc_lo, s5, s6
	v_cndmask_b32_e32 v30, v14, v13, vcc_lo
	v_cndmask_b32_e64 v27, 0, v18, s4
	v_cmp_neq_f64_e64 s4, 0, v[28:29]
	v_cndmask_b32_e32 v29, v32, v36, vcc_lo
	s_delay_alu instid0(VALU_DEP_2)
	v_cndmask_b32_e64 v28, 0xfff00000, v31, s4
.LBB180_180:                            ;   in Loop: Header=BB180_145 Depth=1
	s_or_b32 exec_lo, exec_lo, s7
.LBB180_181:                            ;   in Loop: Header=BB180_145 Depth=1
	s_and_not1_saveexec_b32 s4, s89
	s_cbranch_execz .LBB180_187
; %bb.182:                              ;   in Loop: Header=BB180_145 Depth=1
	v_cmp_ngt_f64_e64 s5, 0x20000000, |v[13:14]|
	v_cmp_ngt_f64_e64 s6, 0x20000000, |v[15:16]|
                                        ; implicit-def: $vgpr31_vgpr32
	s_delay_alu instid0(VALU_DEP_1) | instskip(NEXT) | instid1(SALU_CYCLE_1)
	s_or_b32 s5, s6, s5
	s_and_saveexec_b32 s6, s5
	s_delay_alu instid0(SALU_CYCLE_1)
	s_xor_b32 s5, exec_lo, s6
; %bb.183:                              ;   in Loop: Header=BB180_145 Depth=1
	v_mul_f64 v[13:14], v[13:14], v[13:14]
	s_delay_alu instid0(VALU_DEP_1)
	v_fma_f64 v[31:32], v[15:16], v[15:16], v[13:14]
; %bb.184:                              ;   in Loop: Header=BB180_145 Depth=1
	s_and_not1_saveexec_b32 s5, s5
; %bb.185:                              ;   in Loop: Header=BB180_145 Depth=1
	v_mul_f64 v[13:14], v[13:14], 4.0
	v_mul_f64 v[27:28], v[15:16], 4.0
	s_delay_alu instid0(VALU_DEP_2) | instskip(NEXT) | instid1(VALU_DEP_1)
	v_mul_f64 v[13:14], v[13:14], v[13:14]
	v_fma_f64 v[13:14], v[27:28], v[27:28], v[13:14]
	s_delay_alu instid0(VALU_DEP_1)
	v_ldexp_f64 v[31:32], v[13:14], -4
; %bb.186:                              ;   in Loop: Header=BB180_145 Depth=1
	s_or_b32 exec_lo, exec_lo, s5
	s_delay_alu instid0(VALU_DEP_1) | instskip(SKIP_2) | instid1(VALU_DEP_2)
	v_frexp_mant_f64_e32 v[13:14], v[31:32]
	s_mov_b32 s99, s25
	v_frexp_exp_i32_f64_e32 v15, v[31:32]
	v_cmp_gt_f64_e32 vcc_lo, s[24:25], v[13:14]
	v_cndmask_b32_e64 v18, 0x3ff00000, 2.0, vcc_lo
	s_delay_alu instid0(VALU_DEP_3) | instskip(SKIP_1) | instid1(VALU_DEP_3)
	v_subrev_co_ci_u32_e32 v15, vcc_lo, 0, v15, vcc_lo
	v_cmp_class_f64_e64 vcc_lo, v[31:32], 0x204
	v_mul_f64 v[13:14], v[13:14], v[17:18]
	s_delay_alu instid0(VALU_DEP_1) | instskip(SKIP_1) | instid1(VALU_DEP_2)
	v_add_f64 v[27:28], v[13:14], 1.0
	v_add_f64 v[35:36], v[13:14], -1.0
	v_rcp_f64_e32 v[29:30], v[27:28]
	v_add_f64 v[37:38], v[27:28], -1.0
	s_delay_alu instid0(VALU_DEP_1) | instskip(SKIP_2) | instid1(VALU_DEP_1)
	v_add_f64 v[13:14], v[13:14], -v[37:38]
	s_waitcnt_depctr 0xfff
	v_fma_f64 v[33:34], -v[27:28], v[29:30], 1.0
	v_fma_f64 v[29:30], v[33:34], v[29:30], v[29:30]
	s_delay_alu instid0(VALU_DEP_1) | instskip(NEXT) | instid1(VALU_DEP_1)
	v_fma_f64 v[33:34], -v[27:28], v[29:30], 1.0
	v_fma_f64 v[29:30], v[33:34], v[29:30], v[29:30]
	s_delay_alu instid0(VALU_DEP_1) | instskip(NEXT) | instid1(VALU_DEP_1)
	v_mul_f64 v[33:34], v[35:36], v[29:30]
	v_mul_f64 v[39:40], v[27:28], v[33:34]
	s_delay_alu instid0(VALU_DEP_1) | instskip(NEXT) | instid1(VALU_DEP_1)
	v_fma_f64 v[27:28], v[33:34], v[27:28], -v[39:40]
	v_fma_f64 v[13:14], v[33:34], v[13:14], v[27:28]
	s_delay_alu instid0(VALU_DEP_1) | instskip(NEXT) | instid1(VALU_DEP_1)
	v_add_f64 v[27:28], v[39:40], v[13:14]
	v_add_f64 v[37:38], v[35:36], -v[27:28]
	v_add_f64 v[39:40], v[27:28], -v[39:40]
	s_delay_alu instid0(VALU_DEP_2) | instskip(NEXT) | instid1(VALU_DEP_2)
	v_add_f64 v[35:36], v[35:36], -v[37:38]
	v_add_f64 v[13:14], v[39:40], -v[13:14]
	s_delay_alu instid0(VALU_DEP_2) | instskip(NEXT) | instid1(VALU_DEP_1)
	v_add_f64 v[27:28], v[35:36], -v[27:28]
	v_add_f64 v[13:14], v[13:14], v[27:28]
	s_delay_alu instid0(VALU_DEP_1) | instskip(NEXT) | instid1(VALU_DEP_1)
	v_add_f64 v[13:14], v[37:38], v[13:14]
	v_mul_f64 v[13:14], v[29:30], v[13:14]
	s_delay_alu instid0(VALU_DEP_1) | instskip(NEXT) | instid1(VALU_DEP_1)
	v_add_f64 v[27:28], v[33:34], v[13:14]
	v_mul_f64 v[29:30], v[27:28], v[27:28]
	s_delay_alu instid0(VALU_DEP_1) | instskip(SKIP_1) | instid1(VALU_DEP_2)
	v_fma_f64 v[35:36], v[29:30], s[28:29], s[26:27]
	v_mul_f64 v[37:38], v[27:28], v[29:30]
	v_fma_f64 v[35:36], v[29:30], v[35:36], s[34:35]
	s_delay_alu instid0(VALU_DEP_1) | instskip(NEXT) | instid1(VALU_DEP_1)
	v_fma_f64 v[35:36], v[29:30], v[35:36], s[36:37]
	v_fma_f64 v[35:36], v[29:30], v[35:36], s[38:39]
	s_delay_alu instid0(VALU_DEP_1) | instskip(NEXT) | instid1(VALU_DEP_1)
	v_fma_f64 v[35:36], v[29:30], v[35:36], s[40:41]
	v_fma_f64 v[29:30], v[29:30], v[35:36], s[98:99]
	v_ldexp_f64 v[35:36], v[27:28], 1
	v_add_f64 v[27:28], v[27:28], -v[33:34]
	s_delay_alu instid0(VALU_DEP_3) | instskip(SKIP_1) | instid1(VALU_DEP_3)
	v_mul_f64 v[29:30], v[37:38], v[29:30]
	v_cvt_f64_i32_e32 v[37:38], v15
	v_add_f64 v[13:14], v[13:14], -v[27:28]
	s_delay_alu instid0(VALU_DEP_3) | instskip(NEXT) | instid1(VALU_DEP_3)
	v_add_f64 v[33:34], v[35:36], v[29:30]
	v_mul_f64 v[39:40], v[37:38], s[42:43]
	s_delay_alu instid0(VALU_DEP_3) | instskip(NEXT) | instid1(VALU_DEP_3)
	v_ldexp_f64 v[13:14], v[13:14], 1
	v_add_f64 v[27:28], v[33:34], -v[35:36]
	s_delay_alu instid0(VALU_DEP_3) | instskip(NEXT) | instid1(VALU_DEP_2)
	v_fma_f64 v[35:36], v[37:38], s[42:43], -v[39:40]
	v_add_f64 v[27:28], v[29:30], -v[27:28]
	s_delay_alu instid0(VALU_DEP_2) | instskip(NEXT) | instid1(VALU_DEP_2)
	v_fma_f64 v[29:30], v[37:38], s[44:45], v[35:36]
	v_add_f64 v[13:14], v[13:14], v[27:28]
	s_delay_alu instid0(VALU_DEP_2) | instskip(NEXT) | instid1(VALU_DEP_2)
	v_add_f64 v[27:28], v[39:40], v[29:30]
	v_add_f64 v[35:36], v[33:34], v[13:14]
	s_delay_alu instid0(VALU_DEP_2) | instskip(NEXT) | instid1(VALU_DEP_2)
	v_add_f64 v[39:40], v[27:28], -v[39:40]
	v_add_f64 v[37:38], v[27:28], v[35:36]
	v_add_f64 v[33:34], v[35:36], -v[33:34]
	s_delay_alu instid0(VALU_DEP_3) | instskip(NEXT) | instid1(VALU_DEP_3)
	v_add_f64 v[29:30], v[29:30], -v[39:40]
	v_add_f64 v[41:42], v[37:38], -v[27:28]
	s_delay_alu instid0(VALU_DEP_3) | instskip(NEXT) | instid1(VALU_DEP_2)
	v_add_f64 v[13:14], v[13:14], -v[33:34]
	v_add_f64 v[43:44], v[37:38], -v[41:42]
	;; [unrolled: 1-line block ×3, first 2 shown]
	s_delay_alu instid0(VALU_DEP_3) | instskip(NEXT) | instid1(VALU_DEP_3)
	v_add_f64 v[35:36], v[29:30], v[13:14]
	v_add_f64 v[27:28], v[27:28], -v[43:44]
	s_delay_alu instid0(VALU_DEP_1) | instskip(NEXT) | instid1(VALU_DEP_3)
	v_add_f64 v[27:28], v[33:34], v[27:28]
	v_add_f64 v[33:34], v[35:36], -v[29:30]
	s_delay_alu instid0(VALU_DEP_2) | instskip(NEXT) | instid1(VALU_DEP_2)
	v_add_f64 v[27:28], v[35:36], v[27:28]
	v_add_f64 v[35:36], v[35:36], -v[33:34]
	v_add_f64 v[13:14], v[13:14], -v[33:34]
	s_delay_alu instid0(VALU_DEP_3) | instskip(NEXT) | instid1(VALU_DEP_3)
	v_add_f64 v[39:40], v[37:38], v[27:28]
	v_add_f64 v[29:30], v[29:30], -v[35:36]
	s_delay_alu instid0(VALU_DEP_2) | instskip(NEXT) | instid1(VALU_DEP_2)
	v_add_f64 v[33:34], v[39:40], -v[37:38]
	v_add_f64 v[13:14], v[13:14], v[29:30]
	v_mov_b32_e32 v29, 0
	v_mov_b32_e32 v30, 0x7ff80000
	s_delay_alu instid0(VALU_DEP_4) | instskip(NEXT) | instid1(VALU_DEP_1)
	v_add_f64 v[27:28], v[27:28], -v[33:34]
	v_add_f64 v[13:14], v[13:14], v[27:28]
	s_delay_alu instid0(VALU_DEP_1) | instskip(NEXT) | instid1(VALU_DEP_1)
	v_add_f64 v[13:14], v[39:40], v[13:14]
	v_dual_cndmask_b32 v13, v13, v31 :: v_dual_cndmask_b32 v14, v14, v32
	v_cmp_ngt_f64_e32 vcc_lo, 0, v[31:32]
	s_delay_alu instid0(VALU_DEP_2) | instskip(SKIP_1) | instid1(VALU_DEP_4)
	v_cndmask_b32_e32 v14, 0x7ff80000, v14, vcc_lo
	v_cmp_nge_f64_e32 vcc_lo, 0, v[31:32]
	v_cndmask_b32_e32 v27, 0, v13, vcc_lo
	v_cmp_neq_f64_e32 vcc_lo, 0, v[31:32]
	s_delay_alu instid0(VALU_DEP_4)
	v_cndmask_b32_e32 v28, 0xfff00000, v14, vcc_lo
.LBB180_187:                            ;   in Loop: Header=BB180_145 Depth=1
	s_or_b32 exec_lo, exec_lo, s4
                                        ; implicit-def: $vgpr13_vgpr14
                                        ; implicit-def: $vgpr31_vgpr32
	s_delay_alu instid0(SALU_CYCLE_1)
	s_mov_b32 s4, exec_lo
	v_cmpx_o_f64_e32 v[5:6], v[7:8]
	s_xor_b32 s89, exec_lo, s4
	s_cbranch_execz .LBB180_215
; %bb.188:                              ;   in Loop: Header=BB180_145 Depth=1
	v_cmp_lt_f64_e64 s4, |v[5:6]|, |v[7:8]|
	v_and_b32_e32 v15, 0x7fffffff, v6
	v_dual_mov_b32 v33, v7 :: v_dual_and_b32 v18, 0x7fffffff, v8
                                        ; implicit-def: $vgpr13_vgpr14
                                        ; implicit-def: $vgpr31_vgpr32
	s_mov_b32 s5, exec_lo
	s_delay_alu instid0(VALU_DEP_1) | instskip(NEXT) | instid1(VALU_DEP_2)
	v_cndmask_b32_e64 v36, v18, v15, s4
	v_cndmask_b32_e64 v35, v33, v5, s4
	s_delay_alu instid0(VALU_DEP_1)
	v_cmpx_nlt_f64_e32 s[18:19], v[35:36]
	s_xor_b32 s20, exec_lo, s5
	s_cbranch_execz .LBB180_212
; %bb.189:                              ;   in Loop: Header=BB180_145 Depth=1
	v_cndmask_b32_e64 v38, v15, v18, s4
	v_cndmask_b32_e64 v37, v5, v33, s4
                                        ; implicit-def: $vgpr13_vgpr14
                                        ; implicit-def: $vgpr31_vgpr32
	s_mov_b32 s5, exec_lo
	s_delay_alu instid0(VALU_DEP_1)
	v_cmpx_neq_f64_e32 1.0, v[37:38]
	s_xor_b32 s21, exec_lo, s5
	s_cbranch_execz .LBB180_205
; %bb.190:                              ;   in Loop: Header=BB180_145 Depth=1
	v_max_f64 v[13:14], v[35:36], v[35:36]
	v_max_f64 v[31:32], v[37:38], v[37:38]
	s_mov_b32 s6, 0xc57e649a
	s_mov_b32 s7, 0x4a511b0e
	s_delay_alu instid0(VALU_DEP_1) | instskip(SKIP_1) | instid1(VALU_DEP_2)
	v_min_f64 v[33:34], v[31:32], v[13:14]
	v_max_f64 v[13:14], v[31:32], v[13:14]
                                        ; implicit-def: $vgpr31_vgpr32
	v_cmp_ngt_f64_e32 vcc_lo, s[12:13], v[33:34]
	s_delay_alu instid0(VALU_DEP_2) | instskip(NEXT) | instid1(VALU_DEP_1)
	v_cmp_nlt_f64_e64 s5, s[6:7], v[13:14]
                                        ; implicit-def: $vgpr13_vgpr14
	s_and_b32 s5, s5, vcc_lo
	s_delay_alu instid0(SALU_CYCLE_1) | instskip(NEXT) | instid1(SALU_CYCLE_1)
	s_and_saveexec_b32 s6, s5
	s_xor_b32 s22, exec_lo, s6
	s_cbranch_execz .LBB180_202
; %bb.191:                              ;   in Loop: Header=BB180_145 Depth=1
                                        ; implicit-def: $vgpr13_vgpr14
                                        ; implicit-def: $vgpr31_vgpr32
	s_mov_b32 s5, exec_lo
	v_cmpx_le_f64_e32 1.0, v[37:38]
	s_xor_b32 s6, exec_lo, s5
	s_cbranch_execz .LBB180_193
; %bb.192:                              ;   in Loop: Header=BB180_145 Depth=1
	v_add_f64 v[13:14], v[37:38], -1.0
	v_add_f64 v[31:32], v[37:38], 1.0
	s_mov_b32 s99, s25
	s_mov_b32 s14, s86
	v_cmp_gt_i32_e64 s5, 0, v6
	v_cmp_class_f64_e64 s8, v[5:6], 0x204
	v_cmp_class_f64_e64 s7, v[7:8], 0x204
	s_delay_alu instid0(VALU_DEP_4) | instskip(NEXT) | instid1(VALU_DEP_1)
	v_mul_f64 v[13:14], v[13:14], v[31:32]
	v_fma_f64 v[14:15], v[35:36], v[35:36], v[13:14]
	s_delay_alu instid0(VALU_DEP_1) | instskip(NEXT) | instid1(VALU_DEP_1)
	v_add_f64 v[31:32], v[14:15], 1.0
	v_frexp_mant_f64_e32 v[33:34], v[31:32]
	v_frexp_exp_i32_f64_e32 v13, v[31:32]
	v_add_f64 v[35:36], v[31:32], -1.0
	s_delay_alu instid0(VALU_DEP_3) | instskip(NEXT) | instid1(VALU_DEP_2)
	v_cmp_gt_f64_e32 vcc_lo, s[24:25], v[33:34]
	v_add_f64 v[33:34], v[35:36], -v[31:32]
	v_add_f64 v[35:36], v[14:15], -v[35:36]
	v_subrev_co_ci_u32_e32 v13, vcc_lo, 0, v13, vcc_lo
	s_delay_alu instid0(VALU_DEP_3) | instskip(NEXT) | instid1(VALU_DEP_2)
	v_add_f64 v[33:34], v[33:34], 1.0
	v_sub_nc_u32_e32 v18, 0, v13
	s_delay_alu instid0(VALU_DEP_1) | instskip(NEXT) | instid1(VALU_DEP_3)
	v_ldexp_f64 v[31:32], v[31:32], v18
	v_add_f64 v[33:34], v[35:36], v[33:34]
	s_delay_alu instid0(VALU_DEP_2) | instskip(SKIP_1) | instid1(VALU_DEP_3)
	v_add_f64 v[37:38], v[31:32], 1.0
	v_add_f64 v[43:44], v[31:32], -1.0
	v_ldexp_f64 v[33:34], v[33:34], v18
	v_cndmask_b32_e64 v18, 0x54442d18, v59, s5
	s_delay_alu instid0(VALU_DEP_4) | instskip(NEXT) | instid1(VALU_DEP_4)
	v_add_f64 v[35:36], v[37:38], -1.0
	v_add_f64 v[45:46], v[43:44], 1.0
	s_delay_alu instid0(VALU_DEP_2) | instskip(NEXT) | instid1(VALU_DEP_2)
	v_add_f64 v[35:36], v[31:32], -v[35:36]
	v_add_f64 v[31:32], v[31:32], -v[45:46]
	s_delay_alu instid0(VALU_DEP_2) | instskip(NEXT) | instid1(VALU_DEP_2)
	v_add_f64 v[35:36], v[33:34], v[35:36]
	v_add_f64 v[31:32], v[33:34], v[31:32]
	s_delay_alu instid0(VALU_DEP_2) | instskip(NEXT) | instid1(VALU_DEP_2)
	v_add_f64 v[39:40], v[37:38], v[35:36]
	v_add_f64 v[45:46], v[43:44], v[31:32]
	s_delay_alu instid0(VALU_DEP_2) | instskip(SKIP_1) | instid1(VALU_DEP_2)
	v_rcp_f64_e32 v[41:42], v[39:40]
	v_add_f64 v[37:38], v[39:40], -v[37:38]
	v_add_f64 v[43:44], v[45:46], -v[43:44]
	s_delay_alu instid0(VALU_DEP_2) | instskip(SKIP_3) | instid1(VALU_DEP_2)
	v_add_f64 v[35:36], v[35:36], -v[37:38]
	s_waitcnt_depctr 0xfff
	v_fma_f64 v[47:48], -v[39:40], v[41:42], 1.0
	v_add_f64 v[31:32], v[31:32], -v[43:44]
	v_fma_f64 v[41:42], v[47:48], v[41:42], v[41:42]
	s_delay_alu instid0(VALU_DEP_1) | instskip(NEXT) | instid1(VALU_DEP_1)
	v_fma_f64 v[33:34], -v[39:40], v[41:42], 1.0
	v_fma_f64 v[33:34], v[33:34], v[41:42], v[41:42]
	s_delay_alu instid0(VALU_DEP_1) | instskip(NEXT) | instid1(VALU_DEP_1)
	v_mul_f64 v[41:42], v[45:46], v[33:34]
	v_mul_f64 v[47:48], v[39:40], v[41:42]
	s_delay_alu instid0(VALU_DEP_1) | instskip(NEXT) | instid1(VALU_DEP_1)
	v_fma_f64 v[37:38], v[41:42], v[39:40], -v[47:48]
	v_fma_f64 v[37:38], v[41:42], v[35:36], v[37:38]
	s_delay_alu instid0(VALU_DEP_1) | instskip(NEXT) | instid1(VALU_DEP_1)
	v_add_f64 v[49:50], v[47:48], v[37:38]
	v_add_f64 v[51:52], v[45:46], -v[49:50]
	v_add_f64 v[43:44], v[49:50], -v[47:48]
	v_max_f64 v[47:48], |v[7:8]|, |v[7:8]|
	s_delay_alu instid0(VALU_DEP_3) | instskip(NEXT) | instid1(VALU_DEP_3)
	v_add_f64 v[45:46], v[45:46], -v[51:52]
	v_add_f64 v[37:38], v[43:44], -v[37:38]
	s_delay_alu instid0(VALU_DEP_2) | instskip(SKIP_2) | instid1(VALU_DEP_1)
	v_add_f64 v[45:46], v[45:46], -v[49:50]
	v_max_f64 v[49:50], |v[5:6]|, |v[5:6]|
	v_cndmask_b32_e64 v5, 0x3fe921fb, v60, s5
	v_bfi_b32 v5, 0x7fffffff, v5, v8
	s_delay_alu instid0(VALU_DEP_4) | instskip(NEXT) | instid1(VALU_DEP_4)
	v_add_f64 v[31:32], v[31:32], v[45:46]
	v_max_f64 v[53:54], v[49:50], v[47:48]
	v_min_f64 v[47:48], v[49:50], v[47:48]
	s_delay_alu instid0(VALU_DEP_3) | instskip(NEXT) | instid1(VALU_DEP_1)
	v_add_f64 v[31:32], v[37:38], v[31:32]
	v_add_f64 v[37:38], v[51:52], v[31:32]
	s_delay_alu instid0(VALU_DEP_1) | instskip(SKIP_1) | instid1(VALU_DEP_2)
	v_mul_f64 v[43:44], v[33:34], v[37:38]
	v_add_f64 v[51:52], v[51:52], -v[37:38]
	v_mul_f64 v[45:46], v[39:40], v[43:44]
	s_delay_alu instid0(VALU_DEP_2) | instskip(NEXT) | instid1(VALU_DEP_2)
	v_add_f64 v[31:32], v[31:32], v[51:52]
	v_fma_f64 v[39:40], v[43:44], v[39:40], -v[45:46]
	s_delay_alu instid0(VALU_DEP_1) | instskip(SKIP_1) | instid1(VALU_DEP_2)
	v_fma_f64 v[35:36], v[43:44], v[35:36], v[39:40]
	v_div_scale_f64 v[39:40], null, v[53:54], v[53:54], v[47:48]
	v_add_f64 v[49:50], v[45:46], v[35:36]
	s_delay_alu instid0(VALU_DEP_2) | instskip(NEXT) | instid1(VALU_DEP_1)
	v_rcp_f64_e32 v[55:56], v[39:40]
	v_add_f64 v[57:58], v[37:38], -v[49:50]
	v_add_f64 v[45:46], v[49:50], -v[45:46]
	s_waitcnt_depctr 0xfff
	v_fma_f64 v[61:62], -v[39:40], v[55:56], 1.0
	v_add_f64 v[37:38], v[37:38], -v[57:58]
	v_add_f64 v[35:36], v[45:46], -v[35:36]
	s_delay_alu instid0(VALU_DEP_3) | instskip(NEXT) | instid1(VALU_DEP_3)
	v_fma_f64 v[55:56], v[55:56], v[61:62], v[55:56]
	v_add_f64 v[37:38], v[37:38], -v[49:50]
	s_delay_alu instid0(VALU_DEP_2) | instskip(NEXT) | instid1(VALU_DEP_2)
	v_fma_f64 v[49:50], -v[39:40], v[55:56], 1.0
	v_add_f64 v[31:32], v[31:32], v[37:38]
	v_div_scale_f64 v[37:38], vcc_lo, v[47:48], v[53:54], v[47:48]
	s_delay_alu instid0(VALU_DEP_3) | instskip(SKIP_1) | instid1(VALU_DEP_4)
	v_fma_f64 v[45:46], v[55:56], v[49:50], v[55:56]
	v_add_f64 v[49:50], v[41:42], v[43:44]
	v_add_f64 v[31:32], v[35:36], v[31:32]
	s_delay_alu instid0(VALU_DEP_3) | instskip(NEXT) | instid1(VALU_DEP_3)
	v_mul_f64 v[35:36], v[37:38], v[45:46]
	v_add_f64 v[41:42], v[49:50], -v[41:42]
	s_delay_alu instid0(VALU_DEP_3) | instskip(NEXT) | instid1(VALU_DEP_3)
	v_add_f64 v[31:32], v[57:58], v[31:32]
	v_fma_f64 v[37:38], -v[39:40], v[35:36], v[37:38]
	s_delay_alu instid0(VALU_DEP_3) | instskip(NEXT) | instid1(VALU_DEP_3)
	v_add_f64 v[39:40], v[43:44], -v[41:42]
	v_mul_f64 v[31:32], v[33:34], v[31:32]
	s_delay_alu instid0(VALU_DEP_3) | instskip(SKIP_1) | instid1(VALU_DEP_3)
	v_div_fmas_f64 v[33:34], v[37:38], v[45:46], v[35:36]
	v_cmp_eq_f64_e32 vcc_lo, 0x7ff00000, v[14:15]
	v_add_f64 v[31:32], v[39:40], v[31:32]
	s_delay_alu instid0(VALU_DEP_3) | instskip(NEXT) | instid1(VALU_DEP_2)
	v_div_fixup_f64 v[33:34], v[33:34], v[53:54], v[47:48]
	v_add_f64 v[35:36], v[49:50], v[31:32]
	s_delay_alu instid0(VALU_DEP_2) | instskip(NEXT) | instid1(VALU_DEP_2)
	v_mul_f64 v[37:38], v[33:34], v[33:34]
	v_mul_f64 v[39:40], v[35:36], v[35:36]
	s_delay_alu instid0(VALU_DEP_2) | instskip(NEXT) | instid1(VALU_DEP_2)
	v_fma_f64 v[41:42], v[37:38], s[48:49], s[46:47]
	v_fma_f64 v[43:44], v[39:40], s[28:29], s[26:27]
	v_mul_f64 v[45:46], v[35:36], v[39:40]
	s_delay_alu instid0(VALU_DEP_3) | instskip(NEXT) | instid1(VALU_DEP_3)
	v_fma_f64 v[41:42], v[37:38], v[41:42], s[50:51]
	v_fma_f64 v[43:44], v[39:40], v[43:44], s[34:35]
	s_delay_alu instid0(VALU_DEP_2) | instskip(NEXT) | instid1(VALU_DEP_2)
	v_fma_f64 v[41:42], v[37:38], v[41:42], s[52:53]
	v_fma_f64 v[43:44], v[39:40], v[43:44], s[36:37]
	s_delay_alu instid0(VALU_DEP_2) | instskip(NEXT) | instid1(VALU_DEP_2)
	;; [unrolled: 3-line block ×4, first 2 shown]
	v_fma_f64 v[41:42], v[37:38], v[41:42], s[58:59]
	v_fma_f64 v[39:40], v[39:40], v[43:44], s[98:99]
	v_ldexp_f64 v[43:44], v[35:36], 1
	v_add_f64 v[35:36], v[35:36], -v[49:50]
	s_delay_alu instid0(VALU_DEP_4) | instskip(NEXT) | instid1(VALU_DEP_4)
	v_fma_f64 v[41:42], v[37:38], v[41:42], s[60:61]
	v_mul_f64 v[39:40], v[45:46], v[39:40]
	v_cvt_f64_i32_e32 v[45:46], v13
	s_delay_alu instid0(VALU_DEP_4) | instskip(NEXT) | instid1(VALU_DEP_4)
	v_add_f64 v[31:32], v[31:32], -v[35:36]
	v_fma_f64 v[41:42], v[37:38], v[41:42], s[62:63]
	v_ashrrev_i32_e32 v13, 31, v6
	s_delay_alu instid0(VALU_DEP_1) | instskip(SKIP_4) | instid1(VALU_DEP_4)
	v_and_b32_e32 v6, 0x400921fb, v13
	v_add_f64 v[47:48], v[43:44], v[39:40]
	v_mul_f64 v[49:50], v[45:46], s[42:43]
	v_ldexp_f64 v[31:32], v[31:32], 1
	v_fma_f64 v[41:42], v[37:38], v[41:42], s[64:65]
	v_add_f64 v[35:36], v[47:48], -v[43:44]
	s_delay_alu instid0(VALU_DEP_4) | instskip(NEXT) | instid1(VALU_DEP_3)
	v_fma_f64 v[43:44], v[45:46], s[42:43], -v[49:50]
	v_fma_f64 v[41:42], v[37:38], v[41:42], s[66:67]
	s_delay_alu instid0(VALU_DEP_3) | instskip(NEXT) | instid1(VALU_DEP_2)
	v_add_f64 v[35:36], v[39:40], -v[35:36]
	v_fma_f64 v[39:40], v[37:38], v[41:42], s[68:69]
	s_delay_alu instid0(VALU_DEP_4) | instskip(NEXT) | instid1(VALU_DEP_3)
	v_fma_f64 v[41:42], v[45:46], s[44:45], v[43:44]
	v_add_f64 v[31:32], v[31:32], v[35:36]
	s_delay_alu instid0(VALU_DEP_3) | instskip(NEXT) | instid1(VALU_DEP_3)
	v_fma_f64 v[35:36], v[37:38], v[39:40], s[70:71]
	v_add_f64 v[39:40], v[49:50], v[41:42]
	s_delay_alu instid0(VALU_DEP_3) | instskip(NEXT) | instid1(VALU_DEP_3)
	v_add_f64 v[43:44], v[47:48], v[31:32]
	v_fma_f64 v[35:36], v[37:38], v[35:36], s[72:73]
	s_delay_alu instid0(VALU_DEP_3) | instskip(NEXT) | instid1(VALU_DEP_3)
	v_add_f64 v[49:50], v[39:40], -v[49:50]
	v_add_f64 v[45:46], v[39:40], v[43:44]
	v_add_f64 v[47:48], v[43:44], -v[47:48]
	s_delay_alu instid0(VALU_DEP_4) | instskip(NEXT) | instid1(VALU_DEP_4)
	v_fma_f64 v[35:36], v[37:38], v[35:36], s[74:75]
	v_add_f64 v[41:42], v[41:42], -v[49:50]
	s_delay_alu instid0(VALU_DEP_4) | instskip(NEXT) | instid1(VALU_DEP_4)
	v_add_f64 v[51:52], v[45:46], -v[39:40]
	v_add_f64 v[31:32], v[31:32], -v[47:48]
	s_delay_alu instid0(VALU_DEP_4) | instskip(NEXT) | instid1(VALU_DEP_3)
	v_fma_f64 v[35:36], v[37:38], v[35:36], s[76:77]
	v_add_f64 v[53:54], v[45:46], -v[51:52]
	v_add_f64 v[43:44], v[43:44], -v[51:52]
	s_delay_alu instid0(VALU_DEP_4) | instskip(NEXT) | instid1(VALU_DEP_4)
	v_add_f64 v[47:48], v[41:42], v[31:32]
	v_fma_f64 v[35:36], v[37:38], v[35:36], s[78:79]
	s_delay_alu instid0(VALU_DEP_4) | instskip(NEXT) | instid1(VALU_DEP_2)
	v_add_f64 v[39:40], v[39:40], -v[53:54]
	v_fma_f64 v[35:36], v[37:38], v[35:36], s[80:81]
	s_delay_alu instid0(VALU_DEP_2) | instskip(SKIP_1) | instid1(VALU_DEP_3)
	v_add_f64 v[39:40], v[43:44], v[39:40]
	v_add_f64 v[43:44], v[47:48], -v[41:42]
	v_fma_f64 v[35:36], v[37:38], v[35:36], s[82:83]
	s_delay_alu instid0(VALU_DEP_3) | instskip(NEXT) | instid1(VALU_DEP_3)
	v_add_f64 v[39:40], v[47:48], v[39:40]
	v_add_f64 v[47:48], v[47:48], -v[43:44]
	v_add_f64 v[31:32], v[31:32], -v[43:44]
	s_delay_alu instid0(VALU_DEP_4) | instskip(NEXT) | instid1(VALU_DEP_4)
	v_fma_f64 v[35:36], v[37:38], v[35:36], s[84:85]
	v_add_f64 v[49:50], v[45:46], v[39:40]
	s_delay_alu instid0(VALU_DEP_2) | instskip(SKIP_1) | instid1(VALU_DEP_3)
	v_mul_f64 v[35:36], v[37:38], v[35:36]
	v_add_f64 v[37:38], v[41:42], -v[47:48]
	v_add_f64 v[41:42], v[49:50], -v[45:46]
	s_delay_alu instid0(VALU_DEP_3) | instskip(NEXT) | instid1(VALU_DEP_3)
	v_fma_f64 v[33:34], v[33:34], v[35:36], v[33:34]
	v_add_f64 v[31:32], v[31:32], v[37:38]
	s_delay_alu instid0(VALU_DEP_3) | instskip(NEXT) | instid1(VALU_DEP_3)
	v_add_f64 v[35:36], v[39:40], -v[41:42]
	v_add_f64 v[37:38], -v[33:34], s[86:87]
	s_delay_alu instid0(VALU_DEP_2) | instskip(NEXT) | instid1(VALU_DEP_2)
	v_add_f64 v[31:32], v[31:32], v[35:36]
	v_cndmask_b32_e64 v34, v34, v38, s4
	s_delay_alu instid0(VALU_DEP_3) | instskip(NEXT) | instid1(VALU_DEP_1)
	v_cndmask_b32_e64 v33, v33, v37, s4
	v_add_f64 v[35:36], -v[33:34], s[14:15]
	s_delay_alu instid0(VALU_DEP_4) | instskip(SKIP_1) | instid1(VALU_DEP_3)
	v_add_f64 v[31:32], v[49:50], v[31:32]
	v_and_b32_e32 v37, 0x54442d18, v13
	v_cndmask_b32_e64 v33, v33, v35, s5
	s_delay_alu instid0(VALU_DEP_4) | instskip(SKIP_3) | instid1(VALU_DEP_2)
	v_cndmask_b32_e64 v13, v34, v36, s5
	v_cmp_nge_f64_e64 s5, -1.0, v[14:15]
                                        ; implicit-def: $vgpr35_vgpr36
	v_dual_cndmask_b32 v32, v32, v15 :: v_dual_cndmask_b32 v31, v31, v14
	v_cmp_eq_f64_e32 vcc_lo, 0, v[7:8]
	v_mul_f64 v[31:32], v[31:32], 0.5
	v_cndmask_b32_e32 v33, v33, v37, vcc_lo
	v_cndmask_b32_e32 v6, v13, v6, vcc_lo
	v_cmp_ngt_f64_e32 vcc_lo, -1.0, v[14:15]
                                        ; implicit-def: $vgpr37_vgpr38
	s_delay_alu instid0(VALU_DEP_4) | instskip(SKIP_4) | instid1(VALU_DEP_2)
	v_cndmask_b32_e64 v13, 0, v31, s5
	v_cmp_neq_f64_e64 s5, -1.0, v[14:15]
	v_cndmask_b32_e32 v34, 0x7ff80000, v32, vcc_lo
	s_and_b32 vcc_lo, s7, s8
	v_dual_cndmask_b32 v32, v6, v5 :: v_dual_cndmask_b32 v31, v33, v18
	v_cndmask_b32_e64 v14, 0xfff00000, v34, s5
.LBB180_193:                            ;   in Loop: Header=BB180_145 Depth=1
	s_and_not1_saveexec_b32 s23, s6
	s_cbranch_execz .LBB180_201
; %bb.194:                              ;   in Loop: Header=BB180_145 Depth=1
	v_mul_f64 v[13:14], v[35:36], v[35:36]
	s_mov_b32 s6, 0x66666666
	s_mov_b32 s7, 0x3fe66666
                                        ; implicit-def: $vgpr31_vgpr32
	s_mov_b32 s5, exec_lo
	s_delay_alu instid0(VALU_DEP_1) | instskip(NEXT) | instid1(VALU_DEP_1)
	v_fma_f64 v[33:34], v[37:38], v[37:38], v[13:14]
                                        ; implicit-def: $vgpr13_vgpr14
	v_cmpx_ge_f64_e32 s[6:7], v[33:34]
	s_xor_b32 s7, exec_lo, s5
	s_cbranch_execz .LBB180_196
; %bb.195:                              ;   in Loop: Header=BB180_145 Depth=1
	v_frexp_mant_f64_e32 v[13:14], v[33:34]
	v_max_f64 v[41:42], |v[5:6]|, |v[5:6]|
	s_mov_b32 s99, s25
	v_frexp_exp_i32_f64_e32 v15, v[33:34]
	s_mov_b32 s14, s86
	v_cmp_class_f64_e64 s8, v[7:8], 0x204
	v_cmp_class_f64_e64 s9, v[5:6], 0x204
	v_cmp_neq_f64_e64 s6, 0, v[33:34]
	v_cmp_gt_f64_e64 s5, s[24:25], v[13:14]
	s_delay_alu instid0(VALU_DEP_1) | instskip(NEXT) | instid1(VALU_DEP_1)
	v_cndmask_b32_e64 v18, 0x3ff00000, 2.0, s5
	v_mul_f64 v[13:14], v[13:14], v[17:18]
	s_delay_alu instid0(VALU_DEP_1) | instskip(SKIP_1) | instid1(VALU_DEP_2)
	v_add_f64 v[31:32], v[13:14], 1.0
	v_add_f64 v[39:40], v[13:14], -1.0
	v_rcp_f64_e32 v[35:36], v[31:32]
	s_waitcnt_depctr 0xfff
	v_fma_f64 v[37:38], -v[31:32], v[35:36], 1.0
	s_delay_alu instid0(VALU_DEP_1) | instskip(NEXT) | instid1(VALU_DEP_1)
	v_fma_f64 v[35:36], v[37:38], v[35:36], v[35:36]
	v_fma_f64 v[37:38], -v[31:32], v[35:36], 1.0
	s_delay_alu instid0(VALU_DEP_1) | instskip(SKIP_1) | instid1(VALU_DEP_2)
	v_fma_f64 v[35:36], v[37:38], v[35:36], v[35:36]
	v_max_f64 v[37:38], |v[7:8]|, |v[7:8]|
	v_mul_f64 v[43:44], v[39:40], v[35:36]
	s_delay_alu instid0(VALU_DEP_2) | instskip(SKIP_2) | instid1(VALU_DEP_4)
	v_max_f64 v[45:46], v[41:42], v[37:38]
	v_min_f64 v[37:38], v[41:42], v[37:38]
	v_add_f64 v[41:42], v[31:32], -1.0
	v_mul_f64 v[47:48], v[31:32], v[43:44]
	s_delay_alu instid0(VALU_DEP_3) | instskip(NEXT) | instid1(VALU_DEP_3)
	v_div_scale_f64 v[49:50], null, v[45:46], v[45:46], v[37:38]
	v_add_f64 v[13:14], v[13:14], -v[41:42]
	v_div_scale_f64 v[55:56], vcc_lo, v[37:38], v[45:46], v[37:38]
	s_delay_alu instid0(VALU_DEP_4) | instskip(NEXT) | instid1(VALU_DEP_4)
	v_fma_f64 v[31:32], v[43:44], v[31:32], -v[47:48]
	v_rcp_f64_e32 v[41:42], v[49:50]
	s_delay_alu instid0(VALU_DEP_1) | instskip(SKIP_3) | instid1(VALU_DEP_2)
	v_fma_f64 v[13:14], v[43:44], v[13:14], v[31:32]
	s_waitcnt_depctr 0xfff
	v_fma_f64 v[31:32], -v[49:50], v[41:42], 1.0
	v_add_f64 v[51:52], v[47:48], v[13:14]
	v_fma_f64 v[31:32], v[41:42], v[31:32], v[41:42]
	s_delay_alu instid0(VALU_DEP_2) | instskip(SKIP_1) | instid1(VALU_DEP_3)
	v_add_f64 v[41:42], v[39:40], -v[51:52]
	v_add_f64 v[47:48], v[51:52], -v[47:48]
	v_fma_f64 v[53:54], -v[49:50], v[31:32], 1.0
	s_delay_alu instid0(VALU_DEP_3) | instskip(NEXT) | instid1(VALU_DEP_3)
	v_add_f64 v[39:40], v[39:40], -v[41:42]
	v_add_f64 v[13:14], v[47:48], -v[13:14]
	s_delay_alu instid0(VALU_DEP_3) | instskip(NEXT) | instid1(VALU_DEP_3)
	v_fma_f64 v[31:32], v[31:32], v[53:54], v[31:32]
	v_add_f64 v[39:40], v[39:40], -v[51:52]
	s_delay_alu instid0(VALU_DEP_2) | instskip(NEXT) | instid1(VALU_DEP_2)
	v_mul_f64 v[47:48], v[55:56], v[31:32]
	v_add_f64 v[13:14], v[13:14], v[39:40]
	s_delay_alu instid0(VALU_DEP_2) | instskip(NEXT) | instid1(VALU_DEP_2)
	v_fma_f64 v[39:40], -v[49:50], v[47:48], v[55:56]
	v_add_f64 v[13:14], v[41:42], v[13:14]
	s_delay_alu instid0(VALU_DEP_2)
	v_div_fmas_f64 v[31:32], v[39:40], v[31:32], v[47:48]
	v_subrev_co_ci_u32_e64 v15, vcc_lo, 0, v15, s5
	v_cmp_eq_f64_e64 s5, 0, v[7:8]
	v_cmp_gt_i32_e32 vcc_lo, 0, v6
	v_cndmask_b32_e32 v18, 0x54442d18, v59, vcc_lo
	v_mul_f64 v[13:14], v[35:36], v[13:14]
	v_div_fixup_f64 v[31:32], v[31:32], v[45:46], v[37:38]
	s_delay_alu instid0(VALU_DEP_2) | instskip(NEXT) | instid1(VALU_DEP_2)
	v_add_f64 v[35:36], v[43:44], v[13:14]
	v_mul_f64 v[37:38], v[31:32], v[31:32]
	s_delay_alu instid0(VALU_DEP_2) | instskip(NEXT) | instid1(VALU_DEP_2)
	v_mul_f64 v[39:40], v[35:36], v[35:36]
	v_fma_f64 v[41:42], v[37:38], s[48:49], s[46:47]
	s_delay_alu instid0(VALU_DEP_2) | instskip(SKIP_1) | instid1(VALU_DEP_3)
	v_fma_f64 v[45:46], v[39:40], s[28:29], s[26:27]
	v_mul_f64 v[47:48], v[35:36], v[39:40]
	v_fma_f64 v[41:42], v[37:38], v[41:42], s[50:51]
	s_delay_alu instid0(VALU_DEP_3) | instskip(NEXT) | instid1(VALU_DEP_2)
	v_fma_f64 v[45:46], v[39:40], v[45:46], s[34:35]
	v_fma_f64 v[41:42], v[37:38], v[41:42], s[52:53]
	s_delay_alu instid0(VALU_DEP_2) | instskip(NEXT) | instid1(VALU_DEP_2)
	v_fma_f64 v[45:46], v[39:40], v[45:46], s[36:37]
	v_fma_f64 v[41:42], v[37:38], v[41:42], s[54:55]
	s_delay_alu instid0(VALU_DEP_2) | instskip(NEXT) | instid1(VALU_DEP_2)
	;; [unrolled: 3-line block ×3, first 2 shown]
	v_fma_f64 v[45:46], v[39:40], v[45:46], s[40:41]
	v_fma_f64 v[41:42], v[37:38], v[41:42], s[58:59]
	s_delay_alu instid0(VALU_DEP_2) | instskip(SKIP_2) | instid1(VALU_DEP_4)
	v_fma_f64 v[39:40], v[39:40], v[45:46], s[98:99]
	v_ldexp_f64 v[45:46], v[35:36], 1
	v_add_f64 v[35:36], v[35:36], -v[43:44]
	v_fma_f64 v[41:42], v[37:38], v[41:42], s[60:61]
	s_delay_alu instid0(VALU_DEP_4) | instskip(SKIP_1) | instid1(VALU_DEP_4)
	v_mul_f64 v[39:40], v[47:48], v[39:40]
	v_cvt_f64_i32_e32 v[47:48], v15
	v_add_f64 v[13:14], v[13:14], -v[35:36]
	v_ashrrev_i32_e32 v15, 31, v6
	v_fma_f64 v[41:42], v[37:38], v[41:42], s[62:63]
	v_add_f64 v[43:44], v[45:46], v[39:40]
	v_mul_f64 v[49:50], v[47:48], s[42:43]
	v_ldexp_f64 v[13:14], v[13:14], 1
	s_delay_alu instid0(VALU_DEP_4) | instskip(NEXT) | instid1(VALU_DEP_4)
	v_fma_f64 v[41:42], v[37:38], v[41:42], s[64:65]
	v_add_f64 v[35:36], v[43:44], -v[45:46]
	s_delay_alu instid0(VALU_DEP_4) | instskip(NEXT) | instid1(VALU_DEP_3)
	v_fma_f64 v[45:46], v[47:48], s[42:43], -v[49:50]
	v_fma_f64 v[41:42], v[37:38], v[41:42], s[66:67]
	s_delay_alu instid0(VALU_DEP_3) | instskip(NEXT) | instid1(VALU_DEP_2)
	v_add_f64 v[35:36], v[39:40], -v[35:36]
	v_fma_f64 v[39:40], v[37:38], v[41:42], s[68:69]
	s_delay_alu instid0(VALU_DEP_4) | instskip(NEXT) | instid1(VALU_DEP_3)
	v_fma_f64 v[41:42], v[47:48], s[44:45], v[45:46]
	v_add_f64 v[13:14], v[13:14], v[35:36]
	s_delay_alu instid0(VALU_DEP_3) | instskip(NEXT) | instid1(VALU_DEP_3)
	v_fma_f64 v[35:36], v[37:38], v[39:40], s[70:71]
	v_add_f64 v[39:40], v[49:50], v[41:42]
	s_delay_alu instid0(VALU_DEP_3) | instskip(NEXT) | instid1(VALU_DEP_3)
	v_add_f64 v[45:46], v[43:44], v[13:14]
	v_fma_f64 v[35:36], v[37:38], v[35:36], s[72:73]
	s_delay_alu instid0(VALU_DEP_3) | instskip(NEXT) | instid1(VALU_DEP_3)
	v_add_f64 v[49:50], v[39:40], -v[49:50]
	v_add_f64 v[47:48], v[39:40], v[45:46]
	v_add_f64 v[43:44], v[45:46], -v[43:44]
	s_delay_alu instid0(VALU_DEP_4) | instskip(NEXT) | instid1(VALU_DEP_4)
	v_fma_f64 v[35:36], v[37:38], v[35:36], s[74:75]
	v_add_f64 v[41:42], v[41:42], -v[49:50]
	s_delay_alu instid0(VALU_DEP_4) | instskip(NEXT) | instid1(VALU_DEP_4)
	v_add_f64 v[51:52], v[47:48], -v[39:40]
	v_add_f64 v[13:14], v[13:14], -v[43:44]
	s_delay_alu instid0(VALU_DEP_4) | instskip(NEXT) | instid1(VALU_DEP_3)
	v_fma_f64 v[35:36], v[37:38], v[35:36], s[76:77]
	v_add_f64 v[53:54], v[47:48], -v[51:52]
	v_add_f64 v[43:44], v[45:46], -v[51:52]
	s_delay_alu instid0(VALU_DEP_4) | instskip(NEXT) | instid1(VALU_DEP_4)
	v_add_f64 v[45:46], v[41:42], v[13:14]
	v_fma_f64 v[35:36], v[37:38], v[35:36], s[78:79]
	s_delay_alu instid0(VALU_DEP_4) | instskip(NEXT) | instid1(VALU_DEP_2)
	v_add_f64 v[39:40], v[39:40], -v[53:54]
	v_fma_f64 v[35:36], v[37:38], v[35:36], s[80:81]
	s_delay_alu instid0(VALU_DEP_2) | instskip(SKIP_1) | instid1(VALU_DEP_3)
	v_add_f64 v[39:40], v[43:44], v[39:40]
	v_add_f64 v[43:44], v[45:46], -v[41:42]
	v_fma_f64 v[35:36], v[37:38], v[35:36], s[82:83]
	s_delay_alu instid0(VALU_DEP_3) | instskip(NEXT) | instid1(VALU_DEP_3)
	v_add_f64 v[39:40], v[45:46], v[39:40]
	v_add_f64 v[45:46], v[45:46], -v[43:44]
	v_add_f64 v[13:14], v[13:14], -v[43:44]
	s_delay_alu instid0(VALU_DEP_4) | instskip(NEXT) | instid1(VALU_DEP_4)
	v_fma_f64 v[35:36], v[37:38], v[35:36], s[84:85]
	v_add_f64 v[49:50], v[47:48], v[39:40]
	s_delay_alu instid0(VALU_DEP_2) | instskip(SKIP_1) | instid1(VALU_DEP_3)
	v_mul_f64 v[35:36], v[37:38], v[35:36]
	v_add_f64 v[37:38], v[41:42], -v[45:46]
	v_add_f64 v[41:42], v[49:50], -v[47:48]
	s_delay_alu instid0(VALU_DEP_3) | instskip(NEXT) | instid1(VALU_DEP_3)
	v_fma_f64 v[31:32], v[31:32], v[35:36], v[31:32]
	v_add_f64 v[13:14], v[13:14], v[37:38]
	s_delay_alu instid0(VALU_DEP_3) | instskip(NEXT) | instid1(VALU_DEP_3)
	v_add_f64 v[35:36], v[39:40], -v[41:42]
	v_add_f64 v[37:38], -v[31:32], s[86:87]
	s_delay_alu instid0(VALU_DEP_2) | instskip(NEXT) | instid1(VALU_DEP_2)
	v_add_f64 v[13:14], v[13:14], v[35:36]
	v_cndmask_b32_e64 v32, v32, v38, s4
	s_delay_alu instid0(VALU_DEP_3) | instskip(NEXT) | instid1(VALU_DEP_1)
	v_cndmask_b32_e64 v31, v31, v37, s4
	v_add_f64 v[35:36], -v[31:32], s[14:15]
	s_delay_alu instid0(VALU_DEP_4) | instskip(NEXT) | instid1(VALU_DEP_2)
	v_add_f64 v[13:14], v[49:50], v[13:14]
	v_cndmask_b32_e32 v31, v31, v35, vcc_lo
	s_delay_alu instid0(VALU_DEP_2) | instskip(SKIP_2) | instid1(VALU_DEP_2)
	v_mul_f64 v[5:6], v[13:14], 0.5
	v_cndmask_b32_e32 v13, 0x3fe921fb, v60, vcc_lo
	v_and_b32_e32 v14, 0x400921fb, v15
	v_bfi_b32 v13, 0x7fffffff, v13, v8
	v_and_b32_e32 v37, 0x54442d18, v15
	v_cndmask_b32_e32 v15, v32, v36, vcc_lo
	s_and_b32 vcc_lo, s8, s9
                                        ; implicit-def: $vgpr35_vgpr36
	s_delay_alu instid0(VALU_DEP_1) | instskip(NEXT) | instid1(VALU_DEP_1)
	v_cndmask_b32_e64 v14, v15, v14, s5
	v_cndmask_b32_e32 v32, v14, v13, vcc_lo
	v_cndmask_b32_e64 v31, v31, v37, s5
                                        ; implicit-def: $vgpr37_vgpr38
	s_delay_alu instid0(VALU_DEP_1)
	v_cndmask_b32_e32 v31, v31, v18, vcc_lo
	v_cndmask_b32_e64 v14, 0xfff00000, v6, s6
	v_cndmask_b32_e64 v13, 0, v5, s6
.LBB180_196:                            ;   in Loop: Header=BB180_145 Depth=1
	s_and_not1_saveexec_b32 s90, s7
	s_cbranch_execz .LBB180_200
; %bb.197:                              ;   in Loop: Header=BB180_145 Depth=1
	v_dual_mov_b32 v31, v17 :: v_dual_and_b32 v18, 0x7ffffff8, v38
	v_and_b32_e32 v32, 0x7ffffff8, v36
	s_mov_b32 s91, 0
	s_delay_alu instid0(VALU_DEP_2) | instskip(SKIP_1) | instid1(VALU_DEP_3)
	v_add_f64 v[13:14], v[37:38], -v[17:18]
	v_mov_b32_e32 v37, v17
	v_add_f64 v[33:34], v[35:36], -v[31:32]
	v_mov_b32_e32 v39, v17
	v_add_f64 v[41:42], v[17:18], v[17:18]
	v_add_f64 v[49:50], v[31:32], v[31:32]
	v_mul_f64 v[35:36], v[31:32], v[31:32]
	v_and_b32_e32 v38, -8, v14
	v_and_b32_e32 v40, -8, v34
	s_delay_alu instid0(VALU_DEP_2) | instskip(SKIP_1) | instid1(VALU_DEP_3)
	v_add_f64 v[51:52], v[13:14], -v[37:38]
	v_add_f64 v[55:56], v[37:38], v[37:38]
	v_add_f64 v[53:54], v[33:34], -v[39:40]
	v_add_f64 v[57:58], v[39:40], v[39:40]
	v_mul_f64 v[13:14], v[17:18], v[17:18]
	v_mul_f64 v[47:48], v[41:42], v[37:38]
	;; [unrolled: 1-line block ×11, first 2 shown]
.LBB180_198:                            ;   Parent Loop BB180_145 Depth=1
                                        ; =>  This Inner Loop Header: Depth=2
	v_cmp_nlt_f64_e32 vcc_lo, v[13:14], v[35:36]
	v_dual_cndmask_b32 v54, v14, v36 :: v_dual_cndmask_b32 v53, v13, v35
	v_dual_cndmask_b32 v14, v36, v14 :: v_dual_cndmask_b32 v13, v35, v13
	s_delay_alu instid0(VALU_DEP_2) | instskip(NEXT) | instid1(VALU_DEP_1)
	v_cmp_nlt_f64_e64 s5, v[53:54], v[47:48]
	v_cndmask_b32_e64 v56, v54, v48, s5
	v_cndmask_b32_e64 v55, v53, v47, s5
	;; [unrolled: 1-line block ×4, first 2 shown]
	s_and_b32 s5, vcc_lo, s5
	s_delay_alu instid0(VALU_DEP_3) | instskip(NEXT) | instid1(VALU_DEP_1)
	v_cmp_nlt_f64_e64 s6, v[55:56], v[33:34]
	v_cndmask_b32_e64 v54, v56, v34, s6
	v_cndmask_b32_e64 v53, v55, v33, s6
	v_cndmask_b32_e64 v48, v34, v56, s6
	v_cndmask_b32_e64 v47, v33, v55, s6
	s_delay_alu instid0(VALU_DEP_3) | instskip(NEXT) | instid1(VALU_DEP_1)
	v_cmp_nlt_f64_e64 s7, v[53:54], v[45:46]
	v_cndmask_b32_e64 v56, v54, v46, s7
	v_cndmask_b32_e64 v55, v53, v45, s7
	v_cndmask_b32_e64 v34, v46, v54, s7
	v_cndmask_b32_e64 v33, v45, v53, s7
	s_and_b32 s6, s6, s7
	s_delay_alu instid0(VALU_DEP_3) | instskip(NEXT) | instid1(VALU_DEP_1)
	v_cmp_nlt_f64_e64 s8, v[55:56], v[31:32]
	v_cndmask_b32_e64 v54, v56, v32, s8
	v_cndmask_b32_e64 v53, v55, v31, s8
	;; [unrolled: 1-line block ×4, first 2 shown]
	s_delay_alu instid0(VALU_DEP_3) | instskip(NEXT) | instid1(VALU_DEP_1)
	v_cmp_nlt_f64_e64 s9, v[53:54], v[43:44]
	v_cndmask_b32_e64 v56, v54, v44, s9
	v_cndmask_b32_e64 v55, v53, v43, s9
	v_cndmask_b32_e64 v32, v44, v54, s9
	v_cndmask_b32_e64 v31, v43, v53, s9
	s_and_b32 s7, s8, s9
	s_delay_alu instid0(VALU_DEP_3) | instskip(NEXT) | instid1(VALU_DEP_1)
	v_cmp_nlt_f64_e64 s10, v[55:56], v[41:42]
	v_cndmask_b32_e64 v54, v56, v42, s10
	v_cndmask_b32_e64 v53, v55, v41, s10
	v_cndmask_b32_e64 v44, v42, v56, s10
	v_cndmask_b32_e64 v43, v41, v55, s10
	s_and_b32 s7, s7, s10
	;; [unrolled: 7-line block ×4, first 2 shown]
	s_delay_alu instid0(VALU_DEP_3) | instskip(NEXT) | instid1(VALU_DEP_1)
	v_cmp_nlt_f64_e64 s13, v[53:54], v[49:50]
	v_cndmask_b32_e64 v56, v54, v50, s13
	v_cndmask_b32_e64 v55, v53, v49, s13
	s_and_b32 s7, s7, s13
	v_cndmask_b32_e64 v38, v50, v54, s13
	v_cndmask_b32_e64 v37, v49, v53, s13
	s_delay_alu instid0(VALU_DEP_3) | instskip(NEXT) | instid1(VALU_DEP_1)
	v_cmp_nlt_f64_e64 s14, v[55:56], v[51:52]
	v_cndmask_b32_e64 v54, v56, v52, s14
	v_cndmask_b32_e64 v53, v55, v51, s14
	s_and_b32 s7, s7, s14
	v_cndmask_b32_e64 v50, v52, v56, s14
	s_and_b32 s6, s7, s6
	;; [unrolled: 2-line block ×3, first 2 shown]
	v_dual_mov_b32 v51, v53 :: v_dual_mov_b32 v52, v54
	s_and_b32 s5, exec_lo, s5
	s_delay_alu instid0(SALU_CYCLE_1) | instskip(NEXT) | instid1(SALU_CYCLE_1)
	s_or_b32 s91, s5, s91
	s_and_not1_b32 exec_lo, exec_lo, s91
	s_cbranch_execnz .LBB180_198
; %bb.199:                              ;   in Loop: Header=BB180_145 Depth=1
	s_or_b32 exec_lo, exec_lo, s91
	v_add_f64 v[13:14], v[13:14], -1.0
	s_mov_b32 s99, s25
	s_mov_b32 s14, s86
	v_cmp_gt_i32_e64 s5, 0, v6
	v_cmp_class_f64_e64 s7, v[5:6], 0x204
	v_cmp_class_f64_e64 s6, v[7:8], 0x204
	s_mov_b32 s12, 0x4ad4b81f
	s_mov_b32 s13, 0x358dee7a
	s_delay_alu instid0(VALU_DEP_4) | instskip(NEXT) | instid1(VALU_DEP_1)
	v_add_f64 v[13:14], v[13:14], v[35:36]
	v_add_f64 v[13:14], v[13:14], v[47:48]
	s_delay_alu instid0(VALU_DEP_1) | instskip(NEXT) | instid1(VALU_DEP_1)
	v_add_f64 v[13:14], v[13:14], v[33:34]
	v_add_f64 v[13:14], v[13:14], v[45:46]
	s_delay_alu instid0(VALU_DEP_1) | instskip(NEXT) | instid1(VALU_DEP_1)
	;; [unrolled: 3-line block ×5, first 2 shown]
	v_add_f64 v[14:15], v[53:54], v[13:14]
	v_add_f64 v[31:32], v[14:15], 1.0
	s_delay_alu instid0(VALU_DEP_1) | instskip(SKIP_2) | instid1(VALU_DEP_3)
	v_frexp_mant_f64_e32 v[33:34], v[31:32]
	v_frexp_exp_i32_f64_e32 v13, v[31:32]
	v_add_f64 v[35:36], v[31:32], -1.0
	v_cmp_gt_f64_e32 vcc_lo, s[24:25], v[33:34]
	s_delay_alu instid0(VALU_DEP_2) | instskip(SKIP_2) | instid1(VALU_DEP_3)
	v_add_f64 v[33:34], v[35:36], -v[31:32]
	v_add_f64 v[35:36], v[14:15], -v[35:36]
	v_subrev_co_ci_u32_e32 v13, vcc_lo, 0, v13, vcc_lo
	v_add_f64 v[33:34], v[33:34], 1.0
	s_delay_alu instid0(VALU_DEP_2) | instskip(NEXT) | instid1(VALU_DEP_1)
	v_sub_nc_u32_e32 v18, 0, v13
	v_ldexp_f64 v[31:32], v[31:32], v18
	s_delay_alu instid0(VALU_DEP_3) | instskip(NEXT) | instid1(VALU_DEP_2)
	v_add_f64 v[33:34], v[35:36], v[33:34]
	v_add_f64 v[37:38], v[31:32], 1.0
	v_add_f64 v[43:44], v[31:32], -1.0
	s_delay_alu instid0(VALU_DEP_3) | instskip(SKIP_1) | instid1(VALU_DEP_4)
	v_ldexp_f64 v[33:34], v[33:34], v18
	v_cndmask_b32_e64 v18, 0x54442d18, v59, s5
	v_add_f64 v[35:36], v[37:38], -1.0
	s_delay_alu instid0(VALU_DEP_4) | instskip(NEXT) | instid1(VALU_DEP_2)
	v_add_f64 v[45:46], v[43:44], 1.0
	v_add_f64 v[35:36], v[31:32], -v[35:36]
	s_delay_alu instid0(VALU_DEP_2) | instskip(NEXT) | instid1(VALU_DEP_2)
	v_add_f64 v[31:32], v[31:32], -v[45:46]
	v_add_f64 v[35:36], v[33:34], v[35:36]
	s_delay_alu instid0(VALU_DEP_2) | instskip(NEXT) | instid1(VALU_DEP_2)
	v_add_f64 v[31:32], v[33:34], v[31:32]
	v_add_f64 v[39:40], v[37:38], v[35:36]
	s_delay_alu instid0(VALU_DEP_2) | instskip(NEXT) | instid1(VALU_DEP_2)
	v_add_f64 v[45:46], v[43:44], v[31:32]
	v_rcp_f64_e32 v[41:42], v[39:40]
	v_add_f64 v[37:38], v[39:40], -v[37:38]
	s_delay_alu instid0(VALU_DEP_2) | instskip(NEXT) | instid1(VALU_DEP_2)
	v_add_f64 v[43:44], v[45:46], -v[43:44]
	v_add_f64 v[35:36], v[35:36], -v[37:38]
	s_waitcnt_depctr 0xfff
	v_fma_f64 v[47:48], -v[39:40], v[41:42], 1.0
	v_add_f64 v[31:32], v[31:32], -v[43:44]
	s_delay_alu instid0(VALU_DEP_2) | instskip(NEXT) | instid1(VALU_DEP_1)
	v_fma_f64 v[41:42], v[47:48], v[41:42], v[41:42]
	v_fma_f64 v[33:34], -v[39:40], v[41:42], 1.0
	s_delay_alu instid0(VALU_DEP_1) | instskip(NEXT) | instid1(VALU_DEP_1)
	v_fma_f64 v[33:34], v[33:34], v[41:42], v[41:42]
	v_mul_f64 v[41:42], v[45:46], v[33:34]
	s_delay_alu instid0(VALU_DEP_1) | instskip(NEXT) | instid1(VALU_DEP_1)
	v_mul_f64 v[47:48], v[39:40], v[41:42]
	v_fma_f64 v[37:38], v[41:42], v[39:40], -v[47:48]
	s_delay_alu instid0(VALU_DEP_1) | instskip(NEXT) | instid1(VALU_DEP_1)
	v_fma_f64 v[37:38], v[41:42], v[35:36], v[37:38]
	v_add_f64 v[49:50], v[47:48], v[37:38]
	s_delay_alu instid0(VALU_DEP_1) | instskip(SKIP_2) | instid1(VALU_DEP_3)
	v_add_f64 v[51:52], v[45:46], -v[49:50]
	v_add_f64 v[43:44], v[49:50], -v[47:48]
	v_max_f64 v[47:48], |v[7:8]|, |v[7:8]|
	v_add_f64 v[45:46], v[45:46], -v[51:52]
	s_delay_alu instid0(VALU_DEP_3) | instskip(NEXT) | instid1(VALU_DEP_2)
	v_add_f64 v[37:38], v[43:44], -v[37:38]
	v_add_f64 v[45:46], v[45:46], -v[49:50]
	v_max_f64 v[49:50], |v[5:6]|, |v[5:6]|
	v_cndmask_b32_e64 v5, 0x3fe921fb, v60, s5
	s_delay_alu instid0(VALU_DEP_1) | instskip(NEXT) | instid1(VALU_DEP_4)
	v_bfi_b32 v5, 0x7fffffff, v5, v8
	v_add_f64 v[31:32], v[31:32], v[45:46]
	s_delay_alu instid0(VALU_DEP_4) | instskip(SKIP_1) | instid1(VALU_DEP_3)
	v_max_f64 v[53:54], v[49:50], v[47:48]
	v_min_f64 v[47:48], v[49:50], v[47:48]
	v_add_f64 v[31:32], v[37:38], v[31:32]
	s_delay_alu instid0(VALU_DEP_1) | instskip(NEXT) | instid1(VALU_DEP_1)
	v_add_f64 v[37:38], v[51:52], v[31:32]
	v_mul_f64 v[43:44], v[33:34], v[37:38]
	v_add_f64 v[51:52], v[51:52], -v[37:38]
	s_delay_alu instid0(VALU_DEP_2) | instskip(NEXT) | instid1(VALU_DEP_2)
	v_mul_f64 v[45:46], v[39:40], v[43:44]
	v_add_f64 v[31:32], v[31:32], v[51:52]
	s_delay_alu instid0(VALU_DEP_2) | instskip(NEXT) | instid1(VALU_DEP_1)
	v_fma_f64 v[39:40], v[43:44], v[39:40], -v[45:46]
	v_fma_f64 v[35:36], v[43:44], v[35:36], v[39:40]
	v_div_scale_f64 v[39:40], null, v[53:54], v[53:54], v[47:48]
	s_delay_alu instid0(VALU_DEP_2) | instskip(NEXT) | instid1(VALU_DEP_2)
	v_add_f64 v[49:50], v[45:46], v[35:36]
	v_rcp_f64_e32 v[55:56], v[39:40]
	s_delay_alu instid0(VALU_DEP_1)
	v_add_f64 v[57:58], v[37:38], -v[49:50]
	v_add_f64 v[45:46], v[49:50], -v[45:46]
	s_waitcnt_depctr 0xfff
	v_fma_f64 v[61:62], -v[39:40], v[55:56], 1.0
	v_add_f64 v[37:38], v[37:38], -v[57:58]
	v_add_f64 v[35:36], v[45:46], -v[35:36]
	s_delay_alu instid0(VALU_DEP_3) | instskip(NEXT) | instid1(VALU_DEP_3)
	v_fma_f64 v[55:56], v[55:56], v[61:62], v[55:56]
	v_add_f64 v[37:38], v[37:38], -v[49:50]
	s_delay_alu instid0(VALU_DEP_2) | instskip(NEXT) | instid1(VALU_DEP_2)
	v_fma_f64 v[49:50], -v[39:40], v[55:56], 1.0
	v_add_f64 v[31:32], v[31:32], v[37:38]
	v_div_scale_f64 v[37:38], vcc_lo, v[47:48], v[53:54], v[47:48]
	s_delay_alu instid0(VALU_DEP_3) | instskip(SKIP_1) | instid1(VALU_DEP_4)
	v_fma_f64 v[45:46], v[55:56], v[49:50], v[55:56]
	v_add_f64 v[49:50], v[41:42], v[43:44]
	v_add_f64 v[31:32], v[35:36], v[31:32]
	s_delay_alu instid0(VALU_DEP_3) | instskip(NEXT) | instid1(VALU_DEP_3)
	v_mul_f64 v[35:36], v[37:38], v[45:46]
	v_add_f64 v[41:42], v[49:50], -v[41:42]
	s_delay_alu instid0(VALU_DEP_3) | instskip(NEXT) | instid1(VALU_DEP_3)
	v_add_f64 v[31:32], v[57:58], v[31:32]
	v_fma_f64 v[37:38], -v[39:40], v[35:36], v[37:38]
	s_delay_alu instid0(VALU_DEP_3) | instskip(NEXT) | instid1(VALU_DEP_3)
	v_add_f64 v[39:40], v[43:44], -v[41:42]
	v_mul_f64 v[31:32], v[33:34], v[31:32]
	s_delay_alu instid0(VALU_DEP_3) | instskip(SKIP_1) | instid1(VALU_DEP_3)
	v_div_fmas_f64 v[33:34], v[37:38], v[45:46], v[35:36]
	v_cmp_eq_f64_e32 vcc_lo, 0x7ff00000, v[14:15]
	v_add_f64 v[31:32], v[39:40], v[31:32]
	s_delay_alu instid0(VALU_DEP_3) | instskip(NEXT) | instid1(VALU_DEP_2)
	v_div_fixup_f64 v[33:34], v[33:34], v[53:54], v[47:48]
	v_add_f64 v[35:36], v[49:50], v[31:32]
	s_delay_alu instid0(VALU_DEP_2) | instskip(NEXT) | instid1(VALU_DEP_2)
	v_mul_f64 v[37:38], v[33:34], v[33:34]
	v_mul_f64 v[39:40], v[35:36], v[35:36]
	s_delay_alu instid0(VALU_DEP_2) | instskip(NEXT) | instid1(VALU_DEP_2)
	v_fma_f64 v[41:42], v[37:38], s[48:49], s[46:47]
	v_fma_f64 v[43:44], v[39:40], s[28:29], s[26:27]
	v_mul_f64 v[45:46], v[35:36], v[39:40]
	s_delay_alu instid0(VALU_DEP_3) | instskip(NEXT) | instid1(VALU_DEP_3)
	v_fma_f64 v[41:42], v[37:38], v[41:42], s[50:51]
	v_fma_f64 v[43:44], v[39:40], v[43:44], s[34:35]
	s_delay_alu instid0(VALU_DEP_2) | instskip(NEXT) | instid1(VALU_DEP_2)
	v_fma_f64 v[41:42], v[37:38], v[41:42], s[52:53]
	v_fma_f64 v[43:44], v[39:40], v[43:44], s[36:37]
	s_delay_alu instid0(VALU_DEP_2) | instskip(NEXT) | instid1(VALU_DEP_2)
	;; [unrolled: 3-line block ×4, first 2 shown]
	v_fma_f64 v[41:42], v[37:38], v[41:42], s[58:59]
	v_fma_f64 v[39:40], v[39:40], v[43:44], s[98:99]
	v_ldexp_f64 v[43:44], v[35:36], 1
	v_add_f64 v[35:36], v[35:36], -v[49:50]
	s_delay_alu instid0(VALU_DEP_4) | instskip(NEXT) | instid1(VALU_DEP_4)
	v_fma_f64 v[41:42], v[37:38], v[41:42], s[60:61]
	v_mul_f64 v[39:40], v[45:46], v[39:40]
	v_cvt_f64_i32_e32 v[45:46], v13
	s_delay_alu instid0(VALU_DEP_4) | instskip(NEXT) | instid1(VALU_DEP_4)
	v_add_f64 v[31:32], v[31:32], -v[35:36]
	v_fma_f64 v[41:42], v[37:38], v[41:42], s[62:63]
	v_ashrrev_i32_e32 v13, 31, v6
	s_delay_alu instid0(VALU_DEP_1) | instskip(SKIP_4) | instid1(VALU_DEP_4)
	v_and_b32_e32 v6, 0x400921fb, v13
	v_add_f64 v[47:48], v[43:44], v[39:40]
	v_mul_f64 v[49:50], v[45:46], s[42:43]
	v_ldexp_f64 v[31:32], v[31:32], 1
	v_fma_f64 v[41:42], v[37:38], v[41:42], s[64:65]
	v_add_f64 v[35:36], v[47:48], -v[43:44]
	s_delay_alu instid0(VALU_DEP_4) | instskip(NEXT) | instid1(VALU_DEP_3)
	v_fma_f64 v[43:44], v[45:46], s[42:43], -v[49:50]
	v_fma_f64 v[41:42], v[37:38], v[41:42], s[66:67]
	s_delay_alu instid0(VALU_DEP_3) | instskip(NEXT) | instid1(VALU_DEP_2)
	v_add_f64 v[35:36], v[39:40], -v[35:36]
	v_fma_f64 v[39:40], v[37:38], v[41:42], s[68:69]
	s_delay_alu instid0(VALU_DEP_4) | instskip(NEXT) | instid1(VALU_DEP_3)
	v_fma_f64 v[41:42], v[45:46], s[44:45], v[43:44]
	v_add_f64 v[31:32], v[31:32], v[35:36]
	s_delay_alu instid0(VALU_DEP_3) | instskip(NEXT) | instid1(VALU_DEP_3)
	v_fma_f64 v[35:36], v[37:38], v[39:40], s[70:71]
	v_add_f64 v[39:40], v[49:50], v[41:42]
	s_delay_alu instid0(VALU_DEP_3) | instskip(NEXT) | instid1(VALU_DEP_3)
	v_add_f64 v[43:44], v[47:48], v[31:32]
	v_fma_f64 v[35:36], v[37:38], v[35:36], s[72:73]
	s_delay_alu instid0(VALU_DEP_3) | instskip(NEXT) | instid1(VALU_DEP_3)
	v_add_f64 v[49:50], v[39:40], -v[49:50]
	v_add_f64 v[45:46], v[39:40], v[43:44]
	v_add_f64 v[47:48], v[43:44], -v[47:48]
	s_delay_alu instid0(VALU_DEP_4) | instskip(NEXT) | instid1(VALU_DEP_4)
	v_fma_f64 v[35:36], v[37:38], v[35:36], s[74:75]
	v_add_f64 v[41:42], v[41:42], -v[49:50]
	s_delay_alu instid0(VALU_DEP_4) | instskip(NEXT) | instid1(VALU_DEP_4)
	v_add_f64 v[51:52], v[45:46], -v[39:40]
	v_add_f64 v[31:32], v[31:32], -v[47:48]
	s_delay_alu instid0(VALU_DEP_4) | instskip(NEXT) | instid1(VALU_DEP_3)
	v_fma_f64 v[35:36], v[37:38], v[35:36], s[76:77]
	v_add_f64 v[53:54], v[45:46], -v[51:52]
	v_add_f64 v[43:44], v[43:44], -v[51:52]
	s_delay_alu instid0(VALU_DEP_4) | instskip(NEXT) | instid1(VALU_DEP_4)
	v_add_f64 v[47:48], v[41:42], v[31:32]
	v_fma_f64 v[35:36], v[37:38], v[35:36], s[78:79]
	s_delay_alu instid0(VALU_DEP_4) | instskip(NEXT) | instid1(VALU_DEP_2)
	v_add_f64 v[39:40], v[39:40], -v[53:54]
	v_fma_f64 v[35:36], v[37:38], v[35:36], s[80:81]
	s_delay_alu instid0(VALU_DEP_2) | instskip(SKIP_1) | instid1(VALU_DEP_3)
	v_add_f64 v[39:40], v[43:44], v[39:40]
	v_add_f64 v[43:44], v[47:48], -v[41:42]
	v_fma_f64 v[35:36], v[37:38], v[35:36], s[82:83]
	s_delay_alu instid0(VALU_DEP_3) | instskip(NEXT) | instid1(VALU_DEP_3)
	v_add_f64 v[39:40], v[47:48], v[39:40]
	v_add_f64 v[47:48], v[47:48], -v[43:44]
	v_add_f64 v[31:32], v[31:32], -v[43:44]
	s_delay_alu instid0(VALU_DEP_4) | instskip(NEXT) | instid1(VALU_DEP_4)
	v_fma_f64 v[35:36], v[37:38], v[35:36], s[84:85]
	v_add_f64 v[49:50], v[45:46], v[39:40]
	s_delay_alu instid0(VALU_DEP_2) | instskip(SKIP_1) | instid1(VALU_DEP_3)
	v_mul_f64 v[35:36], v[37:38], v[35:36]
	v_add_f64 v[37:38], v[41:42], -v[47:48]
	v_add_f64 v[41:42], v[49:50], -v[45:46]
	s_delay_alu instid0(VALU_DEP_3) | instskip(NEXT) | instid1(VALU_DEP_3)
	v_fma_f64 v[33:34], v[33:34], v[35:36], v[33:34]
	v_add_f64 v[31:32], v[31:32], v[37:38]
	s_delay_alu instid0(VALU_DEP_3) | instskip(NEXT) | instid1(VALU_DEP_3)
	v_add_f64 v[35:36], v[39:40], -v[41:42]
	v_add_f64 v[37:38], -v[33:34], s[86:87]
	s_delay_alu instid0(VALU_DEP_2) | instskip(NEXT) | instid1(VALU_DEP_2)
	v_add_f64 v[31:32], v[31:32], v[35:36]
	v_cndmask_b32_e64 v34, v34, v38, s4
	s_delay_alu instid0(VALU_DEP_3) | instskip(NEXT) | instid1(VALU_DEP_1)
	v_cndmask_b32_e64 v33, v33, v37, s4
	v_add_f64 v[35:36], -v[33:34], s[14:15]
	s_delay_alu instid0(VALU_DEP_4) | instskip(SKIP_1) | instid1(VALU_DEP_3)
	v_add_f64 v[31:32], v[49:50], v[31:32]
	v_and_b32_e32 v37, 0x54442d18, v13
	v_cndmask_b32_e64 v33, v33, v35, s5
	s_delay_alu instid0(VALU_DEP_4) | instskip(SKIP_3) | instid1(VALU_DEP_2)
	v_cndmask_b32_e64 v13, v34, v36, s5
	v_cmp_nge_f64_e64 s5, -1.0, v[14:15]
	v_dual_cndmask_b32 v32, v32, v15 :: v_dual_cndmask_b32 v31, v31, v14
	v_cmp_eq_f64_e32 vcc_lo, 0, v[7:8]
	v_mul_f64 v[31:32], v[31:32], 0.5
	v_cndmask_b32_e32 v33, v33, v37, vcc_lo
	v_cndmask_b32_e32 v6, v13, v6, vcc_lo
	v_cmp_ngt_f64_e32 vcc_lo, -1.0, v[14:15]
	s_delay_alu instid0(VALU_DEP_4) | instskip(SKIP_4) | instid1(VALU_DEP_2)
	v_cndmask_b32_e64 v13, 0, v31, s5
	v_cmp_neq_f64_e64 s5, -1.0, v[14:15]
	v_cndmask_b32_e32 v34, 0x7ff80000, v32, vcc_lo
	s_and_b32 vcc_lo, s6, s7
	v_dual_cndmask_b32 v32, v6, v5 :: v_dual_cndmask_b32 v31, v33, v18
	v_cndmask_b32_e64 v14, 0xfff00000, v34, s5
.LBB180_200:                            ;   in Loop: Header=BB180_145 Depth=1
	s_or_b32 exec_lo, exec_lo, s90
.LBB180_201:                            ;   in Loop: Header=BB180_145 Depth=1
	s_delay_alu instid0(SALU_CYCLE_1)
	s_or_b32 exec_lo, exec_lo, s23
.LBB180_202:                            ;   in Loop: Header=BB180_145 Depth=1
	s_and_not1_saveexec_b32 s7, s22
	s_cbranch_execz .LBB180_204
; %bb.203:                              ;   in Loop: Header=BB180_145 Depth=1
	v_max_f64 v[13:14], |v[7:8]|, |v[7:8]|
	v_max_f64 v[31:32], |v[5:6]|, |v[5:6]|
	v_cmp_class_f64_e64 s8, v[5:6], 0x204
	v_cmp_class_f64_e64 s9, v[7:8], 0x204
	s_mov_b32 s99, s25
	s_mov_b32 s14, s86
	v_cmp_eq_f64_e64 s6, 0, v[7:8]
	s_delay_alu instid0(VALU_DEP_4) | instskip(SKIP_1) | instid1(VALU_DEP_4)
	v_max_f64 v[33:34], v[31:32], v[13:14]
	v_min_f64 v[13:14], v[31:32], v[13:14]
	s_or_b32 s10, s9, s8
	s_delay_alu instid0(VALU_DEP_2) | instskip(NEXT) | instid1(VALU_DEP_1)
	v_frexp_exp_i32_f64_e32 v15, v[33:34]
	v_sub_nc_u32_e32 v18, 0, v15
	s_delay_alu instid0(VALU_DEP_1) | instskip(SKIP_1) | instid1(VALU_DEP_2)
	v_ldexp_f64 v[35:36], |v[7:8]|, v18
	v_ldexp_f64 v[37:38], |v[5:6]|, v18
	v_mul_f64 v[35:36], v[35:36], v[35:36]
	s_delay_alu instid0(VALU_DEP_1) | instskip(NEXT) | instid1(VALU_DEP_1)
	v_fma_f64 v[35:36], v[37:38], v[37:38], v[35:36]
	v_rsq_f64_e32 v[37:38], v[35:36]
	v_cmp_eq_f64_e32 vcc_lo, 0, v[35:36]
	s_waitcnt_depctr 0xfff
	v_mul_f64 v[39:40], v[35:36], v[37:38]
	v_mul_f64 v[37:38], v[37:38], 0.5
	s_delay_alu instid0(VALU_DEP_1) | instskip(NEXT) | instid1(VALU_DEP_1)
	v_fma_f64 v[41:42], -v[37:38], v[39:40], 0.5
	v_fma_f64 v[39:40], v[39:40], v[41:42], v[39:40]
	v_fma_f64 v[37:38], v[37:38], v[41:42], v[37:38]
	s_delay_alu instid0(VALU_DEP_2) | instskip(NEXT) | instid1(VALU_DEP_1)
	v_fma_f64 v[41:42], -v[39:40], v[39:40], v[35:36]
	v_fma_f64 v[37:38], v[41:42], v[37:38], v[39:40]
	s_delay_alu instid0(VALU_DEP_1) | instskip(SKIP_1) | instid1(VALU_DEP_2)
	v_dual_cndmask_b32 v36, v38, v36 :: v_dual_cndmask_b32 v35, v37, v35
	v_div_scale_f64 v[57:58], vcc_lo, v[13:14], v[33:34], v[13:14]
	v_ldexp_f64 v[35:36], v[35:36], v15
	s_delay_alu instid0(VALU_DEP_1) | instskip(NEXT) | instid1(VALU_DEP_2)
	v_cndmask_b32_e64 v38, v36, 0x7ff00000, s10
	v_cndmask_b32_e64 v37, v35, 0, s10
	s_delay_alu instid0(VALU_DEP_1) | instskip(SKIP_1) | instid1(VALU_DEP_2)
	v_frexp_mant_f64_e32 v[39:40], v[37:38]
	v_frexp_exp_i32_f64_e32 v5, v[37:38]
	v_cmp_gt_f64_e64 s5, s[24:25], v[39:40]
	s_delay_alu instid0(VALU_DEP_1) | instskip(NEXT) | instid1(VALU_DEP_1)
	v_cndmask_b32_e64 v18, 0x3ff00000, 2.0, s5
	v_mul_f64 v[39:40], v[39:40], v[17:18]
	s_delay_alu instid0(VALU_DEP_1) | instskip(SKIP_1) | instid1(VALU_DEP_2)
	v_add_f64 v[41:42], v[39:40], 1.0
	v_add_f64 v[47:48], v[39:40], -1.0
	v_rcp_f64_e32 v[43:44], v[41:42]
	v_add_f64 v[49:50], v[41:42], -1.0
	s_delay_alu instid0(VALU_DEP_1) | instskip(SKIP_2) | instid1(VALU_DEP_1)
	v_add_f64 v[39:40], v[39:40], -v[49:50]
	s_waitcnt_depctr 0xfff
	v_fma_f64 v[45:46], -v[41:42], v[43:44], 1.0
	v_fma_f64 v[43:44], v[45:46], v[43:44], v[43:44]
	s_delay_alu instid0(VALU_DEP_1) | instskip(NEXT) | instid1(VALU_DEP_1)
	v_fma_f64 v[45:46], -v[41:42], v[43:44], 1.0
	v_fma_f64 v[43:44], v[45:46], v[43:44], v[43:44]
	v_div_scale_f64 v[45:46], null, v[33:34], v[33:34], v[13:14]
	s_delay_alu instid0(VALU_DEP_2) | instskip(NEXT) | instid1(VALU_DEP_2)
	v_mul_f64 v[31:32], v[47:48], v[43:44]
	v_rcp_f64_e32 v[53:54], v[45:46]
	s_delay_alu instid0(VALU_DEP_1) | instskip(SKIP_3) | instid1(VALU_DEP_1)
	v_mul_f64 v[51:52], v[41:42], v[31:32]
	s_waitcnt_depctr 0xfff
	v_fma_f64 v[49:50], -v[45:46], v[53:54], 1.0
	v_fma_f64 v[41:42], v[31:32], v[41:42], -v[51:52]
	v_fma_f64 v[39:40], v[31:32], v[39:40], v[41:42]
	s_delay_alu instid0(VALU_DEP_3) | instskip(NEXT) | instid1(VALU_DEP_2)
	v_fma_f64 v[41:42], v[53:54], v[49:50], v[53:54]
	v_add_f64 v[49:50], v[51:52], v[39:40]
	s_delay_alu instid0(VALU_DEP_2) | instskip(NEXT) | instid1(VALU_DEP_2)
	v_fma_f64 v[53:54], -v[45:46], v[41:42], 1.0
	v_add_f64 v[55:56], v[47:48], -v[49:50]
	s_delay_alu instid0(VALU_DEP_2) | instskip(SKIP_1) | instid1(VALU_DEP_3)
	v_fma_f64 v[41:42], v[41:42], v[53:54], v[41:42]
	v_add_f64 v[51:52], v[49:50], -v[51:52]
	v_add_f64 v[47:48], v[47:48], -v[55:56]
	s_delay_alu instid0(VALU_DEP_3) | instskip(NEXT) | instid1(VALU_DEP_3)
	v_mul_f64 v[53:54], v[57:58], v[41:42]
	v_add_f64 v[39:40], v[51:52], -v[39:40]
	s_delay_alu instid0(VALU_DEP_3) | instskip(NEXT) | instid1(VALU_DEP_3)
	v_add_f64 v[47:48], v[47:48], -v[49:50]
	v_fma_f64 v[45:46], -v[45:46], v[53:54], v[57:58]
	s_delay_alu instid0(VALU_DEP_2) | instskip(NEXT) | instid1(VALU_DEP_2)
	v_add_f64 v[39:40], v[39:40], v[47:48]
	v_div_fmas_f64 v[41:42], v[45:46], v[41:42], v[53:54]
	v_subrev_co_ci_u32_e64 v5, vcc_lo, 0, v5, s5
	v_cmp_class_f64_e64 s5, v[35:36], 0x204
	v_cmp_gt_i32_e32 vcc_lo, 0, v6
	v_cndmask_b32_e32 v18, 0x3fe921fb, v60, vcc_lo
	s_delay_alu instid0(VALU_DEP_1) | instskip(SKIP_2) | instid1(VALU_DEP_2)
	v_bfi_b32 v18, 0x7fffffff, v18, v8
	v_add_f64 v[39:40], v[55:56], v[39:40]
	v_div_fixup_f64 v[13:14], v[41:42], v[33:34], v[13:14]
	v_mul_f64 v[33:34], v[43:44], v[39:40]
	s_delay_alu instid0(VALU_DEP_2) | instskip(NEXT) | instid1(VALU_DEP_2)
	v_mul_f64 v[39:40], v[13:14], v[13:14]
	v_add_f64 v[41:42], v[31:32], v[33:34]
	s_delay_alu instid0(VALU_DEP_2) | instskip(NEXT) | instid1(VALU_DEP_2)
	v_fma_f64 v[43:44], v[39:40], s[48:49], s[46:47]
	v_mul_f64 v[45:46], v[41:42], v[41:42]
	s_delay_alu instid0(VALU_DEP_2) | instskip(SKIP_1) | instid1(VALU_DEP_3)
	v_fma_f64 v[43:44], v[39:40], v[43:44], s[50:51]
	v_add_f64 v[31:32], v[41:42], -v[31:32]
	v_fma_f64 v[47:48], v[45:46], s[28:29], s[26:27]
	s_delay_alu instid0(VALU_DEP_3) | instskip(SKIP_1) | instid1(VALU_DEP_4)
	v_fma_f64 v[43:44], v[39:40], v[43:44], s[52:53]
	v_mul_f64 v[49:50], v[41:42], v[45:46]
	v_add_f64 v[31:32], v[33:34], -v[31:32]
	s_delay_alu instid0(VALU_DEP_4) | instskip(NEXT) | instid1(VALU_DEP_4)
	v_fma_f64 v[47:48], v[45:46], v[47:48], s[34:35]
	v_fma_f64 v[43:44], v[39:40], v[43:44], s[54:55]
	s_delay_alu instid0(VALU_DEP_3) | instskip(NEXT) | instid1(VALU_DEP_3)
	v_ldexp_f64 v[31:32], v[31:32], 1
	v_fma_f64 v[47:48], v[45:46], v[47:48], s[36:37]
	s_delay_alu instid0(VALU_DEP_3) | instskip(NEXT) | instid1(VALU_DEP_2)
	v_fma_f64 v[43:44], v[39:40], v[43:44], s[56:57]
	v_fma_f64 v[47:48], v[45:46], v[47:48], s[38:39]
	s_delay_alu instid0(VALU_DEP_2) | instskip(NEXT) | instid1(VALU_DEP_2)
	v_fma_f64 v[43:44], v[39:40], v[43:44], s[58:59]
	v_fma_f64 v[47:48], v[45:46], v[47:48], s[40:41]
	s_delay_alu instid0(VALU_DEP_2) | instskip(NEXT) | instid1(VALU_DEP_2)
	v_fma_f64 v[43:44], v[39:40], v[43:44], s[60:61]
	v_fma_f64 v[45:46], v[45:46], v[47:48], s[98:99]
	s_delay_alu instid0(VALU_DEP_2) | instskip(SKIP_1) | instid1(VALU_DEP_3)
	v_fma_f64 v[43:44], v[39:40], v[43:44], s[62:63]
	v_ldexp_f64 v[47:48], v[41:42], 1
	v_mul_f64 v[45:46], v[49:50], v[45:46]
	s_delay_alu instid0(VALU_DEP_3) | instskip(SKIP_2) | instid1(VALU_DEP_1)
	v_fma_f64 v[43:44], v[39:40], v[43:44], s[64:65]
	v_cvt_f64_i32_e32 v[49:50], v5
	v_ashrrev_i32_e32 v5, 31, v6
	v_dual_cndmask_b32 v6, 0x54442d18, v59 :: v_dual_and_b32 v15, 0x54442d18, v5
	v_and_b32_e32 v5, 0x400921fb, v5
	v_add_f64 v[41:42], v[47:48], v[45:46]
	v_fma_f64 v[43:44], v[39:40], v[43:44], s[66:67]
	v_mul_f64 v[51:52], v[49:50], s[42:43]
	s_delay_alu instid0(VALU_DEP_3) | instskip(NEXT) | instid1(VALU_DEP_3)
	v_add_f64 v[33:34], v[41:42], -v[47:48]
	v_fma_f64 v[43:44], v[39:40], v[43:44], s[68:69]
	s_delay_alu instid0(VALU_DEP_3) | instskip(NEXT) | instid1(VALU_DEP_3)
	v_fma_f64 v[47:48], v[49:50], s[42:43], -v[51:52]
	v_add_f64 v[33:34], v[45:46], -v[33:34]
	s_delay_alu instid0(VALU_DEP_3) | instskip(NEXT) | instid1(VALU_DEP_3)
	v_fma_f64 v[43:44], v[39:40], v[43:44], s[70:71]
	v_fma_f64 v[45:46], v[49:50], s[44:45], v[47:48]
	s_delay_alu instid0(VALU_DEP_3) | instskip(NEXT) | instid1(VALU_DEP_3)
	v_add_f64 v[31:32], v[31:32], v[33:34]
	v_fma_f64 v[33:34], v[39:40], v[43:44], s[72:73]
	s_delay_alu instid0(VALU_DEP_3) | instskip(NEXT) | instid1(VALU_DEP_3)
	v_add_f64 v[43:44], v[51:52], v[45:46]
	v_add_f64 v[47:48], v[41:42], v[31:32]
	s_delay_alu instid0(VALU_DEP_3) | instskip(NEXT) | instid1(VALU_DEP_3)
	v_fma_f64 v[33:34], v[39:40], v[33:34], s[74:75]
	v_add_f64 v[51:52], v[43:44], -v[51:52]
	s_delay_alu instid0(VALU_DEP_3) | instskip(NEXT) | instid1(VALU_DEP_3)
	v_add_f64 v[49:50], v[43:44], v[47:48]
	v_fma_f64 v[33:34], v[39:40], v[33:34], s[76:77]
	v_add_f64 v[41:42], v[47:48], -v[41:42]
	s_delay_alu instid0(VALU_DEP_4) | instskip(NEXT) | instid1(VALU_DEP_4)
	v_add_f64 v[45:46], v[45:46], -v[51:52]
	v_add_f64 v[53:54], v[49:50], -v[43:44]
	s_delay_alu instid0(VALU_DEP_4) | instskip(NEXT) | instid1(VALU_DEP_4)
	v_fma_f64 v[33:34], v[39:40], v[33:34], s[78:79]
	v_add_f64 v[31:32], v[31:32], -v[41:42]
	s_delay_alu instid0(VALU_DEP_3) | instskip(NEXT) | instid1(VALU_DEP_3)
	v_add_f64 v[55:56], v[49:50], -v[53:54]
	v_fma_f64 v[33:34], v[39:40], v[33:34], s[80:81]
	v_add_f64 v[41:42], v[47:48], -v[53:54]
	s_delay_alu instid0(VALU_DEP_4) | instskip(NEXT) | instid1(VALU_DEP_4)
	v_add_f64 v[47:48], v[45:46], v[31:32]
	v_add_f64 v[43:44], v[43:44], -v[55:56]
	s_delay_alu instid0(VALU_DEP_4) | instskip(NEXT) | instid1(VALU_DEP_2)
	v_fma_f64 v[33:34], v[39:40], v[33:34], s[82:83]
	v_add_f64 v[41:42], v[41:42], v[43:44]
	s_delay_alu instid0(VALU_DEP_2) | instskip(SKIP_1) | instid1(VALU_DEP_3)
	v_fma_f64 v[33:34], v[39:40], v[33:34], s[84:85]
	v_add_f64 v[43:44], v[47:48], -v[45:46]
	v_add_f64 v[41:42], v[47:48], v[41:42]
	s_delay_alu instid0(VALU_DEP_3) | instskip(NEXT) | instid1(VALU_DEP_3)
	v_mul_f64 v[33:34], v[39:40], v[33:34]
	v_add_f64 v[39:40], v[47:48], -v[43:44]
	v_add_f64 v[31:32], v[31:32], -v[43:44]
	s_delay_alu instid0(VALU_DEP_4) | instskip(NEXT) | instid1(VALU_DEP_4)
	v_add_f64 v[47:48], v[49:50], v[41:42]
	v_fma_f64 v[13:14], v[13:14], v[33:34], v[13:14]
	s_delay_alu instid0(VALU_DEP_4) | instskip(NEXT) | instid1(VALU_DEP_3)
	v_add_f64 v[33:34], v[45:46], -v[39:40]
	v_add_f64 v[39:40], v[47:48], -v[49:50]
	s_delay_alu instid0(VALU_DEP_3) | instskip(NEXT) | instid1(VALU_DEP_3)
	v_add_f64 v[43:44], -v[13:14], s[86:87]
	v_add_f64 v[31:32], v[31:32], v[33:34]
	s_delay_alu instid0(VALU_DEP_3) | instskip(NEXT) | instid1(VALU_DEP_3)
	v_add_f64 v[33:34], v[41:42], -v[39:40]
	v_cndmask_b32_e64 v14, v14, v44, s4
	s_delay_alu instid0(VALU_DEP_4) | instskip(NEXT) | instid1(VALU_DEP_3)
	v_cndmask_b32_e64 v13, v13, v43, s4
	v_add_f64 v[31:32], v[31:32], v[33:34]
	s_delay_alu instid0(VALU_DEP_2) | instskip(NEXT) | instid1(VALU_DEP_2)
	v_add_f64 v[33:34], -v[13:14], s[14:15]
	v_add_f64 v[31:32], v[47:48], v[31:32]
	s_delay_alu instid0(VALU_DEP_2) | instskip(SKIP_1) | instid1(VALU_DEP_2)
	v_dual_cndmask_b32 v13, v13, v33 :: v_dual_cndmask_b32 v14, v14, v34
	v_cmp_ngt_f64_e32 vcc_lo, 0, v[37:38]
	v_cndmask_b32_e64 v15, v13, v15, s6
	s_delay_alu instid0(VALU_DEP_3) | instskip(SKIP_3) | instid1(VALU_DEP_3)
	v_cndmask_b32_e64 v5, v14, v5, s6
	v_cndmask_b32_e64 v32, v32, v36, s5
	v_cndmask_b32_e64 v31, v31, v35, s5
	v_cmp_nge_f64_e64 s5, 0, v[37:38]
	v_cndmask_b32_e64 v32, v32, 0x7ff00000, s10
	s_delay_alu instid0(VALU_DEP_3) | instskip(NEXT) | instid1(VALU_DEP_2)
	v_cndmask_b32_e64 v13, v31, 0, s10
	v_cndmask_b32_e32 v14, 0x7ff80000, v32, vcc_lo
	s_and_b32 vcc_lo, s9, s8
	v_cndmask_b32_e32 v32, v5, v18, vcc_lo
	v_cndmask_b32_e32 v31, v15, v6, vcc_lo
	v_cndmask_b32_e64 v13, 0, v13, s5
	v_cmp_neq_f64_e64 s5, 0, v[37:38]
	s_delay_alu instid0(VALU_DEP_1)
	v_cndmask_b32_e64 v14, 0xfff00000, v14, s5
.LBB180_204:                            ;   in Loop: Header=BB180_145 Depth=1
	s_or_b32 exec_lo, exec_lo, s7
                                        ; implicit-def: $vgpr35_vgpr36
.LBB180_205:                            ;   in Loop: Header=BB180_145 Depth=1
	s_and_not1_saveexec_b32 s7, s21
	s_cbranch_execz .LBB180_211
; %bb.206:                              ;   in Loop: Header=BB180_145 Depth=1
	s_mov_b32 s8, 0x6a3f9475
	s_mov_b32 s9, 0x20ca2fe7
                                        ; implicit-def: $vgpr13_vgpr14
                                        ; implicit-def: $vgpr31_vgpr32
	s_mov_b32 s5, exec_lo
	v_cmpx_ngt_f64_e32 s[8:9], v[35:36]
	s_xor_b32 s8, exec_lo, s5
	s_cbranch_execz .LBB180_208
; %bb.207:                              ;   in Loop: Header=BB180_145 Depth=1
	v_mul_f64 v[13:14], v[35:36], v[35:36]
	s_mov_b32 s99, s25
	s_mov_b32 s14, s86
	v_cmp_eq_f64_e64 s6, 0, v[7:8]
	v_cmp_class_f64_e64 s9, v[7:8], 0x204
	v_cmp_class_f64_e64 s10, v[5:6], 0x204
	v_cmp_gt_i32_e64 s5, 0, v6
	v_add_f64 v[31:32], v[13:14], 1.0
	s_delay_alu instid0(VALU_DEP_1) | instskip(SKIP_2) | instid1(VALU_DEP_3)
	v_frexp_mant_f64_e32 v[33:34], v[31:32]
	v_frexp_exp_i32_f64_e32 v15, v[31:32]
	v_add_f64 v[35:36], v[31:32], -1.0
	v_cmp_gt_f64_e32 vcc_lo, s[24:25], v[33:34]
	s_delay_alu instid0(VALU_DEP_2) | instskip(SKIP_2) | instid1(VALU_DEP_3)
	v_add_f64 v[33:34], v[35:36], -v[31:32]
	v_add_f64 v[35:36], v[13:14], -v[35:36]
	v_subrev_co_ci_u32_e32 v15, vcc_lo, 0, v15, vcc_lo
	v_add_f64 v[33:34], v[33:34], 1.0
	s_delay_alu instid0(VALU_DEP_2) | instskip(NEXT) | instid1(VALU_DEP_1)
	v_sub_nc_u32_e32 v18, 0, v15
	v_ldexp_f64 v[31:32], v[31:32], v18
	s_delay_alu instid0(VALU_DEP_3) | instskip(NEXT) | instid1(VALU_DEP_2)
	v_add_f64 v[33:34], v[35:36], v[33:34]
	v_add_f64 v[37:38], v[31:32], 1.0
	v_add_f64 v[43:44], v[31:32], -1.0
	s_delay_alu instid0(VALU_DEP_3) | instskip(SKIP_1) | instid1(VALU_DEP_4)
	v_ldexp_f64 v[33:34], v[33:34], v18
	v_cndmask_b32_e64 v18, 0x54442d18, v59, s5
	v_add_f64 v[35:36], v[37:38], -1.0
	s_delay_alu instid0(VALU_DEP_4) | instskip(NEXT) | instid1(VALU_DEP_2)
	v_add_f64 v[45:46], v[43:44], 1.0
	v_add_f64 v[35:36], v[31:32], -v[35:36]
	s_delay_alu instid0(VALU_DEP_2) | instskip(NEXT) | instid1(VALU_DEP_2)
	v_add_f64 v[31:32], v[31:32], -v[45:46]
	v_add_f64 v[35:36], v[33:34], v[35:36]
	s_delay_alu instid0(VALU_DEP_2) | instskip(NEXT) | instid1(VALU_DEP_2)
	v_add_f64 v[31:32], v[33:34], v[31:32]
	v_add_f64 v[39:40], v[37:38], v[35:36]
	s_delay_alu instid0(VALU_DEP_2) | instskip(NEXT) | instid1(VALU_DEP_2)
	v_add_f64 v[45:46], v[43:44], v[31:32]
	v_rcp_f64_e32 v[41:42], v[39:40]
	v_add_f64 v[37:38], v[37:38], -v[39:40]
	s_delay_alu instid0(VALU_DEP_2) | instskip(NEXT) | instid1(VALU_DEP_2)
	v_add_f64 v[43:44], v[43:44], -v[45:46]
	v_add_f64 v[35:36], v[35:36], v[37:38]
	s_waitcnt_depctr 0xfff
	v_fma_f64 v[47:48], -v[39:40], v[41:42], 1.0
	v_add_f64 v[31:32], v[31:32], v[43:44]
	s_delay_alu instid0(VALU_DEP_2) | instskip(NEXT) | instid1(VALU_DEP_1)
	v_fma_f64 v[41:42], v[47:48], v[41:42], v[41:42]
	v_fma_f64 v[33:34], -v[39:40], v[41:42], 1.0
	s_delay_alu instid0(VALU_DEP_1) | instskip(NEXT) | instid1(VALU_DEP_1)
	v_fma_f64 v[33:34], v[33:34], v[41:42], v[41:42]
	v_mul_f64 v[41:42], v[45:46], v[33:34]
	s_delay_alu instid0(VALU_DEP_1) | instskip(NEXT) | instid1(VALU_DEP_1)
	v_mul_f64 v[47:48], v[39:40], v[41:42]
	v_fma_f64 v[37:38], v[41:42], v[39:40], -v[47:48]
	s_delay_alu instid0(VALU_DEP_1) | instskip(NEXT) | instid1(VALU_DEP_1)
	v_fma_f64 v[37:38], v[41:42], v[35:36], v[37:38]
	v_add_f64 v[49:50], v[47:48], v[37:38]
	s_delay_alu instid0(VALU_DEP_1) | instskip(SKIP_2) | instid1(VALU_DEP_3)
	v_add_f64 v[51:52], v[45:46], -v[49:50]
	v_add_f64 v[43:44], v[49:50], -v[47:48]
	v_max_f64 v[47:48], |v[7:8]|, |v[7:8]|
	v_add_f64 v[45:46], v[45:46], -v[51:52]
	s_delay_alu instid0(VALU_DEP_3) | instskip(NEXT) | instid1(VALU_DEP_2)
	v_add_f64 v[37:38], v[43:44], -v[37:38]
	v_add_f64 v[45:46], v[45:46], -v[49:50]
	v_max_f64 v[49:50], |v[5:6]|, |v[5:6]|
	s_delay_alu instid0(VALU_DEP_2) | instskip(NEXT) | instid1(VALU_DEP_2)
	v_add_f64 v[31:32], v[31:32], v[45:46]
	v_max_f64 v[53:54], v[49:50], v[47:48]
	v_min_f64 v[47:48], v[49:50], v[47:48]
	s_delay_alu instid0(VALU_DEP_3) | instskip(NEXT) | instid1(VALU_DEP_1)
	v_add_f64 v[31:32], v[37:38], v[31:32]
	v_add_f64 v[37:38], v[51:52], v[31:32]
	s_delay_alu instid0(VALU_DEP_1) | instskip(SKIP_1) | instid1(VALU_DEP_2)
	v_mul_f64 v[43:44], v[33:34], v[37:38]
	v_add_f64 v[51:52], v[51:52], -v[37:38]
	v_mul_f64 v[45:46], v[39:40], v[43:44]
	s_delay_alu instid0(VALU_DEP_2) | instskip(NEXT) | instid1(VALU_DEP_2)
	v_add_f64 v[31:32], v[31:32], v[51:52]
	v_fma_f64 v[39:40], v[43:44], v[39:40], -v[45:46]
	s_delay_alu instid0(VALU_DEP_1) | instskip(SKIP_1) | instid1(VALU_DEP_2)
	v_fma_f64 v[35:36], v[43:44], v[35:36], v[39:40]
	v_div_scale_f64 v[39:40], null, v[53:54], v[53:54], v[47:48]
	v_add_f64 v[49:50], v[45:46], v[35:36]
	s_delay_alu instid0(VALU_DEP_2) | instskip(NEXT) | instid1(VALU_DEP_1)
	v_rcp_f64_e32 v[55:56], v[39:40]
	v_add_f64 v[57:58], v[37:38], -v[49:50]
	v_add_f64 v[45:46], v[49:50], -v[45:46]
	s_waitcnt_depctr 0xfff
	v_fma_f64 v[61:62], -v[39:40], v[55:56], 1.0
	v_add_f64 v[37:38], v[37:38], -v[57:58]
	v_add_f64 v[35:36], v[45:46], -v[35:36]
	s_delay_alu instid0(VALU_DEP_3) | instskip(NEXT) | instid1(VALU_DEP_3)
	v_fma_f64 v[55:56], v[55:56], v[61:62], v[55:56]
	v_add_f64 v[37:38], v[37:38], -v[49:50]
	s_delay_alu instid0(VALU_DEP_2) | instskip(NEXT) | instid1(VALU_DEP_2)
	v_fma_f64 v[49:50], -v[39:40], v[55:56], 1.0
	v_add_f64 v[31:32], v[31:32], v[37:38]
	v_div_scale_f64 v[37:38], vcc_lo, v[47:48], v[53:54], v[47:48]
	s_delay_alu instid0(VALU_DEP_3) | instskip(SKIP_1) | instid1(VALU_DEP_4)
	v_fma_f64 v[45:46], v[55:56], v[49:50], v[55:56]
	v_add_f64 v[49:50], v[41:42], v[43:44]
	v_add_f64 v[31:32], v[35:36], v[31:32]
	s_delay_alu instid0(VALU_DEP_3) | instskip(NEXT) | instid1(VALU_DEP_3)
	v_mul_f64 v[35:36], v[37:38], v[45:46]
	v_add_f64 v[41:42], v[49:50], -v[41:42]
	s_delay_alu instid0(VALU_DEP_3) | instskip(NEXT) | instid1(VALU_DEP_3)
	v_add_f64 v[31:32], v[57:58], v[31:32]
	v_fma_f64 v[37:38], -v[39:40], v[35:36], v[37:38]
	s_delay_alu instid0(VALU_DEP_3) | instskip(NEXT) | instid1(VALU_DEP_3)
	v_add_f64 v[39:40], v[43:44], -v[41:42]
	v_mul_f64 v[31:32], v[33:34], v[31:32]
	s_delay_alu instid0(VALU_DEP_3) | instskip(SKIP_1) | instid1(VALU_DEP_3)
	v_div_fmas_f64 v[33:34], v[37:38], v[45:46], v[35:36]
	v_cmp_eq_f64_e32 vcc_lo, 0x7ff00000, v[13:14]
	v_add_f64 v[31:32], v[39:40], v[31:32]
	s_delay_alu instid0(VALU_DEP_3) | instskip(NEXT) | instid1(VALU_DEP_2)
	v_div_fixup_f64 v[33:34], v[33:34], v[53:54], v[47:48]
	v_add_f64 v[35:36], v[49:50], v[31:32]
	s_delay_alu instid0(VALU_DEP_2) | instskip(NEXT) | instid1(VALU_DEP_2)
	v_mul_f64 v[37:38], v[33:34], v[33:34]
	v_mul_f64 v[39:40], v[35:36], v[35:36]
	s_delay_alu instid0(VALU_DEP_2) | instskip(NEXT) | instid1(VALU_DEP_2)
	v_fma_f64 v[41:42], v[37:38], s[48:49], s[46:47]
	v_fma_f64 v[43:44], v[39:40], s[28:29], s[26:27]
	v_mul_f64 v[45:46], v[35:36], v[39:40]
	s_delay_alu instid0(VALU_DEP_3) | instskip(NEXT) | instid1(VALU_DEP_3)
	v_fma_f64 v[41:42], v[37:38], v[41:42], s[50:51]
	v_fma_f64 v[43:44], v[39:40], v[43:44], s[34:35]
	s_delay_alu instid0(VALU_DEP_2) | instskip(NEXT) | instid1(VALU_DEP_2)
	v_fma_f64 v[41:42], v[37:38], v[41:42], s[52:53]
	v_fma_f64 v[43:44], v[39:40], v[43:44], s[36:37]
	s_delay_alu instid0(VALU_DEP_2) | instskip(NEXT) | instid1(VALU_DEP_2)
	;; [unrolled: 3-line block ×4, first 2 shown]
	v_fma_f64 v[41:42], v[37:38], v[41:42], s[58:59]
	v_fma_f64 v[39:40], v[39:40], v[43:44], s[98:99]
	v_ldexp_f64 v[43:44], v[35:36], 1
	v_add_f64 v[35:36], v[35:36], -v[49:50]
	s_delay_alu instid0(VALU_DEP_4) | instskip(NEXT) | instid1(VALU_DEP_4)
	v_fma_f64 v[41:42], v[37:38], v[41:42], s[60:61]
	v_mul_f64 v[39:40], v[45:46], v[39:40]
	v_cvt_f64_i32_e32 v[45:46], v15
	s_delay_alu instid0(VALU_DEP_4) | instskip(NEXT) | instid1(VALU_DEP_4)
	v_add_f64 v[31:32], v[31:32], -v[35:36]
	v_fma_f64 v[41:42], v[37:38], v[41:42], s[62:63]
	v_ashrrev_i32_e32 v15, 31, v6
	v_add_f64 v[47:48], v[43:44], v[39:40]
	v_mul_f64 v[49:50], v[45:46], s[42:43]
	v_ldexp_f64 v[31:32], v[31:32], 1
	v_fma_f64 v[41:42], v[37:38], v[41:42], s[64:65]
	s_delay_alu instid0(VALU_DEP_4) | instskip(NEXT) | instid1(VALU_DEP_4)
	v_add_f64 v[35:36], v[47:48], -v[43:44]
	v_fma_f64 v[43:44], v[45:46], s[42:43], -v[49:50]
	s_delay_alu instid0(VALU_DEP_3) | instskip(NEXT) | instid1(VALU_DEP_3)
	v_fma_f64 v[41:42], v[37:38], v[41:42], s[66:67]
	v_add_f64 v[35:36], v[39:40], -v[35:36]
	s_delay_alu instid0(VALU_DEP_2) | instskip(NEXT) | instid1(VALU_DEP_4)
	v_fma_f64 v[39:40], v[37:38], v[41:42], s[68:69]
	v_fma_f64 v[41:42], v[45:46], s[44:45], v[43:44]
	s_delay_alu instid0(VALU_DEP_3) | instskip(NEXT) | instid1(VALU_DEP_3)
	v_add_f64 v[31:32], v[31:32], v[35:36]
	v_fma_f64 v[35:36], v[37:38], v[39:40], s[70:71]
	s_delay_alu instid0(VALU_DEP_3) | instskip(NEXT) | instid1(VALU_DEP_3)
	v_add_f64 v[39:40], v[49:50], v[41:42]
	v_add_f64 v[43:44], v[47:48], v[31:32]
	s_delay_alu instid0(VALU_DEP_3) | instskip(NEXT) | instid1(VALU_DEP_3)
	v_fma_f64 v[35:36], v[37:38], v[35:36], s[72:73]
	v_add_f64 v[49:50], v[39:40], -v[49:50]
	s_delay_alu instid0(VALU_DEP_3) | instskip(SKIP_1) | instid1(VALU_DEP_4)
	v_add_f64 v[45:46], v[39:40], v[43:44]
	v_add_f64 v[47:48], v[43:44], -v[47:48]
	v_fma_f64 v[35:36], v[37:38], v[35:36], s[74:75]
	s_delay_alu instid0(VALU_DEP_4) | instskip(NEXT) | instid1(VALU_DEP_4)
	v_add_f64 v[41:42], v[41:42], -v[49:50]
	v_add_f64 v[51:52], v[45:46], -v[39:40]
	s_delay_alu instid0(VALU_DEP_4) | instskip(NEXT) | instid1(VALU_DEP_4)
	v_add_f64 v[31:32], v[31:32], -v[47:48]
	v_fma_f64 v[35:36], v[37:38], v[35:36], s[76:77]
	s_delay_alu instid0(VALU_DEP_3) | instskip(SKIP_1) | instid1(VALU_DEP_4)
	v_add_f64 v[53:54], v[45:46], -v[51:52]
	v_add_f64 v[43:44], v[43:44], -v[51:52]
	v_add_f64 v[47:48], v[41:42], v[31:32]
	s_delay_alu instid0(VALU_DEP_4) | instskip(NEXT) | instid1(VALU_DEP_4)
	v_fma_f64 v[35:36], v[37:38], v[35:36], s[78:79]
	v_add_f64 v[39:40], v[39:40], -v[53:54]
	s_delay_alu instid0(VALU_DEP_2) | instskip(NEXT) | instid1(VALU_DEP_2)
	v_fma_f64 v[35:36], v[37:38], v[35:36], s[80:81]
	v_add_f64 v[39:40], v[43:44], v[39:40]
	v_add_f64 v[43:44], v[47:48], -v[41:42]
	s_delay_alu instid0(VALU_DEP_3) | instskip(NEXT) | instid1(VALU_DEP_3)
	v_fma_f64 v[35:36], v[37:38], v[35:36], s[82:83]
	v_add_f64 v[39:40], v[47:48], v[39:40]
	s_delay_alu instid0(VALU_DEP_3) | instskip(SKIP_1) | instid1(VALU_DEP_4)
	v_add_f64 v[47:48], v[47:48], -v[43:44]
	v_add_f64 v[31:32], v[31:32], -v[43:44]
	v_fma_f64 v[35:36], v[37:38], v[35:36], s[84:85]
	s_delay_alu instid0(VALU_DEP_4) | instskip(NEXT) | instid1(VALU_DEP_2)
	v_add_f64 v[49:50], v[45:46], v[39:40]
	v_mul_f64 v[35:36], v[37:38], v[35:36]
	v_add_f64 v[37:38], v[41:42], -v[47:48]
	s_delay_alu instid0(VALU_DEP_3) | instskip(NEXT) | instid1(VALU_DEP_3)
	v_add_f64 v[41:42], v[49:50], -v[45:46]
	v_fma_f64 v[33:34], v[33:34], v[35:36], v[33:34]
	s_delay_alu instid0(VALU_DEP_3) | instskip(NEXT) | instid1(VALU_DEP_3)
	v_add_f64 v[31:32], v[31:32], v[37:38]
	v_add_f64 v[35:36], v[39:40], -v[41:42]
	s_delay_alu instid0(VALU_DEP_3) | instskip(NEXT) | instid1(VALU_DEP_2)
	v_add_f64 v[37:38], -v[33:34], s[86:87]
	v_add_f64 v[31:32], v[31:32], v[35:36]
	s_delay_alu instid0(VALU_DEP_2) | instskip(NEXT) | instid1(VALU_DEP_3)
	v_cndmask_b32_e64 v34, v34, v38, s4
	v_cndmask_b32_e64 v33, v33, v37, s4
	s_delay_alu instid0(VALU_DEP_1) | instskip(NEXT) | instid1(VALU_DEP_4)
	v_add_f64 v[35:36], -v[33:34], s[14:15]
	v_add_f64 v[31:32], v[49:50], v[31:32]
	v_and_b32_e32 v37, 0x54442d18, v15
	s_delay_alu instid0(VALU_DEP_3) | instskip(NEXT) | instid1(VALU_DEP_3)
	v_cndmask_b32_e64 v33, v33, v35, s5
	v_dual_cndmask_b32 v6, v32, v14 :: v_dual_cndmask_b32 v5, v31, v13
	s_delay_alu instid0(VALU_DEP_2) | instskip(SKIP_1) | instid1(VALU_DEP_2)
	v_cndmask_b32_e64 v31, v33, v37, s6
	s_and_b32 vcc_lo, s9, s10
	v_mul_f64 v[13:14], v[5:6], 0.5
	v_and_b32_e32 v6, 0x400921fb, v15
	v_cndmask_b32_e64 v5, 0x3fe921fb, v60, s5
	v_cndmask_b32_e64 v15, v34, v36, s5
                                        ; implicit-def: $vgpr35_vgpr36
	v_cndmask_b32_e32 v31, v31, v18, vcc_lo
	s_delay_alu instid0(VALU_DEP_3) | instskip(NEXT) | instid1(VALU_DEP_3)
	v_bfi_b32 v5, 0x7fffffff, v5, v8
	v_cndmask_b32_e64 v6, v15, v6, s6
	s_delay_alu instid0(VALU_DEP_1)
	v_cndmask_b32_e32 v32, v6, v5, vcc_lo
.LBB180_208:                            ;   in Loop: Header=BB180_145 Depth=1
	s_and_not1_saveexec_b32 s6, s8
	s_cbranch_execz .LBB180_210
; %bb.209:                              ;   in Loop: Header=BB180_145 Depth=1
	v_max_f64 v[13:14], |v[7:8]|, |v[7:8]|
	v_max_f64 v[31:32], |v[5:6]|, |v[5:6]|
	s_mov_b32 s14, s86
	v_cmp_eq_f64_e64 s5, 0, v[7:8]
	v_cmp_class_f64_e64 s8, v[7:8], 0x204
	v_cmp_class_f64_e64 s9, v[5:6], 0x204
	v_ashrrev_i32_e32 v18, 31, v6
	v_max_f64 v[33:34], v[31:32], v[13:14]
	v_min_f64 v[13:14], v[31:32], v[13:14]
	s_delay_alu instid0(VALU_DEP_1) | instskip(SKIP_1) | instid1(VALU_DEP_2)
	v_div_scale_f64 v[31:32], null, v[33:34], v[33:34], v[13:14]
	v_div_scale_f64 v[41:42], vcc_lo, v[13:14], v[33:34], v[13:14]
	v_rcp_f64_e32 v[37:38], v[31:32]
	s_waitcnt_depctr 0xfff
	v_fma_f64 v[39:40], -v[31:32], v[37:38], 1.0
	s_delay_alu instid0(VALU_DEP_1) | instskip(NEXT) | instid1(VALU_DEP_1)
	v_fma_f64 v[37:38], v[37:38], v[39:40], v[37:38]
	v_fma_f64 v[39:40], -v[31:32], v[37:38], 1.0
	s_delay_alu instid0(VALU_DEP_1) | instskip(NEXT) | instid1(VALU_DEP_1)
	v_fma_f64 v[37:38], v[37:38], v[39:40], v[37:38]
	v_mul_f64 v[39:40], v[41:42], v[37:38]
	s_delay_alu instid0(VALU_DEP_1) | instskip(NEXT) | instid1(VALU_DEP_1)
	v_fma_f64 v[31:32], -v[31:32], v[39:40], v[41:42]
	v_div_fmas_f64 v[31:32], v[31:32], v[37:38], v[39:40]
	v_cmp_gt_i32_e32 vcc_lo, 0, v6
	v_and_b32_e32 v38, 0x54442d18, v18
	v_and_b32_e32 v6, 0x400921fb, v18
	v_cndmask_b32_e32 v5, 0x3fe921fb, v60, vcc_lo
	v_cndmask_b32_e32 v37, 0x54442d18, v59, vcc_lo
	s_delay_alu instid0(VALU_DEP_2) | instskip(SKIP_1) | instid1(VALU_DEP_1)
	v_bfi_b32 v5, 0x7fffffff, v5, v8
	v_div_fixup_f64 v[13:14], v[31:32], v[33:34], v[13:14]
	v_mul_f64 v[31:32], v[13:14], v[13:14]
	s_delay_alu instid0(VALU_DEP_1) | instskip(NEXT) | instid1(VALU_DEP_1)
	v_fma_f64 v[33:34], v[31:32], s[48:49], s[46:47]
	v_fma_f64 v[33:34], v[31:32], v[33:34], s[50:51]
	s_delay_alu instid0(VALU_DEP_1) | instskip(NEXT) | instid1(VALU_DEP_1)
	v_fma_f64 v[33:34], v[31:32], v[33:34], s[52:53]
	v_fma_f64 v[33:34], v[31:32], v[33:34], s[54:55]
	s_delay_alu instid0(VALU_DEP_1) | instskip(NEXT) | instid1(VALU_DEP_1)
	v_fma_f64 v[33:34], v[31:32], v[33:34], s[56:57]
	v_fma_f64 v[33:34], v[31:32], v[33:34], s[58:59]
	s_delay_alu instid0(VALU_DEP_1) | instskip(NEXT) | instid1(VALU_DEP_1)
	v_fma_f64 v[33:34], v[31:32], v[33:34], s[60:61]
	v_fma_f64 v[33:34], v[31:32], v[33:34], s[62:63]
	s_delay_alu instid0(VALU_DEP_1) | instskip(NEXT) | instid1(VALU_DEP_1)
	v_fma_f64 v[33:34], v[31:32], v[33:34], s[64:65]
	v_fma_f64 v[33:34], v[31:32], v[33:34], s[66:67]
	s_delay_alu instid0(VALU_DEP_1) | instskip(NEXT) | instid1(VALU_DEP_1)
	v_fma_f64 v[33:34], v[31:32], v[33:34], s[68:69]
	v_fma_f64 v[33:34], v[31:32], v[33:34], s[70:71]
	s_delay_alu instid0(VALU_DEP_1) | instskip(NEXT) | instid1(VALU_DEP_1)
	v_fma_f64 v[33:34], v[31:32], v[33:34], s[72:73]
	v_fma_f64 v[33:34], v[31:32], v[33:34], s[74:75]
	s_delay_alu instid0(VALU_DEP_1) | instskip(NEXT) | instid1(VALU_DEP_1)
	v_fma_f64 v[33:34], v[31:32], v[33:34], s[76:77]
	v_fma_f64 v[33:34], v[31:32], v[33:34], s[78:79]
	s_delay_alu instid0(VALU_DEP_1) | instskip(NEXT) | instid1(VALU_DEP_1)
	v_fma_f64 v[33:34], v[31:32], v[33:34], s[80:81]
	v_fma_f64 v[33:34], v[31:32], v[33:34], s[82:83]
	s_delay_alu instid0(VALU_DEP_1) | instskip(NEXT) | instid1(VALU_DEP_1)
	v_fma_f64 v[33:34], v[31:32], v[33:34], s[84:85]
	v_mul_f64 v[31:32], v[31:32], v[33:34]
	v_mul_f64 v[33:34], v[35:36], 0.5
	s_delay_alu instid0(VALU_DEP_2) | instskip(NEXT) | instid1(VALU_DEP_1)
	v_fma_f64 v[13:14], v[13:14], v[31:32], v[13:14]
	v_add_f64 v[31:32], -v[13:14], s[86:87]
	s_delay_alu instid0(VALU_DEP_1) | instskip(NEXT) | instid1(VALU_DEP_2)
	v_cndmask_b32_e64 v15, v14, v32, s4
	v_cndmask_b32_e64 v14, v13, v31, s4
	s_delay_alu instid0(VALU_DEP_1) | instskip(NEXT) | instid1(VALU_DEP_1)
	v_add_f64 v[31:32], -v[14:15], s[14:15]
	v_cndmask_b32_e32 v31, v14, v31, vcc_lo
	v_mul_f64 v[13:14], v[35:36], v[33:34]
	s_delay_alu instid0(VALU_DEP_3) | instskip(SKIP_1) | instid1(VALU_DEP_3)
	v_cndmask_b32_e32 v15, v15, v32, vcc_lo
	s_and_b32 vcc_lo, s8, s9
	v_cndmask_b32_e64 v18, v31, v38, s5
	s_delay_alu instid0(VALU_DEP_2) | instskip(NEXT) | instid1(VALU_DEP_2)
	v_cndmask_b32_e64 v6, v15, v6, s5
	v_cndmask_b32_e32 v31, v18, v37, vcc_lo
	s_delay_alu instid0(VALU_DEP_2)
	v_cndmask_b32_e32 v32, v6, v5, vcc_lo
.LBB180_210:                            ;   in Loop: Header=BB180_145 Depth=1
	s_or_b32 exec_lo, exec_lo, s6
.LBB180_211:                            ;   in Loop: Header=BB180_145 Depth=1
	s_delay_alu instid0(SALU_CYCLE_1)
	s_or_b32 exec_lo, exec_lo, s7
.LBB180_212:                            ;   in Loop: Header=BB180_145 Depth=1
	s_and_not1_saveexec_b32 s7, s20
	s_cbranch_execz .LBB180_214
; %bb.213:                              ;   in Loop: Header=BB180_145 Depth=1
	v_div_scale_f64 v[13:14], null, s[92:93], s[92:93], v[5:6]
	v_div_scale_f64 v[31:32], null, s[92:93], s[92:93], v[7:8]
	v_div_scale_f64 v[41:42], vcc_lo, v[5:6], s[92:93], v[5:6]
	v_max_f64 v[45:46], |v[5:6]|, |v[5:6]|
	s_mov_b32 s99, s25
	s_mov_b32 s14, s86
	s_delay_alu instid0(VALU_DEP_4) | instskip(NEXT) | instid1(VALU_DEP_3)
	v_rcp_f64_e32 v[33:34], v[13:14]
	v_rcp_f64_e32 v[35:36], v[31:32]
	s_waitcnt_depctr 0xfff
	v_fma_f64 v[37:38], -v[13:14], v[33:34], 1.0
	v_fma_f64 v[39:40], -v[31:32], v[35:36], 1.0
	s_delay_alu instid0(VALU_DEP_2) | instskip(NEXT) | instid1(VALU_DEP_2)
	v_fma_f64 v[33:34], v[33:34], v[37:38], v[33:34]
	v_fma_f64 v[35:36], v[35:36], v[39:40], v[35:36]
	s_delay_alu instid0(VALU_DEP_2) | instskip(NEXT) | instid1(VALU_DEP_2)
	v_fma_f64 v[37:38], -v[13:14], v[33:34], 1.0
	v_fma_f64 v[39:40], -v[31:32], v[35:36], 1.0
	s_delay_alu instid0(VALU_DEP_2) | instskip(SKIP_1) | instid1(VALU_DEP_3)
	v_fma_f64 v[33:34], v[33:34], v[37:38], v[33:34]
	v_div_scale_f64 v[37:38], s5, v[7:8], s[92:93], v[7:8]
	v_fma_f64 v[35:36], v[35:36], v[39:40], v[35:36]
	s_delay_alu instid0(VALU_DEP_3) | instskip(NEXT) | instid1(VALU_DEP_2)
	v_mul_f64 v[39:40], v[41:42], v[33:34]
	v_mul_f64 v[43:44], v[37:38], v[35:36]
	s_delay_alu instid0(VALU_DEP_2) | instskip(NEXT) | instid1(VALU_DEP_2)
	v_fma_f64 v[13:14], -v[13:14], v[39:40], v[41:42]
	v_fma_f64 v[31:32], -v[31:32], v[43:44], v[37:38]
	s_delay_alu instid0(VALU_DEP_2) | instskip(SKIP_1) | instid1(VALU_DEP_2)
	v_div_fmas_f64 v[13:14], v[13:14], v[33:34], v[39:40]
	s_mov_b32 vcc_lo, s5
	v_div_fmas_f64 v[31:32], v[31:32], v[35:36], v[43:44]
	s_delay_alu instid0(VALU_DEP_2) | instskip(NEXT) | instid1(VALU_DEP_2)
	v_div_fixup_f64 v[13:14], v[13:14], s[92:93], v[5:6]
	v_div_fixup_f64 v[31:32], v[31:32], s[92:93], v[7:8]
	s_delay_alu instid0(VALU_DEP_2) | instskip(NEXT) | instid1(VALU_DEP_2)
	v_cmp_class_f64_e64 s6, v[13:14], 0x204
	v_max_f64 v[33:34], |v[13:14]|, |v[31:32]|
	v_cmp_o_f64_e64 s5, v[13:14], v[31:32]
	v_cmp_class_f64_e64 s8, v[31:32], 0x204
	s_delay_alu instid0(VALU_DEP_3) | instskip(NEXT) | instid1(VALU_DEP_2)
	v_frexp_exp_i32_f64_e32 v15, v[33:34]
	s_or_b32 s8, s8, s6
	s_delay_alu instid0(VALU_DEP_1) | instskip(NEXT) | instid1(VALU_DEP_1)
	v_sub_nc_u32_e32 v18, 0, v15
	v_ldexp_f64 v[33:34], |v[31:32]|, v18
	v_ldexp_f64 v[35:36], |v[13:14]|, v18
	s_delay_alu instid0(VALU_DEP_2) | instskip(NEXT) | instid1(VALU_DEP_1)
	v_mul_f64 v[33:34], v[33:34], v[33:34]
	v_fma_f64 v[33:34], v[35:36], v[35:36], v[33:34]
	s_delay_alu instid0(VALU_DEP_1) | instskip(SKIP_4) | instid1(VALU_DEP_1)
	v_rsq_f64_e32 v[35:36], v[33:34]
	v_cmp_eq_f64_e32 vcc_lo, 0, v[33:34]
	s_waitcnt_depctr 0xfff
	v_mul_f64 v[37:38], v[33:34], v[35:36]
	v_mul_f64 v[35:36], v[35:36], 0.5
	v_fma_f64 v[39:40], -v[35:36], v[37:38], 0.5
	s_delay_alu instid0(VALU_DEP_1) | instskip(SKIP_1) | instid1(VALU_DEP_2)
	v_fma_f64 v[37:38], v[37:38], v[39:40], v[37:38]
	v_fma_f64 v[35:36], v[35:36], v[39:40], v[35:36]
	v_fma_f64 v[39:40], -v[37:38], v[37:38], v[33:34]
	s_delay_alu instid0(VALU_DEP_1) | instskip(NEXT) | instid1(VALU_DEP_1)
	v_fma_f64 v[35:36], v[39:40], v[35:36], v[37:38]
	v_dual_cndmask_b32 v34, v36, v34 :: v_dual_cndmask_b32 v33, v35, v33
	s_delay_alu instid0(VALU_DEP_1) | instskip(NEXT) | instid1(VALU_DEP_1)
	v_ldexp_f64 v[33:34], v[33:34], v15
	v_cndmask_b32_e64 v13, 0, v33, s5
	s_delay_alu instid0(VALU_DEP_2) | instskip(NEXT) | instid1(VALU_DEP_2)
	v_cndmask_b32_e64 v57, 0x7ff80000, v34, s5
	v_cndmask_b32_e64 v14, v13, 0, s8
	s_delay_alu instid0(VALU_DEP_2) | instskip(NEXT) | instid1(VALU_DEP_1)
	v_cndmask_b32_e64 v15, v57, 0x7ff00000, s8
	v_frexp_mant_f64_e32 v[31:32], v[14:15]
	s_delay_alu instid0(VALU_DEP_1) | instskip(NEXT) | instid1(VALU_DEP_1)
	v_cmp_gt_f64_e64 s6, s[24:25], v[31:32]
	v_cndmask_b32_e64 v18, 0x3ff00000, 2.0, s6
	s_delay_alu instid0(VALU_DEP_1) | instskip(SKIP_1) | instid1(VALU_DEP_2)
	v_mul_f64 v[31:32], v[31:32], v[17:18]
	v_frexp_exp_i32_f64_e32 v18, v[14:15]
	v_add_f64 v[35:36], v[31:32], 1.0
	v_add_f64 v[41:42], v[31:32], -1.0
	s_delay_alu instid0(VALU_DEP_2) | instskip(SKIP_1) | instid1(VALU_DEP_1)
	v_rcp_f64_e32 v[37:38], v[35:36]
	v_add_f64 v[47:48], v[35:36], -1.0
	v_add_f64 v[31:32], v[31:32], -v[47:48]
	s_waitcnt_depctr 0xfff
	v_fma_f64 v[39:40], -v[35:36], v[37:38], 1.0
	s_delay_alu instid0(VALU_DEP_1) | instskip(NEXT) | instid1(VALU_DEP_1)
	v_fma_f64 v[37:38], v[39:40], v[37:38], v[37:38]
	v_fma_f64 v[39:40], -v[35:36], v[37:38], 1.0
	s_delay_alu instid0(VALU_DEP_1) | instskip(SKIP_1) | instid1(VALU_DEP_2)
	v_fma_f64 v[37:38], v[39:40], v[37:38], v[37:38]
	v_max_f64 v[39:40], |v[7:8]|, |v[7:8]|
	v_mul_f64 v[43:44], v[41:42], v[37:38]
	s_delay_alu instid0(VALU_DEP_2) | instskip(SKIP_1) | instid1(VALU_DEP_3)
	v_max_f64 v[51:52], v[45:46], v[39:40]
	v_min_f64 v[39:40], v[45:46], v[39:40]
	v_mul_f64 v[49:50], v[35:36], v[43:44]
	s_delay_alu instid0(VALU_DEP_2) | instskip(NEXT) | instid1(VALU_DEP_2)
	v_div_scale_f64 v[45:46], null, v[51:52], v[51:52], v[39:40]
	v_fma_f64 v[35:36], v[43:44], v[35:36], -v[49:50]
	s_delay_alu instid0(VALU_DEP_1) | instskip(NEXT) | instid1(VALU_DEP_3)
	v_fma_f64 v[31:32], v[43:44], v[31:32], v[35:36]
	v_rcp_f64_e32 v[35:36], v[45:46]
	s_delay_alu instid0(VALU_DEP_1) | instskip(SKIP_4) | instid1(VALU_DEP_3)
	v_add_f64 v[47:48], v[49:50], v[31:32]
	s_waitcnt_depctr 0xfff
	v_fma_f64 v[53:54], -v[45:46], v[35:36], 1.0
	v_add_f64 v[55:56], v[41:42], -v[47:48]
	v_add_f64 v[49:50], v[47:48], -v[49:50]
	v_fma_f64 v[35:36], v[35:36], v[53:54], v[35:36]
	s_delay_alu instid0(VALU_DEP_3) | instskip(NEXT) | instid1(VALU_DEP_3)
	v_add_f64 v[41:42], v[41:42], -v[55:56]
	v_add_f64 v[31:32], v[49:50], -v[31:32]
	s_delay_alu instid0(VALU_DEP_3) | instskip(NEXT) | instid1(VALU_DEP_3)
	v_fma_f64 v[53:54], -v[45:46], v[35:36], 1.0
	v_add_f64 v[41:42], v[41:42], -v[47:48]
	v_div_scale_f64 v[47:48], vcc_lo, v[39:40], v[51:52], v[39:40]
	s_delay_alu instid0(VALU_DEP_3) | instskip(NEXT) | instid1(VALU_DEP_3)
	v_fma_f64 v[35:36], v[35:36], v[53:54], v[35:36]
	v_add_f64 v[31:32], v[31:32], v[41:42]
	s_delay_alu instid0(VALU_DEP_2) | instskip(NEXT) | instid1(VALU_DEP_2)
	v_mul_f64 v[41:42], v[47:48], v[35:36]
	v_add_f64 v[31:32], v[55:56], v[31:32]
	s_delay_alu instid0(VALU_DEP_2) | instskip(NEXT) | instid1(VALU_DEP_2)
	v_fma_f64 v[45:46], -v[45:46], v[41:42], v[47:48]
	v_mul_f64 v[31:32], v[37:38], v[31:32]
	s_delay_alu instid0(VALU_DEP_2) | instskip(SKIP_2) | instid1(VALU_DEP_4)
	v_div_fmas_f64 v[35:36], v[45:46], v[35:36], v[41:42]
	v_subrev_co_ci_u32_e64 v18, vcc_lo, 0, v18, s6
	v_cmp_class_f64_e64 s6, v[5:6], 0x204
	v_add_f64 v[37:38], v[43:44], v[31:32]
	s_delay_alu instid0(VALU_DEP_4) | instskip(NEXT) | instid1(VALU_DEP_2)
	v_div_fixup_f64 v[35:36], v[35:36], v[51:52], v[39:40]
	v_mul_f64 v[39:40], v[37:38], v[37:38]
	s_delay_alu instid0(VALU_DEP_2) | instskip(NEXT) | instid1(VALU_DEP_2)
	v_mul_f64 v[41:42], v[35:36], v[35:36]
	v_fma_f64 v[45:46], v[39:40], s[28:29], s[26:27]
	v_mul_f64 v[49:50], v[37:38], v[39:40]
	s_delay_alu instid0(VALU_DEP_3) | instskip(NEXT) | instid1(VALU_DEP_3)
	v_fma_f64 v[47:48], v[41:42], s[48:49], s[46:47]
	v_fma_f64 v[45:46], v[39:40], v[45:46], s[34:35]
	s_delay_alu instid0(VALU_DEP_2) | instskip(NEXT) | instid1(VALU_DEP_2)
	v_fma_f64 v[47:48], v[41:42], v[47:48], s[50:51]
	v_fma_f64 v[45:46], v[39:40], v[45:46], s[36:37]
	s_delay_alu instid0(VALU_DEP_2) | instskip(NEXT) | instid1(VALU_DEP_2)
	;; [unrolled: 3-line block ×4, first 2 shown]
	v_fma_f64 v[47:48], v[41:42], v[47:48], s[56:57]
	v_fma_f64 v[39:40], v[39:40], v[45:46], s[98:99]
	s_delay_alu instid0(VALU_DEP_2) | instskip(SKIP_2) | instid1(VALU_DEP_4)
	v_fma_f64 v[45:46], v[41:42], v[47:48], s[58:59]
	v_ldexp_f64 v[47:48], v[37:38], 1
	v_add_f64 v[37:38], v[37:38], -v[43:44]
	v_mul_f64 v[39:40], v[49:50], v[39:40]
	v_cvt_f64_i32_e32 v[49:50], v18
	v_ashrrev_i32_e32 v18, 31, v6
	v_fma_f64 v[45:46], v[41:42], v[45:46], s[60:61]
	v_add_f64 v[31:32], v[31:32], -v[37:38]
	v_add_f64 v[43:44], v[47:48], v[39:40]
	v_mul_f64 v[51:52], v[49:50], s[42:43]
	s_delay_alu instid0(VALU_DEP_4) | instskip(NEXT) | instid1(VALU_DEP_4)
	v_fma_f64 v[45:46], v[41:42], v[45:46], s[62:63]
	v_ldexp_f64 v[31:32], v[31:32], 1
	s_delay_alu instid0(VALU_DEP_4) | instskip(NEXT) | instid1(VALU_DEP_4)
	v_add_f64 v[37:38], v[43:44], -v[47:48]
	v_fma_f64 v[47:48], v[49:50], s[42:43], -v[51:52]
	s_delay_alu instid0(VALU_DEP_4) | instskip(NEXT) | instid1(VALU_DEP_3)
	v_fma_f64 v[45:46], v[41:42], v[45:46], s[64:65]
	v_add_f64 v[37:38], v[39:40], -v[37:38]
	s_delay_alu instid0(VALU_DEP_2) | instskip(NEXT) | instid1(VALU_DEP_4)
	v_fma_f64 v[39:40], v[41:42], v[45:46], s[66:67]
	v_fma_f64 v[45:46], v[49:50], s[44:45], v[47:48]
	s_delay_alu instid0(VALU_DEP_3) | instskip(NEXT) | instid1(VALU_DEP_3)
	v_add_f64 v[31:32], v[31:32], v[37:38]
	v_fma_f64 v[37:38], v[41:42], v[39:40], s[68:69]
	s_delay_alu instid0(VALU_DEP_3) | instskip(NEXT) | instid1(VALU_DEP_3)
	v_add_f64 v[39:40], v[51:52], v[45:46]
	v_add_f64 v[47:48], v[43:44], v[31:32]
	s_delay_alu instid0(VALU_DEP_3) | instskip(NEXT) | instid1(VALU_DEP_3)
	v_fma_f64 v[37:38], v[41:42], v[37:38], s[70:71]
	v_add_f64 v[51:52], v[39:40], -v[51:52]
	s_delay_alu instid0(VALU_DEP_3) | instskip(SKIP_1) | instid1(VALU_DEP_4)
	v_add_f64 v[49:50], v[39:40], v[47:48]
	v_add_f64 v[43:44], v[47:48], -v[43:44]
	v_fma_f64 v[37:38], v[41:42], v[37:38], s[72:73]
	s_delay_alu instid0(VALU_DEP_4) | instskip(NEXT) | instid1(VALU_DEP_4)
	v_add_f64 v[45:46], v[45:46], -v[51:52]
	v_add_f64 v[53:54], v[49:50], -v[39:40]
	s_delay_alu instid0(VALU_DEP_4) | instskip(NEXT) | instid1(VALU_DEP_4)
	v_add_f64 v[31:32], v[31:32], -v[43:44]
	v_fma_f64 v[37:38], v[41:42], v[37:38], s[74:75]
	s_delay_alu instid0(VALU_DEP_3) | instskip(SKIP_1) | instid1(VALU_DEP_4)
	v_add_f64 v[55:56], v[49:50], -v[53:54]
	v_add_f64 v[43:44], v[47:48], -v[53:54]
	v_add_f64 v[47:48], v[45:46], v[31:32]
	s_delay_alu instid0(VALU_DEP_4) | instskip(NEXT) | instid1(VALU_DEP_4)
	v_fma_f64 v[37:38], v[41:42], v[37:38], s[76:77]
	v_add_f64 v[39:40], v[39:40], -v[55:56]
	s_delay_alu instid0(VALU_DEP_2) | instskip(NEXT) | instid1(VALU_DEP_2)
	v_fma_f64 v[37:38], v[41:42], v[37:38], s[78:79]
	v_add_f64 v[39:40], v[43:44], v[39:40]
	v_add_f64 v[43:44], v[47:48], -v[45:46]
	s_delay_alu instid0(VALU_DEP_3) | instskip(NEXT) | instid1(VALU_DEP_3)
	v_fma_f64 v[37:38], v[41:42], v[37:38], s[80:81]
	v_add_f64 v[39:40], v[47:48], v[39:40]
	s_delay_alu instid0(VALU_DEP_3) | instskip(SKIP_1) | instid1(VALU_DEP_4)
	v_add_f64 v[47:48], v[47:48], -v[43:44]
	v_add_f64 v[31:32], v[31:32], -v[43:44]
	v_fma_f64 v[37:38], v[41:42], v[37:38], s[82:83]
	s_delay_alu instid0(VALU_DEP_4) | instskip(NEXT) | instid1(VALU_DEP_4)
	v_add_f64 v[51:52], v[49:50], v[39:40]
	v_add_f64 v[43:44], v[45:46], -v[47:48]
	s_delay_alu instid0(VALU_DEP_3) | instskip(NEXT) | instid1(VALU_DEP_3)
	v_fma_f64 v[37:38], v[41:42], v[37:38], s[84:85]
	v_add_f64 v[45:46], v[51:52], -v[49:50]
	s_delay_alu instid0(VALU_DEP_3) | instskip(NEXT) | instid1(VALU_DEP_3)
	v_add_f64 v[31:32], v[31:32], v[43:44]
	v_mul_f64 v[37:38], v[41:42], v[37:38]
	s_delay_alu instid0(VALU_DEP_3) | instskip(NEXT) | instid1(VALU_DEP_2)
	v_add_f64 v[39:40], v[39:40], -v[45:46]
	v_fma_f64 v[35:36], v[35:36], v[37:38], v[35:36]
	s_delay_alu instid0(VALU_DEP_2) | instskip(NEXT) | instid1(VALU_DEP_2)
	v_add_f64 v[31:32], v[31:32], v[39:40]
	v_add_f64 v[37:38], -v[35:36], s[86:87]
	s_delay_alu instid0(VALU_DEP_2) | instskip(SKIP_1) | instid1(VALU_DEP_1)
	v_add_f64 v[31:32], v[51:52], v[31:32]
	v_and_b32_e32 v34, 0x7fffffff, v34
	v_cmp_eq_f64_e32 vcc_lo, 0x7ff00000, v[33:34]
	s_delay_alu instid0(VALU_DEP_4) | instskip(SKIP_2) | instid1(VALU_DEP_2)
	v_cndmask_b32_e64 v34, v36, v38, s4
	v_cndmask_b32_e64 v33, v35, v37, s4
	v_cmp_eq_f64_e64 s4, 0, v[7:8]
	v_add_f64 v[35:36], -v[33:34], s[14:15]
	s_and_b32 vcc_lo, s5, vcc_lo
	v_cmp_class_f64_e64 s5, v[7:8], 0x204
	v_cndmask_b32_e32 v31, v31, v13, vcc_lo
	v_dual_cndmask_b32 v32, v32, v57 :: v_dual_and_b32 v13, 0x54442d18, v18
	v_cmp_gt_i32_e32 vcc_lo, 0, v6
	v_and_b32_e32 v6, 0x400921fb, v18
	s_delay_alu instid0(VALU_DEP_3) | instskip(SKIP_3) | instid1(VALU_DEP_3)
	v_add_f64 v[31:32], v[31:32], 1.0
	v_cndmask_b32_e32 v33, v33, v35, vcc_lo
	v_cndmask_b32_e32 v37, 0x54442d18, v59, vcc_lo
	;; [unrolled: 1-line block ×3, first 2 shown]
	v_cndmask_b32_e64 v33, v33, v13, s4
	v_cndmask_b32_e32 v18, v34, v36, vcc_lo
	v_cmp_ngt_f64_e32 vcc_lo, 0, v[14:15]
	s_delay_alu instid0(VALU_DEP_4) | instskip(NEXT) | instid1(VALU_DEP_3)
	v_bfi_b32 v5, 0x7fffffff, v5, v8
	v_cndmask_b32_e64 v6, v18, v6, s4
	v_cmp_nge_f64_e64 s4, 0, v[14:15]
	v_cndmask_b32_e64 v13, v31, 0, s8
	v_cndmask_b32_e64 v32, v32, 0x7ff00000, s8
	s_delay_alu instid0(VALU_DEP_1)
	v_cndmask_b32_e32 v18, 0x7ff80000, v32, vcc_lo
	s_and_b32 vcc_lo, s5, s6
	v_cndmask_b32_e32 v31, v33, v37, vcc_lo
	v_cndmask_b32_e32 v32, v6, v5, vcc_lo
	v_cndmask_b32_e64 v13, 0, v13, s4
	v_cmp_neq_f64_e64 s4, 0, v[14:15]
	s_delay_alu instid0(VALU_DEP_1)
	v_cndmask_b32_e64 v14, 0xfff00000, v18, s4
.LBB180_214:                            ;   in Loop: Header=BB180_145 Depth=1
	s_or_b32 exec_lo, exec_lo, s7
.LBB180_215:                            ;   in Loop: Header=BB180_145 Depth=1
	s_and_not1_saveexec_b32 s4, s89
	s_cbranch_execz .LBB180_221
; %bb.216:                              ;   in Loop: Header=BB180_145 Depth=1
	v_cmp_ngt_f64_e64 s5, 0x20000000, |v[5:6]|
	v_cmp_ngt_f64_e64 s6, 0x20000000, |v[7:8]|
                                        ; implicit-def: $vgpr14_vgpr15
	s_delay_alu instid0(VALU_DEP_1) | instskip(NEXT) | instid1(SALU_CYCLE_1)
	s_or_b32 s5, s6, s5
	s_and_saveexec_b32 s6, s5
	s_delay_alu instid0(SALU_CYCLE_1)
	s_xor_b32 s5, exec_lo, s6
; %bb.217:                              ;   in Loop: Header=BB180_145 Depth=1
	v_mul_f64 v[5:6], v[5:6], v[5:6]
	s_delay_alu instid0(VALU_DEP_1)
	v_fma_f64 v[14:15], v[7:8], v[7:8], v[5:6]
; %bb.218:                              ;   in Loop: Header=BB180_145 Depth=1
	s_and_not1_saveexec_b32 s5, s5
; %bb.219:                              ;   in Loop: Header=BB180_145 Depth=1
	v_mul_f64 v[5:6], v[5:6], 4.0
	v_mul_f64 v[13:14], v[7:8], 4.0
	s_delay_alu instid0(VALU_DEP_2) | instskip(NEXT) | instid1(VALU_DEP_1)
	v_mul_f64 v[5:6], v[5:6], v[5:6]
	v_fma_f64 v[5:6], v[13:14], v[13:14], v[5:6]
	s_delay_alu instid0(VALU_DEP_1)
	v_ldexp_f64 v[14:15], v[5:6], -4
; %bb.220:                              ;   in Loop: Header=BB180_145 Depth=1
	s_or_b32 exec_lo, exec_lo, s5
	s_delay_alu instid0(VALU_DEP_1) | instskip(SKIP_2) | instid1(VALU_DEP_2)
	v_frexp_mant_f64_e32 v[5:6], v[14:15]
	s_mov_b32 s99, s25
	v_frexp_exp_i32_f64_e32 v7, v[14:15]
	v_cmp_gt_f64_e32 vcc_lo, s[24:25], v[5:6]
	v_cndmask_b32_e64 v18, 0x3ff00000, 2.0, vcc_lo
	s_delay_alu instid0(VALU_DEP_3) | instskip(SKIP_1) | instid1(VALU_DEP_3)
	v_subrev_co_ci_u32_e32 v7, vcc_lo, 0, v7, vcc_lo
	v_cmp_class_f64_e64 vcc_lo, v[14:15], 0x204
	v_mul_f64 v[5:6], v[5:6], v[17:18]
	s_delay_alu instid0(VALU_DEP_1) | instskip(SKIP_1) | instid1(VALU_DEP_2)
	v_add_f64 v[31:32], v[5:6], 1.0
	v_add_f64 v[37:38], v[5:6], -1.0
	v_rcp_f64_e32 v[33:34], v[31:32]
	v_add_f64 v[39:40], v[31:32], -1.0
	s_delay_alu instid0(VALU_DEP_1) | instskip(SKIP_2) | instid1(VALU_DEP_1)
	v_add_f64 v[5:6], v[5:6], -v[39:40]
	s_waitcnt_depctr 0xfff
	v_fma_f64 v[35:36], -v[31:32], v[33:34], 1.0
	v_fma_f64 v[33:34], v[35:36], v[33:34], v[33:34]
	s_delay_alu instid0(VALU_DEP_1) | instskip(NEXT) | instid1(VALU_DEP_1)
	v_fma_f64 v[35:36], -v[31:32], v[33:34], 1.0
	v_fma_f64 v[33:34], v[35:36], v[33:34], v[33:34]
	s_delay_alu instid0(VALU_DEP_1) | instskip(NEXT) | instid1(VALU_DEP_1)
	v_mul_f64 v[35:36], v[37:38], v[33:34]
	v_mul_f64 v[41:42], v[31:32], v[35:36]
	s_delay_alu instid0(VALU_DEP_1) | instskip(NEXT) | instid1(VALU_DEP_1)
	v_fma_f64 v[31:32], v[35:36], v[31:32], -v[41:42]
	v_fma_f64 v[5:6], v[35:36], v[5:6], v[31:32]
	s_delay_alu instid0(VALU_DEP_1) | instskip(NEXT) | instid1(VALU_DEP_1)
	v_add_f64 v[31:32], v[41:42], v[5:6]
	v_add_f64 v[39:40], v[37:38], -v[31:32]
	v_add_f64 v[41:42], v[31:32], -v[41:42]
	s_delay_alu instid0(VALU_DEP_2) | instskip(NEXT) | instid1(VALU_DEP_2)
	v_add_f64 v[37:38], v[37:38], -v[39:40]
	v_add_f64 v[5:6], v[41:42], -v[5:6]
	s_delay_alu instid0(VALU_DEP_2) | instskip(NEXT) | instid1(VALU_DEP_1)
	v_add_f64 v[31:32], v[37:38], -v[31:32]
	v_add_f64 v[5:6], v[5:6], v[31:32]
	s_delay_alu instid0(VALU_DEP_1) | instskip(NEXT) | instid1(VALU_DEP_1)
	v_add_f64 v[5:6], v[39:40], v[5:6]
	v_mul_f64 v[5:6], v[33:34], v[5:6]
	s_delay_alu instid0(VALU_DEP_1) | instskip(NEXT) | instid1(VALU_DEP_1)
	v_add_f64 v[31:32], v[35:36], v[5:6]
	v_mul_f64 v[33:34], v[31:32], v[31:32]
	s_delay_alu instid0(VALU_DEP_1) | instskip(SKIP_1) | instid1(VALU_DEP_2)
	v_fma_f64 v[37:38], v[33:34], s[28:29], s[26:27]
	v_mul_f64 v[39:40], v[31:32], v[33:34]
	v_fma_f64 v[37:38], v[33:34], v[37:38], s[34:35]
	s_delay_alu instid0(VALU_DEP_1) | instskip(NEXT) | instid1(VALU_DEP_1)
	v_fma_f64 v[37:38], v[33:34], v[37:38], s[36:37]
	v_fma_f64 v[37:38], v[33:34], v[37:38], s[38:39]
	s_delay_alu instid0(VALU_DEP_1) | instskip(NEXT) | instid1(VALU_DEP_1)
	v_fma_f64 v[37:38], v[33:34], v[37:38], s[40:41]
	v_fma_f64 v[33:34], v[33:34], v[37:38], s[98:99]
	v_ldexp_f64 v[37:38], v[31:32], 1
	v_add_f64 v[31:32], v[31:32], -v[35:36]
	s_delay_alu instid0(VALU_DEP_3) | instskip(SKIP_1) | instid1(VALU_DEP_3)
	v_mul_f64 v[33:34], v[39:40], v[33:34]
	v_cvt_f64_i32_e32 v[39:40], v7
	v_add_f64 v[5:6], v[5:6], -v[31:32]
	s_delay_alu instid0(VALU_DEP_3) | instskip(NEXT) | instid1(VALU_DEP_3)
	v_add_f64 v[35:36], v[37:38], v[33:34]
	v_mul_f64 v[41:42], v[39:40], s[42:43]
	s_delay_alu instid0(VALU_DEP_3) | instskip(NEXT) | instid1(VALU_DEP_3)
	v_ldexp_f64 v[5:6], v[5:6], 1
	v_add_f64 v[31:32], v[35:36], -v[37:38]
	s_delay_alu instid0(VALU_DEP_3) | instskip(NEXT) | instid1(VALU_DEP_2)
	v_fma_f64 v[37:38], v[39:40], s[42:43], -v[41:42]
	v_add_f64 v[31:32], v[33:34], -v[31:32]
	s_delay_alu instid0(VALU_DEP_2) | instskip(NEXT) | instid1(VALU_DEP_2)
	v_fma_f64 v[33:34], v[39:40], s[44:45], v[37:38]
	v_add_f64 v[5:6], v[5:6], v[31:32]
	s_delay_alu instid0(VALU_DEP_2) | instskip(NEXT) | instid1(VALU_DEP_2)
	v_add_f64 v[31:32], v[41:42], v[33:34]
	v_add_f64 v[37:38], v[35:36], v[5:6]
	s_delay_alu instid0(VALU_DEP_2) | instskip(NEXT) | instid1(VALU_DEP_2)
	v_add_f64 v[41:42], v[31:32], -v[41:42]
	v_add_f64 v[39:40], v[31:32], v[37:38]
	v_add_f64 v[35:36], v[37:38], -v[35:36]
	s_delay_alu instid0(VALU_DEP_3) | instskip(NEXT) | instid1(VALU_DEP_3)
	v_add_f64 v[33:34], v[33:34], -v[41:42]
	v_add_f64 v[43:44], v[39:40], -v[31:32]
	s_delay_alu instid0(VALU_DEP_3) | instskip(NEXT) | instid1(VALU_DEP_2)
	v_add_f64 v[5:6], v[5:6], -v[35:36]
	v_add_f64 v[45:46], v[39:40], -v[43:44]
	;; [unrolled: 1-line block ×3, first 2 shown]
	s_delay_alu instid0(VALU_DEP_3) | instskip(NEXT) | instid1(VALU_DEP_3)
	v_add_f64 v[37:38], v[33:34], v[5:6]
	v_add_f64 v[31:32], v[31:32], -v[45:46]
	s_delay_alu instid0(VALU_DEP_1) | instskip(NEXT) | instid1(VALU_DEP_3)
	v_add_f64 v[31:32], v[35:36], v[31:32]
	v_add_f64 v[35:36], v[37:38], -v[33:34]
	s_delay_alu instid0(VALU_DEP_2) | instskip(NEXT) | instid1(VALU_DEP_2)
	v_add_f64 v[31:32], v[37:38], v[31:32]
	v_add_f64 v[37:38], v[37:38], -v[35:36]
	v_add_f64 v[5:6], v[5:6], -v[35:36]
	s_delay_alu instid0(VALU_DEP_3) | instskip(NEXT) | instid1(VALU_DEP_3)
	v_add_f64 v[41:42], v[39:40], v[31:32]
	v_add_f64 v[33:34], v[33:34], -v[37:38]
	s_delay_alu instid0(VALU_DEP_2) | instskip(NEXT) | instid1(VALU_DEP_2)
	v_add_f64 v[35:36], v[41:42], -v[39:40]
	v_add_f64 v[5:6], v[5:6], v[33:34]
	s_delay_alu instid0(VALU_DEP_2) | instskip(NEXT) | instid1(VALU_DEP_1)
	v_add_f64 v[31:32], v[31:32], -v[35:36]
	v_add_f64 v[5:6], v[5:6], v[31:32]
	v_mov_b32_e32 v31, 0
	v_mov_b32_e32 v32, 0x7ff80000
	s_delay_alu instid0(VALU_DEP_3) | instskip(NEXT) | instid1(VALU_DEP_1)
	v_add_f64 v[5:6], v[41:42], v[5:6]
	v_dual_cndmask_b32 v5, v5, v14 :: v_dual_cndmask_b32 v6, v6, v15
	v_cmp_ngt_f64_e32 vcc_lo, 0, v[14:15]
	s_delay_alu instid0(VALU_DEP_2) | instskip(SKIP_1) | instid1(VALU_DEP_4)
	v_cndmask_b32_e32 v6, 0x7ff80000, v6, vcc_lo
	v_cmp_nge_f64_e32 vcc_lo, 0, v[14:15]
	v_cndmask_b32_e32 v13, 0, v5, vcc_lo
	v_cmp_neq_f64_e32 vcc_lo, 0, v[14:15]
	s_delay_alu instid0(VALU_DEP_4)
	v_cndmask_b32_e32 v14, 0xfff00000, v6, vcc_lo
.LBB180_221:                            ;   in Loop: Header=BB180_145 Depth=1
	s_or_b32 exec_lo, exec_lo, s4
                                        ; implicit-def: $vgpr5_vgpr6
                                        ; implicit-def: $vgpr33_vgpr34
	s_delay_alu instid0(SALU_CYCLE_1)
	s_mov_b32 s4, exec_lo
	v_cmpx_o_f64_e32 v[9:10], v[11:12]
	s_xor_b32 s89, exec_lo, s4
	s_cbranch_execz .LBB180_249
; %bb.222:                              ;   in Loop: Header=BB180_145 Depth=1
	v_cmp_lt_f64_e64 s4, |v[9:10]|, |v[11:12]|
	v_dual_mov_b32 v18, v11 :: v_dual_and_b32 v7, 0x7fffffff, v10
	v_and_b32_e32 v15, 0x7fffffff, v12
                                        ; implicit-def: $vgpr5_vgpr6
                                        ; implicit-def: $vgpr33_vgpr34
	s_mov_b32 s5, exec_lo
	s_delay_alu instid0(VALU_DEP_1) | instskip(NEXT) | instid1(VALU_DEP_3)
	v_cndmask_b32_e64 v38, v15, v7, s4
	v_cndmask_b32_e64 v37, v18, v9, s4
	s_delay_alu instid0(VALU_DEP_1)
	v_cmpx_nlt_f64_e32 s[18:19], v[37:38]
	s_xor_b32 s20, exec_lo, s5
	s_cbranch_execz .LBB180_246
; %bb.223:                              ;   in Loop: Header=BB180_145 Depth=1
	v_cndmask_b32_e64 v40, v7, v15, s4
	v_cndmask_b32_e64 v39, v9, v18, s4
                                        ; implicit-def: $vgpr5_vgpr6
                                        ; implicit-def: $vgpr33_vgpr34
	s_mov_b32 s5, exec_lo
	s_delay_alu instid0(VALU_DEP_1)
	v_cmpx_neq_f64_e32 1.0, v[39:40]
	s_xor_b32 s21, exec_lo, s5
	s_cbranch_execz .LBB180_239
; %bb.224:                              ;   in Loop: Header=BB180_145 Depth=1
	v_max_f64 v[5:6], v[37:38], v[37:38]
	v_max_f64 v[33:34], v[39:40], v[39:40]
	s_mov_b32 s6, 0xc57e649a
	s_mov_b32 s7, 0x4a511b0e
	s_delay_alu instid0(VALU_DEP_1) | instskip(SKIP_1) | instid1(VALU_DEP_2)
	v_min_f64 v[35:36], v[33:34], v[5:6]
	v_max_f64 v[5:6], v[33:34], v[5:6]
                                        ; implicit-def: $vgpr33_vgpr34
	v_cmp_ngt_f64_e32 vcc_lo, s[12:13], v[35:36]
	s_delay_alu instid0(VALU_DEP_2) | instskip(NEXT) | instid1(VALU_DEP_1)
	v_cmp_nlt_f64_e64 s5, s[6:7], v[5:6]
                                        ; implicit-def: $vgpr5_vgpr6
	s_and_b32 s5, s5, vcc_lo
	s_delay_alu instid0(SALU_CYCLE_1) | instskip(NEXT) | instid1(SALU_CYCLE_1)
	s_and_saveexec_b32 s6, s5
	s_xor_b32 s22, exec_lo, s6
	s_cbranch_execz .LBB180_236
; %bb.225:                              ;   in Loop: Header=BB180_145 Depth=1
                                        ; implicit-def: $vgpr5_vgpr6
                                        ; implicit-def: $vgpr33_vgpr34
	s_mov_b32 s5, exec_lo
	v_cmpx_le_f64_e32 1.0, v[39:40]
	s_xor_b32 s6, exec_lo, s5
	s_cbranch_execz .LBB180_227
; %bb.226:                              ;   in Loop: Header=BB180_145 Depth=1
	v_add_f64 v[5:6], v[39:40], -1.0
	v_add_f64 v[33:34], v[39:40], 1.0
	s_mov_b32 s99, s25
	s_mov_b32 s14, s86
	v_cmp_gt_i32_e64 s5, 0, v10
	v_cmp_class_f64_e64 s8, v[9:10], 0x204
	v_cmp_class_f64_e64 s7, v[11:12], 0x204
	s_delay_alu instid0(VALU_DEP_4) | instskip(NEXT) | instid1(VALU_DEP_1)
	v_mul_f64 v[5:6], v[5:6], v[33:34]
	v_fma_f64 v[6:7], v[37:38], v[37:38], v[5:6]
	s_delay_alu instid0(VALU_DEP_1) | instskip(NEXT) | instid1(VALU_DEP_1)
	v_add_f64 v[33:34], v[6:7], 1.0
	v_frexp_mant_f64_e32 v[35:36], v[33:34]
	v_frexp_exp_i32_f64_e32 v5, v[33:34]
	v_add_f64 v[37:38], v[33:34], -1.0
	s_delay_alu instid0(VALU_DEP_3) | instskip(NEXT) | instid1(VALU_DEP_2)
	v_cmp_gt_f64_e32 vcc_lo, s[24:25], v[35:36]
	v_add_f64 v[35:36], v[37:38], -v[33:34]
	v_add_f64 v[37:38], v[6:7], -v[37:38]
	v_subrev_co_ci_u32_e32 v5, vcc_lo, 0, v5, vcc_lo
	s_delay_alu instid0(VALU_DEP_3) | instskip(NEXT) | instid1(VALU_DEP_2)
	v_add_f64 v[35:36], v[35:36], 1.0
	v_sub_nc_u32_e32 v15, 0, v5
	s_delay_alu instid0(VALU_DEP_1) | instskip(NEXT) | instid1(VALU_DEP_3)
	v_ldexp_f64 v[33:34], v[33:34], v15
	v_add_f64 v[35:36], v[37:38], v[35:36]
	s_delay_alu instid0(VALU_DEP_2) | instskip(SKIP_1) | instid1(VALU_DEP_3)
	v_add_f64 v[39:40], v[33:34], 1.0
	v_add_f64 v[45:46], v[33:34], -1.0
	v_ldexp_f64 v[35:36], v[35:36], v15
	v_cndmask_b32_e64 v15, 0x54442d18, v59, s5
	s_delay_alu instid0(VALU_DEP_4) | instskip(NEXT) | instid1(VALU_DEP_4)
	v_add_f64 v[37:38], v[39:40], -1.0
	v_add_f64 v[47:48], v[45:46], 1.0
	s_delay_alu instid0(VALU_DEP_2) | instskip(NEXT) | instid1(VALU_DEP_2)
	v_add_f64 v[37:38], v[33:34], -v[37:38]
	v_add_f64 v[33:34], v[33:34], -v[47:48]
	s_delay_alu instid0(VALU_DEP_2) | instskip(NEXT) | instid1(VALU_DEP_2)
	v_add_f64 v[37:38], v[35:36], v[37:38]
	v_add_f64 v[33:34], v[35:36], v[33:34]
	s_delay_alu instid0(VALU_DEP_2) | instskip(NEXT) | instid1(VALU_DEP_2)
	v_add_f64 v[41:42], v[39:40], v[37:38]
	v_add_f64 v[47:48], v[45:46], v[33:34]
	s_delay_alu instid0(VALU_DEP_2) | instskip(SKIP_1) | instid1(VALU_DEP_2)
	v_rcp_f64_e32 v[43:44], v[41:42]
	v_add_f64 v[39:40], v[41:42], -v[39:40]
	v_add_f64 v[45:46], v[47:48], -v[45:46]
	s_delay_alu instid0(VALU_DEP_2) | instskip(SKIP_3) | instid1(VALU_DEP_2)
	v_add_f64 v[37:38], v[37:38], -v[39:40]
	s_waitcnt_depctr 0xfff
	v_fma_f64 v[49:50], -v[41:42], v[43:44], 1.0
	v_add_f64 v[33:34], v[33:34], -v[45:46]
	v_fma_f64 v[43:44], v[49:50], v[43:44], v[43:44]
	s_delay_alu instid0(VALU_DEP_1) | instskip(NEXT) | instid1(VALU_DEP_1)
	v_fma_f64 v[35:36], -v[41:42], v[43:44], 1.0
	v_fma_f64 v[35:36], v[35:36], v[43:44], v[43:44]
	s_delay_alu instid0(VALU_DEP_1) | instskip(NEXT) | instid1(VALU_DEP_1)
	v_mul_f64 v[43:44], v[47:48], v[35:36]
	v_mul_f64 v[49:50], v[41:42], v[43:44]
	s_delay_alu instid0(VALU_DEP_1) | instskip(NEXT) | instid1(VALU_DEP_1)
	v_fma_f64 v[39:40], v[43:44], v[41:42], -v[49:50]
	v_fma_f64 v[39:40], v[43:44], v[37:38], v[39:40]
	s_delay_alu instid0(VALU_DEP_1) | instskip(NEXT) | instid1(VALU_DEP_1)
	v_add_f64 v[51:52], v[49:50], v[39:40]
	v_add_f64 v[53:54], v[47:48], -v[51:52]
	v_add_f64 v[45:46], v[51:52], -v[49:50]
	v_max_f64 v[49:50], |v[11:12]|, |v[11:12]|
	s_delay_alu instid0(VALU_DEP_3) | instskip(NEXT) | instid1(VALU_DEP_3)
	v_add_f64 v[47:48], v[47:48], -v[53:54]
	v_add_f64 v[39:40], v[45:46], -v[39:40]
	s_delay_alu instid0(VALU_DEP_2) | instskip(SKIP_2) | instid1(VALU_DEP_1)
	v_add_f64 v[47:48], v[47:48], -v[51:52]
	v_max_f64 v[51:52], |v[9:10]|, |v[9:10]|
	v_cndmask_b32_e64 v9, 0x3fe921fb, v60, s5
	v_bfi_b32 v9, 0x7fffffff, v9, v12
	s_delay_alu instid0(VALU_DEP_4) | instskip(NEXT) | instid1(VALU_DEP_4)
	v_add_f64 v[33:34], v[33:34], v[47:48]
	v_max_f64 v[55:56], v[51:52], v[49:50]
	v_min_f64 v[49:50], v[51:52], v[49:50]
	s_delay_alu instid0(VALU_DEP_3) | instskip(NEXT) | instid1(VALU_DEP_1)
	v_add_f64 v[33:34], v[39:40], v[33:34]
	v_add_f64 v[39:40], v[53:54], v[33:34]
	s_delay_alu instid0(VALU_DEP_1) | instskip(SKIP_1) | instid1(VALU_DEP_2)
	v_mul_f64 v[45:46], v[35:36], v[39:40]
	v_add_f64 v[53:54], v[53:54], -v[39:40]
	v_mul_f64 v[47:48], v[41:42], v[45:46]
	s_delay_alu instid0(VALU_DEP_2) | instskip(NEXT) | instid1(VALU_DEP_2)
	v_add_f64 v[33:34], v[33:34], v[53:54]
	v_fma_f64 v[41:42], v[45:46], v[41:42], -v[47:48]
	s_delay_alu instid0(VALU_DEP_1) | instskip(SKIP_1) | instid1(VALU_DEP_2)
	v_fma_f64 v[37:38], v[45:46], v[37:38], v[41:42]
	v_div_scale_f64 v[41:42], null, v[55:56], v[55:56], v[49:50]
	v_add_f64 v[51:52], v[47:48], v[37:38]
	s_delay_alu instid0(VALU_DEP_2) | instskip(NEXT) | instid1(VALU_DEP_1)
	v_rcp_f64_e32 v[57:58], v[41:42]
	v_add_f64 v[61:62], v[39:40], -v[51:52]
	v_add_f64 v[47:48], v[51:52], -v[47:48]
	s_waitcnt_depctr 0xfff
	v_fma_f64 v[63:64], -v[41:42], v[57:58], 1.0
	v_add_f64 v[39:40], v[39:40], -v[61:62]
	v_add_f64 v[37:38], v[47:48], -v[37:38]
	s_delay_alu instid0(VALU_DEP_3) | instskip(NEXT) | instid1(VALU_DEP_3)
	v_fma_f64 v[57:58], v[57:58], v[63:64], v[57:58]
	v_add_f64 v[39:40], v[39:40], -v[51:52]
	s_delay_alu instid0(VALU_DEP_2) | instskip(NEXT) | instid1(VALU_DEP_2)
	v_fma_f64 v[51:52], -v[41:42], v[57:58], 1.0
	v_add_f64 v[33:34], v[33:34], v[39:40]
	v_div_scale_f64 v[39:40], vcc_lo, v[49:50], v[55:56], v[49:50]
	s_delay_alu instid0(VALU_DEP_3) | instskip(SKIP_1) | instid1(VALU_DEP_4)
	v_fma_f64 v[47:48], v[57:58], v[51:52], v[57:58]
	v_add_f64 v[51:52], v[43:44], v[45:46]
	v_add_f64 v[33:34], v[37:38], v[33:34]
	s_delay_alu instid0(VALU_DEP_3) | instskip(NEXT) | instid1(VALU_DEP_3)
	v_mul_f64 v[37:38], v[39:40], v[47:48]
	v_add_f64 v[43:44], v[51:52], -v[43:44]
	s_delay_alu instid0(VALU_DEP_3) | instskip(NEXT) | instid1(VALU_DEP_3)
	v_add_f64 v[33:34], v[61:62], v[33:34]
	v_fma_f64 v[39:40], -v[41:42], v[37:38], v[39:40]
	s_delay_alu instid0(VALU_DEP_3) | instskip(NEXT) | instid1(VALU_DEP_3)
	v_add_f64 v[41:42], v[45:46], -v[43:44]
	v_mul_f64 v[33:34], v[35:36], v[33:34]
	s_delay_alu instid0(VALU_DEP_3) | instskip(SKIP_1) | instid1(VALU_DEP_3)
	v_div_fmas_f64 v[35:36], v[39:40], v[47:48], v[37:38]
	v_cmp_eq_f64_e32 vcc_lo, 0x7ff00000, v[6:7]
	v_add_f64 v[33:34], v[41:42], v[33:34]
	s_delay_alu instid0(VALU_DEP_3) | instskip(NEXT) | instid1(VALU_DEP_2)
	v_div_fixup_f64 v[35:36], v[35:36], v[55:56], v[49:50]
	v_add_f64 v[37:38], v[51:52], v[33:34]
	s_delay_alu instid0(VALU_DEP_2) | instskip(NEXT) | instid1(VALU_DEP_2)
	v_mul_f64 v[39:40], v[35:36], v[35:36]
	v_mul_f64 v[41:42], v[37:38], v[37:38]
	s_delay_alu instid0(VALU_DEP_2) | instskip(NEXT) | instid1(VALU_DEP_2)
	v_fma_f64 v[43:44], v[39:40], s[48:49], s[46:47]
	v_fma_f64 v[45:46], v[41:42], s[28:29], s[26:27]
	v_mul_f64 v[47:48], v[37:38], v[41:42]
	s_delay_alu instid0(VALU_DEP_3) | instskip(NEXT) | instid1(VALU_DEP_3)
	v_fma_f64 v[43:44], v[39:40], v[43:44], s[50:51]
	v_fma_f64 v[45:46], v[41:42], v[45:46], s[34:35]
	s_delay_alu instid0(VALU_DEP_2) | instskip(NEXT) | instid1(VALU_DEP_2)
	v_fma_f64 v[43:44], v[39:40], v[43:44], s[52:53]
	v_fma_f64 v[45:46], v[41:42], v[45:46], s[36:37]
	s_delay_alu instid0(VALU_DEP_2) | instskip(NEXT) | instid1(VALU_DEP_2)
	;; [unrolled: 3-line block ×4, first 2 shown]
	v_fma_f64 v[43:44], v[39:40], v[43:44], s[58:59]
	v_fma_f64 v[41:42], v[41:42], v[45:46], s[98:99]
	v_ldexp_f64 v[45:46], v[37:38], 1
	v_add_f64 v[37:38], v[37:38], -v[51:52]
	s_delay_alu instid0(VALU_DEP_4) | instskip(NEXT) | instid1(VALU_DEP_4)
	v_fma_f64 v[43:44], v[39:40], v[43:44], s[60:61]
	v_mul_f64 v[41:42], v[47:48], v[41:42]
	v_cvt_f64_i32_e32 v[47:48], v5
	s_delay_alu instid0(VALU_DEP_4) | instskip(NEXT) | instid1(VALU_DEP_4)
	v_add_f64 v[33:34], v[33:34], -v[37:38]
	v_fma_f64 v[43:44], v[39:40], v[43:44], s[62:63]
	v_ashrrev_i32_e32 v5, 31, v10
	v_add_f64 v[49:50], v[45:46], v[41:42]
	v_mul_f64 v[51:52], v[47:48], s[42:43]
	v_ldexp_f64 v[33:34], v[33:34], 1
	v_fma_f64 v[43:44], v[39:40], v[43:44], s[64:65]
	s_delay_alu instid0(VALU_DEP_4) | instskip(NEXT) | instid1(VALU_DEP_4)
	v_add_f64 v[37:38], v[49:50], -v[45:46]
	v_fma_f64 v[45:46], v[47:48], s[42:43], -v[51:52]
	s_delay_alu instid0(VALU_DEP_3) | instskip(NEXT) | instid1(VALU_DEP_3)
	v_fma_f64 v[43:44], v[39:40], v[43:44], s[66:67]
	v_add_f64 v[37:38], v[41:42], -v[37:38]
	s_delay_alu instid0(VALU_DEP_2) | instskip(NEXT) | instid1(VALU_DEP_4)
	v_fma_f64 v[41:42], v[39:40], v[43:44], s[68:69]
	v_fma_f64 v[43:44], v[47:48], s[44:45], v[45:46]
	s_delay_alu instid0(VALU_DEP_3) | instskip(NEXT) | instid1(VALU_DEP_3)
	v_add_f64 v[33:34], v[33:34], v[37:38]
	v_fma_f64 v[37:38], v[39:40], v[41:42], s[70:71]
	s_delay_alu instid0(VALU_DEP_3) | instskip(NEXT) | instid1(VALU_DEP_3)
	v_add_f64 v[41:42], v[51:52], v[43:44]
	v_add_f64 v[45:46], v[49:50], v[33:34]
	s_delay_alu instid0(VALU_DEP_3) | instskip(NEXT) | instid1(VALU_DEP_3)
	v_fma_f64 v[37:38], v[39:40], v[37:38], s[72:73]
	v_add_f64 v[51:52], v[41:42], -v[51:52]
	s_delay_alu instid0(VALU_DEP_3) | instskip(SKIP_1) | instid1(VALU_DEP_4)
	v_add_f64 v[47:48], v[41:42], v[45:46]
	v_add_f64 v[49:50], v[45:46], -v[49:50]
	v_fma_f64 v[37:38], v[39:40], v[37:38], s[74:75]
	s_delay_alu instid0(VALU_DEP_4) | instskip(NEXT) | instid1(VALU_DEP_4)
	v_add_f64 v[43:44], v[43:44], -v[51:52]
	v_add_f64 v[53:54], v[47:48], -v[41:42]
	s_delay_alu instid0(VALU_DEP_4) | instskip(NEXT) | instid1(VALU_DEP_4)
	v_add_f64 v[33:34], v[33:34], -v[49:50]
	v_fma_f64 v[37:38], v[39:40], v[37:38], s[76:77]
	s_delay_alu instid0(VALU_DEP_3) | instskip(SKIP_1) | instid1(VALU_DEP_4)
	v_add_f64 v[55:56], v[47:48], -v[53:54]
	v_add_f64 v[45:46], v[45:46], -v[53:54]
	v_add_f64 v[49:50], v[43:44], v[33:34]
	s_delay_alu instid0(VALU_DEP_4) | instskip(NEXT) | instid1(VALU_DEP_4)
	v_fma_f64 v[37:38], v[39:40], v[37:38], s[78:79]
	v_add_f64 v[41:42], v[41:42], -v[55:56]
	s_delay_alu instid0(VALU_DEP_2) | instskip(NEXT) | instid1(VALU_DEP_2)
	v_fma_f64 v[37:38], v[39:40], v[37:38], s[80:81]
	v_add_f64 v[41:42], v[45:46], v[41:42]
	v_add_f64 v[45:46], v[49:50], -v[43:44]
	s_delay_alu instid0(VALU_DEP_3) | instskip(NEXT) | instid1(VALU_DEP_3)
	v_fma_f64 v[37:38], v[39:40], v[37:38], s[82:83]
	v_add_f64 v[41:42], v[49:50], v[41:42]
	s_delay_alu instid0(VALU_DEP_3) | instskip(SKIP_1) | instid1(VALU_DEP_4)
	v_add_f64 v[49:50], v[49:50], -v[45:46]
	v_add_f64 v[33:34], v[33:34], -v[45:46]
	v_fma_f64 v[37:38], v[39:40], v[37:38], s[84:85]
	s_delay_alu instid0(VALU_DEP_4) | instskip(NEXT) | instid1(VALU_DEP_2)
	v_add_f64 v[51:52], v[47:48], v[41:42]
	v_mul_f64 v[37:38], v[39:40], v[37:38]
	v_add_f64 v[39:40], v[43:44], -v[49:50]
	s_delay_alu instid0(VALU_DEP_3) | instskip(NEXT) | instid1(VALU_DEP_3)
	v_add_f64 v[43:44], v[51:52], -v[47:48]
	v_fma_f64 v[35:36], v[35:36], v[37:38], v[35:36]
	s_delay_alu instid0(VALU_DEP_3) | instskip(NEXT) | instid1(VALU_DEP_3)
	v_add_f64 v[33:34], v[33:34], v[39:40]
	v_add_f64 v[37:38], v[41:42], -v[43:44]
	s_delay_alu instid0(VALU_DEP_3) | instskip(NEXT) | instid1(VALU_DEP_2)
	v_add_f64 v[39:40], -v[35:36], s[86:87]
	v_add_f64 v[33:34], v[33:34], v[37:38]
	s_delay_alu instid0(VALU_DEP_2) | instskip(NEXT) | instid1(VALU_DEP_3)
	v_cndmask_b32_e64 v36, v36, v40, s4
	v_cndmask_b32_e64 v35, v35, v39, s4
                                        ; implicit-def: $vgpr39_vgpr40
	s_delay_alu instid0(VALU_DEP_1) | instskip(NEXT) | instid1(VALU_DEP_4)
	v_add_f64 v[37:38], -v[35:36], s[14:15]
	v_add_f64 v[33:34], v[51:52], v[33:34]
	v_and_b32_e32 v18, 0x54442d18, v5
	v_and_b32_e32 v5, 0x400921fb, v5
	s_delay_alu instid0(VALU_DEP_4) | instskip(SKIP_4) | instid1(VALU_DEP_2)
	v_cndmask_b32_e64 v35, v35, v37, s5
	v_cndmask_b32_e64 v10, v36, v38, s5
	v_cmp_nge_f64_e64 s5, -1.0, v[6:7]
                                        ; implicit-def: $vgpr37_vgpr38
	v_dual_cndmask_b32 v33, v33, v6 :: v_dual_cndmask_b32 v34, v34, v7
	v_cmp_eq_f64_e32 vcc_lo, 0, v[11:12]
	v_mul_f64 v[33:34], v[33:34], 0.5
	v_dual_cndmask_b32 v18, v35, v18 :: v_dual_cndmask_b32 v5, v10, v5
	v_cmp_ngt_f64_e32 vcc_lo, -1.0, v[6:7]
	s_delay_alu instid0(VALU_DEP_3) | instskip(SKIP_1) | instid1(VALU_DEP_3)
	v_cndmask_b32_e32 v10, 0x7ff80000, v34, vcc_lo
	s_and_b32 vcc_lo, s7, s8
	v_cndmask_b32_e32 v34, v5, v9, vcc_lo
	v_cndmask_b32_e64 v5, 0, v33, s5
	v_cndmask_b32_e32 v33, v18, v15, vcc_lo
	v_cmp_neq_f64_e64 s5, -1.0, v[6:7]
	s_delay_alu instid0(VALU_DEP_1)
	v_cndmask_b32_e64 v6, 0xfff00000, v10, s5
.LBB180_227:                            ;   in Loop: Header=BB180_145 Depth=1
	s_and_not1_saveexec_b32 s23, s6
	s_cbranch_execz .LBB180_235
; %bb.228:                              ;   in Loop: Header=BB180_145 Depth=1
	v_mul_f64 v[5:6], v[37:38], v[37:38]
	s_mov_b32 s6, 0x66666666
	s_mov_b32 s7, 0x3fe66666
                                        ; implicit-def: $vgpr33_vgpr34
	s_mov_b32 s5, exec_lo
	s_delay_alu instid0(VALU_DEP_1) | instskip(NEXT) | instid1(VALU_DEP_1)
	v_fma_f64 v[35:36], v[39:40], v[39:40], v[5:6]
                                        ; implicit-def: $vgpr5_vgpr6
	v_cmpx_ge_f64_e32 s[6:7], v[35:36]
	s_xor_b32 s7, exec_lo, s5
	s_cbranch_execz .LBB180_230
; %bb.229:                              ;   in Loop: Header=BB180_145 Depth=1
	v_frexp_mant_f64_e32 v[5:6], v[35:36]
	v_max_f64 v[43:44], |v[9:10]|, |v[9:10]|
	s_mov_b32 s99, s25
	v_frexp_exp_i32_f64_e32 v7, v[35:36]
	s_mov_b32 s14, s86
	v_cmp_class_f64_e64 s8, v[11:12], 0x204
	v_cmp_class_f64_e64 s9, v[9:10], 0x204
	v_cmp_neq_f64_e64 s6, 0, v[35:36]
	v_cmp_gt_f64_e64 s5, s[24:25], v[5:6]
	s_delay_alu instid0(VALU_DEP_1) | instskip(NEXT) | instid1(VALU_DEP_1)
	v_cndmask_b32_e64 v18, 0x3ff00000, 2.0, s5
	v_mul_f64 v[5:6], v[5:6], v[17:18]
	s_delay_alu instid0(VALU_DEP_1) | instskip(SKIP_1) | instid1(VALU_DEP_2)
	v_add_f64 v[33:34], v[5:6], 1.0
	v_add_f64 v[41:42], v[5:6], -1.0
	v_rcp_f64_e32 v[37:38], v[33:34]
	s_waitcnt_depctr 0xfff
	v_fma_f64 v[39:40], -v[33:34], v[37:38], 1.0
	s_delay_alu instid0(VALU_DEP_1) | instskip(NEXT) | instid1(VALU_DEP_1)
	v_fma_f64 v[37:38], v[39:40], v[37:38], v[37:38]
	v_fma_f64 v[39:40], -v[33:34], v[37:38], 1.0
	s_delay_alu instid0(VALU_DEP_1) | instskip(SKIP_1) | instid1(VALU_DEP_2)
	v_fma_f64 v[37:38], v[39:40], v[37:38], v[37:38]
	v_max_f64 v[39:40], |v[11:12]|, |v[11:12]|
	v_mul_f64 v[45:46], v[41:42], v[37:38]
	s_delay_alu instid0(VALU_DEP_2) | instskip(SKIP_2) | instid1(VALU_DEP_4)
	v_max_f64 v[47:48], v[43:44], v[39:40]
	v_min_f64 v[39:40], v[43:44], v[39:40]
	v_add_f64 v[43:44], v[33:34], -1.0
	v_mul_f64 v[49:50], v[33:34], v[45:46]
	s_delay_alu instid0(VALU_DEP_3) | instskip(NEXT) | instid1(VALU_DEP_3)
	v_div_scale_f64 v[51:52], null, v[47:48], v[47:48], v[39:40]
	v_add_f64 v[5:6], v[5:6], -v[43:44]
	v_div_scale_f64 v[57:58], vcc_lo, v[39:40], v[47:48], v[39:40]
	s_delay_alu instid0(VALU_DEP_4) | instskip(NEXT) | instid1(VALU_DEP_4)
	v_fma_f64 v[33:34], v[45:46], v[33:34], -v[49:50]
	v_rcp_f64_e32 v[43:44], v[51:52]
	s_delay_alu instid0(VALU_DEP_1) | instskip(SKIP_3) | instid1(VALU_DEP_2)
	v_fma_f64 v[5:6], v[45:46], v[5:6], v[33:34]
	s_waitcnt_depctr 0xfff
	v_fma_f64 v[33:34], -v[51:52], v[43:44], 1.0
	v_add_f64 v[53:54], v[49:50], v[5:6]
	v_fma_f64 v[33:34], v[43:44], v[33:34], v[43:44]
	s_delay_alu instid0(VALU_DEP_2) | instskip(SKIP_1) | instid1(VALU_DEP_3)
	v_add_f64 v[43:44], v[41:42], -v[53:54]
	v_add_f64 v[49:50], v[53:54], -v[49:50]
	v_fma_f64 v[55:56], -v[51:52], v[33:34], 1.0
	s_delay_alu instid0(VALU_DEP_3) | instskip(NEXT) | instid1(VALU_DEP_3)
	v_add_f64 v[41:42], v[41:42], -v[43:44]
	v_add_f64 v[5:6], v[49:50], -v[5:6]
	s_delay_alu instid0(VALU_DEP_3) | instskip(NEXT) | instid1(VALU_DEP_3)
	v_fma_f64 v[33:34], v[33:34], v[55:56], v[33:34]
	v_add_f64 v[41:42], v[41:42], -v[53:54]
	s_delay_alu instid0(VALU_DEP_2) | instskip(NEXT) | instid1(VALU_DEP_2)
	v_mul_f64 v[49:50], v[57:58], v[33:34]
	v_add_f64 v[5:6], v[5:6], v[41:42]
	s_delay_alu instid0(VALU_DEP_2) | instskip(NEXT) | instid1(VALU_DEP_2)
	v_fma_f64 v[41:42], -v[51:52], v[49:50], v[57:58]
	v_add_f64 v[5:6], v[43:44], v[5:6]
	s_delay_alu instid0(VALU_DEP_2)
	v_div_fmas_f64 v[33:34], v[41:42], v[33:34], v[49:50]
	v_subrev_co_ci_u32_e64 v7, vcc_lo, 0, v7, s5
	v_cmp_eq_f64_e64 s5, 0, v[11:12]
	v_cmp_gt_i32_e32 vcc_lo, 0, v10
	v_cndmask_b32_e32 v9, 0x3fe921fb, v60, vcc_lo
	v_cndmask_b32_e32 v15, 0x54442d18, v59, vcc_lo
	s_delay_alu instid0(VALU_DEP_2) | instskip(SKIP_2) | instid1(VALU_DEP_2)
	v_bfi_b32 v9, 0x7fffffff, v9, v12
	v_mul_f64 v[5:6], v[37:38], v[5:6]
	v_div_fixup_f64 v[33:34], v[33:34], v[47:48], v[39:40]
	v_add_f64 v[37:38], v[45:46], v[5:6]
	s_delay_alu instid0(VALU_DEP_2) | instskip(NEXT) | instid1(VALU_DEP_2)
	v_mul_f64 v[39:40], v[33:34], v[33:34]
	v_mul_f64 v[41:42], v[37:38], v[37:38]
	s_delay_alu instid0(VALU_DEP_2) | instskip(NEXT) | instid1(VALU_DEP_2)
	v_fma_f64 v[43:44], v[39:40], s[48:49], s[46:47]
	v_fma_f64 v[47:48], v[41:42], s[28:29], s[26:27]
	v_mul_f64 v[49:50], v[37:38], v[41:42]
	s_delay_alu instid0(VALU_DEP_3) | instskip(NEXT) | instid1(VALU_DEP_3)
	v_fma_f64 v[43:44], v[39:40], v[43:44], s[50:51]
	v_fma_f64 v[47:48], v[41:42], v[47:48], s[34:35]
	s_delay_alu instid0(VALU_DEP_2) | instskip(NEXT) | instid1(VALU_DEP_2)
	v_fma_f64 v[43:44], v[39:40], v[43:44], s[52:53]
	v_fma_f64 v[47:48], v[41:42], v[47:48], s[36:37]
	s_delay_alu instid0(VALU_DEP_2) | instskip(NEXT) | instid1(VALU_DEP_2)
	;; [unrolled: 3-line block ×4, first 2 shown]
	v_fma_f64 v[43:44], v[39:40], v[43:44], s[58:59]
	v_fma_f64 v[41:42], v[41:42], v[47:48], s[98:99]
	v_ldexp_f64 v[47:48], v[37:38], 1
	v_add_f64 v[37:38], v[37:38], -v[45:46]
	s_delay_alu instid0(VALU_DEP_4) | instskip(NEXT) | instid1(VALU_DEP_4)
	v_fma_f64 v[43:44], v[39:40], v[43:44], s[60:61]
	v_mul_f64 v[41:42], v[49:50], v[41:42]
	v_cvt_f64_i32_e32 v[49:50], v7
	s_delay_alu instid0(VALU_DEP_4)
	v_add_f64 v[5:6], v[5:6], -v[37:38]
	v_ashrrev_i32_e32 v7, 31, v10
	v_fma_f64 v[43:44], v[39:40], v[43:44], s[62:63]
	v_add_f64 v[45:46], v[47:48], v[41:42]
	v_mul_f64 v[51:52], v[49:50], s[42:43]
	v_ldexp_f64 v[5:6], v[5:6], 1
	s_delay_alu instid0(VALU_DEP_4) | instskip(NEXT) | instid1(VALU_DEP_4)
	v_fma_f64 v[43:44], v[39:40], v[43:44], s[64:65]
	v_add_f64 v[37:38], v[45:46], -v[47:48]
	s_delay_alu instid0(VALU_DEP_4) | instskip(NEXT) | instid1(VALU_DEP_3)
	v_fma_f64 v[47:48], v[49:50], s[42:43], -v[51:52]
	v_fma_f64 v[43:44], v[39:40], v[43:44], s[66:67]
	s_delay_alu instid0(VALU_DEP_3) | instskip(NEXT) | instid1(VALU_DEP_2)
	v_add_f64 v[37:38], v[41:42], -v[37:38]
	v_fma_f64 v[41:42], v[39:40], v[43:44], s[68:69]
	s_delay_alu instid0(VALU_DEP_4) | instskip(NEXT) | instid1(VALU_DEP_3)
	v_fma_f64 v[43:44], v[49:50], s[44:45], v[47:48]
	v_add_f64 v[5:6], v[5:6], v[37:38]
	s_delay_alu instid0(VALU_DEP_3) | instskip(NEXT) | instid1(VALU_DEP_3)
	v_fma_f64 v[37:38], v[39:40], v[41:42], s[70:71]
	v_add_f64 v[41:42], v[51:52], v[43:44]
	s_delay_alu instid0(VALU_DEP_3) | instskip(NEXT) | instid1(VALU_DEP_3)
	v_add_f64 v[47:48], v[45:46], v[5:6]
	v_fma_f64 v[37:38], v[39:40], v[37:38], s[72:73]
	s_delay_alu instid0(VALU_DEP_3) | instskip(NEXT) | instid1(VALU_DEP_3)
	v_add_f64 v[51:52], v[41:42], -v[51:52]
	v_add_f64 v[49:50], v[41:42], v[47:48]
	v_add_f64 v[45:46], v[47:48], -v[45:46]
	s_delay_alu instid0(VALU_DEP_4) | instskip(NEXT) | instid1(VALU_DEP_4)
	v_fma_f64 v[37:38], v[39:40], v[37:38], s[74:75]
	v_add_f64 v[43:44], v[43:44], -v[51:52]
	s_delay_alu instid0(VALU_DEP_4) | instskip(NEXT) | instid1(VALU_DEP_4)
	v_add_f64 v[53:54], v[49:50], -v[41:42]
	v_add_f64 v[5:6], v[5:6], -v[45:46]
	s_delay_alu instid0(VALU_DEP_4) | instskip(NEXT) | instid1(VALU_DEP_3)
	v_fma_f64 v[37:38], v[39:40], v[37:38], s[76:77]
	v_add_f64 v[55:56], v[49:50], -v[53:54]
	v_add_f64 v[45:46], v[47:48], -v[53:54]
	s_delay_alu instid0(VALU_DEP_4) | instskip(NEXT) | instid1(VALU_DEP_4)
	v_add_f64 v[47:48], v[43:44], v[5:6]
	v_fma_f64 v[37:38], v[39:40], v[37:38], s[78:79]
	s_delay_alu instid0(VALU_DEP_4) | instskip(NEXT) | instid1(VALU_DEP_2)
	v_add_f64 v[41:42], v[41:42], -v[55:56]
	v_fma_f64 v[37:38], v[39:40], v[37:38], s[80:81]
	s_delay_alu instid0(VALU_DEP_2) | instskip(SKIP_1) | instid1(VALU_DEP_3)
	v_add_f64 v[41:42], v[45:46], v[41:42]
	v_add_f64 v[45:46], v[47:48], -v[43:44]
	v_fma_f64 v[37:38], v[39:40], v[37:38], s[82:83]
	s_delay_alu instid0(VALU_DEP_3) | instskip(NEXT) | instid1(VALU_DEP_3)
	v_add_f64 v[41:42], v[47:48], v[41:42]
	v_add_f64 v[47:48], v[47:48], -v[45:46]
	v_add_f64 v[5:6], v[5:6], -v[45:46]
	s_delay_alu instid0(VALU_DEP_4) | instskip(NEXT) | instid1(VALU_DEP_4)
	v_fma_f64 v[37:38], v[39:40], v[37:38], s[84:85]
	v_add_f64 v[51:52], v[49:50], v[41:42]
	s_delay_alu instid0(VALU_DEP_2) | instskip(SKIP_1) | instid1(VALU_DEP_3)
	v_mul_f64 v[37:38], v[39:40], v[37:38]
	v_add_f64 v[39:40], v[43:44], -v[47:48]
	v_add_f64 v[43:44], v[51:52], -v[49:50]
	s_delay_alu instid0(VALU_DEP_3) | instskip(NEXT) | instid1(VALU_DEP_3)
	v_fma_f64 v[33:34], v[33:34], v[37:38], v[33:34]
	v_add_f64 v[5:6], v[5:6], v[39:40]
	s_delay_alu instid0(VALU_DEP_3) | instskip(NEXT) | instid1(VALU_DEP_3)
	v_add_f64 v[37:38], v[41:42], -v[43:44]
	v_add_f64 v[39:40], -v[33:34], s[86:87]
	s_delay_alu instid0(VALU_DEP_2) | instskip(NEXT) | instid1(VALU_DEP_2)
	v_add_f64 v[5:6], v[5:6], v[37:38]
	v_cndmask_b32_e64 v34, v34, v40, s4
	s_delay_alu instid0(VALU_DEP_3) | instskip(NEXT) | instid1(VALU_DEP_1)
	v_cndmask_b32_e64 v33, v33, v39, s4
                                        ; implicit-def: $vgpr39_vgpr40
	v_add_f64 v[37:38], -v[33:34], s[14:15]
	v_and_b32_e32 v18, 0x54442d18, v7
	v_and_b32_e32 v7, 0x400921fb, v7
	v_add_f64 v[5:6], v[51:52], v[5:6]
	s_delay_alu instid0(VALU_DEP_4) | instskip(SKIP_1) | instid1(VALU_DEP_1)
	v_dual_cndmask_b32 v10, v34, v38 :: v_dual_cndmask_b32 v33, v33, v37
	s_and_b32 vcc_lo, s8, s9
                                        ; implicit-def: $vgpr37_vgpr38
	v_cndmask_b32_e64 v7, v10, v7, s5
	s_delay_alu instid0(VALU_DEP_2) | instskip(NEXT) | instid1(VALU_DEP_1)
	v_cndmask_b32_e64 v18, v33, v18, s5
	v_dual_cndmask_b32 v34, v7, v9 :: v_dual_cndmask_b32 v33, v18, v15
	v_mul_f64 v[5:6], v[5:6], 0.5
	s_delay_alu instid0(VALU_DEP_1) | instskip(NEXT) | instid1(VALU_DEP_2)
	v_cndmask_b32_e64 v6, 0xfff00000, v6, s6
	v_cndmask_b32_e64 v5, 0, v5, s6
.LBB180_230:                            ;   in Loop: Header=BB180_145 Depth=1
	s_and_not1_saveexec_b32 s90, s7
	s_cbranch_execz .LBB180_234
; %bb.231:                              ;   in Loop: Header=BB180_145 Depth=1
	v_dual_mov_b32 v33, v17 :: v_dual_and_b32 v18, 0x7ffffff8, v40
	v_and_b32_e32 v34, 0x7ffffff8, v38
	s_mov_b32 s91, 0
	s_delay_alu instid0(VALU_DEP_2) | instskip(SKIP_1) | instid1(VALU_DEP_3)
	v_add_f64 v[5:6], v[39:40], -v[17:18]
	v_mov_b32_e32 v39, v17
	v_add_f64 v[35:36], v[37:38], -v[33:34]
	v_mov_b32_e32 v41, v17
	v_add_f64 v[43:44], v[17:18], v[17:18]
	v_add_f64 v[51:52], v[33:34], v[33:34]
	v_mul_f64 v[37:38], v[33:34], v[33:34]
	v_and_b32_e32 v40, -8, v6
	v_and_b32_e32 v42, -8, v36
	s_delay_alu instid0(VALU_DEP_2) | instskip(SKIP_1) | instid1(VALU_DEP_3)
	v_add_f64 v[53:54], v[5:6], -v[39:40]
	v_add_f64 v[57:58], v[39:40], v[39:40]
	v_add_f64 v[55:56], v[35:36], -v[41:42]
	v_add_f64 v[61:62], v[41:42], v[41:42]
	v_mul_f64 v[5:6], v[17:18], v[17:18]
	v_mul_f64 v[49:50], v[43:44], v[39:40]
	v_mul_f64 v[35:36], v[51:52], v[41:42]
	v_mul_f64 v[47:48], v[39:40], v[39:40]
	v_mul_f64 v[33:34], v[41:42], v[41:42]
	v_mul_f64 v[45:46], v[43:44], v[53:54]
	v_mul_f64 v[41:42], v[57:58], v[53:54]
	v_mul_f64 v[43:44], v[51:52], v[55:56]
	v_mul_f64 v[39:40], v[61:62], v[55:56]
	v_mul_f64 v[51:52], v[53:54], v[53:54]
	v_mul_f64 v[53:54], v[55:56], v[55:56]
.LBB180_232:                            ;   Parent Loop BB180_145 Depth=1
                                        ; =>  This Inner Loop Header: Depth=2
	v_cmp_nlt_f64_e32 vcc_lo, v[5:6], v[37:38]
	v_dual_cndmask_b32 v56, v6, v38 :: v_dual_cndmask_b32 v55, v5, v37
	v_dual_cndmask_b32 v6, v38, v6 :: v_dual_cndmask_b32 v5, v37, v5
	s_delay_alu instid0(VALU_DEP_2) | instskip(NEXT) | instid1(VALU_DEP_1)
	v_cmp_nlt_f64_e64 s5, v[55:56], v[49:50]
	v_cndmask_b32_e64 v58, v56, v50, s5
	v_cndmask_b32_e64 v57, v55, v49, s5
	;; [unrolled: 1-line block ×4, first 2 shown]
	s_and_b32 s5, vcc_lo, s5
	s_delay_alu instid0(VALU_DEP_3) | instskip(NEXT) | instid1(VALU_DEP_1)
	v_cmp_nlt_f64_e64 s6, v[57:58], v[35:36]
	v_cndmask_b32_e64 v56, v58, v36, s6
	v_cndmask_b32_e64 v55, v57, v35, s6
	;; [unrolled: 1-line block ×4, first 2 shown]
	s_delay_alu instid0(VALU_DEP_3) | instskip(NEXT) | instid1(VALU_DEP_1)
	v_cmp_nlt_f64_e64 s7, v[55:56], v[47:48]
	v_cndmask_b32_e64 v58, v56, v48, s7
	v_cndmask_b32_e64 v57, v55, v47, s7
	;; [unrolled: 1-line block ×4, first 2 shown]
	s_and_b32 s6, s6, s7
	s_delay_alu instid0(VALU_DEP_3) | instskip(NEXT) | instid1(VALU_DEP_1)
	v_cmp_nlt_f64_e64 s8, v[57:58], v[33:34]
	v_cndmask_b32_e64 v56, v58, v34, s8
	v_cndmask_b32_e64 v55, v57, v33, s8
	;; [unrolled: 1-line block ×4, first 2 shown]
	s_delay_alu instid0(VALU_DEP_3) | instskip(NEXT) | instid1(VALU_DEP_1)
	v_cmp_nlt_f64_e64 s9, v[55:56], v[45:46]
	v_cndmask_b32_e64 v58, v56, v46, s9
	v_cndmask_b32_e64 v57, v55, v45, s9
	v_cndmask_b32_e64 v34, v46, v56, s9
	v_cndmask_b32_e64 v33, v45, v55, s9
	s_and_b32 s7, s8, s9
	s_delay_alu instid0(VALU_DEP_3) | instskip(NEXT) | instid1(VALU_DEP_1)
	v_cmp_nlt_f64_e64 s10, v[57:58], v[43:44]
	v_cndmask_b32_e64 v56, v58, v44, s10
	v_cndmask_b32_e64 v55, v57, v43, s10
	v_cndmask_b32_e64 v46, v44, v58, s10
	v_cndmask_b32_e64 v45, v43, v57, s10
	s_and_b32 s7, s7, s10
	;; [unrolled: 7-line block ×4, first 2 shown]
	s_delay_alu instid0(VALU_DEP_3) | instskip(NEXT) | instid1(VALU_DEP_1)
	v_cmp_nlt_f64_e64 s13, v[55:56], v[51:52]
	v_cndmask_b32_e64 v58, v56, v52, s13
	v_cndmask_b32_e64 v57, v55, v51, s13
	s_and_b32 s7, s7, s13
	v_cndmask_b32_e64 v40, v52, v56, s13
	v_cndmask_b32_e64 v39, v51, v55, s13
	s_delay_alu instid0(VALU_DEP_3) | instskip(NEXT) | instid1(VALU_DEP_1)
	v_cmp_nlt_f64_e64 s14, v[57:58], v[53:54]
	v_cndmask_b32_e64 v56, v58, v54, s14
	v_cndmask_b32_e64 v55, v57, v53, s14
	s_and_b32 s7, s7, s14
	v_cndmask_b32_e64 v52, v54, v58, s14
	s_and_b32 s6, s7, s6
	;; [unrolled: 2-line block ×3, first 2 shown]
	v_dual_mov_b32 v53, v55 :: v_dual_mov_b32 v54, v56
	s_and_b32 s5, exec_lo, s5
	s_delay_alu instid0(SALU_CYCLE_1) | instskip(NEXT) | instid1(SALU_CYCLE_1)
	s_or_b32 s91, s5, s91
	s_and_not1_b32 exec_lo, exec_lo, s91
	s_cbranch_execnz .LBB180_232
; %bb.233:                              ;   in Loop: Header=BB180_145 Depth=1
	s_or_b32 exec_lo, exec_lo, s91
	v_add_f64 v[5:6], v[5:6], -1.0
	s_mov_b32 s99, s25
	s_mov_b32 s14, s86
	v_cmp_gt_i32_e64 s5, 0, v10
	v_cmp_class_f64_e64 s7, v[9:10], 0x204
	v_cmp_class_f64_e64 s6, v[11:12], 0x204
	s_mov_b32 s12, 0x4ad4b81f
	s_mov_b32 s13, 0x358dee7a
	s_delay_alu instid0(VALU_DEP_4) | instskip(NEXT) | instid1(VALU_DEP_1)
	v_add_f64 v[5:6], v[5:6], v[37:38]
	v_add_f64 v[5:6], v[5:6], v[49:50]
	s_delay_alu instid0(VALU_DEP_1) | instskip(NEXT) | instid1(VALU_DEP_1)
	v_add_f64 v[5:6], v[5:6], v[35:36]
	v_add_f64 v[5:6], v[5:6], v[47:48]
	s_delay_alu instid0(VALU_DEP_1) | instskip(NEXT) | instid1(VALU_DEP_1)
	v_add_f64 v[5:6], v[5:6], v[33:34]
	v_add_f64 v[5:6], v[5:6], v[45:46]
	s_delay_alu instid0(VALU_DEP_1) | instskip(NEXT) | instid1(VALU_DEP_1)
	v_add_f64 v[5:6], v[5:6], v[43:44]
	v_add_f64 v[5:6], v[5:6], v[41:42]
	s_delay_alu instid0(VALU_DEP_1) | instskip(NEXT) | instid1(VALU_DEP_1)
	v_add_f64 v[5:6], v[5:6], v[39:40]
	v_add_f64 v[5:6], v[5:6], v[51:52]
	s_delay_alu instid0(VALU_DEP_1) | instskip(NEXT) | instid1(VALU_DEP_1)
	v_add_f64 v[6:7], v[55:56], v[5:6]
	v_add_f64 v[33:34], v[6:7], 1.0
	s_delay_alu instid0(VALU_DEP_1) | instskip(SKIP_2) | instid1(VALU_DEP_3)
	v_frexp_mant_f64_e32 v[35:36], v[33:34]
	v_frexp_exp_i32_f64_e32 v5, v[33:34]
	v_add_f64 v[37:38], v[33:34], -1.0
	v_cmp_gt_f64_e32 vcc_lo, s[24:25], v[35:36]
	s_delay_alu instid0(VALU_DEP_2) | instskip(SKIP_2) | instid1(VALU_DEP_3)
	v_add_f64 v[35:36], v[37:38], -v[33:34]
	v_add_f64 v[37:38], v[6:7], -v[37:38]
	v_subrev_co_ci_u32_e32 v5, vcc_lo, 0, v5, vcc_lo
	v_add_f64 v[35:36], v[35:36], 1.0
	s_delay_alu instid0(VALU_DEP_2) | instskip(NEXT) | instid1(VALU_DEP_1)
	v_sub_nc_u32_e32 v15, 0, v5
	v_ldexp_f64 v[33:34], v[33:34], v15
	s_delay_alu instid0(VALU_DEP_3) | instskip(NEXT) | instid1(VALU_DEP_2)
	v_add_f64 v[35:36], v[37:38], v[35:36]
	v_add_f64 v[39:40], v[33:34], 1.0
	v_add_f64 v[45:46], v[33:34], -1.0
	s_delay_alu instid0(VALU_DEP_3) | instskip(SKIP_1) | instid1(VALU_DEP_4)
	v_ldexp_f64 v[35:36], v[35:36], v15
	v_cndmask_b32_e64 v15, 0x54442d18, v59, s5
	v_add_f64 v[37:38], v[39:40], -1.0
	s_delay_alu instid0(VALU_DEP_4) | instskip(NEXT) | instid1(VALU_DEP_2)
	v_add_f64 v[47:48], v[45:46], 1.0
	v_add_f64 v[37:38], v[33:34], -v[37:38]
	s_delay_alu instid0(VALU_DEP_2) | instskip(NEXT) | instid1(VALU_DEP_2)
	v_add_f64 v[33:34], v[33:34], -v[47:48]
	v_add_f64 v[37:38], v[35:36], v[37:38]
	s_delay_alu instid0(VALU_DEP_2) | instskip(NEXT) | instid1(VALU_DEP_2)
	v_add_f64 v[33:34], v[35:36], v[33:34]
	v_add_f64 v[41:42], v[39:40], v[37:38]
	s_delay_alu instid0(VALU_DEP_2) | instskip(NEXT) | instid1(VALU_DEP_2)
	v_add_f64 v[47:48], v[45:46], v[33:34]
	v_rcp_f64_e32 v[43:44], v[41:42]
	v_add_f64 v[39:40], v[41:42], -v[39:40]
	s_delay_alu instid0(VALU_DEP_2) | instskip(NEXT) | instid1(VALU_DEP_2)
	v_add_f64 v[45:46], v[47:48], -v[45:46]
	v_add_f64 v[37:38], v[37:38], -v[39:40]
	s_waitcnt_depctr 0xfff
	v_fma_f64 v[49:50], -v[41:42], v[43:44], 1.0
	v_add_f64 v[33:34], v[33:34], -v[45:46]
	s_delay_alu instid0(VALU_DEP_2) | instskip(NEXT) | instid1(VALU_DEP_1)
	v_fma_f64 v[43:44], v[49:50], v[43:44], v[43:44]
	v_fma_f64 v[35:36], -v[41:42], v[43:44], 1.0
	s_delay_alu instid0(VALU_DEP_1) | instskip(NEXT) | instid1(VALU_DEP_1)
	v_fma_f64 v[35:36], v[35:36], v[43:44], v[43:44]
	v_mul_f64 v[43:44], v[47:48], v[35:36]
	s_delay_alu instid0(VALU_DEP_1) | instskip(NEXT) | instid1(VALU_DEP_1)
	v_mul_f64 v[49:50], v[41:42], v[43:44]
	v_fma_f64 v[39:40], v[43:44], v[41:42], -v[49:50]
	s_delay_alu instid0(VALU_DEP_1) | instskip(NEXT) | instid1(VALU_DEP_1)
	v_fma_f64 v[39:40], v[43:44], v[37:38], v[39:40]
	v_add_f64 v[51:52], v[49:50], v[39:40]
	s_delay_alu instid0(VALU_DEP_1) | instskip(SKIP_2) | instid1(VALU_DEP_3)
	v_add_f64 v[53:54], v[47:48], -v[51:52]
	v_add_f64 v[45:46], v[51:52], -v[49:50]
	v_max_f64 v[49:50], |v[11:12]|, |v[11:12]|
	v_add_f64 v[47:48], v[47:48], -v[53:54]
	s_delay_alu instid0(VALU_DEP_3) | instskip(NEXT) | instid1(VALU_DEP_2)
	v_add_f64 v[39:40], v[45:46], -v[39:40]
	v_add_f64 v[47:48], v[47:48], -v[51:52]
	v_max_f64 v[51:52], |v[9:10]|, |v[9:10]|
	v_cndmask_b32_e64 v9, 0x3fe921fb, v60, s5
	s_delay_alu instid0(VALU_DEP_1) | instskip(NEXT) | instid1(VALU_DEP_4)
	v_bfi_b32 v9, 0x7fffffff, v9, v12
	v_add_f64 v[33:34], v[33:34], v[47:48]
	s_delay_alu instid0(VALU_DEP_4) | instskip(SKIP_1) | instid1(VALU_DEP_3)
	v_max_f64 v[55:56], v[51:52], v[49:50]
	v_min_f64 v[49:50], v[51:52], v[49:50]
	v_add_f64 v[33:34], v[39:40], v[33:34]
	s_delay_alu instid0(VALU_DEP_1) | instskip(NEXT) | instid1(VALU_DEP_1)
	v_add_f64 v[39:40], v[53:54], v[33:34]
	v_mul_f64 v[45:46], v[35:36], v[39:40]
	v_add_f64 v[53:54], v[53:54], -v[39:40]
	s_delay_alu instid0(VALU_DEP_2) | instskip(NEXT) | instid1(VALU_DEP_2)
	v_mul_f64 v[47:48], v[41:42], v[45:46]
	v_add_f64 v[33:34], v[33:34], v[53:54]
	s_delay_alu instid0(VALU_DEP_2) | instskip(NEXT) | instid1(VALU_DEP_1)
	v_fma_f64 v[41:42], v[45:46], v[41:42], -v[47:48]
	v_fma_f64 v[37:38], v[45:46], v[37:38], v[41:42]
	v_div_scale_f64 v[41:42], null, v[55:56], v[55:56], v[49:50]
	s_delay_alu instid0(VALU_DEP_2) | instskip(NEXT) | instid1(VALU_DEP_2)
	v_add_f64 v[51:52], v[47:48], v[37:38]
	v_rcp_f64_e32 v[57:58], v[41:42]
	s_delay_alu instid0(VALU_DEP_1)
	v_add_f64 v[61:62], v[39:40], -v[51:52]
	v_add_f64 v[47:48], v[51:52], -v[47:48]
	s_waitcnt_depctr 0xfff
	v_fma_f64 v[63:64], -v[41:42], v[57:58], 1.0
	v_add_f64 v[39:40], v[39:40], -v[61:62]
	v_add_f64 v[37:38], v[47:48], -v[37:38]
	s_delay_alu instid0(VALU_DEP_3) | instskip(NEXT) | instid1(VALU_DEP_3)
	v_fma_f64 v[57:58], v[57:58], v[63:64], v[57:58]
	v_add_f64 v[39:40], v[39:40], -v[51:52]
	s_delay_alu instid0(VALU_DEP_2) | instskip(NEXT) | instid1(VALU_DEP_2)
	v_fma_f64 v[51:52], -v[41:42], v[57:58], 1.0
	v_add_f64 v[33:34], v[33:34], v[39:40]
	v_div_scale_f64 v[39:40], vcc_lo, v[49:50], v[55:56], v[49:50]
	s_delay_alu instid0(VALU_DEP_3) | instskip(SKIP_1) | instid1(VALU_DEP_4)
	v_fma_f64 v[47:48], v[57:58], v[51:52], v[57:58]
	v_add_f64 v[51:52], v[43:44], v[45:46]
	v_add_f64 v[33:34], v[37:38], v[33:34]
	s_delay_alu instid0(VALU_DEP_3) | instskip(NEXT) | instid1(VALU_DEP_3)
	v_mul_f64 v[37:38], v[39:40], v[47:48]
	v_add_f64 v[43:44], v[51:52], -v[43:44]
	s_delay_alu instid0(VALU_DEP_3) | instskip(NEXT) | instid1(VALU_DEP_3)
	v_add_f64 v[33:34], v[61:62], v[33:34]
	v_fma_f64 v[39:40], -v[41:42], v[37:38], v[39:40]
	s_delay_alu instid0(VALU_DEP_3) | instskip(NEXT) | instid1(VALU_DEP_3)
	v_add_f64 v[41:42], v[45:46], -v[43:44]
	v_mul_f64 v[33:34], v[35:36], v[33:34]
	s_delay_alu instid0(VALU_DEP_3) | instskip(SKIP_1) | instid1(VALU_DEP_3)
	v_div_fmas_f64 v[35:36], v[39:40], v[47:48], v[37:38]
	v_cmp_eq_f64_e32 vcc_lo, 0x7ff00000, v[6:7]
	v_add_f64 v[33:34], v[41:42], v[33:34]
	s_delay_alu instid0(VALU_DEP_3) | instskip(NEXT) | instid1(VALU_DEP_2)
	v_div_fixup_f64 v[35:36], v[35:36], v[55:56], v[49:50]
	v_add_f64 v[37:38], v[51:52], v[33:34]
	s_delay_alu instid0(VALU_DEP_2) | instskip(NEXT) | instid1(VALU_DEP_2)
	v_mul_f64 v[39:40], v[35:36], v[35:36]
	v_mul_f64 v[41:42], v[37:38], v[37:38]
	s_delay_alu instid0(VALU_DEP_2) | instskip(NEXT) | instid1(VALU_DEP_2)
	v_fma_f64 v[43:44], v[39:40], s[48:49], s[46:47]
	v_fma_f64 v[45:46], v[41:42], s[28:29], s[26:27]
	v_mul_f64 v[47:48], v[37:38], v[41:42]
	s_delay_alu instid0(VALU_DEP_3) | instskip(NEXT) | instid1(VALU_DEP_3)
	v_fma_f64 v[43:44], v[39:40], v[43:44], s[50:51]
	v_fma_f64 v[45:46], v[41:42], v[45:46], s[34:35]
	s_delay_alu instid0(VALU_DEP_2) | instskip(NEXT) | instid1(VALU_DEP_2)
	v_fma_f64 v[43:44], v[39:40], v[43:44], s[52:53]
	v_fma_f64 v[45:46], v[41:42], v[45:46], s[36:37]
	s_delay_alu instid0(VALU_DEP_2) | instskip(NEXT) | instid1(VALU_DEP_2)
	;; [unrolled: 3-line block ×4, first 2 shown]
	v_fma_f64 v[43:44], v[39:40], v[43:44], s[58:59]
	v_fma_f64 v[41:42], v[41:42], v[45:46], s[98:99]
	v_ldexp_f64 v[45:46], v[37:38], 1
	v_add_f64 v[37:38], v[37:38], -v[51:52]
	s_delay_alu instid0(VALU_DEP_4) | instskip(NEXT) | instid1(VALU_DEP_4)
	v_fma_f64 v[43:44], v[39:40], v[43:44], s[60:61]
	v_mul_f64 v[41:42], v[47:48], v[41:42]
	v_cvt_f64_i32_e32 v[47:48], v5
	s_delay_alu instid0(VALU_DEP_4) | instskip(NEXT) | instid1(VALU_DEP_4)
	v_add_f64 v[33:34], v[33:34], -v[37:38]
	v_fma_f64 v[43:44], v[39:40], v[43:44], s[62:63]
	v_ashrrev_i32_e32 v5, 31, v10
	v_add_f64 v[49:50], v[45:46], v[41:42]
	v_mul_f64 v[51:52], v[47:48], s[42:43]
	v_ldexp_f64 v[33:34], v[33:34], 1
	v_fma_f64 v[43:44], v[39:40], v[43:44], s[64:65]
	s_delay_alu instid0(VALU_DEP_4) | instskip(NEXT) | instid1(VALU_DEP_4)
	v_add_f64 v[37:38], v[49:50], -v[45:46]
	v_fma_f64 v[45:46], v[47:48], s[42:43], -v[51:52]
	s_delay_alu instid0(VALU_DEP_3) | instskip(NEXT) | instid1(VALU_DEP_3)
	v_fma_f64 v[43:44], v[39:40], v[43:44], s[66:67]
	v_add_f64 v[37:38], v[41:42], -v[37:38]
	s_delay_alu instid0(VALU_DEP_2) | instskip(NEXT) | instid1(VALU_DEP_4)
	v_fma_f64 v[41:42], v[39:40], v[43:44], s[68:69]
	v_fma_f64 v[43:44], v[47:48], s[44:45], v[45:46]
	s_delay_alu instid0(VALU_DEP_3) | instskip(NEXT) | instid1(VALU_DEP_3)
	v_add_f64 v[33:34], v[33:34], v[37:38]
	v_fma_f64 v[37:38], v[39:40], v[41:42], s[70:71]
	s_delay_alu instid0(VALU_DEP_3) | instskip(NEXT) | instid1(VALU_DEP_3)
	v_add_f64 v[41:42], v[51:52], v[43:44]
	v_add_f64 v[45:46], v[49:50], v[33:34]
	s_delay_alu instid0(VALU_DEP_3) | instskip(NEXT) | instid1(VALU_DEP_3)
	v_fma_f64 v[37:38], v[39:40], v[37:38], s[72:73]
	v_add_f64 v[51:52], v[41:42], -v[51:52]
	s_delay_alu instid0(VALU_DEP_3) | instskip(SKIP_1) | instid1(VALU_DEP_4)
	v_add_f64 v[47:48], v[41:42], v[45:46]
	v_add_f64 v[49:50], v[45:46], -v[49:50]
	v_fma_f64 v[37:38], v[39:40], v[37:38], s[74:75]
	s_delay_alu instid0(VALU_DEP_4) | instskip(NEXT) | instid1(VALU_DEP_4)
	v_add_f64 v[43:44], v[43:44], -v[51:52]
	v_add_f64 v[53:54], v[47:48], -v[41:42]
	s_delay_alu instid0(VALU_DEP_4) | instskip(NEXT) | instid1(VALU_DEP_4)
	v_add_f64 v[33:34], v[33:34], -v[49:50]
	v_fma_f64 v[37:38], v[39:40], v[37:38], s[76:77]
	s_delay_alu instid0(VALU_DEP_3) | instskip(SKIP_1) | instid1(VALU_DEP_4)
	v_add_f64 v[55:56], v[47:48], -v[53:54]
	v_add_f64 v[45:46], v[45:46], -v[53:54]
	v_add_f64 v[49:50], v[43:44], v[33:34]
	s_delay_alu instid0(VALU_DEP_4) | instskip(NEXT) | instid1(VALU_DEP_4)
	v_fma_f64 v[37:38], v[39:40], v[37:38], s[78:79]
	v_add_f64 v[41:42], v[41:42], -v[55:56]
	s_delay_alu instid0(VALU_DEP_2) | instskip(NEXT) | instid1(VALU_DEP_2)
	v_fma_f64 v[37:38], v[39:40], v[37:38], s[80:81]
	v_add_f64 v[41:42], v[45:46], v[41:42]
	v_add_f64 v[45:46], v[49:50], -v[43:44]
	s_delay_alu instid0(VALU_DEP_3) | instskip(NEXT) | instid1(VALU_DEP_3)
	v_fma_f64 v[37:38], v[39:40], v[37:38], s[82:83]
	v_add_f64 v[41:42], v[49:50], v[41:42]
	s_delay_alu instid0(VALU_DEP_3) | instskip(SKIP_1) | instid1(VALU_DEP_4)
	v_add_f64 v[49:50], v[49:50], -v[45:46]
	v_add_f64 v[33:34], v[33:34], -v[45:46]
	v_fma_f64 v[37:38], v[39:40], v[37:38], s[84:85]
	s_delay_alu instid0(VALU_DEP_4) | instskip(NEXT) | instid1(VALU_DEP_2)
	v_add_f64 v[51:52], v[47:48], v[41:42]
	v_mul_f64 v[37:38], v[39:40], v[37:38]
	v_add_f64 v[39:40], v[43:44], -v[49:50]
	s_delay_alu instid0(VALU_DEP_3) | instskip(NEXT) | instid1(VALU_DEP_3)
	v_add_f64 v[43:44], v[51:52], -v[47:48]
	v_fma_f64 v[35:36], v[35:36], v[37:38], v[35:36]
	s_delay_alu instid0(VALU_DEP_3) | instskip(NEXT) | instid1(VALU_DEP_3)
	v_add_f64 v[33:34], v[33:34], v[39:40]
	v_add_f64 v[37:38], v[41:42], -v[43:44]
	s_delay_alu instid0(VALU_DEP_3) | instskip(NEXT) | instid1(VALU_DEP_2)
	v_add_f64 v[39:40], -v[35:36], s[86:87]
	v_add_f64 v[33:34], v[33:34], v[37:38]
	s_delay_alu instid0(VALU_DEP_2) | instskip(NEXT) | instid1(VALU_DEP_3)
	v_cndmask_b32_e64 v36, v36, v40, s4
	v_cndmask_b32_e64 v35, v35, v39, s4
	s_delay_alu instid0(VALU_DEP_1) | instskip(NEXT) | instid1(VALU_DEP_4)
	v_add_f64 v[37:38], -v[35:36], s[14:15]
	v_add_f64 v[33:34], v[51:52], v[33:34]
	v_and_b32_e32 v18, 0x54442d18, v5
	v_and_b32_e32 v5, 0x400921fb, v5
	s_delay_alu instid0(VALU_DEP_4) | instskip(SKIP_4) | instid1(VALU_DEP_2)
	v_cndmask_b32_e64 v35, v35, v37, s5
	v_cndmask_b32_e64 v10, v36, v38, s5
	v_cmp_nge_f64_e64 s5, -1.0, v[6:7]
	v_dual_cndmask_b32 v33, v33, v6 :: v_dual_cndmask_b32 v34, v34, v7
	v_cmp_eq_f64_e32 vcc_lo, 0, v[11:12]
	v_mul_f64 v[33:34], v[33:34], 0.5
	v_dual_cndmask_b32 v18, v35, v18 :: v_dual_cndmask_b32 v5, v10, v5
	v_cmp_ngt_f64_e32 vcc_lo, -1.0, v[6:7]
	s_delay_alu instid0(VALU_DEP_3) | instskip(SKIP_1) | instid1(VALU_DEP_3)
	v_cndmask_b32_e32 v10, 0x7ff80000, v34, vcc_lo
	s_and_b32 vcc_lo, s6, s7
	v_cndmask_b32_e32 v34, v5, v9, vcc_lo
	v_cndmask_b32_e64 v5, 0, v33, s5
	v_cndmask_b32_e32 v33, v18, v15, vcc_lo
	v_cmp_neq_f64_e64 s5, -1.0, v[6:7]
	s_delay_alu instid0(VALU_DEP_1)
	v_cndmask_b32_e64 v6, 0xfff00000, v10, s5
.LBB180_234:                            ;   in Loop: Header=BB180_145 Depth=1
	s_or_b32 exec_lo, exec_lo, s90
.LBB180_235:                            ;   in Loop: Header=BB180_145 Depth=1
	s_delay_alu instid0(SALU_CYCLE_1)
	s_or_b32 exec_lo, exec_lo, s23
.LBB180_236:                            ;   in Loop: Header=BB180_145 Depth=1
	s_and_not1_saveexec_b32 s7, s22
	s_cbranch_execz .LBB180_238
; %bb.237:                              ;   in Loop: Header=BB180_145 Depth=1
	v_max_f64 v[5:6], |v[11:12]|, |v[11:12]|
	v_max_f64 v[33:34], |v[9:10]|, |v[9:10]|
	v_cmp_class_f64_e64 s8, v[9:10], 0x204
	v_cmp_class_f64_e64 s9, v[11:12], 0x204
	s_mov_b32 s99, s25
	s_mov_b32 s14, s86
	v_cmp_eq_f64_e64 s6, 0, v[11:12]
	s_delay_alu instid0(VALU_DEP_4) | instskip(SKIP_1) | instid1(VALU_DEP_4)
	v_max_f64 v[35:36], v[33:34], v[5:6]
	v_min_f64 v[5:6], v[33:34], v[5:6]
	s_or_b32 s10, s9, s8
	s_delay_alu instid0(VALU_DEP_2) | instskip(NEXT) | instid1(VALU_DEP_1)
	v_frexp_exp_i32_f64_e32 v7, v[35:36]
	v_sub_nc_u32_e32 v15, 0, v7
	s_delay_alu instid0(VALU_DEP_1) | instskip(SKIP_1) | instid1(VALU_DEP_2)
	v_ldexp_f64 v[37:38], |v[11:12]|, v15
	v_ldexp_f64 v[39:40], |v[9:10]|, v15
	v_mul_f64 v[37:38], v[37:38], v[37:38]
	s_delay_alu instid0(VALU_DEP_1) | instskip(NEXT) | instid1(VALU_DEP_1)
	v_fma_f64 v[37:38], v[39:40], v[39:40], v[37:38]
	v_rsq_f64_e32 v[39:40], v[37:38]
	v_cmp_eq_f64_e32 vcc_lo, 0, v[37:38]
	s_waitcnt_depctr 0xfff
	v_mul_f64 v[41:42], v[37:38], v[39:40]
	v_mul_f64 v[39:40], v[39:40], 0.5
	s_delay_alu instid0(VALU_DEP_1) | instskip(NEXT) | instid1(VALU_DEP_1)
	v_fma_f64 v[43:44], -v[39:40], v[41:42], 0.5
	v_fma_f64 v[41:42], v[41:42], v[43:44], v[41:42]
	v_fma_f64 v[39:40], v[39:40], v[43:44], v[39:40]
	s_delay_alu instid0(VALU_DEP_2) | instskip(NEXT) | instid1(VALU_DEP_1)
	v_fma_f64 v[43:44], -v[41:42], v[41:42], v[37:38]
	v_fma_f64 v[39:40], v[43:44], v[39:40], v[41:42]
	s_delay_alu instid0(VALU_DEP_1) | instskip(SKIP_1) | instid1(VALU_DEP_2)
	v_dual_cndmask_b32 v38, v40, v38 :: v_dual_cndmask_b32 v37, v39, v37
	v_div_scale_f64 v[61:62], vcc_lo, v[5:6], v[35:36], v[5:6]
	v_ldexp_f64 v[37:38], v[37:38], v7
	s_delay_alu instid0(VALU_DEP_1) | instskip(NEXT) | instid1(VALU_DEP_2)
	v_cndmask_b32_e64 v40, v38, 0x7ff00000, s10
	v_cndmask_b32_e64 v39, v37, 0, s10
	s_delay_alu instid0(VALU_DEP_1) | instskip(SKIP_1) | instid1(VALU_DEP_2)
	v_frexp_mant_f64_e32 v[41:42], v[39:40]
	v_frexp_exp_i32_f64_e32 v7, v[39:40]
	v_cmp_gt_f64_e64 s5, s[24:25], v[41:42]
	s_delay_alu instid0(VALU_DEP_1) | instskip(NEXT) | instid1(VALU_DEP_1)
	v_cndmask_b32_e64 v18, 0x3ff00000, 2.0, s5
	v_mul_f64 v[41:42], v[41:42], v[17:18]
	s_delay_alu instid0(VALU_DEP_1) | instskip(SKIP_1) | instid1(VALU_DEP_2)
	v_add_f64 v[43:44], v[41:42], 1.0
	v_add_f64 v[49:50], v[41:42], -1.0
	v_rcp_f64_e32 v[45:46], v[43:44]
	v_add_f64 v[51:52], v[43:44], -1.0
	s_delay_alu instid0(VALU_DEP_1) | instskip(SKIP_2) | instid1(VALU_DEP_1)
	v_add_f64 v[41:42], v[41:42], -v[51:52]
	s_waitcnt_depctr 0xfff
	v_fma_f64 v[47:48], -v[43:44], v[45:46], 1.0
	v_fma_f64 v[45:46], v[47:48], v[45:46], v[45:46]
	s_delay_alu instid0(VALU_DEP_1) | instskip(NEXT) | instid1(VALU_DEP_1)
	v_fma_f64 v[47:48], -v[43:44], v[45:46], 1.0
	v_fma_f64 v[45:46], v[47:48], v[45:46], v[45:46]
	v_div_scale_f64 v[47:48], null, v[35:36], v[35:36], v[5:6]
	s_delay_alu instid0(VALU_DEP_2) | instskip(NEXT) | instid1(VALU_DEP_2)
	v_mul_f64 v[33:34], v[49:50], v[45:46]
	v_rcp_f64_e32 v[55:56], v[47:48]
	s_delay_alu instid0(VALU_DEP_1) | instskip(SKIP_3) | instid1(VALU_DEP_1)
	v_mul_f64 v[53:54], v[43:44], v[33:34]
	s_waitcnt_depctr 0xfff
	v_fma_f64 v[51:52], -v[47:48], v[55:56], 1.0
	v_fma_f64 v[43:44], v[33:34], v[43:44], -v[53:54]
	v_fma_f64 v[41:42], v[33:34], v[41:42], v[43:44]
	s_delay_alu instid0(VALU_DEP_3) | instskip(NEXT) | instid1(VALU_DEP_2)
	v_fma_f64 v[43:44], v[55:56], v[51:52], v[55:56]
	v_add_f64 v[51:52], v[53:54], v[41:42]
	s_delay_alu instid0(VALU_DEP_2) | instskip(NEXT) | instid1(VALU_DEP_2)
	v_fma_f64 v[55:56], -v[47:48], v[43:44], 1.0
	v_add_f64 v[57:58], v[49:50], -v[51:52]
	s_delay_alu instid0(VALU_DEP_2) | instskip(SKIP_1) | instid1(VALU_DEP_3)
	v_fma_f64 v[43:44], v[43:44], v[55:56], v[43:44]
	v_add_f64 v[53:54], v[51:52], -v[53:54]
	v_add_f64 v[49:50], v[49:50], -v[57:58]
	s_delay_alu instid0(VALU_DEP_3) | instskip(NEXT) | instid1(VALU_DEP_3)
	v_mul_f64 v[55:56], v[61:62], v[43:44]
	v_add_f64 v[41:42], v[53:54], -v[41:42]
	s_delay_alu instid0(VALU_DEP_3) | instskip(NEXT) | instid1(VALU_DEP_3)
	v_add_f64 v[49:50], v[49:50], -v[51:52]
	v_fma_f64 v[47:48], -v[47:48], v[55:56], v[61:62]
	s_delay_alu instid0(VALU_DEP_2) | instskip(NEXT) | instid1(VALU_DEP_2)
	v_add_f64 v[41:42], v[41:42], v[49:50]
	v_div_fmas_f64 v[43:44], v[47:48], v[43:44], v[55:56]
	v_subrev_co_ci_u32_e64 v7, vcc_lo, 0, v7, s5
	v_cmp_class_f64_e64 s5, v[37:38], 0x204
	v_cmp_gt_i32_e32 vcc_lo, 0, v10
	v_cndmask_b32_e32 v9, 0x54442d18, v59, vcc_lo
	v_cndmask_b32_e32 v15, 0x3fe921fb, v60, vcc_lo
	s_delay_alu instid0(VALU_DEP_1) | instskip(SKIP_2) | instid1(VALU_DEP_2)
	v_bfi_b32 v15, 0x7fffffff, v15, v12
	v_add_f64 v[41:42], v[57:58], v[41:42]
	v_div_fixup_f64 v[5:6], v[43:44], v[35:36], v[5:6]
	v_mul_f64 v[35:36], v[45:46], v[41:42]
	s_delay_alu instid0(VALU_DEP_2) | instskip(NEXT) | instid1(VALU_DEP_2)
	v_mul_f64 v[41:42], v[5:6], v[5:6]
	v_add_f64 v[43:44], v[33:34], v[35:36]
	s_delay_alu instid0(VALU_DEP_2) | instskip(NEXT) | instid1(VALU_DEP_2)
	v_fma_f64 v[45:46], v[41:42], s[48:49], s[46:47]
	v_mul_f64 v[47:48], v[43:44], v[43:44]
	s_delay_alu instid0(VALU_DEP_2) | instskip(SKIP_1) | instid1(VALU_DEP_3)
	v_fma_f64 v[45:46], v[41:42], v[45:46], s[50:51]
	v_add_f64 v[33:34], v[43:44], -v[33:34]
	v_fma_f64 v[49:50], v[47:48], s[28:29], s[26:27]
	s_delay_alu instid0(VALU_DEP_3) | instskip(SKIP_1) | instid1(VALU_DEP_4)
	v_fma_f64 v[45:46], v[41:42], v[45:46], s[52:53]
	v_mul_f64 v[51:52], v[43:44], v[47:48]
	v_add_f64 v[33:34], v[35:36], -v[33:34]
	s_delay_alu instid0(VALU_DEP_4) | instskip(NEXT) | instid1(VALU_DEP_4)
	v_fma_f64 v[49:50], v[47:48], v[49:50], s[34:35]
	v_fma_f64 v[45:46], v[41:42], v[45:46], s[54:55]
	s_delay_alu instid0(VALU_DEP_3) | instskip(NEXT) | instid1(VALU_DEP_3)
	v_ldexp_f64 v[33:34], v[33:34], 1
	v_fma_f64 v[49:50], v[47:48], v[49:50], s[36:37]
	s_delay_alu instid0(VALU_DEP_3) | instskip(NEXT) | instid1(VALU_DEP_2)
	v_fma_f64 v[45:46], v[41:42], v[45:46], s[56:57]
	v_fma_f64 v[49:50], v[47:48], v[49:50], s[38:39]
	s_delay_alu instid0(VALU_DEP_2) | instskip(NEXT) | instid1(VALU_DEP_2)
	v_fma_f64 v[45:46], v[41:42], v[45:46], s[58:59]
	v_fma_f64 v[49:50], v[47:48], v[49:50], s[40:41]
	s_delay_alu instid0(VALU_DEP_2) | instskip(NEXT) | instid1(VALU_DEP_2)
	v_fma_f64 v[45:46], v[41:42], v[45:46], s[60:61]
	v_fma_f64 v[47:48], v[47:48], v[49:50], s[98:99]
	s_delay_alu instid0(VALU_DEP_2) | instskip(SKIP_1) | instid1(VALU_DEP_3)
	v_fma_f64 v[45:46], v[41:42], v[45:46], s[62:63]
	v_ldexp_f64 v[49:50], v[43:44], 1
	v_mul_f64 v[47:48], v[51:52], v[47:48]
	s_delay_alu instid0(VALU_DEP_3) | instskip(SKIP_2) | instid1(VALU_DEP_1)
	v_fma_f64 v[45:46], v[41:42], v[45:46], s[64:65]
	v_cvt_f64_i32_e32 v[51:52], v7
	v_ashrrev_i32_e32 v7, 31, v10
	v_and_b32_e32 v10, 0x54442d18, v7
	v_and_b32_e32 v7, 0x400921fb, v7
	v_add_f64 v[43:44], v[49:50], v[47:48]
	v_fma_f64 v[45:46], v[41:42], v[45:46], s[66:67]
	v_mul_f64 v[53:54], v[51:52], s[42:43]
	s_delay_alu instid0(VALU_DEP_3) | instskip(NEXT) | instid1(VALU_DEP_3)
	v_add_f64 v[35:36], v[43:44], -v[49:50]
	v_fma_f64 v[45:46], v[41:42], v[45:46], s[68:69]
	s_delay_alu instid0(VALU_DEP_3) | instskip(NEXT) | instid1(VALU_DEP_3)
	v_fma_f64 v[49:50], v[51:52], s[42:43], -v[53:54]
	v_add_f64 v[35:36], v[47:48], -v[35:36]
	s_delay_alu instid0(VALU_DEP_3) | instskip(NEXT) | instid1(VALU_DEP_3)
	v_fma_f64 v[45:46], v[41:42], v[45:46], s[70:71]
	v_fma_f64 v[47:48], v[51:52], s[44:45], v[49:50]
	s_delay_alu instid0(VALU_DEP_3) | instskip(NEXT) | instid1(VALU_DEP_3)
	v_add_f64 v[33:34], v[33:34], v[35:36]
	v_fma_f64 v[35:36], v[41:42], v[45:46], s[72:73]
	s_delay_alu instid0(VALU_DEP_3) | instskip(NEXT) | instid1(VALU_DEP_3)
	v_add_f64 v[45:46], v[53:54], v[47:48]
	v_add_f64 v[49:50], v[43:44], v[33:34]
	s_delay_alu instid0(VALU_DEP_3) | instskip(NEXT) | instid1(VALU_DEP_3)
	v_fma_f64 v[35:36], v[41:42], v[35:36], s[74:75]
	v_add_f64 v[53:54], v[45:46], -v[53:54]
	s_delay_alu instid0(VALU_DEP_3) | instskip(NEXT) | instid1(VALU_DEP_3)
	v_add_f64 v[51:52], v[45:46], v[49:50]
	v_fma_f64 v[35:36], v[41:42], v[35:36], s[76:77]
	v_add_f64 v[43:44], v[49:50], -v[43:44]
	s_delay_alu instid0(VALU_DEP_4) | instskip(NEXT) | instid1(VALU_DEP_4)
	v_add_f64 v[47:48], v[47:48], -v[53:54]
	v_add_f64 v[55:56], v[51:52], -v[45:46]
	s_delay_alu instid0(VALU_DEP_4) | instskip(NEXT) | instid1(VALU_DEP_4)
	v_fma_f64 v[35:36], v[41:42], v[35:36], s[78:79]
	v_add_f64 v[33:34], v[33:34], -v[43:44]
	s_delay_alu instid0(VALU_DEP_3) | instskip(NEXT) | instid1(VALU_DEP_3)
	v_add_f64 v[57:58], v[51:52], -v[55:56]
	v_fma_f64 v[35:36], v[41:42], v[35:36], s[80:81]
	v_add_f64 v[43:44], v[49:50], -v[55:56]
	s_delay_alu instid0(VALU_DEP_4) | instskip(NEXT) | instid1(VALU_DEP_4)
	v_add_f64 v[49:50], v[47:48], v[33:34]
	v_add_f64 v[45:46], v[45:46], -v[57:58]
	s_delay_alu instid0(VALU_DEP_4) | instskip(NEXT) | instid1(VALU_DEP_2)
	v_fma_f64 v[35:36], v[41:42], v[35:36], s[82:83]
	v_add_f64 v[43:44], v[43:44], v[45:46]
	s_delay_alu instid0(VALU_DEP_2) | instskip(SKIP_1) | instid1(VALU_DEP_3)
	v_fma_f64 v[35:36], v[41:42], v[35:36], s[84:85]
	v_add_f64 v[45:46], v[49:50], -v[47:48]
	v_add_f64 v[43:44], v[49:50], v[43:44]
	s_delay_alu instid0(VALU_DEP_3) | instskip(NEXT) | instid1(VALU_DEP_3)
	v_mul_f64 v[35:36], v[41:42], v[35:36]
	v_add_f64 v[41:42], v[49:50], -v[45:46]
	v_add_f64 v[33:34], v[33:34], -v[45:46]
	s_delay_alu instid0(VALU_DEP_4) | instskip(NEXT) | instid1(VALU_DEP_4)
	v_add_f64 v[49:50], v[51:52], v[43:44]
	v_fma_f64 v[5:6], v[5:6], v[35:36], v[5:6]
	s_delay_alu instid0(VALU_DEP_4) | instskip(NEXT) | instid1(VALU_DEP_3)
	v_add_f64 v[35:36], v[47:48], -v[41:42]
	v_add_f64 v[41:42], v[49:50], -v[51:52]
	s_delay_alu instid0(VALU_DEP_3) | instskip(NEXT) | instid1(VALU_DEP_3)
	v_add_f64 v[45:46], -v[5:6], s[86:87]
	v_add_f64 v[33:34], v[33:34], v[35:36]
	s_delay_alu instid0(VALU_DEP_3) | instskip(NEXT) | instid1(VALU_DEP_3)
	v_add_f64 v[35:36], v[43:44], -v[41:42]
	v_cndmask_b32_e64 v6, v6, v46, s4
	s_delay_alu instid0(VALU_DEP_4) | instskip(NEXT) | instid1(VALU_DEP_3)
	v_cndmask_b32_e64 v5, v5, v45, s4
	v_add_f64 v[33:34], v[33:34], v[35:36]
	s_delay_alu instid0(VALU_DEP_2) | instskip(NEXT) | instid1(VALU_DEP_2)
	v_add_f64 v[35:36], -v[5:6], s[14:15]
	v_add_f64 v[33:34], v[49:50], v[33:34]
	s_delay_alu instid0(VALU_DEP_2) | instskip(SKIP_1) | instid1(VALU_DEP_2)
	v_dual_cndmask_b32 v5, v5, v35 :: v_dual_cndmask_b32 v6, v6, v36
	v_cmp_ngt_f64_e32 vcc_lo, 0, v[39:40]
	v_cndmask_b32_e64 v10, v5, v10, s6
	s_delay_alu instid0(VALU_DEP_3) | instskip(SKIP_3) | instid1(VALU_DEP_3)
	v_cndmask_b32_e64 v5, v6, v7, s6
	v_cndmask_b32_e64 v18, v34, v38, s5
	;; [unrolled: 1-line block ×3, first 2 shown]
	v_cmp_nge_f64_e64 s5, 0, v[39:40]
	v_cndmask_b32_e64 v18, v18, 0x7ff00000, s10
	s_delay_alu instid0(VALU_DEP_3) | instskip(NEXT) | instid1(VALU_DEP_2)
	v_cndmask_b32_e64 v6, v33, 0, s10
	v_cndmask_b32_e32 v7, 0x7ff80000, v18, vcc_lo
	s_and_b32 vcc_lo, s9, s8
	v_dual_cndmask_b32 v34, v5, v15 :: v_dual_cndmask_b32 v33, v10, v9
	s_delay_alu instid0(VALU_DEP_3) | instskip(SKIP_1) | instid1(VALU_DEP_1)
	v_cndmask_b32_e64 v5, 0, v6, s5
	v_cmp_neq_f64_e64 s5, 0, v[39:40]
	v_cndmask_b32_e64 v6, 0xfff00000, v7, s5
.LBB180_238:                            ;   in Loop: Header=BB180_145 Depth=1
	s_or_b32 exec_lo, exec_lo, s7
                                        ; implicit-def: $vgpr37_vgpr38
.LBB180_239:                            ;   in Loop: Header=BB180_145 Depth=1
	s_and_not1_saveexec_b32 s7, s21
	s_cbranch_execz .LBB180_245
; %bb.240:                              ;   in Loop: Header=BB180_145 Depth=1
	s_mov_b32 s8, 0x6a3f9475
	s_mov_b32 s9, 0x20ca2fe7
                                        ; implicit-def: $vgpr5_vgpr6
                                        ; implicit-def: $vgpr33_vgpr34
	s_mov_b32 s5, exec_lo
	v_cmpx_ngt_f64_e32 s[8:9], v[37:38]
	s_xor_b32 s8, exec_lo, s5
	s_cbranch_execz .LBB180_242
; %bb.241:                              ;   in Loop: Header=BB180_145 Depth=1
	v_mul_f64 v[5:6], v[37:38], v[37:38]
	s_mov_b32 s99, s25
	s_mov_b32 s14, s86
	v_cmp_eq_f64_e64 s6, 0, v[11:12]
	v_cmp_class_f64_e64 s9, v[11:12], 0x204
	v_cmp_class_f64_e64 s10, v[9:10], 0x204
	v_cmp_gt_i32_e64 s5, 0, v10
	v_add_f64 v[33:34], v[5:6], 1.0
	s_delay_alu instid0(VALU_DEP_1) | instskip(SKIP_2) | instid1(VALU_DEP_3)
	v_frexp_mant_f64_e32 v[35:36], v[33:34]
	v_frexp_exp_i32_f64_e32 v7, v[33:34]
	v_add_f64 v[37:38], v[33:34], -1.0
	v_cmp_gt_f64_e32 vcc_lo, s[24:25], v[35:36]
	s_delay_alu instid0(VALU_DEP_2) | instskip(SKIP_2) | instid1(VALU_DEP_3)
	v_add_f64 v[35:36], v[37:38], -v[33:34]
	v_add_f64 v[37:38], v[5:6], -v[37:38]
	v_subrev_co_ci_u32_e32 v7, vcc_lo, 0, v7, vcc_lo
	v_add_f64 v[35:36], v[35:36], 1.0
	s_delay_alu instid0(VALU_DEP_2) | instskip(NEXT) | instid1(VALU_DEP_1)
	v_sub_nc_u32_e32 v15, 0, v7
	v_ldexp_f64 v[33:34], v[33:34], v15
	s_delay_alu instid0(VALU_DEP_3) | instskip(NEXT) | instid1(VALU_DEP_2)
	v_add_f64 v[35:36], v[37:38], v[35:36]
	v_add_f64 v[39:40], v[33:34], 1.0
	v_add_f64 v[45:46], v[33:34], -1.0
	s_delay_alu instid0(VALU_DEP_3) | instskip(SKIP_1) | instid1(VALU_DEP_4)
	v_ldexp_f64 v[35:36], v[35:36], v15
	v_cndmask_b32_e64 v15, 0x54442d18, v59, s5
	v_add_f64 v[37:38], v[39:40], -1.0
	s_delay_alu instid0(VALU_DEP_4) | instskip(NEXT) | instid1(VALU_DEP_2)
	v_add_f64 v[47:48], v[45:46], 1.0
	v_add_f64 v[37:38], v[33:34], -v[37:38]
	s_delay_alu instid0(VALU_DEP_2) | instskip(NEXT) | instid1(VALU_DEP_2)
	v_add_f64 v[33:34], v[33:34], -v[47:48]
	v_add_f64 v[37:38], v[35:36], v[37:38]
	s_delay_alu instid0(VALU_DEP_2) | instskip(NEXT) | instid1(VALU_DEP_2)
	v_add_f64 v[33:34], v[35:36], v[33:34]
	v_add_f64 v[41:42], v[39:40], v[37:38]
	s_delay_alu instid0(VALU_DEP_2) | instskip(NEXT) | instid1(VALU_DEP_2)
	v_add_f64 v[47:48], v[45:46], v[33:34]
	v_rcp_f64_e32 v[43:44], v[41:42]
	v_add_f64 v[39:40], v[39:40], -v[41:42]
	s_delay_alu instid0(VALU_DEP_2) | instskip(NEXT) | instid1(VALU_DEP_2)
	v_add_f64 v[45:46], v[45:46], -v[47:48]
	v_add_f64 v[37:38], v[37:38], v[39:40]
	s_waitcnt_depctr 0xfff
	v_fma_f64 v[49:50], -v[41:42], v[43:44], 1.0
	v_add_f64 v[33:34], v[33:34], v[45:46]
	s_delay_alu instid0(VALU_DEP_2) | instskip(NEXT) | instid1(VALU_DEP_1)
	v_fma_f64 v[43:44], v[49:50], v[43:44], v[43:44]
	v_fma_f64 v[35:36], -v[41:42], v[43:44], 1.0
	s_delay_alu instid0(VALU_DEP_1) | instskip(NEXT) | instid1(VALU_DEP_1)
	v_fma_f64 v[35:36], v[35:36], v[43:44], v[43:44]
	v_mul_f64 v[43:44], v[47:48], v[35:36]
	s_delay_alu instid0(VALU_DEP_1) | instskip(NEXT) | instid1(VALU_DEP_1)
	v_mul_f64 v[49:50], v[41:42], v[43:44]
	v_fma_f64 v[39:40], v[43:44], v[41:42], -v[49:50]
	s_delay_alu instid0(VALU_DEP_1) | instskip(NEXT) | instid1(VALU_DEP_1)
	v_fma_f64 v[39:40], v[43:44], v[37:38], v[39:40]
	v_add_f64 v[51:52], v[49:50], v[39:40]
	s_delay_alu instid0(VALU_DEP_1) | instskip(SKIP_2) | instid1(VALU_DEP_3)
	v_add_f64 v[53:54], v[47:48], -v[51:52]
	v_add_f64 v[45:46], v[51:52], -v[49:50]
	v_max_f64 v[49:50], |v[11:12]|, |v[11:12]|
	v_add_f64 v[47:48], v[47:48], -v[53:54]
	s_delay_alu instid0(VALU_DEP_3) | instskip(NEXT) | instid1(VALU_DEP_2)
	v_add_f64 v[39:40], v[45:46], -v[39:40]
	v_add_f64 v[47:48], v[47:48], -v[51:52]
	v_max_f64 v[51:52], |v[9:10]|, |v[9:10]|
	v_cndmask_b32_e64 v9, 0x3fe921fb, v60, s5
	s_delay_alu instid0(VALU_DEP_1) | instskip(NEXT) | instid1(VALU_DEP_4)
	v_bfi_b32 v9, 0x7fffffff, v9, v12
	v_add_f64 v[33:34], v[33:34], v[47:48]
	s_delay_alu instid0(VALU_DEP_4) | instskip(SKIP_1) | instid1(VALU_DEP_3)
	v_max_f64 v[55:56], v[51:52], v[49:50]
	v_min_f64 v[49:50], v[51:52], v[49:50]
	v_add_f64 v[33:34], v[39:40], v[33:34]
	s_delay_alu instid0(VALU_DEP_1) | instskip(NEXT) | instid1(VALU_DEP_1)
	v_add_f64 v[39:40], v[53:54], v[33:34]
	v_mul_f64 v[45:46], v[35:36], v[39:40]
	v_add_f64 v[53:54], v[53:54], -v[39:40]
	s_delay_alu instid0(VALU_DEP_2) | instskip(NEXT) | instid1(VALU_DEP_2)
	v_mul_f64 v[47:48], v[41:42], v[45:46]
	v_add_f64 v[33:34], v[33:34], v[53:54]
	s_delay_alu instid0(VALU_DEP_2) | instskip(NEXT) | instid1(VALU_DEP_1)
	v_fma_f64 v[41:42], v[45:46], v[41:42], -v[47:48]
	v_fma_f64 v[37:38], v[45:46], v[37:38], v[41:42]
	v_div_scale_f64 v[41:42], null, v[55:56], v[55:56], v[49:50]
	s_delay_alu instid0(VALU_DEP_2) | instskip(NEXT) | instid1(VALU_DEP_2)
	v_add_f64 v[51:52], v[47:48], v[37:38]
	v_rcp_f64_e32 v[57:58], v[41:42]
	s_delay_alu instid0(VALU_DEP_1)
	v_add_f64 v[61:62], v[39:40], -v[51:52]
	v_add_f64 v[47:48], v[51:52], -v[47:48]
	s_waitcnt_depctr 0xfff
	v_fma_f64 v[63:64], -v[41:42], v[57:58], 1.0
	v_add_f64 v[39:40], v[39:40], -v[61:62]
	v_add_f64 v[37:38], v[47:48], -v[37:38]
	s_delay_alu instid0(VALU_DEP_3) | instskip(NEXT) | instid1(VALU_DEP_3)
	v_fma_f64 v[57:58], v[57:58], v[63:64], v[57:58]
	v_add_f64 v[39:40], v[39:40], -v[51:52]
	s_delay_alu instid0(VALU_DEP_2) | instskip(NEXT) | instid1(VALU_DEP_2)
	v_fma_f64 v[51:52], -v[41:42], v[57:58], 1.0
	v_add_f64 v[33:34], v[33:34], v[39:40]
	v_div_scale_f64 v[39:40], vcc_lo, v[49:50], v[55:56], v[49:50]
	s_delay_alu instid0(VALU_DEP_3) | instskip(SKIP_1) | instid1(VALU_DEP_4)
	v_fma_f64 v[47:48], v[57:58], v[51:52], v[57:58]
	v_add_f64 v[51:52], v[43:44], v[45:46]
	v_add_f64 v[33:34], v[37:38], v[33:34]
	s_delay_alu instid0(VALU_DEP_3) | instskip(NEXT) | instid1(VALU_DEP_3)
	v_mul_f64 v[37:38], v[39:40], v[47:48]
	v_add_f64 v[43:44], v[51:52], -v[43:44]
	s_delay_alu instid0(VALU_DEP_3) | instskip(NEXT) | instid1(VALU_DEP_3)
	v_add_f64 v[33:34], v[61:62], v[33:34]
	v_fma_f64 v[39:40], -v[41:42], v[37:38], v[39:40]
	s_delay_alu instid0(VALU_DEP_3) | instskip(NEXT) | instid1(VALU_DEP_3)
	v_add_f64 v[41:42], v[45:46], -v[43:44]
	v_mul_f64 v[33:34], v[35:36], v[33:34]
	s_delay_alu instid0(VALU_DEP_3) | instskip(SKIP_1) | instid1(VALU_DEP_3)
	v_div_fmas_f64 v[35:36], v[39:40], v[47:48], v[37:38]
	v_cmp_eq_f64_e32 vcc_lo, 0x7ff00000, v[5:6]
	v_add_f64 v[33:34], v[41:42], v[33:34]
	s_delay_alu instid0(VALU_DEP_3) | instskip(NEXT) | instid1(VALU_DEP_2)
	v_div_fixup_f64 v[35:36], v[35:36], v[55:56], v[49:50]
	v_add_f64 v[37:38], v[51:52], v[33:34]
	s_delay_alu instid0(VALU_DEP_2) | instskip(NEXT) | instid1(VALU_DEP_2)
	v_mul_f64 v[39:40], v[35:36], v[35:36]
	v_mul_f64 v[41:42], v[37:38], v[37:38]
	s_delay_alu instid0(VALU_DEP_2) | instskip(NEXT) | instid1(VALU_DEP_2)
	v_fma_f64 v[43:44], v[39:40], s[48:49], s[46:47]
	v_fma_f64 v[45:46], v[41:42], s[28:29], s[26:27]
	v_mul_f64 v[47:48], v[37:38], v[41:42]
	s_delay_alu instid0(VALU_DEP_3) | instskip(NEXT) | instid1(VALU_DEP_3)
	v_fma_f64 v[43:44], v[39:40], v[43:44], s[50:51]
	v_fma_f64 v[45:46], v[41:42], v[45:46], s[34:35]
	s_delay_alu instid0(VALU_DEP_2) | instskip(NEXT) | instid1(VALU_DEP_2)
	v_fma_f64 v[43:44], v[39:40], v[43:44], s[52:53]
	v_fma_f64 v[45:46], v[41:42], v[45:46], s[36:37]
	s_delay_alu instid0(VALU_DEP_2) | instskip(NEXT) | instid1(VALU_DEP_2)
	;; [unrolled: 3-line block ×4, first 2 shown]
	v_fma_f64 v[43:44], v[39:40], v[43:44], s[58:59]
	v_fma_f64 v[41:42], v[41:42], v[45:46], s[98:99]
	v_ldexp_f64 v[45:46], v[37:38], 1
	v_add_f64 v[37:38], v[37:38], -v[51:52]
	s_delay_alu instid0(VALU_DEP_4) | instskip(NEXT) | instid1(VALU_DEP_4)
	v_fma_f64 v[43:44], v[39:40], v[43:44], s[60:61]
	v_mul_f64 v[41:42], v[47:48], v[41:42]
	v_cvt_f64_i32_e32 v[47:48], v7
	s_delay_alu instid0(VALU_DEP_4) | instskip(NEXT) | instid1(VALU_DEP_4)
	v_add_f64 v[33:34], v[33:34], -v[37:38]
	v_fma_f64 v[43:44], v[39:40], v[43:44], s[62:63]
	v_ashrrev_i32_e32 v7, 31, v10
	v_add_f64 v[49:50], v[45:46], v[41:42]
	v_mul_f64 v[51:52], v[47:48], s[42:43]
	v_ldexp_f64 v[33:34], v[33:34], 1
	v_fma_f64 v[43:44], v[39:40], v[43:44], s[64:65]
	s_delay_alu instid0(VALU_DEP_4) | instskip(NEXT) | instid1(VALU_DEP_4)
	v_add_f64 v[37:38], v[49:50], -v[45:46]
	v_fma_f64 v[45:46], v[47:48], s[42:43], -v[51:52]
	s_delay_alu instid0(VALU_DEP_3) | instskip(NEXT) | instid1(VALU_DEP_3)
	v_fma_f64 v[43:44], v[39:40], v[43:44], s[66:67]
	v_add_f64 v[37:38], v[41:42], -v[37:38]
	s_delay_alu instid0(VALU_DEP_2) | instskip(NEXT) | instid1(VALU_DEP_4)
	v_fma_f64 v[41:42], v[39:40], v[43:44], s[68:69]
	v_fma_f64 v[43:44], v[47:48], s[44:45], v[45:46]
	s_delay_alu instid0(VALU_DEP_3) | instskip(NEXT) | instid1(VALU_DEP_3)
	v_add_f64 v[33:34], v[33:34], v[37:38]
	v_fma_f64 v[37:38], v[39:40], v[41:42], s[70:71]
	s_delay_alu instid0(VALU_DEP_3) | instskip(NEXT) | instid1(VALU_DEP_3)
	v_add_f64 v[41:42], v[51:52], v[43:44]
	v_add_f64 v[45:46], v[49:50], v[33:34]
	s_delay_alu instid0(VALU_DEP_3) | instskip(NEXT) | instid1(VALU_DEP_3)
	v_fma_f64 v[37:38], v[39:40], v[37:38], s[72:73]
	v_add_f64 v[51:52], v[41:42], -v[51:52]
	s_delay_alu instid0(VALU_DEP_3) | instskip(SKIP_1) | instid1(VALU_DEP_4)
	v_add_f64 v[47:48], v[41:42], v[45:46]
	v_add_f64 v[49:50], v[45:46], -v[49:50]
	v_fma_f64 v[37:38], v[39:40], v[37:38], s[74:75]
	s_delay_alu instid0(VALU_DEP_4) | instskip(NEXT) | instid1(VALU_DEP_4)
	v_add_f64 v[43:44], v[43:44], -v[51:52]
	v_add_f64 v[53:54], v[47:48], -v[41:42]
	s_delay_alu instid0(VALU_DEP_4) | instskip(NEXT) | instid1(VALU_DEP_4)
	v_add_f64 v[33:34], v[33:34], -v[49:50]
	v_fma_f64 v[37:38], v[39:40], v[37:38], s[76:77]
	s_delay_alu instid0(VALU_DEP_3) | instskip(SKIP_1) | instid1(VALU_DEP_4)
	v_add_f64 v[55:56], v[47:48], -v[53:54]
	v_add_f64 v[45:46], v[45:46], -v[53:54]
	v_add_f64 v[49:50], v[43:44], v[33:34]
	s_delay_alu instid0(VALU_DEP_4) | instskip(NEXT) | instid1(VALU_DEP_4)
	v_fma_f64 v[37:38], v[39:40], v[37:38], s[78:79]
	v_add_f64 v[41:42], v[41:42], -v[55:56]
	s_delay_alu instid0(VALU_DEP_2) | instskip(NEXT) | instid1(VALU_DEP_2)
	v_fma_f64 v[37:38], v[39:40], v[37:38], s[80:81]
	v_add_f64 v[41:42], v[45:46], v[41:42]
	v_add_f64 v[45:46], v[49:50], -v[43:44]
	s_delay_alu instid0(VALU_DEP_3) | instskip(NEXT) | instid1(VALU_DEP_3)
	v_fma_f64 v[37:38], v[39:40], v[37:38], s[82:83]
	v_add_f64 v[41:42], v[49:50], v[41:42]
	s_delay_alu instid0(VALU_DEP_3) | instskip(SKIP_1) | instid1(VALU_DEP_4)
	v_add_f64 v[49:50], v[49:50], -v[45:46]
	v_add_f64 v[33:34], v[33:34], -v[45:46]
	v_fma_f64 v[37:38], v[39:40], v[37:38], s[84:85]
	s_delay_alu instid0(VALU_DEP_4) | instskip(NEXT) | instid1(VALU_DEP_2)
	v_add_f64 v[51:52], v[47:48], v[41:42]
	v_mul_f64 v[37:38], v[39:40], v[37:38]
	v_add_f64 v[39:40], v[43:44], -v[49:50]
	s_delay_alu instid0(VALU_DEP_3) | instskip(NEXT) | instid1(VALU_DEP_3)
	v_add_f64 v[43:44], v[51:52], -v[47:48]
	v_fma_f64 v[35:36], v[35:36], v[37:38], v[35:36]
	s_delay_alu instid0(VALU_DEP_3) | instskip(NEXT) | instid1(VALU_DEP_3)
	v_add_f64 v[33:34], v[33:34], v[39:40]
	v_add_f64 v[37:38], v[41:42], -v[43:44]
	s_delay_alu instid0(VALU_DEP_3) | instskip(NEXT) | instid1(VALU_DEP_2)
	v_add_f64 v[39:40], -v[35:36], s[86:87]
	v_add_f64 v[33:34], v[33:34], v[37:38]
	s_delay_alu instid0(VALU_DEP_2) | instskip(NEXT) | instid1(VALU_DEP_3)
	v_cndmask_b32_e64 v36, v36, v40, s4
	v_cndmask_b32_e64 v35, v35, v39, s4
	s_delay_alu instid0(VALU_DEP_1) | instskip(NEXT) | instid1(VALU_DEP_4)
	v_add_f64 v[37:38], -v[35:36], s[14:15]
	v_add_f64 v[33:34], v[51:52], v[33:34]
	v_and_b32_e32 v18, 0x54442d18, v7
	v_and_b32_e32 v7, 0x400921fb, v7
	s_delay_alu instid0(VALU_DEP_4) | instskip(SKIP_1) | instid1(VALU_DEP_1)
	v_cndmask_b32_e64 v35, v35, v37, s5
	v_cndmask_b32_e64 v10, v36, v38, s5
                                        ; implicit-def: $vgpr37_vgpr38
	v_cndmask_b32_e64 v7, v10, v7, s6
	v_dual_cndmask_b32 v5, v33, v5 :: v_dual_cndmask_b32 v6, v34, v6
	s_delay_alu instid0(VALU_DEP_4) | instskip(SKIP_1) | instid1(VALU_DEP_3)
	v_cndmask_b32_e64 v18, v35, v18, s6
	s_and_b32 vcc_lo, s9, s10
	v_cndmask_b32_e32 v34, v7, v9, vcc_lo
	s_delay_alu instid0(VALU_DEP_3) | instskip(NEXT) | instid1(VALU_DEP_3)
	v_mul_f64 v[5:6], v[5:6], 0.5
	v_cndmask_b32_e32 v33, v18, v15, vcc_lo
.LBB180_242:                            ;   in Loop: Header=BB180_145 Depth=1
	s_and_not1_saveexec_b32 s6, s8
	s_cbranch_execz .LBB180_244
; %bb.243:                              ;   in Loop: Header=BB180_145 Depth=1
	v_max_f64 v[5:6], |v[11:12]|, |v[11:12]|
	v_max_f64 v[33:34], |v[9:10]|, |v[9:10]|
	s_mov_b32 s14, s86
	v_cmp_eq_f64_e64 s5, 0, v[11:12]
	v_cmp_class_f64_e64 s8, v[11:12], 0x204
	v_cmp_class_f64_e64 s9, v[9:10], 0x204
	v_ashrrev_i32_e32 v15, 31, v10
	v_max_f64 v[35:36], v[33:34], v[5:6]
	v_min_f64 v[5:6], v[33:34], v[5:6]
	s_delay_alu instid0(VALU_DEP_1) | instskip(SKIP_1) | instid1(VALU_DEP_2)
	v_div_scale_f64 v[33:34], null, v[35:36], v[35:36], v[5:6]
	v_div_scale_f64 v[43:44], vcc_lo, v[5:6], v[35:36], v[5:6]
	v_rcp_f64_e32 v[39:40], v[33:34]
	s_waitcnt_depctr 0xfff
	v_fma_f64 v[41:42], -v[33:34], v[39:40], 1.0
	s_delay_alu instid0(VALU_DEP_1) | instskip(NEXT) | instid1(VALU_DEP_1)
	v_fma_f64 v[39:40], v[39:40], v[41:42], v[39:40]
	v_fma_f64 v[41:42], -v[33:34], v[39:40], 1.0
	s_delay_alu instid0(VALU_DEP_1) | instskip(NEXT) | instid1(VALU_DEP_1)
	v_fma_f64 v[39:40], v[39:40], v[41:42], v[39:40]
	v_mul_f64 v[41:42], v[43:44], v[39:40]
	s_delay_alu instid0(VALU_DEP_1) | instskip(NEXT) | instid1(VALU_DEP_1)
	v_fma_f64 v[33:34], -v[33:34], v[41:42], v[43:44]
	v_div_fmas_f64 v[33:34], v[33:34], v[39:40], v[41:42]
	v_cmp_gt_i32_e32 vcc_lo, 0, v10
	v_and_b32_e32 v10, 0x400921fb, v15
	v_cndmask_b32_e32 v9, 0x3fe921fb, v60, vcc_lo
	v_cndmask_b32_e32 v18, 0x54442d18, v59, vcc_lo
	s_delay_alu instid0(VALU_DEP_2) | instskip(SKIP_1) | instid1(VALU_DEP_1)
	v_bfi_b32 v9, 0x7fffffff, v9, v12
	v_div_fixup_f64 v[5:6], v[33:34], v[35:36], v[5:6]
	v_mul_f64 v[33:34], v[5:6], v[5:6]
	s_delay_alu instid0(VALU_DEP_1) | instskip(NEXT) | instid1(VALU_DEP_1)
	v_fma_f64 v[35:36], v[33:34], s[48:49], s[46:47]
	v_fma_f64 v[35:36], v[33:34], v[35:36], s[50:51]
	s_delay_alu instid0(VALU_DEP_1) | instskip(NEXT) | instid1(VALU_DEP_1)
	v_fma_f64 v[35:36], v[33:34], v[35:36], s[52:53]
	v_fma_f64 v[35:36], v[33:34], v[35:36], s[54:55]
	;; [unrolled: 3-line block ×9, first 2 shown]
	s_delay_alu instid0(VALU_DEP_1) | instskip(NEXT) | instid1(VALU_DEP_1)
	v_fma_f64 v[35:36], v[33:34], v[35:36], s[84:85]
	v_mul_f64 v[33:34], v[33:34], v[35:36]
	v_mul_f64 v[35:36], v[37:38], 0.5
	s_delay_alu instid0(VALU_DEP_2) | instskip(NEXT) | instid1(VALU_DEP_1)
	v_fma_f64 v[5:6], v[5:6], v[33:34], v[5:6]
	v_add_f64 v[33:34], -v[5:6], s[86:87]
	s_delay_alu instid0(VALU_DEP_1) | instskip(NEXT) | instid1(VALU_DEP_2)
	v_cndmask_b32_e64 v7, v6, v34, s4
	v_cndmask_b32_e64 v6, v5, v33, s4
	s_delay_alu instid0(VALU_DEP_1) | instskip(NEXT) | instid1(VALU_DEP_1)
	v_add_f64 v[33:34], -v[6:7], s[14:15]
	v_cndmask_b32_e32 v33, v6, v33, vcc_lo
	v_mul_f64 v[5:6], v[37:38], v[35:36]
	s_delay_alu instid0(VALU_DEP_3) | instskip(SKIP_1) | instid1(VALU_DEP_1)
	v_cndmask_b32_e32 v7, v7, v34, vcc_lo
	s_and_b32 vcc_lo, s8, s9
	v_cndmask_b32_e64 v7, v7, v10, s5
	s_delay_alu instid0(VALU_DEP_1) | instskip(NEXT) | instid1(VALU_DEP_1)
	v_dual_cndmask_b32 v34, v7, v9 :: v_dual_and_b32 v39, 0x54442d18, v15
	v_cndmask_b32_e64 v15, v33, v39, s5
	s_delay_alu instid0(VALU_DEP_1)
	v_cndmask_b32_e32 v33, v15, v18, vcc_lo
.LBB180_244:                            ;   in Loop: Header=BB180_145 Depth=1
	s_or_b32 exec_lo, exec_lo, s6
.LBB180_245:                            ;   in Loop: Header=BB180_145 Depth=1
	s_delay_alu instid0(SALU_CYCLE_1)
	s_or_b32 exec_lo, exec_lo, s7
.LBB180_246:                            ;   in Loop: Header=BB180_145 Depth=1
	s_and_not1_saveexec_b32 s7, s20
	s_cbranch_execz .LBB180_248
; %bb.247:                              ;   in Loop: Header=BB180_145 Depth=1
	v_div_scale_f64 v[5:6], null, s[92:93], s[92:93], v[9:10]
	v_div_scale_f64 v[33:34], null, s[92:93], s[92:93], v[11:12]
	v_div_scale_f64 v[43:44], vcc_lo, v[9:10], s[92:93], v[9:10]
	v_max_f64 v[47:48], |v[9:10]|, |v[9:10]|
	s_mov_b32 s99, s25
	s_mov_b32 s14, s86
	s_delay_alu instid0(VALU_DEP_4) | instskip(NEXT) | instid1(VALU_DEP_3)
	v_rcp_f64_e32 v[35:36], v[5:6]
	v_rcp_f64_e32 v[37:38], v[33:34]
	s_waitcnt_depctr 0xfff
	v_fma_f64 v[39:40], -v[5:6], v[35:36], 1.0
	v_fma_f64 v[41:42], -v[33:34], v[37:38], 1.0
	s_delay_alu instid0(VALU_DEP_2) | instskip(NEXT) | instid1(VALU_DEP_2)
	v_fma_f64 v[35:36], v[35:36], v[39:40], v[35:36]
	v_fma_f64 v[37:38], v[37:38], v[41:42], v[37:38]
	s_delay_alu instid0(VALU_DEP_2) | instskip(NEXT) | instid1(VALU_DEP_2)
	v_fma_f64 v[39:40], -v[5:6], v[35:36], 1.0
	v_fma_f64 v[41:42], -v[33:34], v[37:38], 1.0
	s_delay_alu instid0(VALU_DEP_2) | instskip(SKIP_1) | instid1(VALU_DEP_3)
	v_fma_f64 v[35:36], v[35:36], v[39:40], v[35:36]
	v_div_scale_f64 v[39:40], s5, v[11:12], s[92:93], v[11:12]
	v_fma_f64 v[37:38], v[37:38], v[41:42], v[37:38]
	s_delay_alu instid0(VALU_DEP_3) | instskip(NEXT) | instid1(VALU_DEP_2)
	v_mul_f64 v[41:42], v[43:44], v[35:36]
	v_mul_f64 v[45:46], v[39:40], v[37:38]
	s_delay_alu instid0(VALU_DEP_2) | instskip(NEXT) | instid1(VALU_DEP_2)
	v_fma_f64 v[5:6], -v[5:6], v[41:42], v[43:44]
	v_fma_f64 v[33:34], -v[33:34], v[45:46], v[39:40]
	s_delay_alu instid0(VALU_DEP_2) | instskip(SKIP_1) | instid1(VALU_DEP_2)
	v_div_fmas_f64 v[5:6], v[5:6], v[35:36], v[41:42]
	s_mov_b32 vcc_lo, s5
	v_div_fmas_f64 v[33:34], v[33:34], v[37:38], v[45:46]
	s_delay_alu instid0(VALU_DEP_2) | instskip(NEXT) | instid1(VALU_DEP_2)
	v_div_fixup_f64 v[5:6], v[5:6], s[92:93], v[9:10]
	v_div_fixup_f64 v[33:34], v[33:34], s[92:93], v[11:12]
	s_delay_alu instid0(VALU_DEP_2) | instskip(NEXT) | instid1(VALU_DEP_2)
	v_cmp_class_f64_e64 s6, v[5:6], 0x204
	v_max_f64 v[35:36], |v[5:6]|, |v[33:34]|
	v_cmp_o_f64_e64 s5, v[5:6], v[33:34]
	v_cmp_class_f64_e64 s8, v[33:34], 0x204
	s_delay_alu instid0(VALU_DEP_3) | instskip(NEXT) | instid1(VALU_DEP_2)
	v_frexp_exp_i32_f64_e32 v7, v[35:36]
	s_or_b32 s8, s8, s6
	s_delay_alu instid0(VALU_DEP_1) | instskip(NEXT) | instid1(VALU_DEP_1)
	v_sub_nc_u32_e32 v15, 0, v7
	v_ldexp_f64 v[35:36], |v[33:34]|, v15
	v_ldexp_f64 v[37:38], |v[5:6]|, v15
	s_delay_alu instid0(VALU_DEP_2) | instskip(NEXT) | instid1(VALU_DEP_1)
	v_mul_f64 v[35:36], v[35:36], v[35:36]
	v_fma_f64 v[35:36], v[37:38], v[37:38], v[35:36]
	s_delay_alu instid0(VALU_DEP_1) | instskip(SKIP_4) | instid1(VALU_DEP_1)
	v_rsq_f64_e32 v[37:38], v[35:36]
	v_cmp_eq_f64_e32 vcc_lo, 0, v[35:36]
	s_waitcnt_depctr 0xfff
	v_mul_f64 v[39:40], v[35:36], v[37:38]
	v_mul_f64 v[37:38], v[37:38], 0.5
	v_fma_f64 v[41:42], -v[37:38], v[39:40], 0.5
	s_delay_alu instid0(VALU_DEP_1) | instskip(SKIP_1) | instid1(VALU_DEP_2)
	v_fma_f64 v[39:40], v[39:40], v[41:42], v[39:40]
	v_fma_f64 v[37:38], v[37:38], v[41:42], v[37:38]
	v_fma_f64 v[41:42], -v[39:40], v[39:40], v[35:36]
	s_delay_alu instid0(VALU_DEP_1) | instskip(NEXT) | instid1(VALU_DEP_1)
	v_fma_f64 v[37:38], v[41:42], v[37:38], v[39:40]
	v_dual_cndmask_b32 v36, v38, v36 :: v_dual_cndmask_b32 v35, v37, v35
	s_delay_alu instid0(VALU_DEP_1) | instskip(NEXT) | instid1(VALU_DEP_1)
	v_ldexp_f64 v[35:36], v[35:36], v7
	v_cndmask_b32_e64 v5, 0, v35, s5
	s_delay_alu instid0(VALU_DEP_2) | instskip(NEXT) | instid1(VALU_DEP_2)
	v_cndmask_b32_e64 v15, 0x7ff80000, v36, s5
	v_cndmask_b32_e64 v6, v5, 0, s8
	s_delay_alu instid0(VALU_DEP_2) | instskip(NEXT) | instid1(VALU_DEP_1)
	v_cndmask_b32_e64 v7, v15, 0x7ff00000, s8
	v_frexp_mant_f64_e32 v[33:34], v[6:7]
	s_delay_alu instid0(VALU_DEP_1) | instskip(NEXT) | instid1(VALU_DEP_1)
	v_cmp_gt_f64_e64 s6, s[24:25], v[33:34]
	v_cndmask_b32_e64 v18, 0x3ff00000, 2.0, s6
	s_delay_alu instid0(VALU_DEP_1) | instskip(SKIP_1) | instid1(VALU_DEP_2)
	v_mul_f64 v[33:34], v[33:34], v[17:18]
	v_frexp_exp_i32_f64_e32 v18, v[6:7]
	v_add_f64 v[37:38], v[33:34], 1.0
	v_add_f64 v[43:44], v[33:34], -1.0
	s_delay_alu instid0(VALU_DEP_2) | instskip(SKIP_1) | instid1(VALU_DEP_1)
	v_rcp_f64_e32 v[39:40], v[37:38]
	v_add_f64 v[49:50], v[37:38], -1.0
	v_add_f64 v[33:34], v[33:34], -v[49:50]
	s_waitcnt_depctr 0xfff
	v_fma_f64 v[41:42], -v[37:38], v[39:40], 1.0
	s_delay_alu instid0(VALU_DEP_1) | instskip(NEXT) | instid1(VALU_DEP_1)
	v_fma_f64 v[39:40], v[41:42], v[39:40], v[39:40]
	v_fma_f64 v[41:42], -v[37:38], v[39:40], 1.0
	s_delay_alu instid0(VALU_DEP_1) | instskip(SKIP_1) | instid1(VALU_DEP_2)
	v_fma_f64 v[39:40], v[41:42], v[39:40], v[39:40]
	v_max_f64 v[41:42], |v[11:12]|, |v[11:12]|
	v_mul_f64 v[45:46], v[43:44], v[39:40]
	s_delay_alu instid0(VALU_DEP_2) | instskip(SKIP_1) | instid1(VALU_DEP_3)
	v_max_f64 v[53:54], v[47:48], v[41:42]
	v_min_f64 v[41:42], v[47:48], v[41:42]
	v_mul_f64 v[51:52], v[37:38], v[45:46]
	s_delay_alu instid0(VALU_DEP_2) | instskip(NEXT) | instid1(VALU_DEP_2)
	v_div_scale_f64 v[47:48], null, v[53:54], v[53:54], v[41:42]
	v_fma_f64 v[37:38], v[45:46], v[37:38], -v[51:52]
	s_delay_alu instid0(VALU_DEP_1) | instskip(NEXT) | instid1(VALU_DEP_3)
	v_fma_f64 v[33:34], v[45:46], v[33:34], v[37:38]
	v_rcp_f64_e32 v[37:38], v[47:48]
	s_delay_alu instid0(VALU_DEP_1) | instskip(SKIP_4) | instid1(VALU_DEP_3)
	v_add_f64 v[49:50], v[51:52], v[33:34]
	s_waitcnt_depctr 0xfff
	v_fma_f64 v[55:56], -v[47:48], v[37:38], 1.0
	v_add_f64 v[57:58], v[43:44], -v[49:50]
	v_add_f64 v[51:52], v[49:50], -v[51:52]
	v_fma_f64 v[37:38], v[37:38], v[55:56], v[37:38]
	s_delay_alu instid0(VALU_DEP_3) | instskip(NEXT) | instid1(VALU_DEP_3)
	v_add_f64 v[43:44], v[43:44], -v[57:58]
	v_add_f64 v[33:34], v[51:52], -v[33:34]
	s_delay_alu instid0(VALU_DEP_3) | instskip(NEXT) | instid1(VALU_DEP_3)
	v_fma_f64 v[55:56], -v[47:48], v[37:38], 1.0
	v_add_f64 v[43:44], v[43:44], -v[49:50]
	v_div_scale_f64 v[49:50], vcc_lo, v[41:42], v[53:54], v[41:42]
	s_delay_alu instid0(VALU_DEP_3) | instskip(NEXT) | instid1(VALU_DEP_3)
	v_fma_f64 v[37:38], v[37:38], v[55:56], v[37:38]
	v_add_f64 v[33:34], v[33:34], v[43:44]
	s_delay_alu instid0(VALU_DEP_2) | instskip(NEXT) | instid1(VALU_DEP_2)
	v_mul_f64 v[43:44], v[49:50], v[37:38]
	v_add_f64 v[33:34], v[57:58], v[33:34]
	s_delay_alu instid0(VALU_DEP_2) | instskip(NEXT) | instid1(VALU_DEP_2)
	v_fma_f64 v[47:48], -v[47:48], v[43:44], v[49:50]
	v_mul_f64 v[33:34], v[39:40], v[33:34]
	s_delay_alu instid0(VALU_DEP_2) | instskip(SKIP_2) | instid1(VALU_DEP_4)
	v_div_fmas_f64 v[37:38], v[47:48], v[37:38], v[43:44]
	v_subrev_co_ci_u32_e64 v18, vcc_lo, 0, v18, s6
	v_cmp_class_f64_e64 s6, v[9:10], 0x204
	v_add_f64 v[39:40], v[45:46], v[33:34]
	s_delay_alu instid0(VALU_DEP_4) | instskip(NEXT) | instid1(VALU_DEP_2)
	v_div_fixup_f64 v[37:38], v[37:38], v[53:54], v[41:42]
	v_mul_f64 v[41:42], v[39:40], v[39:40]
	s_delay_alu instid0(VALU_DEP_2) | instskip(NEXT) | instid1(VALU_DEP_2)
	v_mul_f64 v[43:44], v[37:38], v[37:38]
	v_fma_f64 v[47:48], v[41:42], s[28:29], s[26:27]
	v_mul_f64 v[51:52], v[39:40], v[41:42]
	s_delay_alu instid0(VALU_DEP_3) | instskip(NEXT) | instid1(VALU_DEP_3)
	v_fma_f64 v[49:50], v[43:44], s[48:49], s[46:47]
	v_fma_f64 v[47:48], v[41:42], v[47:48], s[34:35]
	s_delay_alu instid0(VALU_DEP_2) | instskip(NEXT) | instid1(VALU_DEP_2)
	v_fma_f64 v[49:50], v[43:44], v[49:50], s[50:51]
	v_fma_f64 v[47:48], v[41:42], v[47:48], s[36:37]
	s_delay_alu instid0(VALU_DEP_2) | instskip(NEXT) | instid1(VALU_DEP_2)
	;; [unrolled: 3-line block ×4, first 2 shown]
	v_fma_f64 v[49:50], v[43:44], v[49:50], s[56:57]
	v_fma_f64 v[41:42], v[41:42], v[47:48], s[98:99]
	s_delay_alu instid0(VALU_DEP_2) | instskip(SKIP_2) | instid1(VALU_DEP_4)
	v_fma_f64 v[47:48], v[43:44], v[49:50], s[58:59]
	v_ldexp_f64 v[49:50], v[39:40], 1
	v_add_f64 v[39:40], v[39:40], -v[45:46]
	v_mul_f64 v[41:42], v[51:52], v[41:42]
	v_cvt_f64_i32_e32 v[51:52], v18
	v_ashrrev_i32_e32 v18, 31, v10
	v_fma_f64 v[47:48], v[43:44], v[47:48], s[60:61]
	v_add_f64 v[33:34], v[33:34], -v[39:40]
	v_add_f64 v[45:46], v[49:50], v[41:42]
	v_mul_f64 v[53:54], v[51:52], s[42:43]
	s_delay_alu instid0(VALU_DEP_4) | instskip(NEXT) | instid1(VALU_DEP_4)
	v_fma_f64 v[47:48], v[43:44], v[47:48], s[62:63]
	v_ldexp_f64 v[33:34], v[33:34], 1
	s_delay_alu instid0(VALU_DEP_4) | instskip(NEXT) | instid1(VALU_DEP_4)
	v_add_f64 v[39:40], v[45:46], -v[49:50]
	v_fma_f64 v[49:50], v[51:52], s[42:43], -v[53:54]
	s_delay_alu instid0(VALU_DEP_4) | instskip(NEXT) | instid1(VALU_DEP_3)
	v_fma_f64 v[47:48], v[43:44], v[47:48], s[64:65]
	v_add_f64 v[39:40], v[41:42], -v[39:40]
	s_delay_alu instid0(VALU_DEP_2) | instskip(NEXT) | instid1(VALU_DEP_4)
	v_fma_f64 v[41:42], v[43:44], v[47:48], s[66:67]
	v_fma_f64 v[47:48], v[51:52], s[44:45], v[49:50]
	s_delay_alu instid0(VALU_DEP_3) | instskip(NEXT) | instid1(VALU_DEP_3)
	v_add_f64 v[33:34], v[33:34], v[39:40]
	v_fma_f64 v[39:40], v[43:44], v[41:42], s[68:69]
	s_delay_alu instid0(VALU_DEP_3) | instskip(NEXT) | instid1(VALU_DEP_3)
	v_add_f64 v[41:42], v[53:54], v[47:48]
	v_add_f64 v[49:50], v[45:46], v[33:34]
	s_delay_alu instid0(VALU_DEP_3) | instskip(NEXT) | instid1(VALU_DEP_3)
	v_fma_f64 v[39:40], v[43:44], v[39:40], s[70:71]
	v_add_f64 v[53:54], v[41:42], -v[53:54]
	s_delay_alu instid0(VALU_DEP_3) | instskip(SKIP_1) | instid1(VALU_DEP_4)
	v_add_f64 v[51:52], v[41:42], v[49:50]
	v_add_f64 v[45:46], v[49:50], -v[45:46]
	v_fma_f64 v[39:40], v[43:44], v[39:40], s[72:73]
	s_delay_alu instid0(VALU_DEP_4) | instskip(NEXT) | instid1(VALU_DEP_4)
	v_add_f64 v[47:48], v[47:48], -v[53:54]
	v_add_f64 v[55:56], v[51:52], -v[41:42]
	s_delay_alu instid0(VALU_DEP_4) | instskip(NEXT) | instid1(VALU_DEP_4)
	v_add_f64 v[33:34], v[33:34], -v[45:46]
	v_fma_f64 v[39:40], v[43:44], v[39:40], s[74:75]
	s_delay_alu instid0(VALU_DEP_3) | instskip(SKIP_1) | instid1(VALU_DEP_4)
	v_add_f64 v[57:58], v[51:52], -v[55:56]
	v_add_f64 v[45:46], v[49:50], -v[55:56]
	v_add_f64 v[49:50], v[47:48], v[33:34]
	s_delay_alu instid0(VALU_DEP_4) | instskip(NEXT) | instid1(VALU_DEP_4)
	v_fma_f64 v[39:40], v[43:44], v[39:40], s[76:77]
	v_add_f64 v[41:42], v[41:42], -v[57:58]
	s_delay_alu instid0(VALU_DEP_2) | instskip(NEXT) | instid1(VALU_DEP_2)
	v_fma_f64 v[39:40], v[43:44], v[39:40], s[78:79]
	v_add_f64 v[41:42], v[45:46], v[41:42]
	v_add_f64 v[45:46], v[49:50], -v[47:48]
	s_delay_alu instid0(VALU_DEP_3) | instskip(NEXT) | instid1(VALU_DEP_3)
	v_fma_f64 v[39:40], v[43:44], v[39:40], s[80:81]
	v_add_f64 v[41:42], v[49:50], v[41:42]
	s_delay_alu instid0(VALU_DEP_3) | instskip(SKIP_1) | instid1(VALU_DEP_4)
	v_add_f64 v[49:50], v[49:50], -v[45:46]
	v_add_f64 v[33:34], v[33:34], -v[45:46]
	v_fma_f64 v[39:40], v[43:44], v[39:40], s[82:83]
	s_delay_alu instid0(VALU_DEP_4) | instskip(NEXT) | instid1(VALU_DEP_4)
	v_add_f64 v[53:54], v[51:52], v[41:42]
	v_add_f64 v[45:46], v[47:48], -v[49:50]
	s_delay_alu instid0(VALU_DEP_3) | instskip(NEXT) | instid1(VALU_DEP_3)
	v_fma_f64 v[39:40], v[43:44], v[39:40], s[84:85]
	v_add_f64 v[47:48], v[53:54], -v[51:52]
	s_delay_alu instid0(VALU_DEP_3) | instskip(NEXT) | instid1(VALU_DEP_3)
	v_add_f64 v[33:34], v[33:34], v[45:46]
	v_mul_f64 v[39:40], v[43:44], v[39:40]
	s_delay_alu instid0(VALU_DEP_3) | instskip(NEXT) | instid1(VALU_DEP_2)
	v_add_f64 v[41:42], v[41:42], -v[47:48]
	v_fma_f64 v[37:38], v[37:38], v[39:40], v[37:38]
	s_delay_alu instid0(VALU_DEP_2) | instskip(NEXT) | instid1(VALU_DEP_2)
	v_add_f64 v[33:34], v[33:34], v[41:42]
	v_add_f64 v[39:40], -v[37:38], s[86:87]
	s_delay_alu instid0(VALU_DEP_2) | instskip(SKIP_1) | instid1(VALU_DEP_1)
	v_add_f64 v[33:34], v[53:54], v[33:34]
	v_and_b32_e32 v36, 0x7fffffff, v36
	v_cmp_eq_f64_e32 vcc_lo, 0x7ff00000, v[35:36]
	s_delay_alu instid0(VALU_DEP_4) | instskip(SKIP_2) | instid1(VALU_DEP_2)
	v_cndmask_b32_e64 v36, v38, v40, s4
	v_cndmask_b32_e64 v35, v37, v39, s4
	v_cmp_eq_f64_e64 s4, 0, v[11:12]
	v_add_f64 v[37:38], -v[35:36], s[14:15]
	s_and_b32 vcc_lo, s5, vcc_lo
	v_cmp_class_f64_e64 s5, v[11:12], 0x204
	v_dual_cndmask_b32 v33, v33, v5 :: v_dual_cndmask_b32 v34, v34, v15
	v_and_b32_e32 v5, 0x54442d18, v18
	v_cmp_gt_i32_e32 vcc_lo, 0, v10
	v_and_b32_e32 v10, 0x400921fb, v18
	s_delay_alu instid0(VALU_DEP_4) | instskip(SKIP_3) | instid1(VALU_DEP_3)
	v_add_f64 v[33:34], v[33:34], 1.0
	v_cndmask_b32_e32 v35, v35, v37, vcc_lo
	v_cndmask_b32_e32 v15, 0x54442d18, v59, vcc_lo
	;; [unrolled: 1-line block ×3, first 2 shown]
	v_cndmask_b32_e64 v35, v35, v5, s4
	v_cndmask_b32_e32 v18, v36, v38, vcc_lo
	v_cmp_ngt_f64_e32 vcc_lo, 0, v[6:7]
	s_delay_alu instid0(VALU_DEP_4) | instskip(NEXT) | instid1(VALU_DEP_3)
	v_bfi_b32 v9, 0x7fffffff, v9, v12
	v_cndmask_b32_e64 v5, v18, v10, s4
	v_cmp_nge_f64_e64 s4, 0, v[6:7]
	v_cndmask_b32_e64 v34, v34, 0x7ff00000, s8
	v_cndmask_b32_e64 v10, v33, 0, s8
	s_delay_alu instid0(VALU_DEP_2) | instskip(SKIP_2) | instid1(VALU_DEP_3)
	v_cndmask_b32_e32 v18, 0x7ff80000, v34, vcc_lo
	s_and_b32 vcc_lo, s5, s6
	v_dual_cndmask_b32 v33, v35, v15 :: v_dual_cndmask_b32 v34, v5, v9
	v_cndmask_b32_e64 v5, 0, v10, s4
	v_cmp_neq_f64_e64 s4, 0, v[6:7]
	s_delay_alu instid0(VALU_DEP_1)
	v_cndmask_b32_e64 v6, 0xfff00000, v18, s4
.LBB180_248:                            ;   in Loop: Header=BB180_145 Depth=1
	s_or_b32 exec_lo, exec_lo, s7
.LBB180_249:                            ;   in Loop: Header=BB180_145 Depth=1
	s_and_not1_saveexec_b32 s4, s89
	s_cbranch_execz .LBB180_255
; %bb.250:                              ;   in Loop: Header=BB180_145 Depth=1
	v_cmp_ngt_f64_e64 s5, 0x20000000, |v[9:10]|
	v_cmp_ngt_f64_e64 s6, 0x20000000, |v[11:12]|
                                        ; implicit-def: $vgpr6_vgpr7
	s_delay_alu instid0(VALU_DEP_1) | instskip(NEXT) | instid1(SALU_CYCLE_1)
	s_or_b32 s5, s6, s5
	s_and_saveexec_b32 s6, s5
	s_delay_alu instid0(SALU_CYCLE_1)
	s_xor_b32 s5, exec_lo, s6
; %bb.251:                              ;   in Loop: Header=BB180_145 Depth=1
	v_mul_f64 v[5:6], v[9:10], v[9:10]
	s_delay_alu instid0(VALU_DEP_1)
	v_fma_f64 v[6:7], v[11:12], v[11:12], v[5:6]
; %bb.252:                              ;   in Loop: Header=BB180_145 Depth=1
	s_and_not1_saveexec_b32 s5, s5
; %bb.253:                              ;   in Loop: Header=BB180_145 Depth=1
	v_mul_f64 v[5:6], v[9:10], 4.0
	v_mul_f64 v[9:10], v[11:12], 4.0
	s_delay_alu instid0(VALU_DEP_2) | instskip(NEXT) | instid1(VALU_DEP_1)
	v_mul_f64 v[5:6], v[5:6], v[5:6]
	v_fma_f64 v[5:6], v[9:10], v[9:10], v[5:6]
	s_delay_alu instid0(VALU_DEP_1)
	v_ldexp_f64 v[6:7], v[5:6], -4
; %bb.254:                              ;   in Loop: Header=BB180_145 Depth=1
	s_or_b32 exec_lo, exec_lo, s5
	s_delay_alu instid0(VALU_DEP_1) | instskip(SKIP_2) | instid1(VALU_DEP_2)
	v_frexp_mant_f64_e32 v[9:10], v[6:7]
	s_mov_b32 s99, s25
	v_frexp_exp_i32_f64_e32 v5, v[6:7]
	v_cmp_gt_f64_e32 vcc_lo, s[24:25], v[9:10]
	v_cndmask_b32_e64 v18, 0x3ff00000, 2.0, vcc_lo
	s_delay_alu instid0(VALU_DEP_3) | instskip(SKIP_1) | instid1(VALU_DEP_3)
	v_subrev_co_ci_u32_e32 v5, vcc_lo, 0, v5, vcc_lo
	v_cmp_class_f64_e64 vcc_lo, v[6:7], 0x204
	v_mul_f64 v[9:10], v[9:10], v[17:18]
	s_delay_alu instid0(VALU_DEP_1) | instskip(SKIP_1) | instid1(VALU_DEP_2)
	v_add_f64 v[33:34], v[9:10], 1.0
	v_add_f64 v[39:40], v[9:10], -1.0
	v_rcp_f64_e32 v[35:36], v[33:34]
	v_add_f64 v[41:42], v[33:34], -1.0
	s_delay_alu instid0(VALU_DEP_1) | instskip(SKIP_2) | instid1(VALU_DEP_1)
	v_add_f64 v[9:10], v[9:10], -v[41:42]
	s_waitcnt_depctr 0xfff
	v_fma_f64 v[37:38], -v[33:34], v[35:36], 1.0
	v_fma_f64 v[35:36], v[37:38], v[35:36], v[35:36]
	s_delay_alu instid0(VALU_DEP_1) | instskip(NEXT) | instid1(VALU_DEP_1)
	v_fma_f64 v[37:38], -v[33:34], v[35:36], 1.0
	v_fma_f64 v[35:36], v[37:38], v[35:36], v[35:36]
	s_delay_alu instid0(VALU_DEP_1) | instskip(NEXT) | instid1(VALU_DEP_1)
	v_mul_f64 v[37:38], v[39:40], v[35:36]
	v_mul_f64 v[43:44], v[33:34], v[37:38]
	s_delay_alu instid0(VALU_DEP_1) | instskip(NEXT) | instid1(VALU_DEP_1)
	v_fma_f64 v[33:34], v[37:38], v[33:34], -v[43:44]
	v_fma_f64 v[9:10], v[37:38], v[9:10], v[33:34]
	s_delay_alu instid0(VALU_DEP_1) | instskip(NEXT) | instid1(VALU_DEP_1)
	v_add_f64 v[33:34], v[43:44], v[9:10]
	v_add_f64 v[41:42], v[39:40], -v[33:34]
	v_add_f64 v[43:44], v[33:34], -v[43:44]
	s_delay_alu instid0(VALU_DEP_2) | instskip(NEXT) | instid1(VALU_DEP_2)
	v_add_f64 v[39:40], v[39:40], -v[41:42]
	v_add_f64 v[9:10], v[43:44], -v[9:10]
	s_delay_alu instid0(VALU_DEP_2) | instskip(NEXT) | instid1(VALU_DEP_1)
	v_add_f64 v[33:34], v[39:40], -v[33:34]
	v_add_f64 v[9:10], v[9:10], v[33:34]
	s_delay_alu instid0(VALU_DEP_1) | instskip(NEXT) | instid1(VALU_DEP_1)
	v_add_f64 v[9:10], v[41:42], v[9:10]
	v_mul_f64 v[9:10], v[35:36], v[9:10]
	s_delay_alu instid0(VALU_DEP_1) | instskip(NEXT) | instid1(VALU_DEP_1)
	v_add_f64 v[33:34], v[37:38], v[9:10]
	v_mul_f64 v[35:36], v[33:34], v[33:34]
	s_delay_alu instid0(VALU_DEP_1) | instskip(SKIP_1) | instid1(VALU_DEP_2)
	v_fma_f64 v[39:40], v[35:36], s[28:29], s[26:27]
	v_mul_f64 v[41:42], v[33:34], v[35:36]
	v_fma_f64 v[39:40], v[35:36], v[39:40], s[34:35]
	s_delay_alu instid0(VALU_DEP_1) | instskip(NEXT) | instid1(VALU_DEP_1)
	v_fma_f64 v[39:40], v[35:36], v[39:40], s[36:37]
	v_fma_f64 v[39:40], v[35:36], v[39:40], s[38:39]
	s_delay_alu instid0(VALU_DEP_1) | instskip(NEXT) | instid1(VALU_DEP_1)
	v_fma_f64 v[39:40], v[35:36], v[39:40], s[40:41]
	v_fma_f64 v[35:36], v[35:36], v[39:40], s[98:99]
	v_ldexp_f64 v[39:40], v[33:34], 1
	v_add_f64 v[33:34], v[33:34], -v[37:38]
	s_delay_alu instid0(VALU_DEP_3) | instskip(SKIP_1) | instid1(VALU_DEP_3)
	v_mul_f64 v[35:36], v[41:42], v[35:36]
	v_cvt_f64_i32_e32 v[41:42], v5
	v_add_f64 v[9:10], v[9:10], -v[33:34]
	s_delay_alu instid0(VALU_DEP_3) | instskip(NEXT) | instid1(VALU_DEP_3)
	v_add_f64 v[37:38], v[39:40], v[35:36]
	v_mul_f64 v[43:44], v[41:42], s[42:43]
	s_delay_alu instid0(VALU_DEP_3) | instskip(NEXT) | instid1(VALU_DEP_3)
	v_ldexp_f64 v[9:10], v[9:10], 1
	v_add_f64 v[33:34], v[37:38], -v[39:40]
	s_delay_alu instid0(VALU_DEP_3) | instskip(NEXT) | instid1(VALU_DEP_2)
	v_fma_f64 v[39:40], v[41:42], s[42:43], -v[43:44]
	v_add_f64 v[33:34], v[35:36], -v[33:34]
	s_delay_alu instid0(VALU_DEP_2) | instskip(NEXT) | instid1(VALU_DEP_2)
	v_fma_f64 v[35:36], v[41:42], s[44:45], v[39:40]
	v_add_f64 v[9:10], v[9:10], v[33:34]
	s_delay_alu instid0(VALU_DEP_2) | instskip(NEXT) | instid1(VALU_DEP_2)
	v_add_f64 v[33:34], v[43:44], v[35:36]
	v_add_f64 v[39:40], v[37:38], v[9:10]
	s_delay_alu instid0(VALU_DEP_2) | instskip(NEXT) | instid1(VALU_DEP_2)
	v_add_f64 v[43:44], v[33:34], -v[43:44]
	v_add_f64 v[41:42], v[33:34], v[39:40]
	v_add_f64 v[37:38], v[39:40], -v[37:38]
	s_delay_alu instid0(VALU_DEP_3) | instskip(NEXT) | instid1(VALU_DEP_3)
	v_add_f64 v[35:36], v[35:36], -v[43:44]
	v_add_f64 v[45:46], v[41:42], -v[33:34]
	s_delay_alu instid0(VALU_DEP_3) | instskip(NEXT) | instid1(VALU_DEP_2)
	v_add_f64 v[9:10], v[9:10], -v[37:38]
	v_add_f64 v[47:48], v[41:42], -v[45:46]
	;; [unrolled: 1-line block ×3, first 2 shown]
	s_delay_alu instid0(VALU_DEP_3) | instskip(NEXT) | instid1(VALU_DEP_3)
	v_add_f64 v[39:40], v[35:36], v[9:10]
	v_add_f64 v[33:34], v[33:34], -v[47:48]
	s_delay_alu instid0(VALU_DEP_1) | instskip(NEXT) | instid1(VALU_DEP_3)
	v_add_f64 v[33:34], v[37:38], v[33:34]
	v_add_f64 v[37:38], v[39:40], -v[35:36]
	s_delay_alu instid0(VALU_DEP_2) | instskip(NEXT) | instid1(VALU_DEP_2)
	v_add_f64 v[33:34], v[39:40], v[33:34]
	v_add_f64 v[39:40], v[39:40], -v[37:38]
	v_add_f64 v[9:10], v[9:10], -v[37:38]
	s_delay_alu instid0(VALU_DEP_3) | instskip(NEXT) | instid1(VALU_DEP_3)
	v_add_f64 v[43:44], v[41:42], v[33:34]
	v_add_f64 v[35:36], v[35:36], -v[39:40]
	s_delay_alu instid0(VALU_DEP_2) | instskip(NEXT) | instid1(VALU_DEP_2)
	v_add_f64 v[37:38], v[43:44], -v[41:42]
	v_add_f64 v[9:10], v[9:10], v[35:36]
	s_delay_alu instid0(VALU_DEP_2) | instskip(NEXT) | instid1(VALU_DEP_1)
	v_add_f64 v[33:34], v[33:34], -v[37:38]
	v_add_f64 v[9:10], v[9:10], v[33:34]
	s_delay_alu instid0(VALU_DEP_1) | instskip(NEXT) | instid1(VALU_DEP_1)
	v_add_f64 v[9:10], v[43:44], v[9:10]
	v_cndmask_b32_e32 v5, v9, v6, vcc_lo
	s_delay_alu instid0(VALU_DEP_2) | instskip(SKIP_1) | instid1(VALU_DEP_2)
	v_cndmask_b32_e32 v9, v10, v7, vcc_lo
	v_cmp_ngt_f64_e32 vcc_lo, 0, v[6:7]
	v_cndmask_b32_e32 v9, 0x7ff80000, v9, vcc_lo
	v_cmp_nge_f64_e32 vcc_lo, 0, v[6:7]
	v_mov_b32_e32 v33, 0
	v_dual_mov_b32 v34, 0x7ff80000 :: v_dual_cndmask_b32 v5, 0, v5
	v_cmp_neq_f64_e32 vcc_lo, 0, v[6:7]
	v_cndmask_b32_e32 v6, 0xfff00000, v9, vcc_lo
.LBB180_255:                            ;   in Loop: Header=BB180_145 Depth=1
	s_or_b32 exec_lo, exec_lo, s4
                                        ; implicit-def: $vgpr9_vgpr10
                                        ; implicit-def: $vgpr35_vgpr36
	s_delay_alu instid0(SALU_CYCLE_1)
	s_mov_b32 s4, exec_lo
	v_cmpx_o_f64_e32 v[1:2], v[3:4]
	s_xor_b32 s89, exec_lo, s4
	s_cbranch_execnz .LBB180_261
; %bb.256:                              ;   in Loop: Header=BB180_145 Depth=1
	s_and_not1_saveexec_b32 s4, s89
	s_cbranch_execnz .LBB180_288
.LBB180_257:                            ;   in Loop: Header=BB180_145 Depth=1
	s_or_b32 exec_lo, exec_lo, s4
	s_and_saveexec_b32 s4, s3
	s_delay_alu instid0(SALU_CYCLE_1)
	s_xor_b32 s4, exec_lo, s4
	s_cbranch_execnz .LBB180_293
.LBB180_258:                            ;   in Loop: Header=BB180_145 Depth=1
	s_or_b32 exec_lo, exec_lo, s4
	s_and_saveexec_b32 s3, s2
	s_cbranch_execnz .LBB180_294
.LBB180_259:                            ;   in Loop: Header=BB180_145 Depth=1
	s_or_b32 exec_lo, exec_lo, s3
	s_and_saveexec_b32 s2, s1
	s_cbranch_execnz .LBB180_295
.LBB180_260:                            ;   in Loop: Header=BB180_145 Depth=1
	s_or_b32 exec_lo, exec_lo, s2
	s_and_saveexec_b32 s1, s0
	s_cbranch_execz .LBB180_144
	s_branch .LBB180_296
.LBB180_261:                            ;   in Loop: Header=BB180_145 Depth=1
	v_cmp_lt_f64_e64 s4, |v[1:2]|, |v[3:4]|
	v_and_b32_e32 v7, 0x7fffffff, v2
	v_and_b32_e32 v11, 0x7fffffff, v4
	v_mov_b32_e32 v15, v3
                                        ; implicit-def: $vgpr9_vgpr10
                                        ; implicit-def: $vgpr35_vgpr36
	s_mov_b32 s5, exec_lo
	s_delay_alu instid0(VALU_DEP_2) | instskip(NEXT) | instid1(VALU_DEP_2)
	v_cndmask_b32_e64 v40, v11, v7, s4
	v_cndmask_b32_e64 v39, v15, v1, s4
	s_delay_alu instid0(VALU_DEP_1)
	v_cmpx_nlt_f64_e32 s[18:19], v[39:40]
	s_xor_b32 s20, exec_lo, s5
	s_cbranch_execz .LBB180_285
; %bb.262:                              ;   in Loop: Header=BB180_145 Depth=1
	v_cndmask_b32_e64 v42, v7, v11, s4
	v_cndmask_b32_e64 v41, v1, v15, s4
                                        ; implicit-def: $vgpr9_vgpr10
                                        ; implicit-def: $vgpr35_vgpr36
	s_mov_b32 s5, exec_lo
	s_delay_alu instid0(VALU_DEP_1)
	v_cmpx_neq_f64_e32 1.0, v[41:42]
	s_xor_b32 s21, exec_lo, s5
	s_cbranch_execz .LBB180_278
; %bb.263:                              ;   in Loop: Header=BB180_145 Depth=1
	v_max_f64 v[9:10], v[39:40], v[39:40]
	v_max_f64 v[35:36], v[41:42], v[41:42]
	s_mov_b32 s6, 0xc57e649a
	s_mov_b32 s7, 0x4a511b0e
	s_delay_alu instid0(VALU_DEP_1) | instskip(SKIP_1) | instid1(VALU_DEP_2)
	v_min_f64 v[37:38], v[35:36], v[9:10]
	v_max_f64 v[9:10], v[35:36], v[9:10]
                                        ; implicit-def: $vgpr35_vgpr36
	v_cmp_ngt_f64_e32 vcc_lo, s[12:13], v[37:38]
	s_delay_alu instid0(VALU_DEP_2) | instskip(NEXT) | instid1(VALU_DEP_1)
	v_cmp_nlt_f64_e64 s5, s[6:7], v[9:10]
                                        ; implicit-def: $vgpr9_vgpr10
	s_and_b32 s5, s5, vcc_lo
	s_delay_alu instid0(SALU_CYCLE_1) | instskip(NEXT) | instid1(SALU_CYCLE_1)
	s_and_saveexec_b32 s6, s5
	s_xor_b32 s22, exec_lo, s6
	s_cbranch_execz .LBB180_275
; %bb.264:                              ;   in Loop: Header=BB180_145 Depth=1
                                        ; implicit-def: $vgpr9_vgpr10
                                        ; implicit-def: $vgpr35_vgpr36
	s_mov_b32 s5, exec_lo
	v_cmpx_le_f64_e32 1.0, v[41:42]
	s_xor_b32 s6, exec_lo, s5
	s_cbranch_execz .LBB180_266
; %bb.265:                              ;   in Loop: Header=BB180_145 Depth=1
	v_add_f64 v[9:10], v[41:42], -1.0
	v_add_f64 v[35:36], v[41:42], 1.0
	s_mov_b32 s99, s25
	s_mov_b32 s14, s86
	v_cmp_gt_i32_e64 s5, 0, v2
	v_cmp_class_f64_e64 s8, v[1:2], 0x204
	v_cmp_class_f64_e64 s7, v[3:4], 0x204
	s_delay_alu instid0(VALU_DEP_3) | instskip(SKIP_1) | instid1(VALU_DEP_1)
	v_cndmask_b32_e64 v15, 0x54442d18, v59, s5
	v_mul_f64 v[9:10], v[9:10], v[35:36]
	v_fma_f64 v[10:11], v[39:40], v[39:40], v[9:10]
	s_delay_alu instid0(VALU_DEP_1) | instskip(NEXT) | instid1(VALU_DEP_1)
	v_add_f64 v[35:36], v[10:11], 1.0
	v_frexp_mant_f64_e32 v[37:38], v[35:36]
	v_frexp_exp_i32_f64_e32 v7, v[35:36]
	v_add_f64 v[39:40], v[35:36], -1.0
	s_delay_alu instid0(VALU_DEP_3) | instskip(NEXT) | instid1(VALU_DEP_2)
	v_cmp_gt_f64_e32 vcc_lo, s[24:25], v[37:38]
	v_add_f64 v[37:38], v[39:40], -v[35:36]
	v_add_f64 v[39:40], v[10:11], -v[39:40]
	v_subrev_co_ci_u32_e32 v7, vcc_lo, 0, v7, vcc_lo
	s_delay_alu instid0(VALU_DEP_3) | instskip(NEXT) | instid1(VALU_DEP_2)
	v_add_f64 v[37:38], v[37:38], 1.0
	v_sub_nc_u32_e32 v9, 0, v7
	s_delay_alu instid0(VALU_DEP_1) | instskip(NEXT) | instid1(VALU_DEP_3)
	v_ldexp_f64 v[35:36], v[35:36], v9
	v_add_f64 v[37:38], v[39:40], v[37:38]
	s_delay_alu instid0(VALU_DEP_2) | instskip(SKIP_1) | instid1(VALU_DEP_3)
	v_add_f64 v[41:42], v[35:36], 1.0
	v_add_f64 v[47:48], v[35:36], -1.0
	v_ldexp_f64 v[37:38], v[37:38], v9
	s_delay_alu instid0(VALU_DEP_3) | instskip(NEXT) | instid1(VALU_DEP_3)
	v_add_f64 v[39:40], v[41:42], -1.0
	v_add_f64 v[49:50], v[47:48], 1.0
	s_delay_alu instid0(VALU_DEP_2) | instskip(NEXT) | instid1(VALU_DEP_2)
	v_add_f64 v[39:40], v[35:36], -v[39:40]
	v_add_f64 v[35:36], v[35:36], -v[49:50]
	s_delay_alu instid0(VALU_DEP_2) | instskip(NEXT) | instid1(VALU_DEP_2)
	v_add_f64 v[39:40], v[37:38], v[39:40]
	v_add_f64 v[35:36], v[37:38], v[35:36]
	s_delay_alu instid0(VALU_DEP_2) | instskip(NEXT) | instid1(VALU_DEP_2)
	v_add_f64 v[43:44], v[41:42], v[39:40]
	v_add_f64 v[49:50], v[47:48], v[35:36]
	s_delay_alu instid0(VALU_DEP_2) | instskip(SKIP_1) | instid1(VALU_DEP_2)
	v_rcp_f64_e32 v[45:46], v[43:44]
	v_add_f64 v[41:42], v[43:44], -v[41:42]
	v_add_f64 v[47:48], v[49:50], -v[47:48]
	s_delay_alu instid0(VALU_DEP_2) | instskip(SKIP_3) | instid1(VALU_DEP_2)
	v_add_f64 v[39:40], v[39:40], -v[41:42]
	s_waitcnt_depctr 0xfff
	v_fma_f64 v[51:52], -v[43:44], v[45:46], 1.0
	v_add_f64 v[35:36], v[35:36], -v[47:48]
	v_fma_f64 v[45:46], v[51:52], v[45:46], v[45:46]
	s_delay_alu instid0(VALU_DEP_1) | instskip(NEXT) | instid1(VALU_DEP_1)
	v_fma_f64 v[37:38], -v[43:44], v[45:46], 1.0
	v_fma_f64 v[37:38], v[37:38], v[45:46], v[45:46]
	s_delay_alu instid0(VALU_DEP_1) | instskip(NEXT) | instid1(VALU_DEP_1)
	v_mul_f64 v[45:46], v[49:50], v[37:38]
	v_mul_f64 v[51:52], v[43:44], v[45:46]
	s_delay_alu instid0(VALU_DEP_1) | instskip(NEXT) | instid1(VALU_DEP_1)
	v_fma_f64 v[41:42], v[45:46], v[43:44], -v[51:52]
	v_fma_f64 v[41:42], v[45:46], v[39:40], v[41:42]
	s_delay_alu instid0(VALU_DEP_1) | instskip(NEXT) | instid1(VALU_DEP_1)
	v_add_f64 v[53:54], v[51:52], v[41:42]
	v_add_f64 v[55:56], v[49:50], -v[53:54]
	v_add_f64 v[47:48], v[53:54], -v[51:52]
	v_max_f64 v[51:52], |v[3:4]|, |v[3:4]|
	s_delay_alu instid0(VALU_DEP_3) | instskip(NEXT) | instid1(VALU_DEP_3)
	v_add_f64 v[49:50], v[49:50], -v[55:56]
	v_add_f64 v[41:42], v[47:48], -v[41:42]
	s_delay_alu instid0(VALU_DEP_2) | instskip(SKIP_2) | instid1(VALU_DEP_1)
	v_add_f64 v[49:50], v[49:50], -v[53:54]
	v_max_f64 v[53:54], |v[1:2]|, |v[1:2]|
	v_cndmask_b32_e64 v1, 0x3fe921fb, v60, s5
	v_bfi_b32 v1, 0x7fffffff, v1, v4
	s_delay_alu instid0(VALU_DEP_4) | instskip(NEXT) | instid1(VALU_DEP_4)
	v_add_f64 v[35:36], v[35:36], v[49:50]
	v_max_f64 v[57:58], v[53:54], v[51:52]
	v_min_f64 v[51:52], v[53:54], v[51:52]
	s_delay_alu instid0(VALU_DEP_3) | instskip(NEXT) | instid1(VALU_DEP_1)
	v_add_f64 v[35:36], v[41:42], v[35:36]
	v_add_f64 v[41:42], v[55:56], v[35:36]
	s_delay_alu instid0(VALU_DEP_1) | instskip(SKIP_1) | instid1(VALU_DEP_2)
	v_mul_f64 v[47:48], v[37:38], v[41:42]
	v_add_f64 v[55:56], v[55:56], -v[41:42]
	v_mul_f64 v[49:50], v[43:44], v[47:48]
	s_delay_alu instid0(VALU_DEP_2) | instskip(NEXT) | instid1(VALU_DEP_2)
	v_add_f64 v[35:36], v[35:36], v[55:56]
	v_fma_f64 v[43:44], v[47:48], v[43:44], -v[49:50]
	s_delay_alu instid0(VALU_DEP_1) | instskip(SKIP_1) | instid1(VALU_DEP_2)
	v_fma_f64 v[39:40], v[47:48], v[39:40], v[43:44]
	v_div_scale_f64 v[43:44], null, v[57:58], v[57:58], v[51:52]
	v_add_f64 v[53:54], v[49:50], v[39:40]
	s_delay_alu instid0(VALU_DEP_2) | instskip(NEXT) | instid1(VALU_DEP_1)
	v_rcp_f64_e32 v[61:62], v[43:44]
	v_add_f64 v[63:64], v[41:42], -v[53:54]
	v_add_f64 v[49:50], v[53:54], -v[49:50]
	s_waitcnt_depctr 0xfff
	v_fma_f64 v[65:66], -v[43:44], v[61:62], 1.0
	v_add_f64 v[41:42], v[41:42], -v[63:64]
	v_add_f64 v[39:40], v[49:50], -v[39:40]
	s_delay_alu instid0(VALU_DEP_3) | instskip(NEXT) | instid1(VALU_DEP_3)
	v_fma_f64 v[61:62], v[61:62], v[65:66], v[61:62]
	v_add_f64 v[41:42], v[41:42], -v[53:54]
	s_delay_alu instid0(VALU_DEP_2) | instskip(NEXT) | instid1(VALU_DEP_2)
	v_fma_f64 v[53:54], -v[43:44], v[61:62], 1.0
	v_add_f64 v[35:36], v[35:36], v[41:42]
	v_div_scale_f64 v[41:42], vcc_lo, v[51:52], v[57:58], v[51:52]
	s_delay_alu instid0(VALU_DEP_3) | instskip(SKIP_1) | instid1(VALU_DEP_4)
	v_fma_f64 v[49:50], v[61:62], v[53:54], v[61:62]
	v_add_f64 v[53:54], v[45:46], v[47:48]
	v_add_f64 v[35:36], v[39:40], v[35:36]
	s_delay_alu instid0(VALU_DEP_3) | instskip(NEXT) | instid1(VALU_DEP_3)
	v_mul_f64 v[39:40], v[41:42], v[49:50]
	v_add_f64 v[45:46], v[53:54], -v[45:46]
	s_delay_alu instid0(VALU_DEP_3) | instskip(NEXT) | instid1(VALU_DEP_3)
	v_add_f64 v[35:36], v[63:64], v[35:36]
	v_fma_f64 v[41:42], -v[43:44], v[39:40], v[41:42]
	s_delay_alu instid0(VALU_DEP_3) | instskip(NEXT) | instid1(VALU_DEP_3)
	v_add_f64 v[43:44], v[47:48], -v[45:46]
	v_mul_f64 v[35:36], v[37:38], v[35:36]
	s_delay_alu instid0(VALU_DEP_3) | instskip(SKIP_1) | instid1(VALU_DEP_3)
	v_div_fmas_f64 v[37:38], v[41:42], v[49:50], v[39:40]
	v_cmp_eq_f64_e32 vcc_lo, 0x7ff00000, v[10:11]
	v_add_f64 v[35:36], v[43:44], v[35:36]
	s_delay_alu instid0(VALU_DEP_3) | instskip(NEXT) | instid1(VALU_DEP_2)
	v_div_fixup_f64 v[37:38], v[37:38], v[57:58], v[51:52]
	v_add_f64 v[39:40], v[53:54], v[35:36]
	s_delay_alu instid0(VALU_DEP_2) | instskip(NEXT) | instid1(VALU_DEP_2)
	v_mul_f64 v[41:42], v[37:38], v[37:38]
	v_mul_f64 v[43:44], v[39:40], v[39:40]
	s_delay_alu instid0(VALU_DEP_2) | instskip(NEXT) | instid1(VALU_DEP_2)
	v_fma_f64 v[45:46], v[41:42], s[48:49], s[46:47]
	v_fma_f64 v[47:48], v[43:44], s[28:29], s[26:27]
	v_mul_f64 v[49:50], v[39:40], v[43:44]
	s_delay_alu instid0(VALU_DEP_3) | instskip(NEXT) | instid1(VALU_DEP_3)
	v_fma_f64 v[45:46], v[41:42], v[45:46], s[50:51]
	v_fma_f64 v[47:48], v[43:44], v[47:48], s[34:35]
	s_delay_alu instid0(VALU_DEP_2) | instskip(NEXT) | instid1(VALU_DEP_2)
	v_fma_f64 v[45:46], v[41:42], v[45:46], s[52:53]
	v_fma_f64 v[47:48], v[43:44], v[47:48], s[36:37]
	s_delay_alu instid0(VALU_DEP_2) | instskip(NEXT) | instid1(VALU_DEP_2)
	;; [unrolled: 3-line block ×4, first 2 shown]
	v_fma_f64 v[45:46], v[41:42], v[45:46], s[58:59]
	v_fma_f64 v[43:44], v[43:44], v[47:48], s[98:99]
	v_ldexp_f64 v[47:48], v[39:40], 1
	v_add_f64 v[39:40], v[39:40], -v[53:54]
	s_delay_alu instid0(VALU_DEP_4) | instskip(NEXT) | instid1(VALU_DEP_4)
	v_fma_f64 v[45:46], v[41:42], v[45:46], s[60:61]
	v_mul_f64 v[43:44], v[49:50], v[43:44]
	v_cvt_f64_i32_e32 v[49:50], v7
	s_delay_alu instid0(VALU_DEP_4) | instskip(NEXT) | instid1(VALU_DEP_4)
	v_add_f64 v[35:36], v[35:36], -v[39:40]
	v_fma_f64 v[45:46], v[41:42], v[45:46], s[62:63]
	v_ashrrev_i32_e32 v7, 31, v2
	s_delay_alu instid0(VALU_DEP_1) | instskip(SKIP_4) | instid1(VALU_DEP_4)
	v_and_b32_e32 v2, 0x400921fb, v7
	v_add_f64 v[51:52], v[47:48], v[43:44]
	v_mul_f64 v[53:54], v[49:50], s[42:43]
	v_ldexp_f64 v[35:36], v[35:36], 1
	v_fma_f64 v[45:46], v[41:42], v[45:46], s[64:65]
	v_add_f64 v[39:40], v[51:52], -v[47:48]
	s_delay_alu instid0(VALU_DEP_4) | instskip(NEXT) | instid1(VALU_DEP_3)
	v_fma_f64 v[47:48], v[49:50], s[42:43], -v[53:54]
	v_fma_f64 v[45:46], v[41:42], v[45:46], s[66:67]
	s_delay_alu instid0(VALU_DEP_3) | instskip(NEXT) | instid1(VALU_DEP_2)
	v_add_f64 v[39:40], v[43:44], -v[39:40]
	v_fma_f64 v[43:44], v[41:42], v[45:46], s[68:69]
	s_delay_alu instid0(VALU_DEP_4) | instskip(NEXT) | instid1(VALU_DEP_3)
	v_fma_f64 v[45:46], v[49:50], s[44:45], v[47:48]
	v_add_f64 v[35:36], v[35:36], v[39:40]
	s_delay_alu instid0(VALU_DEP_3) | instskip(NEXT) | instid1(VALU_DEP_3)
	v_fma_f64 v[39:40], v[41:42], v[43:44], s[70:71]
	v_add_f64 v[43:44], v[53:54], v[45:46]
	s_delay_alu instid0(VALU_DEP_3) | instskip(NEXT) | instid1(VALU_DEP_3)
	v_add_f64 v[47:48], v[51:52], v[35:36]
	v_fma_f64 v[39:40], v[41:42], v[39:40], s[72:73]
	s_delay_alu instid0(VALU_DEP_3) | instskip(NEXT) | instid1(VALU_DEP_3)
	v_add_f64 v[53:54], v[43:44], -v[53:54]
	v_add_f64 v[49:50], v[43:44], v[47:48]
	v_add_f64 v[51:52], v[47:48], -v[51:52]
	s_delay_alu instid0(VALU_DEP_4) | instskip(NEXT) | instid1(VALU_DEP_4)
	v_fma_f64 v[39:40], v[41:42], v[39:40], s[74:75]
	v_add_f64 v[45:46], v[45:46], -v[53:54]
	s_delay_alu instid0(VALU_DEP_4) | instskip(NEXT) | instid1(VALU_DEP_4)
	v_add_f64 v[55:56], v[49:50], -v[43:44]
	v_add_f64 v[35:36], v[35:36], -v[51:52]
	s_delay_alu instid0(VALU_DEP_4) | instskip(NEXT) | instid1(VALU_DEP_3)
	v_fma_f64 v[39:40], v[41:42], v[39:40], s[76:77]
	v_add_f64 v[57:58], v[49:50], -v[55:56]
	v_add_f64 v[47:48], v[47:48], -v[55:56]
	s_delay_alu instid0(VALU_DEP_4) | instskip(NEXT) | instid1(VALU_DEP_4)
	v_add_f64 v[51:52], v[45:46], v[35:36]
	v_fma_f64 v[39:40], v[41:42], v[39:40], s[78:79]
	s_delay_alu instid0(VALU_DEP_4) | instskip(NEXT) | instid1(VALU_DEP_2)
	v_add_f64 v[43:44], v[43:44], -v[57:58]
	v_fma_f64 v[39:40], v[41:42], v[39:40], s[80:81]
	s_delay_alu instid0(VALU_DEP_2) | instskip(SKIP_1) | instid1(VALU_DEP_3)
	v_add_f64 v[43:44], v[47:48], v[43:44]
	v_add_f64 v[47:48], v[51:52], -v[45:46]
	v_fma_f64 v[39:40], v[41:42], v[39:40], s[82:83]
	s_delay_alu instid0(VALU_DEP_3) | instskip(NEXT) | instid1(VALU_DEP_3)
	v_add_f64 v[43:44], v[51:52], v[43:44]
	v_add_f64 v[51:52], v[51:52], -v[47:48]
	v_add_f64 v[35:36], v[35:36], -v[47:48]
	s_delay_alu instid0(VALU_DEP_4) | instskip(NEXT) | instid1(VALU_DEP_4)
	v_fma_f64 v[39:40], v[41:42], v[39:40], s[84:85]
	v_add_f64 v[53:54], v[49:50], v[43:44]
	s_delay_alu instid0(VALU_DEP_2) | instskip(SKIP_1) | instid1(VALU_DEP_3)
	v_mul_f64 v[39:40], v[41:42], v[39:40]
	v_add_f64 v[41:42], v[45:46], -v[51:52]
	v_add_f64 v[45:46], v[53:54], -v[49:50]
	s_delay_alu instid0(VALU_DEP_3) | instskip(NEXT) | instid1(VALU_DEP_3)
	v_fma_f64 v[37:38], v[37:38], v[39:40], v[37:38]
	v_add_f64 v[35:36], v[35:36], v[41:42]
	s_delay_alu instid0(VALU_DEP_3) | instskip(NEXT) | instid1(VALU_DEP_3)
	v_add_f64 v[39:40], v[43:44], -v[45:46]
	v_add_f64 v[41:42], -v[37:38], s[86:87]
	s_delay_alu instid0(VALU_DEP_2) | instskip(NEXT) | instid1(VALU_DEP_2)
	v_add_f64 v[35:36], v[35:36], v[39:40]
	v_cndmask_b32_e64 v38, v38, v42, s4
	s_delay_alu instid0(VALU_DEP_3) | instskip(NEXT) | instid1(VALU_DEP_1)
	v_cndmask_b32_e64 v37, v37, v41, s4
                                        ; implicit-def: $vgpr41_vgpr42
	v_add_f64 v[39:40], -v[37:38], s[14:15]
	s_delay_alu instid0(VALU_DEP_4) | instskip(NEXT) | instid1(VALU_DEP_2)
	v_add_f64 v[35:36], v[53:54], v[35:36]
	v_cndmask_b32_e64 v18, v37, v39, s5
	s_delay_alu instid0(VALU_DEP_2)
	v_dual_cndmask_b32 v36, v36, v11 :: v_dual_cndmask_b32 v35, v35, v10
	v_cmp_eq_f64_e32 vcc_lo, 0, v[3:4]
	v_and_b32_e32 v9, 0x54442d18, v7
	v_cndmask_b32_e64 v7, v38, v40, s5
	v_cmp_nge_f64_e64 s5, -1.0, v[10:11]
	v_mul_f64 v[35:36], v[35:36], 0.5
                                        ; implicit-def: $vgpr39_vgpr40
	s_delay_alu instid0(VALU_DEP_3) | instskip(SKIP_2) | instid1(VALU_DEP_4)
	v_cndmask_b32_e32 v2, v7, v2, vcc_lo
	v_cndmask_b32_e32 v18, v18, v9, vcc_lo
	v_cmp_ngt_f64_e32 vcc_lo, -1.0, v[10:11]
	v_cndmask_b32_e64 v9, 0, v35, s5
	v_cmp_neq_f64_e64 s5, -1.0, v[10:11]
	v_cndmask_b32_e32 v7, 0x7ff80000, v36, vcc_lo
	s_and_b32 vcc_lo, s7, s8
	v_cndmask_b32_e32 v36, v2, v1, vcc_lo
	v_cndmask_b32_e32 v35, v18, v15, vcc_lo
	s_delay_alu instid0(VALU_DEP_3)
	v_cndmask_b32_e64 v10, 0xfff00000, v7, s5
.LBB180_266:                            ;   in Loop: Header=BB180_145 Depth=1
	s_and_not1_saveexec_b32 s23, s6
	s_cbranch_execz .LBB180_274
; %bb.267:                              ;   in Loop: Header=BB180_145 Depth=1
	v_mul_f64 v[9:10], v[39:40], v[39:40]
	s_mov_b32 s6, 0x66666666
	s_mov_b32 s7, 0x3fe66666
                                        ; implicit-def: $vgpr35_vgpr36
	s_mov_b32 s5, exec_lo
	s_delay_alu instid0(VALU_DEP_1) | instskip(NEXT) | instid1(VALU_DEP_1)
	v_fma_f64 v[37:38], v[41:42], v[41:42], v[9:10]
                                        ; implicit-def: $vgpr9_vgpr10
	v_cmpx_ge_f64_e32 s[6:7], v[37:38]
	s_xor_b32 s7, exec_lo, s5
	s_cbranch_execz .LBB180_269
; %bb.268:                              ;   in Loop: Header=BB180_145 Depth=1
	v_frexp_mant_f64_e32 v[9:10], v[37:38]
	v_max_f64 v[45:46], |v[1:2]|, |v[1:2]|
	s_mov_b32 s99, s25
	v_frexp_exp_i32_f64_e32 v7, v[37:38]
	s_mov_b32 s14, s86
	v_cmp_class_f64_e64 s8, v[3:4], 0x204
	v_cmp_class_f64_e64 s9, v[1:2], 0x204
	v_cmp_neq_f64_e64 s6, 0, v[37:38]
	v_cmp_gt_f64_e64 s5, s[24:25], v[9:10]
	s_delay_alu instid0(VALU_DEP_1) | instskip(NEXT) | instid1(VALU_DEP_1)
	v_cndmask_b32_e64 v18, 0x3ff00000, 2.0, s5
	v_mul_f64 v[9:10], v[9:10], v[17:18]
	s_delay_alu instid0(VALU_DEP_1) | instskip(SKIP_1) | instid1(VALU_DEP_2)
	v_add_f64 v[35:36], v[9:10], 1.0
	v_add_f64 v[43:44], v[9:10], -1.0
	v_rcp_f64_e32 v[39:40], v[35:36]
	s_waitcnt_depctr 0xfff
	v_fma_f64 v[41:42], -v[35:36], v[39:40], 1.0
	s_delay_alu instid0(VALU_DEP_1) | instskip(NEXT) | instid1(VALU_DEP_1)
	v_fma_f64 v[39:40], v[41:42], v[39:40], v[39:40]
	v_fma_f64 v[41:42], -v[35:36], v[39:40], 1.0
	s_delay_alu instid0(VALU_DEP_1) | instskip(SKIP_1) | instid1(VALU_DEP_2)
	v_fma_f64 v[39:40], v[41:42], v[39:40], v[39:40]
	v_max_f64 v[41:42], |v[3:4]|, |v[3:4]|
	v_mul_f64 v[47:48], v[43:44], v[39:40]
	s_delay_alu instid0(VALU_DEP_2) | instskip(SKIP_2) | instid1(VALU_DEP_4)
	v_max_f64 v[49:50], v[45:46], v[41:42]
	v_min_f64 v[41:42], v[45:46], v[41:42]
	v_add_f64 v[45:46], v[35:36], -1.0
	v_mul_f64 v[51:52], v[35:36], v[47:48]
	s_delay_alu instid0(VALU_DEP_3) | instskip(NEXT) | instid1(VALU_DEP_3)
	v_div_scale_f64 v[53:54], null, v[49:50], v[49:50], v[41:42]
	v_add_f64 v[9:10], v[9:10], -v[45:46]
	v_div_scale_f64 v[61:62], vcc_lo, v[41:42], v[49:50], v[41:42]
	s_delay_alu instid0(VALU_DEP_4) | instskip(NEXT) | instid1(VALU_DEP_4)
	v_fma_f64 v[35:36], v[47:48], v[35:36], -v[51:52]
	v_rcp_f64_e32 v[45:46], v[53:54]
	s_delay_alu instid0(VALU_DEP_1) | instskip(SKIP_3) | instid1(VALU_DEP_2)
	v_fma_f64 v[9:10], v[47:48], v[9:10], v[35:36]
	s_waitcnt_depctr 0xfff
	v_fma_f64 v[35:36], -v[53:54], v[45:46], 1.0
	v_add_f64 v[55:56], v[51:52], v[9:10]
	v_fma_f64 v[35:36], v[45:46], v[35:36], v[45:46]
	s_delay_alu instid0(VALU_DEP_2) | instskip(SKIP_1) | instid1(VALU_DEP_3)
	v_add_f64 v[45:46], v[43:44], -v[55:56]
	v_add_f64 v[51:52], v[55:56], -v[51:52]
	v_fma_f64 v[57:58], -v[53:54], v[35:36], 1.0
	s_delay_alu instid0(VALU_DEP_3) | instskip(NEXT) | instid1(VALU_DEP_3)
	v_add_f64 v[43:44], v[43:44], -v[45:46]
	v_add_f64 v[9:10], v[51:52], -v[9:10]
	s_delay_alu instid0(VALU_DEP_3) | instskip(NEXT) | instid1(VALU_DEP_3)
	v_fma_f64 v[35:36], v[35:36], v[57:58], v[35:36]
	v_add_f64 v[43:44], v[43:44], -v[55:56]
	s_delay_alu instid0(VALU_DEP_2) | instskip(NEXT) | instid1(VALU_DEP_2)
	v_mul_f64 v[51:52], v[61:62], v[35:36]
	v_add_f64 v[9:10], v[9:10], v[43:44]
	s_delay_alu instid0(VALU_DEP_2) | instskip(NEXT) | instid1(VALU_DEP_2)
	v_fma_f64 v[43:44], -v[53:54], v[51:52], v[61:62]
	v_add_f64 v[9:10], v[45:46], v[9:10]
	s_delay_alu instid0(VALU_DEP_2)
	v_div_fmas_f64 v[35:36], v[43:44], v[35:36], v[51:52]
	v_subrev_co_ci_u32_e64 v7, vcc_lo, 0, v7, s5
	v_cmp_eq_f64_e64 s5, 0, v[3:4]
	v_cmp_gt_i32_e32 vcc_lo, 0, v2
	v_cndmask_b32_e32 v11, 0x54442d18, v59, vcc_lo
	v_mul_f64 v[9:10], v[39:40], v[9:10]
	v_div_fixup_f64 v[35:36], v[35:36], v[49:50], v[41:42]
	s_delay_alu instid0(VALU_DEP_2) | instskip(NEXT) | instid1(VALU_DEP_2)
	v_add_f64 v[39:40], v[47:48], v[9:10]
	v_mul_f64 v[41:42], v[35:36], v[35:36]
	s_delay_alu instid0(VALU_DEP_2) | instskip(NEXT) | instid1(VALU_DEP_2)
	v_mul_f64 v[43:44], v[39:40], v[39:40]
	v_fma_f64 v[45:46], v[41:42], s[48:49], s[46:47]
	s_delay_alu instid0(VALU_DEP_2) | instskip(SKIP_1) | instid1(VALU_DEP_3)
	v_fma_f64 v[49:50], v[43:44], s[28:29], s[26:27]
	v_mul_f64 v[51:52], v[39:40], v[43:44]
	v_fma_f64 v[45:46], v[41:42], v[45:46], s[50:51]
	s_delay_alu instid0(VALU_DEP_3) | instskip(NEXT) | instid1(VALU_DEP_2)
	v_fma_f64 v[49:50], v[43:44], v[49:50], s[34:35]
	v_fma_f64 v[45:46], v[41:42], v[45:46], s[52:53]
	s_delay_alu instid0(VALU_DEP_2) | instskip(NEXT) | instid1(VALU_DEP_2)
	v_fma_f64 v[49:50], v[43:44], v[49:50], s[36:37]
	v_fma_f64 v[45:46], v[41:42], v[45:46], s[54:55]
	s_delay_alu instid0(VALU_DEP_2) | instskip(NEXT) | instid1(VALU_DEP_2)
	;; [unrolled: 3-line block ×3, first 2 shown]
	v_fma_f64 v[49:50], v[43:44], v[49:50], s[40:41]
	v_fma_f64 v[45:46], v[41:42], v[45:46], s[58:59]
	s_delay_alu instid0(VALU_DEP_2) | instskip(SKIP_2) | instid1(VALU_DEP_4)
	v_fma_f64 v[43:44], v[43:44], v[49:50], s[98:99]
	v_ldexp_f64 v[49:50], v[39:40], 1
	v_add_f64 v[39:40], v[39:40], -v[47:48]
	v_fma_f64 v[45:46], v[41:42], v[45:46], s[60:61]
	s_delay_alu instid0(VALU_DEP_4) | instskip(SKIP_1) | instid1(VALU_DEP_4)
	v_mul_f64 v[43:44], v[51:52], v[43:44]
	v_cvt_f64_i32_e32 v[51:52], v7
	v_add_f64 v[9:10], v[9:10], -v[39:40]
	v_ashrrev_i32_e32 v7, 31, v2
	v_fma_f64 v[45:46], v[41:42], v[45:46], s[62:63]
	v_add_f64 v[47:48], v[49:50], v[43:44]
	v_mul_f64 v[53:54], v[51:52], s[42:43]
	v_ldexp_f64 v[9:10], v[9:10], 1
	s_delay_alu instid0(VALU_DEP_4) | instskip(NEXT) | instid1(VALU_DEP_4)
	v_fma_f64 v[45:46], v[41:42], v[45:46], s[64:65]
	v_add_f64 v[39:40], v[47:48], -v[49:50]
	s_delay_alu instid0(VALU_DEP_4) | instskip(NEXT) | instid1(VALU_DEP_3)
	v_fma_f64 v[49:50], v[51:52], s[42:43], -v[53:54]
	v_fma_f64 v[45:46], v[41:42], v[45:46], s[66:67]
	s_delay_alu instid0(VALU_DEP_3) | instskip(NEXT) | instid1(VALU_DEP_2)
	v_add_f64 v[39:40], v[43:44], -v[39:40]
	v_fma_f64 v[43:44], v[41:42], v[45:46], s[68:69]
	s_delay_alu instid0(VALU_DEP_4) | instskip(NEXT) | instid1(VALU_DEP_3)
	v_fma_f64 v[45:46], v[51:52], s[44:45], v[49:50]
	v_add_f64 v[9:10], v[9:10], v[39:40]
	s_delay_alu instid0(VALU_DEP_3) | instskip(NEXT) | instid1(VALU_DEP_3)
	v_fma_f64 v[39:40], v[41:42], v[43:44], s[70:71]
	v_add_f64 v[43:44], v[53:54], v[45:46]
	s_delay_alu instid0(VALU_DEP_3) | instskip(NEXT) | instid1(VALU_DEP_3)
	v_add_f64 v[49:50], v[47:48], v[9:10]
	v_fma_f64 v[39:40], v[41:42], v[39:40], s[72:73]
	s_delay_alu instid0(VALU_DEP_3) | instskip(NEXT) | instid1(VALU_DEP_3)
	v_add_f64 v[53:54], v[43:44], -v[53:54]
	v_add_f64 v[51:52], v[43:44], v[49:50]
	v_add_f64 v[47:48], v[49:50], -v[47:48]
	s_delay_alu instid0(VALU_DEP_4) | instskip(NEXT) | instid1(VALU_DEP_4)
	v_fma_f64 v[39:40], v[41:42], v[39:40], s[74:75]
	v_add_f64 v[45:46], v[45:46], -v[53:54]
	s_delay_alu instid0(VALU_DEP_4) | instskip(NEXT) | instid1(VALU_DEP_4)
	v_add_f64 v[55:56], v[51:52], -v[43:44]
	v_add_f64 v[9:10], v[9:10], -v[47:48]
	s_delay_alu instid0(VALU_DEP_4) | instskip(NEXT) | instid1(VALU_DEP_3)
	v_fma_f64 v[39:40], v[41:42], v[39:40], s[76:77]
	v_add_f64 v[57:58], v[51:52], -v[55:56]
	v_add_f64 v[47:48], v[49:50], -v[55:56]
	s_delay_alu instid0(VALU_DEP_4) | instskip(NEXT) | instid1(VALU_DEP_4)
	v_add_f64 v[49:50], v[45:46], v[9:10]
	v_fma_f64 v[39:40], v[41:42], v[39:40], s[78:79]
	s_delay_alu instid0(VALU_DEP_4) | instskip(NEXT) | instid1(VALU_DEP_2)
	v_add_f64 v[43:44], v[43:44], -v[57:58]
	v_fma_f64 v[39:40], v[41:42], v[39:40], s[80:81]
	s_delay_alu instid0(VALU_DEP_2) | instskip(SKIP_1) | instid1(VALU_DEP_3)
	v_add_f64 v[43:44], v[47:48], v[43:44]
	v_add_f64 v[47:48], v[49:50], -v[45:46]
	v_fma_f64 v[39:40], v[41:42], v[39:40], s[82:83]
	s_delay_alu instid0(VALU_DEP_3) | instskip(NEXT) | instid1(VALU_DEP_3)
	v_add_f64 v[43:44], v[49:50], v[43:44]
	v_add_f64 v[49:50], v[49:50], -v[47:48]
	v_add_f64 v[9:10], v[9:10], -v[47:48]
	s_delay_alu instid0(VALU_DEP_4) | instskip(NEXT) | instid1(VALU_DEP_4)
	v_fma_f64 v[39:40], v[41:42], v[39:40], s[84:85]
	v_add_f64 v[53:54], v[51:52], v[43:44]
	s_delay_alu instid0(VALU_DEP_2) | instskip(SKIP_1) | instid1(VALU_DEP_3)
	v_mul_f64 v[39:40], v[41:42], v[39:40]
	v_add_f64 v[41:42], v[45:46], -v[49:50]
	v_add_f64 v[45:46], v[53:54], -v[51:52]
	s_delay_alu instid0(VALU_DEP_3) | instskip(NEXT) | instid1(VALU_DEP_3)
	v_fma_f64 v[35:36], v[35:36], v[39:40], v[35:36]
	v_add_f64 v[9:10], v[9:10], v[41:42]
	s_delay_alu instid0(VALU_DEP_3) | instskip(NEXT) | instid1(VALU_DEP_3)
	v_add_f64 v[39:40], v[43:44], -v[45:46]
	v_add_f64 v[41:42], -v[35:36], s[86:87]
	s_delay_alu instid0(VALU_DEP_2) | instskip(NEXT) | instid1(VALU_DEP_2)
	v_add_f64 v[9:10], v[9:10], v[39:40]
	v_cndmask_b32_e64 v36, v36, v42, s4
	s_delay_alu instid0(VALU_DEP_3) | instskip(NEXT) | instid1(VALU_DEP_1)
	v_cndmask_b32_e64 v35, v35, v41, s4
                                        ; implicit-def: $vgpr41_vgpr42
	v_add_f64 v[39:40], -v[35:36], s[14:15]
	v_and_b32_e32 v15, 0x54442d18, v7
	v_and_b32_e32 v7, 0x400921fb, v7
	v_add_f64 v[9:10], v[53:54], v[9:10]
	s_delay_alu instid0(VALU_DEP_4) | instskip(NEXT) | instid1(VALU_DEP_2)
	v_cndmask_b32_e32 v18, v35, v39, vcc_lo
	v_mul_f64 v[1:2], v[9:10], 0.5
	v_cndmask_b32_e32 v10, v36, v40, vcc_lo
	v_cndmask_b32_e32 v9, 0x3fe921fb, v60, vcc_lo
	s_delay_alu instid0(VALU_DEP_4) | instskip(SKIP_1) | instid1(VALU_DEP_3)
	v_cndmask_b32_e64 v15, v18, v15, s5
	s_and_b32 vcc_lo, s8, s9
                                        ; implicit-def: $vgpr39_vgpr40
	v_cndmask_b32_e64 v7, v10, v7, s5
	s_delay_alu instid0(VALU_DEP_3) | instskip(NEXT) | instid1(VALU_DEP_3)
	v_bfi_b32 v9, 0x7fffffff, v9, v4
	v_cndmask_b32_e32 v35, v15, v11, vcc_lo
	s_delay_alu instid0(VALU_DEP_2)
	v_cndmask_b32_e32 v36, v7, v9, vcc_lo
	v_cndmask_b32_e64 v10, 0xfff00000, v2, s6
	v_cndmask_b32_e64 v9, 0, v1, s6
.LBB180_269:                            ;   in Loop: Header=BB180_145 Depth=1
	s_and_not1_saveexec_b32 s90, s7
	s_cbranch_execz .LBB180_273
; %bb.270:                              ;   in Loop: Header=BB180_145 Depth=1
	v_dual_mov_b32 v35, v17 :: v_dual_and_b32 v18, 0x7ffffff8, v42
	v_and_b32_e32 v36, 0x7ffffff8, v40
	s_mov_b32 s91, 0
	s_delay_alu instid0(VALU_DEP_2) | instskip(SKIP_1) | instid1(VALU_DEP_3)
	v_add_f64 v[9:10], v[41:42], -v[17:18]
	v_mov_b32_e32 v41, v17
	v_add_f64 v[37:38], v[39:40], -v[35:36]
	v_mov_b32_e32 v43, v17
	v_add_f64 v[45:46], v[17:18], v[17:18]
	v_add_f64 v[53:54], v[35:36], v[35:36]
	v_mul_f64 v[39:40], v[35:36], v[35:36]
	v_and_b32_e32 v42, -8, v10
	v_and_b32_e32 v44, -8, v38
	s_delay_alu instid0(VALU_DEP_2) | instskip(SKIP_1) | instid1(VALU_DEP_3)
	v_add_f64 v[55:56], v[9:10], -v[41:42]
	v_add_f64 v[61:62], v[41:42], v[41:42]
	v_add_f64 v[57:58], v[37:38], -v[43:44]
	v_add_f64 v[63:64], v[43:44], v[43:44]
	v_mul_f64 v[9:10], v[17:18], v[17:18]
	v_mul_f64 v[51:52], v[45:46], v[41:42]
	;; [unrolled: 1-line block ×11, first 2 shown]
.LBB180_271:                            ;   Parent Loop BB180_145 Depth=1
                                        ; =>  This Inner Loop Header: Depth=2
	v_cmp_nlt_f64_e32 vcc_lo, v[9:10], v[39:40]
	v_dual_cndmask_b32 v58, v10, v40 :: v_dual_cndmask_b32 v57, v9, v39
	v_dual_cndmask_b32 v10, v40, v10 :: v_dual_cndmask_b32 v9, v39, v9
	s_delay_alu instid0(VALU_DEP_2) | instskip(NEXT) | instid1(VALU_DEP_1)
	v_cmp_nlt_f64_e64 s5, v[57:58], v[51:52]
	v_cndmask_b32_e64 v62, v58, v52, s5
	v_cndmask_b32_e64 v61, v57, v51, s5
	;; [unrolled: 1-line block ×4, first 2 shown]
	s_and_b32 s5, vcc_lo, s5
	s_delay_alu instid0(VALU_DEP_3) | instskip(NEXT) | instid1(VALU_DEP_1)
	v_cmp_nlt_f64_e64 s6, v[61:62], v[37:38]
	v_cndmask_b32_e64 v58, v62, v38, s6
	v_cndmask_b32_e64 v57, v61, v37, s6
	;; [unrolled: 1-line block ×4, first 2 shown]
	s_delay_alu instid0(VALU_DEP_3) | instskip(NEXT) | instid1(VALU_DEP_1)
	v_cmp_nlt_f64_e64 s7, v[57:58], v[49:50]
	v_cndmask_b32_e64 v62, v58, v50, s7
	v_cndmask_b32_e64 v61, v57, v49, s7
	;; [unrolled: 1-line block ×4, first 2 shown]
	s_and_b32 s6, s6, s7
	s_delay_alu instid0(VALU_DEP_3) | instskip(NEXT) | instid1(VALU_DEP_1)
	v_cmp_nlt_f64_e64 s8, v[61:62], v[35:36]
	v_cndmask_b32_e64 v58, v62, v36, s8
	v_cndmask_b32_e64 v57, v61, v35, s8
	;; [unrolled: 1-line block ×4, first 2 shown]
	s_delay_alu instid0(VALU_DEP_3) | instskip(NEXT) | instid1(VALU_DEP_1)
	v_cmp_nlt_f64_e64 s9, v[57:58], v[47:48]
	v_cndmask_b32_e64 v62, v58, v48, s9
	v_cndmask_b32_e64 v61, v57, v47, s9
	v_cndmask_b32_e64 v36, v48, v58, s9
	v_cndmask_b32_e64 v35, v47, v57, s9
	s_and_b32 s7, s8, s9
	s_delay_alu instid0(VALU_DEP_3) | instskip(NEXT) | instid1(VALU_DEP_1)
	v_cmp_nlt_f64_e64 s10, v[61:62], v[45:46]
	v_cndmask_b32_e64 v58, v62, v46, s10
	v_cndmask_b32_e64 v57, v61, v45, s10
	v_cndmask_b32_e64 v48, v46, v62, s10
	v_cndmask_b32_e64 v47, v45, v61, s10
	s_and_b32 s7, s7, s10
	;; [unrolled: 7-line block ×4, first 2 shown]
	s_delay_alu instid0(VALU_DEP_3) | instskip(NEXT) | instid1(VALU_DEP_1)
	v_cmp_nlt_f64_e64 s13, v[57:58], v[53:54]
	v_cndmask_b32_e64 v62, v58, v54, s13
	v_cndmask_b32_e64 v61, v57, v53, s13
	s_and_b32 s7, s7, s13
	v_cndmask_b32_e64 v42, v54, v58, s13
	v_cndmask_b32_e64 v41, v53, v57, s13
	s_delay_alu instid0(VALU_DEP_3) | instskip(NEXT) | instid1(VALU_DEP_1)
	v_cmp_nlt_f64_e64 s14, v[61:62], v[55:56]
	v_cndmask_b32_e64 v58, v62, v56, s14
	v_cndmask_b32_e64 v57, v61, v55, s14
	s_and_b32 s7, s7, s14
	v_cndmask_b32_e64 v54, v56, v62, s14
	s_and_b32 s6, s7, s6
	;; [unrolled: 2-line block ×3, first 2 shown]
	v_dual_mov_b32 v55, v57 :: v_dual_mov_b32 v56, v58
	s_and_b32 s5, exec_lo, s5
	s_delay_alu instid0(SALU_CYCLE_1) | instskip(NEXT) | instid1(SALU_CYCLE_1)
	s_or_b32 s91, s5, s91
	s_and_not1_b32 exec_lo, exec_lo, s91
	s_cbranch_execnz .LBB180_271
; %bb.272:                              ;   in Loop: Header=BB180_145 Depth=1
	s_or_b32 exec_lo, exec_lo, s91
	v_add_f64 v[9:10], v[9:10], -1.0
	s_mov_b32 s99, s25
	s_mov_b32 s14, s86
	v_cmp_gt_i32_e64 s5, 0, v2
	v_cmp_class_f64_e64 s7, v[1:2], 0x204
	v_cmp_class_f64_e64 s6, v[3:4], 0x204
	s_mov_b32 s12, 0x4ad4b81f
	s_mov_b32 s13, 0x358dee7a
	v_cndmask_b32_e64 v15, 0x54442d18, v59, s5
	v_add_f64 v[9:10], v[9:10], v[39:40]
	s_delay_alu instid0(VALU_DEP_1) | instskip(NEXT) | instid1(VALU_DEP_1)
	v_add_f64 v[9:10], v[9:10], v[51:52]
	v_add_f64 v[9:10], v[9:10], v[37:38]
	s_delay_alu instid0(VALU_DEP_1) | instskip(NEXT) | instid1(VALU_DEP_1)
	v_add_f64 v[9:10], v[9:10], v[49:50]
	;; [unrolled: 3-line block ×5, first 2 shown]
	v_add_f64 v[10:11], v[57:58], v[9:10]
	s_delay_alu instid0(VALU_DEP_1) | instskip(NEXT) | instid1(VALU_DEP_1)
	v_add_f64 v[35:36], v[10:11], 1.0
	v_frexp_mant_f64_e32 v[37:38], v[35:36]
	v_frexp_exp_i32_f64_e32 v7, v[35:36]
	v_add_f64 v[39:40], v[35:36], -1.0
	s_delay_alu instid0(VALU_DEP_3) | instskip(NEXT) | instid1(VALU_DEP_2)
	v_cmp_gt_f64_e32 vcc_lo, s[24:25], v[37:38]
	v_add_f64 v[37:38], v[39:40], -v[35:36]
	v_add_f64 v[39:40], v[10:11], -v[39:40]
	v_subrev_co_ci_u32_e32 v7, vcc_lo, 0, v7, vcc_lo
	s_delay_alu instid0(VALU_DEP_3) | instskip(NEXT) | instid1(VALU_DEP_2)
	v_add_f64 v[37:38], v[37:38], 1.0
	v_sub_nc_u32_e32 v9, 0, v7
	s_delay_alu instid0(VALU_DEP_1) | instskip(NEXT) | instid1(VALU_DEP_3)
	v_ldexp_f64 v[35:36], v[35:36], v9
	v_add_f64 v[37:38], v[39:40], v[37:38]
	s_delay_alu instid0(VALU_DEP_2) | instskip(SKIP_1) | instid1(VALU_DEP_3)
	v_add_f64 v[41:42], v[35:36], 1.0
	v_add_f64 v[47:48], v[35:36], -1.0
	v_ldexp_f64 v[37:38], v[37:38], v9
	s_delay_alu instid0(VALU_DEP_3) | instskip(NEXT) | instid1(VALU_DEP_3)
	v_add_f64 v[39:40], v[41:42], -1.0
	v_add_f64 v[49:50], v[47:48], 1.0
	s_delay_alu instid0(VALU_DEP_2) | instskip(NEXT) | instid1(VALU_DEP_2)
	v_add_f64 v[39:40], v[35:36], -v[39:40]
	v_add_f64 v[35:36], v[35:36], -v[49:50]
	s_delay_alu instid0(VALU_DEP_2) | instskip(NEXT) | instid1(VALU_DEP_2)
	v_add_f64 v[39:40], v[37:38], v[39:40]
	v_add_f64 v[35:36], v[37:38], v[35:36]
	s_delay_alu instid0(VALU_DEP_2) | instskip(NEXT) | instid1(VALU_DEP_2)
	v_add_f64 v[43:44], v[41:42], v[39:40]
	v_add_f64 v[49:50], v[47:48], v[35:36]
	s_delay_alu instid0(VALU_DEP_2) | instskip(SKIP_1) | instid1(VALU_DEP_2)
	v_rcp_f64_e32 v[45:46], v[43:44]
	v_add_f64 v[41:42], v[43:44], -v[41:42]
	v_add_f64 v[47:48], v[49:50], -v[47:48]
	s_delay_alu instid0(VALU_DEP_2) | instskip(SKIP_3) | instid1(VALU_DEP_2)
	v_add_f64 v[39:40], v[39:40], -v[41:42]
	s_waitcnt_depctr 0xfff
	v_fma_f64 v[51:52], -v[43:44], v[45:46], 1.0
	v_add_f64 v[35:36], v[35:36], -v[47:48]
	v_fma_f64 v[45:46], v[51:52], v[45:46], v[45:46]
	s_delay_alu instid0(VALU_DEP_1) | instskip(NEXT) | instid1(VALU_DEP_1)
	v_fma_f64 v[37:38], -v[43:44], v[45:46], 1.0
	v_fma_f64 v[37:38], v[37:38], v[45:46], v[45:46]
	s_delay_alu instid0(VALU_DEP_1) | instskip(NEXT) | instid1(VALU_DEP_1)
	v_mul_f64 v[45:46], v[49:50], v[37:38]
	v_mul_f64 v[51:52], v[43:44], v[45:46]
	s_delay_alu instid0(VALU_DEP_1) | instskip(NEXT) | instid1(VALU_DEP_1)
	v_fma_f64 v[41:42], v[45:46], v[43:44], -v[51:52]
	v_fma_f64 v[41:42], v[45:46], v[39:40], v[41:42]
	s_delay_alu instid0(VALU_DEP_1) | instskip(NEXT) | instid1(VALU_DEP_1)
	v_add_f64 v[53:54], v[51:52], v[41:42]
	v_add_f64 v[55:56], v[49:50], -v[53:54]
	v_add_f64 v[47:48], v[53:54], -v[51:52]
	v_max_f64 v[51:52], |v[3:4]|, |v[3:4]|
	s_delay_alu instid0(VALU_DEP_3) | instskip(NEXT) | instid1(VALU_DEP_3)
	v_add_f64 v[49:50], v[49:50], -v[55:56]
	v_add_f64 v[41:42], v[47:48], -v[41:42]
	s_delay_alu instid0(VALU_DEP_2) | instskip(SKIP_2) | instid1(VALU_DEP_1)
	v_add_f64 v[49:50], v[49:50], -v[53:54]
	v_max_f64 v[53:54], |v[1:2]|, |v[1:2]|
	v_cndmask_b32_e64 v1, 0x3fe921fb, v60, s5
	v_bfi_b32 v1, 0x7fffffff, v1, v4
	s_delay_alu instid0(VALU_DEP_4) | instskip(NEXT) | instid1(VALU_DEP_4)
	v_add_f64 v[35:36], v[35:36], v[49:50]
	v_max_f64 v[57:58], v[53:54], v[51:52]
	v_min_f64 v[51:52], v[53:54], v[51:52]
	s_delay_alu instid0(VALU_DEP_3) | instskip(NEXT) | instid1(VALU_DEP_1)
	v_add_f64 v[35:36], v[41:42], v[35:36]
	v_add_f64 v[41:42], v[55:56], v[35:36]
	s_delay_alu instid0(VALU_DEP_1) | instskip(SKIP_1) | instid1(VALU_DEP_2)
	v_mul_f64 v[47:48], v[37:38], v[41:42]
	v_add_f64 v[55:56], v[55:56], -v[41:42]
	v_mul_f64 v[49:50], v[43:44], v[47:48]
	s_delay_alu instid0(VALU_DEP_2) | instskip(NEXT) | instid1(VALU_DEP_2)
	v_add_f64 v[35:36], v[35:36], v[55:56]
	v_fma_f64 v[43:44], v[47:48], v[43:44], -v[49:50]
	s_delay_alu instid0(VALU_DEP_1) | instskip(SKIP_1) | instid1(VALU_DEP_2)
	v_fma_f64 v[39:40], v[47:48], v[39:40], v[43:44]
	v_div_scale_f64 v[43:44], null, v[57:58], v[57:58], v[51:52]
	v_add_f64 v[53:54], v[49:50], v[39:40]
	s_delay_alu instid0(VALU_DEP_2) | instskip(NEXT) | instid1(VALU_DEP_1)
	v_rcp_f64_e32 v[61:62], v[43:44]
	v_add_f64 v[63:64], v[41:42], -v[53:54]
	v_add_f64 v[49:50], v[53:54], -v[49:50]
	s_waitcnt_depctr 0xfff
	v_fma_f64 v[65:66], -v[43:44], v[61:62], 1.0
	v_add_f64 v[41:42], v[41:42], -v[63:64]
	v_add_f64 v[39:40], v[49:50], -v[39:40]
	s_delay_alu instid0(VALU_DEP_3) | instskip(NEXT) | instid1(VALU_DEP_3)
	v_fma_f64 v[61:62], v[61:62], v[65:66], v[61:62]
	v_add_f64 v[41:42], v[41:42], -v[53:54]
	s_delay_alu instid0(VALU_DEP_2) | instskip(NEXT) | instid1(VALU_DEP_2)
	v_fma_f64 v[53:54], -v[43:44], v[61:62], 1.0
	v_add_f64 v[35:36], v[35:36], v[41:42]
	v_div_scale_f64 v[41:42], vcc_lo, v[51:52], v[57:58], v[51:52]
	s_delay_alu instid0(VALU_DEP_3) | instskip(SKIP_1) | instid1(VALU_DEP_4)
	v_fma_f64 v[49:50], v[61:62], v[53:54], v[61:62]
	v_add_f64 v[53:54], v[45:46], v[47:48]
	v_add_f64 v[35:36], v[39:40], v[35:36]
	s_delay_alu instid0(VALU_DEP_3) | instskip(NEXT) | instid1(VALU_DEP_3)
	v_mul_f64 v[39:40], v[41:42], v[49:50]
	v_add_f64 v[45:46], v[53:54], -v[45:46]
	s_delay_alu instid0(VALU_DEP_3) | instskip(NEXT) | instid1(VALU_DEP_3)
	v_add_f64 v[35:36], v[63:64], v[35:36]
	v_fma_f64 v[41:42], -v[43:44], v[39:40], v[41:42]
	s_delay_alu instid0(VALU_DEP_3) | instskip(NEXT) | instid1(VALU_DEP_3)
	v_add_f64 v[43:44], v[47:48], -v[45:46]
	v_mul_f64 v[35:36], v[37:38], v[35:36]
	s_delay_alu instid0(VALU_DEP_3) | instskip(SKIP_1) | instid1(VALU_DEP_3)
	v_div_fmas_f64 v[37:38], v[41:42], v[49:50], v[39:40]
	v_cmp_eq_f64_e32 vcc_lo, 0x7ff00000, v[10:11]
	v_add_f64 v[35:36], v[43:44], v[35:36]
	s_delay_alu instid0(VALU_DEP_3) | instskip(NEXT) | instid1(VALU_DEP_2)
	v_div_fixup_f64 v[37:38], v[37:38], v[57:58], v[51:52]
	v_add_f64 v[39:40], v[53:54], v[35:36]
	s_delay_alu instid0(VALU_DEP_2) | instskip(NEXT) | instid1(VALU_DEP_2)
	v_mul_f64 v[41:42], v[37:38], v[37:38]
	v_mul_f64 v[43:44], v[39:40], v[39:40]
	s_delay_alu instid0(VALU_DEP_2) | instskip(NEXT) | instid1(VALU_DEP_2)
	v_fma_f64 v[45:46], v[41:42], s[48:49], s[46:47]
	v_fma_f64 v[47:48], v[43:44], s[28:29], s[26:27]
	v_mul_f64 v[49:50], v[39:40], v[43:44]
	s_delay_alu instid0(VALU_DEP_3) | instskip(NEXT) | instid1(VALU_DEP_3)
	v_fma_f64 v[45:46], v[41:42], v[45:46], s[50:51]
	v_fma_f64 v[47:48], v[43:44], v[47:48], s[34:35]
	s_delay_alu instid0(VALU_DEP_2) | instskip(NEXT) | instid1(VALU_DEP_2)
	v_fma_f64 v[45:46], v[41:42], v[45:46], s[52:53]
	v_fma_f64 v[47:48], v[43:44], v[47:48], s[36:37]
	s_delay_alu instid0(VALU_DEP_2) | instskip(NEXT) | instid1(VALU_DEP_2)
	;; [unrolled: 3-line block ×4, first 2 shown]
	v_fma_f64 v[45:46], v[41:42], v[45:46], s[58:59]
	v_fma_f64 v[43:44], v[43:44], v[47:48], s[98:99]
	v_ldexp_f64 v[47:48], v[39:40], 1
	v_add_f64 v[39:40], v[39:40], -v[53:54]
	s_delay_alu instid0(VALU_DEP_4) | instskip(NEXT) | instid1(VALU_DEP_4)
	v_fma_f64 v[45:46], v[41:42], v[45:46], s[60:61]
	v_mul_f64 v[43:44], v[49:50], v[43:44]
	v_cvt_f64_i32_e32 v[49:50], v7
	s_delay_alu instid0(VALU_DEP_4) | instskip(NEXT) | instid1(VALU_DEP_4)
	v_add_f64 v[35:36], v[35:36], -v[39:40]
	v_fma_f64 v[45:46], v[41:42], v[45:46], s[62:63]
	v_ashrrev_i32_e32 v7, 31, v2
	s_delay_alu instid0(VALU_DEP_1) | instskip(SKIP_4) | instid1(VALU_DEP_4)
	v_and_b32_e32 v2, 0x400921fb, v7
	v_add_f64 v[51:52], v[47:48], v[43:44]
	v_mul_f64 v[53:54], v[49:50], s[42:43]
	v_ldexp_f64 v[35:36], v[35:36], 1
	v_fma_f64 v[45:46], v[41:42], v[45:46], s[64:65]
	v_add_f64 v[39:40], v[51:52], -v[47:48]
	s_delay_alu instid0(VALU_DEP_4) | instskip(NEXT) | instid1(VALU_DEP_3)
	v_fma_f64 v[47:48], v[49:50], s[42:43], -v[53:54]
	v_fma_f64 v[45:46], v[41:42], v[45:46], s[66:67]
	s_delay_alu instid0(VALU_DEP_3) | instskip(NEXT) | instid1(VALU_DEP_2)
	v_add_f64 v[39:40], v[43:44], -v[39:40]
	v_fma_f64 v[43:44], v[41:42], v[45:46], s[68:69]
	s_delay_alu instid0(VALU_DEP_4) | instskip(NEXT) | instid1(VALU_DEP_3)
	v_fma_f64 v[45:46], v[49:50], s[44:45], v[47:48]
	v_add_f64 v[35:36], v[35:36], v[39:40]
	s_delay_alu instid0(VALU_DEP_3) | instskip(NEXT) | instid1(VALU_DEP_3)
	v_fma_f64 v[39:40], v[41:42], v[43:44], s[70:71]
	v_add_f64 v[43:44], v[53:54], v[45:46]
	s_delay_alu instid0(VALU_DEP_3) | instskip(NEXT) | instid1(VALU_DEP_3)
	v_add_f64 v[47:48], v[51:52], v[35:36]
	v_fma_f64 v[39:40], v[41:42], v[39:40], s[72:73]
	s_delay_alu instid0(VALU_DEP_3) | instskip(NEXT) | instid1(VALU_DEP_3)
	v_add_f64 v[53:54], v[43:44], -v[53:54]
	v_add_f64 v[49:50], v[43:44], v[47:48]
	v_add_f64 v[51:52], v[47:48], -v[51:52]
	s_delay_alu instid0(VALU_DEP_4) | instskip(NEXT) | instid1(VALU_DEP_4)
	v_fma_f64 v[39:40], v[41:42], v[39:40], s[74:75]
	v_add_f64 v[45:46], v[45:46], -v[53:54]
	s_delay_alu instid0(VALU_DEP_4) | instskip(NEXT) | instid1(VALU_DEP_4)
	v_add_f64 v[55:56], v[49:50], -v[43:44]
	v_add_f64 v[35:36], v[35:36], -v[51:52]
	s_delay_alu instid0(VALU_DEP_4) | instskip(NEXT) | instid1(VALU_DEP_3)
	v_fma_f64 v[39:40], v[41:42], v[39:40], s[76:77]
	v_add_f64 v[57:58], v[49:50], -v[55:56]
	v_add_f64 v[47:48], v[47:48], -v[55:56]
	s_delay_alu instid0(VALU_DEP_4) | instskip(NEXT) | instid1(VALU_DEP_4)
	v_add_f64 v[51:52], v[45:46], v[35:36]
	v_fma_f64 v[39:40], v[41:42], v[39:40], s[78:79]
	s_delay_alu instid0(VALU_DEP_4) | instskip(NEXT) | instid1(VALU_DEP_2)
	v_add_f64 v[43:44], v[43:44], -v[57:58]
	v_fma_f64 v[39:40], v[41:42], v[39:40], s[80:81]
	s_delay_alu instid0(VALU_DEP_2) | instskip(SKIP_1) | instid1(VALU_DEP_3)
	v_add_f64 v[43:44], v[47:48], v[43:44]
	v_add_f64 v[47:48], v[51:52], -v[45:46]
	v_fma_f64 v[39:40], v[41:42], v[39:40], s[82:83]
	s_delay_alu instid0(VALU_DEP_3) | instskip(NEXT) | instid1(VALU_DEP_3)
	v_add_f64 v[43:44], v[51:52], v[43:44]
	v_add_f64 v[51:52], v[51:52], -v[47:48]
	v_add_f64 v[35:36], v[35:36], -v[47:48]
	s_delay_alu instid0(VALU_DEP_4) | instskip(NEXT) | instid1(VALU_DEP_4)
	v_fma_f64 v[39:40], v[41:42], v[39:40], s[84:85]
	v_add_f64 v[53:54], v[49:50], v[43:44]
	s_delay_alu instid0(VALU_DEP_2) | instskip(SKIP_1) | instid1(VALU_DEP_3)
	v_mul_f64 v[39:40], v[41:42], v[39:40]
	v_add_f64 v[41:42], v[45:46], -v[51:52]
	v_add_f64 v[45:46], v[53:54], -v[49:50]
	s_delay_alu instid0(VALU_DEP_3) | instskip(NEXT) | instid1(VALU_DEP_3)
	v_fma_f64 v[37:38], v[37:38], v[39:40], v[37:38]
	v_add_f64 v[35:36], v[35:36], v[41:42]
	s_delay_alu instid0(VALU_DEP_3) | instskip(NEXT) | instid1(VALU_DEP_3)
	v_add_f64 v[39:40], v[43:44], -v[45:46]
	v_add_f64 v[41:42], -v[37:38], s[86:87]
	s_delay_alu instid0(VALU_DEP_2) | instskip(NEXT) | instid1(VALU_DEP_2)
	v_add_f64 v[35:36], v[35:36], v[39:40]
	v_cndmask_b32_e64 v38, v38, v42, s4
	s_delay_alu instid0(VALU_DEP_3) | instskip(NEXT) | instid1(VALU_DEP_1)
	v_cndmask_b32_e64 v37, v37, v41, s4
	v_add_f64 v[39:40], -v[37:38], s[14:15]
	s_delay_alu instid0(VALU_DEP_4) | instskip(NEXT) | instid1(VALU_DEP_2)
	v_add_f64 v[35:36], v[53:54], v[35:36]
	v_cndmask_b32_e64 v18, v37, v39, s5
	s_delay_alu instid0(VALU_DEP_2)
	v_dual_cndmask_b32 v36, v36, v11 :: v_dual_cndmask_b32 v35, v35, v10
	v_cmp_eq_f64_e32 vcc_lo, 0, v[3:4]
	v_and_b32_e32 v9, 0x54442d18, v7
	v_cndmask_b32_e64 v7, v38, v40, s5
	v_cmp_nge_f64_e64 s5, -1.0, v[10:11]
	v_mul_f64 v[35:36], v[35:36], 0.5
	s_delay_alu instid0(VALU_DEP_3) | instskip(SKIP_2) | instid1(VALU_DEP_4)
	v_cndmask_b32_e32 v2, v7, v2, vcc_lo
	v_cndmask_b32_e32 v18, v18, v9, vcc_lo
	v_cmp_ngt_f64_e32 vcc_lo, -1.0, v[10:11]
	v_cndmask_b32_e64 v9, 0, v35, s5
	v_cmp_neq_f64_e64 s5, -1.0, v[10:11]
	v_cndmask_b32_e32 v7, 0x7ff80000, v36, vcc_lo
	s_and_b32 vcc_lo, s6, s7
	v_cndmask_b32_e32 v36, v2, v1, vcc_lo
	v_cndmask_b32_e32 v35, v18, v15, vcc_lo
	s_delay_alu instid0(VALU_DEP_3)
	v_cndmask_b32_e64 v10, 0xfff00000, v7, s5
.LBB180_273:                            ;   in Loop: Header=BB180_145 Depth=1
	s_or_b32 exec_lo, exec_lo, s90
.LBB180_274:                            ;   in Loop: Header=BB180_145 Depth=1
	s_delay_alu instid0(SALU_CYCLE_1)
	s_or_b32 exec_lo, exec_lo, s23
.LBB180_275:                            ;   in Loop: Header=BB180_145 Depth=1
	s_and_not1_saveexec_b32 s7, s22
	s_cbranch_execz .LBB180_277
; %bb.276:                              ;   in Loop: Header=BB180_145 Depth=1
	v_max_f64 v[9:10], |v[3:4]|, |v[3:4]|
	v_max_f64 v[35:36], |v[1:2]|, |v[1:2]|
	v_cmp_class_f64_e64 s8, v[1:2], 0x204
	v_cmp_class_f64_e64 s9, v[3:4], 0x204
	s_mov_b32 s99, s25
	s_mov_b32 s14, s86
	v_cmp_eq_f64_e64 s6, 0, v[3:4]
	s_delay_alu instid0(VALU_DEP_4) | instskip(SKIP_1) | instid1(VALU_DEP_4)
	v_max_f64 v[37:38], v[35:36], v[9:10]
	v_min_f64 v[9:10], v[35:36], v[9:10]
	s_or_b32 s10, s9, s8
	s_delay_alu instid0(VALU_DEP_2) | instskip(NEXT) | instid1(VALU_DEP_1)
	v_frexp_exp_i32_f64_e32 v7, v[37:38]
	v_sub_nc_u32_e32 v11, 0, v7
	s_delay_alu instid0(VALU_DEP_1) | instskip(SKIP_1) | instid1(VALU_DEP_2)
	v_ldexp_f64 v[39:40], |v[3:4]|, v11
	v_ldexp_f64 v[41:42], |v[1:2]|, v11
	v_mul_f64 v[39:40], v[39:40], v[39:40]
	s_delay_alu instid0(VALU_DEP_1) | instskip(NEXT) | instid1(VALU_DEP_1)
	v_fma_f64 v[39:40], v[41:42], v[41:42], v[39:40]
	v_rsq_f64_e32 v[41:42], v[39:40]
	v_cmp_eq_f64_e32 vcc_lo, 0, v[39:40]
	s_waitcnt_depctr 0xfff
	v_mul_f64 v[43:44], v[39:40], v[41:42]
	v_mul_f64 v[41:42], v[41:42], 0.5
	s_delay_alu instid0(VALU_DEP_1) | instskip(NEXT) | instid1(VALU_DEP_1)
	v_fma_f64 v[45:46], -v[41:42], v[43:44], 0.5
	v_fma_f64 v[43:44], v[43:44], v[45:46], v[43:44]
	v_fma_f64 v[41:42], v[41:42], v[45:46], v[41:42]
	s_delay_alu instid0(VALU_DEP_2) | instskip(NEXT) | instid1(VALU_DEP_1)
	v_fma_f64 v[45:46], -v[43:44], v[43:44], v[39:40]
	v_fma_f64 v[41:42], v[45:46], v[41:42], v[43:44]
	s_delay_alu instid0(VALU_DEP_1) | instskip(SKIP_1) | instid1(VALU_DEP_2)
	v_dual_cndmask_b32 v40, v42, v40 :: v_dual_cndmask_b32 v39, v41, v39
	v_div_scale_f64 v[63:64], vcc_lo, v[9:10], v[37:38], v[9:10]
	v_ldexp_f64 v[39:40], v[39:40], v7
	s_delay_alu instid0(VALU_DEP_1) | instskip(NEXT) | instid1(VALU_DEP_2)
	v_cndmask_b32_e64 v42, v40, 0x7ff00000, s10
	v_cndmask_b32_e64 v41, v39, 0, s10
	s_delay_alu instid0(VALU_DEP_1) | instskip(SKIP_1) | instid1(VALU_DEP_2)
	v_frexp_mant_f64_e32 v[43:44], v[41:42]
	v_frexp_exp_i32_f64_e32 v1, v[41:42]
	v_cmp_gt_f64_e64 s5, s[24:25], v[43:44]
	s_delay_alu instid0(VALU_DEP_1) | instskip(NEXT) | instid1(VALU_DEP_1)
	v_cndmask_b32_e64 v18, 0x3ff00000, 2.0, s5
	v_mul_f64 v[43:44], v[43:44], v[17:18]
	s_delay_alu instid0(VALU_DEP_1) | instskip(SKIP_1) | instid1(VALU_DEP_2)
	v_add_f64 v[45:46], v[43:44], 1.0
	v_add_f64 v[51:52], v[43:44], -1.0
	v_rcp_f64_e32 v[47:48], v[45:46]
	v_add_f64 v[53:54], v[45:46], -1.0
	s_delay_alu instid0(VALU_DEP_1) | instskip(SKIP_2) | instid1(VALU_DEP_1)
	v_add_f64 v[43:44], v[43:44], -v[53:54]
	s_waitcnt_depctr 0xfff
	v_fma_f64 v[49:50], -v[45:46], v[47:48], 1.0
	v_fma_f64 v[47:48], v[49:50], v[47:48], v[47:48]
	s_delay_alu instid0(VALU_DEP_1) | instskip(NEXT) | instid1(VALU_DEP_1)
	v_fma_f64 v[49:50], -v[45:46], v[47:48], 1.0
	v_fma_f64 v[47:48], v[49:50], v[47:48], v[47:48]
	v_div_scale_f64 v[49:50], null, v[37:38], v[37:38], v[9:10]
	s_delay_alu instid0(VALU_DEP_2) | instskip(NEXT) | instid1(VALU_DEP_2)
	v_mul_f64 v[35:36], v[51:52], v[47:48]
	v_rcp_f64_e32 v[57:58], v[49:50]
	s_delay_alu instid0(VALU_DEP_1) | instskip(SKIP_3) | instid1(VALU_DEP_1)
	v_mul_f64 v[55:56], v[45:46], v[35:36]
	s_waitcnt_depctr 0xfff
	v_fma_f64 v[53:54], -v[49:50], v[57:58], 1.0
	v_fma_f64 v[45:46], v[35:36], v[45:46], -v[55:56]
	v_fma_f64 v[43:44], v[35:36], v[43:44], v[45:46]
	s_delay_alu instid0(VALU_DEP_3) | instskip(NEXT) | instid1(VALU_DEP_2)
	v_fma_f64 v[45:46], v[57:58], v[53:54], v[57:58]
	v_add_f64 v[53:54], v[55:56], v[43:44]
	s_delay_alu instid0(VALU_DEP_2) | instskip(NEXT) | instid1(VALU_DEP_2)
	v_fma_f64 v[57:58], -v[49:50], v[45:46], 1.0
	v_add_f64 v[61:62], v[51:52], -v[53:54]
	s_delay_alu instid0(VALU_DEP_2) | instskip(SKIP_1) | instid1(VALU_DEP_3)
	v_fma_f64 v[45:46], v[45:46], v[57:58], v[45:46]
	v_add_f64 v[55:56], v[53:54], -v[55:56]
	v_add_f64 v[51:52], v[51:52], -v[61:62]
	s_delay_alu instid0(VALU_DEP_3) | instskip(NEXT) | instid1(VALU_DEP_3)
	v_mul_f64 v[57:58], v[63:64], v[45:46]
	v_add_f64 v[43:44], v[55:56], -v[43:44]
	s_delay_alu instid0(VALU_DEP_3) | instskip(NEXT) | instid1(VALU_DEP_3)
	v_add_f64 v[51:52], v[51:52], -v[53:54]
	v_fma_f64 v[49:50], -v[49:50], v[57:58], v[63:64]
	s_delay_alu instid0(VALU_DEP_2) | instskip(NEXT) | instid1(VALU_DEP_2)
	v_add_f64 v[43:44], v[43:44], v[51:52]
	v_div_fmas_f64 v[45:46], v[49:50], v[45:46], v[57:58]
	v_subrev_co_ci_u32_e64 v1, vcc_lo, 0, v1, s5
	v_cmp_class_f64_e64 s5, v[39:40], 0x204
	v_cmp_gt_i32_e32 vcc_lo, 0, v2
	v_cndmask_b32_e32 v11, 0x3fe921fb, v60, vcc_lo
	s_delay_alu instid0(VALU_DEP_1) | instskip(SKIP_2) | instid1(VALU_DEP_2)
	v_bfi_b32 v11, 0x7fffffff, v11, v4
	v_add_f64 v[43:44], v[61:62], v[43:44]
	v_div_fixup_f64 v[9:10], v[45:46], v[37:38], v[9:10]
	v_mul_f64 v[37:38], v[47:48], v[43:44]
	s_delay_alu instid0(VALU_DEP_2) | instskip(NEXT) | instid1(VALU_DEP_2)
	v_mul_f64 v[43:44], v[9:10], v[9:10]
	v_add_f64 v[45:46], v[35:36], v[37:38]
	s_delay_alu instid0(VALU_DEP_2) | instskip(NEXT) | instid1(VALU_DEP_2)
	v_fma_f64 v[47:48], v[43:44], s[48:49], s[46:47]
	v_mul_f64 v[49:50], v[45:46], v[45:46]
	s_delay_alu instid0(VALU_DEP_2) | instskip(SKIP_1) | instid1(VALU_DEP_3)
	v_fma_f64 v[47:48], v[43:44], v[47:48], s[50:51]
	v_add_f64 v[35:36], v[45:46], -v[35:36]
	v_fma_f64 v[51:52], v[49:50], s[28:29], s[26:27]
	s_delay_alu instid0(VALU_DEP_3) | instskip(SKIP_1) | instid1(VALU_DEP_4)
	v_fma_f64 v[47:48], v[43:44], v[47:48], s[52:53]
	v_mul_f64 v[53:54], v[45:46], v[49:50]
	v_add_f64 v[35:36], v[37:38], -v[35:36]
	s_delay_alu instid0(VALU_DEP_4) | instskip(NEXT) | instid1(VALU_DEP_4)
	v_fma_f64 v[51:52], v[49:50], v[51:52], s[34:35]
	v_fma_f64 v[47:48], v[43:44], v[47:48], s[54:55]
	s_delay_alu instid0(VALU_DEP_3) | instskip(NEXT) | instid1(VALU_DEP_3)
	v_ldexp_f64 v[35:36], v[35:36], 1
	v_fma_f64 v[51:52], v[49:50], v[51:52], s[36:37]
	s_delay_alu instid0(VALU_DEP_3) | instskip(NEXT) | instid1(VALU_DEP_2)
	v_fma_f64 v[47:48], v[43:44], v[47:48], s[56:57]
	v_fma_f64 v[51:52], v[49:50], v[51:52], s[38:39]
	s_delay_alu instid0(VALU_DEP_2) | instskip(NEXT) | instid1(VALU_DEP_2)
	v_fma_f64 v[47:48], v[43:44], v[47:48], s[58:59]
	v_fma_f64 v[51:52], v[49:50], v[51:52], s[40:41]
	s_delay_alu instid0(VALU_DEP_2) | instskip(NEXT) | instid1(VALU_DEP_2)
	v_fma_f64 v[47:48], v[43:44], v[47:48], s[60:61]
	v_fma_f64 v[49:50], v[49:50], v[51:52], s[98:99]
	s_delay_alu instid0(VALU_DEP_2) | instskip(SKIP_1) | instid1(VALU_DEP_3)
	v_fma_f64 v[47:48], v[43:44], v[47:48], s[62:63]
	v_ldexp_f64 v[51:52], v[45:46], 1
	v_mul_f64 v[49:50], v[53:54], v[49:50]
	s_delay_alu instid0(VALU_DEP_3) | instskip(SKIP_2) | instid1(VALU_DEP_1)
	v_fma_f64 v[47:48], v[43:44], v[47:48], s[64:65]
	v_cvt_f64_i32_e32 v[53:54], v1
	v_ashrrev_i32_e32 v1, 31, v2
	v_dual_cndmask_b32 v2, 0x54442d18, v59 :: v_dual_and_b32 v7, 0x54442d18, v1
	v_and_b32_e32 v1, 0x400921fb, v1
	v_add_f64 v[45:46], v[51:52], v[49:50]
	v_fma_f64 v[47:48], v[43:44], v[47:48], s[66:67]
	v_mul_f64 v[55:56], v[53:54], s[42:43]
	s_delay_alu instid0(VALU_DEP_3) | instskip(NEXT) | instid1(VALU_DEP_3)
	v_add_f64 v[37:38], v[45:46], -v[51:52]
	v_fma_f64 v[47:48], v[43:44], v[47:48], s[68:69]
	s_delay_alu instid0(VALU_DEP_3) | instskip(NEXT) | instid1(VALU_DEP_3)
	v_fma_f64 v[51:52], v[53:54], s[42:43], -v[55:56]
	v_add_f64 v[37:38], v[49:50], -v[37:38]
	s_delay_alu instid0(VALU_DEP_3) | instskip(NEXT) | instid1(VALU_DEP_3)
	v_fma_f64 v[47:48], v[43:44], v[47:48], s[70:71]
	v_fma_f64 v[49:50], v[53:54], s[44:45], v[51:52]
	s_delay_alu instid0(VALU_DEP_3) | instskip(NEXT) | instid1(VALU_DEP_3)
	v_add_f64 v[35:36], v[35:36], v[37:38]
	v_fma_f64 v[37:38], v[43:44], v[47:48], s[72:73]
	s_delay_alu instid0(VALU_DEP_3) | instskip(NEXT) | instid1(VALU_DEP_3)
	v_add_f64 v[47:48], v[55:56], v[49:50]
	v_add_f64 v[51:52], v[45:46], v[35:36]
	s_delay_alu instid0(VALU_DEP_3) | instskip(NEXT) | instid1(VALU_DEP_3)
	v_fma_f64 v[37:38], v[43:44], v[37:38], s[74:75]
	v_add_f64 v[55:56], v[47:48], -v[55:56]
	s_delay_alu instid0(VALU_DEP_3) | instskip(NEXT) | instid1(VALU_DEP_3)
	v_add_f64 v[53:54], v[47:48], v[51:52]
	v_fma_f64 v[37:38], v[43:44], v[37:38], s[76:77]
	v_add_f64 v[45:46], v[51:52], -v[45:46]
	s_delay_alu instid0(VALU_DEP_4) | instskip(NEXT) | instid1(VALU_DEP_4)
	v_add_f64 v[49:50], v[49:50], -v[55:56]
	v_add_f64 v[57:58], v[53:54], -v[47:48]
	s_delay_alu instid0(VALU_DEP_4) | instskip(NEXT) | instid1(VALU_DEP_4)
	v_fma_f64 v[37:38], v[43:44], v[37:38], s[78:79]
	v_add_f64 v[35:36], v[35:36], -v[45:46]
	s_delay_alu instid0(VALU_DEP_3) | instskip(NEXT) | instid1(VALU_DEP_3)
	v_add_f64 v[61:62], v[53:54], -v[57:58]
	v_fma_f64 v[37:38], v[43:44], v[37:38], s[80:81]
	v_add_f64 v[45:46], v[51:52], -v[57:58]
	s_delay_alu instid0(VALU_DEP_4) | instskip(NEXT) | instid1(VALU_DEP_4)
	v_add_f64 v[51:52], v[49:50], v[35:36]
	v_add_f64 v[47:48], v[47:48], -v[61:62]
	s_delay_alu instid0(VALU_DEP_4) | instskip(NEXT) | instid1(VALU_DEP_2)
	v_fma_f64 v[37:38], v[43:44], v[37:38], s[82:83]
	v_add_f64 v[45:46], v[45:46], v[47:48]
	s_delay_alu instid0(VALU_DEP_2) | instskip(SKIP_1) | instid1(VALU_DEP_3)
	v_fma_f64 v[37:38], v[43:44], v[37:38], s[84:85]
	v_add_f64 v[47:48], v[51:52], -v[49:50]
	v_add_f64 v[45:46], v[51:52], v[45:46]
	s_delay_alu instid0(VALU_DEP_3) | instskip(NEXT) | instid1(VALU_DEP_3)
	v_mul_f64 v[37:38], v[43:44], v[37:38]
	v_add_f64 v[43:44], v[51:52], -v[47:48]
	v_add_f64 v[35:36], v[35:36], -v[47:48]
	s_delay_alu instid0(VALU_DEP_4) | instskip(NEXT) | instid1(VALU_DEP_4)
	v_add_f64 v[51:52], v[53:54], v[45:46]
	v_fma_f64 v[9:10], v[9:10], v[37:38], v[9:10]
	s_delay_alu instid0(VALU_DEP_4) | instskip(NEXT) | instid1(VALU_DEP_3)
	v_add_f64 v[37:38], v[49:50], -v[43:44]
	v_add_f64 v[43:44], v[51:52], -v[53:54]
	s_delay_alu instid0(VALU_DEP_3) | instskip(NEXT) | instid1(VALU_DEP_3)
	v_add_f64 v[47:48], -v[9:10], s[86:87]
	v_add_f64 v[35:36], v[35:36], v[37:38]
	s_delay_alu instid0(VALU_DEP_3) | instskip(NEXT) | instid1(VALU_DEP_3)
	v_add_f64 v[37:38], v[45:46], -v[43:44]
	v_cndmask_b32_e64 v10, v10, v48, s4
	s_delay_alu instid0(VALU_DEP_4) | instskip(NEXT) | instid1(VALU_DEP_3)
	v_cndmask_b32_e64 v9, v9, v47, s4
	v_add_f64 v[35:36], v[35:36], v[37:38]
	s_delay_alu instid0(VALU_DEP_2) | instskip(NEXT) | instid1(VALU_DEP_2)
	v_add_f64 v[37:38], -v[9:10], s[14:15]
	v_add_f64 v[35:36], v[51:52], v[35:36]
	s_delay_alu instid0(VALU_DEP_2) | instskip(SKIP_1) | instid1(VALU_DEP_2)
	v_dual_cndmask_b32 v9, v9, v37 :: v_dual_cndmask_b32 v10, v10, v38
	v_cmp_ngt_f64_e32 vcc_lo, 0, v[41:42]
	v_cndmask_b32_e64 v7, v9, v7, s6
	s_delay_alu instid0(VALU_DEP_3) | instskip(SKIP_3) | instid1(VALU_DEP_3)
	v_cndmask_b32_e64 v1, v10, v1, s6
	v_cndmask_b32_e64 v15, v36, v40, s5
	;; [unrolled: 1-line block ×3, first 2 shown]
	v_cmp_nge_f64_e64 s5, 0, v[41:42]
	v_cndmask_b32_e64 v15, v15, 0x7ff00000, s10
	s_delay_alu instid0(VALU_DEP_3) | instskip(NEXT) | instid1(VALU_DEP_2)
	v_cndmask_b32_e64 v9, v18, 0, s10
	v_cndmask_b32_e32 v10, 0x7ff80000, v15, vcc_lo
	s_and_b32 vcc_lo, s9, s8
	v_dual_cndmask_b32 v36, v1, v11 :: v_dual_cndmask_b32 v35, v7, v2
	s_delay_alu instid0(VALU_DEP_3) | instskip(SKIP_1) | instid1(VALU_DEP_1)
	v_cndmask_b32_e64 v9, 0, v9, s5
	v_cmp_neq_f64_e64 s5, 0, v[41:42]
	v_cndmask_b32_e64 v10, 0xfff00000, v10, s5
.LBB180_277:                            ;   in Loop: Header=BB180_145 Depth=1
	s_or_b32 exec_lo, exec_lo, s7
                                        ; implicit-def: $vgpr39_vgpr40
.LBB180_278:                            ;   in Loop: Header=BB180_145 Depth=1
	s_and_not1_saveexec_b32 s7, s21
	s_cbranch_execz .LBB180_284
; %bb.279:                              ;   in Loop: Header=BB180_145 Depth=1
	s_mov_b32 s8, 0x6a3f9475
	s_mov_b32 s9, 0x20ca2fe7
                                        ; implicit-def: $vgpr9_vgpr10
                                        ; implicit-def: $vgpr35_vgpr36
	s_mov_b32 s5, exec_lo
	v_cmpx_ngt_f64_e32 s[8:9], v[39:40]
	s_xor_b32 s8, exec_lo, s5
	s_cbranch_execz .LBB180_281
; %bb.280:                              ;   in Loop: Header=BB180_145 Depth=1
	v_mul_f64 v[9:10], v[39:40], v[39:40]
	s_mov_b32 s99, s25
	s_mov_b32 s14, s86
	v_cmp_eq_f64_e64 s6, 0, v[3:4]
	v_cmp_class_f64_e64 s9, v[3:4], 0x204
	v_cmp_class_f64_e64 s10, v[1:2], 0x204
	v_cmp_gt_i32_e64 s5, 0, v2
	v_add_f64 v[35:36], v[9:10], 1.0
	s_delay_alu instid0(VALU_DEP_1) | instskip(SKIP_2) | instid1(VALU_DEP_3)
	v_frexp_mant_f64_e32 v[37:38], v[35:36]
	v_frexp_exp_i32_f64_e32 v7, v[35:36]
	v_add_f64 v[39:40], v[35:36], -1.0
	v_cmp_gt_f64_e32 vcc_lo, s[24:25], v[37:38]
	s_delay_alu instid0(VALU_DEP_2) | instskip(SKIP_2) | instid1(VALU_DEP_3)
	v_add_f64 v[37:38], v[39:40], -v[35:36]
	v_add_f64 v[39:40], v[9:10], -v[39:40]
	v_subrev_co_ci_u32_e32 v7, vcc_lo, 0, v7, vcc_lo
	v_add_f64 v[37:38], v[37:38], 1.0
	s_delay_alu instid0(VALU_DEP_2) | instskip(NEXT) | instid1(VALU_DEP_1)
	v_sub_nc_u32_e32 v11, 0, v7
	v_ldexp_f64 v[35:36], v[35:36], v11
	s_delay_alu instid0(VALU_DEP_3) | instskip(NEXT) | instid1(VALU_DEP_2)
	v_add_f64 v[37:38], v[39:40], v[37:38]
	v_add_f64 v[41:42], v[35:36], 1.0
	v_add_f64 v[47:48], v[35:36], -1.0
	s_delay_alu instid0(VALU_DEP_3) | instskip(SKIP_1) | instid1(VALU_DEP_4)
	v_ldexp_f64 v[37:38], v[37:38], v11
	v_cndmask_b32_e64 v11, 0x54442d18, v59, s5
	v_add_f64 v[39:40], v[41:42], -1.0
	s_delay_alu instid0(VALU_DEP_4) | instskip(NEXT) | instid1(VALU_DEP_2)
	v_add_f64 v[49:50], v[47:48], 1.0
	v_add_f64 v[39:40], v[35:36], -v[39:40]
	s_delay_alu instid0(VALU_DEP_2) | instskip(NEXT) | instid1(VALU_DEP_2)
	v_add_f64 v[35:36], v[35:36], -v[49:50]
	v_add_f64 v[39:40], v[37:38], v[39:40]
	s_delay_alu instid0(VALU_DEP_2) | instskip(NEXT) | instid1(VALU_DEP_2)
	v_add_f64 v[35:36], v[37:38], v[35:36]
	v_add_f64 v[43:44], v[41:42], v[39:40]
	s_delay_alu instid0(VALU_DEP_2) | instskip(NEXT) | instid1(VALU_DEP_2)
	v_add_f64 v[49:50], v[47:48], v[35:36]
	v_rcp_f64_e32 v[45:46], v[43:44]
	v_add_f64 v[41:42], v[41:42], -v[43:44]
	s_delay_alu instid0(VALU_DEP_2) | instskip(NEXT) | instid1(VALU_DEP_2)
	v_add_f64 v[47:48], v[47:48], -v[49:50]
	v_add_f64 v[39:40], v[39:40], v[41:42]
	s_waitcnt_depctr 0xfff
	v_fma_f64 v[51:52], -v[43:44], v[45:46], 1.0
	v_add_f64 v[35:36], v[35:36], v[47:48]
	s_delay_alu instid0(VALU_DEP_2) | instskip(NEXT) | instid1(VALU_DEP_1)
	v_fma_f64 v[45:46], v[51:52], v[45:46], v[45:46]
	v_fma_f64 v[37:38], -v[43:44], v[45:46], 1.0
	s_delay_alu instid0(VALU_DEP_1) | instskip(NEXT) | instid1(VALU_DEP_1)
	v_fma_f64 v[37:38], v[37:38], v[45:46], v[45:46]
	v_mul_f64 v[45:46], v[49:50], v[37:38]
	s_delay_alu instid0(VALU_DEP_1) | instskip(NEXT) | instid1(VALU_DEP_1)
	v_mul_f64 v[51:52], v[43:44], v[45:46]
	v_fma_f64 v[41:42], v[45:46], v[43:44], -v[51:52]
	s_delay_alu instid0(VALU_DEP_1) | instskip(NEXT) | instid1(VALU_DEP_1)
	v_fma_f64 v[41:42], v[45:46], v[39:40], v[41:42]
	v_add_f64 v[53:54], v[51:52], v[41:42]
	s_delay_alu instid0(VALU_DEP_1) | instskip(SKIP_2) | instid1(VALU_DEP_3)
	v_add_f64 v[55:56], v[49:50], -v[53:54]
	v_add_f64 v[47:48], v[53:54], -v[51:52]
	v_max_f64 v[51:52], |v[3:4]|, |v[3:4]|
	v_add_f64 v[49:50], v[49:50], -v[55:56]
	s_delay_alu instid0(VALU_DEP_3) | instskip(NEXT) | instid1(VALU_DEP_2)
	v_add_f64 v[41:42], v[47:48], -v[41:42]
	v_add_f64 v[49:50], v[49:50], -v[53:54]
	v_max_f64 v[53:54], |v[1:2]|, |v[1:2]|
	s_delay_alu instid0(VALU_DEP_2) | instskip(NEXT) | instid1(VALU_DEP_2)
	v_add_f64 v[35:36], v[35:36], v[49:50]
	v_max_f64 v[57:58], v[53:54], v[51:52]
	v_min_f64 v[51:52], v[53:54], v[51:52]
	s_delay_alu instid0(VALU_DEP_3) | instskip(NEXT) | instid1(VALU_DEP_1)
	v_add_f64 v[35:36], v[41:42], v[35:36]
	v_add_f64 v[41:42], v[55:56], v[35:36]
	s_delay_alu instid0(VALU_DEP_1) | instskip(SKIP_1) | instid1(VALU_DEP_2)
	v_mul_f64 v[47:48], v[37:38], v[41:42]
	v_add_f64 v[55:56], v[55:56], -v[41:42]
	v_mul_f64 v[49:50], v[43:44], v[47:48]
	s_delay_alu instid0(VALU_DEP_2) | instskip(NEXT) | instid1(VALU_DEP_2)
	v_add_f64 v[35:36], v[35:36], v[55:56]
	v_fma_f64 v[43:44], v[47:48], v[43:44], -v[49:50]
	s_delay_alu instid0(VALU_DEP_1) | instskip(SKIP_1) | instid1(VALU_DEP_2)
	v_fma_f64 v[39:40], v[47:48], v[39:40], v[43:44]
	v_div_scale_f64 v[43:44], null, v[57:58], v[57:58], v[51:52]
	v_add_f64 v[53:54], v[49:50], v[39:40]
	s_delay_alu instid0(VALU_DEP_2) | instskip(NEXT) | instid1(VALU_DEP_1)
	v_rcp_f64_e32 v[61:62], v[43:44]
	v_add_f64 v[63:64], v[41:42], -v[53:54]
	v_add_f64 v[49:50], v[53:54], -v[49:50]
	s_waitcnt_depctr 0xfff
	v_fma_f64 v[65:66], -v[43:44], v[61:62], 1.0
	v_add_f64 v[41:42], v[41:42], -v[63:64]
	v_add_f64 v[39:40], v[49:50], -v[39:40]
	s_delay_alu instid0(VALU_DEP_3) | instskip(NEXT) | instid1(VALU_DEP_3)
	v_fma_f64 v[61:62], v[61:62], v[65:66], v[61:62]
	v_add_f64 v[41:42], v[41:42], -v[53:54]
	s_delay_alu instid0(VALU_DEP_2) | instskip(NEXT) | instid1(VALU_DEP_2)
	v_fma_f64 v[53:54], -v[43:44], v[61:62], 1.0
	v_add_f64 v[35:36], v[35:36], v[41:42]
	v_div_scale_f64 v[41:42], vcc_lo, v[51:52], v[57:58], v[51:52]
	s_delay_alu instid0(VALU_DEP_3) | instskip(SKIP_1) | instid1(VALU_DEP_4)
	v_fma_f64 v[49:50], v[61:62], v[53:54], v[61:62]
	v_add_f64 v[53:54], v[45:46], v[47:48]
	v_add_f64 v[35:36], v[39:40], v[35:36]
	s_delay_alu instid0(VALU_DEP_3) | instskip(NEXT) | instid1(VALU_DEP_3)
	v_mul_f64 v[39:40], v[41:42], v[49:50]
	v_add_f64 v[45:46], v[53:54], -v[45:46]
	s_delay_alu instid0(VALU_DEP_3) | instskip(NEXT) | instid1(VALU_DEP_3)
	v_add_f64 v[35:36], v[63:64], v[35:36]
	v_fma_f64 v[41:42], -v[43:44], v[39:40], v[41:42]
	s_delay_alu instid0(VALU_DEP_3) | instskip(NEXT) | instid1(VALU_DEP_3)
	v_add_f64 v[43:44], v[47:48], -v[45:46]
	v_mul_f64 v[35:36], v[37:38], v[35:36]
	s_delay_alu instid0(VALU_DEP_3) | instskip(SKIP_1) | instid1(VALU_DEP_3)
	v_div_fmas_f64 v[37:38], v[41:42], v[49:50], v[39:40]
	v_cmp_eq_f64_e32 vcc_lo, 0x7ff00000, v[9:10]
	v_add_f64 v[35:36], v[43:44], v[35:36]
	s_delay_alu instid0(VALU_DEP_3) | instskip(NEXT) | instid1(VALU_DEP_2)
	v_div_fixup_f64 v[37:38], v[37:38], v[57:58], v[51:52]
	v_add_f64 v[39:40], v[53:54], v[35:36]
	s_delay_alu instid0(VALU_DEP_2) | instskip(NEXT) | instid1(VALU_DEP_2)
	v_mul_f64 v[41:42], v[37:38], v[37:38]
	v_mul_f64 v[43:44], v[39:40], v[39:40]
	s_delay_alu instid0(VALU_DEP_2) | instskip(NEXT) | instid1(VALU_DEP_2)
	v_fma_f64 v[45:46], v[41:42], s[48:49], s[46:47]
	v_fma_f64 v[47:48], v[43:44], s[28:29], s[26:27]
	v_mul_f64 v[49:50], v[39:40], v[43:44]
	s_delay_alu instid0(VALU_DEP_3) | instskip(NEXT) | instid1(VALU_DEP_3)
	v_fma_f64 v[45:46], v[41:42], v[45:46], s[50:51]
	v_fma_f64 v[47:48], v[43:44], v[47:48], s[34:35]
	s_delay_alu instid0(VALU_DEP_2) | instskip(NEXT) | instid1(VALU_DEP_2)
	v_fma_f64 v[45:46], v[41:42], v[45:46], s[52:53]
	v_fma_f64 v[47:48], v[43:44], v[47:48], s[36:37]
	s_delay_alu instid0(VALU_DEP_2) | instskip(NEXT) | instid1(VALU_DEP_2)
	;; [unrolled: 3-line block ×4, first 2 shown]
	v_fma_f64 v[45:46], v[41:42], v[45:46], s[58:59]
	v_fma_f64 v[43:44], v[43:44], v[47:48], s[98:99]
	v_ldexp_f64 v[47:48], v[39:40], 1
	v_add_f64 v[39:40], v[39:40], -v[53:54]
	s_delay_alu instid0(VALU_DEP_4) | instskip(NEXT) | instid1(VALU_DEP_4)
	v_fma_f64 v[45:46], v[41:42], v[45:46], s[60:61]
	v_mul_f64 v[43:44], v[49:50], v[43:44]
	v_cvt_f64_i32_e32 v[49:50], v7
	s_delay_alu instid0(VALU_DEP_4) | instskip(NEXT) | instid1(VALU_DEP_4)
	v_add_f64 v[35:36], v[35:36], -v[39:40]
	v_fma_f64 v[45:46], v[41:42], v[45:46], s[62:63]
	v_ashrrev_i32_e32 v7, 31, v2
	v_add_f64 v[51:52], v[47:48], v[43:44]
	v_mul_f64 v[53:54], v[49:50], s[42:43]
	v_ldexp_f64 v[35:36], v[35:36], 1
	v_fma_f64 v[45:46], v[41:42], v[45:46], s[64:65]
	s_delay_alu instid0(VALU_DEP_4) | instskip(NEXT) | instid1(VALU_DEP_4)
	v_add_f64 v[39:40], v[51:52], -v[47:48]
	v_fma_f64 v[47:48], v[49:50], s[42:43], -v[53:54]
	s_delay_alu instid0(VALU_DEP_3) | instskip(NEXT) | instid1(VALU_DEP_3)
	v_fma_f64 v[45:46], v[41:42], v[45:46], s[66:67]
	v_add_f64 v[39:40], v[43:44], -v[39:40]
	s_delay_alu instid0(VALU_DEP_2) | instskip(NEXT) | instid1(VALU_DEP_4)
	v_fma_f64 v[43:44], v[41:42], v[45:46], s[68:69]
	v_fma_f64 v[45:46], v[49:50], s[44:45], v[47:48]
	s_delay_alu instid0(VALU_DEP_3) | instskip(NEXT) | instid1(VALU_DEP_3)
	v_add_f64 v[35:36], v[35:36], v[39:40]
	v_fma_f64 v[39:40], v[41:42], v[43:44], s[70:71]
	s_delay_alu instid0(VALU_DEP_3) | instskip(NEXT) | instid1(VALU_DEP_3)
	v_add_f64 v[43:44], v[53:54], v[45:46]
	v_add_f64 v[47:48], v[51:52], v[35:36]
	s_delay_alu instid0(VALU_DEP_3) | instskip(NEXT) | instid1(VALU_DEP_3)
	v_fma_f64 v[39:40], v[41:42], v[39:40], s[72:73]
	v_add_f64 v[53:54], v[43:44], -v[53:54]
	s_delay_alu instid0(VALU_DEP_3) | instskip(SKIP_1) | instid1(VALU_DEP_4)
	v_add_f64 v[49:50], v[43:44], v[47:48]
	v_add_f64 v[51:52], v[47:48], -v[51:52]
	v_fma_f64 v[39:40], v[41:42], v[39:40], s[74:75]
	s_delay_alu instid0(VALU_DEP_4) | instskip(NEXT) | instid1(VALU_DEP_4)
	v_add_f64 v[45:46], v[45:46], -v[53:54]
	v_add_f64 v[55:56], v[49:50], -v[43:44]
	s_delay_alu instid0(VALU_DEP_4) | instskip(NEXT) | instid1(VALU_DEP_4)
	v_add_f64 v[35:36], v[35:36], -v[51:52]
	v_fma_f64 v[39:40], v[41:42], v[39:40], s[76:77]
	s_delay_alu instid0(VALU_DEP_3) | instskip(SKIP_1) | instid1(VALU_DEP_4)
	v_add_f64 v[57:58], v[49:50], -v[55:56]
	v_add_f64 v[47:48], v[47:48], -v[55:56]
	v_add_f64 v[51:52], v[45:46], v[35:36]
	s_delay_alu instid0(VALU_DEP_4) | instskip(NEXT) | instid1(VALU_DEP_4)
	v_fma_f64 v[39:40], v[41:42], v[39:40], s[78:79]
	v_add_f64 v[43:44], v[43:44], -v[57:58]
	s_delay_alu instid0(VALU_DEP_2) | instskip(NEXT) | instid1(VALU_DEP_2)
	v_fma_f64 v[39:40], v[41:42], v[39:40], s[80:81]
	v_add_f64 v[43:44], v[47:48], v[43:44]
	v_add_f64 v[47:48], v[51:52], -v[45:46]
	s_delay_alu instid0(VALU_DEP_3) | instskip(NEXT) | instid1(VALU_DEP_3)
	v_fma_f64 v[39:40], v[41:42], v[39:40], s[82:83]
	v_add_f64 v[43:44], v[51:52], v[43:44]
	s_delay_alu instid0(VALU_DEP_3) | instskip(SKIP_1) | instid1(VALU_DEP_4)
	v_add_f64 v[51:52], v[51:52], -v[47:48]
	v_add_f64 v[35:36], v[35:36], -v[47:48]
	v_fma_f64 v[39:40], v[41:42], v[39:40], s[84:85]
	s_delay_alu instid0(VALU_DEP_4) | instskip(NEXT) | instid1(VALU_DEP_2)
	v_add_f64 v[53:54], v[49:50], v[43:44]
	v_mul_f64 v[39:40], v[41:42], v[39:40]
	v_add_f64 v[41:42], v[45:46], -v[51:52]
	s_delay_alu instid0(VALU_DEP_3) | instskip(NEXT) | instid1(VALU_DEP_3)
	v_add_f64 v[45:46], v[53:54], -v[49:50]
	v_fma_f64 v[37:38], v[37:38], v[39:40], v[37:38]
	s_delay_alu instid0(VALU_DEP_3) | instskip(NEXT) | instid1(VALU_DEP_3)
	v_add_f64 v[35:36], v[35:36], v[41:42]
	v_add_f64 v[39:40], v[43:44], -v[45:46]
	s_delay_alu instid0(VALU_DEP_3) | instskip(NEXT) | instid1(VALU_DEP_2)
	v_add_f64 v[41:42], -v[37:38], s[86:87]
	v_add_f64 v[35:36], v[35:36], v[39:40]
	s_delay_alu instid0(VALU_DEP_2) | instskip(NEXT) | instid1(VALU_DEP_3)
	v_cndmask_b32_e64 v38, v38, v42, s4
	v_cndmask_b32_e64 v37, v37, v41, s4
	s_delay_alu instid0(VALU_DEP_1) | instskip(NEXT) | instid1(VALU_DEP_4)
	v_add_f64 v[39:40], -v[37:38], s[14:15]
	v_add_f64 v[35:36], v[53:54], v[35:36]
	v_and_b32_e32 v15, 0x54442d18, v7
	s_delay_alu instid0(VALU_DEP_3) | instskip(NEXT) | instid1(VALU_DEP_3)
	v_cndmask_b32_e64 v18, v37, v39, s5
	v_dual_cndmask_b32 v2, v36, v10 :: v_dual_cndmask_b32 v1, v35, v9
	s_delay_alu instid0(VALU_DEP_2) | instskip(SKIP_1) | instid1(VALU_DEP_2)
	v_cndmask_b32_e64 v15, v18, v15, s6
	s_and_b32 vcc_lo, s9, s10
	v_mul_f64 v[9:10], v[1:2], 0.5
	v_and_b32_e32 v2, 0x400921fb, v7
	v_cndmask_b32_e64 v1, 0x3fe921fb, v60, s5
	v_cndmask_b32_e64 v7, v38, v40, s5
                                        ; implicit-def: $vgpr39_vgpr40
	v_cndmask_b32_e32 v35, v15, v11, vcc_lo
	s_delay_alu instid0(VALU_DEP_3) | instskip(NEXT) | instid1(VALU_DEP_3)
	v_bfi_b32 v1, 0x7fffffff, v1, v4
	v_cndmask_b32_e64 v2, v7, v2, s6
	s_delay_alu instid0(VALU_DEP_1)
	v_cndmask_b32_e32 v36, v2, v1, vcc_lo
.LBB180_281:                            ;   in Loop: Header=BB180_145 Depth=1
	s_and_not1_saveexec_b32 s6, s8
	s_cbranch_execz .LBB180_283
; %bb.282:                              ;   in Loop: Header=BB180_145 Depth=1
	v_max_f64 v[9:10], |v[3:4]|, |v[3:4]|
	v_max_f64 v[35:36], |v[1:2]|, |v[1:2]|
	s_mov_b32 s14, s86
	v_cmp_eq_f64_e64 s5, 0, v[3:4]
	v_cmp_class_f64_e64 s8, v[3:4], 0x204
	v_cmp_class_f64_e64 s9, v[1:2], 0x204
	v_ashrrev_i32_e32 v7, 31, v2
	v_max_f64 v[37:38], v[35:36], v[9:10]
	v_min_f64 v[9:10], v[35:36], v[9:10]
	s_delay_alu instid0(VALU_DEP_1) | instskip(SKIP_1) | instid1(VALU_DEP_2)
	v_div_scale_f64 v[35:36], null, v[37:38], v[37:38], v[9:10]
	v_div_scale_f64 v[45:46], vcc_lo, v[9:10], v[37:38], v[9:10]
	v_rcp_f64_e32 v[41:42], v[35:36]
	s_waitcnt_depctr 0xfff
	v_fma_f64 v[43:44], -v[35:36], v[41:42], 1.0
	s_delay_alu instid0(VALU_DEP_1) | instskip(NEXT) | instid1(VALU_DEP_1)
	v_fma_f64 v[41:42], v[41:42], v[43:44], v[41:42]
	v_fma_f64 v[43:44], -v[35:36], v[41:42], 1.0
	s_delay_alu instid0(VALU_DEP_1) | instskip(NEXT) | instid1(VALU_DEP_1)
	v_fma_f64 v[41:42], v[41:42], v[43:44], v[41:42]
	v_mul_f64 v[43:44], v[45:46], v[41:42]
	s_delay_alu instid0(VALU_DEP_1) | instskip(NEXT) | instid1(VALU_DEP_1)
	v_fma_f64 v[35:36], -v[35:36], v[43:44], v[45:46]
	v_div_fmas_f64 v[35:36], v[35:36], v[41:42], v[43:44]
	v_cmp_gt_i32_e32 vcc_lo, 0, v2
	v_and_b32_e32 v2, 0x400921fb, v7
	v_cndmask_b32_e32 v1, 0x3fe921fb, v60, vcc_lo
	v_cndmask_b32_e32 v15, 0x54442d18, v59, vcc_lo
	s_delay_alu instid0(VALU_DEP_2) | instskip(SKIP_1) | instid1(VALU_DEP_1)
	v_bfi_b32 v1, 0x7fffffff, v1, v4
	v_div_fixup_f64 v[9:10], v[35:36], v[37:38], v[9:10]
	v_mul_f64 v[35:36], v[9:10], v[9:10]
	s_delay_alu instid0(VALU_DEP_1) | instskip(NEXT) | instid1(VALU_DEP_1)
	v_fma_f64 v[37:38], v[35:36], s[48:49], s[46:47]
	v_fma_f64 v[37:38], v[35:36], v[37:38], s[50:51]
	s_delay_alu instid0(VALU_DEP_1) | instskip(NEXT) | instid1(VALU_DEP_1)
	v_fma_f64 v[37:38], v[35:36], v[37:38], s[52:53]
	v_fma_f64 v[37:38], v[35:36], v[37:38], s[54:55]
	s_delay_alu instid0(VALU_DEP_1) | instskip(NEXT) | instid1(VALU_DEP_1)
	v_fma_f64 v[37:38], v[35:36], v[37:38], s[56:57]
	v_fma_f64 v[37:38], v[35:36], v[37:38], s[58:59]
	s_delay_alu instid0(VALU_DEP_1) | instskip(NEXT) | instid1(VALU_DEP_1)
	v_fma_f64 v[37:38], v[35:36], v[37:38], s[60:61]
	v_fma_f64 v[37:38], v[35:36], v[37:38], s[62:63]
	s_delay_alu instid0(VALU_DEP_1) | instskip(NEXT) | instid1(VALU_DEP_1)
	v_fma_f64 v[37:38], v[35:36], v[37:38], s[64:65]
	v_fma_f64 v[37:38], v[35:36], v[37:38], s[66:67]
	s_delay_alu instid0(VALU_DEP_1) | instskip(NEXT) | instid1(VALU_DEP_1)
	v_fma_f64 v[37:38], v[35:36], v[37:38], s[68:69]
	v_fma_f64 v[37:38], v[35:36], v[37:38], s[70:71]
	s_delay_alu instid0(VALU_DEP_1) | instskip(NEXT) | instid1(VALU_DEP_1)
	v_fma_f64 v[37:38], v[35:36], v[37:38], s[72:73]
	v_fma_f64 v[37:38], v[35:36], v[37:38], s[74:75]
	s_delay_alu instid0(VALU_DEP_1) | instskip(NEXT) | instid1(VALU_DEP_1)
	v_fma_f64 v[37:38], v[35:36], v[37:38], s[76:77]
	v_fma_f64 v[37:38], v[35:36], v[37:38], s[78:79]
	s_delay_alu instid0(VALU_DEP_1) | instskip(NEXT) | instid1(VALU_DEP_1)
	v_fma_f64 v[37:38], v[35:36], v[37:38], s[80:81]
	v_fma_f64 v[37:38], v[35:36], v[37:38], s[82:83]
	s_delay_alu instid0(VALU_DEP_1) | instskip(NEXT) | instid1(VALU_DEP_1)
	v_fma_f64 v[37:38], v[35:36], v[37:38], s[84:85]
	v_mul_f64 v[35:36], v[35:36], v[37:38]
	v_mul_f64 v[37:38], v[39:40], 0.5
	s_delay_alu instid0(VALU_DEP_2) | instskip(NEXT) | instid1(VALU_DEP_1)
	v_fma_f64 v[9:10], v[9:10], v[35:36], v[9:10]
	v_add_f64 v[35:36], -v[9:10], s[86:87]
	s_delay_alu instid0(VALU_DEP_1) | instskip(NEXT) | instid1(VALU_DEP_2)
	v_cndmask_b32_e64 v11, v10, v36, s4
	v_cndmask_b32_e64 v10, v9, v35, s4
	s_delay_alu instid0(VALU_DEP_1) | instskip(NEXT) | instid1(VALU_DEP_1)
	v_add_f64 v[35:36], -v[10:11], s[14:15]
	v_dual_cndmask_b32 v7, v11, v36 :: v_dual_and_b32 v18, 0x54442d18, v7
	s_delay_alu instid0(VALU_DEP_2) | instskip(SKIP_2) | instid1(VALU_DEP_3)
	v_cndmask_b32_e32 v35, v10, v35, vcc_lo
	v_mul_f64 v[9:10], v[39:40], v[37:38]
	s_and_b32 vcc_lo, s8, s9
	v_cndmask_b32_e64 v2, v7, v2, s5
	s_delay_alu instid0(VALU_DEP_3) | instskip(NEXT) | instid1(VALU_DEP_1)
	v_cndmask_b32_e64 v11, v35, v18, s5
	v_dual_cndmask_b32 v36, v2, v1 :: v_dual_cndmask_b32 v35, v11, v15
.LBB180_283:                            ;   in Loop: Header=BB180_145 Depth=1
	s_or_b32 exec_lo, exec_lo, s6
.LBB180_284:                            ;   in Loop: Header=BB180_145 Depth=1
	s_delay_alu instid0(SALU_CYCLE_1)
	s_or_b32 exec_lo, exec_lo, s7
.LBB180_285:                            ;   in Loop: Header=BB180_145 Depth=1
	s_and_not1_saveexec_b32 s7, s20
	s_cbranch_execz .LBB180_287
; %bb.286:                              ;   in Loop: Header=BB180_145 Depth=1
	v_div_scale_f64 v[9:10], null, s[92:93], s[92:93], v[1:2]
	v_div_scale_f64 v[35:36], null, s[92:93], s[92:93], v[3:4]
	v_div_scale_f64 v[45:46], vcc_lo, v[1:2], s[92:93], v[1:2]
	v_max_f64 v[49:50], |v[1:2]|, |v[1:2]|
	s_mov_b32 s99, s25
	s_mov_b32 s14, s86
	s_delay_alu instid0(VALU_DEP_4) | instskip(NEXT) | instid1(VALU_DEP_3)
	v_rcp_f64_e32 v[37:38], v[9:10]
	v_rcp_f64_e32 v[39:40], v[35:36]
	s_waitcnt_depctr 0xfff
	v_fma_f64 v[41:42], -v[9:10], v[37:38], 1.0
	v_fma_f64 v[43:44], -v[35:36], v[39:40], 1.0
	s_delay_alu instid0(VALU_DEP_2) | instskip(NEXT) | instid1(VALU_DEP_2)
	v_fma_f64 v[37:38], v[37:38], v[41:42], v[37:38]
	v_fma_f64 v[39:40], v[39:40], v[43:44], v[39:40]
	s_delay_alu instid0(VALU_DEP_2) | instskip(NEXT) | instid1(VALU_DEP_2)
	v_fma_f64 v[41:42], -v[9:10], v[37:38], 1.0
	v_fma_f64 v[43:44], -v[35:36], v[39:40], 1.0
	s_delay_alu instid0(VALU_DEP_2) | instskip(SKIP_1) | instid1(VALU_DEP_3)
	v_fma_f64 v[37:38], v[37:38], v[41:42], v[37:38]
	v_div_scale_f64 v[41:42], s5, v[3:4], s[92:93], v[3:4]
	v_fma_f64 v[39:40], v[39:40], v[43:44], v[39:40]
	s_delay_alu instid0(VALU_DEP_3) | instskip(NEXT) | instid1(VALU_DEP_2)
	v_mul_f64 v[43:44], v[45:46], v[37:38]
	v_mul_f64 v[47:48], v[41:42], v[39:40]
	s_delay_alu instid0(VALU_DEP_2) | instskip(NEXT) | instid1(VALU_DEP_2)
	v_fma_f64 v[9:10], -v[9:10], v[43:44], v[45:46]
	v_fma_f64 v[35:36], -v[35:36], v[47:48], v[41:42]
	s_delay_alu instid0(VALU_DEP_2) | instskip(SKIP_1) | instid1(VALU_DEP_2)
	v_div_fmas_f64 v[9:10], v[9:10], v[37:38], v[43:44]
	s_mov_b32 vcc_lo, s5
	v_div_fmas_f64 v[35:36], v[35:36], v[39:40], v[47:48]
	s_delay_alu instid0(VALU_DEP_2) | instskip(NEXT) | instid1(VALU_DEP_2)
	v_div_fixup_f64 v[9:10], v[9:10], s[92:93], v[1:2]
	v_div_fixup_f64 v[35:36], v[35:36], s[92:93], v[3:4]
	s_delay_alu instid0(VALU_DEP_2) | instskip(NEXT) | instid1(VALU_DEP_2)
	v_cmp_class_f64_e64 s6, v[9:10], 0x204
	v_max_f64 v[37:38], |v[9:10]|, |v[35:36]|
	v_cmp_o_f64_e64 s5, v[9:10], v[35:36]
	v_cmp_class_f64_e64 s8, v[35:36], 0x204
	s_delay_alu instid0(VALU_DEP_3) | instskip(NEXT) | instid1(VALU_DEP_2)
	v_frexp_exp_i32_f64_e32 v7, v[37:38]
	s_or_b32 s8, s8, s6
	s_delay_alu instid0(VALU_DEP_1) | instskip(NEXT) | instid1(VALU_DEP_1)
	v_sub_nc_u32_e32 v11, 0, v7
	v_ldexp_f64 v[37:38], |v[35:36]|, v11
	v_ldexp_f64 v[39:40], |v[9:10]|, v11
	s_delay_alu instid0(VALU_DEP_2) | instskip(NEXT) | instid1(VALU_DEP_1)
	v_mul_f64 v[37:38], v[37:38], v[37:38]
	v_fma_f64 v[37:38], v[39:40], v[39:40], v[37:38]
	s_delay_alu instid0(VALU_DEP_1) | instskip(SKIP_4) | instid1(VALU_DEP_1)
	v_rsq_f64_e32 v[39:40], v[37:38]
	v_cmp_eq_f64_e32 vcc_lo, 0, v[37:38]
	s_waitcnt_depctr 0xfff
	v_mul_f64 v[41:42], v[37:38], v[39:40]
	v_mul_f64 v[39:40], v[39:40], 0.5
	v_fma_f64 v[43:44], -v[39:40], v[41:42], 0.5
	s_delay_alu instid0(VALU_DEP_1) | instskip(SKIP_1) | instid1(VALU_DEP_2)
	v_fma_f64 v[41:42], v[41:42], v[43:44], v[41:42]
	v_fma_f64 v[39:40], v[39:40], v[43:44], v[39:40]
	v_fma_f64 v[43:44], -v[41:42], v[41:42], v[37:38]
	s_delay_alu instid0(VALU_DEP_1) | instskip(NEXT) | instid1(VALU_DEP_1)
	v_fma_f64 v[39:40], v[43:44], v[39:40], v[41:42]
	v_dual_cndmask_b32 v38, v40, v38 :: v_dual_cndmask_b32 v37, v39, v37
	s_delay_alu instid0(VALU_DEP_1) | instskip(NEXT) | instid1(VALU_DEP_1)
	v_ldexp_f64 v[37:38], v[37:38], v7
	v_cndmask_b32_e64 v7, 0, v37, s5
	s_delay_alu instid0(VALU_DEP_2) | instskip(NEXT) | instid1(VALU_DEP_2)
	v_cndmask_b32_e64 v9, 0x7ff80000, v38, s5
	v_cndmask_b32_e64 v10, v7, 0, s8
	s_delay_alu instid0(VALU_DEP_2) | instskip(NEXT) | instid1(VALU_DEP_1)
	v_cndmask_b32_e64 v11, v9, 0x7ff00000, s8
	v_frexp_mant_f64_e32 v[35:36], v[10:11]
	v_frexp_exp_i32_f64_e32 v15, v[10:11]
	s_delay_alu instid0(VALU_DEP_2) | instskip(NEXT) | instid1(VALU_DEP_1)
	v_cmp_gt_f64_e64 s6, s[24:25], v[35:36]
	v_cndmask_b32_e64 v18, 0x3ff00000, 2.0, s6
	s_delay_alu instid0(VALU_DEP_1) | instskip(NEXT) | instid1(VALU_DEP_1)
	v_mul_f64 v[35:36], v[35:36], v[17:18]
	v_add_f64 v[39:40], v[35:36], 1.0
	v_add_f64 v[45:46], v[35:36], -1.0
	s_delay_alu instid0(VALU_DEP_2) | instskip(SKIP_1) | instid1(VALU_DEP_1)
	v_rcp_f64_e32 v[41:42], v[39:40]
	v_add_f64 v[51:52], v[39:40], -1.0
	v_add_f64 v[35:36], v[35:36], -v[51:52]
	s_waitcnt_depctr 0xfff
	v_fma_f64 v[43:44], -v[39:40], v[41:42], 1.0
	s_delay_alu instid0(VALU_DEP_1) | instskip(NEXT) | instid1(VALU_DEP_1)
	v_fma_f64 v[41:42], v[43:44], v[41:42], v[41:42]
	v_fma_f64 v[43:44], -v[39:40], v[41:42], 1.0
	s_delay_alu instid0(VALU_DEP_1) | instskip(SKIP_1) | instid1(VALU_DEP_2)
	v_fma_f64 v[41:42], v[43:44], v[41:42], v[41:42]
	v_max_f64 v[43:44], |v[3:4]|, |v[3:4]|
	v_mul_f64 v[47:48], v[45:46], v[41:42]
	s_delay_alu instid0(VALU_DEP_2) | instskip(SKIP_1) | instid1(VALU_DEP_3)
	v_max_f64 v[55:56], v[49:50], v[43:44]
	v_min_f64 v[43:44], v[49:50], v[43:44]
	v_mul_f64 v[53:54], v[39:40], v[47:48]
	s_delay_alu instid0(VALU_DEP_2) | instskip(NEXT) | instid1(VALU_DEP_2)
	v_div_scale_f64 v[49:50], null, v[55:56], v[55:56], v[43:44]
	v_fma_f64 v[39:40], v[47:48], v[39:40], -v[53:54]
	s_delay_alu instid0(VALU_DEP_1) | instskip(NEXT) | instid1(VALU_DEP_3)
	v_fma_f64 v[35:36], v[47:48], v[35:36], v[39:40]
	v_rcp_f64_e32 v[39:40], v[49:50]
	s_delay_alu instid0(VALU_DEP_1) | instskip(SKIP_4) | instid1(VALU_DEP_3)
	v_add_f64 v[51:52], v[53:54], v[35:36]
	s_waitcnt_depctr 0xfff
	v_fma_f64 v[57:58], -v[49:50], v[39:40], 1.0
	v_add_f64 v[61:62], v[45:46], -v[51:52]
	v_add_f64 v[53:54], v[51:52], -v[53:54]
	v_fma_f64 v[39:40], v[39:40], v[57:58], v[39:40]
	s_delay_alu instid0(VALU_DEP_3) | instskip(NEXT) | instid1(VALU_DEP_3)
	v_add_f64 v[45:46], v[45:46], -v[61:62]
	v_add_f64 v[35:36], v[53:54], -v[35:36]
	s_delay_alu instid0(VALU_DEP_3) | instskip(NEXT) | instid1(VALU_DEP_3)
	v_fma_f64 v[57:58], -v[49:50], v[39:40], 1.0
	v_add_f64 v[45:46], v[45:46], -v[51:52]
	v_div_scale_f64 v[51:52], vcc_lo, v[43:44], v[55:56], v[43:44]
	s_delay_alu instid0(VALU_DEP_3) | instskip(NEXT) | instid1(VALU_DEP_3)
	v_fma_f64 v[39:40], v[39:40], v[57:58], v[39:40]
	v_add_f64 v[35:36], v[35:36], v[45:46]
	s_delay_alu instid0(VALU_DEP_2) | instskip(NEXT) | instid1(VALU_DEP_2)
	v_mul_f64 v[45:46], v[51:52], v[39:40]
	v_add_f64 v[35:36], v[61:62], v[35:36]
	s_delay_alu instid0(VALU_DEP_2) | instskip(NEXT) | instid1(VALU_DEP_2)
	v_fma_f64 v[49:50], -v[49:50], v[45:46], v[51:52]
	v_mul_f64 v[35:36], v[41:42], v[35:36]
	s_delay_alu instid0(VALU_DEP_2) | instskip(SKIP_2) | instid1(VALU_DEP_4)
	v_div_fmas_f64 v[39:40], v[49:50], v[39:40], v[45:46]
	v_subrev_co_ci_u32_e64 v15, vcc_lo, 0, v15, s6
	v_cmp_class_f64_e64 s6, v[1:2], 0x204
	v_add_f64 v[41:42], v[47:48], v[35:36]
	s_delay_alu instid0(VALU_DEP_4) | instskip(NEXT) | instid1(VALU_DEP_2)
	v_div_fixup_f64 v[39:40], v[39:40], v[55:56], v[43:44]
	v_mul_f64 v[43:44], v[41:42], v[41:42]
	s_delay_alu instid0(VALU_DEP_2) | instskip(NEXT) | instid1(VALU_DEP_2)
	v_mul_f64 v[45:46], v[39:40], v[39:40]
	v_fma_f64 v[49:50], v[43:44], s[28:29], s[26:27]
	v_mul_f64 v[53:54], v[41:42], v[43:44]
	s_delay_alu instid0(VALU_DEP_3) | instskip(NEXT) | instid1(VALU_DEP_3)
	v_fma_f64 v[51:52], v[45:46], s[48:49], s[46:47]
	v_fma_f64 v[49:50], v[43:44], v[49:50], s[34:35]
	s_delay_alu instid0(VALU_DEP_2) | instskip(NEXT) | instid1(VALU_DEP_2)
	v_fma_f64 v[51:52], v[45:46], v[51:52], s[50:51]
	v_fma_f64 v[49:50], v[43:44], v[49:50], s[36:37]
	s_delay_alu instid0(VALU_DEP_2) | instskip(NEXT) | instid1(VALU_DEP_2)
	;; [unrolled: 3-line block ×4, first 2 shown]
	v_fma_f64 v[51:52], v[45:46], v[51:52], s[56:57]
	v_fma_f64 v[43:44], v[43:44], v[49:50], s[98:99]
	s_delay_alu instid0(VALU_DEP_2) | instskip(SKIP_2) | instid1(VALU_DEP_4)
	v_fma_f64 v[49:50], v[45:46], v[51:52], s[58:59]
	v_ldexp_f64 v[51:52], v[41:42], 1
	v_add_f64 v[41:42], v[41:42], -v[47:48]
	v_mul_f64 v[43:44], v[53:54], v[43:44]
	v_cvt_f64_i32_e32 v[53:54], v15
	v_ashrrev_i32_e32 v15, 31, v2
	v_fma_f64 v[49:50], v[45:46], v[49:50], s[60:61]
	v_add_f64 v[35:36], v[35:36], -v[41:42]
	v_add_f64 v[47:48], v[51:52], v[43:44]
	v_mul_f64 v[55:56], v[53:54], s[42:43]
	s_delay_alu instid0(VALU_DEP_4) | instskip(NEXT) | instid1(VALU_DEP_4)
	v_fma_f64 v[49:50], v[45:46], v[49:50], s[62:63]
	v_ldexp_f64 v[35:36], v[35:36], 1
	s_delay_alu instid0(VALU_DEP_4) | instskip(NEXT) | instid1(VALU_DEP_4)
	v_add_f64 v[41:42], v[47:48], -v[51:52]
	v_fma_f64 v[51:52], v[53:54], s[42:43], -v[55:56]
	s_delay_alu instid0(VALU_DEP_4) | instskip(NEXT) | instid1(VALU_DEP_3)
	v_fma_f64 v[49:50], v[45:46], v[49:50], s[64:65]
	v_add_f64 v[41:42], v[43:44], -v[41:42]
	s_delay_alu instid0(VALU_DEP_2) | instskip(NEXT) | instid1(VALU_DEP_4)
	v_fma_f64 v[43:44], v[45:46], v[49:50], s[66:67]
	v_fma_f64 v[49:50], v[53:54], s[44:45], v[51:52]
	s_delay_alu instid0(VALU_DEP_3) | instskip(NEXT) | instid1(VALU_DEP_3)
	v_add_f64 v[35:36], v[35:36], v[41:42]
	v_fma_f64 v[41:42], v[45:46], v[43:44], s[68:69]
	s_delay_alu instid0(VALU_DEP_3) | instskip(NEXT) | instid1(VALU_DEP_3)
	v_add_f64 v[43:44], v[55:56], v[49:50]
	v_add_f64 v[51:52], v[47:48], v[35:36]
	s_delay_alu instid0(VALU_DEP_3) | instskip(NEXT) | instid1(VALU_DEP_3)
	v_fma_f64 v[41:42], v[45:46], v[41:42], s[70:71]
	v_add_f64 v[55:56], v[43:44], -v[55:56]
	s_delay_alu instid0(VALU_DEP_3) | instskip(SKIP_1) | instid1(VALU_DEP_4)
	v_add_f64 v[53:54], v[43:44], v[51:52]
	v_add_f64 v[47:48], v[51:52], -v[47:48]
	v_fma_f64 v[41:42], v[45:46], v[41:42], s[72:73]
	s_delay_alu instid0(VALU_DEP_4) | instskip(NEXT) | instid1(VALU_DEP_4)
	v_add_f64 v[49:50], v[49:50], -v[55:56]
	v_add_f64 v[57:58], v[53:54], -v[43:44]
	s_delay_alu instid0(VALU_DEP_4) | instskip(NEXT) | instid1(VALU_DEP_4)
	v_add_f64 v[35:36], v[35:36], -v[47:48]
	v_fma_f64 v[41:42], v[45:46], v[41:42], s[74:75]
	s_delay_alu instid0(VALU_DEP_3) | instskip(SKIP_1) | instid1(VALU_DEP_4)
	v_add_f64 v[61:62], v[53:54], -v[57:58]
	v_add_f64 v[47:48], v[51:52], -v[57:58]
	v_add_f64 v[51:52], v[49:50], v[35:36]
	s_delay_alu instid0(VALU_DEP_4) | instskip(NEXT) | instid1(VALU_DEP_4)
	v_fma_f64 v[41:42], v[45:46], v[41:42], s[76:77]
	v_add_f64 v[43:44], v[43:44], -v[61:62]
	s_delay_alu instid0(VALU_DEP_2) | instskip(NEXT) | instid1(VALU_DEP_2)
	v_fma_f64 v[41:42], v[45:46], v[41:42], s[78:79]
	v_add_f64 v[43:44], v[47:48], v[43:44]
	v_add_f64 v[47:48], v[51:52], -v[49:50]
	s_delay_alu instid0(VALU_DEP_3) | instskip(NEXT) | instid1(VALU_DEP_3)
	v_fma_f64 v[41:42], v[45:46], v[41:42], s[80:81]
	v_add_f64 v[43:44], v[51:52], v[43:44]
	s_delay_alu instid0(VALU_DEP_3) | instskip(SKIP_1) | instid1(VALU_DEP_4)
	v_add_f64 v[51:52], v[51:52], -v[47:48]
	v_add_f64 v[35:36], v[35:36], -v[47:48]
	v_fma_f64 v[41:42], v[45:46], v[41:42], s[82:83]
	s_delay_alu instid0(VALU_DEP_4) | instskip(NEXT) | instid1(VALU_DEP_4)
	v_add_f64 v[55:56], v[53:54], v[43:44]
	v_add_f64 v[47:48], v[49:50], -v[51:52]
	s_delay_alu instid0(VALU_DEP_3) | instskip(NEXT) | instid1(VALU_DEP_3)
	v_fma_f64 v[41:42], v[45:46], v[41:42], s[84:85]
	v_add_f64 v[49:50], v[55:56], -v[53:54]
	s_delay_alu instid0(VALU_DEP_3) | instskip(NEXT) | instid1(VALU_DEP_3)
	v_add_f64 v[35:36], v[35:36], v[47:48]
	v_mul_f64 v[41:42], v[45:46], v[41:42]
	s_delay_alu instid0(VALU_DEP_3) | instskip(NEXT) | instid1(VALU_DEP_2)
	v_add_f64 v[43:44], v[43:44], -v[49:50]
	v_fma_f64 v[39:40], v[39:40], v[41:42], v[39:40]
	s_delay_alu instid0(VALU_DEP_2) | instskip(NEXT) | instid1(VALU_DEP_2)
	v_add_f64 v[35:36], v[35:36], v[43:44]
	v_add_f64 v[41:42], -v[39:40], s[86:87]
	s_delay_alu instid0(VALU_DEP_2) | instskip(SKIP_1) | instid1(VALU_DEP_1)
	v_add_f64 v[35:36], v[55:56], v[35:36]
	v_and_b32_e32 v38, 0x7fffffff, v38
	v_cmp_eq_f64_e32 vcc_lo, 0x7ff00000, v[37:38]
	s_delay_alu instid0(VALU_DEP_4) | instskip(SKIP_2) | instid1(VALU_DEP_2)
	v_cndmask_b32_e64 v38, v40, v42, s4
	v_cndmask_b32_e64 v37, v39, v41, s4
	v_cmp_eq_f64_e64 s4, 0, v[3:4]
	v_add_f64 v[39:40], -v[37:38], s[14:15]
	s_and_b32 vcc_lo, s5, vcc_lo
	v_cmp_class_f64_e64 s5, v[3:4], 0x204
	v_dual_cndmask_b32 v35, v35, v7 :: v_dual_cndmask_b32 v36, v36, v9
	v_and_b32_e32 v9, 0x54442d18, v15
	v_cmp_gt_i32_e32 vcc_lo, 0, v2
	v_and_b32_e32 v2, 0x400921fb, v15
	s_delay_alu instid0(VALU_DEP_4) | instskip(SKIP_4) | instid1(VALU_DEP_4)
	v_add_f64 v[35:36], v[35:36], 1.0
	v_dual_cndmask_b32 v18, v37, v39 :: v_dual_cndmask_b32 v15, v38, v40
	v_cndmask_b32_e32 v7, 0x54442d18, v59, vcc_lo
	v_cndmask_b32_e32 v1, 0x3fe921fb, v60, vcc_lo
	v_cmp_ngt_f64_e32 vcc_lo, 0, v[10:11]
	v_cndmask_b32_e64 v18, v18, v9, s4
	v_cndmask_b32_e64 v2, v15, v2, s4
	v_cmp_nge_f64_e64 s4, 0, v[10:11]
	v_bfi_b32 v1, 0x7fffffff, v1, v4
	v_cndmask_b32_e64 v9, v35, 0, s8
	v_cndmask_b32_e64 v36, v36, 0x7ff00000, s8
	s_delay_alu instid0(VALU_DEP_1) | instskip(SKIP_1) | instid1(VALU_DEP_3)
	v_cndmask_b32_e32 v15, 0x7ff80000, v36, vcc_lo
	s_and_b32 vcc_lo, s5, s6
	v_cndmask_b32_e64 v9, 0, v9, s4
	v_cmp_neq_f64_e64 s4, 0, v[10:11]
	v_cndmask_b32_e32 v36, v2, v1, vcc_lo
	v_cndmask_b32_e32 v35, v18, v7, vcc_lo
	s_delay_alu instid0(VALU_DEP_3)
	v_cndmask_b32_e64 v10, 0xfff00000, v15, s4
.LBB180_287:                            ;   in Loop: Header=BB180_145 Depth=1
	s_or_b32 exec_lo, exec_lo, s7
	s_and_not1_saveexec_b32 s4, s89
	s_cbranch_execz .LBB180_257
.LBB180_288:                            ;   in Loop: Header=BB180_145 Depth=1
	v_cmp_ngt_f64_e64 s5, 0x20000000, |v[1:2]|
	v_cmp_ngt_f64_e64 s6, 0x20000000, |v[3:4]|
                                        ; implicit-def: $vgpr10_vgpr11
	s_delay_alu instid0(VALU_DEP_1) | instskip(NEXT) | instid1(SALU_CYCLE_1)
	s_or_b32 s5, s6, s5
	s_and_saveexec_b32 s6, s5
	s_delay_alu instid0(SALU_CYCLE_1)
	s_xor_b32 s5, exec_lo, s6
; %bb.289:                              ;   in Loop: Header=BB180_145 Depth=1
	v_mul_f64 v[1:2], v[1:2], v[1:2]
	s_delay_alu instid0(VALU_DEP_1)
	v_fma_f64 v[10:11], v[3:4], v[3:4], v[1:2]
; %bb.290:                              ;   in Loop: Header=BB180_145 Depth=1
	s_and_not1_saveexec_b32 s5, s5
; %bb.291:                              ;   in Loop: Header=BB180_145 Depth=1
	v_mul_f64 v[1:2], v[1:2], 4.0
	v_mul_f64 v[9:10], v[3:4], 4.0
	s_delay_alu instid0(VALU_DEP_2) | instskip(NEXT) | instid1(VALU_DEP_1)
	v_mul_f64 v[1:2], v[1:2], v[1:2]
	v_fma_f64 v[1:2], v[9:10], v[9:10], v[1:2]
	s_delay_alu instid0(VALU_DEP_1)
	v_ldexp_f64 v[10:11], v[1:2], -4
; %bb.292:                              ;   in Loop: Header=BB180_145 Depth=1
	s_or_b32 exec_lo, exec_lo, s5
	s_delay_alu instid0(VALU_DEP_1) | instskip(SKIP_2) | instid1(VALU_DEP_2)
	v_frexp_mant_f64_e32 v[1:2], v[10:11]
	s_mov_b32 s99, s25
	v_frexp_exp_i32_f64_e32 v3, v[10:11]
	v_cmp_gt_f64_e32 vcc_lo, s[24:25], v[1:2]
	v_cndmask_b32_e64 v18, 0x3ff00000, 2.0, vcc_lo
	s_delay_alu instid0(VALU_DEP_3) | instskip(SKIP_1) | instid1(VALU_DEP_3)
	v_subrev_co_ci_u32_e32 v3, vcc_lo, 0, v3, vcc_lo
	v_cmp_class_f64_e64 vcc_lo, v[10:11], 0x204
	v_mul_f64 v[1:2], v[1:2], v[17:18]
	s_delay_alu instid0(VALU_DEP_1) | instskip(SKIP_1) | instid1(VALU_DEP_2)
	v_add_f64 v[35:36], v[1:2], 1.0
	v_add_f64 v[41:42], v[1:2], -1.0
	v_rcp_f64_e32 v[37:38], v[35:36]
	v_add_f64 v[43:44], v[35:36], -1.0
	s_delay_alu instid0(VALU_DEP_1) | instskip(SKIP_2) | instid1(VALU_DEP_1)
	v_add_f64 v[1:2], v[1:2], -v[43:44]
	s_waitcnt_depctr 0xfff
	v_fma_f64 v[39:40], -v[35:36], v[37:38], 1.0
	v_fma_f64 v[37:38], v[39:40], v[37:38], v[37:38]
	s_delay_alu instid0(VALU_DEP_1) | instskip(NEXT) | instid1(VALU_DEP_1)
	v_fma_f64 v[39:40], -v[35:36], v[37:38], 1.0
	v_fma_f64 v[37:38], v[39:40], v[37:38], v[37:38]
	s_delay_alu instid0(VALU_DEP_1) | instskip(NEXT) | instid1(VALU_DEP_1)
	v_mul_f64 v[39:40], v[41:42], v[37:38]
	v_mul_f64 v[45:46], v[35:36], v[39:40]
	s_delay_alu instid0(VALU_DEP_1) | instskip(NEXT) | instid1(VALU_DEP_1)
	v_fma_f64 v[35:36], v[39:40], v[35:36], -v[45:46]
	v_fma_f64 v[1:2], v[39:40], v[1:2], v[35:36]
	s_delay_alu instid0(VALU_DEP_1) | instskip(NEXT) | instid1(VALU_DEP_1)
	v_add_f64 v[35:36], v[45:46], v[1:2]
	v_add_f64 v[43:44], v[41:42], -v[35:36]
	v_add_f64 v[45:46], v[35:36], -v[45:46]
	s_delay_alu instid0(VALU_DEP_2) | instskip(NEXT) | instid1(VALU_DEP_2)
	v_add_f64 v[41:42], v[41:42], -v[43:44]
	v_add_f64 v[1:2], v[45:46], -v[1:2]
	s_delay_alu instid0(VALU_DEP_2) | instskip(NEXT) | instid1(VALU_DEP_1)
	v_add_f64 v[35:36], v[41:42], -v[35:36]
	v_add_f64 v[1:2], v[1:2], v[35:36]
	s_delay_alu instid0(VALU_DEP_1) | instskip(NEXT) | instid1(VALU_DEP_1)
	v_add_f64 v[1:2], v[43:44], v[1:2]
	v_mul_f64 v[1:2], v[37:38], v[1:2]
	s_delay_alu instid0(VALU_DEP_1) | instskip(NEXT) | instid1(VALU_DEP_1)
	v_add_f64 v[35:36], v[39:40], v[1:2]
	v_mul_f64 v[37:38], v[35:36], v[35:36]
	s_delay_alu instid0(VALU_DEP_1) | instskip(SKIP_1) | instid1(VALU_DEP_2)
	v_fma_f64 v[41:42], v[37:38], s[28:29], s[26:27]
	v_mul_f64 v[43:44], v[35:36], v[37:38]
	v_fma_f64 v[41:42], v[37:38], v[41:42], s[34:35]
	s_delay_alu instid0(VALU_DEP_1) | instskip(NEXT) | instid1(VALU_DEP_1)
	v_fma_f64 v[41:42], v[37:38], v[41:42], s[36:37]
	v_fma_f64 v[41:42], v[37:38], v[41:42], s[38:39]
	s_delay_alu instid0(VALU_DEP_1) | instskip(NEXT) | instid1(VALU_DEP_1)
	v_fma_f64 v[41:42], v[37:38], v[41:42], s[40:41]
	v_fma_f64 v[37:38], v[37:38], v[41:42], s[98:99]
	v_ldexp_f64 v[41:42], v[35:36], 1
	v_add_f64 v[35:36], v[35:36], -v[39:40]
	s_delay_alu instid0(VALU_DEP_3) | instskip(SKIP_1) | instid1(VALU_DEP_3)
	v_mul_f64 v[37:38], v[43:44], v[37:38]
	v_cvt_f64_i32_e32 v[43:44], v3
	v_add_f64 v[1:2], v[1:2], -v[35:36]
	s_delay_alu instid0(VALU_DEP_3) | instskip(NEXT) | instid1(VALU_DEP_3)
	v_add_f64 v[39:40], v[41:42], v[37:38]
	v_mul_f64 v[45:46], v[43:44], s[42:43]
	s_delay_alu instid0(VALU_DEP_3) | instskip(NEXT) | instid1(VALU_DEP_3)
	v_ldexp_f64 v[1:2], v[1:2], 1
	v_add_f64 v[35:36], v[39:40], -v[41:42]
	s_delay_alu instid0(VALU_DEP_3) | instskip(NEXT) | instid1(VALU_DEP_2)
	v_fma_f64 v[41:42], v[43:44], s[42:43], -v[45:46]
	v_add_f64 v[35:36], v[37:38], -v[35:36]
	s_delay_alu instid0(VALU_DEP_2) | instskip(NEXT) | instid1(VALU_DEP_2)
	v_fma_f64 v[37:38], v[43:44], s[44:45], v[41:42]
	v_add_f64 v[1:2], v[1:2], v[35:36]
	s_delay_alu instid0(VALU_DEP_2) | instskip(NEXT) | instid1(VALU_DEP_2)
	v_add_f64 v[35:36], v[45:46], v[37:38]
	v_add_f64 v[41:42], v[39:40], v[1:2]
	s_delay_alu instid0(VALU_DEP_2) | instskip(NEXT) | instid1(VALU_DEP_2)
	v_add_f64 v[45:46], v[35:36], -v[45:46]
	v_add_f64 v[43:44], v[35:36], v[41:42]
	v_add_f64 v[39:40], v[41:42], -v[39:40]
	s_delay_alu instid0(VALU_DEP_3) | instskip(NEXT) | instid1(VALU_DEP_3)
	v_add_f64 v[37:38], v[37:38], -v[45:46]
	v_add_f64 v[47:48], v[43:44], -v[35:36]
	s_delay_alu instid0(VALU_DEP_3) | instskip(NEXT) | instid1(VALU_DEP_2)
	v_add_f64 v[1:2], v[1:2], -v[39:40]
	v_add_f64 v[49:50], v[43:44], -v[47:48]
	;; [unrolled: 1-line block ×3, first 2 shown]
	s_delay_alu instid0(VALU_DEP_3) | instskip(NEXT) | instid1(VALU_DEP_3)
	v_add_f64 v[41:42], v[37:38], v[1:2]
	v_add_f64 v[35:36], v[35:36], -v[49:50]
	s_delay_alu instid0(VALU_DEP_1) | instskip(NEXT) | instid1(VALU_DEP_3)
	v_add_f64 v[35:36], v[39:40], v[35:36]
	v_add_f64 v[39:40], v[41:42], -v[37:38]
	s_delay_alu instid0(VALU_DEP_2) | instskip(NEXT) | instid1(VALU_DEP_2)
	v_add_f64 v[35:36], v[41:42], v[35:36]
	v_add_f64 v[41:42], v[41:42], -v[39:40]
	v_add_f64 v[1:2], v[1:2], -v[39:40]
	s_delay_alu instid0(VALU_DEP_3) | instskip(NEXT) | instid1(VALU_DEP_3)
	v_add_f64 v[45:46], v[43:44], v[35:36]
	v_add_f64 v[37:38], v[37:38], -v[41:42]
	s_delay_alu instid0(VALU_DEP_2) | instskip(NEXT) | instid1(VALU_DEP_2)
	v_add_f64 v[39:40], v[45:46], -v[43:44]
	v_add_f64 v[1:2], v[1:2], v[37:38]
	s_delay_alu instid0(VALU_DEP_2) | instskip(NEXT) | instid1(VALU_DEP_1)
	v_add_f64 v[35:36], v[35:36], -v[39:40]
	v_add_f64 v[1:2], v[1:2], v[35:36]
	v_mov_b32_e32 v35, 0
	v_mov_b32_e32 v36, 0x7ff80000
	s_delay_alu instid0(VALU_DEP_3) | instskip(NEXT) | instid1(VALU_DEP_1)
	v_add_f64 v[1:2], v[45:46], v[1:2]
	v_dual_cndmask_b32 v1, v1, v10 :: v_dual_cndmask_b32 v2, v2, v11
	v_cmp_ngt_f64_e32 vcc_lo, 0, v[10:11]
	s_delay_alu instid0(VALU_DEP_2) | instskip(SKIP_1) | instid1(VALU_DEP_4)
	v_cndmask_b32_e32 v2, 0x7ff80000, v2, vcc_lo
	v_cmp_nge_f64_e32 vcc_lo, 0, v[10:11]
	v_cndmask_b32_e32 v9, 0, v1, vcc_lo
	v_cmp_neq_f64_e32 vcc_lo, 0, v[10:11]
	s_delay_alu instid0(VALU_DEP_4) | instskip(SKIP_2) | instid1(SALU_CYCLE_1)
	v_cndmask_b32_e32 v10, 0xfff00000, v2, vcc_lo
	s_or_b32 exec_lo, exec_lo, s4
	s_and_saveexec_b32 s4, s3
	s_xor_b32 s4, exec_lo, s4
	s_cbranch_execz .LBB180_258
.LBB180_293:                            ;   in Loop: Header=BB180_145 Depth=1
	v_bfi_b32 v30, 0x7fffffff, v30, v16
	v_div_scale_f64 v[1:2], null, s[94:95], s[94:95], v[27:28]
	v_div_scale_f64 v[45:46], vcc_lo, v[27:28], s[94:95], v[27:28]
	s_delay_alu instid0(VALU_DEP_3) | instskip(NEXT) | instid1(VALU_DEP_3)
	v_div_scale_f64 v[15:16], null, s[94:95], s[94:95], v[29:30]
	v_rcp_f64_e32 v[37:38], v[1:2]
	s_delay_alu instid0(VALU_DEP_1) | instskip(SKIP_3) | instid1(VALU_DEP_2)
	v_rcp_f64_e32 v[39:40], v[15:16]
	s_waitcnt_depctr 0xfff
	v_fma_f64 v[41:42], -v[1:2], v[37:38], 1.0
	v_fma_f64 v[43:44], -v[15:16], v[39:40], 1.0
	v_fma_f64 v[37:38], v[37:38], v[41:42], v[37:38]
	s_delay_alu instid0(VALU_DEP_2) | instskip(NEXT) | instid1(VALU_DEP_2)
	v_fma_f64 v[39:40], v[39:40], v[43:44], v[39:40]
	v_fma_f64 v[41:42], -v[1:2], v[37:38], 1.0
	s_delay_alu instid0(VALU_DEP_2) | instskip(NEXT) | instid1(VALU_DEP_2)
	v_fma_f64 v[43:44], -v[15:16], v[39:40], 1.0
	v_fma_f64 v[37:38], v[37:38], v[41:42], v[37:38]
	v_div_scale_f64 v[41:42], s3, v[29:30], s[94:95], v[29:30]
	s_delay_alu instid0(VALU_DEP_3) | instskip(NEXT) | instid1(VALU_DEP_3)
	v_fma_f64 v[39:40], v[39:40], v[43:44], v[39:40]
	v_mul_f64 v[43:44], v[45:46], v[37:38]
	s_delay_alu instid0(VALU_DEP_2) | instskip(NEXT) | instid1(VALU_DEP_2)
	v_mul_f64 v[47:48], v[41:42], v[39:40]
	v_fma_f64 v[1:2], -v[1:2], v[43:44], v[45:46]
	s_delay_alu instid0(VALU_DEP_2) | instskip(NEXT) | instid1(VALU_DEP_2)
	v_fma_f64 v[15:16], -v[15:16], v[47:48], v[41:42]
	v_div_fmas_f64 v[1:2], v[1:2], v[37:38], v[43:44]
	s_mov_b32 vcc_lo, s3
	s_delay_alu instid0(VALU_DEP_2) | instskip(NEXT) | instid1(VALU_DEP_2)
	v_div_fmas_f64 v[15:16], v[15:16], v[39:40], v[47:48]
	v_div_fixup_f64 v[27:28], v[1:2], s[94:95], v[27:28]
	v_lshlrev_b64 v[1:2], 4, v[25:26]
	s_delay_alu instid0(VALU_DEP_3) | instskip(NEXT) | instid1(VALU_DEP_2)
	v_div_fixup_f64 v[29:30], v[15:16], s[94:95], v[29:30]
	v_add_co_u32 v1, vcc_lo, s101, v1
	s_delay_alu instid0(VALU_DEP_3)
	v_add_co_ci_u32_e32 v2, vcc_lo, s102, v2, vcc_lo
	global_store_b128 v[1:2], v[27:30], off
	s_or_b32 exec_lo, exec_lo, s4
	s_and_saveexec_b32 s3, s2
	s_cbranch_execz .LBB180_259
.LBB180_294:                            ;   in Loop: Header=BB180_145 Depth=1
	v_bfi_b32 v32, 0x7fffffff, v32, v8
	v_div_scale_f64 v[1:2], null, s[94:95], s[94:95], v[13:14]
	v_div_scale_f64 v[37:38], vcc_lo, v[13:14], s[94:95], v[13:14]
	s_delay_alu instid0(VALU_DEP_3) | instskip(NEXT) | instid1(VALU_DEP_3)
	v_div_scale_f64 v[7:8], null, s[94:95], s[94:95], v[31:32]
	v_rcp_f64_e32 v[15:16], v[1:2]
	s_delay_alu instid0(VALU_DEP_1) | instskip(SKIP_3) | instid1(VALU_DEP_2)
	v_rcp_f64_e32 v[25:26], v[7:8]
	s_waitcnt_depctr 0xfff
	v_fma_f64 v[27:28], -v[1:2], v[15:16], 1.0
	v_fma_f64 v[29:30], -v[7:8], v[25:26], 1.0
	v_fma_f64 v[15:16], v[15:16], v[27:28], v[15:16]
	s_delay_alu instid0(VALU_DEP_2) | instskip(NEXT) | instid1(VALU_DEP_2)
	v_fma_f64 v[25:26], v[25:26], v[29:30], v[25:26]
	v_fma_f64 v[27:28], -v[1:2], v[15:16], 1.0
	s_delay_alu instid0(VALU_DEP_2) | instskip(NEXT) | instid1(VALU_DEP_2)
	v_fma_f64 v[29:30], -v[7:8], v[25:26], 1.0
	v_fma_f64 v[15:16], v[15:16], v[27:28], v[15:16]
	v_div_scale_f64 v[27:28], s2, v[31:32], s[94:95], v[31:32]
	s_delay_alu instid0(VALU_DEP_3) | instskip(NEXT) | instid1(VALU_DEP_3)
	v_fma_f64 v[25:26], v[25:26], v[29:30], v[25:26]
	v_mul_f64 v[29:30], v[37:38], v[15:16]
	s_delay_alu instid0(VALU_DEP_2) | instskip(NEXT) | instid1(VALU_DEP_2)
	v_mul_f64 v[39:40], v[27:28], v[25:26]
	v_fma_f64 v[1:2], -v[1:2], v[29:30], v[37:38]
	s_delay_alu instid0(VALU_DEP_2) | instskip(NEXT) | instid1(VALU_DEP_2)
	v_fma_f64 v[7:8], -v[7:8], v[39:40], v[27:28]
	v_div_fmas_f64 v[1:2], v[1:2], v[15:16], v[29:30]
	s_mov_b32 vcc_lo, s2
	s_delay_alu instid0(VALU_DEP_2) | instskip(NEXT) | instid1(VALU_DEP_2)
	v_div_fmas_f64 v[7:8], v[7:8], v[25:26], v[39:40]
	v_div_fixup_f64 v[13:14], v[1:2], s[94:95], v[13:14]
	v_lshlrev_b64 v[1:2], 4, v[23:24]
	s_delay_alu instid0(VALU_DEP_3) | instskip(NEXT) | instid1(VALU_DEP_2)
	v_div_fixup_f64 v[15:16], v[7:8], s[94:95], v[31:32]
	v_add_co_u32 v1, vcc_lo, s101, v1
	s_delay_alu instid0(VALU_DEP_3)
	v_add_co_ci_u32_e32 v2, vcc_lo, s102, v2, vcc_lo
	global_store_b128 v[1:2], v[13:16], off
	s_or_b32 exec_lo, exec_lo, s3
	s_and_saveexec_b32 s2, s1
	s_cbranch_execz .LBB180_260
.LBB180_295:                            ;   in Loop: Header=BB180_145 Depth=1
	v_bfi_b32 v34, 0x7fffffff, v34, v12
	s_delay_alu instid0(VALU_DEP_3) | instskip(SKIP_1) | instid1(VALU_DEP_3)
	v_div_scale_f64 v[1:2], null, s[94:95], s[94:95], v[5:6]
	v_div_scale_f64 v[25:26], vcc_lo, v[5:6], s[94:95], v[5:6]
	v_div_scale_f64 v[7:8], null, s[94:95], s[94:95], v[33:34]
	s_delay_alu instid0(VALU_DEP_3) | instskip(NEXT) | instid1(VALU_DEP_1)
	v_rcp_f64_e32 v[11:12], v[1:2]
	v_rcp_f64_e32 v[13:14], v[7:8]
	s_waitcnt_depctr 0xfff
	v_fma_f64 v[15:16], -v[1:2], v[11:12], 1.0
	v_fma_f64 v[23:24], -v[7:8], v[13:14], 1.0
	s_delay_alu instid0(VALU_DEP_2) | instskip(NEXT) | instid1(VALU_DEP_2)
	v_fma_f64 v[11:12], v[11:12], v[15:16], v[11:12]
	v_fma_f64 v[13:14], v[13:14], v[23:24], v[13:14]
	s_delay_alu instid0(VALU_DEP_2) | instskip(NEXT) | instid1(VALU_DEP_2)
	v_fma_f64 v[15:16], -v[1:2], v[11:12], 1.0
	v_fma_f64 v[23:24], -v[7:8], v[13:14], 1.0
	s_delay_alu instid0(VALU_DEP_2) | instskip(SKIP_1) | instid1(VALU_DEP_3)
	v_fma_f64 v[11:12], v[11:12], v[15:16], v[11:12]
	v_div_scale_f64 v[15:16], s1, v[33:34], s[94:95], v[33:34]
	v_fma_f64 v[13:14], v[13:14], v[23:24], v[13:14]
	s_delay_alu instid0(VALU_DEP_3) | instskip(NEXT) | instid1(VALU_DEP_2)
	v_mul_f64 v[23:24], v[25:26], v[11:12]
	v_mul_f64 v[27:28], v[15:16], v[13:14]
	s_delay_alu instid0(VALU_DEP_2) | instskip(NEXT) | instid1(VALU_DEP_2)
	v_fma_f64 v[1:2], -v[1:2], v[23:24], v[25:26]
	v_fma_f64 v[7:8], -v[7:8], v[27:28], v[15:16]
	s_delay_alu instid0(VALU_DEP_2) | instskip(SKIP_1) | instid1(VALU_DEP_2)
	v_div_fmas_f64 v[1:2], v[1:2], v[11:12], v[23:24]
	s_mov_b32 vcc_lo, s1
	v_div_fmas_f64 v[7:8], v[7:8], v[13:14], v[27:28]
	s_delay_alu instid0(VALU_DEP_2) | instskip(SKIP_1) | instid1(VALU_DEP_3)
	v_div_fixup_f64 v[5:6], v[1:2], s[94:95], v[5:6]
	v_lshlrev_b64 v[1:2], 4, v[21:22]
	v_div_fixup_f64 v[7:8], v[7:8], s[94:95], v[33:34]
	s_delay_alu instid0(VALU_DEP_2) | instskip(NEXT) | instid1(VALU_DEP_3)
	v_add_co_u32 v1, vcc_lo, s101, v1
	v_add_co_ci_u32_e32 v2, vcc_lo, s102, v2, vcc_lo
	global_store_b128 v[1:2], v[5:8], off
	s_or_b32 exec_lo, exec_lo, s2
	s_and_saveexec_b32 s1, s0
	s_cbranch_execz .LBB180_144
.LBB180_296:                            ;   in Loop: Header=BB180_145 Depth=1
	v_bfi_b32 v36, 0x7fffffff, v36, v4
	s_delay_alu instid0(VALU_DEP_2) | instskip(SKIP_1) | instid1(VALU_DEP_3)
	v_div_scale_f64 v[1:2], null, s[94:95], s[94:95], v[9:10]
	v_div_scale_f64 v[15:16], vcc_lo, v[9:10], s[94:95], v[9:10]
	v_div_scale_f64 v[3:4], null, s[94:95], s[94:95], v[35:36]
	s_delay_alu instid0(VALU_DEP_3) | instskip(NEXT) | instid1(VALU_DEP_1)
	v_rcp_f64_e32 v[5:6], v[1:2]
	v_rcp_f64_e32 v[7:8], v[3:4]
	s_waitcnt_depctr 0xfff
	v_fma_f64 v[11:12], -v[1:2], v[5:6], 1.0
	v_fma_f64 v[13:14], -v[3:4], v[7:8], 1.0
	s_delay_alu instid0(VALU_DEP_2) | instskip(NEXT) | instid1(VALU_DEP_2)
	v_fma_f64 v[5:6], v[5:6], v[11:12], v[5:6]
	v_fma_f64 v[7:8], v[7:8], v[13:14], v[7:8]
	s_delay_alu instid0(VALU_DEP_2) | instskip(NEXT) | instid1(VALU_DEP_2)
	v_fma_f64 v[11:12], -v[1:2], v[5:6], 1.0
	v_fma_f64 v[13:14], -v[3:4], v[7:8], 1.0
	s_delay_alu instid0(VALU_DEP_2) | instskip(SKIP_1) | instid1(VALU_DEP_3)
	v_fma_f64 v[5:6], v[5:6], v[11:12], v[5:6]
	v_div_scale_f64 v[11:12], s0, v[35:36], s[94:95], v[35:36]
	v_fma_f64 v[7:8], v[7:8], v[13:14], v[7:8]
	s_delay_alu instid0(VALU_DEP_3) | instskip(NEXT) | instid1(VALU_DEP_2)
	v_mul_f64 v[13:14], v[15:16], v[5:6]
	v_mul_f64 v[21:22], v[11:12], v[7:8]
	s_delay_alu instid0(VALU_DEP_2) | instskip(NEXT) | instid1(VALU_DEP_2)
	v_fma_f64 v[1:2], -v[1:2], v[13:14], v[15:16]
	v_fma_f64 v[3:4], -v[3:4], v[21:22], v[11:12]
	s_delay_alu instid0(VALU_DEP_2) | instskip(SKIP_2) | instid1(VALU_DEP_3)
	v_div_fmas_f64 v[1:2], v[1:2], v[5:6], v[13:14]
	s_mov_b32 vcc_lo, s0
	v_lshlrev_b64 v[5:6], 4, v[19:20]
	v_div_fmas_f64 v[3:4], v[3:4], v[7:8], v[21:22]
	s_delay_alu instid0(VALU_DEP_2) | instskip(NEXT) | instid1(VALU_DEP_3)
	v_add_co_u32 v5, vcc_lo, s101, v5
	v_add_co_ci_u32_e32 v6, vcc_lo, s102, v6, vcc_lo
	v_div_fixup_f64 v[1:2], v[1:2], s[94:95], v[9:10]
	s_delay_alu instid0(VALU_DEP_4)
	v_div_fixup_f64 v[3:4], v[3:4], s[94:95], v[35:36]
	global_store_b128 v[5:6], v[1:4], off
	s_branch .LBB180_144
.LBB180_297:
	s_nop 0
	s_sendmsg sendmsg(MSG_DEALLOC_VGPRS)
	s_endpgm
	.section	.rodata,"a",@progbits
	.p2align	6, 0x0
	.amdhsa_kernel _ZN2at6native12_GLOBAL__N_125multi_tensor_apply_kernelINS1_18TensorListMetadataILi2EEENS1_14UnaryOpFunctorIN3c107complexIdEELi2ELi1ELi1EEEJNS0_5Log10IS8_EEEEEvT_T0_DpT1_
		.amdhsa_group_segment_fixed_size 0
		.amdhsa_private_segment_fixed_size 0
		.amdhsa_kernarg_size 3408
		.amdhsa_user_sgpr_count 15
		.amdhsa_user_sgpr_dispatch_ptr 0
		.amdhsa_user_sgpr_queue_ptr 0
		.amdhsa_user_sgpr_kernarg_segment_ptr 1
		.amdhsa_user_sgpr_dispatch_id 0
		.amdhsa_user_sgpr_private_segment_size 0
		.amdhsa_wavefront_size32 1
		.amdhsa_uses_dynamic_stack 0
		.amdhsa_enable_private_segment 0
		.amdhsa_system_sgpr_workgroup_id_x 1
		.amdhsa_system_sgpr_workgroup_id_y 0
		.amdhsa_system_sgpr_workgroup_id_z 0
		.amdhsa_system_sgpr_workgroup_info 0
		.amdhsa_system_vgpr_workitem_id 0
		.amdhsa_next_free_vgpr 89
		.amdhsa_next_free_sgpr 105
		.amdhsa_reserve_vcc 1
		.amdhsa_float_round_mode_32 0
		.amdhsa_float_round_mode_16_64 0
		.amdhsa_float_denorm_mode_32 3
		.amdhsa_float_denorm_mode_16_64 3
		.amdhsa_dx10_clamp 1
		.amdhsa_ieee_mode 1
		.amdhsa_fp16_overflow 0
		.amdhsa_workgroup_processor_mode 1
		.amdhsa_memory_ordered 1
		.amdhsa_forward_progress 0
		.amdhsa_shared_vgpr_count 0
		.amdhsa_exception_fp_ieee_invalid_op 0
		.amdhsa_exception_fp_denorm_src 0
		.amdhsa_exception_fp_ieee_div_zero 0
		.amdhsa_exception_fp_ieee_overflow 0
		.amdhsa_exception_fp_ieee_underflow 0
		.amdhsa_exception_fp_ieee_inexact 0
		.amdhsa_exception_int_div_zero 0
	.end_amdhsa_kernel
	.section	.text._ZN2at6native12_GLOBAL__N_125multi_tensor_apply_kernelINS1_18TensorListMetadataILi2EEENS1_14UnaryOpFunctorIN3c107complexIdEELi2ELi1ELi1EEEJNS0_5Log10IS8_EEEEEvT_T0_DpT1_,"axG",@progbits,_ZN2at6native12_GLOBAL__N_125multi_tensor_apply_kernelINS1_18TensorListMetadataILi2EEENS1_14UnaryOpFunctorIN3c107complexIdEELi2ELi1ELi1EEEJNS0_5Log10IS8_EEEEEvT_T0_DpT1_,comdat
.Lfunc_end180:
	.size	_ZN2at6native12_GLOBAL__N_125multi_tensor_apply_kernelINS1_18TensorListMetadataILi2EEENS1_14UnaryOpFunctorIN3c107complexIdEELi2ELi1ELi1EEEJNS0_5Log10IS8_EEEEEvT_T0_DpT1_, .Lfunc_end180-_ZN2at6native12_GLOBAL__N_125multi_tensor_apply_kernelINS1_18TensorListMetadataILi2EEENS1_14UnaryOpFunctorIN3c107complexIdEELi2ELi1ELi1EEEJNS0_5Log10IS8_EEEEEvT_T0_DpT1_
                                        ; -- End function
	.section	.AMDGPU.csdata,"",@progbits
; Kernel info:
; codeLenInByte = 101928
; NumSgprs: 107
; NumVgprs: 89
; ScratchSize: 0
; MemoryBound: 1
; FloatMode: 240
; IeeeMode: 1
; LDSByteSize: 0 bytes/workgroup (compile time only)
; SGPRBlocks: 13
; VGPRBlocks: 11
; NumSGPRsForWavesPerEU: 107
; NumVGPRsForWavesPerEU: 89
; Occupancy: 16
; WaveLimiterHint : 0
; COMPUTE_PGM_RSRC2:SCRATCH_EN: 0
; COMPUTE_PGM_RSRC2:USER_SGPR: 15
; COMPUTE_PGM_RSRC2:TRAP_HANDLER: 0
; COMPUTE_PGM_RSRC2:TGID_X_EN: 1
; COMPUTE_PGM_RSRC2:TGID_Y_EN: 0
; COMPUTE_PGM_RSRC2:TGID_Z_EN: 0
; COMPUTE_PGM_RSRC2:TIDIG_COMP_CNT: 0
	.section	.text._ZN2at6native12_GLOBAL__N_125multi_tensor_apply_kernelINS1_18TensorListMetadataILi2EEENS1_14UnaryOpFunctorIN3c107complexIfEELi2ELi1ELi1EEEJNS0_5Log10IS8_EEEEEvT_T0_DpT1_,"axG",@progbits,_ZN2at6native12_GLOBAL__N_125multi_tensor_apply_kernelINS1_18TensorListMetadataILi2EEENS1_14UnaryOpFunctorIN3c107complexIfEELi2ELi1ELi1EEEJNS0_5Log10IS8_EEEEEvT_T0_DpT1_,comdat
	.globl	_ZN2at6native12_GLOBAL__N_125multi_tensor_apply_kernelINS1_18TensorListMetadataILi2EEENS1_14UnaryOpFunctorIN3c107complexIfEELi2ELi1ELi1EEEJNS0_5Log10IS8_EEEEEvT_T0_DpT1_ ; -- Begin function _ZN2at6native12_GLOBAL__N_125multi_tensor_apply_kernelINS1_18TensorListMetadataILi2EEENS1_14UnaryOpFunctorIN3c107complexIfEELi2ELi1ELi1EEEJNS0_5Log10IS8_EEEEEvT_T0_DpT1_
	.p2align	8
	.type	_ZN2at6native12_GLOBAL__N_125multi_tensor_apply_kernelINS1_18TensorListMetadataILi2EEENS1_14UnaryOpFunctorIN3c107complexIfEELi2ELi1ELi1EEEJNS0_5Log10IS8_EEEEEvT_T0_DpT1_,@function
_ZN2at6native12_GLOBAL__N_125multi_tensor_apply_kernelINS1_18TensorListMetadataILi2EEENS1_14UnaryOpFunctorIN3c107complexIfEELi2ELi1ELi1EEEJNS0_5Log10IS8_EEEEEvT_T0_DpT1_: ; @_ZN2at6native12_GLOBAL__N_125multi_tensor_apply_kernelINS1_18TensorListMetadataILi2EEENS1_14UnaryOpFunctorIN3c107complexIfEELi2ELi1ELi1EEEJNS0_5Log10IS8_EEEEEvT_T0_DpT1_
; %bb.0:
	v_mov_b32_e32 v1, s15
	s_add_u32 s2, s0, s15
	s_mul_hi_u32 s3, s15, 3
	s_mul_i32 s15, s15, 3
	s_addc_u32 s4, s1, 0
	global_load_u8 v1, v1, s[0:1] offset:1536
	s_add_u32 s2, s2, s15
	s_addc_u32 s3, s4, s3
	s_mov_b32 s13, 0
	s_load_b32 s2, s[2:3], 0x740
	s_mov_b32 s17, s13
	s_waitcnt vmcnt(0)
	v_readfirstlane_b32 s5, v1
	s_delay_alu instid0(VALU_DEP_1)
	s_lshl_b32 s3, s5, 3
	s_clause 0x2
	s_load_b64 s[4:5], s[0:1], s3 offset:0x0
	s_load_b64 s[6:7], s[0:1], s3 offset:0x200
	;; [unrolled: 1-line block ×3, first 2 shown]
	s_waitcnt lgkmcnt(0)
	s_ashr_i32 s3, s2, 31
	s_delay_alu instid0(SALU_CYCLE_1) | instskip(NEXT) | instid1(SALU_CYCLE_1)
	s_lshl_b64 s[14:15], s[2:3], 19
	s_add_u32 s11, s4, s14
	s_addc_u32 s18, s5, s15
	s_add_u32 s19, s6, s14
	s_addc_u32 s20, s7, s15
	s_and_b32 s16, s11, 31
	s_and_b32 s4, s8, 3
	s_mov_b32 s5, s13
	s_and_b32 s12, s19, 31
	s_or_b64 s[4:5], s[16:17], s[4:5]
	s_lshl_b64 s[2:3], s[2:3], 16
	s_or_b64 s[4:5], s[12:13], s[4:5]
	s_sub_u32 s12, s8, s2
	s_subb_u32 s13, s9, s3
	s_cmp_eq_u64 s[4:5], 0
	s_mov_b32 s2, -1
	s_cbranch_scc0 .LBB181_141
; %bb.1:
	v_dual_mov_b32 v2, 0 :: v_dual_lshlrev_b32 v1, 2, v0
	s_mov_b32 s9, exec_lo
	s_delay_alu instid0(VALU_DEP_1)
	v_cmpx_gt_i64_e64 s[12:13], v[1:2]
	s_cbranch_execz .LBB181_140
; %bb.2:
	s_load_b32 s2, s[0:1], 0xc5c
	v_mov_b32_e32 v1, v2
	v_mov_b32_e32 v13, 0x4016cbe4
	s_mov_b32 s10, 0
	s_mov_b32 s14, 0x3e9b6dac
	;; [unrolled: 1-line block ×3, first 2 shown]
	v_dual_mov_b32 v10, v1 :: v_dual_mov_b32 v9, v0
	s_waitcnt lgkmcnt(0)
	s_and_b32 s15, s2, 0xffff
	s_branch .LBB181_5
.LBB181_3:                              ;   in Loop: Header=BB181_5 Depth=1
	s_or_b32 exec_lo, exec_lo, s3
	s_delay_alu instid0(VALU_DEP_1) | instskip(SKIP_1) | instid1(VALU_DEP_1)
	v_cmp_gt_f32_e32 vcc_lo, 0x800000, v1
	v_cndmask_b32_e64 v3, 1.0, 0x4f800000, vcc_lo
	v_mul_f32_e32 v1, v1, v3
	s_delay_alu instid0(VALU_DEP_1) | instskip(SKIP_2) | instid1(VALU_DEP_1)
	v_log_f32_e32 v1, v1
	s_waitcnt_depctr 0xfff
	v_mul_f32_e32 v3, 0x3f317217, v1
	v_fma_f32 v18, 0x3f317217, v1, -v3
	s_delay_alu instid0(VALU_DEP_1) | instskip(NEXT) | instid1(VALU_DEP_1)
	v_fmac_f32_e32 v18, 0x3377d1cf, v1
	v_add_f32_e32 v3, v3, v18
	v_cndmask_b32_e64 v18, 0, 0x41b17218, vcc_lo
	v_cmp_gt_f32_e64 vcc_lo, 0x7f800000, |v1|
	s_delay_alu instid0(VALU_DEP_3) | instskip(NEXT) | instid1(VALU_DEP_1)
	v_cndmask_b32_e32 v1, v1, v3, vcc_lo
	v_dual_sub_f32 v1, v1, v18 :: v_dual_mov_b32 v18, 0x7fc00000
.LBB181_4:                              ;   in Loop: Header=BB181_5 Depth=1
	s_or_b32 exec_lo, exec_lo, s2
	v_div_scale_f32 v3, null, 0x40135d8e, 0x40135d8e, v7
	v_bfi_b32 v17, 0x7fffffff, v17, v2
	v_div_scale_f32 v2, null, 0x40135d8e, 0x40135d8e, v5
	s_delay_alu instid0(VALU_DEP_3) | instskip(SKIP_1) | instid1(VALU_DEP_3)
	v_rcp_f32_e32 v19, v3
	v_bfi_b32 v8, 0x7fffffff, v16, v8
	v_div_scale_f32 v20, null, 0x40135d8e, 0x40135d8e, v17
	s_delay_alu instid0(VALU_DEP_3) | instskip(SKIP_1) | instid1(VALU_DEP_2)
	v_rcp_f32_e32 v21, v2
	v_div_scale_f32 v28, null, 0x40135d8e, 0x40135d8e, v14
	v_rcp_f32_e32 v22, v20
	v_div_scale_f32 v27, null, 0x40135d8e, 0x40135d8e, v8
	s_delay_alu instid0(TRANS32_DEP_3) | instskip(SKIP_1) | instid1(VALU_DEP_3)
	v_fma_f32 v16, -v3, v19, 1.0
	v_div_scale_f32 v23, vcc_lo, v7, 0x40135d8e, v7
	v_rcp_f32_e32 v29, v27
	s_delay_alu instid0(TRANS32_DEP_3) | instskip(SKIP_3) | instid1(TRANS32_DEP_3)
	v_fma_f32 v26, -v2, v21, 1.0
	v_bfi_b32 v15, 0x7fffffff, v15, v6
	v_rcp_f32_e32 v6, v28
	v_fmac_f32_e32 v19, v16, v19
	v_fma_f32 v16, -v20, v22, 1.0
	v_div_scale_f32 v24, s2, v5, 0x40135d8e, v5
	v_div_scale_f32 v25, s3, v17, 0x40135d8e, v17
	s_delay_alu instid0(VALU_DEP_4) | instskip(NEXT) | instid1(TRANS32_DEP_2)
	v_dual_fmac_f32 v21, v26, v21 :: v_dual_mul_f32 v26, v23, v19
	v_fma_f32 v34, -v27, v29, 1.0
	v_fmac_f32_e32 v22, v16, v22
	v_div_scale_f32 v33, null, 0x40135d8e, 0x40135d8e, v15
	s_delay_alu instid0(VALU_DEP_4) | instskip(NEXT) | instid1(VALU_DEP_4)
	v_fma_f32 v30, -v3, v26, v23
	v_fmac_f32_e32 v29, v34, v29
	s_delay_alu instid0(VALU_DEP_4) | instskip(SKIP_1) | instid1(VALU_DEP_4)
	v_dual_mul_f32 v16, v24, v21 :: v_dual_mul_f32 v31, v25, v22
	v_bfi_b32 v18, 0x7fffffff, v18, v4
	v_fmac_f32_e32 v26, v30, v19
	s_delay_alu instid0(VALU_DEP_3) | instskip(NEXT) | instid1(VALU_DEP_4)
	v_fma_f32 v32, -v2, v16, v24
	v_fma_f32 v30, -v20, v31, v25
	s_delay_alu instid0(VALU_DEP_3) | instskip(SKIP_1) | instid1(VALU_DEP_2)
	v_fma_f32 v3, -v3, v26, v23
	v_rcp_f32_e32 v23, v33
	v_dual_fmac_f32 v16, v32, v21 :: v_dual_fmac_f32 v31, v30, v22
	s_delay_alu instid0(VALU_DEP_2) | instskip(SKIP_1) | instid1(VALU_DEP_2)
	v_div_fmas_f32 v3, v3, v19, v26
	s_mov_b32 vcc_lo, s3
	v_fma_f32 v24, -v2, v16, v24
	s_delay_alu instid0(VALU_DEP_3) | instskip(SKIP_2) | instid1(VALU_DEP_3)
	v_fma_f32 v19, -v20, v31, v25
	v_div_scale_f32 v20, s4, v8, 0x40135d8e, v8
	v_div_fixup_f32 v2, v3, 0x40135d8e, v7
	v_div_fmas_f32 v19, v19, v22, v31
	v_fma_f32 v22, -v28, v6, 1.0
	s_delay_alu instid0(VALU_DEP_4) | instskip(SKIP_1) | instid1(VALU_DEP_3)
	v_mul_f32_e32 v7, v20, v29
	s_mov_b32 vcc_lo, s2
	v_div_fixup_f32 v3, v19, 0x40135d8e, v17
	v_div_scale_f32 v17, null, 0x40135d8e, 0x40135d8e, v1
	v_fmac_f32_e32 v6, v22, v6
	v_fma_f32 v22, -v33, v23, 1.0
	v_fma_f32 v4, -v27, v7, v20
	s_delay_alu instid0(VALU_DEP_4) | instskip(SKIP_1) | instid1(VALU_DEP_3)
	v_rcp_f32_e32 v25, v17
	v_div_scale_f32 v19, s3, v14, 0x40135d8e, v14
	v_fmac_f32_e32 v23, v22, v23
	v_div_scale_f32 v22, null, 0x40135d8e, 0x40135d8e, v18
	v_div_fmas_f32 v16, v24, v21, v16
	v_fmac_f32_e32 v7, v4, v29
	v_div_scale_f32 v24, s2, v15, 0x40135d8e, v15
	s_delay_alu instid0(VALU_DEP_4) | instskip(NEXT) | instid1(TRANS32_DEP_2)
	v_rcp_f32_e32 v30, v22
	v_fma_f32 v26, -v17, v25, 1.0
	v_div_fixup_f32 v16, v16, 0x40135d8e, v5
	v_fma_f32 v5, -v27, v7, v20
	s_mov_b32 vcc_lo, s4
	s_delay_alu instid0(VALU_DEP_3) | instskip(SKIP_2) | instid1(TRANS32_DEP_1)
	v_fmac_f32_e32 v25, v26, v25
	v_div_scale_f32 v26, s5, v1, 0x40135d8e, v1
	v_mul_f32_e32 v21, v19, v6
	v_fma_f32 v27, -v22, v30, 1.0
	v_div_fmas_f32 v7, v5, v29, v7
	s_delay_alu instid0(VALU_DEP_4) | instskip(SKIP_3) | instid1(VALU_DEP_2)
	v_mul_f32_e32 v20, v26, v25
	s_mov_b32 vcc_lo, s3
	v_fma_f32 v4, -v28, v21, v19
	v_dual_fmac_f32 v30, v27, v30 :: v_dual_mul_f32 v31, v24, v23
	v_fmac_f32_e32 v21, v4, v6
	s_delay_alu instid0(VALU_DEP_2) | instskip(NEXT) | instid1(VALU_DEP_2)
	v_fma_f32 v4, -v33, v31, v24
	v_fma_f32 v5, -v28, v21, v19
	v_div_scale_f32 v19, s4, v18, 0x40135d8e, v18
	s_delay_alu instid0(VALU_DEP_3) | instskip(SKIP_1) | instid1(VALU_DEP_4)
	v_fmac_f32_e32 v31, v4, v23
	v_fma_f32 v4, -v17, v20, v26
	v_div_fmas_f32 v21, v5, v6, v21
	s_mov_b32 vcc_lo, s2
	s_delay_alu instid0(VALU_DEP_3) | instskip(NEXT) | instid1(VALU_DEP_3)
	v_fma_f32 v5, -v33, v31, v24
	v_fmac_f32_e32 v20, v4, v25
	v_mul_f32_e32 v24, v19, v30
	v_div_fixup_f32 v14, v21, 0x40135d8e, v14
	s_delay_alu instid0(VALU_DEP_4)
	v_div_fmas_f32 v4, v5, v23, v31
	v_add_co_u32 v9, vcc_lo, v9, s15
	v_fma_f32 v5, -v17, v20, v26
	v_fma_f32 v6, -v22, v24, v19
	v_add_co_ci_u32_e32 v10, vcc_lo, 0, v10, vcc_lo
	s_mov_b32 vcc_lo, s5
	v_div_fixup_f32 v15, v4, 0x40135d8e, v15
	s_delay_alu instid0(VALU_DEP_3) | instskip(SKIP_4) | instid1(VALU_DEP_3)
	v_fmac_f32_e32 v24, v6, v30
	v_div_fmas_f32 v20, v5, v25, v20
	v_lshlrev_b64 v[5:6], 2, v[9:10]
	s_mov_b32 vcc_lo, s4
	v_div_fixup_f32 v17, v7, 0x40135d8e, v8
	v_div_fixup_f32 v4, v20, 0x40135d8e, v1
	v_fma_f32 v1, -v22, v24, v19
	s_delay_alu instid0(VALU_DEP_4) | instskip(SKIP_1) | instid1(VALU_DEP_3)
	v_cmp_le_i64_e64 s2, s[12:13], v[5:6]
	v_cmp_lt_u64_e64 s3, 0xffff, v[5:6]
	v_div_fmas_f32 v1, v1, v30, v24
	v_add_co_u32 v6, vcc_lo, s19, v11
	s_delay_alu instid0(VALU_DEP_3) | instskip(SKIP_1) | instid1(VALU_DEP_3)
	s_or_b32 s2, s2, s3
	v_add_co_ci_u32_e32 v7, vcc_lo, s20, v12, vcc_lo
	v_div_fixup_f32 v5, v1, 0x40135d8e, v18
	s_and_b32 s2, exec_lo, s2
	s_clause 0x1
	global_store_b128 v[6:7], v[14:17], off
	global_store_b128 v[6:7], v[2:5], off offset:16
	s_or_b32 s10, s2, s10
	s_delay_alu instid0(SALU_CYCLE_1)
	s_and_not1_b32 exec_lo, exec_lo, s10
	s_cbranch_execz .LBB181_140
.LBB181_5:                              ; =>This Loop Header: Depth=1
                                        ;     Child Loop BB181_16 Depth 2
                                        ;     Child Loop BB181_50 Depth 2
	;; [unrolled: 1-line block ×4, first 2 shown]
	s_delay_alu instid0(VALU_DEP_1) | instskip(SKIP_1) | instid1(VALU_DEP_1)
	v_lshlrev_b64 v[11:12], 5, v[9:10]
                                        ; implicit-def: $vgpr14
                                        ; implicit-def: $vgpr15
	s_mov_b32 s2, exec_lo
	v_add_co_u32 v1, vcc_lo, s11, v11
	s_delay_alu instid0(VALU_DEP_2)
	v_add_co_ci_u32_e32 v2, vcc_lo, s18, v12, vcc_lo
	s_clause 0x1
	global_load_b128 v[5:8], v[1:2], off
	global_load_b128 v[1:4], v[1:2], off offset:16
	s_waitcnt vmcnt(1)
	v_cmpx_o_f32_e32 v6, v5
	s_xor_b32 s17, exec_lo, s2
	s_cbranch_execz .LBB181_33
; %bb.6:                                ;   in Loop: Header=BB181_5 Depth=1
	v_cmp_lt_f32_e64 s2, |v5|, |v6|
                                        ; implicit-def: $vgpr14
                                        ; implicit-def: $vgpr15
	s_mov_b32 s3, exec_lo
	s_delay_alu instid0(VALU_DEP_1) | instskip(NEXT) | instid1(VALU_DEP_1)
	v_cndmask_b32_e64 v16, |v6|, |v5|, s2
	v_cmpx_nlt_f32_e32 0x77f684df, v16
	s_xor_b32 s21, exec_lo, s3
	s_cbranch_execz .LBB181_30
; %bb.7:                                ;   in Loop: Header=BB181_5 Depth=1
	v_and_b32_e32 v14, 0x7fffffff, v6
                                        ; implicit-def: $vgpr15
	s_mov_b32 s3, exec_lo
	s_delay_alu instid0(VALU_DEP_1) | instskip(NEXT) | instid1(VALU_DEP_1)
	v_cndmask_b32_e64 v17, |v5|, v14, s2
                                        ; implicit-def: $vgpr14
	v_cmpx_neq_f32_e32 1.0, v17
	s_xor_b32 s22, exec_lo, s3
	s_cbranch_execz .LBB181_23
; %bb.8:                                ;   in Loop: Header=BB181_5 Depth=1
	v_dual_max_f32 v14, v16, v16 :: v_dual_max_f32 v15, v17, v17
	s_delay_alu instid0(VALU_DEP_1) | instskip(SKIP_1) | instid1(VALU_DEP_2)
	v_min_f32_e32 v18, v15, v14
	v_max_f32_e32 v14, v15, v14
                                        ; implicit-def: $vgpr15
	v_cmp_ngt_f32_e32 vcc_lo, 0x358637bd, v18
	s_delay_alu instid0(VALU_DEP_2) | instskip(NEXT) | instid1(VALU_DEP_1)
	v_cmp_nlt_f32_e64 s3, 0x49742400, v14
                                        ; implicit-def: $vgpr14
	s_and_b32 s3, s3, vcc_lo
	s_delay_alu instid0(SALU_CYCLE_1) | instskip(NEXT) | instid1(SALU_CYCLE_1)
	s_and_saveexec_b32 s4, s3
	s_xor_b32 s23, exec_lo, s4
	s_cbranch_execz .LBB181_20
; %bb.9:                                ;   in Loop: Header=BB181_5 Depth=1
                                        ; implicit-def: $vgpr14
                                        ; implicit-def: $vgpr15
	s_mov_b32 s3, exec_lo
	v_cmpx_le_f32_e32 1.0, v17
	s_xor_b32 s4, exec_lo, s3
	s_cbranch_execz .LBB181_11
; %bb.10:                               ;   in Loop: Header=BB181_5 Depth=1
	v_add_f32_e32 v14, -1.0, v17
	v_add_f32_e32 v15, 1.0, v17
	v_cmp_class_f32_e64 s5, v5, 0x204
	s_delay_alu instid0(VALU_DEP_2) | instskip(NEXT) | instid1(VALU_DEP_1)
	v_mul_f32_e32 v17, v14, v15
	v_fmac_f32_e32 v17, v16, v16
	s_delay_alu instid0(VALU_DEP_1) | instskip(SKIP_1) | instid1(VALU_DEP_2)
	v_add_f32_e32 v16, 1.0, v17
	v_cmp_neq_f32_e64 s3, -1.0, v17
	v_cvt_f64_f32_e32 v[14:15], v16
	s_delay_alu instid0(VALU_DEP_1) | instskip(SKIP_1) | instid1(VALU_DEP_1)
	v_frexp_exp_i32_f64_e32 v14, v[14:15]
	v_frexp_mant_f32_e32 v15, v16
	v_cmp_gt_f32_e32 vcc_lo, 0x3f2aaaab, v15
	v_add_f32_e32 v15, -1.0, v16
	s_delay_alu instid0(VALU_DEP_1) | instskip(SKIP_3) | instid1(VALU_DEP_2)
	v_sub_f32_e32 v19, v15, v16
	v_sub_f32_e32 v15, v17, v15
	v_subrev_co_ci_u32_e32 v14, vcc_lo, 0, v14, vcc_lo
	v_cmp_eq_f32_e32 vcc_lo, 0x7f800000, v17
	v_sub_nc_u32_e32 v18, 0, v14
	v_cvt_f32_i32_e32 v14, v14
	s_delay_alu instid0(VALU_DEP_2) | instskip(NEXT) | instid1(VALU_DEP_1)
	v_ldexp_f32 v16, v16, v18
	v_dual_add_f32 v20, 1.0, v16 :: v_dual_add_f32 v19, 1.0, v19
	s_delay_alu instid0(VALU_DEP_1) | instskip(NEXT) | instid1(VALU_DEP_2)
	v_add_f32_e32 v15, v15, v19
	v_add_f32_e32 v19, -1.0, v20
	s_delay_alu instid0(VALU_DEP_2) | instskip(NEXT) | instid1(VALU_DEP_2)
	v_ldexp_f32 v15, v15, v18
	v_dual_add_f32 v18, -1.0, v16 :: v_dual_sub_f32 v19, v16, v19
	s_delay_alu instid0(VALU_DEP_1) | instskip(NEXT) | instid1(VALU_DEP_1)
	v_add_f32_e32 v21, 1.0, v18
	v_dual_add_f32 v19, v15, v19 :: v_dual_sub_f32 v16, v16, v21
	s_delay_alu instid0(VALU_DEP_1) | instskip(NEXT) | instid1(VALU_DEP_2)
	v_add_f32_e32 v21, v20, v19
	v_add_f32_e32 v15, v15, v16
	s_delay_alu instid0(VALU_DEP_2) | instskip(SKIP_1) | instid1(VALU_DEP_1)
	v_rcp_f32_e32 v16, v21
	v_sub_f32_e32 v20, v21, v20
	v_dual_add_f32 v22, v18, v15 :: v_dual_sub_f32 v19, v19, v20
	s_delay_alu instid0(VALU_DEP_1) | instskip(SKIP_2) | instid1(VALU_DEP_1)
	v_sub_f32_e32 v18, v22, v18
	s_waitcnt_depctr 0xfff
	v_mul_f32_e32 v23, v22, v16
	v_mul_f32_e32 v24, v21, v23
	s_delay_alu instid0(VALU_DEP_1) | instskip(NEXT) | instid1(VALU_DEP_1)
	v_fma_f32 v20, v23, v21, -v24
	v_fmac_f32_e32 v20, v23, v19
	s_delay_alu instid0(VALU_DEP_1) | instskip(NEXT) | instid1(VALU_DEP_1)
	v_add_f32_e32 v25, v24, v20
	v_sub_f32_e32 v26, v22, v25
	s_delay_alu instid0(VALU_DEP_1) | instskip(NEXT) | instid1(VALU_DEP_1)
	v_sub_f32_e32 v22, v22, v26
	v_dual_sub_f32 v22, v22, v25 :: v_dual_sub_f32 v15, v15, v18
	v_sub_f32_e32 v18, v25, v24
	s_delay_alu instid0(VALU_DEP_1) | instskip(NEXT) | instid1(VALU_DEP_1)
	v_dual_sub_f32 v18, v18, v20 :: v_dual_add_f32 v15, v15, v22
	v_add_f32_e32 v15, v18, v15
	s_delay_alu instid0(VALU_DEP_1) | instskip(NEXT) | instid1(VALU_DEP_1)
	v_add_f32_e32 v18, v26, v15
	v_mul_f32_e32 v20, v16, v18
	s_delay_alu instid0(VALU_DEP_1) | instskip(NEXT) | instid1(VALU_DEP_1)
	v_dual_sub_f32 v25, v26, v18 :: v_dual_mul_f32 v22, v21, v20
	v_fma_f32 v21, v20, v21, -v22
	s_delay_alu instid0(VALU_DEP_1) | instskip(NEXT) | instid1(VALU_DEP_1)
	v_fmac_f32_e32 v21, v20, v19
	v_add_f32_e32 v19, v22, v21
	s_delay_alu instid0(VALU_DEP_1) | instskip(SKIP_1) | instid1(VALU_DEP_2)
	v_sub_f32_e32 v24, v18, v19
	v_sub_f32_e32 v22, v19, v22
	v_dual_sub_f32 v18, v18, v24 :: v_dual_add_f32 v15, v15, v25
	s_delay_alu instid0(VALU_DEP_1) | instskip(NEXT) | instid1(VALU_DEP_1)
	v_sub_f32_e32 v18, v18, v19
	v_add_f32_e32 v15, v15, v18
	s_delay_alu instid0(VALU_DEP_4) | instskip(SKIP_1) | instid1(VALU_DEP_2)
	v_dual_add_f32 v18, v23, v20 :: v_dual_sub_f32 v19, v22, v21
	v_max_f32_e64 v21, |v6|, |v6|
	v_add_f32_e32 v15, v19, v15
	s_delay_alu instid0(VALU_DEP_3) | instskip(NEXT) | instid1(VALU_DEP_2)
	v_sub_f32_e32 v19, v18, v23
	v_dual_add_f32 v15, v24, v15 :: v_dual_mul_f32 v24, 0x3f317218, v14
	s_delay_alu instid0(VALU_DEP_2) | instskip(NEXT) | instid1(VALU_DEP_2)
	v_sub_f32_e32 v19, v20, v19
	v_mul_f32_e32 v15, v16, v15
	s_delay_alu instid0(VALU_DEP_3) | instskip(NEXT) | instid1(VALU_DEP_1)
	v_fma_f32 v25, 0x3f317218, v14, -v24
	v_fmac_f32_e32 v25, 0xb102e308, v14
	s_delay_alu instid0(VALU_DEP_3) | instskip(NEXT) | instid1(VALU_DEP_1)
	v_add_f32_e32 v15, v19, v15
	v_add_f32_e32 v16, v18, v15
	s_delay_alu instid0(VALU_DEP_1) | instskip(NEXT) | instid1(VALU_DEP_1)
	v_mul_f32_e32 v19, v16, v16
	v_fmaak_f32 v20, s14, v19, 0x3ecc95a3
	s_delay_alu instid0(VALU_DEP_1) | instskip(SKIP_2) | instid1(VALU_DEP_3)
	v_dual_mul_f32 v22, v16, v19 :: v_dual_fmaak_f32 v19, v19, v20, 0x3f2aaada
	v_max_f32_e64 v20, |v5|, |v5|
	v_ldexp_f32 v23, v16, 1
	v_dual_sub_f32 v16, v16, v18 :: v_dual_mul_f32 v19, v22, v19
	s_delay_alu instid0(VALU_DEP_3) | instskip(NEXT) | instid1(VALU_DEP_2)
	v_max_f32_e32 v22, v20, v21
	v_dual_min_f32 v20, v20, v21 :: v_dual_sub_f32 v15, v15, v16
	s_delay_alu instid0(VALU_DEP_3) | instskip(NEXT) | instid1(VALU_DEP_3)
	v_add_f32_e32 v18, v23, v19
	v_frexp_mant_f32_e32 v21, v22
	v_frexp_exp_i32_f32_e32 v22, v22
	s_delay_alu instid0(VALU_DEP_4) | instskip(NEXT) | instid1(VALU_DEP_4)
	v_ldexp_f32 v15, v15, 1
	v_sub_f32_e32 v16, v18, v23
	s_delay_alu instid0(VALU_DEP_4) | instskip(SKIP_1) | instid1(VALU_DEP_2)
	v_rcp_f32_e32 v21, v21
	v_frexp_exp_i32_f32_e32 v23, v20
	v_sub_f32_e32 v16, v19, v16
	v_frexp_mant_f32_e32 v19, v20
	s_delay_alu instid0(VALU_DEP_3) | instskip(NEXT) | instid1(VALU_DEP_3)
	v_sub_nc_u32_e32 v20, v23, v22
	v_add_f32_e32 v14, v15, v16
	s_waitcnt_depctr 0xfff
	v_mul_f32_e32 v15, v19, v21
	v_add_f32_e32 v16, v24, v25
	s_delay_alu instid0(VALU_DEP_2) | instskip(NEXT) | instid1(VALU_DEP_1)
	v_ldexp_f32 v15, v15, v20
	v_dual_sub_f32 v24, v16, v24 :: v_dual_mul_f32 v21, v15, v15
	s_delay_alu instid0(VALU_DEP_1) | instskip(SKIP_1) | instid1(VALU_DEP_1)
	v_dual_sub_f32 v24, v25, v24 :: v_dual_fmaak_f32 v23, s16, v21, 0xbc7a590c
	v_add_f32_e32 v19, v18, v14
	v_add_f32_e32 v20, v16, v19
	v_sub_f32_e32 v18, v19, v18
	s_delay_alu instid0(VALU_DEP_2) | instskip(NEXT) | instid1(VALU_DEP_2)
	v_sub_f32_e32 v22, v20, v16
	v_dual_sub_f32 v14, v14, v18 :: v_dual_fmaak_f32 v23, v21, v23, 0x3d29fb3f
	s_delay_alu instid0(VALU_DEP_2) | instskip(NEXT) | instid1(VALU_DEP_2)
	v_sub_f32_e32 v26, v20, v22
	v_dual_sub_f32 v18, v19, v22 :: v_dual_fmaak_f32 v19, v21, v23, 0xbd97d4d7
	s_delay_alu instid0(VALU_DEP_3) | instskip(NEXT) | instid1(VALU_DEP_3)
	v_add_f32_e32 v22, v24, v14
	v_sub_f32_e32 v16, v16, v26
	s_delay_alu instid0(VALU_DEP_1) | instskip(NEXT) | instid1(VALU_DEP_1)
	v_add_f32_e32 v16, v18, v16
	v_add_f32_e32 v16, v22, v16
	v_dual_fmaak_f32 v18, v21, v19, 0x3dd931b2 :: v_dual_sub_f32 v19, v22, v24
	s_delay_alu instid0(VALU_DEP_1) | instskip(NEXT) | instid1(VALU_DEP_2)
	v_dual_add_f32 v23, v20, v16 :: v_dual_fmaak_f32 v18, v21, v18, 0xbe1160e6
	v_sub_f32_e32 v22, v22, v19
	v_sub_f32_e32 v14, v14, v19
	s_delay_alu instid0(VALU_DEP_3) | instskip(NEXT) | instid1(VALU_DEP_4)
	v_sub_f32_e32 v20, v23, v20
	v_fmaak_f32 v18, v21, v18, 0x3e4cb8bf
	s_delay_alu instid0(VALU_DEP_4) | instskip(NEXT) | instid1(VALU_DEP_2)
	v_sub_f32_e32 v19, v24, v22
	v_fmaak_f32 v18, v21, v18, 0xbeaaaa62
	s_delay_alu instid0(VALU_DEP_2) | instskip(NEXT) | instid1(VALU_DEP_2)
	v_add_f32_e32 v14, v14, v19
	v_mul_f32_e32 v18, v21, v18
	s_delay_alu instid0(VALU_DEP_1) | instskip(NEXT) | instid1(VALU_DEP_1)
	v_dual_fmac_f32 v15, v15, v18 :: v_dual_sub_f32 v16, v16, v20
	v_add_f32_e32 v14, v14, v16
	s_delay_alu instid0(VALU_DEP_2) | instskip(NEXT) | instid1(VALU_DEP_2)
	v_sub_f32_e32 v16, 0x3fc90fdb, v15
	v_add_f32_e32 v14, v23, v14
	s_delay_alu instid0(VALU_DEP_2) | instskip(NEXT) | instid1(VALU_DEP_2)
	v_cndmask_b32_e64 v15, v15, v16, s2
	v_cndmask_b32_e32 v14, v14, v17, vcc_lo
	v_cmp_gt_i32_e32 vcc_lo, 0, v5
	s_delay_alu instid0(VALU_DEP_3) | instskip(SKIP_4) | instid1(VALU_DEP_2)
	v_sub_f32_e32 v18, 0x40490fdb, v15
	v_cndmask_b32_e64 v16, 0, 0x40490fdb, vcc_lo
	v_cmp_ngt_f32_e32 vcc_lo, -1.0, v17
	v_cndmask_b32_e32 v14, 0x7fc00000, v14, vcc_lo
	v_cmp_gt_f32_e32 vcc_lo, 0, v5
	v_cndmask_b32_e64 v14, 0xff800000, v14, s3
	v_cndmask_b32_e32 v15, v15, v18, vcc_lo
	v_cndmask_b32_e32 v18, 0x3f490fdb, v13, vcc_lo
	v_cmp_gt_f32_e64 vcc_lo, 0x33800000, |v17|
	v_cmp_class_f32_e64 s3, v6, 0x204
	v_cndmask_b32_e32 v14, v14, v17, vcc_lo
	v_cmp_eq_f32_e32 vcc_lo, 0, v6
                                        ; implicit-def: $vgpr17
	s_delay_alu instid0(VALU_DEP_2) | instskip(NEXT) | instid1(VALU_DEP_4)
	v_dual_mul_f32 v14, 0.5, v14 :: v_dual_cndmask_b32 v15, v15, v16
	s_and_b32 vcc_lo, s5, s3
                                        ; implicit-def: $vgpr16
	s_delay_alu instid0(VALU_DEP_1)
	v_cndmask_b32_e32 v15, v15, v18, vcc_lo
.LBB181_11:                             ;   in Loop: Header=BB181_5 Depth=1
	s_and_not1_saveexec_b32 s24, s4
	s_cbranch_execz .LBB181_19
; %bb.12:                               ;   in Loop: Header=BB181_5 Depth=1
	v_mul_f32_e32 v18, v16, v16
                                        ; implicit-def: $vgpr14
                                        ; implicit-def: $vgpr15
	s_mov_b32 s3, exec_lo
	s_delay_alu instid0(VALU_DEP_1) | instskip(NEXT) | instid1(VALU_DEP_1)
	v_fmac_f32_e32 v18, v17, v17
	v_cmpx_ge_f32_e32 0x3f333333, v18
	s_xor_b32 s4, exec_lo, s3
	s_cbranch_execz .LBB181_14
; %bb.13:                               ;   in Loop: Header=BB181_5 Depth=1
	v_max_f32_e64 v14, |v6|, |v6|
	v_max_f32_e64 v15, |v5|, |v5|
	v_cmp_gt_f32_e32 vcc_lo, 0x800000, v18
	v_cmp_gt_i32_e64 s3, 0, v5
	v_cmp_class_f32_e64 s5, v5, 0x204
	v_cmp_class_f32_e64 s6, v6, 0x204
	v_max_f32_e32 v16, v15, v14
	v_min_f32_e32 v14, v15, v14
	v_cndmask_b32_e64 v19, 0, 0x41b17218, vcc_lo
	s_delay_alu instid0(VALU_DEP_3) | instskip(SKIP_1) | instid1(VALU_DEP_2)
	v_frexp_mant_f32_e32 v17, v16
	v_frexp_exp_i32_f32_e32 v16, v16
	v_rcp_f32_e32 v15, v17
	v_frexp_exp_i32_f32_e32 v17, v14
	v_frexp_mant_f32_e32 v14, v14
	s_delay_alu instid0(VALU_DEP_2) | instskip(SKIP_4) | instid1(VALU_DEP_2)
	v_sub_nc_u32_e32 v16, v17, v16
	v_cndmask_b32_e64 v17, 1.0, 0x4f800000, vcc_lo
	s_waitcnt_depctr 0xfff
	v_mul_f32_e32 v14, v14, v15
	v_mul_f32_e32 v17, v18, v17
	v_ldexp_f32 v14, v14, v16
	s_delay_alu instid0(VALU_DEP_2) | instskip(NEXT) | instid1(VALU_DEP_1)
	v_log_f32_e32 v17, v17
	v_mul_f32_e32 v15, v14, v14
	s_delay_alu instid0(VALU_DEP_1) | instskip(SKIP_3) | instid1(VALU_DEP_1)
	v_fmaak_f32 v16, s16, v15, 0xbc7a590c
	s_waitcnt_depctr 0xfff
	v_cmp_gt_f32_e64 vcc_lo, 0x7f800000, |v17|
	v_fmaak_f32 v16, v15, v16, 0x3d29fb3f
	v_fmaak_f32 v16, v15, v16, 0xbd97d4d7
	s_delay_alu instid0(VALU_DEP_1) | instskip(NEXT) | instid1(VALU_DEP_1)
	v_fmaak_f32 v16, v15, v16, 0x3dd931b2
	v_fmaak_f32 v16, v15, v16, 0xbe1160e6
	s_delay_alu instid0(VALU_DEP_1) | instskip(NEXT) | instid1(VALU_DEP_1)
	;; [unrolled: 3-line block ×3, first 2 shown]
	v_dual_mul_f32 v15, v15, v16 :: v_dual_mul_f32 v16, 0x3f317217, v17
	v_fmac_f32_e32 v14, v14, v15
	s_delay_alu instid0(VALU_DEP_2) | instskip(NEXT) | instid1(VALU_DEP_1)
	v_fma_f32 v15, 0x3f317217, v17, -v16
	v_fmac_f32_e32 v15, 0x3377d1cf, v17
	s_delay_alu instid0(VALU_DEP_1) | instskip(SKIP_2) | instid1(VALU_DEP_3)
	v_add_f32_e32 v15, v16, v15
	v_cndmask_b32_e64 v16, 0, 0x40490fdb, s3
	v_cmp_eq_f32_e64 s3, 0, v6
	v_cndmask_b32_e32 v15, v17, v15, vcc_lo
	v_cmp_gt_f32_e32 vcc_lo, 0, v5
	s_delay_alu instid0(VALU_DEP_2) | instskip(SKIP_2) | instid1(VALU_DEP_1)
	v_sub_f32_e32 v15, v15, v19
	v_cndmask_b32_e32 v17, 0x3f490fdb, v13, vcc_lo
	v_sub_f32_e32 v18, 0x3fc90fdb, v14
	v_cndmask_b32_e64 v14, v14, v18, s2
	s_delay_alu instid0(VALU_DEP_1) | instskip(NEXT) | instid1(VALU_DEP_1)
	v_sub_f32_e32 v18, 0x40490fdb, v14
	v_cndmask_b32_e32 v14, v14, v18, vcc_lo
	s_and_b32 vcc_lo, s5, s6
	s_delay_alu instid0(VALU_DEP_1) | instskip(NEXT) | instid1(VALU_DEP_1)
	v_cndmask_b32_e64 v16, v14, v16, s3
	v_dual_mul_f32 v14, 0.5, v15 :: v_dual_cndmask_b32 v15, v16, v17
                                        ; implicit-def: $vgpr17
                                        ; implicit-def: $vgpr16
.LBB181_14:                             ;   in Loop: Header=BB181_5 Depth=1
	s_and_not1_saveexec_b32 s25, s4
	s_cbranch_execz .LBB181_18
; %bb.15:                               ;   in Loop: Header=BB181_5 Depth=1
	v_and_b32_e32 v18, 0x7fff0000, v16
	v_and_b32_e32 v15, 0x7fff0000, v17
	s_mov_b32 s26, 0
	s_delay_alu instid0(VALU_DEP_2) | instskip(SKIP_1) | instid1(VALU_DEP_3)
	v_sub_f32_e32 v19, v16, v18
	v_mul_f32_e32 v16, v18, v18
	v_mul_f32_e32 v14, v15, v15
	v_sub_f32_e32 v17, v17, v15
	s_delay_alu instid0(VALU_DEP_1) | instskip(NEXT) | instid1(VALU_DEP_1)
	v_dual_add_f32 v25, v18, v18 :: v_dual_and_b32 v20, 0xffff0000, v17
	v_dual_sub_f32 v18, v17, v20 :: v_dual_and_b32 v21, 0xffff0000, v19
	s_delay_alu instid0(VALU_DEP_1) | instskip(SKIP_2) | instid1(VALU_DEP_3)
	v_dual_add_f32 v22, v15, v15 :: v_dual_mul_f32 v15, v25, v21
	v_dual_sub_f32 v26, v19, v21 :: v_dual_mul_f32 v17, v20, v20
	v_add_f32_e32 v19, v20, v20
	v_dual_mul_f32 v24, v22, v20 :: v_dual_add_f32 v27, v21, v21
	v_dual_mul_f32 v23, v21, v21 :: v_dual_mul_f32 v20, v22, v18
	s_delay_alu instid0(VALU_DEP_4) | instskip(NEXT) | instid1(VALU_DEP_4)
	v_mul_f32_e32 v22, v25, v26
	v_mul_f32_e32 v21, v19, v18
	;; [unrolled: 1-line block ×5, first 2 shown]
.LBB181_16:                             ;   Parent Loop BB181_5 Depth=1
                                        ; =>  This Inner Loop Header: Depth=2
	v_cmp_nlt_f32_e32 vcc_lo, v14, v16
	s_delay_alu instid0(VALU_DEP_2) | instskip(SKIP_1) | instid1(VALU_DEP_2)
	v_dual_mov_b32 v27, v25 :: v_dual_cndmask_b32 v26, v14, v16
	v_cndmask_b32_e32 v14, v16, v14, vcc_lo
	v_cmp_nlt_f32_e64 s3, v26, v24
	s_delay_alu instid0(VALU_DEP_1) | instskip(SKIP_2) | instid1(VALU_DEP_2)
	v_cndmask_b32_e64 v25, v26, v24, s3
	v_cndmask_b32_e64 v16, v24, v26, s3
	s_and_b32 s27, vcc_lo, s3
	v_cmp_nlt_f32_e64 s4, v25, v15
	s_delay_alu instid0(VALU_DEP_1) | instskip(SKIP_1) | instid1(VALU_DEP_2)
	v_cndmask_b32_e64 v28, v25, v15, s4
	v_cndmask_b32_e64 v24, v15, v25, s4
	v_cmp_nlt_f32_e64 s5, v28, v17
	s_delay_alu instid0(VALU_DEP_1) | instskip(SKIP_2) | instid1(VALU_DEP_2)
	v_cndmask_b32_e64 v26, v28, v17, s5
	v_cndmask_b32_e64 v15, v17, v28, s5
	s_and_b32 s28, s4, s5
	v_cmp_nlt_f32_e64 s6, v26, v23
	s_delay_alu instid0(VALU_DEP_1) | instskip(SKIP_1) | instid1(VALU_DEP_2)
	v_cndmask_b32_e64 v29, v26, v23, s6
	v_cndmask_b32_e64 v17, v23, v26, s6
	v_cmp_nlt_f32_e64 s7, v29, v20
	s_delay_alu instid0(VALU_DEP_1) | instskip(SKIP_2) | instid1(VALU_DEP_2)
	v_cndmask_b32_e64 v30, v29, v20, s7
	s_and_b32 s5, s6, s7
	v_cndmask_b32_e64 v23, v20, v29, s7
	v_cmp_nlt_f32_e64 s8, v30, v22
	s_delay_alu instid0(VALU_DEP_1) | instskip(SKIP_2) | instid1(VALU_DEP_2)
	v_cndmask_b32_e64 v31, v30, v22, s8
	s_and_b32 s5, s5, s8
	v_cndmask_b32_e64 v20, v22, v30, s8
	v_cmp_nlt_f32_e32 vcc_lo, v31, v21
	v_cndmask_b32_e32 v32, v31, v21, vcc_lo
	s_and_b32 s6, s5, vcc_lo
	v_cndmask_b32_e32 v22, v21, v31, vcc_lo
	s_delay_alu instid0(VALU_DEP_2) | instskip(NEXT) | instid1(VALU_DEP_1)
	v_cmp_nlt_f32_e64 s3, v32, v19
	v_cndmask_b32_e64 v28, v32, v19, s3
	s_and_b32 s6, s6, s3
	v_cndmask_b32_e64 v21, v19, v32, s3
	s_delay_alu instid0(VALU_DEP_2) | instskip(NEXT) | instid1(VALU_DEP_1)
	v_cmp_nlt_f32_e64 s4, v28, v18
	v_cndmask_b32_e64 v26, v28, v18, s4
	s_and_b32 s6, s6, s4
	v_cndmask_b32_e64 v19, v18, v28, s4
	s_delay_alu instid0(VALU_DEP_2) | instskip(NEXT) | instid1(VALU_DEP_1)
	v_cmp_nlt_f32_e64 s5, v26, v27
	s_and_b32 s6, s6, s5
	v_cndmask_b32_e64 v25, v26, v27, s5
	s_and_b32 s3, s6, s28
	v_cndmask_b32_e64 v18, v27, v26, s5
	s_and_b32 s3, s3, s27
	s_delay_alu instid0(SALU_CYCLE_1) | instskip(NEXT) | instid1(SALU_CYCLE_1)
	s_and_b32 s3, exec_lo, s3
	s_or_b32 s26, s3, s26
	s_delay_alu instid0(SALU_CYCLE_1)
	s_and_not1_b32 exec_lo, exec_lo, s26
	s_cbranch_execnz .LBB181_16
; %bb.17:                               ;   in Loop: Header=BB181_5 Depth=1
	s_or_b32 exec_lo, exec_lo, s26
	v_add_f32_e32 v14, -1.0, v14
	v_cmp_class_f32_e64 s4, v5, 0x204
	s_delay_alu instid0(VALU_DEP_2) | instskip(NEXT) | instid1(VALU_DEP_1)
	v_add_f32_e32 v14, v14, v16
	v_add_f32_e32 v14, v14, v24
	s_delay_alu instid0(VALU_DEP_1) | instskip(NEXT) | instid1(VALU_DEP_1)
	v_add_f32_e32 v14, v14, v15
	v_add_f32_e32 v14, v14, v17
	s_delay_alu instid0(VALU_DEP_1) | instskip(NEXT) | instid1(VALU_DEP_1)
	;; [unrolled: 3-line block ×5, first 2 shown]
	v_add_f32_e32 v16, v25, v14
	v_add_f32_e32 v17, 1.0, v16
	s_delay_alu instid0(VALU_DEP_1) | instskip(NEXT) | instid1(VALU_DEP_1)
	v_cvt_f64_f32_e32 v[14:15], v17
	v_frexp_exp_i32_f64_e32 v14, v[14:15]
	v_frexp_mant_f32_e32 v15, v17
	s_delay_alu instid0(VALU_DEP_1) | instskip(SKIP_1) | instid1(VALU_DEP_1)
	v_cmp_gt_f32_e32 vcc_lo, 0x3f2aaaab, v15
	v_add_f32_e32 v15, -1.0, v17
	v_sub_f32_e32 v19, v15, v17
	v_sub_f32_e32 v15, v16, v15
	s_delay_alu instid0(VALU_DEP_2) | instskip(NEXT) | instid1(VALU_DEP_1)
	v_add_f32_e32 v19, 1.0, v19
	v_add_f32_e32 v15, v15, v19
	v_subrev_co_ci_u32_e32 v14, vcc_lo, 0, v14, vcc_lo
	s_delay_alu instid0(VALU_DEP_1) | instskip(SKIP_1) | instid1(VALU_DEP_2)
	v_sub_nc_u32_e32 v18, 0, v14
	v_cvt_f32_i32_e32 v14, v14
	v_ldexp_f32 v17, v17, v18
	v_ldexp_f32 v15, v15, v18
	s_delay_alu instid0(VALU_DEP_2) | instskip(NEXT) | instid1(VALU_DEP_1)
	v_add_f32_e32 v20, 1.0, v17
	v_add_f32_e32 v19, -1.0, v20
	s_delay_alu instid0(VALU_DEP_1) | instskip(NEXT) | instid1(VALU_DEP_1)
	v_sub_f32_e32 v19, v17, v19
	v_dual_add_f32 v19, v15, v19 :: v_dual_add_f32 v18, -1.0, v17
	s_delay_alu instid0(VALU_DEP_1) | instskip(NEXT) | instid1(VALU_DEP_1)
	v_add_f32_e32 v21, 1.0, v18
	v_sub_f32_e32 v17, v17, v21
	s_delay_alu instid0(VALU_DEP_1) | instskip(NEXT) | instid1(VALU_DEP_1)
	v_add_f32_e32 v15, v15, v17
	v_add_f32_e32 v22, v18, v15
	s_delay_alu instid0(VALU_DEP_1) | instskip(NEXT) | instid1(VALU_DEP_1)
	v_sub_f32_e32 v18, v22, v18
	v_sub_f32_e32 v15, v15, v18
	v_add_f32_e32 v21, v20, v19
	v_cmp_eq_f32_e32 vcc_lo, 0x7f800000, v16
	v_cmp_neq_f32_e64 s3, -1.0, v16
	s_delay_alu instid0(VALU_DEP_3) | instskip(SKIP_1) | instid1(VALU_DEP_1)
	v_rcp_f32_e32 v17, v21
	v_sub_f32_e32 v20, v21, v20
	v_sub_f32_e32 v19, v19, v20
	s_waitcnt_depctr 0xfff
	v_mul_f32_e32 v23, v22, v17
	s_delay_alu instid0(VALU_DEP_1) | instskip(NEXT) | instid1(VALU_DEP_1)
	v_mul_f32_e32 v24, v21, v23
	v_fma_f32 v20, v23, v21, -v24
	s_delay_alu instid0(VALU_DEP_1) | instskip(NEXT) | instid1(VALU_DEP_1)
	v_fmac_f32_e32 v20, v23, v19
	v_add_f32_e32 v25, v24, v20
	s_delay_alu instid0(VALU_DEP_1) | instskip(NEXT) | instid1(VALU_DEP_1)
	v_sub_f32_e32 v26, v22, v25
	v_sub_f32_e32 v22, v22, v26
	s_delay_alu instid0(VALU_DEP_1) | instskip(NEXT) | instid1(VALU_DEP_1)
	v_sub_f32_e32 v22, v22, v25
	v_dual_add_f32 v15, v15, v22 :: v_dual_sub_f32 v18, v25, v24
	s_delay_alu instid0(VALU_DEP_1) | instskip(NEXT) | instid1(VALU_DEP_1)
	v_sub_f32_e32 v18, v18, v20
	v_add_f32_e32 v15, v18, v15
	s_delay_alu instid0(VALU_DEP_1) | instskip(NEXT) | instid1(VALU_DEP_1)
	v_add_f32_e32 v18, v26, v15
	v_mul_f32_e32 v20, v17, v18
	s_delay_alu instid0(VALU_DEP_1) | instskip(NEXT) | instid1(VALU_DEP_1)
	v_mul_f32_e32 v22, v21, v20
	v_fma_f32 v21, v20, v21, -v22
	s_delay_alu instid0(VALU_DEP_1) | instskip(SKIP_1) | instid1(VALU_DEP_2)
	v_fmac_f32_e32 v21, v20, v19
	v_sub_f32_e32 v25, v26, v18
	v_add_f32_e32 v19, v22, v21
	s_delay_alu instid0(VALU_DEP_1) | instskip(NEXT) | instid1(VALU_DEP_1)
	v_dual_add_f32 v15, v15, v25 :: v_dual_sub_f32 v24, v18, v19
	v_sub_f32_e32 v18, v18, v24
	s_delay_alu instid0(VALU_DEP_1) | instskip(NEXT) | instid1(VALU_DEP_1)
	v_sub_f32_e32 v18, v18, v19
	v_add_f32_e32 v15, v15, v18
	v_add_f32_e32 v18, v23, v20
	v_sub_f32_e32 v22, v19, v22
	s_delay_alu instid0(VALU_DEP_1) | instskip(SKIP_1) | instid1(VALU_DEP_2)
	v_sub_f32_e32 v19, v22, v21
	v_max_f32_e64 v21, |v6|, |v6|
	v_add_f32_e32 v15, v19, v15
	s_delay_alu instid0(VALU_DEP_1) | instskip(NEXT) | instid1(VALU_DEP_1)
	v_dual_add_f32 v15, v24, v15 :: v_dual_mul_f32 v24, 0x3f317218, v14
	v_mul_f32_e32 v15, v17, v15
	v_sub_f32_e32 v19, v18, v23
	s_delay_alu instid0(VALU_DEP_3) | instskip(NEXT) | instid1(VALU_DEP_2)
	v_fma_f32 v25, 0x3f317218, v14, -v24
	v_sub_f32_e32 v19, v20, v19
	s_delay_alu instid0(VALU_DEP_2) | instskip(NEXT) | instid1(VALU_DEP_2)
	v_fmac_f32_e32 v25, 0xb102e308, v14
	v_add_f32_e32 v15, v19, v15
	s_delay_alu instid0(VALU_DEP_1) | instskip(NEXT) | instid1(VALU_DEP_1)
	v_add_f32_e32 v17, v18, v15
	v_mul_f32_e32 v19, v17, v17
	s_delay_alu instid0(VALU_DEP_1) | instskip(NEXT) | instid1(VALU_DEP_1)
	v_fmaak_f32 v20, s14, v19, 0x3ecc95a3
	v_dual_mul_f32 v22, v17, v19 :: v_dual_fmaak_f32 v19, v19, v20, 0x3f2aaada
	v_max_f32_e64 v20, |v5|, |v5|
	s_delay_alu instid0(VALU_DEP_1) | instskip(SKIP_3) | instid1(VALU_DEP_4)
	v_dual_mul_f32 v19, v22, v19 :: v_dual_max_f32 v22, v20, v21
	v_min_f32_e32 v20, v20, v21
	v_ldexp_f32 v23, v17, 1
	v_sub_f32_e32 v17, v17, v18
	v_frexp_mant_f32_e32 v21, v22
	v_frexp_exp_i32_f32_e32 v22, v22
	s_delay_alu instid0(VALU_DEP_4) | instskip(NEXT) | instid1(VALU_DEP_4)
	v_add_f32_e32 v18, v23, v19
	v_sub_f32_e32 v15, v15, v17
	s_delay_alu instid0(VALU_DEP_4) | instskip(NEXT) | instid1(VALU_DEP_2)
	v_rcp_f32_e32 v21, v21
	v_sub_f32_e32 v17, v18, v23
	s_delay_alu instid0(VALU_DEP_2) | instskip(SKIP_1) | instid1(VALU_DEP_3)
	v_ldexp_f32 v15, v15, 1
	v_frexp_exp_i32_f32_e32 v23, v20
	v_sub_f32_e32 v17, v19, v17
	v_frexp_mant_f32_e32 v19, v20
	s_delay_alu instid0(VALU_DEP_3) | instskip(NEXT) | instid1(VALU_DEP_3)
	v_sub_nc_u32_e32 v20, v23, v22
	v_add_f32_e32 v14, v15, v17
	v_add_f32_e32 v17, v24, v25
	s_delay_alu instid0(VALU_DEP_1) | instskip(NEXT) | instid1(VALU_DEP_1)
	v_sub_f32_e32 v24, v17, v24
	v_dual_sub_f32 v24, v25, v24 :: v_dual_mul_f32 v15, v19, v21
	s_delay_alu instid0(VALU_DEP_4) | instskip(NEXT) | instid1(VALU_DEP_2)
	v_add_f32_e32 v19, v18, v14
	v_ldexp_f32 v15, v15, v20
	s_delay_alu instid0(VALU_DEP_2) | instskip(NEXT) | instid1(VALU_DEP_1)
	v_add_f32_e32 v20, v17, v19
	v_dual_sub_f32 v22, v20, v17 :: v_dual_mul_f32 v21, v15, v15
	v_sub_f32_e32 v18, v19, v18
	s_delay_alu instid0(VALU_DEP_2) | instskip(NEXT) | instid1(VALU_DEP_2)
	v_dual_sub_f32 v26, v20, v22 :: v_dual_fmaak_f32 v23, s16, v21, 0xbc7a590c
	v_sub_f32_e32 v14, v14, v18
	s_delay_alu instid0(VALU_DEP_2) | instskip(NEXT) | instid1(VALU_DEP_2)
	v_dual_sub_f32 v18, v19, v22 :: v_dual_fmaak_f32 v23, v21, v23, 0x3d29fb3f
	v_add_f32_e32 v22, v24, v14
	s_delay_alu instid0(VALU_DEP_4) | instskip(NEXT) | instid1(VALU_DEP_3)
	v_sub_f32_e32 v17, v17, v26
	v_fmaak_f32 v19, v21, v23, 0xbd97d4d7
	s_delay_alu instid0(VALU_DEP_1) | instskip(NEXT) | instid1(VALU_DEP_4)
	v_dual_add_f32 v17, v18, v17 :: v_dual_fmaak_f32 v18, v21, v19, 0x3dd931b2
	v_sub_f32_e32 v19, v22, v24
	s_delay_alu instid0(VALU_DEP_2) | instskip(NEXT) | instid1(VALU_DEP_1)
	v_dual_add_f32 v17, v22, v17 :: v_dual_fmaak_f32 v18, v21, v18, 0xbe1160e6
	v_dual_sub_f32 v22, v22, v19 :: v_dual_add_f32 v23, v20, v17
	v_sub_f32_e32 v14, v14, v19
	s_delay_alu instid0(VALU_DEP_3) | instskip(NEXT) | instid1(VALU_DEP_3)
	v_fmaak_f32 v18, v21, v18, 0x3e4cb8bf
	v_sub_f32_e32 v19, v24, v22
	s_delay_alu instid0(VALU_DEP_2) | instskip(NEXT) | instid1(VALU_DEP_1)
	v_fmaak_f32 v18, v21, v18, 0xbeaaaa62
	v_mul_f32_e32 v18, v21, v18
	s_delay_alu instid0(VALU_DEP_1) | instskip(SKIP_1) | instid1(VALU_DEP_1)
	v_fmac_f32_e32 v15, v15, v18
	v_sub_f32_e32 v20, v23, v20
	v_dual_add_f32 v14, v14, v19 :: v_dual_sub_f32 v17, v17, v20
	s_delay_alu instid0(VALU_DEP_1) | instskip(NEXT) | instid1(VALU_DEP_1)
	v_add_f32_e32 v14, v14, v17
	v_add_f32_e32 v14, v23, v14
	s_delay_alu instid0(VALU_DEP_1) | instskip(SKIP_1) | instid1(VALU_DEP_2)
	v_dual_cndmask_b32 v14, v14, v16 :: v_dual_sub_f32 v17, 0x3fc90fdb, v15
	v_cmp_gt_i32_e32 vcc_lo, 0, v5
	v_cndmask_b32_e64 v15, v15, v17, s2
	v_cndmask_b32_e64 v17, 0, 0x40490fdb, vcc_lo
	v_cmp_ngt_f32_e32 vcc_lo, -1.0, v16
	s_delay_alu instid0(VALU_DEP_3) | instskip(SKIP_2) | instid1(VALU_DEP_2)
	v_sub_f32_e32 v18, 0x40490fdb, v15
	v_cndmask_b32_e32 v14, 0x7fc00000, v14, vcc_lo
	v_cmp_gt_f32_e32 vcc_lo, 0, v5
	v_cndmask_b32_e64 v14, 0xff800000, v14, s3
	s_delay_alu instid0(VALU_DEP_4)
	v_cndmask_b32_e32 v15, v15, v18, vcc_lo
	v_cndmask_b32_e32 v18, 0x3f490fdb, v13, vcc_lo
	v_cmp_gt_f32_e64 vcc_lo, 0x33800000, |v16|
	v_cmp_class_f32_e64 s3, v6, 0x204
	v_cndmask_b32_e32 v14, v14, v16, vcc_lo
	v_cmp_eq_f32_e32 vcc_lo, 0, v6
	v_cndmask_b32_e32 v15, v15, v17, vcc_lo
	s_delay_alu instid0(VALU_DEP_4) | instskip(NEXT) | instid1(VALU_DEP_1)
	s_and_b32 vcc_lo, s4, s3
	v_cndmask_b32_e32 v15, v15, v18, vcc_lo
	v_mul_f32_e32 v14, 0.5, v14
.LBB181_18:                             ;   in Loop: Header=BB181_5 Depth=1
	s_or_b32 exec_lo, exec_lo, s25
.LBB181_19:                             ;   in Loop: Header=BB181_5 Depth=1
	s_delay_alu instid0(SALU_CYCLE_1)
	s_or_b32 exec_lo, exec_lo, s24
.LBB181_20:                             ;   in Loop: Header=BB181_5 Depth=1
	s_and_not1_saveexec_b32 s4, s23
	s_cbranch_execz .LBB181_22
; %bb.21:                               ;   in Loop: Header=BB181_5 Depth=1
	v_max_f32_e64 v16, |v6|, |v6|
	v_max_f32_e64 v17, |v5|, |v5|
	v_cmp_gt_i32_e64 s3, 0, v5
	v_cmp_class_f32_e64 s5, v5, 0x204
	v_cmp_class_f32_e64 s6, v6, 0x204
	s_delay_alu instid0(VALU_DEP_4) | instskip(SKIP_1) | instid1(VALU_DEP_2)
	v_max_f32_e32 v18, v17, v16
	v_min_f32_e32 v16, v17, v16
	v_cvt_f64_f32_e32 v[14:15], v18
	s_delay_alu instid0(VALU_DEP_2) | instskip(SKIP_1) | instid1(VALU_DEP_3)
	v_frexp_exp_i32_f32_e32 v19, v16
	v_frexp_mant_f32_e32 v16, v16
	v_frexp_exp_i32_f64_e32 v14, v[14:15]
	v_frexp_mant_f32_e32 v15, v18
	s_delay_alu instid0(VALU_DEP_1) | instskip(SKIP_4) | instid1(VALU_DEP_2)
	v_rcp_f32_e32 v15, v15
	s_waitcnt_depctr 0xfff
	v_mul_f32_e32 v15, v16, v15
	v_frexp_exp_i32_f32_e32 v17, v18
	v_cmp_neq_f32_e32 vcc_lo, 0x7f800000, v18
	v_sub_nc_u32_e32 v17, v19, v17
	s_delay_alu instid0(VALU_DEP_1) | instskip(NEXT) | instid1(VALU_DEP_1)
	v_ldexp_f32 v15, v15, v17
	v_mul_f32_e32 v19, v15, v15
	v_sub_nc_u32_e32 v20, 0, v14
	s_delay_alu instid0(VALU_DEP_1) | instskip(SKIP_1) | instid1(VALU_DEP_2)
	v_ldexp_f32 v16, |v6|, v20
	v_ldexp_f32 v17, |v5|, v20
	v_mul_f32_e32 v16, v16, v16
	s_delay_alu instid0(VALU_DEP_1) | instskip(NEXT) | instid1(VALU_DEP_1)
	v_dual_fmac_f32 v16, v17, v17 :: v_dual_fmaak_f32 v17, s16, v19, 0xbc7a590c
	v_sqrt_f32_e32 v16, v16
	s_delay_alu instid0(VALU_DEP_1) | instskip(NEXT) | instid1(VALU_DEP_1)
	v_fmaak_f32 v17, v19, v17, 0x3d29fb3f
	v_fmaak_f32 v17, v19, v17, 0xbd97d4d7
	s_waitcnt_depctr 0xfff
	v_ldexp_f32 v14, v16, v14
	v_fmaak_f32 v16, v19, v17, 0x3dd931b2
	s_delay_alu instid0(VALU_DEP_1) | instskip(NEXT) | instid1(VALU_DEP_1)
	v_fmaak_f32 v16, v19, v16, 0xbe1160e6
	v_fmaak_f32 v16, v19, v16, 0x3e4cb8bf
	s_delay_alu instid0(VALU_DEP_1) | instskip(NEXT) | instid1(VALU_DEP_1)
	v_fmaak_f32 v16, v19, v16, 0xbeaaaa62
	v_mul_f32_e32 v16, v19, v16
	s_delay_alu instid0(VALU_DEP_1) | instskip(NEXT) | instid1(VALU_DEP_1)
	v_dual_cndmask_b32 v14, 0x7f800000, v14 :: v_dual_fmac_f32 v15, v15, v16
	v_cmp_gt_f32_e32 vcc_lo, 0x800000, v14
	v_cndmask_b32_e64 v17, 1.0, 0x4f800000, vcc_lo
	s_delay_alu instid0(VALU_DEP_1) | instskip(NEXT) | instid1(VALU_DEP_1)
	v_dual_mul_f32 v14, v14, v17 :: v_dual_sub_f32 v17, 0x3fc90fdb, v15
	v_cndmask_b32_e64 v15, v15, v17, s2
	v_cndmask_b32_e64 v17, 0, 0x40490fdb, s3
	v_cmp_gt_f32_e64 s3, 0, v5
	s_delay_alu instid0(VALU_DEP_3) | instskip(SKIP_1) | instid1(VALU_DEP_1)
	v_sub_f32_e32 v19, 0x40490fdb, v15
	v_log_f32_e32 v14, v14
	v_cndmask_b32_e64 v15, v15, v19, s3
	v_cndmask_b32_e64 v19, 0, 0x41b17218, vcc_lo
	s_waitcnt_depctr 0xfff
	v_mul_f32_e32 v16, 0x3f317217, v14
	v_cmp_gt_f32_e64 vcc_lo, 0x7f800000, |v14|
	s_delay_alu instid0(VALU_DEP_2) | instskip(NEXT) | instid1(VALU_DEP_1)
	v_fma_f32 v18, 0x3f317217, v14, -v16
	v_fmac_f32_e32 v18, 0x3377d1cf, v14
	s_delay_alu instid0(VALU_DEP_1) | instskip(SKIP_1) | instid1(VALU_DEP_2)
	v_add_f32_e32 v16, v16, v18
	v_cndmask_b32_e64 v18, 0x3f490fdb, v13, s3
	v_cndmask_b32_e32 v14, v14, v16, vcc_lo
	v_cmp_eq_f32_e32 vcc_lo, 0, v6
	v_cndmask_b32_e32 v15, v15, v17, vcc_lo
	s_and_b32 vcc_lo, s5, s6
	s_delay_alu instid0(VALU_DEP_1)
	v_dual_sub_f32 v14, v14, v19 :: v_dual_cndmask_b32 v15, v15, v18
.LBB181_22:                             ;   in Loop: Header=BB181_5 Depth=1
	s_or_b32 exec_lo, exec_lo, s4
                                        ; implicit-def: $vgpr16
.LBB181_23:                             ;   in Loop: Header=BB181_5 Depth=1
	s_and_not1_saveexec_b32 s4, s22
	s_cbranch_execz .LBB181_29
; %bb.24:                               ;   in Loop: Header=BB181_5 Depth=1
                                        ; implicit-def: $vgpr14
                                        ; implicit-def: $vgpr15
	s_mov_b32 s3, exec_lo
	v_cmpx_ngt_f32_e32 0x1fec1e4a, v16
	s_xor_b32 s5, exec_lo, s3
	s_cbranch_execz .LBB181_26
; %bb.25:                               ;   in Loop: Header=BB181_5 Depth=1
	v_mul_f32_e32 v16, v16, v16
	v_cmp_gt_f32_e64 s3, 0, v5
	v_cmp_class_f32_e64 s6, v5, 0x204
	v_cmp_class_f32_e64 s8, v6, 0x204
	s_delay_alu instid0(VALU_DEP_4) | instskip(NEXT) | instid1(VALU_DEP_1)
	v_add_f32_e32 v17, 1.0, v16
	v_cvt_f64_f32_e32 v[14:15], v17
	s_delay_alu instid0(VALU_DEP_1) | instskip(SKIP_1) | instid1(VALU_DEP_1)
	v_frexp_exp_i32_f64_e32 v14, v[14:15]
	v_frexp_mant_f32_e32 v15, v17
	v_cmp_gt_f32_e32 vcc_lo, 0x3f2aaaab, v15
	v_add_f32_e32 v15, -1.0, v17
	v_cmp_gt_f32_e64 s7, 0x33800000, |v16|
	s_delay_alu instid0(VALU_DEP_2) | instskip(SKIP_2) | instid1(VALU_DEP_2)
	v_sub_f32_e32 v19, v15, v17
	v_subrev_co_ci_u32_e32 v14, vcc_lo, 0, v14, vcc_lo
	v_cmp_gt_i32_e32 vcc_lo, 0, v5
	v_sub_nc_u32_e32 v18, 0, v14
	v_cvt_f32_i32_e32 v14, v14
	s_delay_alu instid0(VALU_DEP_2) | instskip(SKIP_1) | instid1(VALU_DEP_2)
	v_ldexp_f32 v17, v17, v18
	v_sub_f32_e32 v15, v16, v15
	v_dual_add_f32 v19, 1.0, v19 :: v_dual_add_f32 v20, 1.0, v17
	s_delay_alu instid0(VALU_DEP_1) | instskip(NEXT) | instid1(VALU_DEP_2)
	v_add_f32_e32 v15, v15, v19
	v_add_f32_e32 v19, -1.0, v20
	s_delay_alu instid0(VALU_DEP_2) | instskip(NEXT) | instid1(VALU_DEP_2)
	v_ldexp_f32 v15, v15, v18
	v_dual_add_f32 v18, -1.0, v17 :: v_dual_sub_f32 v19, v17, v19
	s_delay_alu instid0(VALU_DEP_1) | instskip(NEXT) | instid1(VALU_DEP_2)
	v_add_f32_e32 v21, 1.0, v18
	v_add_f32_e32 v19, v15, v19
	s_delay_alu instid0(VALU_DEP_2) | instskip(NEXT) | instid1(VALU_DEP_2)
	v_sub_f32_e32 v17, v17, v21
	v_add_f32_e32 v21, v20, v19
	s_delay_alu instid0(VALU_DEP_2) | instskip(NEXT) | instid1(VALU_DEP_2)
	v_add_f32_e32 v15, v15, v17
	v_rcp_f32_e32 v17, v21
	v_sub_f32_e32 v20, v20, v21
	s_delay_alu instid0(VALU_DEP_1) | instskip(NEXT) | instid1(VALU_DEP_1)
	v_dual_add_f32 v22, v18, v15 :: v_dual_add_f32 v19, v19, v20
	v_sub_f32_e32 v18, v18, v22
	s_waitcnt_depctr 0xfff
	v_mul_f32_e32 v23, v22, v17
	s_delay_alu instid0(VALU_DEP_1) | instskip(NEXT) | instid1(VALU_DEP_1)
	v_dual_add_f32 v15, v15, v18 :: v_dual_mul_f32 v24, v21, v23
	v_fma_f32 v20, v23, v21, -v24
	s_delay_alu instid0(VALU_DEP_1) | instskip(NEXT) | instid1(VALU_DEP_1)
	v_fmac_f32_e32 v20, v23, v19
	v_add_f32_e32 v25, v24, v20
	s_delay_alu instid0(VALU_DEP_1) | instskip(SKIP_1) | instid1(VALU_DEP_2)
	v_sub_f32_e32 v26, v22, v25
	v_sub_f32_e32 v18, v25, v24
	v_sub_f32_e32 v22, v22, v26
	s_delay_alu instid0(VALU_DEP_2) | instskip(NEXT) | instid1(VALU_DEP_2)
	v_sub_f32_e32 v18, v18, v20
	v_sub_f32_e32 v22, v22, v25
	s_delay_alu instid0(VALU_DEP_1) | instskip(NEXT) | instid1(VALU_DEP_1)
	v_add_f32_e32 v15, v15, v22
	v_add_f32_e32 v15, v18, v15
	s_delay_alu instid0(VALU_DEP_1) | instskip(NEXT) | instid1(VALU_DEP_1)
	v_add_f32_e32 v18, v26, v15
	v_mul_f32_e32 v20, v17, v18
	s_delay_alu instid0(VALU_DEP_1) | instskip(NEXT) | instid1(VALU_DEP_1)
	v_dual_sub_f32 v25, v26, v18 :: v_dual_mul_f32 v22, v21, v20
	v_fma_f32 v21, v20, v21, -v22
	s_delay_alu instid0(VALU_DEP_1) | instskip(NEXT) | instid1(VALU_DEP_1)
	v_fmac_f32_e32 v21, v20, v19
	v_add_f32_e32 v19, v22, v21
	s_delay_alu instid0(VALU_DEP_1) | instskip(SKIP_1) | instid1(VALU_DEP_2)
	v_sub_f32_e32 v24, v18, v19
	v_sub_f32_e32 v22, v19, v22
	v_dual_sub_f32 v18, v18, v24 :: v_dual_add_f32 v15, v15, v25
	s_delay_alu instid0(VALU_DEP_1) | instskip(NEXT) | instid1(VALU_DEP_1)
	v_sub_f32_e32 v18, v18, v19
	v_add_f32_e32 v15, v15, v18
	s_delay_alu instid0(VALU_DEP_4) | instskip(NEXT) | instid1(VALU_DEP_1)
	v_dual_add_f32 v18, v23, v20 :: v_dual_sub_f32 v19, v22, v21
	v_add_f32_e32 v15, v19, v15
	s_delay_alu instid0(VALU_DEP_2) | instskip(NEXT) | instid1(VALU_DEP_2)
	v_sub_f32_e32 v19, v18, v23
	v_add_f32_e32 v15, v24, v15
	s_delay_alu instid0(VALU_DEP_2) | instskip(SKIP_1) | instid1(VALU_DEP_3)
	v_sub_f32_e32 v19, v20, v19
	v_max_f32_e64 v20, |v5|, |v5|
	v_mul_f32_e32 v15, v17, v15
	v_max_f32_e64 v17, |v6|, |v6|
	s_delay_alu instid0(VALU_DEP_1) | instskip(SKIP_1) | instid1(VALU_DEP_2)
	v_dual_add_f32 v15, v19, v15 :: v_dual_max_f32 v22, v20, v17
	v_min_f32_e32 v17, v20, v17
	v_add_f32_e32 v19, v18, v15
	s_delay_alu instid0(VALU_DEP_3) | instskip(SKIP_1) | instid1(VALU_DEP_3)
	v_frexp_mant_f32_e32 v24, v22
	v_frexp_exp_i32_f32_e32 v20, v22
	v_mul_f32_e32 v21, v19, v19
	v_ldexp_f32 v25, v19, 1
	s_delay_alu instid0(VALU_DEP_2) | instskip(SKIP_1) | instid1(VALU_DEP_2)
	v_dual_sub_f32 v18, v19, v18 :: v_dual_fmaak_f32 v23, s14, v21, 0x3ecc95a3
	v_mul_f32_e32 v22, v19, v21
	v_sub_f32_e32 v15, v15, v18
	s_delay_alu instid0(VALU_DEP_3)
	v_fmaak_f32 v21, v21, v23, 0x3f2aaada
	v_rcp_f32_e32 v23, v24
	v_frexp_exp_i32_f32_e32 v24, v17
	v_frexp_mant_f32_e32 v17, v17
	v_ldexp_f32 v15, v15, 1
	v_dual_mul_f32 v21, v22, v21 :: v_dual_mul_f32 v22, 0x3f317218, v14
	s_delay_alu instid0(VALU_DEP_4) | instskip(NEXT) | instid1(VALU_DEP_2)
	v_sub_nc_u32_e32 v20, v24, v20
	v_add_f32_e32 v19, v25, v21
	s_delay_alu instid0(TRANS32_DEP_1) | instid1(VALU_DEP_1)
	v_dual_mul_f32 v17, v17, v23 :: v_dual_sub_f32 v18, v19, v25
	s_delay_alu instid0(VALU_DEP_1) | instskip(SKIP_1) | instid1(VALU_DEP_3)
	v_ldexp_f32 v17, v17, v20
	v_fma_f32 v20, 0x3f317218, v14, -v22
	v_sub_f32_e32 v18, v21, v18
	s_delay_alu instid0(VALU_DEP_2) | instskip(NEXT) | instid1(VALU_DEP_2)
	v_fmac_f32_e32 v20, 0xb102e308, v14
	v_add_f32_e32 v14, v15, v18
	s_delay_alu instid0(VALU_DEP_1) | instskip(NEXT) | instid1(VALU_DEP_1)
	v_dual_add_f32 v18, v22, v20 :: v_dual_add_f32 v23, v19, v14
	v_sub_f32_e32 v22, v18, v22
	s_delay_alu instid0(VALU_DEP_2) | instskip(NEXT) | instid1(VALU_DEP_2)
	v_add_f32_e32 v24, v18, v23
	v_dual_sub_f32 v19, v23, v19 :: v_dual_sub_f32 v20, v20, v22
	s_delay_alu instid0(VALU_DEP_1) | instskip(NEXT) | instid1(VALU_DEP_1)
	v_dual_sub_f32 v25, v24, v18 :: v_dual_sub_f32 v14, v14, v19
	v_sub_f32_e32 v26, v24, v25
	s_delay_alu instid0(VALU_DEP_2) | instskip(NEXT) | instid1(VALU_DEP_2)
	v_dual_sub_f32 v19, v23, v25 :: v_dual_add_f32 v22, v20, v14
	v_sub_f32_e32 v18, v18, v26
	s_delay_alu instid0(VALU_DEP_1) | instskip(NEXT) | instid1(VALU_DEP_1)
	v_dual_add_f32 v18, v19, v18 :: v_dual_sub_f32 v19, v22, v20
	v_dual_add_f32 v18, v22, v18 :: v_dual_mul_f32 v21, v17, v17
	s_delay_alu instid0(VALU_DEP_1) | instskip(NEXT) | instid1(VALU_DEP_1)
	v_dual_sub_f32 v14, v14, v19 :: v_dual_fmaak_f32 v15, s16, v21, 0xbc7a590c
	v_fmaak_f32 v15, v21, v15, 0x3d29fb3f
	s_delay_alu instid0(VALU_DEP_1) | instskip(NEXT) | instid1(VALU_DEP_1)
	v_fmaak_f32 v15, v21, v15, 0xbd97d4d7
	v_fmaak_f32 v15, v21, v15, 0x3dd931b2
	s_delay_alu instid0(VALU_DEP_1) | instskip(NEXT) | instid1(VALU_DEP_1)
	v_fmaak_f32 v15, v21, v15, 0xbe1160e6
	;; [unrolled: 3-line block ×3, first 2 shown]
	v_mul_f32_e32 v15, v21, v15
	v_dual_sub_f32 v21, v22, v19 :: v_dual_add_f32 v22, v24, v18
	s_delay_alu instid0(VALU_DEP_2) | instskip(NEXT) | instid1(VALU_DEP_2)
	v_fmac_f32_e32 v17, v17, v15
	v_sub_f32_e32 v15, v20, v21
	s_delay_alu instid0(VALU_DEP_2) | instskip(NEXT) | instid1(VALU_DEP_2)
	v_dual_sub_f32 v19, v22, v24 :: v_dual_sub_f32 v20, 0x3fc90fdb, v17
	v_add_f32_e32 v14, v14, v15
	s_delay_alu instid0(VALU_DEP_2) | instskip(SKIP_3) | instid1(VALU_DEP_4)
	v_sub_f32_e32 v15, v18, v19
	v_cndmask_b32_e64 v18, 0, 0x40490fdb, vcc_lo
	v_cmp_eq_f32_e32 vcc_lo, 0x7f800000, v16
	v_cndmask_b32_e64 v17, v17, v20, s2
	v_add_f32_e32 v14, v14, v15
	s_or_b32 vcc_lo, vcc_lo, s7
	s_delay_alu instid0(VALU_DEP_1) | instskip(NEXT) | instid1(VALU_DEP_1)
	v_dual_sub_f32 v15, 0x40490fdb, v17 :: v_dual_add_f32 v14, v22, v14
	v_cndmask_b32_e64 v15, v17, v15, s3
	v_cndmask_b32_e64 v17, 0x3f490fdb, v13, s3
	s_delay_alu instid0(VALU_DEP_3) | instskip(SKIP_1) | instid1(VALU_DEP_2)
	v_cndmask_b32_e32 v14, v14, v16, vcc_lo
	v_cmp_eq_f32_e32 vcc_lo, 0, v6
                                        ; implicit-def: $vgpr16
	v_mul_f32_e32 v14, 0.5, v14
	v_cndmask_b32_e32 v15, v15, v18, vcc_lo
	s_and_b32 vcc_lo, s6, s8
	s_delay_alu instid0(VALU_DEP_1)
	v_cndmask_b32_e32 v15, v15, v17, vcc_lo
.LBB181_26:                             ;   in Loop: Header=BB181_5 Depth=1
	s_and_not1_saveexec_b32 s5, s5
	s_cbranch_execz .LBB181_28
; %bb.27:                               ;   in Loop: Header=BB181_5 Depth=1
	v_max_f32_e64 v14, |v6|, |v6|
	v_max_f32_e64 v15, |v5|, |v5|
	v_cmp_gt_i32_e32 vcc_lo, 0, v5
	v_cmp_eq_f32_e64 s3, 0, v6
	v_cmp_class_f32_e64 s6, v5, 0x204
	v_cmp_class_f32_e64 s7, v6, 0x204
	v_max_f32_e32 v17, v15, v14
	v_min_f32_e32 v14, v15, v14
	s_delay_alu instid0(VALU_DEP_2) | instskip(NEXT) | instid1(VALU_DEP_1)
	v_frexp_mant_f32_e32 v18, v17
	v_rcp_f32_e32 v15, v18
	s_delay_alu instid0(VALU_DEP_2) | instskip(SKIP_4) | instid1(VALU_DEP_1)
	v_frexp_exp_i32_f32_e32 v18, v14
	v_frexp_mant_f32_e32 v14, v14
	s_waitcnt_depctr 0xfff
	v_mul_f32_e32 v14, v14, v15
	v_frexp_exp_i32_f32_e32 v17, v17
	v_sub_nc_u32_e32 v17, v18, v17
	s_delay_alu instid0(VALU_DEP_1) | instskip(NEXT) | instid1(VALU_DEP_1)
	v_ldexp_f32 v14, v14, v17
	v_mul_f32_e32 v15, v14, v14
	s_delay_alu instid0(VALU_DEP_1) | instskip(NEXT) | instid1(VALU_DEP_1)
	v_fmaak_f32 v17, s16, v15, 0xbc7a590c
	v_fmaak_f32 v17, v15, v17, 0x3d29fb3f
	s_delay_alu instid0(VALU_DEP_1) | instskip(NEXT) | instid1(VALU_DEP_1)
	v_fmaak_f32 v17, v15, v17, 0xbd97d4d7
	v_fmaak_f32 v17, v15, v17, 0x3dd931b2
	;; [unrolled: 3-line block ×3, first 2 shown]
	s_delay_alu instid0(VALU_DEP_1) | instskip(NEXT) | instid1(VALU_DEP_1)
	v_fmaak_f32 v17, v15, v17, 0xbeaaaa62
	v_mul_f32_e32 v15, v15, v17
	v_cndmask_b32_e64 v17, 0, 0x40490fdb, vcc_lo
	v_cmp_gt_f32_e32 vcc_lo, 0, v5
	s_delay_alu instid0(VALU_DEP_3) | instskip(SKIP_1) | instid1(VALU_DEP_2)
	v_fmac_f32_e32 v14, v14, v15
	v_cndmask_b32_e32 v18, 0x3f490fdb, v13, vcc_lo
	v_sub_f32_e32 v15, 0x3fc90fdb, v14
	s_delay_alu instid0(VALU_DEP_1) | instskip(NEXT) | instid1(VALU_DEP_1)
	v_cndmask_b32_e64 v14, v14, v15, s2
	v_sub_f32_e32 v15, 0x40490fdb, v14
	s_delay_alu instid0(VALU_DEP_1) | instskip(SKIP_1) | instid1(VALU_DEP_1)
	v_dual_cndmask_b32 v14, v14, v15 :: v_dual_mul_f32 v15, 0.5, v16
	s_and_b32 vcc_lo, s6, s7
	v_cndmask_b32_e64 v17, v14, v17, s3
	s_delay_alu instid0(VALU_DEP_1)
	v_dual_mul_f32 v14, v16, v15 :: v_dual_cndmask_b32 v15, v17, v18
.LBB181_28:                             ;   in Loop: Header=BB181_5 Depth=1
	s_or_b32 exec_lo, exec_lo, s5
.LBB181_29:                             ;   in Loop: Header=BB181_5 Depth=1
	s_delay_alu instid0(SALU_CYCLE_1)
	s_or_b32 exec_lo, exec_lo, s4
.LBB181_30:                             ;   in Loop: Header=BB181_5 Depth=1
	s_and_not1_saveexec_b32 s4, s21
	s_cbranch_execz .LBB181_32
; %bb.31:                               ;   in Loop: Header=BB181_5 Depth=1
	v_div_scale_f32 v14, null, 0x402df854, 0x402df854, v5
	v_div_scale_f32 v15, null, 0x402df854, 0x402df854, v6
	v_div_scale_f32 v20, vcc_lo, v5, 0x402df854, v5
	s_delay_alu instid0(VALU_DEP_3) | instskip(NEXT) | instid1(VALU_DEP_2)
	v_rcp_f32_e32 v16, v14
	v_rcp_f32_e32 v17, v15
	v_cmp_class_f32_e64 s5, v6, 0x204
	s_waitcnt_depctr 0xfff
	v_fma_f32 v18, -v14, v16, 1.0
	v_fma_f32 v19, -v15, v17, 1.0
	s_delay_alu instid0(VALU_DEP_1) | instskip(SKIP_1) | instid1(VALU_DEP_2)
	v_dual_fmac_f32 v16, v18, v16 :: v_dual_fmac_f32 v17, v19, v17
	v_div_scale_f32 v18, s3, v6, 0x402df854, v6
	v_mul_f32_e32 v19, v20, v16
	s_delay_alu instid0(VALU_DEP_1) | instskip(NEXT) | instid1(VALU_DEP_1)
	v_fma_f32 v22, -v14, v19, v20
	v_fmac_f32_e32 v19, v22, v16
	s_delay_alu instid0(VALU_DEP_1) | instskip(NEXT) | instid1(VALU_DEP_1)
	v_fma_f32 v14, -v14, v19, v20
	v_div_fmas_f32 v14, v14, v16, v19
	v_max_f32_e64 v19, |v5|, |v5|
	v_mul_f32_e32 v21, v18, v17
	s_mov_b32 vcc_lo, s3
	v_cmp_class_f32_e64 s3, v5, 0x204
	v_div_fixup_f32 v16, v14, 0x402df854, v5
	s_delay_alu instid0(VALU_DEP_3) | instskip(NEXT) | instid1(VALU_DEP_1)
	v_fma_f32 v23, -v15, v21, v18
	v_fmac_f32_e32 v21, v23, v17
	s_delay_alu instid0(VALU_DEP_1) | instskip(NEXT) | instid1(VALU_DEP_1)
	v_fma_f32 v15, -v15, v21, v18
	v_div_fmas_f32 v15, v15, v17, v21
	s_delay_alu instid0(VALU_DEP_1) | instskip(NEXT) | instid1(VALU_DEP_1)
	v_div_fixup_f32 v17, v15, 0x402df854, v6
	v_max_f32_e64 v18, |v16|, |v17|
	s_delay_alu instid0(VALU_DEP_1) | instskip(SKIP_1) | instid1(VALU_DEP_2)
	v_cvt_f64_f32_e32 v[14:15], v18
	v_cmp_neq_f32_e32 vcc_lo, 0x7f800000, v18
	v_frexp_exp_i32_f64_e32 v14, v[14:15]
	v_max_f32_e64 v15, |v6|, |v6|
	s_delay_alu instid0(VALU_DEP_1) | instskip(SKIP_1) | instid1(VALU_DEP_2)
	v_max_f32_e32 v20, v19, v15
	v_min_f32_e32 v15, v19, v15
	v_frexp_mant_f32_e32 v21, v20
	v_frexp_exp_i32_f32_e32 v20, v20
	s_delay_alu instid0(VALU_DEP_3) | instskip(SKIP_1) | instid1(VALU_DEP_4)
	v_frexp_exp_i32_f32_e32 v22, v15
	v_frexp_mant_f32_e32 v15, v15
	v_rcp_f32_e32 v19, v21
	s_delay_alu instid0(VALU_DEP_2) | instskip(SKIP_1) | instid1(VALU_DEP_1)
	v_sub_nc_u32_e32 v20, v22, v20
	v_sub_nc_u32_e32 v21, 0, v14
	v_ldexp_f32 v17, |v17|, v21
	v_ldexp_f32 v16, |v16|, v21
	s_delay_alu instid0(VALU_DEP_2) | instskip(NEXT) | instid1(VALU_DEP_1)
	v_mul_f32_e32 v17, v17, v17
	v_fmac_f32_e32 v17, v16, v16
	s_delay_alu instid0(VALU_DEP_1) | instskip(SKIP_2) | instid1(VALU_DEP_1)
	v_sqrt_f32_e32 v17, v17
	s_waitcnt_depctr 0xfff
	v_ldexp_f32 v14, v17, v14
	v_cndmask_b32_e32 v14, 0x7f800000, v14, vcc_lo
	s_delay_alu instid0(VALU_DEP_1) | instskip(SKIP_1) | instid1(VALU_DEP_1)
	v_cmp_gt_f32_e32 vcc_lo, 0x800000, v14
	v_cndmask_b32_e64 v18, 1.0, 0x4f800000, vcc_lo
	v_mul_f32_e32 v14, v14, v18
	s_delay_alu instid0(VALU_DEP_1) | instskip(SKIP_1) | instid1(VALU_DEP_1)
	v_log_f32_e32 v14, v14
	v_mul_f32_e32 v15, v15, v19
	v_ldexp_f32 v15, v15, v20
	s_delay_alu instid0(VALU_DEP_1) | instskip(NEXT) | instid1(VALU_DEP_1)
	v_mul_f32_e32 v16, v15, v15
	v_fmaak_f32 v19, s16, v16, 0xbc7a590c
	s_delay_alu instid0(VALU_DEP_1) | instskip(NEXT) | instid1(VALU_DEP_1)
	v_fmaak_f32 v19, v16, v19, 0x3d29fb3f
	v_fmaak_f32 v17, v16, v19, 0xbd97d4d7
	v_cndmask_b32_e64 v19, 0, 0x41b17218, vcc_lo
	s_delay_alu instid0(TRANS32_DEP_1) | instskip(NEXT) | instid1(VALU_DEP_3)
	v_cmp_gt_f32_e64 vcc_lo, 0x7f800000, |v14|
	v_fmaak_f32 v17, v16, v17, 0x3dd931b2
	s_delay_alu instid0(VALU_DEP_1) | instskip(NEXT) | instid1(VALU_DEP_1)
	v_fmaak_f32 v17, v16, v17, 0xbe1160e6
	v_fmaak_f32 v17, v16, v17, 0x3e4cb8bf
	s_delay_alu instid0(VALU_DEP_1) | instskip(NEXT) | instid1(VALU_DEP_1)
	v_fmaak_f32 v17, v16, v17, 0xbeaaaa62
	v_dual_mul_f32 v16, v16, v17 :: v_dual_mul_f32 v17, 0x3f317217, v14
	s_delay_alu instid0(VALU_DEP_1) | instskip(NEXT) | instid1(VALU_DEP_2)
	v_fmac_f32_e32 v15, v15, v16
	v_fma_f32 v16, 0x3f317217, v14, -v17
	s_delay_alu instid0(VALU_DEP_2) | instskip(NEXT) | instid1(VALU_DEP_2)
	v_sub_f32_e32 v18, 0x3fc90fdb, v15
	v_fmac_f32_e32 v16, 0x3377d1cf, v14
	s_delay_alu instid0(VALU_DEP_2) | instskip(SKIP_1) | instid1(VALU_DEP_2)
	v_cndmask_b32_e64 v15, v15, v18, s2
	v_cmp_gt_i32_e64 s2, 0, v5
	v_dual_add_f32 v16, v17, v16 :: v_dual_sub_f32 v17, 0x40490fdb, v15
	s_delay_alu instid0(VALU_DEP_2) | instskip(NEXT) | instid1(VALU_DEP_2)
	v_cndmask_b32_e64 v18, 0, 0x40490fdb, s2
	v_cndmask_b32_e32 v14, v14, v16, vcc_lo
	v_cmp_gt_f32_e64 s2, 0, v5
	v_cmp_eq_f32_e32 vcc_lo, 0, v6
	s_delay_alu instid0(VALU_DEP_3) | instskip(NEXT) | instid1(VALU_DEP_3)
	v_sub_f32_e32 v14, v14, v19
	v_cndmask_b32_e64 v15, v15, v17, s2
	v_cndmask_b32_e64 v16, 0x3f490fdb, v13, s2
	s_delay_alu instid0(VALU_DEP_3) | instskip(NEXT) | instid1(VALU_DEP_3)
	v_add_f32_e32 v14, 1.0, v14
	v_cndmask_b32_e32 v15, v15, v18, vcc_lo
	s_and_b32 vcc_lo, s3, s5
	s_delay_alu instid0(VALU_DEP_1)
	v_cndmask_b32_e32 v15, v15, v16, vcc_lo
.LBB181_32:                             ;   in Loop: Header=BB181_5 Depth=1
	s_or_b32 exec_lo, exec_lo, s4
.LBB181_33:                             ;   in Loop: Header=BB181_5 Depth=1
	s_and_not1_saveexec_b32 s2, s17
	s_cbranch_execz .LBB181_39
; %bb.34:                               ;   in Loop: Header=BB181_5 Depth=1
	v_cmp_ngt_f32_e64 s3, 0x20000000, |v5|
	v_cmp_ngt_f32_e64 s4, 0x20000000, |v6|
                                        ; implicit-def: $vgpr14
	s_delay_alu instid0(VALU_DEP_1) | instskip(NEXT) | instid1(SALU_CYCLE_1)
	s_or_b32 s3, s3, s4
	s_and_saveexec_b32 s4, s3
	s_delay_alu instid0(SALU_CYCLE_1)
	s_xor_b32 s3, exec_lo, s4
; %bb.35:                               ;   in Loop: Header=BB181_5 Depth=1
	v_mul_f32_e32 v14, v6, v6
	s_delay_alu instid0(VALU_DEP_1)
	v_fmac_f32_e32 v14, v5, v5
; %bb.36:                               ;   in Loop: Header=BB181_5 Depth=1
	s_and_not1_saveexec_b32 s3, s3
; %bb.37:                               ;   in Loop: Header=BB181_5 Depth=1
	v_dual_mul_f32 v14, 4.0, v6 :: v_dual_mul_f32 v5, 4.0, v5
	s_delay_alu instid0(VALU_DEP_1) | instskip(NEXT) | instid1(VALU_DEP_1)
	v_mul_f32_e32 v14, v14, v14
	v_fmac_f32_e32 v14, v5, v5
	s_delay_alu instid0(VALU_DEP_1)
	v_mul_f32_e32 v14, 0x3d800000, v14
; %bb.38:                               ;   in Loop: Header=BB181_5 Depth=1
	s_or_b32 exec_lo, exec_lo, s3
	s_delay_alu instid0(VALU_DEP_1) | instskip(SKIP_1) | instid1(VALU_DEP_1)
	v_cmp_gt_f32_e32 vcc_lo, 0x800000, v14
	v_cndmask_b32_e64 v5, 1.0, 0x4f800000, vcc_lo
	v_mul_f32_e32 v5, v14, v5
	s_delay_alu instid0(VALU_DEP_1) | instskip(SKIP_2) | instid1(VALU_DEP_1)
	v_log_f32_e32 v5, v5
	s_waitcnt_depctr 0xfff
	v_mul_f32_e32 v14, 0x3f317217, v5
	v_fma_f32 v15, 0x3f317217, v5, -v14
	s_delay_alu instid0(VALU_DEP_1) | instskip(NEXT) | instid1(VALU_DEP_1)
	v_fmac_f32_e32 v15, 0x3377d1cf, v5
	v_add_f32_e32 v14, v14, v15
	v_cndmask_b32_e64 v15, 0, 0x41b17218, vcc_lo
	v_cmp_gt_f32_e64 vcc_lo, 0x7f800000, |v5|
	s_delay_alu instid0(VALU_DEP_3) | instskip(NEXT) | instid1(VALU_DEP_1)
	v_cndmask_b32_e32 v5, v5, v14, vcc_lo
	v_dual_sub_f32 v14, v5, v15 :: v_dual_mov_b32 v15, 0x7fc00000
.LBB181_39:                             ;   in Loop: Header=BB181_5 Depth=1
	s_or_b32 exec_lo, exec_lo, s2
                                        ; implicit-def: $vgpr5
                                        ; implicit-def: $vgpr16
	s_delay_alu instid0(SALU_CYCLE_1)
	s_mov_b32 s2, exec_lo
	v_cmpx_o_f32_e32 v8, v7
	s_xor_b32 s17, exec_lo, s2
	s_cbranch_execz .LBB181_67
; %bb.40:                               ;   in Loop: Header=BB181_5 Depth=1
	v_cmp_lt_f32_e64 s2, |v7|, |v8|
                                        ; implicit-def: $vgpr5
                                        ; implicit-def: $vgpr16
	s_mov_b32 s3, exec_lo
	s_delay_alu instid0(VALU_DEP_1) | instskip(NEXT) | instid1(VALU_DEP_1)
	v_cndmask_b32_e64 v17, |v8|, |v7|, s2
	v_cmpx_nlt_f32_e32 0x77f684df, v17
	s_xor_b32 s21, exec_lo, s3
	s_cbranch_execz .LBB181_64
; %bb.41:                               ;   in Loop: Header=BB181_5 Depth=1
	v_and_b32_e32 v5, 0x7fffffff, v8
                                        ; implicit-def: $vgpr16
	s_mov_b32 s3, exec_lo
	s_delay_alu instid0(VALU_DEP_1) | instskip(NEXT) | instid1(VALU_DEP_1)
	v_cndmask_b32_e64 v18, |v7|, v5, s2
                                        ; implicit-def: $vgpr5
	v_cmpx_neq_f32_e32 1.0, v18
	s_xor_b32 s22, exec_lo, s3
	s_cbranch_execz .LBB181_57
; %bb.42:                               ;   in Loop: Header=BB181_5 Depth=1
	v_dual_max_f32 v5, v17, v17 :: v_dual_max_f32 v16, v18, v18
	s_delay_alu instid0(VALU_DEP_1) | instskip(SKIP_1) | instid1(VALU_DEP_2)
	v_min_f32_e32 v19, v16, v5
	v_max_f32_e32 v5, v16, v5
                                        ; implicit-def: $vgpr16
	v_cmp_ngt_f32_e32 vcc_lo, 0x358637bd, v19
	s_delay_alu instid0(VALU_DEP_2) | instskip(NEXT) | instid1(VALU_DEP_1)
	v_cmp_nlt_f32_e64 s3, 0x49742400, v5
                                        ; implicit-def: $vgpr5
	s_and_b32 s3, s3, vcc_lo
	s_delay_alu instid0(SALU_CYCLE_1) | instskip(NEXT) | instid1(SALU_CYCLE_1)
	s_and_saveexec_b32 s4, s3
	s_xor_b32 s23, exec_lo, s4
	s_cbranch_execz .LBB181_54
; %bb.43:                               ;   in Loop: Header=BB181_5 Depth=1
                                        ; implicit-def: $vgpr5
                                        ; implicit-def: $vgpr16
	s_mov_b32 s3, exec_lo
	v_cmpx_le_f32_e32 1.0, v18
	s_xor_b32 s4, exec_lo, s3
	s_cbranch_execz .LBB181_45
; %bb.44:                               ;   in Loop: Header=BB181_5 Depth=1
	v_add_f32_e32 v5, -1.0, v18
	v_add_f32_e32 v16, 1.0, v18
	v_cmp_class_f32_e64 s5, v7, 0x204
	s_delay_alu instid0(VALU_DEP_2) | instskip(NEXT) | instid1(VALU_DEP_1)
	v_mul_f32_e32 v5, v5, v16
	v_fmac_f32_e32 v5, v17, v17
	s_delay_alu instid0(VALU_DEP_1) | instskip(SKIP_1) | instid1(VALU_DEP_2)
	v_add_f32_e32 v18, 1.0, v5
	v_cmp_neq_f32_e64 s3, -1.0, v5
	v_cvt_f64_f32_e32 v[16:17], v18
	s_delay_alu instid0(VALU_DEP_1) | instskip(SKIP_1) | instid1(VALU_DEP_1)
	v_frexp_exp_i32_f64_e32 v16, v[16:17]
	v_frexp_mant_f32_e32 v17, v18
	v_cmp_gt_f32_e32 vcc_lo, 0x3f2aaaab, v17
	v_add_f32_e32 v17, -1.0, v18
	s_delay_alu instid0(VALU_DEP_1) | instskip(NEXT) | instid1(VALU_DEP_1)
	v_sub_f32_e32 v20, v17, v18
	v_dual_sub_f32 v17, v5, v17 :: v_dual_add_f32 v20, 1.0, v20
	s_delay_alu instid0(VALU_DEP_1) | instskip(SKIP_2) | instid1(VALU_DEP_2)
	v_add_f32_e32 v17, v17, v20
	v_subrev_co_ci_u32_e32 v16, vcc_lo, 0, v16, vcc_lo
	v_cmp_eq_f32_e32 vcc_lo, 0x7f800000, v5
	v_sub_nc_u32_e32 v19, 0, v16
	v_cvt_f32_i32_e32 v16, v16
	s_delay_alu instid0(VALU_DEP_2) | instskip(SKIP_1) | instid1(VALU_DEP_2)
	v_ldexp_f32 v18, v18, v19
	v_ldexp_f32 v17, v17, v19
	v_add_f32_e32 v21, 1.0, v18
	s_delay_alu instid0(VALU_DEP_1) | instskip(NEXT) | instid1(VALU_DEP_1)
	v_add_f32_e32 v20, -1.0, v21
	v_sub_f32_e32 v20, v18, v20
	s_delay_alu instid0(VALU_DEP_1) | instskip(NEXT) | instid1(VALU_DEP_1)
	v_dual_add_f32 v20, v17, v20 :: v_dual_add_f32 v19, -1.0, v18
	v_add_f32_e32 v22, 1.0, v19
	s_delay_alu instid0(VALU_DEP_1) | instskip(NEXT) | instid1(VALU_DEP_3)
	v_sub_f32_e32 v18, v18, v22
	v_add_f32_e32 v22, v21, v20
	s_delay_alu instid0(VALU_DEP_1) | instskip(NEXT) | instid1(VALU_DEP_3)
	v_sub_f32_e32 v21, v22, v21
	v_add_f32_e32 v17, v17, v18
	v_rcp_f32_e32 v18, v22
	s_delay_alu instid0(VALU_DEP_2) | instskip(NEXT) | instid1(VALU_DEP_2)
	v_sub_f32_e32 v20, v20, v21
	v_add_f32_e32 v23, v19, v17
	s_delay_alu instid0(VALU_DEP_1) | instskip(SKIP_2) | instid1(VALU_DEP_1)
	v_sub_f32_e32 v19, v23, v19
	s_waitcnt_depctr 0xfff
	v_dual_mul_f32 v24, v23, v18 :: v_dual_sub_f32 v17, v17, v19
	v_mul_f32_e32 v25, v22, v24
	s_delay_alu instid0(VALU_DEP_1) | instskip(NEXT) | instid1(VALU_DEP_1)
	v_fma_f32 v21, v24, v22, -v25
	v_fmac_f32_e32 v21, v24, v20
	s_delay_alu instid0(VALU_DEP_1) | instskip(NEXT) | instid1(VALU_DEP_1)
	v_add_f32_e32 v26, v25, v21
	v_sub_f32_e32 v27, v23, v26
	s_delay_alu instid0(VALU_DEP_1) | instskip(SKIP_1) | instid1(VALU_DEP_2)
	v_sub_f32_e32 v23, v23, v27
	v_sub_f32_e32 v19, v26, v25
	v_sub_f32_e32 v23, v23, v26
	s_delay_alu instid0(VALU_DEP_2) | instskip(NEXT) | instid1(VALU_DEP_2)
	v_sub_f32_e32 v19, v19, v21
	v_add_f32_e32 v17, v17, v23
	s_delay_alu instid0(VALU_DEP_1) | instskip(NEXT) | instid1(VALU_DEP_1)
	v_add_f32_e32 v17, v19, v17
	v_add_f32_e32 v19, v27, v17
	s_delay_alu instid0(VALU_DEP_1) | instskip(NEXT) | instid1(VALU_DEP_1)
	v_mul_f32_e32 v21, v18, v19
	v_mul_f32_e32 v23, v22, v21
	s_delay_alu instid0(VALU_DEP_1) | instskip(NEXT) | instid1(VALU_DEP_1)
	v_fma_f32 v22, v21, v22, -v23
	v_fmac_f32_e32 v22, v21, v20
	v_sub_f32_e32 v26, v27, v19
	s_delay_alu instid0(VALU_DEP_2) | instskip(NEXT) | instid1(VALU_DEP_2)
	v_add_f32_e32 v20, v23, v22
	v_add_f32_e32 v17, v17, v26
	s_delay_alu instid0(VALU_DEP_2) | instskip(SKIP_1) | instid1(VALU_DEP_2)
	v_sub_f32_e32 v25, v19, v20
	v_sub_f32_e32 v23, v20, v23
	;; [unrolled: 1-line block ×3, first 2 shown]
	s_delay_alu instid0(VALU_DEP_1) | instskip(NEXT) | instid1(VALU_DEP_3)
	v_sub_f32_e32 v19, v19, v20
	v_sub_f32_e32 v20, v23, v22
	v_max_f32_e64 v22, |v8|, |v8|
	s_delay_alu instid0(VALU_DEP_3) | instskip(SKIP_1) | instid1(VALU_DEP_1)
	v_add_f32_e32 v17, v17, v19
	v_add_f32_e32 v19, v24, v21
	v_dual_add_f32 v17, v20, v17 :: v_dual_sub_f32 v20, v19, v24
	s_delay_alu instid0(VALU_DEP_1) | instskip(NEXT) | instid1(VALU_DEP_2)
	v_add_f32_e32 v17, v25, v17
	v_sub_f32_e32 v20, v21, v20
	v_mul_f32_e32 v25, 0x3f317218, v16
	s_delay_alu instid0(VALU_DEP_3) | instskip(NEXT) | instid1(VALU_DEP_2)
	v_mul_f32_e32 v17, v18, v17
	v_fma_f32 v26, 0x3f317218, v16, -v25
	s_delay_alu instid0(VALU_DEP_1) | instskip(NEXT) | instid1(VALU_DEP_1)
	v_dual_add_f32 v17, v20, v17 :: v_dual_fmac_f32 v26, 0xb102e308, v16
	v_add_f32_e32 v18, v19, v17
	s_delay_alu instid0(VALU_DEP_1) | instskip(SKIP_1) | instid1(VALU_DEP_2)
	v_mul_f32_e32 v20, v18, v18
	v_ldexp_f32 v24, v18, 1
	v_fmaak_f32 v21, s14, v20, 0x3ecc95a3
	v_mul_f32_e32 v23, v18, v20
	v_sub_f32_e32 v18, v18, v19
	s_delay_alu instid0(VALU_DEP_3) | instskip(SKIP_1) | instid1(VALU_DEP_2)
	v_fmaak_f32 v20, v20, v21, 0x3f2aaada
	v_max_f32_e64 v21, |v7|, |v7|
	v_dual_sub_f32 v17, v17, v18 :: v_dual_mul_f32 v20, v23, v20
	s_delay_alu instid0(VALU_DEP_2) | instskip(SKIP_1) | instid1(VALU_DEP_3)
	v_max_f32_e32 v23, v21, v22
	v_min_f32_e32 v21, v21, v22
	v_ldexp_f32 v17, v17, 1
	s_delay_alu instid0(VALU_DEP_4) | instskip(NEXT) | instid1(VALU_DEP_4)
	v_add_f32_e32 v19, v24, v20
	v_frexp_mant_f32_e32 v22, v23
	v_frexp_exp_i32_f32_e32 v23, v23
	s_delay_alu instid0(VALU_DEP_3) | instskip(NEXT) | instid1(VALU_DEP_3)
	v_sub_f32_e32 v18, v19, v24
	v_rcp_f32_e32 v22, v22
	v_frexp_exp_i32_f32_e32 v24, v21
	s_delay_alu instid0(VALU_DEP_2) | instskip(SKIP_1) | instid1(VALU_DEP_3)
	v_sub_f32_e32 v18, v20, v18
	v_frexp_mant_f32_e32 v20, v21
	v_sub_nc_u32_e32 v21, v24, v23
	s_delay_alu instid0(VALU_DEP_3) | instskip(SKIP_1) | instid1(VALU_DEP_1)
	v_add_f32_e32 v16, v17, v18
	v_add_f32_e32 v18, v25, v26
	v_sub_f32_e32 v25, v18, v25
	s_delay_alu instid0(VALU_DEP_1)
	v_sub_f32_e32 v25, v26, v25
	s_delay_alu instid0(TRANS32_DEP_1) | instid1(VALU_DEP_4)
	v_dual_mul_f32 v17, v20, v22 :: v_dual_add_f32 v20, v19, v16
	s_delay_alu instid0(VALU_DEP_1) | instskip(NEXT) | instid1(VALU_DEP_2)
	v_ldexp_f32 v17, v17, v21
	v_add_f32_e32 v21, v18, v20
	s_delay_alu instid0(VALU_DEP_2) | instskip(NEXT) | instid1(VALU_DEP_1)
	v_dual_sub_f32 v19, v20, v19 :: v_dual_mul_f32 v22, v17, v17
	v_dual_sub_f32 v23, v21, v18 :: v_dual_sub_f32 v16, v16, v19
	s_delay_alu instid0(VALU_DEP_1) | instskip(SKIP_1) | instid1(VALU_DEP_3)
	v_dual_fmaak_f32 v24, s16, v22, 0xbc7a590c :: v_dual_sub_f32 v27, v21, v23
	v_sub_f32_e32 v19, v20, v23
	v_add_f32_e32 v23, v25, v16
	s_delay_alu instid0(VALU_DEP_3) | instskip(NEXT) | instid1(VALU_DEP_4)
	v_fmaak_f32 v24, v22, v24, 0x3d29fb3f
	v_sub_f32_e32 v18, v18, v27
	s_delay_alu instid0(VALU_DEP_2) | instskip(NEXT) | instid1(VALU_DEP_1)
	v_fmaak_f32 v20, v22, v24, 0xbd97d4d7
	v_dual_add_f32 v18, v19, v18 :: v_dual_fmaak_f32 v19, v22, v20, 0x3dd931b2
	v_sub_f32_e32 v20, v23, v25
	s_delay_alu instid0(VALU_DEP_2) | instskip(NEXT) | instid1(VALU_DEP_1)
	v_dual_add_f32 v18, v23, v18 :: v_dual_fmaak_f32 v19, v22, v19, 0xbe1160e6
	v_dual_sub_f32 v23, v23, v20 :: v_dual_add_f32 v24, v21, v18
	s_delay_alu instid0(VALU_DEP_2) | instskip(NEXT) | instid1(VALU_DEP_2)
	v_dual_sub_f32 v16, v16, v20 :: v_dual_fmaak_f32 v19, v22, v19, 0x3e4cb8bf
	v_dual_sub_f32 v20, v25, v23 :: v_dual_sub_f32 v21, v24, v21
	s_delay_alu instid0(VALU_DEP_1) | instskip(NEXT) | instid1(VALU_DEP_2)
	v_dual_fmaak_f32 v19, v22, v19, 0xbeaaaa62 :: v_dual_add_f32 v16, v16, v20
	v_sub_f32_e32 v18, v18, v21
	s_delay_alu instid0(VALU_DEP_1) | instskip(NEXT) | instid1(VALU_DEP_1)
	v_dual_mul_f32 v19, v22, v19 :: v_dual_add_f32 v16, v16, v18
	v_dual_fmac_f32 v17, v17, v19 :: v_dual_add_f32 v16, v24, v16
	s_delay_alu instid0(VALU_DEP_1) | instskip(NEXT) | instid1(VALU_DEP_2)
	v_sub_f32_e32 v18, 0x3fc90fdb, v17
	v_cndmask_b32_e32 v16, v16, v5, vcc_lo
	v_cmp_gt_i32_e32 vcc_lo, 0, v7
	s_delay_alu instid0(VALU_DEP_3) | instskip(SKIP_2) | instid1(VALU_DEP_3)
	v_cndmask_b32_e64 v17, v17, v18, s2
	v_cndmask_b32_e64 v18, 0, 0x40490fdb, vcc_lo
	v_cmp_ngt_f32_e32 vcc_lo, -1.0, v5
	v_sub_f32_e32 v19, 0x40490fdb, v17
	v_cndmask_b32_e32 v16, 0x7fc00000, v16, vcc_lo
	v_cmp_gt_f32_e32 vcc_lo, 0, v7
	s_delay_alu instid0(VALU_DEP_2) | instskip(NEXT) | instid1(VALU_DEP_4)
	v_cndmask_b32_e64 v16, 0xff800000, v16, s3
	v_cndmask_b32_e32 v17, v17, v19, vcc_lo
	v_cndmask_b32_e32 v19, 0x3f490fdb, v13, vcc_lo
	v_cmp_gt_f32_e64 vcc_lo, 0x33800000, |v5|
	v_cmp_class_f32_e64 s3, v8, 0x204
	v_cndmask_b32_e32 v5, v16, v5, vcc_lo
	v_cmp_eq_f32_e32 vcc_lo, 0, v8
	s_delay_alu instid0(VALU_DEP_2) | instskip(NEXT) | instid1(VALU_DEP_4)
	v_dual_mul_f32 v5, 0.5, v5 :: v_dual_cndmask_b32 v16, v17, v18
	s_and_b32 vcc_lo, s5, s3
                                        ; implicit-def: $vgpr17
                                        ; implicit-def: $vgpr18
	s_delay_alu instid0(VALU_DEP_1)
	v_cndmask_b32_e32 v16, v16, v19, vcc_lo
.LBB181_45:                             ;   in Loop: Header=BB181_5 Depth=1
	s_and_not1_saveexec_b32 s24, s4
	s_cbranch_execz .LBB181_53
; %bb.46:                               ;   in Loop: Header=BB181_5 Depth=1
	v_mul_f32_e32 v19, v17, v17
                                        ; implicit-def: $vgpr5
                                        ; implicit-def: $vgpr16
	s_mov_b32 s3, exec_lo
	s_delay_alu instid0(VALU_DEP_1) | instskip(NEXT) | instid1(VALU_DEP_1)
	v_fmac_f32_e32 v19, v18, v18
	v_cmpx_ge_f32_e32 0x3f333333, v19
	s_xor_b32 s4, exec_lo, s3
	s_cbranch_execz .LBB181_48
; %bb.47:                               ;   in Loop: Header=BB181_5 Depth=1
	v_max_f32_e64 v5, |v8|, |v8|
	v_max_f32_e64 v16, |v7|, |v7|
	v_cmp_gt_f32_e32 vcc_lo, 0x800000, v19
	v_cmp_gt_i32_e64 s3, 0, v7
	v_cmp_class_f32_e64 s5, v7, 0x204
	v_cmp_class_f32_e64 s6, v8, 0x204
	v_max_f32_e32 v17, v16, v5
	v_min_f32_e32 v5, v16, v5
	v_cndmask_b32_e64 v20, 0, 0x41b17218, vcc_lo
	s_delay_alu instid0(VALU_DEP_3) | instskip(SKIP_1) | instid1(VALU_DEP_2)
	v_frexp_mant_f32_e32 v18, v17
	v_frexp_exp_i32_f32_e32 v17, v17
	v_rcp_f32_e32 v16, v18
	v_frexp_exp_i32_f32_e32 v18, v5
	v_frexp_mant_f32_e32 v5, v5
	s_delay_alu instid0(VALU_DEP_2) | instskip(SKIP_3) | instid1(VALU_DEP_1)
	v_sub_nc_u32_e32 v17, v18, v17
	v_cndmask_b32_e64 v18, 1.0, 0x4f800000, vcc_lo
	s_waitcnt_depctr 0xfff
	v_dual_mul_f32 v5, v5, v16 :: v_dual_mul_f32 v18, v19, v18
	v_ldexp_f32 v5, v5, v17
	s_delay_alu instid0(VALU_DEP_2) | instskip(NEXT) | instid1(VALU_DEP_1)
	v_log_f32_e32 v18, v18
	v_mul_f32_e32 v16, v5, v5
	s_delay_alu instid0(VALU_DEP_1) | instskip(SKIP_3) | instid1(VALU_DEP_1)
	v_fmaak_f32 v17, s16, v16, 0xbc7a590c
	s_waitcnt_depctr 0xfff
	v_cmp_gt_f32_e64 vcc_lo, 0x7f800000, |v18|
	v_fmaak_f32 v17, v16, v17, 0x3d29fb3f
	v_fmaak_f32 v17, v16, v17, 0xbd97d4d7
	s_delay_alu instid0(VALU_DEP_1) | instskip(NEXT) | instid1(VALU_DEP_1)
	v_fmaak_f32 v17, v16, v17, 0x3dd931b2
	v_fmaak_f32 v17, v16, v17, 0xbe1160e6
	s_delay_alu instid0(VALU_DEP_1) | instskip(NEXT) | instid1(VALU_DEP_1)
	;; [unrolled: 3-line block ×3, first 2 shown]
	v_dual_mul_f32 v16, v16, v17 :: v_dual_mul_f32 v17, 0x3f317217, v18
	v_fmac_f32_e32 v5, v5, v16
	s_delay_alu instid0(VALU_DEP_2) | instskip(NEXT) | instid1(VALU_DEP_1)
	v_fma_f32 v16, 0x3f317217, v18, -v17
	v_fmac_f32_e32 v16, 0x3377d1cf, v18
	s_delay_alu instid0(VALU_DEP_1) | instskip(SKIP_2) | instid1(VALU_DEP_3)
	v_add_f32_e32 v16, v17, v16
	v_cndmask_b32_e64 v17, 0, 0x40490fdb, s3
	v_cmp_eq_f32_e64 s3, 0, v8
	v_cndmask_b32_e32 v16, v18, v16, vcc_lo
	v_cmp_gt_f32_e32 vcc_lo, 0, v7
	s_delay_alu instid0(VALU_DEP_2) | instskip(SKIP_2) | instid1(VALU_DEP_1)
	v_sub_f32_e32 v16, v16, v20
	v_cndmask_b32_e32 v18, 0x3f490fdb, v13, vcc_lo
	v_sub_f32_e32 v19, 0x3fc90fdb, v5
	v_cndmask_b32_e64 v5, v5, v19, s2
	s_delay_alu instid0(VALU_DEP_1) | instskip(NEXT) | instid1(VALU_DEP_1)
	v_sub_f32_e32 v19, 0x40490fdb, v5
	v_cndmask_b32_e32 v5, v5, v19, vcc_lo
	s_and_b32 vcc_lo, s5, s6
	s_delay_alu instid0(VALU_DEP_1) | instskip(NEXT) | instid1(VALU_DEP_1)
	v_cndmask_b32_e64 v17, v5, v17, s3
	v_dual_mul_f32 v5, 0.5, v16 :: v_dual_cndmask_b32 v16, v17, v18
                                        ; implicit-def: $vgpr18
                                        ; implicit-def: $vgpr17
.LBB181_48:                             ;   in Loop: Header=BB181_5 Depth=1
	s_and_not1_saveexec_b32 s25, s4
	s_cbranch_execz .LBB181_52
; %bb.49:                               ;   in Loop: Header=BB181_5 Depth=1
	v_and_b32_e32 v19, 0x7fff0000, v17
	v_and_b32_e32 v16, 0x7fff0000, v18
	s_mov_b32 s26, 0
	s_delay_alu instid0(VALU_DEP_2) | instskip(SKIP_1) | instid1(VALU_DEP_3)
	v_sub_f32_e32 v20, v17, v19
	v_mul_f32_e32 v17, v19, v19
	v_mul_f32_e32 v5, v16, v16
	v_sub_f32_e32 v18, v18, v16
	s_delay_alu instid0(VALU_DEP_1) | instskip(NEXT) | instid1(VALU_DEP_1)
	v_dual_add_f32 v26, v19, v19 :: v_dual_and_b32 v21, 0xffff0000, v18
	v_dual_sub_f32 v19, v18, v21 :: v_dual_and_b32 v22, 0xffff0000, v20
	s_delay_alu instid0(VALU_DEP_1) | instskip(SKIP_2) | instid1(VALU_DEP_3)
	v_dual_add_f32 v23, v16, v16 :: v_dual_mul_f32 v16, v26, v22
	v_dual_sub_f32 v27, v20, v22 :: v_dual_mul_f32 v18, v21, v21
	v_add_f32_e32 v20, v21, v21
	v_dual_mul_f32 v25, v23, v21 :: v_dual_add_f32 v28, v22, v22
	v_dual_mul_f32 v24, v22, v22 :: v_dual_mul_f32 v21, v23, v19
	s_delay_alu instid0(VALU_DEP_4) | instskip(NEXT) | instid1(VALU_DEP_4)
	v_mul_f32_e32 v23, v26, v27
	v_mul_f32_e32 v22, v20, v19
	;; [unrolled: 1-line block ×5, first 2 shown]
.LBB181_50:                             ;   Parent Loop BB181_5 Depth=1
                                        ; =>  This Inner Loop Header: Depth=2
	v_cmp_nlt_f32_e32 vcc_lo, v5, v17
	s_delay_alu instid0(VALU_DEP_2) | instskip(SKIP_1) | instid1(VALU_DEP_2)
	v_dual_mov_b32 v28, v26 :: v_dual_cndmask_b32 v27, v5, v17
	v_cndmask_b32_e32 v5, v17, v5, vcc_lo
	v_cmp_nlt_f32_e64 s3, v27, v25
	s_delay_alu instid0(VALU_DEP_1) | instskip(SKIP_2) | instid1(VALU_DEP_2)
	v_cndmask_b32_e64 v26, v27, v25, s3
	v_cndmask_b32_e64 v17, v25, v27, s3
	s_and_b32 s27, vcc_lo, s3
	v_cmp_nlt_f32_e64 s4, v26, v16
	s_delay_alu instid0(VALU_DEP_1) | instskip(SKIP_1) | instid1(VALU_DEP_2)
	v_cndmask_b32_e64 v29, v26, v16, s4
	v_cndmask_b32_e64 v25, v16, v26, s4
	v_cmp_nlt_f32_e64 s5, v29, v18
	s_delay_alu instid0(VALU_DEP_1) | instskip(SKIP_2) | instid1(VALU_DEP_2)
	v_cndmask_b32_e64 v27, v29, v18, s5
	v_cndmask_b32_e64 v16, v18, v29, s5
	s_and_b32 s28, s4, s5
	v_cmp_nlt_f32_e64 s6, v27, v24
	s_delay_alu instid0(VALU_DEP_1) | instskip(SKIP_1) | instid1(VALU_DEP_2)
	v_cndmask_b32_e64 v30, v27, v24, s6
	v_cndmask_b32_e64 v18, v24, v27, s6
	v_cmp_nlt_f32_e64 s7, v30, v21
	s_delay_alu instid0(VALU_DEP_1) | instskip(SKIP_2) | instid1(VALU_DEP_2)
	v_cndmask_b32_e64 v31, v30, v21, s7
	s_and_b32 s5, s6, s7
	v_cndmask_b32_e64 v24, v21, v30, s7
	v_cmp_nlt_f32_e64 s8, v31, v23
	s_delay_alu instid0(VALU_DEP_1) | instskip(SKIP_2) | instid1(VALU_DEP_2)
	v_cndmask_b32_e64 v32, v31, v23, s8
	s_and_b32 s5, s5, s8
	v_cndmask_b32_e64 v21, v23, v31, s8
	v_cmp_nlt_f32_e32 vcc_lo, v32, v22
	v_cndmask_b32_e32 v33, v32, v22, vcc_lo
	s_and_b32 s6, s5, vcc_lo
	v_cndmask_b32_e32 v23, v22, v32, vcc_lo
	s_delay_alu instid0(VALU_DEP_2) | instskip(NEXT) | instid1(VALU_DEP_1)
	v_cmp_nlt_f32_e64 s3, v33, v20
	v_cndmask_b32_e64 v29, v33, v20, s3
	s_and_b32 s6, s6, s3
	v_cndmask_b32_e64 v22, v20, v33, s3
	s_delay_alu instid0(VALU_DEP_2) | instskip(NEXT) | instid1(VALU_DEP_1)
	v_cmp_nlt_f32_e64 s4, v29, v19
	v_cndmask_b32_e64 v27, v29, v19, s4
	s_and_b32 s6, s6, s4
	v_cndmask_b32_e64 v20, v19, v29, s4
	s_delay_alu instid0(VALU_DEP_2) | instskip(NEXT) | instid1(VALU_DEP_1)
	v_cmp_nlt_f32_e64 s5, v27, v28
	s_and_b32 s6, s6, s5
	v_cndmask_b32_e64 v26, v27, v28, s5
	s_and_b32 s3, s6, s28
	v_cndmask_b32_e64 v19, v28, v27, s5
	s_and_b32 s3, s3, s27
	s_delay_alu instid0(SALU_CYCLE_1) | instskip(NEXT) | instid1(SALU_CYCLE_1)
	s_and_b32 s3, exec_lo, s3
	s_or_b32 s26, s3, s26
	s_delay_alu instid0(SALU_CYCLE_1)
	s_and_not1_b32 exec_lo, exec_lo, s26
	s_cbranch_execnz .LBB181_50
; %bb.51:                               ;   in Loop: Header=BB181_5 Depth=1
	s_or_b32 exec_lo, exec_lo, s26
	v_add_f32_e32 v5, -1.0, v5
	v_cmp_class_f32_e64 s4, v7, 0x204
	s_delay_alu instid0(VALU_DEP_2) | instskip(NEXT) | instid1(VALU_DEP_1)
	v_add_f32_e32 v5, v5, v17
	v_add_f32_e32 v5, v5, v25
	s_delay_alu instid0(VALU_DEP_1) | instskip(NEXT) | instid1(VALU_DEP_1)
	v_add_f32_e32 v5, v5, v16
	v_add_f32_e32 v5, v5, v18
	s_delay_alu instid0(VALU_DEP_1) | instskip(NEXT) | instid1(VALU_DEP_1)
	v_add_f32_e32 v5, v5, v24
	v_add_f32_e32 v5, v5, v21
	s_delay_alu instid0(VALU_DEP_1) | instskip(NEXT) | instid1(VALU_DEP_1)
	v_add_f32_e32 v5, v5, v23
	v_add_f32_e32 v5, v5, v22
	s_delay_alu instid0(VALU_DEP_1) | instskip(NEXT) | instid1(VALU_DEP_1)
	v_add_f32_e32 v5, v5, v20
	v_add_f32_e32 v5, v5, v19
	s_delay_alu instid0(VALU_DEP_1) | instskip(NEXT) | instid1(VALU_DEP_1)
	v_add_f32_e32 v5, v26, v5
	v_add_f32_e32 v18, 1.0, v5
	s_delay_alu instid0(VALU_DEP_1) | instskip(NEXT) | instid1(VALU_DEP_1)
	v_cvt_f64_f32_e32 v[16:17], v18
	v_frexp_exp_i32_f64_e32 v16, v[16:17]
	v_frexp_mant_f32_e32 v17, v18
	s_delay_alu instid0(VALU_DEP_1) | instskip(SKIP_1) | instid1(VALU_DEP_1)
	v_cmp_gt_f32_e32 vcc_lo, 0x3f2aaaab, v17
	v_add_f32_e32 v17, -1.0, v18
	v_sub_f32_e32 v20, v17, v18
	s_delay_alu instid0(VALU_DEP_1) | instskip(NEXT) | instid1(VALU_DEP_1)
	v_dual_sub_f32 v17, v5, v17 :: v_dual_add_f32 v20, 1.0, v20
	v_add_f32_e32 v17, v17, v20
	v_subrev_co_ci_u32_e32 v16, vcc_lo, 0, v16, vcc_lo
	s_delay_alu instid0(VALU_DEP_1) | instskip(SKIP_1) | instid1(VALU_DEP_2)
	v_sub_nc_u32_e32 v19, 0, v16
	v_cvt_f32_i32_e32 v16, v16
	v_ldexp_f32 v18, v18, v19
	v_ldexp_f32 v17, v17, v19
	s_delay_alu instid0(VALU_DEP_2) | instskip(NEXT) | instid1(VALU_DEP_1)
	v_add_f32_e32 v21, 1.0, v18
	v_dual_add_f32 v19, -1.0, v18 :: v_dual_add_f32 v20, -1.0, v21
	s_delay_alu instid0(VALU_DEP_1) | instskip(NEXT) | instid1(VALU_DEP_2)
	v_add_f32_e32 v22, 1.0, v19
	v_sub_f32_e32 v20, v18, v20
	s_delay_alu instid0(VALU_DEP_2) | instskip(NEXT) | instid1(VALU_DEP_2)
	v_sub_f32_e32 v18, v18, v22
	v_add_f32_e32 v20, v17, v20
	s_delay_alu instid0(VALU_DEP_2) | instskip(SKIP_2) | instid1(VALU_DEP_4)
	v_add_f32_e32 v17, v17, v18
	v_cmp_eq_f32_e32 vcc_lo, 0x7f800000, v5
	v_cmp_neq_f32_e64 s3, -1.0, v5
	v_add_f32_e32 v22, v21, v20
	s_delay_alu instid0(VALU_DEP_1) | instskip(SKIP_1) | instid1(VALU_DEP_1)
	v_rcp_f32_e32 v18, v22
	v_sub_f32_e32 v21, v22, v21
	v_sub_f32_e32 v20, v20, v21
	v_add_f32_e32 v23, v19, v17
	s_waitcnt_depctr 0xfff
	v_mul_f32_e32 v24, v23, v18
	s_delay_alu instid0(VALU_DEP_1) | instskip(NEXT) | instid1(VALU_DEP_1)
	v_mul_f32_e32 v25, v22, v24
	v_fma_f32 v21, v24, v22, -v25
	s_delay_alu instid0(VALU_DEP_1) | instskip(NEXT) | instid1(VALU_DEP_1)
	v_fmac_f32_e32 v21, v24, v20
	v_dual_add_f32 v26, v25, v21 :: v_dual_sub_f32 v19, v23, v19
	s_delay_alu instid0(VALU_DEP_1) | instskip(NEXT) | instid1(VALU_DEP_2)
	v_sub_f32_e32 v27, v23, v26
	v_sub_f32_e32 v17, v17, v19
	v_sub_f32_e32 v19, v26, v25
	s_delay_alu instid0(VALU_DEP_3) | instskip(NEXT) | instid1(VALU_DEP_2)
	v_sub_f32_e32 v23, v23, v27
	v_sub_f32_e32 v19, v19, v21
	s_delay_alu instid0(VALU_DEP_2) | instskip(NEXT) | instid1(VALU_DEP_1)
	v_sub_f32_e32 v23, v23, v26
	v_add_f32_e32 v17, v17, v23
	s_delay_alu instid0(VALU_DEP_1) | instskip(NEXT) | instid1(VALU_DEP_1)
	v_add_f32_e32 v17, v19, v17
	v_add_f32_e32 v19, v27, v17
	s_delay_alu instid0(VALU_DEP_1) | instskip(NEXT) | instid1(VALU_DEP_1)
	v_mul_f32_e32 v21, v18, v19
	v_dual_sub_f32 v26, v27, v19 :: v_dual_mul_f32 v23, v22, v21
	s_delay_alu instid0(VALU_DEP_1) | instskip(NEXT) | instid1(VALU_DEP_2)
	v_add_f32_e32 v17, v17, v26
	v_fma_f32 v22, v21, v22, -v23
	s_delay_alu instid0(VALU_DEP_1) | instskip(NEXT) | instid1(VALU_DEP_1)
	v_fmac_f32_e32 v22, v21, v20
	v_add_f32_e32 v20, v23, v22
	s_delay_alu instid0(VALU_DEP_1) | instskip(SKIP_1) | instid1(VALU_DEP_2)
	v_sub_f32_e32 v25, v19, v20
	v_sub_f32_e32 v23, v20, v23
	;; [unrolled: 1-line block ×3, first 2 shown]
	s_delay_alu instid0(VALU_DEP_1) | instskip(NEXT) | instid1(VALU_DEP_3)
	v_sub_f32_e32 v19, v19, v20
	v_sub_f32_e32 v20, v23, v22
	v_max_f32_e64 v22, |v8|, |v8|
	s_delay_alu instid0(VALU_DEP_3) | instskip(SKIP_1) | instid1(VALU_DEP_1)
	v_add_f32_e32 v17, v17, v19
	v_add_f32_e32 v19, v24, v21
	v_dual_add_f32 v17, v20, v17 :: v_dual_sub_f32 v20, v19, v24
	s_delay_alu instid0(VALU_DEP_1) | instskip(NEXT) | instid1(VALU_DEP_2)
	v_add_f32_e32 v17, v25, v17
	v_sub_f32_e32 v20, v21, v20
	v_mul_f32_e32 v25, 0x3f317218, v16
	s_delay_alu instid0(VALU_DEP_3) | instskip(NEXT) | instid1(VALU_DEP_2)
	v_mul_f32_e32 v17, v18, v17
	v_fma_f32 v26, 0x3f317218, v16, -v25
	s_delay_alu instid0(VALU_DEP_1) | instskip(NEXT) | instid1(VALU_DEP_1)
	v_dual_add_f32 v17, v20, v17 :: v_dual_fmac_f32 v26, 0xb102e308, v16
	v_add_f32_e32 v18, v19, v17
	s_delay_alu instid0(VALU_DEP_1) | instskip(SKIP_1) | instid1(VALU_DEP_2)
	v_mul_f32_e32 v20, v18, v18
	v_ldexp_f32 v24, v18, 1
	v_fmaak_f32 v21, s14, v20, 0x3ecc95a3
	v_mul_f32_e32 v23, v18, v20
	v_sub_f32_e32 v18, v18, v19
	s_delay_alu instid0(VALU_DEP_3) | instskip(SKIP_1) | instid1(VALU_DEP_2)
	v_fmaak_f32 v20, v20, v21, 0x3f2aaada
	v_max_f32_e64 v21, |v7|, |v7|
	v_dual_sub_f32 v17, v17, v18 :: v_dual_mul_f32 v20, v23, v20
	s_delay_alu instid0(VALU_DEP_2) | instskip(SKIP_1) | instid1(VALU_DEP_3)
	v_max_f32_e32 v23, v21, v22
	v_min_f32_e32 v21, v21, v22
	v_ldexp_f32 v17, v17, 1
	s_delay_alu instid0(VALU_DEP_4) | instskip(NEXT) | instid1(VALU_DEP_4)
	v_add_f32_e32 v19, v24, v20
	v_frexp_mant_f32_e32 v22, v23
	v_frexp_exp_i32_f32_e32 v23, v23
	s_delay_alu instid0(VALU_DEP_3) | instskip(NEXT) | instid1(VALU_DEP_3)
	v_sub_f32_e32 v18, v19, v24
	v_rcp_f32_e32 v22, v22
	v_frexp_exp_i32_f32_e32 v24, v21
	s_delay_alu instid0(VALU_DEP_2) | instskip(SKIP_1) | instid1(VALU_DEP_3)
	v_sub_f32_e32 v18, v20, v18
	v_frexp_mant_f32_e32 v20, v21
	v_sub_nc_u32_e32 v21, v24, v23
	s_delay_alu instid0(VALU_DEP_3) | instskip(SKIP_4) | instid1(VALU_DEP_3)
	v_add_f32_e32 v16, v17, v18
	s_waitcnt_depctr 0xfff
	v_mul_f32_e32 v17, v20, v22
	v_add_f32_e32 v18, v25, v26
	v_add_f32_e32 v20, v19, v16
	v_ldexp_f32 v17, v17, v21
	s_delay_alu instid0(VALU_DEP_3) | instskip(NEXT) | instid1(VALU_DEP_2)
	v_sub_f32_e32 v25, v18, v25
	v_dual_add_f32 v21, v18, v20 :: v_dual_mul_f32 v22, v17, v17
	v_sub_f32_e32 v19, v20, v19
	s_delay_alu instid0(VALU_DEP_3) | instskip(NEXT) | instid1(VALU_DEP_3)
	v_sub_f32_e32 v25, v26, v25
	v_sub_f32_e32 v23, v21, v18
	s_delay_alu instid0(VALU_DEP_4) | instskip(NEXT) | instid1(VALU_DEP_4)
	v_fmaak_f32 v24, s16, v22, 0xbc7a590c
	v_sub_f32_e32 v16, v16, v19
	s_delay_alu instid0(VALU_DEP_2) | instskip(SKIP_1) | instid1(VALU_DEP_2)
	v_dual_sub_f32 v27, v21, v23 :: v_dual_fmaak_f32 v24, v22, v24, 0x3d29fb3f
	v_sub_f32_e32 v19, v20, v23
	v_dual_add_f32 v23, v25, v16 :: v_dual_sub_f32 v18, v18, v27
	s_delay_alu instid0(VALU_DEP_3) | instskip(NEXT) | instid1(VALU_DEP_1)
	v_fmaak_f32 v20, v22, v24, 0xbd97d4d7
	v_dual_add_f32 v18, v19, v18 :: v_dual_fmaak_f32 v19, v22, v20, 0x3dd931b2
	s_delay_alu instid0(VALU_DEP_3) | instskip(NEXT) | instid1(VALU_DEP_2)
	v_sub_f32_e32 v20, v23, v25
	v_dual_add_f32 v18, v23, v18 :: v_dual_fmaak_f32 v19, v22, v19, 0xbe1160e6
	s_delay_alu instid0(VALU_DEP_2) | instskip(SKIP_1) | instid1(VALU_DEP_3)
	v_sub_f32_e32 v23, v23, v20
	v_sub_f32_e32 v16, v16, v20
	v_dual_add_f32 v24, v21, v18 :: v_dual_fmaak_f32 v19, v22, v19, 0x3e4cb8bf
	s_delay_alu instid0(VALU_DEP_1) | instskip(NEXT) | instid1(VALU_DEP_1)
	v_dual_sub_f32 v20, v25, v23 :: v_dual_sub_f32 v21, v24, v21
	v_dual_fmaak_f32 v19, v22, v19, 0xbeaaaa62 :: v_dual_add_f32 v16, v16, v20
	s_delay_alu instid0(VALU_DEP_2) | instskip(NEXT) | instid1(VALU_DEP_1)
	v_sub_f32_e32 v18, v18, v21
	v_dual_mul_f32 v19, v22, v19 :: v_dual_add_f32 v16, v16, v18
	s_delay_alu instid0(VALU_DEP_1) | instskip(NEXT) | instid1(VALU_DEP_1)
	v_dual_fmac_f32 v17, v17, v19 :: v_dual_add_f32 v16, v24, v16
	v_sub_f32_e32 v18, 0x3fc90fdb, v17
	s_delay_alu instid0(VALU_DEP_2) | instskip(SKIP_1) | instid1(VALU_DEP_3)
	v_cndmask_b32_e32 v16, v16, v5, vcc_lo
	v_cmp_gt_i32_e32 vcc_lo, 0, v7
	v_cndmask_b32_e64 v17, v17, v18, s2
	v_cndmask_b32_e64 v18, 0, 0x40490fdb, vcc_lo
	v_cmp_ngt_f32_e32 vcc_lo, -1.0, v5
	s_delay_alu instid0(VALU_DEP_3) | instskip(SKIP_2) | instid1(VALU_DEP_2)
	v_sub_f32_e32 v19, 0x40490fdb, v17
	v_cndmask_b32_e32 v16, 0x7fc00000, v16, vcc_lo
	v_cmp_gt_f32_e32 vcc_lo, 0, v7
	v_cndmask_b32_e64 v16, 0xff800000, v16, s3
	s_delay_alu instid0(VALU_DEP_4)
	v_cndmask_b32_e32 v17, v17, v19, vcc_lo
	v_cndmask_b32_e32 v19, 0x3f490fdb, v13, vcc_lo
	v_cmp_gt_f32_e64 vcc_lo, 0x33800000, |v5|
	v_cmp_class_f32_e64 s3, v8, 0x204
	v_cndmask_b32_e32 v5, v16, v5, vcc_lo
	v_cmp_eq_f32_e32 vcc_lo, 0, v8
	s_delay_alu instid0(VALU_DEP_2) | instskip(NEXT) | instid1(VALU_DEP_4)
	v_dual_mul_f32 v5, 0.5, v5 :: v_dual_cndmask_b32 v16, v17, v18
	s_and_b32 vcc_lo, s4, s3
	s_delay_alu instid0(VALU_DEP_1)
	v_cndmask_b32_e32 v16, v16, v19, vcc_lo
.LBB181_52:                             ;   in Loop: Header=BB181_5 Depth=1
	s_or_b32 exec_lo, exec_lo, s25
.LBB181_53:                             ;   in Loop: Header=BB181_5 Depth=1
	s_delay_alu instid0(SALU_CYCLE_1)
	s_or_b32 exec_lo, exec_lo, s24
.LBB181_54:                             ;   in Loop: Header=BB181_5 Depth=1
	s_and_not1_saveexec_b32 s4, s23
	s_cbranch_execz .LBB181_56
; %bb.55:                               ;   in Loop: Header=BB181_5 Depth=1
	v_max_f32_e64 v5, |v8|, |v8|
	v_max_f32_e64 v18, |v7|, |v7|
	v_cmp_gt_i32_e64 s3, 0, v7
	v_cmp_class_f32_e64 s5, v7, 0x204
	v_cmp_class_f32_e64 s6, v8, 0x204
	s_delay_alu instid0(VALU_DEP_4) | instskip(SKIP_1) | instid1(VALU_DEP_2)
	v_max_f32_e32 v19, v18, v5
	v_min_f32_e32 v5, v18, v5
	v_cvt_f64_f32_e32 v[16:17], v19
	v_frexp_exp_i32_f32_e32 v18, v19
	s_delay_alu instid0(VALU_DEP_3) | instskip(SKIP_1) | instid1(VALU_DEP_2)
	v_frexp_exp_i32_f32_e32 v20, v5
	v_frexp_mant_f32_e32 v5, v5
	v_sub_nc_u32_e32 v18, v20, v18
	v_frexp_exp_i32_f64_e32 v16, v[16:17]
	v_frexp_mant_f32_e32 v17, v19
	s_delay_alu instid0(VALU_DEP_1) | instskip(SKIP_2) | instid1(VALU_DEP_1)
	v_rcp_f32_e32 v17, v17
	s_waitcnt_depctr 0xfff
	v_mul_f32_e32 v5, v5, v17
	v_ldexp_f32 v5, v5, v18
	v_sub_nc_u32_e32 v21, 0, v16
	s_delay_alu instid0(VALU_DEP_1) | instskip(SKIP_1) | instid1(VALU_DEP_2)
	v_ldexp_f32 v17, |v8|, v21
	v_ldexp_f32 v18, |v7|, v21
	v_mul_f32_e32 v17, v17, v17
	s_delay_alu instid0(VALU_DEP_1) | instskip(NEXT) | instid1(VALU_DEP_1)
	v_dual_mul_f32 v20, v5, v5 :: v_dual_fmac_f32 v17, v18, v18
	v_fmaak_f32 v18, s16, v20, 0xbc7a590c
	v_cmp_neq_f32_e32 vcc_lo, 0x7f800000, v19
	s_delay_alu instid0(VALU_DEP_3) | instskip(NEXT) | instid1(VALU_DEP_2)
	v_sqrt_f32_e32 v17, v17
	v_fmaak_f32 v18, v20, v18, 0x3d29fb3f
	s_delay_alu instid0(VALU_DEP_1) | instskip(SKIP_3) | instid1(VALU_DEP_2)
	v_fmaak_f32 v18, v20, v18, 0xbd97d4d7
	s_waitcnt_depctr 0xfff
	v_ldexp_f32 v16, v17, v16
	v_fmaak_f32 v17, v20, v18, 0x3dd931b2
	v_cndmask_b32_e32 v16, 0x7f800000, v16, vcc_lo
	s_delay_alu instid0(VALU_DEP_2) | instskip(NEXT) | instid1(VALU_DEP_2)
	v_fmaak_f32 v17, v20, v17, 0xbe1160e6
	v_cmp_gt_f32_e32 vcc_lo, 0x800000, v16
	s_delay_alu instid0(VALU_DEP_2) | instskip(SKIP_1) | instid1(VALU_DEP_2)
	v_fmaak_f32 v17, v20, v17, 0x3e4cb8bf
	v_cndmask_b32_e64 v18, 1.0, 0x4f800000, vcc_lo
	v_fmaak_f32 v17, v20, v17, 0xbeaaaa62
	s_delay_alu instid0(VALU_DEP_1) | instskip(NEXT) | instid1(VALU_DEP_1)
	v_mul_f32_e32 v17, v20, v17
	v_dual_mul_f32 v16, v16, v18 :: v_dual_fmac_f32 v5, v5, v17
	s_delay_alu instid0(VALU_DEP_1) | instskip(SKIP_2) | instid1(VALU_DEP_1)
	v_log_f32_e32 v16, v16
	s_waitcnt_depctr 0xfff
	v_mul_f32_e32 v17, 0x3f317217, v16
	v_fma_f32 v19, 0x3f317217, v16, -v17
	s_delay_alu instid0(VALU_DEP_1) | instskip(NEXT) | instid1(VALU_DEP_1)
	v_fmac_f32_e32 v19, 0x3377d1cf, v16
	v_dual_sub_f32 v18, 0x3fc90fdb, v5 :: v_dual_add_f32 v17, v17, v19
	s_delay_alu instid0(VALU_DEP_1) | instskip(SKIP_2) | instid1(VALU_DEP_3)
	v_cndmask_b32_e64 v5, v5, v18, s2
	v_cndmask_b32_e64 v18, 0, 0x40490fdb, s3
	v_cmp_gt_f32_e64 s3, 0, v7
	v_sub_f32_e32 v20, 0x40490fdb, v5
	s_delay_alu instid0(VALU_DEP_2) | instskip(NEXT) | instid1(VALU_DEP_2)
	v_cndmask_b32_e64 v19, 0x3f490fdb, v13, s3
	v_cndmask_b32_e64 v5, v5, v20, s3
	v_cndmask_b32_e64 v20, 0, 0x41b17218, vcc_lo
	v_cmp_gt_f32_e64 vcc_lo, 0x7f800000, |v16|
	v_cndmask_b32_e32 v16, v16, v17, vcc_lo
	v_cmp_eq_f32_e32 vcc_lo, 0, v8
	v_cndmask_b32_e32 v17, v5, v18, vcc_lo
	s_and_b32 vcc_lo, s5, s6
	s_delay_alu instid0(VALU_DEP_1)
	v_dual_sub_f32 v5, v16, v20 :: v_dual_cndmask_b32 v16, v17, v19
.LBB181_56:                             ;   in Loop: Header=BB181_5 Depth=1
	s_or_b32 exec_lo, exec_lo, s4
                                        ; implicit-def: $vgpr17
.LBB181_57:                             ;   in Loop: Header=BB181_5 Depth=1
	s_and_not1_saveexec_b32 s4, s22
	s_cbranch_execz .LBB181_63
; %bb.58:                               ;   in Loop: Header=BB181_5 Depth=1
                                        ; implicit-def: $vgpr5
                                        ; implicit-def: $vgpr16
	s_mov_b32 s3, exec_lo
	v_cmpx_ngt_f32_e32 0x1fec1e4a, v17
	s_xor_b32 s5, exec_lo, s3
	s_cbranch_execz .LBB181_60
; %bb.59:                               ;   in Loop: Header=BB181_5 Depth=1
	v_mul_f32_e32 v5, v17, v17
	v_cmp_gt_f32_e64 s3, 0, v7
	v_cmp_class_f32_e64 s6, v7, 0x204
	v_cmp_class_f32_e64 s8, v8, 0x204
	s_delay_alu instid0(VALU_DEP_4) | instskip(NEXT) | instid1(VALU_DEP_1)
	v_add_f32_e32 v18, 1.0, v5
	v_cvt_f64_f32_e32 v[16:17], v18
	s_delay_alu instid0(VALU_DEP_1) | instskip(SKIP_1) | instid1(VALU_DEP_1)
	v_frexp_exp_i32_f64_e32 v16, v[16:17]
	v_frexp_mant_f32_e32 v17, v18
	v_cmp_gt_f32_e32 vcc_lo, 0x3f2aaaab, v17
	v_add_f32_e32 v17, -1.0, v18
	s_delay_alu instid0(VALU_DEP_1) | instskip(NEXT) | instid1(VALU_DEP_1)
	v_sub_f32_e32 v20, v17, v18
	v_dual_add_f32 v20, 1.0, v20 :: v_dual_sub_f32 v17, v5, v17
	v_cmp_gt_f32_e64 s7, 0x33800000, |v5|
	s_delay_alu instid0(VALU_DEP_2) | instskip(SKIP_2) | instid1(VALU_DEP_2)
	v_add_f32_e32 v17, v17, v20
	v_subrev_co_ci_u32_e32 v16, vcc_lo, 0, v16, vcc_lo
	v_cmp_gt_i32_e32 vcc_lo, 0, v7
	v_sub_nc_u32_e32 v19, 0, v16
	v_cvt_f32_i32_e32 v16, v16
	s_delay_alu instid0(VALU_DEP_2) | instskip(SKIP_1) | instid1(VALU_DEP_2)
	v_ldexp_f32 v18, v18, v19
	v_ldexp_f32 v17, v17, v19
	v_add_f32_e32 v19, -1.0, v18
	s_delay_alu instid0(VALU_DEP_1) | instskip(NEXT) | instid1(VALU_DEP_1)
	v_dual_add_f32 v21, 1.0, v18 :: v_dual_add_f32 v22, 1.0, v19
	v_add_f32_e32 v20, -1.0, v21
	s_delay_alu instid0(VALU_DEP_1) | instskip(NEXT) | instid1(VALU_DEP_3)
	v_sub_f32_e32 v20, v18, v20
	v_sub_f32_e32 v18, v18, v22
	s_delay_alu instid0(VALU_DEP_2) | instskip(NEXT) | instid1(VALU_DEP_2)
	v_add_f32_e32 v20, v17, v20
	v_add_f32_e32 v17, v17, v18
	s_delay_alu instid0(VALU_DEP_1) | instskip(NEXT) | instid1(VALU_DEP_1)
	v_dual_add_f32 v23, v19, v17 :: v_dual_add_f32 v22, v21, v20
	v_rcp_f32_e32 v18, v22
	v_sub_f32_e32 v21, v21, v22
	s_delay_alu instid0(VALU_DEP_1) | instskip(SKIP_2) | instid1(VALU_DEP_1)
	v_dual_add_f32 v20, v20, v21 :: v_dual_sub_f32 v19, v19, v23
	s_waitcnt_depctr 0xfff
	v_dual_mul_f32 v24, v23, v18 :: v_dual_add_f32 v17, v17, v19
	v_mul_f32_e32 v25, v22, v24
	s_delay_alu instid0(VALU_DEP_1) | instskip(NEXT) | instid1(VALU_DEP_1)
	v_fma_f32 v21, v24, v22, -v25
	v_fmac_f32_e32 v21, v24, v20
	s_delay_alu instid0(VALU_DEP_1) | instskip(NEXT) | instid1(VALU_DEP_1)
	v_add_f32_e32 v26, v25, v21
	v_sub_f32_e32 v27, v23, v26
	s_delay_alu instid0(VALU_DEP_1) | instskip(SKIP_1) | instid1(VALU_DEP_2)
	v_sub_f32_e32 v23, v23, v27
	v_sub_f32_e32 v19, v26, v25
	;; [unrolled: 1-line block ×3, first 2 shown]
	s_delay_alu instid0(VALU_DEP_2) | instskip(NEXT) | instid1(VALU_DEP_2)
	v_sub_f32_e32 v19, v19, v21
	v_add_f32_e32 v17, v17, v23
	s_delay_alu instid0(VALU_DEP_1) | instskip(NEXT) | instid1(VALU_DEP_1)
	v_add_f32_e32 v17, v19, v17
	v_add_f32_e32 v19, v27, v17
	s_delay_alu instid0(VALU_DEP_1) | instskip(NEXT) | instid1(VALU_DEP_1)
	v_mul_f32_e32 v21, v18, v19
	v_dual_sub_f32 v26, v27, v19 :: v_dual_mul_f32 v23, v22, v21
	s_delay_alu instid0(VALU_DEP_1) | instskip(NEXT) | instid1(VALU_DEP_2)
	v_add_f32_e32 v17, v17, v26
	v_fma_f32 v22, v21, v22, -v23
	s_delay_alu instid0(VALU_DEP_1) | instskip(NEXT) | instid1(VALU_DEP_1)
	v_fmac_f32_e32 v22, v21, v20
	v_add_f32_e32 v20, v23, v22
	s_delay_alu instid0(VALU_DEP_1) | instskip(SKIP_1) | instid1(VALU_DEP_2)
	v_sub_f32_e32 v25, v19, v20
	v_sub_f32_e32 v23, v20, v23
	;; [unrolled: 1-line block ×3, first 2 shown]
	s_delay_alu instid0(VALU_DEP_1) | instskip(NEXT) | instid1(VALU_DEP_1)
	v_sub_f32_e32 v19, v19, v20
	v_dual_sub_f32 v20, v23, v22 :: v_dual_add_f32 v17, v17, v19
	v_add_f32_e32 v19, v24, v21
	s_delay_alu instid0(VALU_DEP_1) | instskip(NEXT) | instid1(VALU_DEP_1)
	v_dual_add_f32 v17, v20, v17 :: v_dual_sub_f32 v20, v19, v24
	v_add_f32_e32 v17, v25, v17
	s_delay_alu instid0(VALU_DEP_2) | instskip(SKIP_1) | instid1(VALU_DEP_3)
	v_sub_f32_e32 v20, v21, v20
	v_max_f32_e64 v21, |v7|, |v7|
	v_mul_f32_e32 v17, v18, v17
	v_max_f32_e64 v18, |v8|, |v8|
	s_delay_alu instid0(VALU_DEP_2) | instskip(NEXT) | instid1(VALU_DEP_2)
	v_add_f32_e32 v17, v20, v17
	v_max_f32_e32 v23, v21, v18
	v_min_f32_e32 v18, v21, v18
	s_delay_alu instid0(VALU_DEP_3) | instskip(NEXT) | instid1(VALU_DEP_3)
	v_add_f32_e32 v20, v19, v17
	v_frexp_mant_f32_e32 v25, v23
	v_frexp_exp_i32_f32_e32 v21, v23
	s_delay_alu instid0(VALU_DEP_3) | instskip(SKIP_1) | instid1(VALU_DEP_2)
	v_mul_f32_e32 v22, v20, v20
	v_ldexp_f32 v26, v20, 1
	v_dual_sub_f32 v19, v20, v19 :: v_dual_fmaak_f32 v24, s14, v22, 0x3ecc95a3
	v_mul_f32_e32 v23, v20, v22
	s_delay_alu instid0(VALU_DEP_2) | instskip(SKIP_3) | instid1(VALU_DEP_3)
	v_dual_sub_f32 v17, v17, v19 :: v_dual_fmaak_f32 v22, v22, v24, 0x3f2aaada
	v_rcp_f32_e32 v24, v25
	v_frexp_exp_i32_f32_e32 v25, v18
	v_frexp_mant_f32_e32 v18, v18
	v_ldexp_f32 v17, v17, 1
	v_dual_mul_f32 v22, v23, v22 :: v_dual_mul_f32 v23, 0x3f317218, v16
	s_delay_alu instid0(VALU_DEP_4) | instskip(NEXT) | instid1(VALU_DEP_2)
	v_sub_nc_u32_e32 v21, v25, v21
	v_add_f32_e32 v20, v26, v22
	s_delay_alu instid0(TRANS32_DEP_1) | instid1(VALU_DEP_1)
	v_dual_mul_f32 v18, v18, v24 :: v_dual_sub_f32 v19, v20, v26
	s_delay_alu instid0(VALU_DEP_1) | instskip(SKIP_1) | instid1(VALU_DEP_3)
	v_ldexp_f32 v18, v18, v21
	v_fma_f32 v21, 0x3f317218, v16, -v23
	v_sub_f32_e32 v19, v22, v19
	s_delay_alu instid0(VALU_DEP_2) | instskip(NEXT) | instid1(VALU_DEP_1)
	v_dual_mul_f32 v22, v18, v18 :: v_dual_fmac_f32 v21, 0xb102e308, v16
	v_dual_add_f32 v16, v17, v19 :: v_dual_fmaak_f32 v17, s16, v22, 0xbc7a590c
	s_delay_alu instid0(VALU_DEP_1) | instskip(NEXT) | instid1(VALU_DEP_2)
	v_dual_add_f32 v19, v23, v21 :: v_dual_add_f32 v24, v20, v16
	v_fmaak_f32 v17, v22, v17, 0x3d29fb3f
	s_delay_alu instid0(VALU_DEP_2) | instskip(NEXT) | instid1(VALU_DEP_3)
	v_sub_f32_e32 v23, v19, v23
	v_add_f32_e32 v25, v19, v24
	s_delay_alu instid0(VALU_DEP_3) | instskip(NEXT) | instid1(VALU_DEP_3)
	v_dual_fmaak_f32 v17, v22, v17, 0xbd97d4d7 :: v_dual_sub_f32 v20, v24, v20
	v_sub_f32_e32 v21, v21, v23
	s_delay_alu instid0(VALU_DEP_2) | instskip(NEXT) | instid1(VALU_DEP_1)
	v_dual_sub_f32 v26, v25, v19 :: v_dual_fmaak_f32 v17, v22, v17, 0x3dd931b2
	v_dual_sub_f32 v16, v16, v20 :: v_dual_sub_f32 v27, v25, v26
	s_delay_alu instid0(VALU_DEP_2) | instskip(NEXT) | instid1(VALU_DEP_2)
	v_dual_fmaak_f32 v17, v22, v17, 0xbe1160e6 :: v_dual_sub_f32 v20, v24, v26
	v_add_f32_e32 v23, v21, v16
	s_delay_alu instid0(VALU_DEP_3) | instskip(NEXT) | instid1(VALU_DEP_3)
	v_sub_f32_e32 v19, v19, v27
	v_fmaak_f32 v17, v22, v17, 0x3e4cb8bf
	s_delay_alu instid0(VALU_DEP_2) | instskip(NEXT) | instid1(VALU_DEP_2)
	v_add_f32_e32 v19, v20, v19
	v_fmaak_f32 v17, v22, v17, 0xbeaaaa62
	v_sub_f32_e32 v20, v23, v21
	s_delay_alu instid0(VALU_DEP_3) | instskip(NEXT) | instid1(VALU_DEP_2)
	v_add_f32_e32 v19, v23, v19
	v_dual_mul_f32 v17, v22, v17 :: v_dual_sub_f32 v22, v23, v20
	s_delay_alu instid0(VALU_DEP_2) | instskip(NEXT) | instid1(VALU_DEP_2)
	v_dual_sub_f32 v16, v16, v20 :: v_dual_add_f32 v23, v25, v19
	v_dual_fmac_f32 v18, v18, v17 :: v_dual_sub_f32 v17, v21, v22
	s_delay_alu instid0(VALU_DEP_1) | instskip(NEXT) | instid1(VALU_DEP_1)
	v_dual_sub_f32 v20, v23, v25 :: v_dual_sub_f32 v21, 0x3fc90fdb, v18
	v_dual_add_f32 v16, v16, v17 :: v_dual_sub_f32 v17, v19, v20
	s_delay_alu instid0(VALU_DEP_2) | instskip(SKIP_2) | instid1(VALU_DEP_3)
	v_cndmask_b32_e64 v18, v18, v21, s2
	v_cndmask_b32_e64 v19, 0, 0x40490fdb, vcc_lo
	v_cmp_eq_f32_e32 vcc_lo, 0x7f800000, v5
	v_dual_add_f32 v16, v16, v17 :: v_dual_sub_f32 v17, 0x40490fdb, v18
	s_or_b32 vcc_lo, vcc_lo, s7
	s_delay_alu instid0(VALU_DEP_1) | instskip(NEXT) | instid1(VALU_DEP_2)
	v_add_f32_e32 v16, v23, v16
	v_cndmask_b32_e64 v17, v18, v17, s3
	v_cndmask_b32_e64 v18, 0x3f490fdb, v13, s3
	s_delay_alu instid0(VALU_DEP_3) | instskip(SKIP_1) | instid1(VALU_DEP_2)
	v_cndmask_b32_e32 v5, v16, v5, vcc_lo
	v_cmp_eq_f32_e32 vcc_lo, 0, v8
	v_dual_mul_f32 v5, 0.5, v5 :: v_dual_cndmask_b32 v16, v17, v19
	s_and_b32 vcc_lo, s6, s8
                                        ; implicit-def: $vgpr17
	s_delay_alu instid0(VALU_DEP_1)
	v_cndmask_b32_e32 v16, v16, v18, vcc_lo
.LBB181_60:                             ;   in Loop: Header=BB181_5 Depth=1
	s_and_not1_saveexec_b32 s5, s5
	s_cbranch_execz .LBB181_62
; %bb.61:                               ;   in Loop: Header=BB181_5 Depth=1
	v_max_f32_e64 v5, |v8|, |v8|
	v_max_f32_e64 v16, |v7|, |v7|
	v_cmp_gt_i32_e32 vcc_lo, 0, v7
	v_cmp_eq_f32_e64 s3, 0, v8
	v_cmp_class_f32_e64 s6, v7, 0x204
	v_cmp_class_f32_e64 s7, v8, 0x204
	v_max_f32_e32 v18, v16, v5
	v_min_f32_e32 v5, v16, v5
	s_delay_alu instid0(VALU_DEP_2) | instskip(NEXT) | instid1(VALU_DEP_1)
	v_frexp_mant_f32_e32 v19, v18
	v_rcp_f32_e32 v16, v19
	s_delay_alu instid0(VALU_DEP_2) | instskip(SKIP_4) | instid1(VALU_DEP_1)
	v_frexp_exp_i32_f32_e32 v19, v5
	v_frexp_mant_f32_e32 v5, v5
	s_waitcnt_depctr 0xfff
	v_mul_f32_e32 v5, v5, v16
	v_frexp_exp_i32_f32_e32 v18, v18
	v_sub_nc_u32_e32 v18, v19, v18
	s_delay_alu instid0(VALU_DEP_1) | instskip(NEXT) | instid1(VALU_DEP_1)
	v_ldexp_f32 v5, v5, v18
	v_mul_f32_e32 v16, v5, v5
	s_delay_alu instid0(VALU_DEP_1) | instskip(NEXT) | instid1(VALU_DEP_1)
	v_fmaak_f32 v18, s16, v16, 0xbc7a590c
	v_fmaak_f32 v18, v16, v18, 0x3d29fb3f
	s_delay_alu instid0(VALU_DEP_1) | instskip(NEXT) | instid1(VALU_DEP_1)
	v_fmaak_f32 v18, v16, v18, 0xbd97d4d7
	v_fmaak_f32 v18, v16, v18, 0x3dd931b2
	;; [unrolled: 3-line block ×3, first 2 shown]
	s_delay_alu instid0(VALU_DEP_1) | instskip(NEXT) | instid1(VALU_DEP_1)
	v_fmaak_f32 v18, v16, v18, 0xbeaaaa62
	v_mul_f32_e32 v16, v16, v18
	v_cndmask_b32_e64 v18, 0, 0x40490fdb, vcc_lo
	v_cmp_gt_f32_e32 vcc_lo, 0, v7
	v_cndmask_b32_e32 v19, 0x3f490fdb, v13, vcc_lo
	s_delay_alu instid0(VALU_DEP_4) | instskip(NEXT) | instid1(VALU_DEP_1)
	v_fmac_f32_e32 v5, v5, v16
	v_sub_f32_e32 v16, 0x3fc90fdb, v5
	s_delay_alu instid0(VALU_DEP_1) | instskip(NEXT) | instid1(VALU_DEP_1)
	v_cndmask_b32_e64 v5, v5, v16, s2
	v_sub_f32_e32 v16, 0x40490fdb, v5
	s_delay_alu instid0(VALU_DEP_1) | instskip(SKIP_1) | instid1(VALU_DEP_1)
	v_dual_cndmask_b32 v5, v5, v16 :: v_dual_mul_f32 v16, 0.5, v17
	s_and_b32 vcc_lo, s6, s7
	v_cndmask_b32_e64 v18, v5, v18, s3
	s_delay_alu instid0(VALU_DEP_1)
	v_dual_mul_f32 v5, v17, v16 :: v_dual_cndmask_b32 v16, v18, v19
.LBB181_62:                             ;   in Loop: Header=BB181_5 Depth=1
	s_or_b32 exec_lo, exec_lo, s5
.LBB181_63:                             ;   in Loop: Header=BB181_5 Depth=1
	s_delay_alu instid0(SALU_CYCLE_1)
	s_or_b32 exec_lo, exec_lo, s4
.LBB181_64:                             ;   in Loop: Header=BB181_5 Depth=1
	s_and_not1_saveexec_b32 s4, s21
	s_cbranch_execz .LBB181_66
; %bb.65:                               ;   in Loop: Header=BB181_5 Depth=1
	v_div_scale_f32 v5, null, 0x402df854, 0x402df854, v7
	v_div_scale_f32 v16, null, 0x402df854, 0x402df854, v8
	v_div_scale_f32 v21, vcc_lo, v7, 0x402df854, v7
	s_delay_alu instid0(VALU_DEP_3) | instskip(NEXT) | instid1(VALU_DEP_2)
	v_rcp_f32_e32 v17, v5
	v_rcp_f32_e32 v18, v16
	v_cmp_class_f32_e64 s5, v8, 0x204
	s_waitcnt_depctr 0xfff
	v_fma_f32 v19, -v5, v17, 1.0
	v_fma_f32 v20, -v16, v18, 1.0
	s_delay_alu instid0(VALU_DEP_1) | instskip(SKIP_1) | instid1(VALU_DEP_2)
	v_dual_fmac_f32 v17, v19, v17 :: v_dual_fmac_f32 v18, v20, v18
	v_div_scale_f32 v19, s3, v8, 0x402df854, v8
	v_mul_f32_e32 v20, v21, v17
	s_delay_alu instid0(VALU_DEP_1) | instskip(NEXT) | instid1(VALU_DEP_1)
	v_fma_f32 v23, -v5, v20, v21
	v_fmac_f32_e32 v20, v23, v17
	s_delay_alu instid0(VALU_DEP_1) | instskip(NEXT) | instid1(VALU_DEP_1)
	v_fma_f32 v5, -v5, v20, v21
	v_div_fmas_f32 v5, v5, v17, v20
	v_max_f32_e64 v20, |v7|, |v7|
	v_mul_f32_e32 v22, v19, v18
	s_mov_b32 vcc_lo, s3
	v_cmp_class_f32_e64 s3, v7, 0x204
	v_div_fixup_f32 v5, v5, 0x402df854, v7
	s_delay_alu instid0(VALU_DEP_3) | instskip(NEXT) | instid1(VALU_DEP_1)
	v_fma_f32 v24, -v16, v22, v19
	v_fmac_f32_e32 v22, v24, v18
	s_delay_alu instid0(VALU_DEP_1) | instskip(NEXT) | instid1(VALU_DEP_1)
	v_fma_f32 v16, -v16, v22, v19
	v_div_fmas_f32 v16, v16, v18, v22
	s_delay_alu instid0(VALU_DEP_1) | instskip(NEXT) | instid1(VALU_DEP_1)
	v_div_fixup_f32 v18, v16, 0x402df854, v8
	v_max_f32_e64 v19, |v5|, |v18|
	s_delay_alu instid0(VALU_DEP_1) | instskip(SKIP_1) | instid1(VALU_DEP_2)
	v_cvt_f64_f32_e32 v[16:17], v19
	v_cmp_neq_f32_e32 vcc_lo, 0x7f800000, v19
	v_frexp_exp_i32_f64_e32 v16, v[16:17]
	v_max_f32_e64 v17, |v8|, |v8|
	s_delay_alu instid0(VALU_DEP_1) | instskip(SKIP_1) | instid1(VALU_DEP_2)
	v_max_f32_e32 v21, v20, v17
	v_min_f32_e32 v17, v20, v17
	v_frexp_mant_f32_e32 v22, v21
	v_frexp_exp_i32_f32_e32 v21, v21
	s_delay_alu instid0(VALU_DEP_2) | instskip(SKIP_1) | instid1(VALU_DEP_1)
	v_rcp_f32_e32 v20, v22
	v_sub_nc_u32_e32 v22, 0, v16
	v_ldexp_f32 v18, |v18|, v22
	v_ldexp_f32 v5, |v5|, v22
	s_delay_alu instid0(VALU_DEP_2) | instskip(SKIP_2) | instid1(VALU_DEP_3)
	v_mul_f32_e32 v18, v18, v18
	v_frexp_exp_i32_f32_e32 v23, v17
	v_frexp_mant_f32_e32 v17, v17
	v_fmac_f32_e32 v18, v5, v5
	s_delay_alu instid0(VALU_DEP_3)
	v_sub_nc_u32_e32 v21, v23, v21
	s_delay_alu instid0(TRANS32_DEP_1) | instid1(VALU_DEP_3)
	v_mul_f32_e32 v17, v17, v20
	s_delay_alu instid0(VALU_DEP_3) | instskip(NEXT) | instid1(VALU_DEP_1)
	v_sqrt_f32_e32 v18, v18
	v_ldexp_f32 v17, v17, v21
	s_waitcnt_depctr 0xfff
	v_ldexp_f32 v16, v18, v16
	s_delay_alu instid0(VALU_DEP_1) | instskip(NEXT) | instid1(VALU_DEP_1)
	v_dual_mul_f32 v5, v17, v17 :: v_dual_cndmask_b32 v16, 0x7f800000, v16
	v_fmaak_f32 v20, s16, v5, 0xbc7a590c
	s_delay_alu instid0(VALU_DEP_2) | instskip(NEXT) | instid1(VALU_DEP_2)
	v_cmp_gt_f32_e32 vcc_lo, 0x800000, v16
	v_fmaak_f32 v20, v5, v20, 0x3d29fb3f
	v_cndmask_b32_e64 v19, 1.0, 0x4f800000, vcc_lo
	s_delay_alu instid0(VALU_DEP_1) | instskip(NEXT) | instid1(VALU_DEP_1)
	v_mul_f32_e32 v16, v16, v19
	v_log_f32_e32 v16, v16
	s_delay_alu instid0(VALU_DEP_3) | instskip(SKIP_1) | instid1(VALU_DEP_2)
	v_fmaak_f32 v18, v5, v20, 0xbd97d4d7
	v_cndmask_b32_e64 v20, 0, 0x41b17218, vcc_lo
	v_fmaak_f32 v18, v5, v18, 0x3dd931b2
	s_waitcnt_depctr 0xfff
	v_cmp_gt_f32_e64 vcc_lo, 0x7f800000, |v16|
	v_fmaak_f32 v18, v5, v18, 0xbe1160e6
	s_delay_alu instid0(VALU_DEP_1) | instskip(NEXT) | instid1(VALU_DEP_1)
	v_fmaak_f32 v18, v5, v18, 0x3e4cb8bf
	v_fmaak_f32 v18, v5, v18, 0xbeaaaa62
	s_delay_alu instid0(VALU_DEP_1) | instskip(NEXT) | instid1(VALU_DEP_1)
	v_dual_mul_f32 v5, v5, v18 :: v_dual_mul_f32 v18, 0x3f317217, v16
	v_fmac_f32_e32 v17, v17, v5
	s_delay_alu instid0(VALU_DEP_2) | instskip(NEXT) | instid1(VALU_DEP_2)
	v_fma_f32 v5, 0x3f317217, v16, -v18
	v_sub_f32_e32 v19, 0x3fc90fdb, v17
	s_delay_alu instid0(VALU_DEP_2) | instskip(NEXT) | instid1(VALU_DEP_2)
	v_fmac_f32_e32 v5, 0x3377d1cf, v16
	v_cndmask_b32_e64 v17, v17, v19, s2
	v_cmp_gt_i32_e64 s2, 0, v7
	s_delay_alu instid0(VALU_DEP_3) | instskip(NEXT) | instid1(VALU_DEP_2)
	v_add_f32_e32 v5, v18, v5
	v_cndmask_b32_e64 v19, 0, 0x40490fdb, s2
	v_cmp_gt_f32_e64 s2, 0, v7
	s_delay_alu instid0(VALU_DEP_3) | instskip(SKIP_2) | instid1(VALU_DEP_3)
	v_cndmask_b32_e32 v5, v16, v5, vcc_lo
	v_sub_f32_e32 v18, 0x40490fdb, v17
	v_cmp_eq_f32_e32 vcc_lo, 0, v8
	v_sub_f32_e32 v5, v5, v20
	s_delay_alu instid0(VALU_DEP_3) | instskip(SKIP_1) | instid1(VALU_DEP_2)
	v_cndmask_b32_e64 v16, v17, v18, s2
	v_cndmask_b32_e64 v17, 0x3f490fdb, v13, s2
	v_dual_add_f32 v5, 1.0, v5 :: v_dual_cndmask_b32 v16, v16, v19
	s_and_b32 vcc_lo, s3, s5
	s_delay_alu instid0(VALU_DEP_1)
	v_cndmask_b32_e32 v16, v16, v17, vcc_lo
.LBB181_66:                             ;   in Loop: Header=BB181_5 Depth=1
	s_or_b32 exec_lo, exec_lo, s4
.LBB181_67:                             ;   in Loop: Header=BB181_5 Depth=1
	s_and_not1_saveexec_b32 s2, s17
	s_cbranch_execz .LBB181_73
; %bb.68:                               ;   in Loop: Header=BB181_5 Depth=1
	v_cmp_ngt_f32_e64 s3, 0x20000000, |v7|
	v_cmp_ngt_f32_e64 s4, 0x20000000, |v8|
                                        ; implicit-def: $vgpr5
	s_delay_alu instid0(VALU_DEP_1) | instskip(NEXT) | instid1(SALU_CYCLE_1)
	s_or_b32 s3, s3, s4
	s_and_saveexec_b32 s4, s3
	s_delay_alu instid0(SALU_CYCLE_1)
	s_xor_b32 s3, exec_lo, s4
; %bb.69:                               ;   in Loop: Header=BB181_5 Depth=1
	v_mul_f32_e32 v5, v8, v8
	s_delay_alu instid0(VALU_DEP_1)
	v_fmac_f32_e32 v5, v7, v7
; %bb.70:                               ;   in Loop: Header=BB181_5 Depth=1
	s_and_not1_saveexec_b32 s3, s3
; %bb.71:                               ;   in Loop: Header=BB181_5 Depth=1
	v_mul_f32_e32 v5, 4.0, v8
	v_mul_f32_e32 v7, 4.0, v7
	s_delay_alu instid0(VALU_DEP_2) | instskip(NEXT) | instid1(VALU_DEP_1)
	v_mul_f32_e32 v5, v5, v5
	v_fmac_f32_e32 v5, v7, v7
	s_delay_alu instid0(VALU_DEP_1)
	v_mul_f32_e32 v5, 0x3d800000, v5
; %bb.72:                               ;   in Loop: Header=BB181_5 Depth=1
	s_or_b32 exec_lo, exec_lo, s3
	s_delay_alu instid0(VALU_DEP_1) | instskip(SKIP_1) | instid1(VALU_DEP_1)
	v_cmp_gt_f32_e32 vcc_lo, 0x800000, v5
	v_cndmask_b32_e64 v7, 1.0, 0x4f800000, vcc_lo
	v_mul_f32_e32 v5, v5, v7
	s_delay_alu instid0(VALU_DEP_1) | instskip(SKIP_2) | instid1(VALU_DEP_1)
	v_log_f32_e32 v5, v5
	s_waitcnt_depctr 0xfff
	v_mul_f32_e32 v7, 0x3f317217, v5
	v_fma_f32 v16, 0x3f317217, v5, -v7
	s_delay_alu instid0(VALU_DEP_1) | instskip(NEXT) | instid1(VALU_DEP_1)
	v_fmac_f32_e32 v16, 0x3377d1cf, v5
	v_add_f32_e32 v7, v7, v16
	v_cndmask_b32_e64 v16, 0, 0x41b17218, vcc_lo
	v_cmp_gt_f32_e64 vcc_lo, 0x7f800000, |v5|
	s_delay_alu instid0(VALU_DEP_3) | instskip(NEXT) | instid1(VALU_DEP_1)
	v_cndmask_b32_e32 v5, v5, v7, vcc_lo
	v_dual_sub_f32 v5, v5, v16 :: v_dual_mov_b32 v16, 0x7fc00000
.LBB181_73:                             ;   in Loop: Header=BB181_5 Depth=1
	s_or_b32 exec_lo, exec_lo, s2
                                        ; implicit-def: $vgpr7
                                        ; implicit-def: $vgpr17
	s_delay_alu instid0(SALU_CYCLE_1)
	s_mov_b32 s2, exec_lo
	s_waitcnt vmcnt(0)
	v_cmpx_o_f32_e32 v2, v1
	s_xor_b32 s17, exec_lo, s2
	s_cbranch_execz .LBB181_101
; %bb.74:                               ;   in Loop: Header=BB181_5 Depth=1
	v_cmp_lt_f32_e64 s2, |v1|, |v2|
                                        ; implicit-def: $vgpr7
                                        ; implicit-def: $vgpr17
	s_mov_b32 s3, exec_lo
	s_delay_alu instid0(VALU_DEP_1) | instskip(NEXT) | instid1(VALU_DEP_1)
	v_cndmask_b32_e64 v18, |v2|, |v1|, s2
	v_cmpx_nlt_f32_e32 0x77f684df, v18
	s_xor_b32 s21, exec_lo, s3
	s_cbranch_execz .LBB181_98
; %bb.75:                               ;   in Loop: Header=BB181_5 Depth=1
	v_and_b32_e32 v7, 0x7fffffff, v2
                                        ; implicit-def: $vgpr17
	s_mov_b32 s3, exec_lo
	s_delay_alu instid0(VALU_DEP_1) | instskip(NEXT) | instid1(VALU_DEP_1)
	v_cndmask_b32_e64 v19, |v1|, v7, s2
                                        ; implicit-def: $vgpr7
	v_cmpx_neq_f32_e32 1.0, v19
	s_xor_b32 s22, exec_lo, s3
	s_cbranch_execz .LBB181_91
; %bb.76:                               ;   in Loop: Header=BB181_5 Depth=1
	v_max_f32_e32 v7, v18, v18
	v_max_f32_e32 v17, v19, v19
	s_delay_alu instid0(VALU_DEP_1) | instskip(SKIP_1) | instid1(VALU_DEP_2)
	v_min_f32_e32 v20, v17, v7
	v_max_f32_e32 v7, v17, v7
                                        ; implicit-def: $vgpr17
	v_cmp_ngt_f32_e32 vcc_lo, 0x358637bd, v20
	s_delay_alu instid0(VALU_DEP_2) | instskip(NEXT) | instid1(VALU_DEP_1)
	v_cmp_nlt_f32_e64 s3, 0x49742400, v7
                                        ; implicit-def: $vgpr7
	s_and_b32 s3, s3, vcc_lo
	s_delay_alu instid0(SALU_CYCLE_1) | instskip(NEXT) | instid1(SALU_CYCLE_1)
	s_and_saveexec_b32 s4, s3
	s_xor_b32 s23, exec_lo, s4
	s_cbranch_execz .LBB181_88
; %bb.77:                               ;   in Loop: Header=BB181_5 Depth=1
                                        ; implicit-def: $vgpr7
                                        ; implicit-def: $vgpr17
	s_mov_b32 s3, exec_lo
	v_cmpx_le_f32_e32 1.0, v19
	s_xor_b32 s4, exec_lo, s3
	s_cbranch_execz .LBB181_79
; %bb.78:                               ;   in Loop: Header=BB181_5 Depth=1
	v_add_f32_e32 v7, -1.0, v19
	v_add_f32_e32 v17, 1.0, v19
	v_cmp_class_f32_e64 s5, v1, 0x204
	s_delay_alu instid0(VALU_DEP_2) | instskip(NEXT) | instid1(VALU_DEP_1)
	v_mul_f32_e32 v7, v7, v17
	v_fmac_f32_e32 v7, v18, v18
	s_delay_alu instid0(VALU_DEP_1) | instskip(NEXT) | instid1(VALU_DEP_1)
	v_add_f32_e32 v19, 1.0, v7
	v_cvt_f64_f32_e32 v[17:18], v19
	s_delay_alu instid0(VALU_DEP_1) | instskip(SKIP_1) | instid1(VALU_DEP_1)
	v_frexp_exp_i32_f64_e32 v17, v[17:18]
	v_frexp_mant_f32_e32 v18, v19
	v_cmp_gt_f32_e32 vcc_lo, 0x3f2aaaab, v18
	v_add_f32_e32 v18, -1.0, v19
	s_delay_alu instid0(VALU_DEP_1) | instskip(SKIP_1) | instid1(VALU_DEP_1)
	v_sub_f32_e32 v21, v18, v19
	v_subrev_co_ci_u32_e32 v17, vcc_lo, 0, v17, vcc_lo
	v_sub_nc_u32_e32 v20, 0, v17
	v_cvt_f32_i32_e32 v17, v17
	s_delay_alu instid0(VALU_DEP_2) | instskip(NEXT) | instid1(VALU_DEP_1)
	v_ldexp_f32 v19, v19, v20
	v_dual_add_f32 v21, 1.0, v21 :: v_dual_add_f32 v22, 1.0, v19
	v_sub_f32_e32 v18, v7, v18
	v_cmp_eq_f32_e32 vcc_lo, 0x7f800000, v7
	v_cmp_neq_f32_e64 s3, -1.0, v7
	s_delay_alu instid0(VALU_DEP_3) | instskip(NEXT) | instid1(VALU_DEP_1)
	v_add_f32_e32 v18, v18, v21
	v_ldexp_f32 v18, v18, v20
	v_dual_add_f32 v20, -1.0, v19 :: v_dual_add_f32 v21, -1.0, v22
	s_delay_alu instid0(VALU_DEP_1) | instskip(NEXT) | instid1(VALU_DEP_2)
	v_add_f32_e32 v23, 1.0, v20
	v_sub_f32_e32 v21, v19, v21
	s_delay_alu instid0(VALU_DEP_2) | instskip(NEXT) | instid1(VALU_DEP_2)
	v_sub_f32_e32 v19, v19, v23
	v_add_f32_e32 v21, v18, v21
	s_delay_alu instid0(VALU_DEP_2) | instskip(NEXT) | instid1(VALU_DEP_1)
	v_add_f32_e32 v18, v18, v19
	v_add_f32_e32 v24, v20, v18
	s_delay_alu instid0(VALU_DEP_1) | instskip(NEXT) | instid1(VALU_DEP_1)
	v_dual_sub_f32 v20, v24, v20 :: v_dual_add_f32 v23, v22, v21
	v_sub_f32_e32 v18, v18, v20
	s_delay_alu instid0(VALU_DEP_2) | instskip(SKIP_1) | instid1(VALU_DEP_1)
	v_rcp_f32_e32 v19, v23
	v_sub_f32_e32 v22, v23, v22
	v_sub_f32_e32 v21, v21, v22
	s_waitcnt_depctr 0xfff
	v_mul_f32_e32 v25, v24, v19
	s_delay_alu instid0(VALU_DEP_1) | instskip(NEXT) | instid1(VALU_DEP_1)
	v_mul_f32_e32 v26, v23, v25
	v_fma_f32 v22, v25, v23, -v26
	s_delay_alu instid0(VALU_DEP_1) | instskip(NEXT) | instid1(VALU_DEP_1)
	v_fmac_f32_e32 v22, v25, v21
	v_add_f32_e32 v27, v26, v22
	s_delay_alu instid0(VALU_DEP_1) | instskip(SKIP_1) | instid1(VALU_DEP_2)
	v_sub_f32_e32 v28, v24, v27
	v_sub_f32_e32 v20, v27, v26
	;; [unrolled: 1-line block ×3, first 2 shown]
	s_delay_alu instid0(VALU_DEP_2) | instskip(NEXT) | instid1(VALU_DEP_2)
	v_sub_f32_e32 v20, v20, v22
	v_sub_f32_e32 v24, v24, v27
	s_delay_alu instid0(VALU_DEP_1) | instskip(NEXT) | instid1(VALU_DEP_1)
	v_add_f32_e32 v18, v18, v24
	v_add_f32_e32 v18, v20, v18
	s_delay_alu instid0(VALU_DEP_1) | instskip(NEXT) | instid1(VALU_DEP_1)
	v_add_f32_e32 v20, v28, v18
	v_mul_f32_e32 v22, v19, v20
	s_delay_alu instid0(VALU_DEP_1) | instskip(NEXT) | instid1(VALU_DEP_1)
	v_dual_sub_f32 v27, v28, v20 :: v_dual_mul_f32 v24, v23, v22
	v_add_f32_e32 v18, v18, v27
	s_delay_alu instid0(VALU_DEP_2) | instskip(NEXT) | instid1(VALU_DEP_1)
	v_fma_f32 v23, v22, v23, -v24
	v_fmac_f32_e32 v23, v22, v21
	s_delay_alu instid0(VALU_DEP_1) | instskip(NEXT) | instid1(VALU_DEP_1)
	v_add_f32_e32 v21, v24, v23
	v_sub_f32_e32 v26, v20, v21
	s_delay_alu instid0(VALU_DEP_1) | instskip(NEXT) | instid1(VALU_DEP_1)
	v_sub_f32_e32 v20, v20, v26
	v_sub_f32_e32 v20, v20, v21
	s_delay_alu instid0(VALU_DEP_1) | instskip(SKIP_2) | instid1(VALU_DEP_1)
	v_add_f32_e32 v18, v18, v20
	v_add_f32_e32 v20, v25, v22
	v_sub_f32_e32 v24, v21, v24
	v_sub_f32_e32 v21, v24, v23
	v_max_f32_e64 v23, |v2|, |v2|
	s_delay_alu instid0(VALU_DEP_2) | instskip(NEXT) | instid1(VALU_DEP_1)
	v_dual_add_f32 v18, v21, v18 :: v_dual_sub_f32 v21, v20, v25
	v_add_f32_e32 v18, v26, v18
	s_delay_alu instid0(VALU_DEP_2) | instskip(SKIP_1) | instid1(VALU_DEP_3)
	v_sub_f32_e32 v21, v22, v21
	v_mul_f32_e32 v26, 0x3f317218, v17
	v_mul_f32_e32 v18, v19, v18
	s_delay_alu instid0(VALU_DEP_2) | instskip(NEXT) | instid1(VALU_DEP_1)
	v_fma_f32 v27, 0x3f317218, v17, -v26
	v_dual_add_f32 v18, v21, v18 :: v_dual_fmac_f32 v27, 0xb102e308, v17
	s_delay_alu instid0(VALU_DEP_1) | instskip(NEXT) | instid1(VALU_DEP_1)
	v_add_f32_e32 v19, v20, v18
	v_mul_f32_e32 v21, v19, v19
	v_ldexp_f32 v25, v19, 1
	s_delay_alu instid0(VALU_DEP_2) | instskip(SKIP_2) | instid1(VALU_DEP_3)
	v_fmaak_f32 v22, s14, v21, 0x3ecc95a3
	v_mul_f32_e32 v24, v19, v21
	v_sub_f32_e32 v19, v19, v20
	v_fmaak_f32 v21, v21, v22, 0x3f2aaada
	v_max_f32_e64 v22, |v1|, |v1|
	s_delay_alu instid0(VALU_DEP_2) | instskip(NEXT) | instid1(VALU_DEP_2)
	v_dual_sub_f32 v18, v18, v19 :: v_dual_mul_f32 v21, v24, v21
	v_max_f32_e32 v24, v22, v23
	s_delay_alu instid0(VALU_DEP_2) | instskip(NEXT) | instid1(VALU_DEP_3)
	v_ldexp_f32 v18, v18, 1
	v_add_f32_e32 v20, v25, v21
	s_delay_alu instid0(VALU_DEP_1) | instskip(NEXT) | instid1(VALU_DEP_1)
	v_sub_f32_e32 v19, v20, v25
	v_sub_f32_e32 v19, v21, v19
	s_delay_alu instid0(VALU_DEP_1) | instskip(SKIP_4) | instid1(VALU_DEP_4)
	v_add_f32_e32 v17, v18, v19
	v_min_f32_e32 v22, v22, v23
	v_frexp_mant_f32_e32 v23, v24
	v_add_f32_e32 v19, v26, v27
	v_frexp_exp_i32_f32_e32 v24, v24
	v_frexp_mant_f32_e32 v21, v22
	s_delay_alu instid0(VALU_DEP_4) | instskip(NEXT) | instid1(VALU_DEP_3)
	v_rcp_f32_e32 v23, v23
	v_sub_f32_e32 v26, v19, v26
	s_delay_alu instid0(VALU_DEP_1) | instskip(SKIP_2) | instid1(VALU_DEP_1)
	v_sub_f32_e32 v26, v27, v26
	s_waitcnt_depctr 0xfff
	v_dual_mul_f32 v18, v21, v23 :: v_dual_add_f32 v21, v20, v17
	v_sub_f32_e32 v20, v21, v20
	s_delay_alu instid0(VALU_DEP_1) | instskip(SKIP_1) | instid1(VALU_DEP_1)
	v_sub_f32_e32 v17, v17, v20
	v_frexp_exp_i32_f32_e32 v25, v22
	v_sub_nc_u32_e32 v22, v25, v24
	s_delay_alu instid0(VALU_DEP_1) | instskip(NEXT) | instid1(VALU_DEP_1)
	v_ldexp_f32 v18, v18, v22
	v_dual_add_f32 v22, v19, v21 :: v_dual_mul_f32 v23, v18, v18
	s_delay_alu instid0(VALU_DEP_1) | instskip(NEXT) | instid1(VALU_DEP_1)
	v_sub_f32_e32 v24, v22, v19
	v_dual_fmaak_f32 v25, s16, v23, 0xbc7a590c :: v_dual_sub_f32 v28, v22, v24
	v_sub_f32_e32 v20, v21, v24
	v_add_f32_e32 v24, v26, v17
	s_delay_alu instid0(VALU_DEP_3) | instskip(NEXT) | instid1(VALU_DEP_4)
	v_fmaak_f32 v25, v23, v25, 0x3d29fb3f
	v_sub_f32_e32 v19, v19, v28
	s_delay_alu instid0(VALU_DEP_2) | instskip(NEXT) | instid1(VALU_DEP_1)
	v_fmaak_f32 v21, v23, v25, 0xbd97d4d7
	v_dual_add_f32 v19, v20, v19 :: v_dual_fmaak_f32 v20, v23, v21, 0x3dd931b2
	v_sub_f32_e32 v21, v24, v26
	s_delay_alu instid0(VALU_DEP_2) | instskip(NEXT) | instid1(VALU_DEP_1)
	v_add_f32_e32 v19, v24, v19
	v_dual_sub_f32 v24, v24, v21 :: v_dual_add_f32 v25, v22, v19
	v_sub_f32_e32 v17, v17, v21
	s_delay_alu instid0(VALU_DEP_2) | instskip(NEXT) | instid1(VALU_DEP_1)
	v_dual_sub_f32 v21, v26, v24 :: v_dual_sub_f32 v22, v25, v22
	v_add_f32_e32 v17, v17, v21
	s_delay_alu instid0(VALU_DEP_2) | instskip(NEXT) | instid1(VALU_DEP_1)
	v_sub_f32_e32 v19, v19, v22
	v_dual_add_f32 v17, v17, v19 :: v_dual_fmaak_f32 v20, v23, v20, 0xbe1160e6
	s_delay_alu instid0(VALU_DEP_1) | instskip(NEXT) | instid1(VALU_DEP_1)
	v_dual_add_f32 v17, v25, v17 :: v_dual_fmaak_f32 v20, v23, v20, 0x3e4cb8bf
	v_dual_cndmask_b32 v17, v17, v7 :: v_dual_fmaak_f32 v20, v23, v20, 0xbeaaaa62
	v_cmp_gt_i32_e32 vcc_lo, 0, v1
	s_delay_alu instid0(VALU_DEP_2) | instskip(NEXT) | instid1(VALU_DEP_1)
	v_mul_f32_e32 v20, v23, v20
	v_fmac_f32_e32 v18, v18, v20
	s_delay_alu instid0(VALU_DEP_1) | instskip(NEXT) | instid1(VALU_DEP_1)
	v_sub_f32_e32 v19, 0x3fc90fdb, v18
	v_cndmask_b32_e64 v18, v18, v19, s2
	v_cndmask_b32_e64 v19, 0, 0x40490fdb, vcc_lo
	v_cmp_ngt_f32_e32 vcc_lo, -1.0, v7
	s_delay_alu instid0(VALU_DEP_3) | instskip(SKIP_2) | instid1(VALU_DEP_2)
	v_sub_f32_e32 v20, 0x40490fdb, v18
	v_cndmask_b32_e32 v17, 0x7fc00000, v17, vcc_lo
	v_cmp_gt_f32_e32 vcc_lo, 0, v1
	v_cndmask_b32_e64 v17, 0xff800000, v17, s3
	s_delay_alu instid0(VALU_DEP_4)
	v_cndmask_b32_e32 v18, v18, v20, vcc_lo
	v_cndmask_b32_e32 v20, 0x3f490fdb, v13, vcc_lo
	v_cmp_gt_f32_e64 vcc_lo, 0x33800000, |v7|
	v_cmp_class_f32_e64 s3, v2, 0x204
	v_cndmask_b32_e32 v7, v17, v7, vcc_lo
	v_cmp_eq_f32_e32 vcc_lo, 0, v2
	s_delay_alu instid0(VALU_DEP_2) | instskip(SKIP_2) | instid1(VALU_DEP_1)
	v_mul_f32_e32 v7, 0.5, v7
	v_cndmask_b32_e32 v17, v18, v19, vcc_lo
	s_and_b32 vcc_lo, s5, s3
                                        ; implicit-def: $vgpr18
                                        ; implicit-def: $vgpr19
	v_cndmask_b32_e32 v17, v17, v20, vcc_lo
.LBB181_79:                             ;   in Loop: Header=BB181_5 Depth=1
	s_and_not1_saveexec_b32 s24, s4
	s_cbranch_execz .LBB181_87
; %bb.80:                               ;   in Loop: Header=BB181_5 Depth=1
	v_mul_f32_e32 v20, v18, v18
                                        ; implicit-def: $vgpr7
                                        ; implicit-def: $vgpr17
	s_mov_b32 s3, exec_lo
	s_delay_alu instid0(VALU_DEP_1) | instskip(NEXT) | instid1(VALU_DEP_1)
	v_fmac_f32_e32 v20, v19, v19
	v_cmpx_ge_f32_e32 0x3f333333, v20
	s_xor_b32 s4, exec_lo, s3
	s_cbranch_execz .LBB181_82
; %bb.81:                               ;   in Loop: Header=BB181_5 Depth=1
	v_max_f32_e64 v7, |v2|, |v2|
	v_max_f32_e64 v17, |v1|, |v1|
	v_cmp_gt_f32_e32 vcc_lo, 0x800000, v20
	v_cmp_gt_i32_e64 s3, 0, v1
	v_cmp_class_f32_e64 s5, v1, 0x204
	v_cmp_class_f32_e64 s6, v2, 0x204
	v_max_f32_e32 v18, v17, v7
	v_min_f32_e32 v7, v17, v7
	v_cndmask_b32_e64 v21, 0, 0x41b17218, vcc_lo
	s_delay_alu instid0(VALU_DEP_3) | instskip(NEXT) | instid1(VALU_DEP_1)
	v_frexp_mant_f32_e32 v19, v18
	v_rcp_f32_e32 v17, v19
	s_delay_alu instid0(VALU_DEP_3) | instskip(SKIP_4) | instid1(VALU_DEP_1)
	v_frexp_exp_i32_f32_e32 v19, v7
	v_frexp_mant_f32_e32 v7, v7
	s_waitcnt_depctr 0xfff
	v_mul_f32_e32 v7, v7, v17
	v_frexp_exp_i32_f32_e32 v18, v18
	v_sub_nc_u32_e32 v18, v19, v18
	v_cndmask_b32_e64 v19, 1.0, 0x4f800000, vcc_lo
	s_delay_alu instid0(VALU_DEP_2) | instskip(NEXT) | instid1(VALU_DEP_2)
	v_ldexp_f32 v7, v7, v18
	v_mul_f32_e32 v19, v20, v19
	s_delay_alu instid0(VALU_DEP_2) | instskip(NEXT) | instid1(VALU_DEP_2)
	v_mul_f32_e32 v17, v7, v7
	v_log_f32_e32 v19, v19
	s_delay_alu instid0(VALU_DEP_1) | instskip(NEXT) | instid1(VALU_DEP_1)
	v_fmaak_f32 v18, s16, v17, 0xbc7a590c
	v_fmaak_f32 v18, v17, v18, 0x3d29fb3f
	s_waitcnt_depctr 0xfff
	v_cmp_gt_f32_e64 vcc_lo, 0x7f800000, |v19|
	v_fmaak_f32 v18, v17, v18, 0xbd97d4d7
	s_delay_alu instid0(VALU_DEP_1) | instskip(NEXT) | instid1(VALU_DEP_1)
	v_fmaak_f32 v18, v17, v18, 0x3dd931b2
	v_fmaak_f32 v18, v17, v18, 0xbe1160e6
	s_delay_alu instid0(VALU_DEP_1) | instskip(NEXT) | instid1(VALU_DEP_1)
	v_fmaak_f32 v18, v17, v18, 0x3e4cb8bf
	v_fmaak_f32 v18, v17, v18, 0xbeaaaa62
	s_delay_alu instid0(VALU_DEP_1) | instskip(NEXT) | instid1(VALU_DEP_1)
	v_dual_mul_f32 v17, v17, v18 :: v_dual_mul_f32 v18, 0x3f317217, v19
	v_fmac_f32_e32 v7, v7, v17
	s_delay_alu instid0(VALU_DEP_2) | instskip(NEXT) | instid1(VALU_DEP_1)
	v_fma_f32 v17, 0x3f317217, v19, -v18
	v_fmac_f32_e32 v17, 0x3377d1cf, v19
	s_delay_alu instid0(VALU_DEP_1) | instskip(NEXT) | instid1(VALU_DEP_1)
	v_dual_sub_f32 v20, 0x3fc90fdb, v7 :: v_dual_add_f32 v17, v18, v17
	v_cndmask_b32_e64 v7, v7, v20, s2
	v_cndmask_b32_e64 v18, 0, 0x40490fdb, s3
	v_cmp_eq_f32_e64 s3, 0, v2
	s_delay_alu instid0(VALU_DEP_3) | instskip(SKIP_1) | instid1(VALU_DEP_2)
	v_dual_cndmask_b32 v17, v19, v17 :: v_dual_sub_f32 v20, 0x40490fdb, v7
	v_cmp_gt_f32_e32 vcc_lo, 0, v1
	v_sub_f32_e32 v17, v17, v21
	s_delay_alu instid0(VALU_DEP_3) | instskip(SKIP_2) | instid1(VALU_DEP_2)
	v_cndmask_b32_e32 v7, v7, v20, vcc_lo
	v_cndmask_b32_e32 v19, 0x3f490fdb, v13, vcc_lo
	s_and_b32 vcc_lo, s5, s6
	v_cndmask_b32_e64 v18, v7, v18, s3
	v_mul_f32_e32 v7, 0.5, v17
	s_delay_alu instid0(VALU_DEP_2)
	v_cndmask_b32_e32 v17, v18, v19, vcc_lo
                                        ; implicit-def: $vgpr19
                                        ; implicit-def: $vgpr18
.LBB181_82:                             ;   in Loop: Header=BB181_5 Depth=1
	s_and_not1_saveexec_b32 s25, s4
	s_cbranch_execz .LBB181_86
; %bb.83:                               ;   in Loop: Header=BB181_5 Depth=1
	v_and_b32_e32 v20, 0x7fff0000, v18
	v_and_b32_e32 v17, 0x7fff0000, v19
	s_mov_b32 s26, 0
	s_delay_alu instid0(VALU_DEP_2) | instskip(NEXT) | instid1(VALU_DEP_2)
	v_sub_f32_e32 v21, v18, v20
	v_dual_mul_f32 v18, v20, v20 :: v_dual_sub_f32 v19, v19, v17
	v_dual_add_f32 v24, v17, v17 :: v_dual_add_f32 v27, v20, v20
	s_delay_alu instid0(VALU_DEP_2) | instskip(NEXT) | instid1(VALU_DEP_4)
	v_and_b32_e32 v22, 0xffff0000, v19
	v_and_b32_e32 v23, 0xffff0000, v21
	s_delay_alu instid0(VALU_DEP_2) | instskip(NEXT) | instid1(VALU_DEP_4)
	v_dual_mul_f32 v7, v17, v17 :: v_dual_sub_f32 v20, v19, v22
	v_mul_f32_e32 v26, v24, v22
	s_delay_alu instid0(VALU_DEP_3)
	v_dual_sub_f32 v28, v21, v23 :: v_dual_mul_f32 v19, v22, v22
	v_add_f32_e32 v21, v22, v22
	v_add_f32_e32 v29, v23, v23
	v_dual_mul_f32 v17, v27, v23 :: v_dual_mul_f32 v22, v24, v20
	v_mul_f32_e32 v25, v23, v23
	v_mul_f32_e32 v24, v27, v28
	;; [unrolled: 1-line block ×6, first 2 shown]
.LBB181_84:                             ;   Parent Loop BB181_5 Depth=1
                                        ; =>  This Inner Loop Header: Depth=2
	v_cmp_nlt_f32_e32 vcc_lo, v7, v18
	s_delay_alu instid0(VALU_DEP_2) | instskip(SKIP_1) | instid1(VALU_DEP_1)
	v_mov_b32_e32 v29, v27
	v_dual_cndmask_b32 v28, v7, v18 :: v_dual_cndmask_b32 v7, v18, v7
	v_cmp_nlt_f32_e64 s3, v28, v26
	s_delay_alu instid0(VALU_DEP_1) | instskip(SKIP_2) | instid1(VALU_DEP_2)
	v_cndmask_b32_e64 v27, v28, v26, s3
	v_cndmask_b32_e64 v18, v26, v28, s3
	s_and_b32 s27, vcc_lo, s3
	v_cmp_nlt_f32_e64 s4, v27, v17
	s_delay_alu instid0(VALU_DEP_1) | instskip(SKIP_1) | instid1(VALU_DEP_2)
	v_cndmask_b32_e64 v30, v27, v17, s4
	v_cndmask_b32_e64 v26, v17, v27, s4
	v_cmp_nlt_f32_e64 s5, v30, v19
	s_delay_alu instid0(VALU_DEP_1) | instskip(SKIP_2) | instid1(VALU_DEP_2)
	v_cndmask_b32_e64 v28, v30, v19, s5
	v_cndmask_b32_e64 v17, v19, v30, s5
	s_and_b32 s28, s4, s5
	v_cmp_nlt_f32_e64 s6, v28, v25
	s_delay_alu instid0(VALU_DEP_1) | instskip(SKIP_1) | instid1(VALU_DEP_2)
	v_cndmask_b32_e64 v31, v28, v25, s6
	v_cndmask_b32_e64 v19, v25, v28, s6
	v_cmp_nlt_f32_e64 s7, v31, v22
	s_delay_alu instid0(VALU_DEP_1) | instskip(SKIP_2) | instid1(VALU_DEP_2)
	v_cndmask_b32_e64 v32, v31, v22, s7
	s_and_b32 s5, s6, s7
	v_cndmask_b32_e64 v25, v22, v31, s7
	v_cmp_nlt_f32_e64 s8, v32, v24
	s_delay_alu instid0(VALU_DEP_1) | instskip(SKIP_2) | instid1(VALU_DEP_2)
	v_cndmask_b32_e64 v33, v32, v24, s8
	s_and_b32 s5, s5, s8
	v_cndmask_b32_e64 v22, v24, v32, s8
	v_cmp_nlt_f32_e32 vcc_lo, v33, v23
	v_cndmask_b32_e32 v34, v33, v23, vcc_lo
	s_and_b32 s6, s5, vcc_lo
	v_cndmask_b32_e32 v24, v23, v33, vcc_lo
	s_delay_alu instid0(VALU_DEP_2) | instskip(NEXT) | instid1(VALU_DEP_1)
	v_cmp_nlt_f32_e64 s3, v34, v21
	v_cndmask_b32_e64 v30, v34, v21, s3
	s_and_b32 s6, s6, s3
	v_cndmask_b32_e64 v23, v21, v34, s3
	s_delay_alu instid0(VALU_DEP_2) | instskip(NEXT) | instid1(VALU_DEP_1)
	v_cmp_nlt_f32_e64 s4, v30, v20
	v_cndmask_b32_e64 v28, v30, v20, s4
	s_and_b32 s6, s6, s4
	v_cndmask_b32_e64 v21, v20, v30, s4
	s_delay_alu instid0(VALU_DEP_2) | instskip(NEXT) | instid1(VALU_DEP_1)
	v_cmp_nlt_f32_e64 s5, v28, v29
	s_and_b32 s6, s6, s5
	v_cndmask_b32_e64 v27, v28, v29, s5
	s_and_b32 s3, s6, s28
	v_cndmask_b32_e64 v20, v29, v28, s5
	s_and_b32 s3, s3, s27
	s_delay_alu instid0(SALU_CYCLE_1) | instskip(NEXT) | instid1(SALU_CYCLE_1)
	s_and_b32 s3, exec_lo, s3
	s_or_b32 s26, s3, s26
	s_delay_alu instid0(SALU_CYCLE_1)
	s_and_not1_b32 exec_lo, exec_lo, s26
	s_cbranch_execnz .LBB181_84
; %bb.85:                               ;   in Loop: Header=BB181_5 Depth=1
	s_or_b32 exec_lo, exec_lo, s26
	v_add_f32_e32 v7, -1.0, v7
	v_cmp_class_f32_e64 s4, v1, 0x204
	s_delay_alu instid0(VALU_DEP_2) | instskip(NEXT) | instid1(VALU_DEP_1)
	v_add_f32_e32 v7, v7, v18
	v_add_f32_e32 v7, v7, v26
	s_delay_alu instid0(VALU_DEP_1) | instskip(NEXT) | instid1(VALU_DEP_1)
	v_add_f32_e32 v7, v7, v17
	v_add_f32_e32 v7, v7, v19
	s_delay_alu instid0(VALU_DEP_1) | instskip(NEXT) | instid1(VALU_DEP_1)
	v_add_f32_e32 v7, v7, v25
	v_add_f32_e32 v7, v7, v22
	s_delay_alu instid0(VALU_DEP_1) | instskip(NEXT) | instid1(VALU_DEP_1)
	v_add_f32_e32 v7, v7, v24
	v_add_f32_e32 v7, v7, v23
	s_delay_alu instid0(VALU_DEP_1) | instskip(NEXT) | instid1(VALU_DEP_1)
	v_add_f32_e32 v7, v7, v21
	v_add_f32_e32 v7, v7, v20
	s_delay_alu instid0(VALU_DEP_1) | instskip(NEXT) | instid1(VALU_DEP_1)
	v_add_f32_e32 v7, v27, v7
	v_add_f32_e32 v19, 1.0, v7
	s_delay_alu instid0(VALU_DEP_1) | instskip(NEXT) | instid1(VALU_DEP_1)
	v_cvt_f64_f32_e32 v[17:18], v19
	v_frexp_exp_i32_f64_e32 v17, v[17:18]
	v_frexp_mant_f32_e32 v18, v19
	s_delay_alu instid0(VALU_DEP_1) | instskip(SKIP_1) | instid1(VALU_DEP_1)
	v_cmp_gt_f32_e32 vcc_lo, 0x3f2aaaab, v18
	v_add_f32_e32 v18, -1.0, v19
	v_dual_sub_f32 v21, v18, v19 :: v_dual_sub_f32 v18, v7, v18
	s_delay_alu instid0(VALU_DEP_1) | instskip(NEXT) | instid1(VALU_DEP_1)
	v_add_f32_e32 v21, 1.0, v21
	v_add_f32_e32 v18, v18, v21
	v_subrev_co_ci_u32_e32 v17, vcc_lo, 0, v17, vcc_lo
	s_delay_alu instid0(VALU_DEP_1) | instskip(SKIP_1) | instid1(VALU_DEP_2)
	v_sub_nc_u32_e32 v20, 0, v17
	v_cvt_f32_i32_e32 v17, v17
	v_ldexp_f32 v19, v19, v20
	v_ldexp_f32 v18, v18, v20
	s_delay_alu instid0(VALU_DEP_2) | instskip(NEXT) | instid1(VALU_DEP_1)
	v_add_f32_e32 v22, 1.0, v19
	v_dual_add_f32 v20, -1.0, v19 :: v_dual_add_f32 v21, -1.0, v22
	s_delay_alu instid0(VALU_DEP_1) | instskip(NEXT) | instid1(VALU_DEP_2)
	v_add_f32_e32 v23, 1.0, v20
	v_sub_f32_e32 v21, v19, v21
	s_delay_alu instid0(VALU_DEP_2) | instskip(NEXT) | instid1(VALU_DEP_2)
	v_sub_f32_e32 v19, v19, v23
	v_add_f32_e32 v21, v18, v21
	s_delay_alu instid0(VALU_DEP_2) | instskip(NEXT) | instid1(VALU_DEP_1)
	v_add_f32_e32 v18, v18, v19
	v_dual_add_f32 v23, v22, v21 :: v_dual_add_f32 v24, v20, v18
	s_delay_alu instid0(VALU_DEP_1) | instskip(SKIP_1) | instid1(VALU_DEP_1)
	v_rcp_f32_e32 v19, v23
	v_sub_f32_e32 v22, v23, v22
	v_dual_sub_f32 v20, v24, v20 :: v_dual_sub_f32 v21, v21, v22
	s_delay_alu instid0(VALU_DEP_1) | instskip(SKIP_4) | instid1(VALU_DEP_1)
	v_sub_f32_e32 v18, v18, v20
	v_cmp_eq_f32_e32 vcc_lo, 0x7f800000, v7
	v_cmp_neq_f32_e64 s3, -1.0, v7
	s_waitcnt_depctr 0xfff
	v_mul_f32_e32 v25, v24, v19
	v_mul_f32_e32 v26, v23, v25
	s_delay_alu instid0(VALU_DEP_1) | instskip(NEXT) | instid1(VALU_DEP_1)
	v_fma_f32 v22, v25, v23, -v26
	v_fmac_f32_e32 v22, v25, v21
	s_delay_alu instid0(VALU_DEP_1) | instskip(NEXT) | instid1(VALU_DEP_1)
	v_add_f32_e32 v27, v26, v22
	v_sub_f32_e32 v28, v24, v27
	v_sub_f32_e32 v20, v27, v26
	s_delay_alu instid0(VALU_DEP_2) | instskip(NEXT) | instid1(VALU_DEP_2)
	v_sub_f32_e32 v24, v24, v28
	v_sub_f32_e32 v20, v20, v22
	s_delay_alu instid0(VALU_DEP_2) | instskip(NEXT) | instid1(VALU_DEP_1)
	v_sub_f32_e32 v24, v24, v27
	v_add_f32_e32 v18, v18, v24
	s_delay_alu instid0(VALU_DEP_1) | instskip(NEXT) | instid1(VALU_DEP_1)
	v_add_f32_e32 v18, v20, v18
	v_add_f32_e32 v20, v28, v18
	s_delay_alu instid0(VALU_DEP_1) | instskip(NEXT) | instid1(VALU_DEP_1)
	v_mul_f32_e32 v22, v19, v20
	v_dual_mul_f32 v24, v23, v22 :: v_dual_sub_f32 v27, v28, v20
	s_delay_alu instid0(VALU_DEP_1) | instskip(NEXT) | instid1(VALU_DEP_2)
	v_fma_f32 v23, v22, v23, -v24
	v_add_f32_e32 v18, v18, v27
	s_delay_alu instid0(VALU_DEP_2) | instskip(NEXT) | instid1(VALU_DEP_1)
	v_fmac_f32_e32 v23, v22, v21
	v_add_f32_e32 v21, v24, v23
	s_delay_alu instid0(VALU_DEP_1) | instskip(NEXT) | instid1(VALU_DEP_1)
	v_sub_f32_e32 v26, v20, v21
	v_sub_f32_e32 v20, v20, v26
	s_delay_alu instid0(VALU_DEP_1) | instskip(NEXT) | instid1(VALU_DEP_1)
	v_sub_f32_e32 v20, v20, v21
	v_add_f32_e32 v18, v18, v20
	v_add_f32_e32 v20, v25, v22
	v_sub_f32_e32 v24, v21, v24
	s_delay_alu instid0(VALU_DEP_1) | instskip(SKIP_1) | instid1(VALU_DEP_2)
	v_sub_f32_e32 v21, v24, v23
	v_max_f32_e64 v23, |v2|, |v2|
	v_dual_add_f32 v18, v21, v18 :: v_dual_sub_f32 v21, v20, v25
	s_delay_alu instid0(VALU_DEP_1) | instskip(NEXT) | instid1(VALU_DEP_2)
	v_sub_f32_e32 v21, v22, v21
	v_add_f32_e32 v18, v26, v18
	s_delay_alu instid0(VALU_DEP_1) | instskip(NEXT) | instid1(VALU_DEP_1)
	v_mul_f32_e32 v18, v19, v18
	v_add_f32_e32 v18, v21, v18
	s_delay_alu instid0(VALU_DEP_1) | instskip(NEXT) | instid1(VALU_DEP_1)
	v_add_f32_e32 v19, v20, v18
	v_mul_f32_e32 v21, v19, v19
	s_delay_alu instid0(VALU_DEP_1) | instskip(SKIP_3) | instid1(VALU_DEP_4)
	v_fmaak_f32 v22, s14, v21, 0x3ecc95a3
	v_mul_f32_e32 v24, v19, v21
	v_ldexp_f32 v25, v19, 1
	v_sub_f32_e32 v19, v19, v20
	v_fmaak_f32 v21, v21, v22, 0x3f2aaada
	v_max_f32_e64 v22, |v1|, |v1|
	s_delay_alu instid0(VALU_DEP_2) | instskip(NEXT) | instid1(VALU_DEP_1)
	v_dual_sub_f32 v18, v18, v19 :: v_dual_mul_f32 v21, v24, v21
	v_ldexp_f32 v18, v18, 1
	s_delay_alu instid0(VALU_DEP_2) | instskip(NEXT) | instid1(VALU_DEP_1)
	v_add_f32_e32 v20, v25, v21
	v_dual_max_f32 v24, v22, v23 :: v_dual_sub_f32 v19, v20, v25
	s_delay_alu instid0(VALU_DEP_1) | instskip(NEXT) | instid1(VALU_DEP_1)
	v_dual_mul_f32 v26, 0x3f317218, v17 :: v_dual_sub_f32 v19, v21, v19
	v_fma_f32 v27, 0x3f317218, v17, -v26
	v_min_f32_e32 v22, v22, v23
	s_delay_alu instid0(VALU_DEP_4) | instskip(SKIP_1) | instid1(VALU_DEP_4)
	v_frexp_mant_f32_e32 v23, v24
	v_frexp_exp_i32_f32_e32 v24, v24
	v_fmac_f32_e32 v27, 0xb102e308, v17
	s_delay_alu instid0(VALU_DEP_4) | instskip(NEXT) | instid1(VALU_DEP_4)
	v_frexp_exp_i32_f32_e32 v25, v22
	v_rcp_f32_e32 v23, v23
	v_frexp_mant_f32_e32 v21, v22
	v_add_f32_e32 v17, v18, v19
	s_delay_alu instid0(VALU_DEP_3) | instskip(SKIP_3) | instid1(VALU_DEP_2)
	v_sub_nc_u32_e32 v22, v25, v24
	s_waitcnt_depctr 0xfff
	v_dual_mul_f32 v18, v21, v23 :: v_dual_add_f32 v21, v20, v17
	v_add_f32_e32 v19, v26, v27
	v_ldexp_f32 v18, v18, v22
	s_delay_alu instid0(VALU_DEP_3) | instskip(NEXT) | instid1(VALU_DEP_3)
	v_sub_f32_e32 v20, v21, v20
	v_add_f32_e32 v22, v19, v21
	v_sub_f32_e32 v26, v19, v26
	s_delay_alu instid0(VALU_DEP_4) | instskip(NEXT) | instid1(VALU_DEP_3)
	v_mul_f32_e32 v23, v18, v18
	v_dual_sub_f32 v17, v17, v20 :: v_dual_sub_f32 v24, v22, v19
	s_delay_alu instid0(VALU_DEP_1) | instskip(NEXT) | instid1(VALU_DEP_1)
	v_dual_fmaak_f32 v25, s16, v23, 0xbc7a590c :: v_dual_sub_f32 v20, v21, v24
	v_dual_fmaak_f32 v25, v23, v25, 0x3d29fb3f :: v_dual_sub_f32 v28, v22, v24
	s_delay_alu instid0(VALU_DEP_1) | instskip(NEXT) | instid1(VALU_DEP_2)
	v_fmaak_f32 v21, v23, v25, 0xbd97d4d7
	v_sub_f32_e32 v19, v19, v28
	s_delay_alu instid0(VALU_DEP_1) | instskip(NEXT) | instid1(VALU_DEP_1)
	v_dual_sub_f32 v26, v27, v26 :: v_dual_add_f32 v19, v20, v19
	v_add_f32_e32 v24, v26, v17
	s_delay_alu instid0(VALU_DEP_1) | instskip(NEXT) | instid1(VALU_DEP_1)
	v_dual_fmaak_f32 v20, v23, v21, 0x3dd931b2 :: v_dual_add_f32 v19, v24, v19
	v_dual_sub_f32 v21, v24, v26 :: v_dual_fmaak_f32 v20, v23, v20, 0xbe1160e6
	s_delay_alu instid0(VALU_DEP_2) | instskip(NEXT) | instid1(VALU_DEP_2)
	v_add_f32_e32 v25, v22, v19
	v_dual_sub_f32 v17, v17, v21 :: v_dual_fmaak_f32 v20, v23, v20, 0x3e4cb8bf
	s_delay_alu instid0(VALU_DEP_2) | instskip(NEXT) | instid1(VALU_DEP_1)
	v_sub_f32_e32 v22, v25, v22
	v_dual_sub_f32 v24, v24, v21 :: v_dual_sub_f32 v19, v19, v22
	s_delay_alu instid0(VALU_DEP_1) | instskip(NEXT) | instid1(VALU_DEP_1)
	v_sub_f32_e32 v21, v26, v24
	v_dual_fmaak_f32 v20, v23, v20, 0xbeaaaa62 :: v_dual_add_f32 v17, v17, v21
	s_delay_alu instid0(VALU_DEP_1) | instskip(NEXT) | instid1(VALU_DEP_1)
	v_dual_mul_f32 v20, v23, v20 :: v_dual_add_f32 v17, v17, v19
	v_dual_fmac_f32 v18, v18, v20 :: v_dual_add_f32 v17, v25, v17
	s_delay_alu instid0(VALU_DEP_1) | instskip(NEXT) | instid1(VALU_DEP_2)
	v_sub_f32_e32 v19, 0x3fc90fdb, v18
	v_cndmask_b32_e32 v17, v17, v7, vcc_lo
	v_cmp_gt_i32_e32 vcc_lo, 0, v1
	s_delay_alu instid0(VALU_DEP_3) | instskip(SKIP_2) | instid1(VALU_DEP_3)
	v_cndmask_b32_e64 v18, v18, v19, s2
	v_cndmask_b32_e64 v19, 0, 0x40490fdb, vcc_lo
	v_cmp_ngt_f32_e32 vcc_lo, -1.0, v7
	v_sub_f32_e32 v20, 0x40490fdb, v18
	v_cndmask_b32_e32 v17, 0x7fc00000, v17, vcc_lo
	v_cmp_gt_f32_e32 vcc_lo, 0, v1
	s_delay_alu instid0(VALU_DEP_2) | instskip(NEXT) | instid1(VALU_DEP_4)
	v_cndmask_b32_e64 v17, 0xff800000, v17, s3
	v_cndmask_b32_e32 v18, v18, v20, vcc_lo
	v_cndmask_b32_e32 v20, 0x3f490fdb, v13, vcc_lo
	v_cmp_gt_f32_e64 vcc_lo, 0x33800000, |v7|
	v_cmp_class_f32_e64 s3, v2, 0x204
	v_cndmask_b32_e32 v7, v17, v7, vcc_lo
	v_cmp_eq_f32_e32 vcc_lo, 0, v2
	s_delay_alu instid0(VALU_DEP_2) | instskip(SKIP_2) | instid1(VALU_DEP_1)
	v_mul_f32_e32 v7, 0.5, v7
	v_cndmask_b32_e32 v17, v18, v19, vcc_lo
	s_and_b32 vcc_lo, s4, s3
	v_cndmask_b32_e32 v17, v17, v20, vcc_lo
.LBB181_86:                             ;   in Loop: Header=BB181_5 Depth=1
	s_or_b32 exec_lo, exec_lo, s25
.LBB181_87:                             ;   in Loop: Header=BB181_5 Depth=1
	s_delay_alu instid0(SALU_CYCLE_1)
	s_or_b32 exec_lo, exec_lo, s24
.LBB181_88:                             ;   in Loop: Header=BB181_5 Depth=1
	s_and_not1_saveexec_b32 s4, s23
	s_cbranch_execz .LBB181_90
; %bb.89:                               ;   in Loop: Header=BB181_5 Depth=1
	v_max_f32_e64 v7, |v2|, |v2|
	v_max_f32_e64 v19, |v1|, |v1|
	v_cmp_gt_i32_e64 s3, 0, v1
	v_cmp_class_f32_e64 s5, v1, 0x204
	v_cmp_class_f32_e64 s6, v2, 0x204
	s_delay_alu instid0(VALU_DEP_4) | instskip(SKIP_1) | instid1(VALU_DEP_2)
	v_max_f32_e32 v20, v19, v7
	v_min_f32_e32 v7, v19, v7
	v_cvt_f64_f32_e32 v[17:18], v20
	v_frexp_exp_i32_f32_e32 v19, v20
	s_delay_alu instid0(VALU_DEP_3) | instskip(SKIP_1) | instid1(VALU_DEP_2)
	v_frexp_exp_i32_f32_e32 v21, v7
	v_frexp_mant_f32_e32 v7, v7
	v_sub_nc_u32_e32 v19, v21, v19
	v_frexp_exp_i32_f64_e32 v17, v[17:18]
	v_frexp_mant_f32_e32 v18, v20
	s_delay_alu instid0(VALU_DEP_1) | instskip(SKIP_2) | instid1(VALU_DEP_1)
	v_rcp_f32_e32 v18, v18
	s_waitcnt_depctr 0xfff
	v_mul_f32_e32 v7, v7, v18
	v_ldexp_f32 v7, v7, v19
	s_delay_alu instid0(VALU_DEP_1) | instskip(SKIP_1) | instid1(VALU_DEP_1)
	v_mul_f32_e32 v21, v7, v7
	v_sub_nc_u32_e32 v22, 0, v17
	v_ldexp_f32 v18, |v2|, v22
	v_ldexp_f32 v19, |v1|, v22
	s_delay_alu instid0(VALU_DEP_2) | instskip(NEXT) | instid1(VALU_DEP_1)
	v_mul_f32_e32 v18, v18, v18
	v_dual_fmac_f32 v18, v19, v19 :: v_dual_fmaak_f32 v19, s16, v21, 0xbc7a590c
	v_cmp_neq_f32_e32 vcc_lo, 0x7f800000, v20
	s_delay_alu instid0(VALU_DEP_2) | instskip(NEXT) | instid1(VALU_DEP_2)
	v_sqrt_f32_e32 v18, v18
	v_fmaak_f32 v19, v21, v19, 0x3d29fb3f
	s_delay_alu instid0(VALU_DEP_1) | instskip(SKIP_3) | instid1(VALU_DEP_2)
	v_fmaak_f32 v19, v21, v19, 0xbd97d4d7
	s_waitcnt_depctr 0xfff
	v_ldexp_f32 v17, v18, v17
	v_fmaak_f32 v18, v21, v19, 0x3dd931b2
	v_cndmask_b32_e32 v17, 0x7f800000, v17, vcc_lo
	s_delay_alu instid0(VALU_DEP_2) | instskip(NEXT) | instid1(VALU_DEP_2)
	v_fmaak_f32 v18, v21, v18, 0xbe1160e6
	v_cmp_gt_f32_e32 vcc_lo, 0x800000, v17
	s_delay_alu instid0(VALU_DEP_2) | instskip(SKIP_1) | instid1(VALU_DEP_2)
	v_fmaak_f32 v18, v21, v18, 0x3e4cb8bf
	v_cndmask_b32_e64 v19, 1.0, 0x4f800000, vcc_lo
	v_fmaak_f32 v18, v21, v18, 0xbeaaaa62
	s_delay_alu instid0(VALU_DEP_2) | instskip(NEXT) | instid1(VALU_DEP_2)
	v_mul_f32_e32 v17, v17, v19
	v_mul_f32_e32 v18, v21, v18
	s_delay_alu instid0(VALU_DEP_2) | instskip(SKIP_2) | instid1(VALU_DEP_1)
	v_log_f32_e32 v17, v17
	s_waitcnt_depctr 0xfff
	v_dual_fmac_f32 v7, v7, v18 :: v_dual_mul_f32 v18, 0x3f317217, v17
	v_fma_f32 v20, 0x3f317217, v17, -v18
	s_delay_alu instid0(VALU_DEP_1) | instskip(NEXT) | instid1(VALU_DEP_1)
	v_fmac_f32_e32 v20, 0x3377d1cf, v17
	v_dual_sub_f32 v19, 0x3fc90fdb, v7 :: v_dual_add_f32 v18, v18, v20
	s_delay_alu instid0(VALU_DEP_1) | instskip(SKIP_2) | instid1(VALU_DEP_3)
	v_cndmask_b32_e64 v7, v7, v19, s2
	v_cndmask_b32_e64 v19, 0, 0x40490fdb, s3
	v_cmp_gt_f32_e64 s3, 0, v1
	v_sub_f32_e32 v21, 0x40490fdb, v7
	s_delay_alu instid0(VALU_DEP_2) | instskip(NEXT) | instid1(VALU_DEP_2)
	v_cndmask_b32_e64 v20, 0x3f490fdb, v13, s3
	v_cndmask_b32_e64 v7, v7, v21, s3
	v_cndmask_b32_e64 v21, 0, 0x41b17218, vcc_lo
	v_cmp_gt_f32_e64 vcc_lo, 0x7f800000, |v17|
	v_cndmask_b32_e32 v17, v17, v18, vcc_lo
	v_cmp_eq_f32_e32 vcc_lo, 0, v2
	v_cndmask_b32_e32 v18, v7, v19, vcc_lo
	s_and_b32 vcc_lo, s5, s6
	s_delay_alu instid0(VALU_DEP_3) | instskip(NEXT) | instid1(VALU_DEP_2)
	v_sub_f32_e32 v7, v17, v21
	v_cndmask_b32_e32 v17, v18, v20, vcc_lo
.LBB181_90:                             ;   in Loop: Header=BB181_5 Depth=1
	s_or_b32 exec_lo, exec_lo, s4
                                        ; implicit-def: $vgpr18
.LBB181_91:                             ;   in Loop: Header=BB181_5 Depth=1
	s_and_not1_saveexec_b32 s4, s22
	s_cbranch_execz .LBB181_97
; %bb.92:                               ;   in Loop: Header=BB181_5 Depth=1
                                        ; implicit-def: $vgpr7
                                        ; implicit-def: $vgpr17
	s_mov_b32 s3, exec_lo
	v_cmpx_ngt_f32_e32 0x1fec1e4a, v18
	s_xor_b32 s5, exec_lo, s3
	s_cbranch_execz .LBB181_94
; %bb.93:                               ;   in Loop: Header=BB181_5 Depth=1
	v_mul_f32_e32 v7, v18, v18
	v_cmp_gt_f32_e64 s3, 0, v1
	v_cmp_class_f32_e64 s6, v1, 0x204
	v_cmp_class_f32_e64 s8, v2, 0x204
	s_delay_alu instid0(VALU_DEP_4) | instskip(NEXT) | instid1(VALU_DEP_1)
	v_add_f32_e32 v19, 1.0, v7
	v_cvt_f64_f32_e32 v[17:18], v19
	s_delay_alu instid0(VALU_DEP_1) | instskip(SKIP_1) | instid1(VALU_DEP_1)
	v_frexp_exp_i32_f64_e32 v17, v[17:18]
	v_frexp_mant_f32_e32 v18, v19
	v_cmp_gt_f32_e32 vcc_lo, 0x3f2aaaab, v18
	v_add_f32_e32 v18, -1.0, v19
	v_cmp_gt_f32_e64 s7, 0x33800000, |v7|
	s_delay_alu instid0(VALU_DEP_2) | instskip(SKIP_2) | instid1(VALU_DEP_2)
	v_dual_sub_f32 v21, v18, v19 :: v_dual_sub_f32 v18, v7, v18
	v_subrev_co_ci_u32_e32 v17, vcc_lo, 0, v17, vcc_lo
	v_cmp_gt_i32_e32 vcc_lo, 0, v1
	v_sub_nc_u32_e32 v20, 0, v17
	v_cvt_f32_i32_e32 v17, v17
	s_delay_alu instid0(VALU_DEP_2) | instskip(NEXT) | instid1(VALU_DEP_1)
	v_ldexp_f32 v19, v19, v20
	v_dual_add_f32 v21, 1.0, v21 :: v_dual_add_f32 v22, 1.0, v19
	s_delay_alu instid0(VALU_DEP_1) | instskip(NEXT) | instid1(VALU_DEP_1)
	v_dual_add_f32 v18, v18, v21 :: v_dual_add_f32 v21, -1.0, v22
	v_ldexp_f32 v18, v18, v20
	s_delay_alu instid0(VALU_DEP_2) | instskip(NEXT) | instid1(VALU_DEP_1)
	v_dual_add_f32 v20, -1.0, v19 :: v_dual_sub_f32 v21, v19, v21
	v_add_f32_e32 v23, 1.0, v20
	s_delay_alu instid0(VALU_DEP_2) | instskip(NEXT) | instid1(VALU_DEP_2)
	v_add_f32_e32 v21, v18, v21
	v_sub_f32_e32 v19, v19, v23
	s_delay_alu instid0(VALU_DEP_1) | instskip(NEXT) | instid1(VALU_DEP_1)
	v_add_f32_e32 v18, v18, v19
	v_dual_add_f32 v24, v20, v18 :: v_dual_add_f32 v23, v22, v21
	s_delay_alu instid0(VALU_DEP_1) | instskip(NEXT) | instid1(VALU_DEP_2)
	v_sub_f32_e32 v20, v20, v24
	v_rcp_f32_e32 v19, v23
	v_sub_f32_e32 v22, v22, v23
	s_delay_alu instid0(VALU_DEP_1) | instskip(SKIP_2) | instid1(VALU_DEP_1)
	v_dual_add_f32 v18, v18, v20 :: v_dual_add_f32 v21, v21, v22
	s_waitcnt_depctr 0xfff
	v_mul_f32_e32 v25, v24, v19
	v_mul_f32_e32 v26, v23, v25
	s_delay_alu instid0(VALU_DEP_1) | instskip(NEXT) | instid1(VALU_DEP_1)
	v_fma_f32 v22, v25, v23, -v26
	v_fmac_f32_e32 v22, v25, v21
	s_delay_alu instid0(VALU_DEP_1) | instskip(NEXT) | instid1(VALU_DEP_1)
	v_add_f32_e32 v27, v26, v22
	v_sub_f32_e32 v28, v24, v27
	s_delay_alu instid0(VALU_DEP_1) | instskip(SKIP_1) | instid1(VALU_DEP_2)
	v_sub_f32_e32 v24, v24, v28
	v_sub_f32_e32 v20, v27, v26
	;; [unrolled: 1-line block ×3, first 2 shown]
	s_delay_alu instid0(VALU_DEP_2) | instskip(NEXT) | instid1(VALU_DEP_2)
	v_sub_f32_e32 v20, v20, v22
	v_add_f32_e32 v18, v18, v24
	s_delay_alu instid0(VALU_DEP_1) | instskip(NEXT) | instid1(VALU_DEP_1)
	v_add_f32_e32 v18, v20, v18
	v_add_f32_e32 v20, v28, v18
	s_delay_alu instid0(VALU_DEP_1) | instskip(NEXT) | instid1(VALU_DEP_1)
	v_mul_f32_e32 v22, v19, v20
	v_dual_sub_f32 v27, v28, v20 :: v_dual_mul_f32 v24, v23, v22
	s_delay_alu instid0(VALU_DEP_1) | instskip(NEXT) | instid1(VALU_DEP_2)
	v_add_f32_e32 v18, v18, v27
	v_fma_f32 v23, v22, v23, -v24
	s_delay_alu instid0(VALU_DEP_1) | instskip(NEXT) | instid1(VALU_DEP_1)
	v_fmac_f32_e32 v23, v22, v21
	v_add_f32_e32 v21, v24, v23
	s_delay_alu instid0(VALU_DEP_1) | instskip(SKIP_1) | instid1(VALU_DEP_2)
	v_sub_f32_e32 v26, v20, v21
	v_sub_f32_e32 v24, v21, v24
	;; [unrolled: 1-line block ×3, first 2 shown]
	s_delay_alu instid0(VALU_DEP_1) | instskip(NEXT) | instid1(VALU_DEP_1)
	v_sub_f32_e32 v20, v20, v21
	v_dual_sub_f32 v21, v24, v23 :: v_dual_add_f32 v18, v18, v20
	v_add_f32_e32 v20, v25, v22
	s_delay_alu instid0(VALU_DEP_1) | instskip(NEXT) | instid1(VALU_DEP_1)
	v_dual_add_f32 v18, v21, v18 :: v_dual_sub_f32 v21, v20, v25
	v_add_f32_e32 v18, v26, v18
	s_delay_alu instid0(VALU_DEP_2) | instskip(SKIP_1) | instid1(VALU_DEP_3)
	v_sub_f32_e32 v21, v22, v21
	v_max_f32_e64 v22, |v1|, |v1|
	v_mul_f32_e32 v18, v19, v18
	v_max_f32_e64 v19, |v2|, |v2|
	s_delay_alu instid0(VALU_DEP_2) | instskip(NEXT) | instid1(VALU_DEP_2)
	v_add_f32_e32 v18, v21, v18
	v_max_f32_e32 v24, v22, v19
	v_min_f32_e32 v19, v22, v19
	s_delay_alu instid0(VALU_DEP_3) | instskip(NEXT) | instid1(VALU_DEP_3)
	v_add_f32_e32 v21, v20, v18
	v_frexp_mant_f32_e32 v26, v24
	v_frexp_exp_i32_f32_e32 v22, v24
	s_delay_alu instid0(VALU_DEP_3) | instskip(SKIP_2) | instid1(VALU_DEP_2)
	v_mul_f32_e32 v23, v21, v21
	v_sub_f32_e32 v20, v21, v20
	v_ldexp_f32 v27, v21, 1
	v_dual_fmaak_f32 v25, s14, v23, 0x3ecc95a3 :: v_dual_sub_f32 v18, v18, v20
	s_delay_alu instid0(VALU_DEP_1) | instskip(NEXT) | instid1(VALU_DEP_2)
	v_ldexp_f32 v18, v18, 1
	v_dual_mul_f32 v24, v21, v23 :: v_dual_fmaak_f32 v23, v23, v25, 0x3f2aaada
	v_rcp_f32_e32 v25, v26
	v_frexp_exp_i32_f32_e32 v26, v19
	v_frexp_mant_f32_e32 v19, v19
	s_delay_alu instid0(VALU_DEP_3) | instskip(NEXT) | instid1(VALU_DEP_3)
	v_dual_mul_f32 v23, v24, v23 :: v_dual_mul_f32 v24, 0x3f317218, v17
	v_sub_nc_u32_e32 v22, v26, v22
	s_delay_alu instid0(VALU_DEP_2) | instskip(SKIP_2) | instid1(VALU_DEP_1)
	v_add_f32_e32 v21, v27, v23
	s_waitcnt_depctr 0xfff
	v_mul_f32_e32 v19, v19, v25
	v_ldexp_f32 v19, v19, v22
	v_sub_f32_e32 v20, v21, v27
	v_fma_f32 v22, 0x3f317218, v17, -v24
	s_delay_alu instid0(VALU_DEP_2) | instskip(NEXT) | instid1(VALU_DEP_2)
	v_sub_f32_e32 v20, v23, v20
	v_dual_mul_f32 v23, v19, v19 :: v_dual_fmac_f32 v22, 0xb102e308, v17
	s_delay_alu instid0(VALU_DEP_1) | instskip(NEXT) | instid1(VALU_DEP_1)
	v_dual_add_f32 v17, v18, v20 :: v_dual_fmaak_f32 v18, s16, v23, 0xbc7a590c
	v_dual_add_f32 v20, v24, v22 :: v_dual_add_f32 v25, v21, v17
	s_delay_alu instid0(VALU_DEP_2) | instskip(NEXT) | instid1(VALU_DEP_2)
	v_fmaak_f32 v18, v23, v18, 0x3d29fb3f
	v_add_f32_e32 v26, v20, v25
	s_delay_alu instid0(VALU_DEP_2) | instskip(NEXT) | instid1(VALU_DEP_1)
	v_dual_fmaak_f32 v18, v23, v18, 0xbd97d4d7 :: v_dual_sub_f32 v21, v25, v21
	v_dual_sub_f32 v27, v26, v20 :: v_dual_fmaak_f32 v18, v23, v18, 0x3dd931b2
	s_delay_alu instid0(VALU_DEP_1) | instskip(SKIP_1) | instid1(VALU_DEP_3)
	v_dual_sub_f32 v17, v17, v21 :: v_dual_sub_f32 v28, v26, v27
	v_dual_sub_f32 v21, v25, v27 :: v_dual_sub_f32 v24, v20, v24
	v_fmaak_f32 v18, v23, v18, 0xbe1160e6
	s_delay_alu instid0(VALU_DEP_3) | instskip(NEXT) | instid1(VALU_DEP_3)
	v_sub_f32_e32 v20, v20, v28
	v_sub_f32_e32 v22, v22, v24
	s_delay_alu instid0(VALU_DEP_3) | instskip(NEXT) | instid1(VALU_DEP_3)
	v_fmaak_f32 v18, v23, v18, 0x3e4cb8bf
	v_add_f32_e32 v20, v21, v20
	s_delay_alu instid0(VALU_DEP_3) | instskip(NEXT) | instid1(VALU_DEP_3)
	v_add_f32_e32 v24, v22, v17
	v_fmaak_f32 v18, v23, v18, 0xbeaaaa62
	s_delay_alu instid0(VALU_DEP_2) | instskip(NEXT) | instid1(VALU_DEP_4)
	v_sub_f32_e32 v21, v24, v22
	v_add_f32_e32 v20, v24, v20
	s_delay_alu instid0(VALU_DEP_2) | instskip(NEXT) | instid1(VALU_DEP_1)
	v_dual_mul_f32 v18, v23, v18 :: v_dual_sub_f32 v23, v24, v21
	v_dual_add_f32 v24, v26, v20 :: v_dual_fmac_f32 v19, v19, v18
	s_delay_alu instid0(VALU_DEP_2) | instskip(NEXT) | instid1(VALU_DEP_2)
	v_dual_sub_f32 v17, v17, v21 :: v_dual_sub_f32 v18, v22, v23
	v_sub_f32_e32 v21, v24, v26
	s_delay_alu instid0(VALU_DEP_1) | instskip(SKIP_2) | instid1(VALU_DEP_3)
	v_dual_add_f32 v17, v17, v18 :: v_dual_sub_f32 v18, v20, v21
	v_cndmask_b32_e64 v20, 0, 0x40490fdb, vcc_lo
	v_cmp_eq_f32_e32 vcc_lo, 0x7f800000, v7
	v_add_f32_e32 v17, v17, v18
	s_or_b32 vcc_lo, vcc_lo, s7
	s_delay_alu instid0(VALU_DEP_1) | instskip(NEXT) | instid1(VALU_DEP_1)
	v_add_f32_e32 v17, v24, v17
	v_cndmask_b32_e32 v7, v17, v7, vcc_lo
	v_cmp_eq_f32_e32 vcc_lo, 0, v2
	v_sub_f32_e32 v22, 0x3fc90fdb, v19
	s_delay_alu instid0(VALU_DEP_3) | instskip(NEXT) | instid1(VALU_DEP_2)
	v_mul_f32_e32 v7, 0.5, v7
	v_cndmask_b32_e64 v19, v19, v22, s2
	s_delay_alu instid0(VALU_DEP_1) | instskip(NEXT) | instid1(VALU_DEP_1)
	v_sub_f32_e32 v18, 0x40490fdb, v19
	v_cndmask_b32_e64 v18, v19, v18, s3
	v_cndmask_b32_e64 v19, 0x3f490fdb, v13, s3
	s_delay_alu instid0(VALU_DEP_2) | instskip(SKIP_1) | instid1(VALU_DEP_1)
	v_cndmask_b32_e32 v17, v18, v20, vcc_lo
	s_and_b32 vcc_lo, s6, s8
                                        ; implicit-def: $vgpr18
	v_cndmask_b32_e32 v17, v17, v19, vcc_lo
.LBB181_94:                             ;   in Loop: Header=BB181_5 Depth=1
	s_and_not1_saveexec_b32 s5, s5
	s_cbranch_execz .LBB181_96
; %bb.95:                               ;   in Loop: Header=BB181_5 Depth=1
	v_max_f32_e64 v7, |v2|, |v2|
	v_max_f32_e64 v17, |v1|, |v1|
	v_cmp_gt_i32_e32 vcc_lo, 0, v1
	v_cmp_eq_f32_e64 s3, 0, v2
	v_cmp_class_f32_e64 s6, v1, 0x204
	v_cmp_class_f32_e64 s7, v2, 0x204
	v_max_f32_e32 v19, v17, v7
	v_min_f32_e32 v7, v17, v7
	s_delay_alu instid0(VALU_DEP_2) | instskip(SKIP_1) | instid1(VALU_DEP_2)
	v_frexp_mant_f32_e32 v20, v19
	v_frexp_exp_i32_f32_e32 v19, v19
	v_rcp_f32_e32 v17, v20
	s_delay_alu instid0(VALU_DEP_3) | instskip(SKIP_1) | instid1(VALU_DEP_2)
	v_frexp_exp_i32_f32_e32 v20, v7
	v_frexp_mant_f32_e32 v7, v7
	v_sub_nc_u32_e32 v19, v20, v19
	s_waitcnt_depctr 0xfff
	v_mul_f32_e32 v7, v7, v17
	s_delay_alu instid0(VALU_DEP_1) | instskip(NEXT) | instid1(VALU_DEP_1)
	v_ldexp_f32 v7, v7, v19
	v_mul_f32_e32 v17, v7, v7
	s_delay_alu instid0(VALU_DEP_1) | instskip(NEXT) | instid1(VALU_DEP_1)
	v_fmaak_f32 v19, s16, v17, 0xbc7a590c
	v_fmaak_f32 v19, v17, v19, 0x3d29fb3f
	s_delay_alu instid0(VALU_DEP_1) | instskip(NEXT) | instid1(VALU_DEP_1)
	v_fmaak_f32 v19, v17, v19, 0xbd97d4d7
	v_fmaak_f32 v19, v17, v19, 0x3dd931b2
	;; [unrolled: 3-line block ×3, first 2 shown]
	s_delay_alu instid0(VALU_DEP_1) | instskip(NEXT) | instid1(VALU_DEP_1)
	v_fmaak_f32 v19, v17, v19, 0xbeaaaa62
	v_mul_f32_e32 v17, v17, v19
	v_cndmask_b32_e64 v19, 0, 0x40490fdb, vcc_lo
	v_cmp_gt_f32_e32 vcc_lo, 0, v1
	s_delay_alu instid0(VALU_DEP_3) | instskip(SKIP_1) | instid1(VALU_DEP_2)
	v_fmac_f32_e32 v7, v7, v17
	v_cndmask_b32_e32 v20, 0x3f490fdb, v13, vcc_lo
	v_sub_f32_e32 v17, 0x3fc90fdb, v7
	s_delay_alu instid0(VALU_DEP_1) | instskip(NEXT) | instid1(VALU_DEP_1)
	v_cndmask_b32_e64 v7, v7, v17, s2
	v_sub_f32_e32 v17, 0x40490fdb, v7
	s_delay_alu instid0(VALU_DEP_1) | instskip(SKIP_2) | instid1(VALU_DEP_2)
	v_cndmask_b32_e32 v7, v7, v17, vcc_lo
	v_mul_f32_e32 v17, 0.5, v18
	s_and_b32 vcc_lo, s6, s7
	v_cndmask_b32_e64 v19, v7, v19, s3
	s_delay_alu instid0(VALU_DEP_2) | instskip(NEXT) | instid1(VALU_DEP_2)
	v_mul_f32_e32 v7, v18, v17
	v_cndmask_b32_e32 v17, v19, v20, vcc_lo
.LBB181_96:                             ;   in Loop: Header=BB181_5 Depth=1
	s_or_b32 exec_lo, exec_lo, s5
.LBB181_97:                             ;   in Loop: Header=BB181_5 Depth=1
	s_delay_alu instid0(SALU_CYCLE_1)
	s_or_b32 exec_lo, exec_lo, s4
.LBB181_98:                             ;   in Loop: Header=BB181_5 Depth=1
	s_and_not1_saveexec_b32 s4, s21
	s_cbranch_execz .LBB181_100
; %bb.99:                               ;   in Loop: Header=BB181_5 Depth=1
	v_div_scale_f32 v7, null, 0x402df854, 0x402df854, v1
	v_div_scale_f32 v17, null, 0x402df854, 0x402df854, v2
	v_div_scale_f32 v22, vcc_lo, v1, 0x402df854, v1
	s_delay_alu instid0(VALU_DEP_3) | instskip(NEXT) | instid1(VALU_DEP_2)
	v_rcp_f32_e32 v18, v7
	v_rcp_f32_e32 v19, v17
	v_cmp_class_f32_e64 s5, v2, 0x204
	s_waitcnt_depctr 0xfff
	v_fma_f32 v20, -v7, v18, 1.0
	v_fma_f32 v21, -v17, v19, 1.0
	s_delay_alu instid0(VALU_DEP_1) | instskip(SKIP_1) | instid1(VALU_DEP_2)
	v_dual_fmac_f32 v18, v20, v18 :: v_dual_fmac_f32 v19, v21, v19
	v_div_scale_f32 v20, s3, v2, 0x402df854, v2
	v_mul_f32_e32 v21, v22, v18
	s_delay_alu instid0(VALU_DEP_1) | instskip(NEXT) | instid1(VALU_DEP_1)
	v_fma_f32 v24, -v7, v21, v22
	v_fmac_f32_e32 v21, v24, v18
	s_delay_alu instid0(VALU_DEP_1) | instskip(NEXT) | instid1(VALU_DEP_1)
	v_fma_f32 v7, -v7, v21, v22
	v_div_fmas_f32 v7, v7, v18, v21
	v_max_f32_e64 v21, |v1|, |v1|
	v_mul_f32_e32 v23, v20, v19
	s_mov_b32 vcc_lo, s3
	v_cmp_class_f32_e64 s3, v1, 0x204
	v_div_fixup_f32 v7, v7, 0x402df854, v1
	s_delay_alu instid0(VALU_DEP_3) | instskip(NEXT) | instid1(VALU_DEP_1)
	v_fma_f32 v25, -v17, v23, v20
	v_fmac_f32_e32 v23, v25, v19
	s_delay_alu instid0(VALU_DEP_1) | instskip(NEXT) | instid1(VALU_DEP_1)
	v_fma_f32 v17, -v17, v23, v20
	v_div_fmas_f32 v17, v17, v19, v23
	s_delay_alu instid0(VALU_DEP_1) | instskip(NEXT) | instid1(VALU_DEP_1)
	v_div_fixup_f32 v19, v17, 0x402df854, v2
	v_max_f32_e64 v20, |v7|, |v19|
	s_delay_alu instid0(VALU_DEP_1) | instskip(SKIP_1) | instid1(VALU_DEP_2)
	v_cvt_f64_f32_e32 v[17:18], v20
	v_cmp_neq_f32_e32 vcc_lo, 0x7f800000, v20
	v_frexp_exp_i32_f64_e32 v17, v[17:18]
	v_max_f32_e64 v18, |v2|, |v2|
	s_delay_alu instid0(VALU_DEP_1) | instskip(SKIP_1) | instid1(VALU_DEP_2)
	v_max_f32_e32 v22, v21, v18
	v_min_f32_e32 v18, v21, v18
	v_frexp_mant_f32_e32 v23, v22
	v_frexp_exp_i32_f32_e32 v22, v22
	s_delay_alu instid0(VALU_DEP_2) | instskip(SKIP_1) | instid1(VALU_DEP_1)
	v_rcp_f32_e32 v21, v23
	v_sub_nc_u32_e32 v23, 0, v17
	v_ldexp_f32 v19, |v19|, v23
	v_ldexp_f32 v7, |v7|, v23
	s_delay_alu instid0(VALU_DEP_2) | instskip(SKIP_2) | instid1(VALU_DEP_3)
	v_mul_f32_e32 v19, v19, v19
	v_frexp_exp_i32_f32_e32 v24, v18
	v_frexp_mant_f32_e32 v18, v18
	v_fmac_f32_e32 v19, v7, v7
	s_delay_alu instid0(VALU_DEP_3)
	v_sub_nc_u32_e32 v22, v24, v22
	s_delay_alu instid0(TRANS32_DEP_1) | instid1(VALU_DEP_3)
	v_mul_f32_e32 v18, v18, v21
	s_delay_alu instid0(VALU_DEP_3) | instskip(NEXT) | instid1(VALU_DEP_1)
	v_sqrt_f32_e32 v19, v19
	v_ldexp_f32 v18, v18, v22
	s_delay_alu instid0(VALU_DEP_1) | instskip(SKIP_3) | instid1(VALU_DEP_2)
	v_mul_f32_e32 v7, v18, v18
	s_waitcnt_depctr 0xfff
	v_ldexp_f32 v17, v19, v17
	v_fmaak_f32 v21, s16, v7, 0xbc7a590c
	v_cndmask_b32_e32 v17, 0x7f800000, v17, vcc_lo
	s_delay_alu instid0(VALU_DEP_2) | instskip(NEXT) | instid1(VALU_DEP_2)
	v_fmaak_f32 v21, v7, v21, 0x3d29fb3f
	v_cmp_gt_f32_e32 vcc_lo, 0x800000, v17
	s_delay_alu instid0(VALU_DEP_2) | instskip(SKIP_2) | instid1(VALU_DEP_3)
	v_fmaak_f32 v19, v7, v21, 0xbd97d4d7
	v_cndmask_b32_e64 v20, 1.0, 0x4f800000, vcc_lo
	v_cndmask_b32_e64 v21, 0, 0x41b17218, vcc_lo
	v_fmaak_f32 v19, v7, v19, 0x3dd931b2
	s_delay_alu instid0(VALU_DEP_3) | instskip(NEXT) | instid1(VALU_DEP_2)
	v_mul_f32_e32 v17, v17, v20
	v_fmaak_f32 v19, v7, v19, 0xbe1160e6
	s_delay_alu instid0(VALU_DEP_2) | instskip(NEXT) | instid1(VALU_DEP_1)
	v_log_f32_e32 v17, v17
	v_fmaak_f32 v19, v7, v19, 0x3e4cb8bf
	s_delay_alu instid0(VALU_DEP_1) | instskip(SKIP_3) | instid1(VALU_DEP_1)
	v_fmaak_f32 v19, v7, v19, 0xbeaaaa62
	s_waitcnt_depctr 0xfff
	v_cmp_gt_f32_e64 vcc_lo, 0x7f800000, |v17|
	v_mul_f32_e32 v7, v7, v19
	v_dual_mul_f32 v19, 0x3f317217, v17 :: v_dual_fmac_f32 v18, v18, v7
	s_delay_alu instid0(VALU_DEP_1) | instskip(NEXT) | instid1(VALU_DEP_2)
	v_fma_f32 v7, 0x3f317217, v17, -v19
	v_sub_f32_e32 v20, 0x3fc90fdb, v18
	s_delay_alu instid0(VALU_DEP_2) | instskip(NEXT) | instid1(VALU_DEP_2)
	v_fmac_f32_e32 v7, 0x3377d1cf, v17
	v_cndmask_b32_e64 v18, v18, v20, s2
	v_cmp_gt_i32_e64 s2, 0, v1
	s_delay_alu instid0(VALU_DEP_3) | instskip(NEXT) | instid1(VALU_DEP_3)
	v_add_f32_e32 v7, v19, v7
	v_sub_f32_e32 v19, 0x40490fdb, v18
	s_delay_alu instid0(VALU_DEP_3) | instskip(SKIP_1) | instid1(VALU_DEP_4)
	v_cndmask_b32_e64 v20, 0, 0x40490fdb, s2
	v_cmp_gt_f32_e64 s2, 0, v1
	v_cndmask_b32_e32 v7, v17, v7, vcc_lo
	v_cmp_eq_f32_e32 vcc_lo, 0, v2
	s_delay_alu instid0(VALU_DEP_3) | instskip(SKIP_1) | instid1(VALU_DEP_4)
	v_cndmask_b32_e64 v17, v18, v19, s2
	v_cndmask_b32_e64 v18, 0x3f490fdb, v13, s2
	v_sub_f32_e32 v7, v7, v21
	s_delay_alu instid0(VALU_DEP_3) | instskip(SKIP_1) | instid1(VALU_DEP_2)
	v_cndmask_b32_e32 v17, v17, v20, vcc_lo
	s_and_b32 vcc_lo, s3, s5
	v_add_f32_e32 v7, 1.0, v7
	s_delay_alu instid0(VALU_DEP_2)
	v_cndmask_b32_e32 v17, v17, v18, vcc_lo
.LBB181_100:                            ;   in Loop: Header=BB181_5 Depth=1
	s_or_b32 exec_lo, exec_lo, s4
.LBB181_101:                            ;   in Loop: Header=BB181_5 Depth=1
	s_and_not1_saveexec_b32 s2, s17
	s_cbranch_execz .LBB181_107
; %bb.102:                              ;   in Loop: Header=BB181_5 Depth=1
	v_cmp_ngt_f32_e64 s3, 0x20000000, |v1|
	v_cmp_ngt_f32_e64 s4, 0x20000000, |v2|
                                        ; implicit-def: $vgpr7
	s_delay_alu instid0(VALU_DEP_1) | instskip(NEXT) | instid1(SALU_CYCLE_1)
	s_or_b32 s3, s3, s4
	s_and_saveexec_b32 s4, s3
	s_delay_alu instid0(SALU_CYCLE_1)
	s_xor_b32 s3, exec_lo, s4
; %bb.103:                              ;   in Loop: Header=BB181_5 Depth=1
	v_mul_f32_e32 v7, v2, v2
	s_delay_alu instid0(VALU_DEP_1)
	v_fmac_f32_e32 v7, v1, v1
; %bb.104:                              ;   in Loop: Header=BB181_5 Depth=1
	s_and_not1_saveexec_b32 s3, s3
; %bb.105:                              ;   in Loop: Header=BB181_5 Depth=1
	v_mul_f32_e32 v7, 4.0, v2
	v_mul_f32_e32 v1, 4.0, v1
	s_delay_alu instid0(VALU_DEP_2) | instskip(NEXT) | instid1(VALU_DEP_1)
	v_mul_f32_e32 v7, v7, v7
	v_fmac_f32_e32 v7, v1, v1
	s_delay_alu instid0(VALU_DEP_1)
	v_mul_f32_e32 v7, 0x3d800000, v7
; %bb.106:                              ;   in Loop: Header=BB181_5 Depth=1
	s_or_b32 exec_lo, exec_lo, s3
	s_delay_alu instid0(VALU_DEP_1) | instskip(SKIP_1) | instid1(VALU_DEP_1)
	v_cmp_gt_f32_e32 vcc_lo, 0x800000, v7
	v_cndmask_b32_e64 v1, 1.0, 0x4f800000, vcc_lo
	v_mul_f32_e32 v1, v7, v1
	s_delay_alu instid0(VALU_DEP_1) | instskip(SKIP_2) | instid1(VALU_DEP_1)
	v_log_f32_e32 v1, v1
	s_waitcnt_depctr 0xfff
	v_mul_f32_e32 v7, 0x3f317217, v1
	v_fma_f32 v17, 0x3f317217, v1, -v7
	s_delay_alu instid0(VALU_DEP_1) | instskip(NEXT) | instid1(VALU_DEP_1)
	v_fmac_f32_e32 v17, 0x3377d1cf, v1
	v_add_f32_e32 v7, v7, v17
	v_cndmask_b32_e64 v17, 0, 0x41b17218, vcc_lo
	v_cmp_gt_f32_e64 vcc_lo, 0x7f800000, |v1|
	s_delay_alu instid0(VALU_DEP_3) | instskip(NEXT) | instid1(VALU_DEP_1)
	v_cndmask_b32_e32 v1, v1, v7, vcc_lo
	v_sub_f32_e32 v7, v1, v17
	v_mov_b32_e32 v17, 0x7fc00000
.LBB181_107:                            ;   in Loop: Header=BB181_5 Depth=1
	s_or_b32 exec_lo, exec_lo, s2
                                        ; implicit-def: $vgpr1
                                        ; implicit-def: $vgpr18
	s_delay_alu instid0(SALU_CYCLE_1)
	s_mov_b32 s2, exec_lo
	v_cmpx_o_f32_e32 v4, v3
	s_xor_b32 s17, exec_lo, s2
	s_cbranch_execz .LBB181_135
; %bb.108:                              ;   in Loop: Header=BB181_5 Depth=1
	v_cmp_lt_f32_e64 s2, |v3|, |v4|
                                        ; implicit-def: $vgpr1
                                        ; implicit-def: $vgpr18
	s_mov_b32 s3, exec_lo
	s_delay_alu instid0(VALU_DEP_1) | instskip(NEXT) | instid1(VALU_DEP_1)
	v_cndmask_b32_e64 v19, |v4|, |v3|, s2
	v_cmpx_nlt_f32_e32 0x77f684df, v19
	s_xor_b32 s21, exec_lo, s3
	s_cbranch_execz .LBB181_132
; %bb.109:                              ;   in Loop: Header=BB181_5 Depth=1
	v_and_b32_e32 v1, 0x7fffffff, v4
                                        ; implicit-def: $vgpr18
	s_mov_b32 s3, exec_lo
	s_delay_alu instid0(VALU_DEP_1) | instskip(NEXT) | instid1(VALU_DEP_1)
	v_cndmask_b32_e64 v20, |v3|, v1, s2
                                        ; implicit-def: $vgpr1
	v_cmpx_neq_f32_e32 1.0, v20
	s_xor_b32 s22, exec_lo, s3
	s_cbranch_execz .LBB181_125
; %bb.110:                              ;   in Loop: Header=BB181_5 Depth=1
	v_dual_max_f32 v1, v19, v19 :: v_dual_max_f32 v18, v20, v20
	s_delay_alu instid0(VALU_DEP_1) | instskip(SKIP_1) | instid1(VALU_DEP_2)
	v_min_f32_e32 v21, v18, v1
	v_max_f32_e32 v1, v18, v1
                                        ; implicit-def: $vgpr18
	v_cmp_ngt_f32_e32 vcc_lo, 0x358637bd, v21
	s_delay_alu instid0(VALU_DEP_2) | instskip(NEXT) | instid1(VALU_DEP_1)
	v_cmp_nlt_f32_e64 s3, 0x49742400, v1
                                        ; implicit-def: $vgpr1
	s_and_b32 s3, s3, vcc_lo
	s_delay_alu instid0(SALU_CYCLE_1) | instskip(NEXT) | instid1(SALU_CYCLE_1)
	s_and_saveexec_b32 s4, s3
	s_xor_b32 s23, exec_lo, s4
	s_cbranch_execz .LBB181_122
; %bb.111:                              ;   in Loop: Header=BB181_5 Depth=1
                                        ; implicit-def: $vgpr1
                                        ; implicit-def: $vgpr18
	s_mov_b32 s3, exec_lo
	v_cmpx_le_f32_e32 1.0, v20
	s_xor_b32 s4, exec_lo, s3
	s_cbranch_execz .LBB181_113
; %bb.112:                              ;   in Loop: Header=BB181_5 Depth=1
	v_add_f32_e32 v1, -1.0, v20
	v_add_f32_e32 v18, 1.0, v20
	v_cmp_class_f32_e64 s5, v3, 0x204
	s_delay_alu instid0(VALU_DEP_2) | instskip(NEXT) | instid1(VALU_DEP_1)
	v_mul_f32_e32 v1, v1, v18
	v_fmac_f32_e32 v1, v19, v19
	s_delay_alu instid0(VALU_DEP_1) | instskip(SKIP_1) | instid1(VALU_DEP_2)
	v_add_f32_e32 v20, 1.0, v1
	v_cmp_neq_f32_e64 s3, -1.0, v1
	v_cvt_f64_f32_e32 v[18:19], v20
	s_delay_alu instid0(VALU_DEP_1) | instskip(SKIP_1) | instid1(VALU_DEP_1)
	v_frexp_exp_i32_f64_e32 v18, v[18:19]
	v_frexp_mant_f32_e32 v19, v20
	v_cmp_gt_f32_e32 vcc_lo, 0x3f2aaaab, v19
	v_add_f32_e32 v19, -1.0, v20
	s_delay_alu instid0(VALU_DEP_1) | instskip(NEXT) | instid1(VALU_DEP_1)
	v_dual_sub_f32 v22, v19, v20 :: v_dual_sub_f32 v19, v1, v19
	v_add_f32_e32 v22, 1.0, v22
	s_delay_alu instid0(VALU_DEP_1) | instskip(SKIP_2) | instid1(VALU_DEP_2)
	v_add_f32_e32 v19, v19, v22
	v_subrev_co_ci_u32_e32 v18, vcc_lo, 0, v18, vcc_lo
	v_cmp_eq_f32_e32 vcc_lo, 0x7f800000, v1
	v_sub_nc_u32_e32 v21, 0, v18
	v_cvt_f32_i32_e32 v18, v18
	s_delay_alu instid0(VALU_DEP_2) | instskip(SKIP_1) | instid1(VALU_DEP_2)
	v_ldexp_f32 v20, v20, v21
	v_ldexp_f32 v19, v19, v21
	v_add_f32_e32 v23, 1.0, v20
	s_delay_alu instid0(VALU_DEP_1) | instskip(NEXT) | instid1(VALU_DEP_1)
	v_add_f32_e32 v22, -1.0, v23
	v_dual_sub_f32 v22, v20, v22 :: v_dual_add_f32 v21, -1.0, v20
	s_delay_alu instid0(VALU_DEP_1) | instskip(NEXT) | instid1(VALU_DEP_2)
	v_add_f32_e32 v22, v19, v22
	v_add_f32_e32 v24, 1.0, v21
	s_delay_alu instid0(VALU_DEP_1) | instskip(NEXT) | instid1(VALU_DEP_1)
	v_sub_f32_e32 v20, v20, v24
	v_add_f32_e32 v19, v19, v20
	s_delay_alu instid0(VALU_DEP_1) | instskip(NEXT) | instid1(VALU_DEP_1)
	v_dual_add_f32 v25, v21, v19 :: v_dual_add_f32 v24, v23, v22
	v_sub_f32_e32 v21, v25, v21
	s_delay_alu instid0(VALU_DEP_2) | instskip(SKIP_1) | instid1(VALU_DEP_1)
	v_rcp_f32_e32 v20, v24
	v_sub_f32_e32 v23, v24, v23
	v_dual_sub_f32 v22, v22, v23 :: v_dual_sub_f32 v19, v19, v21
	s_waitcnt_depctr 0xfff
	v_mul_f32_e32 v26, v25, v20
	s_delay_alu instid0(VALU_DEP_1) | instskip(NEXT) | instid1(VALU_DEP_1)
	v_mul_f32_e32 v27, v24, v26
	v_fma_f32 v23, v26, v24, -v27
	s_delay_alu instid0(VALU_DEP_1) | instskip(NEXT) | instid1(VALU_DEP_1)
	v_fmac_f32_e32 v23, v26, v22
	v_add_f32_e32 v28, v27, v23
	s_delay_alu instid0(VALU_DEP_1) | instskip(SKIP_1) | instid1(VALU_DEP_2)
	v_sub_f32_e32 v29, v25, v28
	v_sub_f32_e32 v21, v28, v27
	;; [unrolled: 1-line block ×3, first 2 shown]
	s_delay_alu instid0(VALU_DEP_2) | instskip(NEXT) | instid1(VALU_DEP_2)
	v_sub_f32_e32 v21, v21, v23
	v_sub_f32_e32 v25, v25, v28
	s_delay_alu instid0(VALU_DEP_1) | instskip(NEXT) | instid1(VALU_DEP_1)
	v_add_f32_e32 v19, v19, v25
	v_add_f32_e32 v19, v21, v19
	s_delay_alu instid0(VALU_DEP_1) | instskip(NEXT) | instid1(VALU_DEP_1)
	v_add_f32_e32 v21, v29, v19
	v_mul_f32_e32 v23, v20, v21
	s_delay_alu instid0(VALU_DEP_1) | instskip(NEXT) | instid1(VALU_DEP_1)
	v_dual_sub_f32 v28, v29, v21 :: v_dual_mul_f32 v25, v24, v23
	v_add_f32_e32 v19, v19, v28
	s_delay_alu instid0(VALU_DEP_2) | instskip(NEXT) | instid1(VALU_DEP_1)
	v_fma_f32 v24, v23, v24, -v25
	v_fmac_f32_e32 v24, v23, v22
	s_delay_alu instid0(VALU_DEP_1) | instskip(NEXT) | instid1(VALU_DEP_1)
	v_add_f32_e32 v22, v25, v24
	v_sub_f32_e32 v27, v21, v22
	v_sub_f32_e32 v25, v22, v25
	s_delay_alu instid0(VALU_DEP_2) | instskip(NEXT) | instid1(VALU_DEP_1)
	v_sub_f32_e32 v21, v21, v27
	v_sub_f32_e32 v21, v21, v22
	s_delay_alu instid0(VALU_DEP_3) | instskip(SKIP_1) | instid1(VALU_DEP_3)
	v_sub_f32_e32 v22, v25, v24
	v_max_f32_e64 v24, |v4|, |v4|
	v_add_f32_e32 v19, v19, v21
	v_add_f32_e32 v21, v26, v23
	s_delay_alu instid0(VALU_DEP_1) | instskip(NEXT) | instid1(VALU_DEP_1)
	v_dual_add_f32 v19, v22, v19 :: v_dual_sub_f32 v22, v21, v26
	v_add_f32_e32 v19, v27, v19
	s_delay_alu instid0(VALU_DEP_2) | instskip(SKIP_1) | instid1(VALU_DEP_3)
	v_sub_f32_e32 v22, v23, v22
	v_mul_f32_e32 v27, 0x3f317218, v18
	v_mul_f32_e32 v19, v20, v19
	s_delay_alu instid0(VALU_DEP_2) | instskip(NEXT) | instid1(VALU_DEP_1)
	v_fma_f32 v28, 0x3f317218, v18, -v27
	v_dual_add_f32 v19, v22, v19 :: v_dual_fmac_f32 v28, 0xb102e308, v18
	s_delay_alu instid0(VALU_DEP_1) | instskip(NEXT) | instid1(VALU_DEP_1)
	v_add_f32_e32 v20, v21, v19
	v_mul_f32_e32 v22, v20, v20
	v_ldexp_f32 v26, v20, 1
	s_delay_alu instid0(VALU_DEP_2) | instskip(SKIP_2) | instid1(VALU_DEP_3)
	v_fmaak_f32 v23, s14, v22, 0x3ecc95a3
	v_mul_f32_e32 v25, v20, v22
	v_sub_f32_e32 v20, v20, v21
	v_fmaak_f32 v22, v22, v23, 0x3f2aaada
	v_max_f32_e64 v23, |v3|, |v3|
	s_delay_alu instid0(VALU_DEP_2) | instskip(NEXT) | instid1(VALU_DEP_2)
	v_dual_sub_f32 v19, v19, v20 :: v_dual_mul_f32 v22, v25, v22
	v_max_f32_e32 v25, v23, v24
	v_min_f32_e32 v23, v23, v24
	s_delay_alu instid0(VALU_DEP_3) | instskip(NEXT) | instid1(VALU_DEP_4)
	v_ldexp_f32 v19, v19, 1
	v_add_f32_e32 v21, v26, v22
	s_delay_alu instid0(VALU_DEP_4) | instskip(SKIP_1) | instid1(VALU_DEP_3)
	v_frexp_mant_f32_e32 v24, v25
	v_frexp_exp_i32_f32_e32 v25, v25
	v_sub_f32_e32 v20, v21, v26
	s_delay_alu instid0(VALU_DEP_3) | instskip(SKIP_1) | instid1(VALU_DEP_2)
	v_rcp_f32_e32 v24, v24
	v_frexp_exp_i32_f32_e32 v26, v23
	v_sub_f32_e32 v20, v22, v20
	v_frexp_mant_f32_e32 v22, v23
	s_delay_alu instid0(VALU_DEP_3) | instskip(NEXT) | instid1(VALU_DEP_3)
	v_sub_nc_u32_e32 v23, v26, v25
	v_add_f32_e32 v18, v19, v20
	v_add_f32_e32 v20, v27, v28
	s_delay_alu instid0(VALU_DEP_1) | instskip(NEXT) | instid1(VALU_DEP_1)
	v_sub_f32_e32 v27, v20, v27
	v_sub_f32_e32 v27, v28, v27
	s_delay_alu instid0(TRANS32_DEP_1) | instid1(VALU_DEP_4)
	v_dual_mul_f32 v19, v22, v24 :: v_dual_add_f32 v22, v21, v18
	s_delay_alu instid0(VALU_DEP_1) | instskip(NEXT) | instid1(VALU_DEP_2)
	v_ldexp_f32 v19, v19, v23
	v_add_f32_e32 v23, v20, v22
	s_delay_alu instid0(VALU_DEP_2) | instskip(NEXT) | instid1(VALU_DEP_1)
	v_dual_sub_f32 v21, v22, v21 :: v_dual_mul_f32 v24, v19, v19
	v_dual_sub_f32 v25, v23, v20 :: v_dual_sub_f32 v18, v18, v21
	s_delay_alu instid0(VALU_DEP_1) | instskip(SKIP_1) | instid1(VALU_DEP_3)
	v_dual_fmaak_f32 v26, s16, v24, 0xbc7a590c :: v_dual_sub_f32 v29, v23, v25
	v_sub_f32_e32 v21, v22, v25
	v_add_f32_e32 v25, v27, v18
	s_delay_alu instid0(VALU_DEP_3) | instskip(NEXT) | instid1(VALU_DEP_4)
	v_fmaak_f32 v26, v24, v26, 0x3d29fb3f
	v_sub_f32_e32 v20, v20, v29
	s_delay_alu instid0(VALU_DEP_2) | instskip(NEXT) | instid1(VALU_DEP_1)
	v_fmaak_f32 v22, v24, v26, 0xbd97d4d7
	v_dual_add_f32 v20, v21, v20 :: v_dual_fmaak_f32 v21, v24, v22, 0x3dd931b2
	v_sub_f32_e32 v22, v25, v27
	s_delay_alu instid0(VALU_DEP_2) | instskip(NEXT) | instid1(VALU_DEP_1)
	v_dual_add_f32 v20, v25, v20 :: v_dual_fmaak_f32 v21, v24, v21, 0xbe1160e6
	v_dual_sub_f32 v25, v25, v22 :: v_dual_add_f32 v26, v23, v20
	s_delay_alu instid0(VALU_DEP_2) | instskip(NEXT) | instid1(VALU_DEP_2)
	v_dual_sub_f32 v18, v18, v22 :: v_dual_fmaak_f32 v21, v24, v21, 0x3e4cb8bf
	v_dual_sub_f32 v22, v27, v25 :: v_dual_sub_f32 v23, v26, v23
	s_delay_alu instid0(VALU_DEP_1) | instskip(NEXT) | instid1(VALU_DEP_2)
	v_dual_fmaak_f32 v21, v24, v21, 0xbeaaaa62 :: v_dual_add_f32 v18, v18, v22
	v_sub_f32_e32 v20, v20, v23
	s_delay_alu instid0(VALU_DEP_1) | instskip(NEXT) | instid1(VALU_DEP_1)
	v_dual_mul_f32 v21, v24, v21 :: v_dual_add_f32 v18, v18, v20
	v_dual_fmac_f32 v19, v19, v21 :: v_dual_add_f32 v18, v26, v18
	s_delay_alu instid0(VALU_DEP_1) | instskip(NEXT) | instid1(VALU_DEP_2)
	v_sub_f32_e32 v20, 0x3fc90fdb, v19
	v_cndmask_b32_e32 v18, v18, v1, vcc_lo
	v_cmp_gt_i32_e32 vcc_lo, 0, v3
	s_delay_alu instid0(VALU_DEP_3) | instskip(SKIP_2) | instid1(VALU_DEP_3)
	v_cndmask_b32_e64 v19, v19, v20, s2
	v_cndmask_b32_e64 v20, 0, 0x40490fdb, vcc_lo
	v_cmp_ngt_f32_e32 vcc_lo, -1.0, v1
	v_sub_f32_e32 v21, 0x40490fdb, v19
	v_cndmask_b32_e32 v18, 0x7fc00000, v18, vcc_lo
	v_cmp_gt_f32_e32 vcc_lo, 0, v3
	s_delay_alu instid0(VALU_DEP_2) | instskip(NEXT) | instid1(VALU_DEP_4)
	v_cndmask_b32_e64 v18, 0xff800000, v18, s3
	v_cndmask_b32_e32 v19, v19, v21, vcc_lo
	v_cndmask_b32_e32 v21, 0x3f490fdb, v13, vcc_lo
	v_cmp_gt_f32_e64 vcc_lo, 0x33800000, |v1|
	v_cmp_class_f32_e64 s3, v4, 0x204
	v_cndmask_b32_e32 v1, v18, v1, vcc_lo
	v_cmp_eq_f32_e32 vcc_lo, 0, v4
	s_delay_alu instid0(VALU_DEP_2) | instskip(NEXT) | instid1(VALU_DEP_4)
	v_dual_mul_f32 v1, 0.5, v1 :: v_dual_cndmask_b32 v18, v19, v20
	s_and_b32 vcc_lo, s5, s3
                                        ; implicit-def: $vgpr19
                                        ; implicit-def: $vgpr20
	s_delay_alu instid0(VALU_DEP_1)
	v_cndmask_b32_e32 v18, v18, v21, vcc_lo
.LBB181_113:                            ;   in Loop: Header=BB181_5 Depth=1
	s_and_not1_saveexec_b32 s24, s4
	s_cbranch_execz .LBB181_121
; %bb.114:                              ;   in Loop: Header=BB181_5 Depth=1
	v_mul_f32_e32 v21, v19, v19
                                        ; implicit-def: $vgpr1
                                        ; implicit-def: $vgpr18
	s_mov_b32 s3, exec_lo
	s_delay_alu instid0(VALU_DEP_1) | instskip(NEXT) | instid1(VALU_DEP_1)
	v_fmac_f32_e32 v21, v20, v20
	v_cmpx_ge_f32_e32 0x3f333333, v21
	s_xor_b32 s4, exec_lo, s3
	s_cbranch_execz .LBB181_116
; %bb.115:                              ;   in Loop: Header=BB181_5 Depth=1
	v_max_f32_e64 v1, |v4|, |v4|
	v_max_f32_e64 v18, |v3|, |v3|
	v_cmp_gt_f32_e32 vcc_lo, 0x800000, v21
	v_cmp_gt_i32_e64 s3, 0, v3
	v_cmp_class_f32_e64 s5, v3, 0x204
	v_cmp_class_f32_e64 s6, v4, 0x204
	v_max_f32_e32 v19, v18, v1
	v_min_f32_e32 v1, v18, v1
	v_cndmask_b32_e64 v22, 0, 0x41b17218, vcc_lo
	s_delay_alu instid0(VALU_DEP_3) | instskip(SKIP_1) | instid1(VALU_DEP_2)
	v_frexp_mant_f32_e32 v20, v19
	v_frexp_exp_i32_f32_e32 v19, v19
	v_rcp_f32_e32 v18, v20
	v_frexp_exp_i32_f32_e32 v20, v1
	v_frexp_mant_f32_e32 v1, v1
	s_delay_alu instid0(VALU_DEP_2) | instskip(SKIP_4) | instid1(VALU_DEP_2)
	v_sub_nc_u32_e32 v19, v20, v19
	v_cndmask_b32_e64 v20, 1.0, 0x4f800000, vcc_lo
	s_waitcnt_depctr 0xfff
	v_mul_f32_e32 v1, v1, v18
	v_mul_f32_e32 v20, v21, v20
	v_ldexp_f32 v1, v1, v19
	s_delay_alu instid0(VALU_DEP_2) | instskip(NEXT) | instid1(VALU_DEP_1)
	v_log_f32_e32 v20, v20
	v_mul_f32_e32 v18, v1, v1
	s_delay_alu instid0(VALU_DEP_1) | instskip(SKIP_3) | instid1(VALU_DEP_1)
	v_fmaak_f32 v19, s16, v18, 0xbc7a590c
	s_waitcnt_depctr 0xfff
	v_cmp_gt_f32_e64 vcc_lo, 0x7f800000, |v20|
	v_fmaak_f32 v19, v18, v19, 0x3d29fb3f
	v_fmaak_f32 v19, v18, v19, 0xbd97d4d7
	s_delay_alu instid0(VALU_DEP_1) | instskip(NEXT) | instid1(VALU_DEP_1)
	v_fmaak_f32 v19, v18, v19, 0x3dd931b2
	v_fmaak_f32 v19, v18, v19, 0xbe1160e6
	s_delay_alu instid0(VALU_DEP_1) | instskip(NEXT) | instid1(VALU_DEP_1)
	;; [unrolled: 3-line block ×3, first 2 shown]
	v_dual_mul_f32 v18, v18, v19 :: v_dual_mul_f32 v19, 0x3f317217, v20
	v_fmac_f32_e32 v1, v1, v18
	s_delay_alu instid0(VALU_DEP_2) | instskip(NEXT) | instid1(VALU_DEP_1)
	v_fma_f32 v18, 0x3f317217, v20, -v19
	v_fmac_f32_e32 v18, 0x3377d1cf, v20
	s_delay_alu instid0(VALU_DEP_1) | instskip(SKIP_2) | instid1(VALU_DEP_3)
	v_add_f32_e32 v18, v19, v18
	v_cndmask_b32_e64 v19, 0, 0x40490fdb, s3
	v_cmp_eq_f32_e64 s3, 0, v4
	v_cndmask_b32_e32 v18, v20, v18, vcc_lo
	v_cmp_gt_f32_e32 vcc_lo, 0, v3
	s_delay_alu instid0(VALU_DEP_2) | instskip(SKIP_2) | instid1(VALU_DEP_1)
	v_sub_f32_e32 v18, v18, v22
	v_cndmask_b32_e32 v20, 0x3f490fdb, v13, vcc_lo
	v_sub_f32_e32 v21, 0x3fc90fdb, v1
	v_cndmask_b32_e64 v1, v1, v21, s2
	s_delay_alu instid0(VALU_DEP_1) | instskip(NEXT) | instid1(VALU_DEP_1)
	v_sub_f32_e32 v21, 0x40490fdb, v1
	v_cndmask_b32_e32 v1, v1, v21, vcc_lo
	s_and_b32 vcc_lo, s5, s6
	s_delay_alu instid0(VALU_DEP_1) | instskip(NEXT) | instid1(VALU_DEP_1)
	v_cndmask_b32_e64 v19, v1, v19, s3
	v_dual_mul_f32 v1, 0.5, v18 :: v_dual_cndmask_b32 v18, v19, v20
                                        ; implicit-def: $vgpr20
                                        ; implicit-def: $vgpr19
.LBB181_116:                            ;   in Loop: Header=BB181_5 Depth=1
	s_and_not1_saveexec_b32 s25, s4
	s_cbranch_execz .LBB181_120
; %bb.117:                              ;   in Loop: Header=BB181_5 Depth=1
	v_and_b32_e32 v21, 0x7fff0000, v19
	v_and_b32_e32 v18, 0x7fff0000, v20
	s_mov_b32 s26, 0
	s_delay_alu instid0(VALU_DEP_2) | instskip(SKIP_1) | instid1(VALU_DEP_3)
	v_sub_f32_e32 v22, v19, v21
	v_mul_f32_e32 v19, v21, v21
	v_mul_f32_e32 v1, v18, v18
	v_sub_f32_e32 v20, v20, v18
	s_delay_alu instid0(VALU_DEP_1) | instskip(NEXT) | instid1(VALU_DEP_1)
	v_dual_add_f32 v28, v21, v21 :: v_dual_and_b32 v23, 0xffff0000, v20
	v_dual_sub_f32 v21, v20, v23 :: v_dual_and_b32 v24, 0xffff0000, v22
	s_delay_alu instid0(VALU_DEP_1) | instskip(SKIP_2) | instid1(VALU_DEP_3)
	v_dual_add_f32 v25, v18, v18 :: v_dual_mul_f32 v18, v28, v24
	v_dual_sub_f32 v29, v22, v24 :: v_dual_mul_f32 v20, v23, v23
	v_add_f32_e32 v22, v23, v23
	v_dual_mul_f32 v27, v25, v23 :: v_dual_add_f32 v30, v24, v24
	v_dual_mul_f32 v26, v24, v24 :: v_dual_mul_f32 v23, v25, v21
	s_delay_alu instid0(VALU_DEP_4) | instskip(NEXT) | instid1(VALU_DEP_4)
	v_mul_f32_e32 v25, v28, v29
	v_mul_f32_e32 v24, v22, v21
	;; [unrolled: 1-line block ×5, first 2 shown]
.LBB181_118:                            ;   Parent Loop BB181_5 Depth=1
                                        ; =>  This Inner Loop Header: Depth=2
	v_cmp_nlt_f32_e32 vcc_lo, v1, v19
	s_delay_alu instid0(VALU_DEP_2) | instskip(SKIP_1) | instid1(VALU_DEP_2)
	v_dual_mov_b32 v30, v28 :: v_dual_cndmask_b32 v29, v1, v19
	v_cndmask_b32_e32 v1, v19, v1, vcc_lo
	v_cmp_nlt_f32_e64 s3, v29, v27
	s_delay_alu instid0(VALU_DEP_1) | instskip(SKIP_2) | instid1(VALU_DEP_2)
	v_cndmask_b32_e64 v28, v29, v27, s3
	v_cndmask_b32_e64 v19, v27, v29, s3
	s_and_b32 s27, vcc_lo, s3
	v_cmp_nlt_f32_e64 s4, v28, v18
	s_delay_alu instid0(VALU_DEP_1) | instskip(SKIP_1) | instid1(VALU_DEP_2)
	v_cndmask_b32_e64 v31, v28, v18, s4
	v_cndmask_b32_e64 v27, v18, v28, s4
	v_cmp_nlt_f32_e64 s5, v31, v20
	s_delay_alu instid0(VALU_DEP_1) | instskip(SKIP_2) | instid1(VALU_DEP_2)
	v_cndmask_b32_e64 v29, v31, v20, s5
	v_cndmask_b32_e64 v18, v20, v31, s5
	s_and_b32 s28, s4, s5
	v_cmp_nlt_f32_e64 s6, v29, v26
	s_delay_alu instid0(VALU_DEP_1) | instskip(SKIP_1) | instid1(VALU_DEP_2)
	v_cndmask_b32_e64 v32, v29, v26, s6
	v_cndmask_b32_e64 v20, v26, v29, s6
	v_cmp_nlt_f32_e64 s7, v32, v23
	s_delay_alu instid0(VALU_DEP_1) | instskip(SKIP_2) | instid1(VALU_DEP_2)
	v_cndmask_b32_e64 v33, v32, v23, s7
	s_and_b32 s5, s6, s7
	v_cndmask_b32_e64 v26, v23, v32, s7
	v_cmp_nlt_f32_e64 s8, v33, v25
	s_delay_alu instid0(VALU_DEP_1) | instskip(SKIP_2) | instid1(VALU_DEP_2)
	v_cndmask_b32_e64 v34, v33, v25, s8
	s_and_b32 s5, s5, s8
	v_cndmask_b32_e64 v23, v25, v33, s8
	v_cmp_nlt_f32_e32 vcc_lo, v34, v24
	v_cndmask_b32_e32 v35, v34, v24, vcc_lo
	s_and_b32 s6, s5, vcc_lo
	v_cndmask_b32_e32 v25, v24, v34, vcc_lo
	s_delay_alu instid0(VALU_DEP_2) | instskip(NEXT) | instid1(VALU_DEP_1)
	v_cmp_nlt_f32_e64 s3, v35, v22
	v_cndmask_b32_e64 v31, v35, v22, s3
	s_and_b32 s6, s6, s3
	v_cndmask_b32_e64 v24, v22, v35, s3
	s_delay_alu instid0(VALU_DEP_2) | instskip(NEXT) | instid1(VALU_DEP_1)
	v_cmp_nlt_f32_e64 s4, v31, v21
	v_cndmask_b32_e64 v29, v31, v21, s4
	s_and_b32 s6, s6, s4
	v_cndmask_b32_e64 v22, v21, v31, s4
	s_delay_alu instid0(VALU_DEP_2) | instskip(NEXT) | instid1(VALU_DEP_1)
	v_cmp_nlt_f32_e64 s5, v29, v30
	s_and_b32 s6, s6, s5
	v_cndmask_b32_e64 v28, v29, v30, s5
	s_and_b32 s3, s6, s28
	v_cndmask_b32_e64 v21, v30, v29, s5
	s_and_b32 s3, s3, s27
	s_delay_alu instid0(SALU_CYCLE_1) | instskip(NEXT) | instid1(SALU_CYCLE_1)
	s_and_b32 s3, exec_lo, s3
	s_or_b32 s26, s3, s26
	s_delay_alu instid0(SALU_CYCLE_1)
	s_and_not1_b32 exec_lo, exec_lo, s26
	s_cbranch_execnz .LBB181_118
; %bb.119:                              ;   in Loop: Header=BB181_5 Depth=1
	s_or_b32 exec_lo, exec_lo, s26
	v_add_f32_e32 v1, -1.0, v1
	v_cmp_class_f32_e64 s4, v3, 0x204
	s_delay_alu instid0(VALU_DEP_2) | instskip(NEXT) | instid1(VALU_DEP_1)
	v_add_f32_e32 v1, v1, v19
	v_add_f32_e32 v1, v1, v27
	s_delay_alu instid0(VALU_DEP_1) | instskip(NEXT) | instid1(VALU_DEP_1)
	v_add_f32_e32 v1, v1, v18
	v_add_f32_e32 v1, v1, v20
	s_delay_alu instid0(VALU_DEP_1) | instskip(NEXT) | instid1(VALU_DEP_1)
	;; [unrolled: 3-line block ×5, first 2 shown]
	v_add_f32_e32 v1, v28, v1
	v_add_f32_e32 v20, 1.0, v1
	s_delay_alu instid0(VALU_DEP_1) | instskip(NEXT) | instid1(VALU_DEP_1)
	v_cvt_f64_f32_e32 v[18:19], v20
	v_frexp_exp_i32_f64_e32 v18, v[18:19]
	v_frexp_mant_f32_e32 v19, v20
	s_delay_alu instid0(VALU_DEP_1) | instskip(SKIP_1) | instid1(VALU_DEP_1)
	v_cmp_gt_f32_e32 vcc_lo, 0x3f2aaaab, v19
	v_add_f32_e32 v19, -1.0, v20
	v_dual_sub_f32 v22, v19, v20 :: v_dual_sub_f32 v19, v1, v19
	s_delay_alu instid0(VALU_DEP_1) | instskip(NEXT) | instid1(VALU_DEP_1)
	v_add_f32_e32 v22, 1.0, v22
	v_add_f32_e32 v19, v19, v22
	v_subrev_co_ci_u32_e32 v18, vcc_lo, 0, v18, vcc_lo
	s_delay_alu instid0(VALU_DEP_1) | instskip(SKIP_1) | instid1(VALU_DEP_2)
	v_sub_nc_u32_e32 v21, 0, v18
	v_cvt_f32_i32_e32 v18, v18
	v_ldexp_f32 v20, v20, v21
	v_ldexp_f32 v19, v19, v21
	s_delay_alu instid0(VALU_DEP_2) | instskip(NEXT) | instid1(VALU_DEP_1)
	v_add_f32_e32 v23, 1.0, v20
	v_dual_add_f32 v21, -1.0, v20 :: v_dual_add_f32 v22, -1.0, v23
	s_delay_alu instid0(VALU_DEP_1) | instskip(NEXT) | instid1(VALU_DEP_2)
	v_add_f32_e32 v24, 1.0, v21
	v_sub_f32_e32 v22, v20, v22
	s_delay_alu instid0(VALU_DEP_2) | instskip(NEXT) | instid1(VALU_DEP_2)
	v_sub_f32_e32 v20, v20, v24
	v_add_f32_e32 v22, v19, v22
	s_delay_alu instid0(VALU_DEP_2) | instskip(NEXT) | instid1(VALU_DEP_1)
	v_add_f32_e32 v19, v19, v20
	v_dual_add_f32 v24, v23, v22 :: v_dual_add_f32 v25, v21, v19
	s_delay_alu instid0(VALU_DEP_1) | instskip(SKIP_1) | instid1(VALU_DEP_1)
	v_rcp_f32_e32 v20, v24
	v_sub_f32_e32 v23, v24, v23
	v_dual_sub_f32 v21, v25, v21 :: v_dual_sub_f32 v22, v22, v23
	s_waitcnt_depctr 0xfff
	v_dual_sub_f32 v19, v19, v21 :: v_dual_mul_f32 v26, v25, v20
	v_cmp_eq_f32_e32 vcc_lo, 0x7f800000, v1
	v_cmp_neq_f32_e64 s3, -1.0, v1
	s_delay_alu instid0(VALU_DEP_3) | instskip(NEXT) | instid1(VALU_DEP_1)
	v_mul_f32_e32 v27, v24, v26
	v_fma_f32 v23, v26, v24, -v27
	s_delay_alu instid0(VALU_DEP_1) | instskip(NEXT) | instid1(VALU_DEP_1)
	v_fmac_f32_e32 v23, v26, v22
	v_add_f32_e32 v28, v27, v23
	s_delay_alu instid0(VALU_DEP_1) | instskip(SKIP_1) | instid1(VALU_DEP_2)
	v_sub_f32_e32 v29, v25, v28
	v_sub_f32_e32 v21, v28, v27
	;; [unrolled: 1-line block ×3, first 2 shown]
	s_delay_alu instid0(VALU_DEP_2) | instskip(NEXT) | instid1(VALU_DEP_2)
	v_sub_f32_e32 v21, v21, v23
	v_sub_f32_e32 v25, v25, v28
	s_delay_alu instid0(VALU_DEP_1) | instskip(NEXT) | instid1(VALU_DEP_1)
	v_add_f32_e32 v19, v19, v25
	v_add_f32_e32 v19, v21, v19
	s_delay_alu instid0(VALU_DEP_1) | instskip(NEXT) | instid1(VALU_DEP_1)
	v_add_f32_e32 v21, v29, v19
	v_mul_f32_e32 v23, v20, v21
	s_delay_alu instid0(VALU_DEP_1) | instskip(NEXT) | instid1(VALU_DEP_1)
	v_dual_sub_f32 v28, v29, v21 :: v_dual_mul_f32 v25, v24, v23
	v_add_f32_e32 v19, v19, v28
	s_delay_alu instid0(VALU_DEP_2) | instskip(NEXT) | instid1(VALU_DEP_1)
	v_fma_f32 v24, v23, v24, -v25
	v_fmac_f32_e32 v24, v23, v22
	s_delay_alu instid0(VALU_DEP_1) | instskip(NEXT) | instid1(VALU_DEP_1)
	v_add_f32_e32 v22, v25, v24
	v_sub_f32_e32 v27, v21, v22
	v_sub_f32_e32 v25, v22, v25
	s_delay_alu instid0(VALU_DEP_2) | instskip(NEXT) | instid1(VALU_DEP_1)
	v_sub_f32_e32 v21, v21, v27
	v_sub_f32_e32 v21, v21, v22
	s_delay_alu instid0(VALU_DEP_3) | instskip(SKIP_1) | instid1(VALU_DEP_3)
	v_sub_f32_e32 v22, v25, v24
	v_max_f32_e64 v24, |v4|, |v4|
	v_add_f32_e32 v19, v19, v21
	v_add_f32_e32 v21, v26, v23
	s_delay_alu instid0(VALU_DEP_1) | instskip(NEXT) | instid1(VALU_DEP_1)
	v_dual_add_f32 v19, v22, v19 :: v_dual_sub_f32 v22, v21, v26
	v_add_f32_e32 v19, v27, v19
	s_delay_alu instid0(VALU_DEP_2) | instskip(SKIP_1) | instid1(VALU_DEP_3)
	v_sub_f32_e32 v22, v23, v22
	v_mul_f32_e32 v27, 0x3f317218, v18
	v_mul_f32_e32 v19, v20, v19
	s_delay_alu instid0(VALU_DEP_2) | instskip(NEXT) | instid1(VALU_DEP_1)
	v_fma_f32 v28, 0x3f317218, v18, -v27
	v_dual_add_f32 v19, v22, v19 :: v_dual_fmac_f32 v28, 0xb102e308, v18
	s_delay_alu instid0(VALU_DEP_1) | instskip(NEXT) | instid1(VALU_DEP_1)
	v_add_f32_e32 v20, v21, v19
	v_mul_f32_e32 v22, v20, v20
	v_ldexp_f32 v26, v20, 1
	s_delay_alu instid0(VALU_DEP_2) | instskip(SKIP_2) | instid1(VALU_DEP_3)
	v_fmaak_f32 v23, s14, v22, 0x3ecc95a3
	v_mul_f32_e32 v25, v20, v22
	v_sub_f32_e32 v20, v20, v21
	v_fmaak_f32 v22, v22, v23, 0x3f2aaada
	v_max_f32_e64 v23, |v3|, |v3|
	s_delay_alu instid0(VALU_DEP_2) | instskip(NEXT) | instid1(VALU_DEP_2)
	v_dual_sub_f32 v19, v19, v20 :: v_dual_mul_f32 v22, v25, v22
	v_max_f32_e32 v25, v23, v24
	v_min_f32_e32 v23, v23, v24
	s_delay_alu instid0(VALU_DEP_3) | instskip(NEXT) | instid1(VALU_DEP_4)
	v_ldexp_f32 v19, v19, 1
	v_add_f32_e32 v21, v26, v22
	s_delay_alu instid0(VALU_DEP_4) | instskip(SKIP_1) | instid1(VALU_DEP_3)
	v_frexp_mant_f32_e32 v24, v25
	v_frexp_exp_i32_f32_e32 v25, v25
	v_sub_f32_e32 v20, v21, v26
	s_delay_alu instid0(VALU_DEP_3) | instskip(SKIP_1) | instid1(VALU_DEP_2)
	v_rcp_f32_e32 v24, v24
	v_frexp_exp_i32_f32_e32 v26, v23
	v_sub_f32_e32 v20, v22, v20
	v_frexp_mant_f32_e32 v22, v23
	s_delay_alu instid0(VALU_DEP_3) | instskip(NEXT) | instid1(VALU_DEP_3)
	v_sub_nc_u32_e32 v23, v26, v25
	v_add_f32_e32 v18, v19, v20
	s_waitcnt_depctr 0xfff
	v_mul_f32_e32 v19, v22, v24
	v_add_f32_e32 v20, v27, v28
	v_add_f32_e32 v22, v21, v18
	s_delay_alu instid0(VALU_DEP_3) | instskip(NEXT) | instid1(VALU_DEP_3)
	v_ldexp_f32 v19, v19, v23
	v_sub_f32_e32 v27, v20, v27
	s_delay_alu instid0(VALU_DEP_2) | instskip(SKIP_1) | instid1(VALU_DEP_3)
	v_dual_add_f32 v23, v20, v22 :: v_dual_mul_f32 v24, v19, v19
	v_sub_f32_e32 v21, v22, v21
	v_sub_f32_e32 v27, v28, v27
	s_delay_alu instid0(VALU_DEP_3) | instskip(NEXT) | instid1(VALU_DEP_4)
	v_sub_f32_e32 v25, v23, v20
	v_fmaak_f32 v26, s16, v24, 0xbc7a590c
	s_delay_alu instid0(VALU_DEP_4) | instskip(NEXT) | instid1(VALU_DEP_2)
	v_sub_f32_e32 v18, v18, v21
	v_dual_sub_f32 v29, v23, v25 :: v_dual_fmaak_f32 v26, v24, v26, 0x3d29fb3f
	v_sub_f32_e32 v21, v22, v25
	s_delay_alu instid0(VALU_DEP_2) | instskip(NEXT) | instid1(VALU_DEP_3)
	v_dual_add_f32 v25, v27, v18 :: v_dual_sub_f32 v20, v20, v29
	v_fmaak_f32 v22, v24, v26, 0xbd97d4d7
	s_delay_alu instid0(VALU_DEP_1) | instskip(NEXT) | instid1(VALU_DEP_3)
	v_dual_add_f32 v20, v21, v20 :: v_dual_fmaak_f32 v21, v24, v22, 0x3dd931b2
	v_sub_f32_e32 v22, v25, v27
	s_delay_alu instid0(VALU_DEP_2) | instskip(NEXT) | instid1(VALU_DEP_2)
	v_dual_add_f32 v20, v25, v20 :: v_dual_fmaak_f32 v21, v24, v21, 0xbe1160e6
	v_sub_f32_e32 v25, v25, v22
	v_sub_f32_e32 v18, v18, v22
	s_delay_alu instid0(VALU_DEP_3) | instskip(NEXT) | instid1(VALU_DEP_1)
	v_dual_add_f32 v26, v23, v20 :: v_dual_fmaak_f32 v21, v24, v21, 0x3e4cb8bf
	v_dual_sub_f32 v22, v27, v25 :: v_dual_sub_f32 v23, v26, v23
	s_delay_alu instid0(VALU_DEP_1) | instskip(NEXT) | instid1(VALU_DEP_2)
	v_dual_fmaak_f32 v21, v24, v21, 0xbeaaaa62 :: v_dual_add_f32 v18, v18, v22
	v_sub_f32_e32 v20, v20, v23
	s_delay_alu instid0(VALU_DEP_1) | instskip(NEXT) | instid1(VALU_DEP_1)
	v_dual_mul_f32 v21, v24, v21 :: v_dual_add_f32 v18, v18, v20
	v_dual_fmac_f32 v19, v19, v21 :: v_dual_add_f32 v18, v26, v18
	s_delay_alu instid0(VALU_DEP_1) | instskip(NEXT) | instid1(VALU_DEP_2)
	v_sub_f32_e32 v20, 0x3fc90fdb, v19
	v_cndmask_b32_e32 v18, v18, v1, vcc_lo
	v_cmp_gt_i32_e32 vcc_lo, 0, v3
	s_delay_alu instid0(VALU_DEP_3) | instskip(SKIP_2) | instid1(VALU_DEP_3)
	v_cndmask_b32_e64 v19, v19, v20, s2
	v_cndmask_b32_e64 v20, 0, 0x40490fdb, vcc_lo
	v_cmp_ngt_f32_e32 vcc_lo, -1.0, v1
	v_sub_f32_e32 v21, 0x40490fdb, v19
	v_cndmask_b32_e32 v18, 0x7fc00000, v18, vcc_lo
	v_cmp_gt_f32_e32 vcc_lo, 0, v3
	s_delay_alu instid0(VALU_DEP_2) | instskip(NEXT) | instid1(VALU_DEP_4)
	v_cndmask_b32_e64 v18, 0xff800000, v18, s3
	v_cndmask_b32_e32 v19, v19, v21, vcc_lo
	v_cndmask_b32_e32 v21, 0x3f490fdb, v13, vcc_lo
	v_cmp_gt_f32_e64 vcc_lo, 0x33800000, |v1|
	v_cmp_class_f32_e64 s3, v4, 0x204
	v_cndmask_b32_e32 v1, v18, v1, vcc_lo
	v_cmp_eq_f32_e32 vcc_lo, 0, v4
	s_delay_alu instid0(VALU_DEP_2) | instskip(NEXT) | instid1(VALU_DEP_4)
	v_dual_mul_f32 v1, 0.5, v1 :: v_dual_cndmask_b32 v18, v19, v20
	s_and_b32 vcc_lo, s4, s3
	s_delay_alu instid0(VALU_DEP_1)
	v_cndmask_b32_e32 v18, v18, v21, vcc_lo
.LBB181_120:                            ;   in Loop: Header=BB181_5 Depth=1
	s_or_b32 exec_lo, exec_lo, s25
.LBB181_121:                            ;   in Loop: Header=BB181_5 Depth=1
	s_delay_alu instid0(SALU_CYCLE_1)
	s_or_b32 exec_lo, exec_lo, s24
.LBB181_122:                            ;   in Loop: Header=BB181_5 Depth=1
	s_and_not1_saveexec_b32 s4, s23
	s_cbranch_execz .LBB181_124
; %bb.123:                              ;   in Loop: Header=BB181_5 Depth=1
	v_max_f32_e64 v1, |v4|, |v4|
	v_max_f32_e64 v20, |v3|, |v3|
	v_cmp_gt_i32_e64 s3, 0, v3
	v_cmp_class_f32_e64 s5, v3, 0x204
	v_cmp_class_f32_e64 s6, v4, 0x204
	s_delay_alu instid0(VALU_DEP_4) | instskip(SKIP_1) | instid1(VALU_DEP_2)
	v_max_f32_e32 v21, v20, v1
	v_min_f32_e32 v1, v20, v1
	v_cvt_f64_f32_e32 v[18:19], v21
	v_frexp_exp_i32_f32_e32 v20, v21
	s_delay_alu instid0(VALU_DEP_3) | instskip(SKIP_1) | instid1(VALU_DEP_2)
	v_frexp_exp_i32_f32_e32 v22, v1
	v_frexp_mant_f32_e32 v1, v1
	v_sub_nc_u32_e32 v20, v22, v20
	v_frexp_exp_i32_f64_e32 v18, v[18:19]
	v_frexp_mant_f32_e32 v19, v21
	s_delay_alu instid0(VALU_DEP_1) | instskip(SKIP_2) | instid1(VALU_DEP_1)
	v_rcp_f32_e32 v19, v19
	s_waitcnt_depctr 0xfff
	v_mul_f32_e32 v1, v1, v19
	v_ldexp_f32 v1, v1, v20
	s_delay_alu instid0(VALU_DEP_1) | instskip(SKIP_1) | instid1(VALU_DEP_1)
	v_mul_f32_e32 v22, v1, v1
	v_sub_nc_u32_e32 v23, 0, v18
	v_ldexp_f32 v19, |v4|, v23
	v_ldexp_f32 v20, |v3|, v23
	s_delay_alu instid0(VALU_DEP_2) | instskip(NEXT) | instid1(VALU_DEP_1)
	v_mul_f32_e32 v19, v19, v19
	v_dual_fmac_f32 v19, v20, v20 :: v_dual_fmaak_f32 v20, s16, v22, 0xbc7a590c
	v_cmp_neq_f32_e32 vcc_lo, 0x7f800000, v21
	s_delay_alu instid0(VALU_DEP_2) | instskip(NEXT) | instid1(VALU_DEP_2)
	v_sqrt_f32_e32 v19, v19
	v_fmaak_f32 v20, v22, v20, 0x3d29fb3f
	s_delay_alu instid0(VALU_DEP_1) | instskip(SKIP_3) | instid1(VALU_DEP_2)
	v_fmaak_f32 v20, v22, v20, 0xbd97d4d7
	s_waitcnt_depctr 0xfff
	v_ldexp_f32 v18, v19, v18
	v_fmaak_f32 v19, v22, v20, 0x3dd931b2
	v_cndmask_b32_e32 v18, 0x7f800000, v18, vcc_lo
	s_delay_alu instid0(VALU_DEP_2) | instskip(NEXT) | instid1(VALU_DEP_2)
	v_fmaak_f32 v19, v22, v19, 0xbe1160e6
	v_cmp_gt_f32_e32 vcc_lo, 0x800000, v18
	s_delay_alu instid0(VALU_DEP_2) | instskip(SKIP_1) | instid1(VALU_DEP_2)
	v_fmaak_f32 v19, v22, v19, 0x3e4cb8bf
	v_cndmask_b32_e64 v20, 1.0, 0x4f800000, vcc_lo
	v_fmaak_f32 v19, v22, v19, 0xbeaaaa62
	s_delay_alu instid0(VALU_DEP_1) | instskip(NEXT) | instid1(VALU_DEP_1)
	v_mul_f32_e32 v19, v22, v19
	v_dual_mul_f32 v18, v18, v20 :: v_dual_fmac_f32 v1, v1, v19
	s_delay_alu instid0(VALU_DEP_1) | instskip(NEXT) | instid1(VALU_DEP_1)
	v_log_f32_e32 v18, v18
	v_sub_f32_e32 v20, 0x3fc90fdb, v1
	s_delay_alu instid0(VALU_DEP_1)
	v_cndmask_b32_e64 v1, v1, v20, s2
	s_waitcnt_depctr 0xfff
	v_mul_f32_e32 v19, 0x3f317217, v18
	v_cndmask_b32_e64 v20, 0, 0x40490fdb, s3
	v_cmp_gt_f32_e64 s3, 0, v3
	v_sub_f32_e32 v22, 0x40490fdb, v1
	s_delay_alu instid0(VALU_DEP_4) | instskip(NEXT) | instid1(VALU_DEP_2)
	v_fma_f32 v21, 0x3f317217, v18, -v19
	v_cndmask_b32_e64 v1, v1, v22, s3
	v_cndmask_b32_e64 v22, 0, 0x41b17218, vcc_lo
	v_cmp_gt_f32_e64 vcc_lo, 0x7f800000, |v18|
	s_delay_alu instid0(VALU_DEP_4) | instskip(NEXT) | instid1(VALU_DEP_1)
	v_fmac_f32_e32 v21, 0x3377d1cf, v18
	v_add_f32_e32 v19, v19, v21
	v_cndmask_b32_e64 v21, 0x3f490fdb, v13, s3
	s_delay_alu instid0(VALU_DEP_2) | instskip(SKIP_3) | instid1(VALU_DEP_1)
	v_cndmask_b32_e32 v18, v18, v19, vcc_lo
	v_cmp_eq_f32_e32 vcc_lo, 0, v4
	v_cndmask_b32_e32 v19, v1, v20, vcc_lo
	s_and_b32 vcc_lo, s5, s6
	v_dual_sub_f32 v1, v18, v22 :: v_dual_cndmask_b32 v18, v19, v21
.LBB181_124:                            ;   in Loop: Header=BB181_5 Depth=1
	s_or_b32 exec_lo, exec_lo, s4
                                        ; implicit-def: $vgpr19
.LBB181_125:                            ;   in Loop: Header=BB181_5 Depth=1
	s_and_not1_saveexec_b32 s4, s22
	s_cbranch_execz .LBB181_131
; %bb.126:                              ;   in Loop: Header=BB181_5 Depth=1
                                        ; implicit-def: $vgpr1
                                        ; implicit-def: $vgpr18
	s_mov_b32 s3, exec_lo
	v_cmpx_ngt_f32_e32 0x1fec1e4a, v19
	s_xor_b32 s5, exec_lo, s3
	s_cbranch_execz .LBB181_128
; %bb.127:                              ;   in Loop: Header=BB181_5 Depth=1
	v_mul_f32_e32 v1, v19, v19
	v_cmp_gt_f32_e64 s3, 0, v3
	v_cmp_class_f32_e64 s6, v3, 0x204
	v_cmp_class_f32_e64 s8, v4, 0x204
	s_delay_alu instid0(VALU_DEP_4) | instskip(NEXT) | instid1(VALU_DEP_1)
	v_add_f32_e32 v20, 1.0, v1
	v_cvt_f64_f32_e32 v[18:19], v20
	s_delay_alu instid0(VALU_DEP_1) | instskip(SKIP_1) | instid1(VALU_DEP_1)
	v_frexp_exp_i32_f64_e32 v18, v[18:19]
	v_frexp_mant_f32_e32 v19, v20
	v_cmp_gt_f32_e32 vcc_lo, 0x3f2aaaab, v19
	v_add_f32_e32 v19, -1.0, v20
	s_delay_alu instid0(VALU_DEP_1) | instskip(NEXT) | instid1(VALU_DEP_1)
	v_sub_f32_e32 v22, v19, v20
	v_dual_add_f32 v22, 1.0, v22 :: v_dual_sub_f32 v19, v1, v19
	v_cmp_gt_f32_e64 s7, 0x33800000, |v1|
	s_delay_alu instid0(VALU_DEP_2) | instskip(SKIP_2) | instid1(VALU_DEP_2)
	v_add_f32_e32 v19, v19, v22
	v_subrev_co_ci_u32_e32 v18, vcc_lo, 0, v18, vcc_lo
	v_cmp_gt_i32_e32 vcc_lo, 0, v3
	v_sub_nc_u32_e32 v21, 0, v18
	v_cvt_f32_i32_e32 v18, v18
	s_delay_alu instid0(VALU_DEP_2) | instskip(SKIP_1) | instid1(VALU_DEP_2)
	v_ldexp_f32 v20, v20, v21
	v_ldexp_f32 v19, v19, v21
	v_add_f32_e32 v23, 1.0, v20
	s_delay_alu instid0(VALU_DEP_1) | instskip(NEXT) | instid1(VALU_DEP_1)
	v_add_f32_e32 v22, -1.0, v23
	v_dual_sub_f32 v22, v20, v22 :: v_dual_add_f32 v21, -1.0, v20
	s_delay_alu instid0(VALU_DEP_1) | instskip(NEXT) | instid1(VALU_DEP_2)
	v_add_f32_e32 v22, v19, v22
	v_add_f32_e32 v24, 1.0, v21
	s_delay_alu instid0(VALU_DEP_1) | instskip(NEXT) | instid1(VALU_DEP_1)
	v_sub_f32_e32 v20, v20, v24
	v_add_f32_e32 v19, v19, v20
	s_delay_alu instid0(VALU_DEP_1) | instskip(NEXT) | instid1(VALU_DEP_1)
	v_dual_add_f32 v25, v21, v19 :: v_dual_add_f32 v24, v23, v22
	v_rcp_f32_e32 v20, v24
	v_sub_f32_e32 v23, v23, v24
	s_delay_alu instid0(VALU_DEP_1) | instskip(SKIP_2) | instid1(VALU_DEP_1)
	v_dual_add_f32 v22, v22, v23 :: v_dual_sub_f32 v21, v21, v25
	s_waitcnt_depctr 0xfff
	v_dual_mul_f32 v26, v25, v20 :: v_dual_add_f32 v19, v19, v21
	v_mul_f32_e32 v27, v24, v26
	s_delay_alu instid0(VALU_DEP_1) | instskip(NEXT) | instid1(VALU_DEP_1)
	v_fma_f32 v23, v26, v24, -v27
	v_fmac_f32_e32 v23, v26, v22
	s_delay_alu instid0(VALU_DEP_1) | instskip(NEXT) | instid1(VALU_DEP_1)
	v_add_f32_e32 v28, v27, v23
	v_sub_f32_e32 v29, v25, v28
	s_delay_alu instid0(VALU_DEP_1) | instskip(SKIP_1) | instid1(VALU_DEP_2)
	v_sub_f32_e32 v25, v25, v29
	v_sub_f32_e32 v21, v28, v27
	;; [unrolled: 1-line block ×3, first 2 shown]
	s_delay_alu instid0(VALU_DEP_2) | instskip(NEXT) | instid1(VALU_DEP_2)
	v_sub_f32_e32 v21, v21, v23
	v_add_f32_e32 v19, v19, v25
	s_delay_alu instid0(VALU_DEP_1) | instskip(NEXT) | instid1(VALU_DEP_1)
	v_add_f32_e32 v19, v21, v19
	v_add_f32_e32 v21, v29, v19
	s_delay_alu instid0(VALU_DEP_1) | instskip(NEXT) | instid1(VALU_DEP_1)
	v_mul_f32_e32 v23, v20, v21
	v_dual_sub_f32 v28, v29, v21 :: v_dual_mul_f32 v25, v24, v23
	s_delay_alu instid0(VALU_DEP_1) | instskip(NEXT) | instid1(VALU_DEP_2)
	v_add_f32_e32 v19, v19, v28
	v_fma_f32 v24, v23, v24, -v25
	s_delay_alu instid0(VALU_DEP_1) | instskip(NEXT) | instid1(VALU_DEP_1)
	v_fmac_f32_e32 v24, v23, v22
	v_add_f32_e32 v22, v25, v24
	s_delay_alu instid0(VALU_DEP_1) | instskip(SKIP_1) | instid1(VALU_DEP_2)
	v_sub_f32_e32 v27, v21, v22
	v_sub_f32_e32 v25, v22, v25
	;; [unrolled: 1-line block ×3, first 2 shown]
	s_delay_alu instid0(VALU_DEP_1) | instskip(NEXT) | instid1(VALU_DEP_1)
	v_sub_f32_e32 v21, v21, v22
	v_dual_sub_f32 v22, v25, v24 :: v_dual_add_f32 v19, v19, v21
	v_add_f32_e32 v21, v26, v23
	s_delay_alu instid0(VALU_DEP_1) | instskip(NEXT) | instid1(VALU_DEP_1)
	v_dual_add_f32 v19, v22, v19 :: v_dual_sub_f32 v22, v21, v26
	v_add_f32_e32 v19, v27, v19
	s_delay_alu instid0(VALU_DEP_2) | instskip(SKIP_1) | instid1(VALU_DEP_3)
	v_sub_f32_e32 v22, v23, v22
	v_max_f32_e64 v23, |v3|, |v3|
	v_mul_f32_e32 v19, v20, v19
	v_max_f32_e64 v20, |v4|, |v4|
	s_delay_alu instid0(VALU_DEP_2) | instskip(NEXT) | instid1(VALU_DEP_2)
	v_add_f32_e32 v19, v22, v19
	v_max_f32_e32 v25, v23, v20
	v_min_f32_e32 v20, v23, v20
	s_delay_alu instid0(VALU_DEP_3) | instskip(NEXT) | instid1(VALU_DEP_3)
	v_add_f32_e32 v22, v21, v19
	v_frexp_mant_f32_e32 v27, v25
	v_frexp_exp_i32_f32_e32 v23, v25
	s_delay_alu instid0(VALU_DEP_3) | instskip(SKIP_1) | instid1(VALU_DEP_2)
	v_mul_f32_e32 v24, v22, v22
	v_ldexp_f32 v28, v22, 1
	v_dual_sub_f32 v21, v22, v21 :: v_dual_fmaak_f32 v26, s14, v24, 0x3ecc95a3
	v_mul_f32_e32 v25, v22, v24
	s_delay_alu instid0(VALU_DEP_2) | instskip(SKIP_3) | instid1(VALU_DEP_3)
	v_dual_sub_f32 v19, v19, v21 :: v_dual_fmaak_f32 v24, v24, v26, 0x3f2aaada
	v_rcp_f32_e32 v26, v27
	v_frexp_exp_i32_f32_e32 v27, v20
	v_frexp_mant_f32_e32 v20, v20
	v_ldexp_f32 v19, v19, 1
	v_dual_mul_f32 v24, v25, v24 :: v_dual_mul_f32 v25, 0x3f317218, v18
	s_delay_alu instid0(VALU_DEP_4) | instskip(NEXT) | instid1(VALU_DEP_2)
	v_sub_nc_u32_e32 v23, v27, v23
	v_add_f32_e32 v22, v28, v24
	s_delay_alu instid0(TRANS32_DEP_1) | instid1(VALU_DEP_1)
	v_dual_mul_f32 v20, v20, v26 :: v_dual_sub_f32 v21, v22, v28
	s_delay_alu instid0(VALU_DEP_1) | instskip(SKIP_1) | instid1(VALU_DEP_3)
	v_ldexp_f32 v20, v20, v23
	v_fma_f32 v23, 0x3f317218, v18, -v25
	v_sub_f32_e32 v21, v24, v21
	s_delay_alu instid0(VALU_DEP_2) | instskip(NEXT) | instid1(VALU_DEP_1)
	v_dual_mul_f32 v24, v20, v20 :: v_dual_fmac_f32 v23, 0xb102e308, v18
	v_dual_add_f32 v18, v19, v21 :: v_dual_fmaak_f32 v19, s16, v24, 0xbc7a590c
	s_delay_alu instid0(VALU_DEP_1) | instskip(NEXT) | instid1(VALU_DEP_2)
	v_dual_add_f32 v21, v25, v23 :: v_dual_add_f32 v26, v22, v18
	v_fmaak_f32 v19, v24, v19, 0x3d29fb3f
	s_delay_alu instid0(VALU_DEP_2) | instskip(NEXT) | instid1(VALU_DEP_3)
	v_sub_f32_e32 v25, v21, v25
	v_add_f32_e32 v27, v21, v26
	s_delay_alu instid0(VALU_DEP_3) | instskip(NEXT) | instid1(VALU_DEP_3)
	v_dual_fmaak_f32 v19, v24, v19, 0xbd97d4d7 :: v_dual_sub_f32 v22, v26, v22
	v_sub_f32_e32 v23, v23, v25
	s_delay_alu instid0(VALU_DEP_2) | instskip(NEXT) | instid1(VALU_DEP_1)
	v_dual_sub_f32 v28, v27, v21 :: v_dual_fmaak_f32 v19, v24, v19, 0x3dd931b2
	v_dual_sub_f32 v18, v18, v22 :: v_dual_sub_f32 v29, v27, v28
	s_delay_alu instid0(VALU_DEP_2) | instskip(NEXT) | instid1(VALU_DEP_2)
	v_dual_fmaak_f32 v19, v24, v19, 0xbe1160e6 :: v_dual_sub_f32 v22, v26, v28
	v_add_f32_e32 v25, v23, v18
	s_delay_alu instid0(VALU_DEP_3) | instskip(NEXT) | instid1(VALU_DEP_3)
	v_sub_f32_e32 v21, v21, v29
	v_fmaak_f32 v19, v24, v19, 0x3e4cb8bf
	s_delay_alu instid0(VALU_DEP_2) | instskip(NEXT) | instid1(VALU_DEP_2)
	v_add_f32_e32 v21, v22, v21
	v_fmaak_f32 v19, v24, v19, 0xbeaaaa62
	v_sub_f32_e32 v22, v25, v23
	s_delay_alu instid0(VALU_DEP_3) | instskip(NEXT) | instid1(VALU_DEP_2)
	v_add_f32_e32 v21, v25, v21
	v_dual_mul_f32 v19, v24, v19 :: v_dual_sub_f32 v24, v25, v22
	s_delay_alu instid0(VALU_DEP_2) | instskip(NEXT) | instid1(VALU_DEP_2)
	v_dual_sub_f32 v18, v18, v22 :: v_dual_add_f32 v25, v27, v21
	v_dual_fmac_f32 v20, v20, v19 :: v_dual_sub_f32 v19, v23, v24
	s_delay_alu instid0(VALU_DEP_1) | instskip(NEXT) | instid1(VALU_DEP_1)
	v_dual_sub_f32 v22, v25, v27 :: v_dual_sub_f32 v23, 0x3fc90fdb, v20
	v_dual_add_f32 v18, v18, v19 :: v_dual_sub_f32 v19, v21, v22
	s_delay_alu instid0(VALU_DEP_2) | instskip(SKIP_2) | instid1(VALU_DEP_3)
	v_cndmask_b32_e64 v20, v20, v23, s2
	v_cndmask_b32_e64 v21, 0, 0x40490fdb, vcc_lo
	v_cmp_eq_f32_e32 vcc_lo, 0x7f800000, v1
	v_dual_add_f32 v18, v18, v19 :: v_dual_sub_f32 v19, 0x40490fdb, v20
	s_or_b32 vcc_lo, vcc_lo, s7
	s_delay_alu instid0(VALU_DEP_1) | instskip(NEXT) | instid1(VALU_DEP_2)
	v_add_f32_e32 v18, v25, v18
	v_cndmask_b32_e64 v19, v20, v19, s3
	v_cndmask_b32_e64 v20, 0x3f490fdb, v13, s3
	s_delay_alu instid0(VALU_DEP_3) | instskip(SKIP_1) | instid1(VALU_DEP_2)
	v_cndmask_b32_e32 v1, v18, v1, vcc_lo
	v_cmp_eq_f32_e32 vcc_lo, 0, v4
	v_mul_f32_e32 v1, 0.5, v1
	v_cndmask_b32_e32 v18, v19, v21, vcc_lo
	s_and_b32 vcc_lo, s6, s8
                                        ; implicit-def: $vgpr19
	s_delay_alu instid0(VALU_DEP_1)
	v_cndmask_b32_e32 v18, v18, v20, vcc_lo
.LBB181_128:                            ;   in Loop: Header=BB181_5 Depth=1
	s_and_not1_saveexec_b32 s5, s5
	s_cbranch_execz .LBB181_130
; %bb.129:                              ;   in Loop: Header=BB181_5 Depth=1
	v_max_f32_e64 v1, |v4|, |v4|
	v_max_f32_e64 v18, |v3|, |v3|
	v_cmp_gt_i32_e32 vcc_lo, 0, v3
	v_cmp_eq_f32_e64 s3, 0, v4
	v_cmp_class_f32_e64 s6, v3, 0x204
	v_cmp_class_f32_e64 s7, v4, 0x204
	v_max_f32_e32 v20, v18, v1
	v_min_f32_e32 v1, v18, v1
	s_delay_alu instid0(VALU_DEP_2) | instskip(NEXT) | instid1(VALU_DEP_1)
	v_frexp_mant_f32_e32 v21, v20
	v_rcp_f32_e32 v18, v21
	s_delay_alu instid0(VALU_DEP_2) | instskip(SKIP_4) | instid1(VALU_DEP_1)
	v_frexp_exp_i32_f32_e32 v21, v1
	v_frexp_mant_f32_e32 v1, v1
	s_waitcnt_depctr 0xfff
	v_mul_f32_e32 v1, v1, v18
	v_frexp_exp_i32_f32_e32 v20, v20
	v_sub_nc_u32_e32 v20, v21, v20
	s_delay_alu instid0(VALU_DEP_1) | instskip(NEXT) | instid1(VALU_DEP_1)
	v_ldexp_f32 v1, v1, v20
	v_mul_f32_e32 v18, v1, v1
	s_delay_alu instid0(VALU_DEP_1) | instskip(NEXT) | instid1(VALU_DEP_1)
	v_fmaak_f32 v20, s16, v18, 0xbc7a590c
	v_fmaak_f32 v20, v18, v20, 0x3d29fb3f
	s_delay_alu instid0(VALU_DEP_1) | instskip(NEXT) | instid1(VALU_DEP_1)
	v_fmaak_f32 v20, v18, v20, 0xbd97d4d7
	v_fmaak_f32 v20, v18, v20, 0x3dd931b2
	;; [unrolled: 3-line block ×3, first 2 shown]
	s_delay_alu instid0(VALU_DEP_1) | instskip(NEXT) | instid1(VALU_DEP_1)
	v_fmaak_f32 v20, v18, v20, 0xbeaaaa62
	v_mul_f32_e32 v18, v18, v20
	v_cndmask_b32_e64 v20, 0, 0x40490fdb, vcc_lo
	v_cmp_gt_f32_e32 vcc_lo, 0, v3
	v_cndmask_b32_e32 v21, 0x3f490fdb, v13, vcc_lo
	s_delay_alu instid0(VALU_DEP_4) | instskip(NEXT) | instid1(VALU_DEP_1)
	v_fmac_f32_e32 v1, v1, v18
	v_sub_f32_e32 v18, 0x3fc90fdb, v1
	s_delay_alu instid0(VALU_DEP_1) | instskip(NEXT) | instid1(VALU_DEP_1)
	v_cndmask_b32_e64 v1, v1, v18, s2
	v_sub_f32_e32 v18, 0x40490fdb, v1
	s_delay_alu instid0(VALU_DEP_1) | instskip(SKIP_1) | instid1(VALU_DEP_1)
	v_dual_cndmask_b32 v1, v1, v18 :: v_dual_mul_f32 v18, 0.5, v19
	s_and_b32 vcc_lo, s6, s7
	v_cndmask_b32_e64 v20, v1, v20, s3
	s_delay_alu instid0(VALU_DEP_1)
	v_dual_mul_f32 v1, v19, v18 :: v_dual_cndmask_b32 v18, v20, v21
.LBB181_130:                            ;   in Loop: Header=BB181_5 Depth=1
	s_or_b32 exec_lo, exec_lo, s5
.LBB181_131:                            ;   in Loop: Header=BB181_5 Depth=1
	s_delay_alu instid0(SALU_CYCLE_1)
	s_or_b32 exec_lo, exec_lo, s4
.LBB181_132:                            ;   in Loop: Header=BB181_5 Depth=1
	s_and_not1_saveexec_b32 s4, s21
	s_cbranch_execz .LBB181_134
; %bb.133:                              ;   in Loop: Header=BB181_5 Depth=1
	v_div_scale_f32 v1, null, 0x402df854, 0x402df854, v3
	v_div_scale_f32 v18, null, 0x402df854, 0x402df854, v4
	v_div_scale_f32 v23, vcc_lo, v3, 0x402df854, v3
	s_delay_alu instid0(VALU_DEP_3) | instskip(NEXT) | instid1(VALU_DEP_2)
	v_rcp_f32_e32 v19, v1
	v_rcp_f32_e32 v20, v18
	v_cmp_class_f32_e64 s5, v4, 0x204
	s_waitcnt_depctr 0xfff
	v_fma_f32 v21, -v1, v19, 1.0
	v_fma_f32 v22, -v18, v20, 1.0
	s_delay_alu instid0(VALU_DEP_1) | instskip(SKIP_1) | instid1(VALU_DEP_2)
	v_dual_fmac_f32 v19, v21, v19 :: v_dual_fmac_f32 v20, v22, v20
	v_div_scale_f32 v21, s3, v4, 0x402df854, v4
	v_mul_f32_e32 v22, v23, v19
	s_delay_alu instid0(VALU_DEP_1) | instskip(NEXT) | instid1(VALU_DEP_1)
	v_fma_f32 v25, -v1, v22, v23
	v_fmac_f32_e32 v22, v25, v19
	s_delay_alu instid0(VALU_DEP_1) | instskip(NEXT) | instid1(VALU_DEP_1)
	v_fma_f32 v1, -v1, v22, v23
	v_div_fmas_f32 v1, v1, v19, v22
	v_max_f32_e64 v22, |v3|, |v3|
	v_mul_f32_e32 v24, v21, v20
	s_mov_b32 vcc_lo, s3
	v_cmp_class_f32_e64 s3, v3, 0x204
	v_div_fixup_f32 v1, v1, 0x402df854, v3
	s_delay_alu instid0(VALU_DEP_3) | instskip(NEXT) | instid1(VALU_DEP_1)
	v_fma_f32 v26, -v18, v24, v21
	v_fmac_f32_e32 v24, v26, v20
	s_delay_alu instid0(VALU_DEP_1) | instskip(NEXT) | instid1(VALU_DEP_1)
	v_fma_f32 v18, -v18, v24, v21
	v_div_fmas_f32 v18, v18, v20, v24
	s_delay_alu instid0(VALU_DEP_1) | instskip(NEXT) | instid1(VALU_DEP_1)
	v_div_fixup_f32 v20, v18, 0x402df854, v4
	v_max_f32_e64 v21, |v1|, |v20|
	s_delay_alu instid0(VALU_DEP_1) | instskip(SKIP_1) | instid1(VALU_DEP_2)
	v_cvt_f64_f32_e32 v[18:19], v21
	v_cmp_neq_f32_e32 vcc_lo, 0x7f800000, v21
	v_frexp_exp_i32_f64_e32 v18, v[18:19]
	v_max_f32_e64 v19, |v4|, |v4|
	s_delay_alu instid0(VALU_DEP_1) | instskip(SKIP_1) | instid1(VALU_DEP_2)
	v_max_f32_e32 v23, v22, v19
	v_min_f32_e32 v19, v22, v19
	v_frexp_mant_f32_e32 v24, v23
	v_frexp_exp_i32_f32_e32 v23, v23
	s_delay_alu instid0(VALU_DEP_2) | instskip(SKIP_1) | instid1(VALU_DEP_1)
	v_rcp_f32_e32 v22, v24
	v_sub_nc_u32_e32 v24, 0, v18
	v_ldexp_f32 v20, |v20|, v24
	v_ldexp_f32 v1, |v1|, v24
	s_delay_alu instid0(VALU_DEP_2) | instskip(SKIP_2) | instid1(VALU_DEP_2)
	v_mul_f32_e32 v20, v20, v20
	v_frexp_exp_i32_f32_e32 v25, v19
	v_frexp_mant_f32_e32 v19, v19
	v_sub_nc_u32_e32 v23, v25, v23
	s_delay_alu instid0(TRANS32_DEP_1) | instid1(VALU_DEP_2)
	v_mul_f32_e32 v19, v19, v22
	s_delay_alu instid0(VALU_DEP_1) | instskip(NEXT) | instid1(VALU_DEP_1)
	v_ldexp_f32 v19, v19, v23
	v_dual_fmac_f32 v20, v1, v1 :: v_dual_mul_f32 v1, v19, v19
	s_delay_alu instid0(VALU_DEP_1) | instskip(NEXT) | instid1(VALU_DEP_1)
	v_sqrt_f32_e32 v20, v20
	v_fmaak_f32 v22, s16, v1, 0xbc7a590c
	s_delay_alu instid0(VALU_DEP_1) | instskip(SKIP_2) | instid1(VALU_DEP_1)
	v_fmaak_f32 v22, v1, v22, 0x3d29fb3f
	s_waitcnt_depctr 0xfff
	v_ldexp_f32 v18, v20, v18
	v_cndmask_b32_e32 v18, 0x7f800000, v18, vcc_lo
	s_delay_alu instid0(VALU_DEP_1) | instskip(SKIP_1) | instid1(VALU_DEP_1)
	v_cmp_gt_f32_e32 vcc_lo, 0x800000, v18
	v_cndmask_b32_e64 v21, 1.0, 0x4f800000, vcc_lo
	v_mul_f32_e32 v18, v18, v21
	s_delay_alu instid0(VALU_DEP_1) | instskip(SKIP_2) | instid1(VALU_DEP_2)
	v_log_f32_e32 v18, v18
	v_fmaak_f32 v20, v1, v22, 0xbd97d4d7
	v_cndmask_b32_e64 v22, 0, 0x41b17218, vcc_lo
	v_fmaak_f32 v20, v1, v20, 0x3dd931b2
	s_waitcnt_depctr 0xfff
	v_cmp_gt_f32_e64 vcc_lo, 0x7f800000, |v18|
	v_fmaak_f32 v20, v1, v20, 0xbe1160e6
	s_delay_alu instid0(VALU_DEP_1) | instskip(NEXT) | instid1(VALU_DEP_1)
	v_fmaak_f32 v20, v1, v20, 0x3e4cb8bf
	v_fmaak_f32 v20, v1, v20, 0xbeaaaa62
	s_delay_alu instid0(VALU_DEP_1) | instskip(NEXT) | instid1(VALU_DEP_1)
	v_dual_mul_f32 v1, v1, v20 :: v_dual_mul_f32 v20, 0x3f317217, v18
	v_fmac_f32_e32 v19, v19, v1
	s_delay_alu instid0(VALU_DEP_2) | instskip(NEXT) | instid1(VALU_DEP_2)
	v_fma_f32 v1, 0x3f317217, v18, -v20
	v_sub_f32_e32 v21, 0x3fc90fdb, v19
	s_delay_alu instid0(VALU_DEP_1) | instskip(SKIP_1) | instid1(VALU_DEP_1)
	v_cndmask_b32_e64 v19, v19, v21, s2
	v_cmp_gt_i32_e64 s2, 0, v3
	v_cndmask_b32_e64 v21, 0, 0x40490fdb, s2
	v_fmac_f32_e32 v1, 0x3377d1cf, v18
	v_cmp_gt_f32_e64 s2, 0, v3
	s_delay_alu instid0(VALU_DEP_2) | instskip(NEXT) | instid1(VALU_DEP_1)
	v_add_f32_e32 v1, v20, v1
	v_dual_cndmask_b32 v1, v18, v1 :: v_dual_sub_f32 v20, 0x40490fdb, v19
	v_cmp_eq_f32_e32 vcc_lo, 0, v4
	s_delay_alu instid0(VALU_DEP_2) | instskip(NEXT) | instid1(VALU_DEP_3)
	v_sub_f32_e32 v1, v1, v22
	v_cndmask_b32_e64 v18, v19, v20, s2
	v_cndmask_b32_e64 v19, 0x3f490fdb, v13, s2
	s_delay_alu instid0(VALU_DEP_3) | instskip(NEXT) | instid1(VALU_DEP_3)
	v_add_f32_e32 v1, 1.0, v1
	v_cndmask_b32_e32 v18, v18, v21, vcc_lo
	s_and_b32 vcc_lo, s3, s5
	s_delay_alu instid0(VALU_DEP_1)
	v_cndmask_b32_e32 v18, v18, v19, vcc_lo
.LBB181_134:                            ;   in Loop: Header=BB181_5 Depth=1
	s_or_b32 exec_lo, exec_lo, s4
.LBB181_135:                            ;   in Loop: Header=BB181_5 Depth=1
	s_and_not1_saveexec_b32 s2, s17
	s_cbranch_execz .LBB181_4
; %bb.136:                              ;   in Loop: Header=BB181_5 Depth=1
	v_cmp_ngt_f32_e64 s3, 0x20000000, |v3|
	v_cmp_ngt_f32_e64 s4, 0x20000000, |v4|
                                        ; implicit-def: $vgpr1
	s_delay_alu instid0(VALU_DEP_1) | instskip(NEXT) | instid1(SALU_CYCLE_1)
	s_or_b32 s3, s3, s4
	s_and_saveexec_b32 s4, s3
	s_delay_alu instid0(SALU_CYCLE_1)
	s_xor_b32 s3, exec_lo, s4
; %bb.137:                              ;   in Loop: Header=BB181_5 Depth=1
	v_mul_f32_e32 v1, v4, v4
	s_delay_alu instid0(VALU_DEP_1)
	v_fmac_f32_e32 v1, v3, v3
; %bb.138:                              ;   in Loop: Header=BB181_5 Depth=1
	s_and_not1_saveexec_b32 s3, s3
	s_cbranch_execz .LBB181_3
; %bb.139:                              ;   in Loop: Header=BB181_5 Depth=1
	v_mul_f32_e32 v1, 4.0, v4
	v_mul_f32_e32 v3, 4.0, v3
	s_delay_alu instid0(VALU_DEP_2) | instskip(NEXT) | instid1(VALU_DEP_1)
	v_mul_f32_e32 v1, v1, v1
	v_fmac_f32_e32 v1, v3, v3
	s_delay_alu instid0(VALU_DEP_1)
	v_mul_f32_e32 v1, 0x3d800000, v1
	s_branch .LBB181_3
.LBB181_140:
	s_or_b32 exec_lo, exec_lo, s9
	s_mov_b32 s2, 0
.LBB181_141:
	s_delay_alu instid0(SALU_CYCLE_1)
	s_and_not1_b32 vcc_lo, exec_lo, s2
	s_cbranch_vccnz .LBB181_297
; %bb.142:
	v_cmp_lt_i64_e64 s2, s[12:13], 1
	s_delay_alu instid0(VALU_DEP_1)
	s_and_b32 vcc_lo, exec_lo, s2
	s_cbranch_vccnz .LBB181_297
; %bb.143:
	s_load_b32 s0, s[0:1], 0xc5c
	v_cmp_gt_u64_e64 s1, 0x10000, s[12:13]
	v_mov_b32_e32 v17, 0x4016cbe4
	s_mov_b64 s[14:15], 0
	s_mov_b32 s21, 0x3e9b6dac
	s_mov_b32 s26, 0x3b2d2a58
	s_waitcnt lgkmcnt(0)
	s_and_b32 s22, s0, 0xffff
	s_and_b32 s0, s1, exec_lo
	s_cselect_b32 s17, s13, 0
	s_cselect_b32 s16, s12, 0x10000
	s_lshl_b32 s23, s22, 1
	s_mul_i32 s24, s22, 3
	s_lshl_b32 s25, s22, 2
	s_branch .LBB181_145
.LBB181_144:                            ;   in Loop: Header=BB181_145 Depth=1
	s_or_b32 exec_lo, exec_lo, s1
	s_add_u32 s14, s14, s25
	s_addc_u32 s15, s15, 0
	s_delay_alu instid0(SALU_CYCLE_1) | instskip(SKIP_1) | instid1(VALU_DEP_1)
	v_cmp_ge_i64_e64 s0, s[14:15], s[12:13]
	v_cmp_lt_u64_e64 s1, 0xffff, s[14:15]
	s_or_b32 s0, s0, s1
	s_delay_alu instid0(SALU_CYCLE_1)
	s_and_b32 vcc_lo, exec_lo, s0
	s_cbranch_vccnz .LBB181_297
.LBB181_145:                            ; =>This Loop Header: Depth=1
                                        ;     Child Loop BB181_164 Depth 2
                                        ;     Child Loop BB181_198 Depth 2
	;; [unrolled: 1-line block ×4, first 2 shown]
	v_add_co_u32 v11, s0, s14, v0
	s_delay_alu instid0(VALU_DEP_1) | instskip(SKIP_1) | instid1(VALU_DEP_2)
	v_add_co_ci_u32_e64 v12, null, s15, 0, s0
	v_dual_mov_b32 v16, 0 :: v_dual_mov_b32 v15, 0
	v_cmp_gt_u64_e64 s3, s[16:17], v[11:12]
	s_delay_alu instid0(VALU_DEP_1)
	s_and_saveexec_b32 s0, s3
	s_cbranch_execz .LBB181_147
; %bb.146:                              ;   in Loop: Header=BB181_145 Depth=1
	v_lshlrev_b64 v[1:2], 3, v[11:12]
	s_delay_alu instid0(VALU_DEP_1) | instskip(NEXT) | instid1(VALU_DEP_2)
	v_add_co_u32 v1, vcc_lo, s11, v1
	v_add_co_ci_u32_e32 v2, vcc_lo, s18, v2, vcc_lo
	global_load_b64 v[15:16], v[1:2], off
.LBB181_147:                            ;   in Loop: Header=BB181_145 Depth=1
	s_or_b32 exec_lo, exec_lo, s0
	v_add_co_u32 v9, vcc_lo, v11, s22
	v_add_co_ci_u32_e32 v10, vcc_lo, 0, v12, vcc_lo
	v_dual_mov_b32 v8, 0 :: v_dual_mov_b32 v13, 0
	v_mov_b32_e32 v14, 0
	s_delay_alu instid0(VALU_DEP_3) | instskip(NEXT) | instid1(VALU_DEP_1)
	v_cmp_gt_u64_e64 s2, s[16:17], v[9:10]
	s_and_saveexec_b32 s0, s2
	s_cbranch_execz .LBB181_149
; %bb.148:                              ;   in Loop: Header=BB181_145 Depth=1
	v_lshlrev_b64 v[1:2], 3, v[9:10]
	s_delay_alu instid0(VALU_DEP_1) | instskip(NEXT) | instid1(VALU_DEP_2)
	v_add_co_u32 v1, vcc_lo, s11, v1
	v_add_co_ci_u32_e32 v2, vcc_lo, s18, v2, vcc_lo
	global_load_b64 v[13:14], v[1:2], off
.LBB181_149:                            ;   in Loop: Header=BB181_145 Depth=1
	s_or_b32 exec_lo, exec_lo, s0
	v_add_co_u32 v3, vcc_lo, v11, s23
	v_add_co_ci_u32_e32 v4, vcc_lo, 0, v12, vcc_lo
	v_mov_b32_e32 v7, 0
	s_delay_alu instid0(VALU_DEP_2) | instskip(NEXT) | instid1(VALU_DEP_1)
	v_cmp_gt_u64_e64 s1, s[16:17], v[3:4]
	s_and_saveexec_b32 s0, s1
	s_cbranch_execz .LBB181_151
; %bb.150:                              ;   in Loop: Header=BB181_145 Depth=1
	v_lshlrev_b64 v[1:2], 3, v[3:4]
	s_delay_alu instid0(VALU_DEP_1) | instskip(NEXT) | instid1(VALU_DEP_2)
	v_add_co_u32 v1, vcc_lo, s11, v1
	v_add_co_ci_u32_e32 v2, vcc_lo, s18, v2, vcc_lo
	global_load_b64 v[7:8], v[1:2], off
.LBB181_151:                            ;   in Loop: Header=BB181_145 Depth=1
	s_or_b32 exec_lo, exec_lo, s0
	v_add_co_u32 v1, vcc_lo, v11, s24
	v_add_co_ci_u32_e32 v2, vcc_lo, 0, v12, vcc_lo
	v_dual_mov_b32 v6, 0 :: v_dual_mov_b32 v5, 0
	s_delay_alu instid0(VALU_DEP_2) | instskip(NEXT) | instid1(VALU_DEP_1)
	v_cmp_gt_u64_e64 s0, s[16:17], v[1:2]
	s_and_saveexec_b32 s4, s0
	s_cbranch_execz .LBB181_153
; %bb.152:                              ;   in Loop: Header=BB181_145 Depth=1
	v_lshlrev_b64 v[5:6], 3, v[1:2]
	s_delay_alu instid0(VALU_DEP_1) | instskip(NEXT) | instid1(VALU_DEP_2)
	v_add_co_u32 v5, vcc_lo, s11, v5
	v_add_co_ci_u32_e32 v6, vcc_lo, s18, v6, vcc_lo
	global_load_b64 v[5:6], v[5:6], off
.LBB181_153:                            ;   in Loop: Header=BB181_145 Depth=1
	s_or_b32 exec_lo, exec_lo, s4
                                        ; implicit-def: $vgpr18
                                        ; implicit-def: $vgpr19
	s_delay_alu instid0(SALU_CYCLE_1)
	s_mov_b32 s4, exec_lo
	s_waitcnt vmcnt(0)
	v_cmpx_o_f32_e32 v16, v15
	s_xor_b32 s27, exec_lo, s4
	s_cbranch_execz .LBB181_181
; %bb.154:                              ;   in Loop: Header=BB181_145 Depth=1
	v_cmp_lt_f32_e64 s4, |v15|, |v16|
                                        ; implicit-def: $vgpr18
                                        ; implicit-def: $vgpr19
	s_mov_b32 s5, exec_lo
	s_delay_alu instid0(VALU_DEP_1) | instskip(NEXT) | instid1(VALU_DEP_1)
	v_cndmask_b32_e64 v20, |v16|, |v15|, s4
	v_cmpx_nlt_f32_e32 0x77f684df, v20
	s_xor_b32 s28, exec_lo, s5
	s_cbranch_execz .LBB181_178
; %bb.155:                              ;   in Loop: Header=BB181_145 Depth=1
	v_and_b32_e32 v18, 0x7fffffff, v16
                                        ; implicit-def: $vgpr19
	s_mov_b32 s5, exec_lo
	s_delay_alu instid0(VALU_DEP_1) | instskip(NEXT) | instid1(VALU_DEP_1)
	v_cndmask_b32_e64 v21, |v15|, v18, s4
                                        ; implicit-def: $vgpr18
	v_cmpx_neq_f32_e32 1.0, v21
	s_xor_b32 s29, exec_lo, s5
	s_cbranch_execz .LBB181_171
; %bb.156:                              ;   in Loop: Header=BB181_145 Depth=1
	v_dual_max_f32 v18, v20, v20 :: v_dual_max_f32 v19, v21, v21
	s_delay_alu instid0(VALU_DEP_1) | instskip(SKIP_1) | instid1(VALU_DEP_2)
	v_min_f32_e32 v22, v19, v18
	v_max_f32_e32 v18, v19, v18
                                        ; implicit-def: $vgpr19
	v_cmp_ngt_f32_e32 vcc_lo, 0x358637bd, v22
	s_delay_alu instid0(VALU_DEP_2) | instskip(NEXT) | instid1(VALU_DEP_1)
	v_cmp_nlt_f32_e64 s5, 0x49742400, v18
                                        ; implicit-def: $vgpr18
	s_and_b32 s5, s5, vcc_lo
	s_delay_alu instid0(SALU_CYCLE_1) | instskip(NEXT) | instid1(SALU_CYCLE_1)
	s_and_saveexec_b32 s6, s5
	s_xor_b32 s30, exec_lo, s6
	s_cbranch_execz .LBB181_168
; %bb.157:                              ;   in Loop: Header=BB181_145 Depth=1
                                        ; implicit-def: $vgpr18
                                        ; implicit-def: $vgpr19
	s_mov_b32 s5, exec_lo
	v_cmpx_le_f32_e32 1.0, v21
	s_xor_b32 s6, exec_lo, s5
	s_cbranch_execz .LBB181_159
; %bb.158:                              ;   in Loop: Header=BB181_145 Depth=1
	v_add_f32_e32 v18, -1.0, v21
	v_add_f32_e32 v19, 1.0, v21
	v_cmp_class_f32_e64 s7, v15, 0x204
	s_delay_alu instid0(VALU_DEP_2) | instskip(NEXT) | instid1(VALU_DEP_1)
	v_mul_f32_e32 v21, v18, v19
	v_fmac_f32_e32 v21, v20, v20
	s_delay_alu instid0(VALU_DEP_1) | instskip(SKIP_1) | instid1(VALU_DEP_2)
	v_add_f32_e32 v20, 1.0, v21
	v_cmp_neq_f32_e64 s5, -1.0, v21
	v_cvt_f64_f32_e32 v[18:19], v20
	s_delay_alu instid0(VALU_DEP_1) | instskip(SKIP_1) | instid1(VALU_DEP_1)
	v_frexp_exp_i32_f64_e32 v18, v[18:19]
	v_frexp_mant_f32_e32 v19, v20
	v_cmp_gt_f32_e32 vcc_lo, 0x3f2aaaab, v19
	v_add_f32_e32 v19, -1.0, v20
	s_delay_alu instid0(VALU_DEP_1) | instskip(SKIP_3) | instid1(VALU_DEP_2)
	v_sub_f32_e32 v23, v19, v20
	v_sub_f32_e32 v19, v21, v19
	v_subrev_co_ci_u32_e32 v18, vcc_lo, 0, v18, vcc_lo
	v_cmp_eq_f32_e32 vcc_lo, 0x7f800000, v21
	v_sub_nc_u32_e32 v22, 0, v18
	v_cvt_f32_i32_e32 v18, v18
	s_delay_alu instid0(VALU_DEP_2) | instskip(NEXT) | instid1(VALU_DEP_1)
	v_ldexp_f32 v20, v20, v22
	v_dual_add_f32 v24, 1.0, v20 :: v_dual_add_f32 v23, 1.0, v23
	s_delay_alu instid0(VALU_DEP_1) | instskip(NEXT) | instid1(VALU_DEP_2)
	v_add_f32_e32 v19, v19, v23
	v_add_f32_e32 v23, -1.0, v24
	s_delay_alu instid0(VALU_DEP_2) | instskip(NEXT) | instid1(VALU_DEP_2)
	v_ldexp_f32 v19, v19, v22
	v_dual_add_f32 v22, -1.0, v20 :: v_dual_sub_f32 v23, v20, v23
	s_delay_alu instid0(VALU_DEP_1) | instskip(NEXT) | instid1(VALU_DEP_1)
	v_add_f32_e32 v25, 1.0, v22
	v_dual_add_f32 v23, v19, v23 :: v_dual_sub_f32 v20, v20, v25
	s_delay_alu instid0(VALU_DEP_1) | instskip(NEXT) | instid1(VALU_DEP_2)
	v_add_f32_e32 v25, v24, v23
	v_add_f32_e32 v19, v19, v20
	s_delay_alu instid0(VALU_DEP_2) | instskip(SKIP_1) | instid1(VALU_DEP_1)
	v_rcp_f32_e32 v20, v25
	v_sub_f32_e32 v24, v25, v24
	v_dual_add_f32 v26, v22, v19 :: v_dual_sub_f32 v23, v23, v24
	s_delay_alu instid0(VALU_DEP_1) | instskip(SKIP_2) | instid1(VALU_DEP_1)
	v_sub_f32_e32 v22, v26, v22
	s_waitcnt_depctr 0xfff
	v_mul_f32_e32 v27, v26, v20
	v_mul_f32_e32 v28, v25, v27
	s_delay_alu instid0(VALU_DEP_1) | instskip(NEXT) | instid1(VALU_DEP_1)
	v_fma_f32 v24, v27, v25, -v28
	v_fmac_f32_e32 v24, v27, v23
	s_delay_alu instid0(VALU_DEP_1) | instskip(NEXT) | instid1(VALU_DEP_1)
	v_add_f32_e32 v29, v28, v24
	v_sub_f32_e32 v30, v26, v29
	s_delay_alu instid0(VALU_DEP_1) | instskip(NEXT) | instid1(VALU_DEP_1)
	v_sub_f32_e32 v26, v26, v30
	v_dual_sub_f32 v26, v26, v29 :: v_dual_sub_f32 v19, v19, v22
	v_sub_f32_e32 v22, v29, v28
	s_delay_alu instid0(VALU_DEP_1) | instskip(NEXT) | instid1(VALU_DEP_1)
	v_dual_sub_f32 v22, v22, v24 :: v_dual_add_f32 v19, v19, v26
	v_add_f32_e32 v19, v22, v19
	s_delay_alu instid0(VALU_DEP_1) | instskip(NEXT) | instid1(VALU_DEP_1)
	v_add_f32_e32 v22, v30, v19
	v_mul_f32_e32 v24, v20, v22
	s_delay_alu instid0(VALU_DEP_1) | instskip(NEXT) | instid1(VALU_DEP_1)
	v_dual_sub_f32 v29, v30, v22 :: v_dual_mul_f32 v26, v25, v24
	v_fma_f32 v25, v24, v25, -v26
	s_delay_alu instid0(VALU_DEP_1) | instskip(NEXT) | instid1(VALU_DEP_1)
	v_fmac_f32_e32 v25, v24, v23
	v_add_f32_e32 v23, v26, v25
	s_delay_alu instid0(VALU_DEP_1) | instskip(SKIP_1) | instid1(VALU_DEP_2)
	v_sub_f32_e32 v28, v22, v23
	v_sub_f32_e32 v26, v23, v26
	v_dual_sub_f32 v22, v22, v28 :: v_dual_add_f32 v19, v19, v29
	s_delay_alu instid0(VALU_DEP_1) | instskip(NEXT) | instid1(VALU_DEP_1)
	v_sub_f32_e32 v22, v22, v23
	v_add_f32_e32 v19, v19, v22
	s_delay_alu instid0(VALU_DEP_4) | instskip(SKIP_1) | instid1(VALU_DEP_2)
	v_dual_add_f32 v22, v27, v24 :: v_dual_sub_f32 v23, v26, v25
	v_max_f32_e64 v25, |v16|, |v16|
	v_add_f32_e32 v19, v23, v19
	s_delay_alu instid0(VALU_DEP_3) | instskip(NEXT) | instid1(VALU_DEP_2)
	v_sub_f32_e32 v23, v22, v27
	v_dual_add_f32 v19, v28, v19 :: v_dual_mul_f32 v28, 0x3f317218, v18
	s_delay_alu instid0(VALU_DEP_2) | instskip(NEXT) | instid1(VALU_DEP_2)
	v_sub_f32_e32 v23, v24, v23
	v_mul_f32_e32 v19, v20, v19
	s_delay_alu instid0(VALU_DEP_3) | instskip(NEXT) | instid1(VALU_DEP_1)
	v_fma_f32 v29, 0x3f317218, v18, -v28
	v_fmac_f32_e32 v29, 0xb102e308, v18
	s_delay_alu instid0(VALU_DEP_3) | instskip(NEXT) | instid1(VALU_DEP_1)
	v_add_f32_e32 v19, v23, v19
	v_add_f32_e32 v20, v22, v19
	s_delay_alu instid0(VALU_DEP_1) | instskip(NEXT) | instid1(VALU_DEP_1)
	v_mul_f32_e32 v23, v20, v20
	v_fmaak_f32 v24, s21, v23, 0x3ecc95a3
	s_delay_alu instid0(VALU_DEP_1) | instskip(SKIP_2) | instid1(VALU_DEP_3)
	v_dual_mul_f32 v26, v20, v23 :: v_dual_fmaak_f32 v23, v23, v24, 0x3f2aaada
	v_max_f32_e64 v24, |v15|, |v15|
	v_ldexp_f32 v27, v20, 1
	v_dual_sub_f32 v20, v20, v22 :: v_dual_mul_f32 v23, v26, v23
	s_delay_alu instid0(VALU_DEP_3) | instskip(NEXT) | instid1(VALU_DEP_2)
	v_max_f32_e32 v26, v24, v25
	v_dual_min_f32 v24, v24, v25 :: v_dual_sub_f32 v19, v19, v20
	s_delay_alu instid0(VALU_DEP_3) | instskip(NEXT) | instid1(VALU_DEP_3)
	v_add_f32_e32 v22, v27, v23
	v_frexp_mant_f32_e32 v25, v26
	v_frexp_exp_i32_f32_e32 v26, v26
	s_delay_alu instid0(VALU_DEP_4) | instskip(NEXT) | instid1(VALU_DEP_4)
	v_ldexp_f32 v19, v19, 1
	v_sub_f32_e32 v20, v22, v27
	s_delay_alu instid0(VALU_DEP_4) | instskip(SKIP_1) | instid1(VALU_DEP_2)
	v_rcp_f32_e32 v25, v25
	v_frexp_exp_i32_f32_e32 v27, v24
	v_sub_f32_e32 v20, v23, v20
	v_frexp_mant_f32_e32 v23, v24
	s_delay_alu instid0(VALU_DEP_3) | instskip(NEXT) | instid1(VALU_DEP_3)
	v_sub_nc_u32_e32 v24, v27, v26
	v_add_f32_e32 v18, v19, v20
	s_waitcnt_depctr 0xfff
	v_mul_f32_e32 v19, v23, v25
	v_add_f32_e32 v20, v28, v29
	s_delay_alu instid0(VALU_DEP_2) | instskip(NEXT) | instid1(VALU_DEP_1)
	v_ldexp_f32 v19, v19, v24
	v_dual_sub_f32 v28, v20, v28 :: v_dual_mul_f32 v25, v19, v19
	s_delay_alu instid0(VALU_DEP_1) | instskip(SKIP_1) | instid1(VALU_DEP_1)
	v_dual_sub_f32 v28, v29, v28 :: v_dual_fmaak_f32 v27, s26, v25, 0xbc7a590c
	v_add_f32_e32 v23, v22, v18
	v_add_f32_e32 v24, v20, v23
	v_sub_f32_e32 v22, v23, v22
	s_delay_alu instid0(VALU_DEP_2) | instskip(NEXT) | instid1(VALU_DEP_2)
	v_sub_f32_e32 v26, v24, v20
	v_dual_sub_f32 v18, v18, v22 :: v_dual_fmaak_f32 v27, v25, v27, 0x3d29fb3f
	s_delay_alu instid0(VALU_DEP_2) | instskip(NEXT) | instid1(VALU_DEP_2)
	v_sub_f32_e32 v30, v24, v26
	v_dual_sub_f32 v22, v23, v26 :: v_dual_fmaak_f32 v23, v25, v27, 0xbd97d4d7
	s_delay_alu instid0(VALU_DEP_3) | instskip(NEXT) | instid1(VALU_DEP_3)
	v_add_f32_e32 v26, v28, v18
	v_sub_f32_e32 v20, v20, v30
	s_delay_alu instid0(VALU_DEP_1) | instskip(NEXT) | instid1(VALU_DEP_1)
	v_add_f32_e32 v20, v22, v20
	v_add_f32_e32 v20, v26, v20
	v_dual_fmaak_f32 v22, v25, v23, 0x3dd931b2 :: v_dual_sub_f32 v23, v26, v28
	s_delay_alu instid0(VALU_DEP_1) | instskip(NEXT) | instid1(VALU_DEP_2)
	v_dual_add_f32 v27, v24, v20 :: v_dual_fmaak_f32 v22, v25, v22, 0xbe1160e6
	v_sub_f32_e32 v26, v26, v23
	v_sub_f32_e32 v18, v18, v23
	s_delay_alu instid0(VALU_DEP_3) | instskip(NEXT) | instid1(VALU_DEP_4)
	v_sub_f32_e32 v24, v27, v24
	v_fmaak_f32 v22, v25, v22, 0x3e4cb8bf
	s_delay_alu instid0(VALU_DEP_4) | instskip(NEXT) | instid1(VALU_DEP_2)
	v_sub_f32_e32 v23, v28, v26
	v_fmaak_f32 v22, v25, v22, 0xbeaaaa62
	s_delay_alu instid0(VALU_DEP_2) | instskip(NEXT) | instid1(VALU_DEP_2)
	v_add_f32_e32 v18, v18, v23
	v_mul_f32_e32 v22, v25, v22
	s_delay_alu instid0(VALU_DEP_1) | instskip(NEXT) | instid1(VALU_DEP_1)
	v_dual_fmac_f32 v19, v19, v22 :: v_dual_sub_f32 v20, v20, v24
	v_add_f32_e32 v18, v18, v20
	s_delay_alu instid0(VALU_DEP_2) | instskip(NEXT) | instid1(VALU_DEP_2)
	v_sub_f32_e32 v20, 0x3fc90fdb, v19
	v_add_f32_e32 v18, v27, v18
	s_delay_alu instid0(VALU_DEP_2) | instskip(NEXT) | instid1(VALU_DEP_2)
	v_cndmask_b32_e64 v19, v19, v20, s4
	v_cndmask_b32_e32 v18, v18, v21, vcc_lo
	v_cmp_gt_i32_e32 vcc_lo, 0, v15
	s_delay_alu instid0(VALU_DEP_3) | instskip(SKIP_4) | instid1(VALU_DEP_2)
	v_sub_f32_e32 v22, 0x40490fdb, v19
	v_cndmask_b32_e64 v20, 0, 0x40490fdb, vcc_lo
	v_cmp_ngt_f32_e32 vcc_lo, -1.0, v21
	v_cndmask_b32_e32 v18, 0x7fc00000, v18, vcc_lo
	v_cmp_gt_f32_e32 vcc_lo, 0, v15
	v_cndmask_b32_e64 v15, 0xff800000, v18, s5
	v_cndmask_b32_e32 v18, v19, v22, vcc_lo
	v_cndmask_b32_e32 v19, 0x3f490fdb, v17, vcc_lo
	v_cmp_gt_f32_e64 vcc_lo, 0x33800000, |v21|
	v_cmp_class_f32_e64 s5, v16, 0x204
	v_cndmask_b32_e32 v15, v15, v21, vcc_lo
	v_cmp_eq_f32_e32 vcc_lo, 0, v16
                                        ; implicit-def: $vgpr21
	v_cndmask_b32_e32 v20, v18, v20, vcc_lo
	s_delay_alu instid0(VALU_DEP_4) | instskip(NEXT) | instid1(VALU_DEP_3)
	s_and_b32 vcc_lo, s5, s7
	v_mul_f32_e32 v18, 0.5, v15
	s_delay_alu instid0(VALU_DEP_2)
	v_cndmask_b32_e32 v19, v20, v19, vcc_lo
                                        ; implicit-def: $vgpr20
.LBB181_159:                            ;   in Loop: Header=BB181_145 Depth=1
	s_and_not1_saveexec_b32 s31, s6
	s_cbranch_execz .LBB181_167
; %bb.160:                              ;   in Loop: Header=BB181_145 Depth=1
	v_mul_f32_e32 v22, v20, v20
                                        ; implicit-def: $vgpr18
                                        ; implicit-def: $vgpr19
	s_mov_b32 s5, exec_lo
	s_delay_alu instid0(VALU_DEP_1) | instskip(NEXT) | instid1(VALU_DEP_1)
	v_fmac_f32_e32 v22, v21, v21
	v_cmpx_ge_f32_e32 0x3f333333, v22
	s_xor_b32 s6, exec_lo, s5
	s_cbranch_execz .LBB181_162
; %bb.161:                              ;   in Loop: Header=BB181_145 Depth=1
	v_max_f32_e64 v18, |v16|, |v16|
	v_max_f32_e64 v19, |v15|, |v15|
	v_cmp_gt_f32_e32 vcc_lo, 0x800000, v22
	v_cmp_gt_i32_e64 s5, 0, v15
	v_cmp_class_f32_e64 s7, v15, 0x204
	v_cmp_class_f32_e64 s8, v16, 0x204
	v_max_f32_e32 v20, v19, v18
	v_min_f32_e32 v18, v19, v18
	v_cndmask_b32_e64 v23, 0, 0x41b17218, vcc_lo
	s_delay_alu instid0(VALU_DEP_3) | instskip(SKIP_1) | instid1(VALU_DEP_2)
	v_frexp_mant_f32_e32 v21, v20
	v_frexp_exp_i32_f32_e32 v20, v20
	v_rcp_f32_e32 v19, v21
	v_frexp_exp_i32_f32_e32 v21, v18
	v_frexp_mant_f32_e32 v18, v18
	s_delay_alu instid0(VALU_DEP_2) | instskip(SKIP_4) | instid1(VALU_DEP_2)
	v_sub_nc_u32_e32 v20, v21, v20
	v_cndmask_b32_e64 v21, 1.0, 0x4f800000, vcc_lo
	s_waitcnt_depctr 0xfff
	v_mul_f32_e32 v18, v18, v19
	v_mul_f32_e32 v21, v22, v21
	v_ldexp_f32 v18, v18, v20
	s_delay_alu instid0(VALU_DEP_2) | instskip(NEXT) | instid1(VALU_DEP_1)
	v_log_f32_e32 v21, v21
	v_mul_f32_e32 v19, v18, v18
	s_delay_alu instid0(VALU_DEP_1) | instskip(SKIP_3) | instid1(VALU_DEP_1)
	v_fmaak_f32 v20, s26, v19, 0xbc7a590c
	s_waitcnt_depctr 0xfff
	v_cmp_gt_f32_e64 vcc_lo, 0x7f800000, |v21|
	v_fmaak_f32 v20, v19, v20, 0x3d29fb3f
	v_fmaak_f32 v20, v19, v20, 0xbd97d4d7
	s_delay_alu instid0(VALU_DEP_1) | instskip(NEXT) | instid1(VALU_DEP_1)
	v_fmaak_f32 v20, v19, v20, 0x3dd931b2
	v_fmaak_f32 v20, v19, v20, 0xbe1160e6
	s_delay_alu instid0(VALU_DEP_1) | instskip(NEXT) | instid1(VALU_DEP_1)
	;; [unrolled: 3-line block ×3, first 2 shown]
	v_dual_mul_f32 v19, v19, v20 :: v_dual_mul_f32 v20, 0x3f317217, v21
	v_fmac_f32_e32 v18, v18, v19
	s_delay_alu instid0(VALU_DEP_2) | instskip(NEXT) | instid1(VALU_DEP_1)
	v_fma_f32 v19, 0x3f317217, v21, -v20
	v_fmac_f32_e32 v19, 0x3377d1cf, v21
	s_delay_alu instid0(VALU_DEP_1) | instskip(NEXT) | instid1(VALU_DEP_1)
	v_dual_sub_f32 v22, 0x3fc90fdb, v18 :: v_dual_add_f32 v19, v20, v19
	v_cndmask_b32_e64 v18, v18, v22, s4
	v_cndmask_b32_e64 v20, 0, 0x40490fdb, s5
	v_cmp_eq_f32_e64 s5, 0, v16
	s_delay_alu instid0(VALU_DEP_3) | instskip(SKIP_1) | instid1(VALU_DEP_2)
	v_dual_cndmask_b32 v19, v21, v19 :: v_dual_sub_f32 v22, 0x40490fdb, v18
	v_cmp_gt_f32_e32 vcc_lo, 0, v15
                                        ; implicit-def: $vgpr21
	v_dual_sub_f32 v15, v19, v23 :: v_dual_cndmask_b32 v18, v18, v22
	s_delay_alu instid0(VALU_DEP_1) | instskip(SKIP_2) | instid1(VALU_DEP_1)
	v_cndmask_b32_e64 v19, v18, v20, s5
	v_cndmask_b32_e32 v20, 0x3f490fdb, v17, vcc_lo
	s_and_b32 vcc_lo, s8, s7
	v_dual_mul_f32 v18, 0.5, v15 :: v_dual_cndmask_b32 v19, v19, v20
                                        ; implicit-def: $vgpr20
.LBB181_162:                            ;   in Loop: Header=BB181_145 Depth=1
	s_and_not1_saveexec_b32 s33, s6
	s_cbranch_execz .LBB181_166
; %bb.163:                              ;   in Loop: Header=BB181_145 Depth=1
	v_and_b32_e32 v22, 0x7fff0000, v20
	v_and_b32_e32 v19, 0x7fff0000, v21
	s_mov_b32 s34, 0
	s_delay_alu instid0(VALU_DEP_2) | instskip(SKIP_1) | instid1(VALU_DEP_3)
	v_sub_f32_e32 v23, v20, v22
	v_mul_f32_e32 v20, v22, v22
	v_mul_f32_e32 v18, v19, v19
	v_sub_f32_e32 v21, v21, v19
	s_delay_alu instid0(VALU_DEP_1) | instskip(NEXT) | instid1(VALU_DEP_1)
	v_dual_add_f32 v29, v22, v22 :: v_dual_and_b32 v24, 0xffff0000, v21
	v_dual_sub_f32 v22, v21, v24 :: v_dual_and_b32 v25, 0xffff0000, v23
	s_delay_alu instid0(VALU_DEP_1) | instskip(SKIP_2) | instid1(VALU_DEP_3)
	v_dual_add_f32 v26, v19, v19 :: v_dual_mul_f32 v19, v29, v25
	v_dual_sub_f32 v30, v23, v25 :: v_dual_mul_f32 v21, v24, v24
	v_add_f32_e32 v23, v24, v24
	v_dual_mul_f32 v28, v26, v24 :: v_dual_add_f32 v31, v25, v25
	v_dual_mul_f32 v27, v25, v25 :: v_dual_mul_f32 v24, v26, v22
	s_delay_alu instid0(VALU_DEP_4) | instskip(NEXT) | instid1(VALU_DEP_4)
	v_mul_f32_e32 v26, v29, v30
	v_mul_f32_e32 v25, v23, v22
	;; [unrolled: 1-line block ×5, first 2 shown]
.LBB181_164:                            ;   Parent Loop BB181_145 Depth=1
                                        ; =>  This Inner Loop Header: Depth=2
	v_cmp_nlt_f32_e32 vcc_lo, v18, v20
	s_delay_alu instid0(VALU_DEP_2) | instskip(SKIP_1) | instid1(VALU_DEP_2)
	v_dual_mov_b32 v31, v29 :: v_dual_cndmask_b32 v30, v18, v20
	v_cndmask_b32_e32 v18, v20, v18, vcc_lo
	v_cmp_nlt_f32_e64 s5, v30, v28
	s_delay_alu instid0(VALU_DEP_1) | instskip(SKIP_2) | instid1(VALU_DEP_2)
	v_cndmask_b32_e64 v29, v30, v28, s5
	v_cndmask_b32_e64 v20, v28, v30, s5
	s_and_b32 s35, vcc_lo, s5
	v_cmp_nlt_f32_e64 s6, v29, v19
	s_delay_alu instid0(VALU_DEP_1) | instskip(SKIP_1) | instid1(VALU_DEP_2)
	v_cndmask_b32_e64 v32, v29, v19, s6
	v_cndmask_b32_e64 v28, v19, v29, s6
	v_cmp_nlt_f32_e64 s7, v32, v21
	s_delay_alu instid0(VALU_DEP_1) | instskip(SKIP_2) | instid1(VALU_DEP_2)
	v_cndmask_b32_e64 v30, v32, v21, s7
	v_cndmask_b32_e64 v19, v21, v32, s7
	s_and_b32 s36, s6, s7
	v_cmp_nlt_f32_e64 s8, v30, v27
	s_delay_alu instid0(VALU_DEP_1) | instskip(SKIP_1) | instid1(VALU_DEP_2)
	v_cndmask_b32_e64 v33, v30, v27, s8
	v_cndmask_b32_e64 v21, v27, v30, s8
	v_cmp_nlt_f32_e64 s9, v33, v24
	s_delay_alu instid0(VALU_DEP_1) | instskip(SKIP_2) | instid1(VALU_DEP_2)
	v_cndmask_b32_e64 v34, v33, v24, s9
	s_and_b32 s7, s8, s9
	v_cndmask_b32_e64 v27, v24, v33, s9
	v_cmp_nlt_f32_e64 s10, v34, v26
	s_delay_alu instid0(VALU_DEP_1) | instskip(SKIP_2) | instid1(VALU_DEP_2)
	v_cndmask_b32_e64 v35, v34, v26, s10
	s_and_b32 s7, s7, s10
	v_cndmask_b32_e64 v24, v26, v34, s10
	v_cmp_nlt_f32_e32 vcc_lo, v35, v25
	v_cndmask_b32_e32 v36, v35, v25, vcc_lo
	s_and_b32 s8, s7, vcc_lo
	v_cndmask_b32_e32 v26, v25, v35, vcc_lo
	s_delay_alu instid0(VALU_DEP_2) | instskip(NEXT) | instid1(VALU_DEP_1)
	v_cmp_nlt_f32_e64 s5, v36, v23
	v_cndmask_b32_e64 v32, v36, v23, s5
	s_and_b32 s8, s8, s5
	v_cndmask_b32_e64 v25, v23, v36, s5
	s_delay_alu instid0(VALU_DEP_2) | instskip(NEXT) | instid1(VALU_DEP_1)
	v_cmp_nlt_f32_e64 s6, v32, v22
	v_cndmask_b32_e64 v30, v32, v22, s6
	s_and_b32 s8, s8, s6
	v_cndmask_b32_e64 v23, v22, v32, s6
	s_delay_alu instid0(VALU_DEP_2) | instskip(NEXT) | instid1(VALU_DEP_1)
	v_cmp_nlt_f32_e64 s7, v30, v31
	s_and_b32 s8, s8, s7
	v_cndmask_b32_e64 v29, v30, v31, s7
	s_and_b32 s5, s8, s36
	v_cndmask_b32_e64 v22, v31, v30, s7
	s_and_b32 s5, s5, s35
	s_delay_alu instid0(SALU_CYCLE_1) | instskip(NEXT) | instid1(SALU_CYCLE_1)
	s_and_b32 s5, exec_lo, s5
	s_or_b32 s34, s5, s34
	s_delay_alu instid0(SALU_CYCLE_1)
	s_and_not1_b32 exec_lo, exec_lo, s34
	s_cbranch_execnz .LBB181_164
; %bb.165:                              ;   in Loop: Header=BB181_145 Depth=1
	s_or_b32 exec_lo, exec_lo, s34
	v_add_f32_e32 v18, -1.0, v18
	v_cmp_class_f32_e64 s6, v15, 0x204
	s_delay_alu instid0(VALU_DEP_2) | instskip(NEXT) | instid1(VALU_DEP_1)
	v_add_f32_e32 v18, v18, v20
	v_add_f32_e32 v18, v18, v28
	s_delay_alu instid0(VALU_DEP_1) | instskip(NEXT) | instid1(VALU_DEP_1)
	v_add_f32_e32 v18, v18, v19
	v_add_f32_e32 v18, v18, v21
	s_delay_alu instid0(VALU_DEP_1) | instskip(NEXT) | instid1(VALU_DEP_1)
	;; [unrolled: 3-line block ×5, first 2 shown]
	v_add_f32_e32 v20, v29, v18
	v_add_f32_e32 v21, 1.0, v20
	s_delay_alu instid0(VALU_DEP_1) | instskip(NEXT) | instid1(VALU_DEP_1)
	v_cvt_f64_f32_e32 v[18:19], v21
	v_frexp_exp_i32_f64_e32 v18, v[18:19]
	v_frexp_mant_f32_e32 v19, v21
	s_delay_alu instid0(VALU_DEP_1) | instskip(SKIP_1) | instid1(VALU_DEP_1)
	v_cmp_gt_f32_e32 vcc_lo, 0x3f2aaaab, v19
	v_add_f32_e32 v19, -1.0, v21
	v_sub_f32_e32 v23, v19, v21
	v_sub_f32_e32 v19, v20, v19
	s_delay_alu instid0(VALU_DEP_2) | instskip(NEXT) | instid1(VALU_DEP_1)
	v_add_f32_e32 v23, 1.0, v23
	v_add_f32_e32 v19, v19, v23
	v_subrev_co_ci_u32_e32 v18, vcc_lo, 0, v18, vcc_lo
	s_delay_alu instid0(VALU_DEP_1) | instskip(SKIP_1) | instid1(VALU_DEP_2)
	v_sub_nc_u32_e32 v22, 0, v18
	v_cvt_f32_i32_e32 v18, v18
	v_ldexp_f32 v21, v21, v22
	v_ldexp_f32 v19, v19, v22
	s_delay_alu instid0(VALU_DEP_2) | instskip(NEXT) | instid1(VALU_DEP_1)
	v_add_f32_e32 v24, 1.0, v21
	v_add_f32_e32 v23, -1.0, v24
	s_delay_alu instid0(VALU_DEP_1) | instskip(NEXT) | instid1(VALU_DEP_1)
	v_sub_f32_e32 v23, v21, v23
	v_dual_add_f32 v23, v19, v23 :: v_dual_add_f32 v22, -1.0, v21
	s_delay_alu instid0(VALU_DEP_1) | instskip(NEXT) | instid1(VALU_DEP_1)
	v_add_f32_e32 v25, 1.0, v22
	v_sub_f32_e32 v21, v21, v25
	s_delay_alu instid0(VALU_DEP_1) | instskip(NEXT) | instid1(VALU_DEP_1)
	v_add_f32_e32 v19, v19, v21
	v_add_f32_e32 v26, v22, v19
	s_delay_alu instid0(VALU_DEP_1) | instskip(NEXT) | instid1(VALU_DEP_1)
	v_sub_f32_e32 v22, v26, v22
	v_sub_f32_e32 v19, v19, v22
	v_add_f32_e32 v25, v24, v23
	v_cmp_eq_f32_e32 vcc_lo, 0x7f800000, v20
	v_cmp_neq_f32_e64 s5, -1.0, v20
	s_delay_alu instid0(VALU_DEP_3) | instskip(SKIP_1) | instid1(VALU_DEP_1)
	v_rcp_f32_e32 v21, v25
	v_sub_f32_e32 v24, v25, v24
	v_sub_f32_e32 v23, v23, v24
	s_waitcnt_depctr 0xfff
	v_mul_f32_e32 v27, v26, v21
	s_delay_alu instid0(VALU_DEP_1) | instskip(NEXT) | instid1(VALU_DEP_1)
	v_mul_f32_e32 v28, v25, v27
	v_fma_f32 v24, v27, v25, -v28
	s_delay_alu instid0(VALU_DEP_1) | instskip(NEXT) | instid1(VALU_DEP_1)
	v_fmac_f32_e32 v24, v27, v23
	v_add_f32_e32 v29, v28, v24
	s_delay_alu instid0(VALU_DEP_1) | instskip(NEXT) | instid1(VALU_DEP_1)
	v_sub_f32_e32 v30, v26, v29
	v_sub_f32_e32 v26, v26, v30
	s_delay_alu instid0(VALU_DEP_1) | instskip(NEXT) | instid1(VALU_DEP_1)
	v_sub_f32_e32 v26, v26, v29
	v_dual_add_f32 v19, v19, v26 :: v_dual_sub_f32 v22, v29, v28
	s_delay_alu instid0(VALU_DEP_1) | instskip(NEXT) | instid1(VALU_DEP_1)
	v_sub_f32_e32 v22, v22, v24
	v_add_f32_e32 v19, v22, v19
	s_delay_alu instid0(VALU_DEP_1) | instskip(NEXT) | instid1(VALU_DEP_1)
	v_add_f32_e32 v22, v30, v19
	v_mul_f32_e32 v24, v21, v22
	s_delay_alu instid0(VALU_DEP_1) | instskip(NEXT) | instid1(VALU_DEP_1)
	v_mul_f32_e32 v26, v25, v24
	v_fma_f32 v25, v24, v25, -v26
	s_delay_alu instid0(VALU_DEP_1) | instskip(SKIP_1) | instid1(VALU_DEP_2)
	v_fmac_f32_e32 v25, v24, v23
	v_sub_f32_e32 v29, v30, v22
	v_add_f32_e32 v23, v26, v25
	s_delay_alu instid0(VALU_DEP_1) | instskip(NEXT) | instid1(VALU_DEP_1)
	v_dual_add_f32 v19, v19, v29 :: v_dual_sub_f32 v28, v22, v23
	v_sub_f32_e32 v22, v22, v28
	s_delay_alu instid0(VALU_DEP_1) | instskip(NEXT) | instid1(VALU_DEP_1)
	v_sub_f32_e32 v22, v22, v23
	v_add_f32_e32 v19, v19, v22
	v_add_f32_e32 v22, v27, v24
	v_sub_f32_e32 v26, v23, v26
	s_delay_alu instid0(VALU_DEP_1) | instskip(SKIP_1) | instid1(VALU_DEP_2)
	v_sub_f32_e32 v23, v26, v25
	v_max_f32_e64 v25, |v16|, |v16|
	v_add_f32_e32 v19, v23, v19
	s_delay_alu instid0(VALU_DEP_1) | instskip(NEXT) | instid1(VALU_DEP_1)
	v_dual_add_f32 v19, v28, v19 :: v_dual_mul_f32 v28, 0x3f317218, v18
	v_mul_f32_e32 v19, v21, v19
	v_sub_f32_e32 v23, v22, v27
	s_delay_alu instid0(VALU_DEP_3) | instskip(NEXT) | instid1(VALU_DEP_2)
	v_fma_f32 v29, 0x3f317218, v18, -v28
	v_sub_f32_e32 v23, v24, v23
	s_delay_alu instid0(VALU_DEP_2) | instskip(NEXT) | instid1(VALU_DEP_2)
	v_fmac_f32_e32 v29, 0xb102e308, v18
	v_add_f32_e32 v19, v23, v19
	s_delay_alu instid0(VALU_DEP_1) | instskip(NEXT) | instid1(VALU_DEP_1)
	v_add_f32_e32 v21, v22, v19
	v_mul_f32_e32 v23, v21, v21
	s_delay_alu instid0(VALU_DEP_1) | instskip(NEXT) | instid1(VALU_DEP_1)
	v_fmaak_f32 v24, s21, v23, 0x3ecc95a3
	v_dual_mul_f32 v26, v21, v23 :: v_dual_fmaak_f32 v23, v23, v24, 0x3f2aaada
	v_max_f32_e64 v24, |v15|, |v15|
	s_delay_alu instid0(VALU_DEP_1) | instskip(SKIP_3) | instid1(VALU_DEP_4)
	v_dual_mul_f32 v23, v26, v23 :: v_dual_max_f32 v26, v24, v25
	v_min_f32_e32 v24, v24, v25
	v_ldexp_f32 v27, v21, 1
	v_sub_f32_e32 v21, v21, v22
	v_frexp_mant_f32_e32 v25, v26
	v_frexp_exp_i32_f32_e32 v26, v26
	s_delay_alu instid0(VALU_DEP_4) | instskip(NEXT) | instid1(VALU_DEP_4)
	v_add_f32_e32 v22, v27, v23
	v_sub_f32_e32 v19, v19, v21
	s_delay_alu instid0(VALU_DEP_4) | instskip(NEXT) | instid1(VALU_DEP_2)
	v_rcp_f32_e32 v25, v25
	v_sub_f32_e32 v21, v22, v27
	s_delay_alu instid0(VALU_DEP_2) | instskip(SKIP_1) | instid1(VALU_DEP_3)
	v_ldexp_f32 v19, v19, 1
	v_frexp_exp_i32_f32_e32 v27, v24
	v_sub_f32_e32 v21, v23, v21
	v_frexp_mant_f32_e32 v23, v24
	s_delay_alu instid0(VALU_DEP_3) | instskip(NEXT) | instid1(VALU_DEP_3)
	v_sub_nc_u32_e32 v24, v27, v26
	v_add_f32_e32 v18, v19, v21
	v_add_f32_e32 v21, v28, v29
	s_delay_alu instid0(VALU_DEP_1) | instskip(NEXT) | instid1(VALU_DEP_1)
	v_sub_f32_e32 v28, v21, v28
	v_dual_sub_f32 v28, v29, v28 :: v_dual_mul_f32 v19, v23, v25
	s_delay_alu instid0(VALU_DEP_4) | instskip(NEXT) | instid1(VALU_DEP_2)
	v_add_f32_e32 v23, v22, v18
	v_ldexp_f32 v19, v19, v24
	s_delay_alu instid0(VALU_DEP_2) | instskip(NEXT) | instid1(VALU_DEP_1)
	v_add_f32_e32 v24, v21, v23
	v_dual_sub_f32 v26, v24, v21 :: v_dual_mul_f32 v25, v19, v19
	v_sub_f32_e32 v22, v23, v22
	s_delay_alu instid0(VALU_DEP_2) | instskip(NEXT) | instid1(VALU_DEP_2)
	v_dual_sub_f32 v30, v24, v26 :: v_dual_fmaak_f32 v27, s26, v25, 0xbc7a590c
	v_sub_f32_e32 v18, v18, v22
	s_delay_alu instid0(VALU_DEP_2) | instskip(NEXT) | instid1(VALU_DEP_2)
	v_dual_sub_f32 v22, v23, v26 :: v_dual_fmaak_f32 v27, v25, v27, 0x3d29fb3f
	v_add_f32_e32 v26, v28, v18
	s_delay_alu instid0(VALU_DEP_4) | instskip(NEXT) | instid1(VALU_DEP_3)
	v_sub_f32_e32 v21, v21, v30
	v_fmaak_f32 v23, v25, v27, 0xbd97d4d7
	s_delay_alu instid0(VALU_DEP_1) | instskip(NEXT) | instid1(VALU_DEP_4)
	v_dual_add_f32 v21, v22, v21 :: v_dual_fmaak_f32 v22, v25, v23, 0x3dd931b2
	v_sub_f32_e32 v23, v26, v28
	s_delay_alu instid0(VALU_DEP_2) | instskip(NEXT) | instid1(VALU_DEP_1)
	v_dual_add_f32 v21, v26, v21 :: v_dual_fmaak_f32 v22, v25, v22, 0xbe1160e6
	v_dual_sub_f32 v26, v26, v23 :: v_dual_add_f32 v27, v24, v21
	v_sub_f32_e32 v18, v18, v23
	s_delay_alu instid0(VALU_DEP_3) | instskip(NEXT) | instid1(VALU_DEP_3)
	v_fmaak_f32 v22, v25, v22, 0x3e4cb8bf
	v_sub_f32_e32 v23, v28, v26
	s_delay_alu instid0(VALU_DEP_2) | instskip(NEXT) | instid1(VALU_DEP_1)
	v_fmaak_f32 v22, v25, v22, 0xbeaaaa62
	v_mul_f32_e32 v22, v25, v22
	s_delay_alu instid0(VALU_DEP_1) | instskip(SKIP_1) | instid1(VALU_DEP_1)
	v_fmac_f32_e32 v19, v19, v22
	v_sub_f32_e32 v24, v27, v24
	v_dual_add_f32 v18, v18, v23 :: v_dual_sub_f32 v21, v21, v24
	s_delay_alu instid0(VALU_DEP_1) | instskip(NEXT) | instid1(VALU_DEP_1)
	v_add_f32_e32 v18, v18, v21
	v_add_f32_e32 v18, v27, v18
	s_delay_alu instid0(VALU_DEP_1) | instskip(SKIP_1) | instid1(VALU_DEP_2)
	v_dual_cndmask_b32 v18, v18, v20 :: v_dual_sub_f32 v21, 0x3fc90fdb, v19
	v_cmp_gt_i32_e32 vcc_lo, 0, v15
	v_cndmask_b32_e64 v19, v19, v21, s4
	v_cndmask_b32_e64 v21, 0, 0x40490fdb, vcc_lo
	v_cmp_ngt_f32_e32 vcc_lo, -1.0, v20
	s_delay_alu instid0(VALU_DEP_3) | instskip(SKIP_2) | instid1(VALU_DEP_2)
	v_sub_f32_e32 v22, 0x40490fdb, v19
	v_cndmask_b32_e32 v18, 0x7fc00000, v18, vcc_lo
	v_cmp_gt_f32_e32 vcc_lo, 0, v15
	v_cndmask_b32_e64 v15, 0xff800000, v18, s5
	s_delay_alu instid0(VALU_DEP_4)
	v_cndmask_b32_e32 v18, v19, v22, vcc_lo
	v_cndmask_b32_e32 v19, 0x3f490fdb, v17, vcc_lo
	v_cmp_gt_f32_e64 vcc_lo, 0x33800000, |v20|
	v_cmp_class_f32_e64 s5, v16, 0x204
	v_cndmask_b32_e32 v15, v15, v20, vcc_lo
	v_cmp_eq_f32_e32 vcc_lo, 0, v16
	v_cndmask_b32_e32 v20, v18, v21, vcc_lo
	s_delay_alu instid0(VALU_DEP_4) | instskip(NEXT) | instid1(VALU_DEP_3)
	s_and_b32 vcc_lo, s5, s6
	v_mul_f32_e32 v18, 0.5, v15
	s_delay_alu instid0(VALU_DEP_2)
	v_cndmask_b32_e32 v19, v20, v19, vcc_lo
.LBB181_166:                            ;   in Loop: Header=BB181_145 Depth=1
	s_or_b32 exec_lo, exec_lo, s33
.LBB181_167:                            ;   in Loop: Header=BB181_145 Depth=1
	s_delay_alu instid0(SALU_CYCLE_1)
	s_or_b32 exec_lo, exec_lo, s31
.LBB181_168:                            ;   in Loop: Header=BB181_145 Depth=1
	s_and_not1_saveexec_b32 s6, s30
	s_cbranch_execz .LBB181_170
; %bb.169:                              ;   in Loop: Header=BB181_145 Depth=1
	v_max_f32_e64 v20, |v16|, |v16|
	v_max_f32_e64 v21, |v15|, |v15|
	v_cmp_gt_i32_e64 s5, 0, v15
	v_cmp_class_f32_e64 s7, v15, 0x204
	v_cmp_class_f32_e64 s8, v16, 0x204
	s_delay_alu instid0(VALU_DEP_4) | instskip(SKIP_1) | instid1(VALU_DEP_2)
	v_max_f32_e32 v22, v21, v20
	v_min_f32_e32 v20, v21, v20
	v_cvt_f64_f32_e32 v[18:19], v22
	s_delay_alu instid0(VALU_DEP_2) | instskip(SKIP_1) | instid1(VALU_DEP_3)
	v_frexp_exp_i32_f32_e32 v23, v20
	v_frexp_mant_f32_e32 v20, v20
	v_frexp_exp_i32_f64_e32 v18, v[18:19]
	v_frexp_mant_f32_e32 v19, v22
	s_delay_alu instid0(VALU_DEP_1) | instskip(SKIP_4) | instid1(VALU_DEP_2)
	v_rcp_f32_e32 v19, v19
	s_waitcnt_depctr 0xfff
	v_mul_f32_e32 v19, v20, v19
	v_frexp_exp_i32_f32_e32 v21, v22
	v_cmp_neq_f32_e32 vcc_lo, 0x7f800000, v22
	v_sub_nc_u32_e32 v21, v23, v21
	s_delay_alu instid0(VALU_DEP_1) | instskip(NEXT) | instid1(VALU_DEP_1)
	v_ldexp_f32 v19, v19, v21
	v_mul_f32_e32 v23, v19, v19
	v_sub_nc_u32_e32 v24, 0, v18
	s_delay_alu instid0(VALU_DEP_1) | instskip(SKIP_1) | instid1(VALU_DEP_2)
	v_ldexp_f32 v20, |v16|, v24
	v_ldexp_f32 v21, |v15|, v24
	v_mul_f32_e32 v20, v20, v20
	s_delay_alu instid0(VALU_DEP_1) | instskip(NEXT) | instid1(VALU_DEP_1)
	v_dual_fmac_f32 v20, v21, v21 :: v_dual_fmaak_f32 v21, s26, v23, 0xbc7a590c
	v_sqrt_f32_e32 v20, v20
	s_delay_alu instid0(VALU_DEP_1) | instskip(NEXT) | instid1(VALU_DEP_1)
	v_fmaak_f32 v21, v23, v21, 0x3d29fb3f
	v_fmaak_f32 v21, v23, v21, 0xbd97d4d7
	s_waitcnt_depctr 0xfff
	v_ldexp_f32 v18, v20, v18
	v_fmaak_f32 v20, v23, v21, 0x3dd931b2
	s_delay_alu instid0(VALU_DEP_1) | instskip(NEXT) | instid1(VALU_DEP_1)
	v_fmaak_f32 v20, v23, v20, 0xbe1160e6
	v_fmaak_f32 v20, v23, v20, 0x3e4cb8bf
	s_delay_alu instid0(VALU_DEP_1) | instskip(NEXT) | instid1(VALU_DEP_1)
	v_fmaak_f32 v20, v23, v20, 0xbeaaaa62
	v_mul_f32_e32 v20, v23, v20
	s_delay_alu instid0(VALU_DEP_1) | instskip(NEXT) | instid1(VALU_DEP_1)
	v_dual_cndmask_b32 v18, 0x7f800000, v18 :: v_dual_fmac_f32 v19, v19, v20
	v_cmp_gt_f32_e32 vcc_lo, 0x800000, v18
	v_cndmask_b32_e64 v21, 1.0, 0x4f800000, vcc_lo
	s_delay_alu instid0(VALU_DEP_1) | instskip(NEXT) | instid1(VALU_DEP_1)
	v_dual_mul_f32 v18, v18, v21 :: v_dual_sub_f32 v21, 0x3fc90fdb, v19
	v_cndmask_b32_e64 v19, v19, v21, s4
	v_cndmask_b32_e64 v21, 0, 0x40490fdb, s5
	v_cmp_gt_f32_e64 s5, 0, v15
	s_delay_alu instid0(VALU_DEP_3) | instskip(SKIP_1) | instid1(VALU_DEP_1)
	v_sub_f32_e32 v23, 0x40490fdb, v19
	v_log_f32_e32 v18, v18
	v_cndmask_b32_e64 v19, v19, v23, s5
	s_waitcnt_depctr 0xfff
	v_mul_f32_e32 v20, 0x3f317217, v18
	s_delay_alu instid0(VALU_DEP_1) | instskip(NEXT) | instid1(VALU_DEP_1)
	v_fma_f32 v22, 0x3f317217, v18, -v20
	v_fmac_f32_e32 v22, 0x3377d1cf, v18
	s_delay_alu instid0(VALU_DEP_1) | instskip(SKIP_3) | instid1(VALU_DEP_4)
	v_add_f32_e32 v15, v20, v22
	v_cndmask_b32_e64 v22, 0, 0x41b17218, vcc_lo
	v_cmp_gt_f32_e64 vcc_lo, 0x7f800000, |v18|
	v_cndmask_b32_e64 v20, 0x3f490fdb, v17, s5
	v_cndmask_b32_e32 v15, v18, v15, vcc_lo
	v_cmp_eq_f32_e32 vcc_lo, 0, v16
	s_delay_alu instid0(VALU_DEP_2) | instskip(SKIP_2) | instid1(VALU_DEP_1)
	v_sub_f32_e32 v18, v15, v22
	v_cndmask_b32_e32 v19, v19, v21, vcc_lo
	s_and_b32 vcc_lo, s8, s7
	v_cndmask_b32_e32 v19, v19, v20, vcc_lo
.LBB181_170:                            ;   in Loop: Header=BB181_145 Depth=1
	s_or_b32 exec_lo, exec_lo, s6
                                        ; implicit-def: $vgpr20
.LBB181_171:                            ;   in Loop: Header=BB181_145 Depth=1
	s_and_not1_saveexec_b32 s6, s29
	s_cbranch_execz .LBB181_177
; %bb.172:                              ;   in Loop: Header=BB181_145 Depth=1
                                        ; implicit-def: $vgpr18
                                        ; implicit-def: $vgpr19
	s_mov_b32 s5, exec_lo
	v_cmpx_ngt_f32_e32 0x1fec1e4a, v20
	s_xor_b32 s7, exec_lo, s5
	s_cbranch_execz .LBB181_174
; %bb.173:                              ;   in Loop: Header=BB181_145 Depth=1
	v_mul_f32_e32 v20, v20, v20
	v_cmp_class_f32_e64 s8, v15, 0x204
	v_cmp_gt_f32_e64 s5, 0, v15
	v_cmp_class_f32_e64 s10, v16, 0x204
	s_delay_alu instid0(VALU_DEP_4) | instskip(NEXT) | instid1(VALU_DEP_1)
	v_add_f32_e32 v21, 1.0, v20
	v_cvt_f64_f32_e32 v[18:19], v21
	s_delay_alu instid0(VALU_DEP_1) | instskip(SKIP_1) | instid1(VALU_DEP_1)
	v_frexp_exp_i32_f64_e32 v18, v[18:19]
	v_frexp_mant_f32_e32 v19, v21
	v_cmp_gt_f32_e32 vcc_lo, 0x3f2aaaab, v19
	v_add_f32_e32 v19, -1.0, v21
	v_cmp_gt_f32_e64 s9, 0x33800000, |v20|
	s_delay_alu instid0(VALU_DEP_2) | instskip(SKIP_2) | instid1(VALU_DEP_2)
	v_sub_f32_e32 v23, v19, v21
	v_subrev_co_ci_u32_e32 v18, vcc_lo, 0, v18, vcc_lo
	v_cmp_gt_i32_e32 vcc_lo, 0, v15
	v_sub_nc_u32_e32 v22, 0, v18
	v_cvt_f32_i32_e32 v18, v18
	s_delay_alu instid0(VALU_DEP_2) | instskip(SKIP_1) | instid1(VALU_DEP_2)
	v_ldexp_f32 v21, v21, v22
	v_sub_f32_e32 v19, v20, v19
	v_dual_add_f32 v23, 1.0, v23 :: v_dual_add_f32 v24, 1.0, v21
	s_delay_alu instid0(VALU_DEP_1) | instskip(NEXT) | instid1(VALU_DEP_2)
	v_add_f32_e32 v19, v19, v23
	v_add_f32_e32 v23, -1.0, v24
	s_delay_alu instid0(VALU_DEP_2) | instskip(NEXT) | instid1(VALU_DEP_2)
	v_ldexp_f32 v19, v19, v22
	v_dual_add_f32 v22, -1.0, v21 :: v_dual_sub_f32 v23, v21, v23
	s_delay_alu instid0(VALU_DEP_1) | instskip(NEXT) | instid1(VALU_DEP_2)
	v_add_f32_e32 v25, 1.0, v22
	v_add_f32_e32 v23, v19, v23
	s_delay_alu instid0(VALU_DEP_2) | instskip(NEXT) | instid1(VALU_DEP_2)
	v_sub_f32_e32 v21, v21, v25
	v_add_f32_e32 v25, v24, v23
	s_delay_alu instid0(VALU_DEP_2) | instskip(NEXT) | instid1(VALU_DEP_2)
	v_add_f32_e32 v19, v19, v21
	v_rcp_f32_e32 v21, v25
	v_sub_f32_e32 v24, v24, v25
	s_delay_alu instid0(VALU_DEP_1) | instskip(NEXT) | instid1(VALU_DEP_1)
	v_dual_add_f32 v26, v22, v19 :: v_dual_add_f32 v23, v23, v24
	v_sub_f32_e32 v22, v22, v26
	s_waitcnt_depctr 0xfff
	v_mul_f32_e32 v27, v26, v21
	s_delay_alu instid0(VALU_DEP_1) | instskip(NEXT) | instid1(VALU_DEP_1)
	v_dual_add_f32 v19, v19, v22 :: v_dual_mul_f32 v28, v25, v27
	v_fma_f32 v24, v27, v25, -v28
	s_delay_alu instid0(VALU_DEP_1) | instskip(NEXT) | instid1(VALU_DEP_1)
	v_fmac_f32_e32 v24, v27, v23
	v_add_f32_e32 v29, v28, v24
	s_delay_alu instid0(VALU_DEP_1) | instskip(SKIP_1) | instid1(VALU_DEP_2)
	v_sub_f32_e32 v30, v26, v29
	v_sub_f32_e32 v22, v29, v28
	;; [unrolled: 1-line block ×3, first 2 shown]
	s_delay_alu instid0(VALU_DEP_2) | instskip(NEXT) | instid1(VALU_DEP_2)
	v_sub_f32_e32 v22, v22, v24
	v_sub_f32_e32 v26, v26, v29
	s_delay_alu instid0(VALU_DEP_1) | instskip(NEXT) | instid1(VALU_DEP_1)
	v_add_f32_e32 v19, v19, v26
	v_add_f32_e32 v19, v22, v19
	s_delay_alu instid0(VALU_DEP_1) | instskip(NEXT) | instid1(VALU_DEP_1)
	v_add_f32_e32 v22, v30, v19
	v_mul_f32_e32 v24, v21, v22
	s_delay_alu instid0(VALU_DEP_1) | instskip(NEXT) | instid1(VALU_DEP_1)
	v_dual_sub_f32 v29, v30, v22 :: v_dual_mul_f32 v26, v25, v24
	v_fma_f32 v25, v24, v25, -v26
	s_delay_alu instid0(VALU_DEP_1) | instskip(NEXT) | instid1(VALU_DEP_1)
	v_fmac_f32_e32 v25, v24, v23
	v_add_f32_e32 v23, v26, v25
	s_delay_alu instid0(VALU_DEP_1) | instskip(SKIP_1) | instid1(VALU_DEP_2)
	v_sub_f32_e32 v28, v22, v23
	v_sub_f32_e32 v26, v23, v26
	v_dual_sub_f32 v22, v22, v28 :: v_dual_add_f32 v19, v19, v29
	s_delay_alu instid0(VALU_DEP_1) | instskip(NEXT) | instid1(VALU_DEP_1)
	v_sub_f32_e32 v22, v22, v23
	v_add_f32_e32 v19, v19, v22
	s_delay_alu instid0(VALU_DEP_4) | instskip(NEXT) | instid1(VALU_DEP_1)
	v_dual_add_f32 v22, v27, v24 :: v_dual_sub_f32 v23, v26, v25
	v_add_f32_e32 v19, v23, v19
	s_delay_alu instid0(VALU_DEP_2) | instskip(NEXT) | instid1(VALU_DEP_2)
	v_sub_f32_e32 v23, v22, v27
	v_add_f32_e32 v19, v28, v19
	s_delay_alu instid0(VALU_DEP_2) | instskip(SKIP_1) | instid1(VALU_DEP_3)
	v_sub_f32_e32 v23, v24, v23
	v_max_f32_e64 v24, |v15|, |v15|
	v_mul_f32_e32 v19, v21, v19
	v_max_f32_e64 v21, |v16|, |v16|
	s_delay_alu instid0(VALU_DEP_1) | instskip(SKIP_1) | instid1(VALU_DEP_2)
	v_dual_add_f32 v19, v23, v19 :: v_dual_max_f32 v26, v24, v21
	v_min_f32_e32 v21, v24, v21
	v_add_f32_e32 v23, v22, v19
	s_delay_alu instid0(VALU_DEP_3) | instskip(SKIP_1) | instid1(VALU_DEP_3)
	v_frexp_mant_f32_e32 v28, v26
	v_frexp_exp_i32_f32_e32 v24, v26
	v_mul_f32_e32 v25, v23, v23
	v_ldexp_f32 v29, v23, 1
	s_delay_alu instid0(VALU_DEP_2) | instskip(SKIP_1) | instid1(VALU_DEP_2)
	v_dual_sub_f32 v22, v23, v22 :: v_dual_fmaak_f32 v27, s21, v25, 0x3ecc95a3
	v_mul_f32_e32 v26, v23, v25
	v_sub_f32_e32 v19, v19, v22
	s_delay_alu instid0(VALU_DEP_3)
	v_fmaak_f32 v25, v25, v27, 0x3f2aaada
	v_rcp_f32_e32 v27, v28
	v_frexp_exp_i32_f32_e32 v28, v21
	v_frexp_mant_f32_e32 v21, v21
	v_ldexp_f32 v19, v19, 1
	v_dual_mul_f32 v25, v26, v25 :: v_dual_mul_f32 v26, 0x3f317218, v18
	s_delay_alu instid0(VALU_DEP_4) | instskip(NEXT) | instid1(VALU_DEP_2)
	v_sub_nc_u32_e32 v24, v28, v24
	v_add_f32_e32 v23, v29, v25
	s_delay_alu instid0(TRANS32_DEP_1) | instid1(VALU_DEP_1)
	v_dual_mul_f32 v21, v21, v27 :: v_dual_sub_f32 v22, v23, v29
	s_delay_alu instid0(VALU_DEP_1) | instskip(SKIP_1) | instid1(VALU_DEP_3)
	v_ldexp_f32 v21, v21, v24
	v_fma_f32 v24, 0x3f317218, v18, -v26
	v_sub_f32_e32 v22, v25, v22
	s_delay_alu instid0(VALU_DEP_2) | instskip(NEXT) | instid1(VALU_DEP_2)
	v_fmac_f32_e32 v24, 0xb102e308, v18
	v_add_f32_e32 v18, v19, v22
	s_delay_alu instid0(VALU_DEP_1) | instskip(NEXT) | instid1(VALU_DEP_1)
	v_dual_add_f32 v22, v26, v24 :: v_dual_add_f32 v27, v23, v18
	v_sub_f32_e32 v26, v22, v26
	s_delay_alu instid0(VALU_DEP_2) | instskip(NEXT) | instid1(VALU_DEP_2)
	v_add_f32_e32 v28, v22, v27
	v_dual_sub_f32 v23, v27, v23 :: v_dual_sub_f32 v24, v24, v26
	s_delay_alu instid0(VALU_DEP_1) | instskip(NEXT) | instid1(VALU_DEP_1)
	v_dual_sub_f32 v29, v28, v22 :: v_dual_sub_f32 v18, v18, v23
	v_sub_f32_e32 v30, v28, v29
	s_delay_alu instid0(VALU_DEP_2) | instskip(NEXT) | instid1(VALU_DEP_2)
	v_dual_sub_f32 v23, v27, v29 :: v_dual_add_f32 v26, v24, v18
	v_sub_f32_e32 v22, v22, v30
	s_delay_alu instid0(VALU_DEP_1) | instskip(NEXT) | instid1(VALU_DEP_1)
	v_dual_add_f32 v22, v23, v22 :: v_dual_sub_f32 v23, v26, v24
	v_dual_add_f32 v22, v26, v22 :: v_dual_mul_f32 v25, v21, v21
	s_delay_alu instid0(VALU_DEP_1) | instskip(NEXT) | instid1(VALU_DEP_1)
	v_dual_sub_f32 v18, v18, v23 :: v_dual_fmaak_f32 v19, s26, v25, 0xbc7a590c
	v_fmaak_f32 v19, v25, v19, 0x3d29fb3f
	s_delay_alu instid0(VALU_DEP_1) | instskip(NEXT) | instid1(VALU_DEP_1)
	v_fmaak_f32 v19, v25, v19, 0xbd97d4d7
	v_fmaak_f32 v19, v25, v19, 0x3dd931b2
	s_delay_alu instid0(VALU_DEP_1) | instskip(NEXT) | instid1(VALU_DEP_1)
	v_fmaak_f32 v19, v25, v19, 0xbe1160e6
	;; [unrolled: 3-line block ×3, first 2 shown]
	v_mul_f32_e32 v19, v25, v19
	v_dual_sub_f32 v25, v26, v23 :: v_dual_add_f32 v26, v28, v22
	s_delay_alu instid0(VALU_DEP_2) | instskip(NEXT) | instid1(VALU_DEP_2)
	v_fmac_f32_e32 v21, v21, v19
	v_sub_f32_e32 v19, v24, v25
	s_delay_alu instid0(VALU_DEP_2) | instskip(NEXT) | instid1(VALU_DEP_2)
	v_dual_sub_f32 v23, v26, v28 :: v_dual_sub_f32 v24, 0x3fc90fdb, v21
	v_add_f32_e32 v18, v18, v19
	s_delay_alu instid0(VALU_DEP_2) | instskip(SKIP_3) | instid1(VALU_DEP_4)
	v_sub_f32_e32 v19, v22, v23
	v_cndmask_b32_e64 v22, 0, 0x40490fdb, vcc_lo
	v_cmp_eq_f32_e32 vcc_lo, 0x7f800000, v20
	v_cndmask_b32_e64 v21, v21, v24, s4
	v_add_f32_e32 v18, v18, v19
	s_or_b32 vcc_lo, vcc_lo, s9
	s_delay_alu instid0(VALU_DEP_2) | instskip(NEXT) | instid1(VALU_DEP_2)
	v_sub_f32_e32 v19, 0x40490fdb, v21
	v_add_f32_e32 v15, v26, v18
	s_delay_alu instid0(VALU_DEP_2) | instskip(SKIP_1) | instid1(VALU_DEP_3)
	v_cndmask_b32_e64 v18, v21, v19, s5
	v_cndmask_b32_e64 v19, 0x3f490fdb, v17, s5
	v_cndmask_b32_e32 v15, v15, v20, vcc_lo
	v_cmp_eq_f32_e32 vcc_lo, 0, v16
	s_delay_alu instid0(VALU_DEP_4) | instskip(SKIP_1) | instid1(VALU_DEP_3)
	v_cndmask_b32_e32 v20, v18, v22, vcc_lo
	s_and_b32 vcc_lo, s10, s8
	v_mul_f32_e32 v18, 0.5, v15
	s_delay_alu instid0(VALU_DEP_2)
	v_cndmask_b32_e32 v19, v20, v19, vcc_lo
                                        ; implicit-def: $vgpr20
.LBB181_174:                            ;   in Loop: Header=BB181_145 Depth=1
	s_and_not1_saveexec_b32 s7, s7
	s_cbranch_execz .LBB181_176
; %bb.175:                              ;   in Loop: Header=BB181_145 Depth=1
	v_max_f32_e64 v18, |v16|, |v16|
	v_max_f32_e64 v19, |v15|, |v15|
	v_cmp_gt_i32_e32 vcc_lo, 0, v15
	v_cmp_eq_f32_e64 s5, 0, v16
	v_cmp_class_f32_e64 s8, v15, 0x204
	v_cmp_class_f32_e64 s9, v16, 0x204
	v_max_f32_e32 v21, v19, v18
	v_min_f32_e32 v18, v19, v18
	s_delay_alu instid0(VALU_DEP_2) | instskip(NEXT) | instid1(VALU_DEP_1)
	v_frexp_mant_f32_e32 v22, v21
	v_rcp_f32_e32 v19, v22
	s_delay_alu instid0(VALU_DEP_2) | instskip(SKIP_4) | instid1(VALU_DEP_1)
	v_frexp_exp_i32_f32_e32 v22, v18
	v_frexp_mant_f32_e32 v18, v18
	s_waitcnt_depctr 0xfff
	v_mul_f32_e32 v18, v18, v19
	v_frexp_exp_i32_f32_e32 v21, v21
	v_sub_nc_u32_e32 v21, v22, v21
	s_delay_alu instid0(VALU_DEP_1) | instskip(NEXT) | instid1(VALU_DEP_1)
	v_ldexp_f32 v18, v18, v21
	v_mul_f32_e32 v19, v18, v18
	s_delay_alu instid0(VALU_DEP_1) | instskip(NEXT) | instid1(VALU_DEP_1)
	v_fmaak_f32 v21, s26, v19, 0xbc7a590c
	v_fmaak_f32 v21, v19, v21, 0x3d29fb3f
	s_delay_alu instid0(VALU_DEP_1) | instskip(NEXT) | instid1(VALU_DEP_1)
	v_fmaak_f32 v21, v19, v21, 0xbd97d4d7
	v_fmaak_f32 v21, v19, v21, 0x3dd931b2
	;; [unrolled: 3-line block ×3, first 2 shown]
	s_delay_alu instid0(VALU_DEP_1) | instskip(NEXT) | instid1(VALU_DEP_1)
	v_fmaak_f32 v21, v19, v21, 0xbeaaaa62
	v_mul_f32_e32 v19, v19, v21
	v_cndmask_b32_e64 v21, 0, 0x40490fdb, vcc_lo
	v_cmp_gt_f32_e32 vcc_lo, 0, v15
	s_delay_alu instid0(VALU_DEP_3) | instskip(NEXT) | instid1(VALU_DEP_1)
	v_fmac_f32_e32 v18, v18, v19
	v_sub_f32_e32 v19, 0x3fc90fdb, v18
	s_delay_alu instid0(VALU_DEP_1) | instskip(NEXT) | instid1(VALU_DEP_1)
	v_cndmask_b32_e64 v18, v18, v19, s4
	v_sub_f32_e32 v19, 0x40490fdb, v18
	s_delay_alu instid0(VALU_DEP_1) | instskip(NEXT) | instid1(VALU_DEP_1)
	v_dual_cndmask_b32 v18, v18, v19 :: v_dual_mul_f32 v19, 0.5, v20
	v_cndmask_b32_e64 v15, v18, v21, s5
	s_delay_alu instid0(VALU_DEP_2) | instskip(SKIP_1) | instid1(VALU_DEP_1)
	v_dual_mul_f32 v18, v20, v19 :: v_dual_cndmask_b32 v21, 0x3f490fdb, v17
	s_and_b32 vcc_lo, s9, s8
	v_cndmask_b32_e32 v19, v15, v21, vcc_lo
.LBB181_176:                            ;   in Loop: Header=BB181_145 Depth=1
	s_or_b32 exec_lo, exec_lo, s7
.LBB181_177:                            ;   in Loop: Header=BB181_145 Depth=1
	s_delay_alu instid0(SALU_CYCLE_1)
	s_or_b32 exec_lo, exec_lo, s6
.LBB181_178:                            ;   in Loop: Header=BB181_145 Depth=1
	s_and_not1_saveexec_b32 s6, s28
	s_cbranch_execz .LBB181_180
; %bb.179:                              ;   in Loop: Header=BB181_145 Depth=1
	v_div_scale_f32 v18, null, 0x402df854, 0x402df854, v15
	v_div_scale_f32 v19, null, 0x402df854, 0x402df854, v16
	v_div_scale_f32 v24, vcc_lo, v15, 0x402df854, v15
	s_delay_alu instid0(VALU_DEP_3) | instskip(NEXT) | instid1(VALU_DEP_2)
	v_rcp_f32_e32 v20, v18
	v_rcp_f32_e32 v21, v19
	v_cmp_class_f32_e64 s7, v16, 0x204
	s_waitcnt_depctr 0xfff
	v_fma_f32 v22, -v18, v20, 1.0
	v_fma_f32 v23, -v19, v21, 1.0
	s_delay_alu instid0(VALU_DEP_1) | instskip(SKIP_1) | instid1(VALU_DEP_2)
	v_dual_fmac_f32 v20, v22, v20 :: v_dual_fmac_f32 v21, v23, v21
	v_div_scale_f32 v22, s5, v16, 0x402df854, v16
	v_mul_f32_e32 v23, v24, v20
	s_delay_alu instid0(VALU_DEP_1) | instskip(NEXT) | instid1(VALU_DEP_1)
	v_fma_f32 v26, -v18, v23, v24
	v_fmac_f32_e32 v23, v26, v20
	s_delay_alu instid0(VALU_DEP_1) | instskip(NEXT) | instid1(VALU_DEP_1)
	v_fma_f32 v18, -v18, v23, v24
	v_div_fmas_f32 v18, v18, v20, v23
	v_max_f32_e64 v23, |v15|, |v15|
	v_mul_f32_e32 v25, v22, v21
	s_mov_b32 vcc_lo, s5
	v_cmp_class_f32_e64 s5, v15, 0x204
	v_div_fixup_f32 v20, v18, 0x402df854, v15
	s_delay_alu instid0(VALU_DEP_3) | instskip(NEXT) | instid1(VALU_DEP_1)
	v_fma_f32 v27, -v19, v25, v22
	v_fmac_f32_e32 v25, v27, v21
	s_delay_alu instid0(VALU_DEP_1) | instskip(NEXT) | instid1(VALU_DEP_1)
	v_fma_f32 v19, -v19, v25, v22
	v_div_fmas_f32 v19, v19, v21, v25
	s_delay_alu instid0(VALU_DEP_1) | instskip(NEXT) | instid1(VALU_DEP_1)
	v_div_fixup_f32 v21, v19, 0x402df854, v16
	v_max_f32_e64 v22, |v20|, |v21|
	s_delay_alu instid0(VALU_DEP_1) | instskip(SKIP_1) | instid1(VALU_DEP_2)
	v_cvt_f64_f32_e32 v[18:19], v22
	v_cmp_neq_f32_e32 vcc_lo, 0x7f800000, v22
	v_frexp_exp_i32_f64_e32 v18, v[18:19]
	v_max_f32_e64 v19, |v16|, |v16|
	s_delay_alu instid0(VALU_DEP_1) | instskip(SKIP_1) | instid1(VALU_DEP_2)
	v_max_f32_e32 v24, v23, v19
	v_min_f32_e32 v19, v23, v19
	v_frexp_mant_f32_e32 v25, v24
	v_frexp_exp_i32_f32_e32 v24, v24
	s_delay_alu instid0(VALU_DEP_3) | instskip(SKIP_1) | instid1(VALU_DEP_4)
	v_frexp_exp_i32_f32_e32 v26, v19
	v_frexp_mant_f32_e32 v19, v19
	v_rcp_f32_e32 v23, v25
	s_delay_alu instid0(VALU_DEP_2) | instskip(SKIP_1) | instid1(VALU_DEP_1)
	v_sub_nc_u32_e32 v24, v26, v24
	v_sub_nc_u32_e32 v25, 0, v18
	v_ldexp_f32 v21, |v21|, v25
	v_ldexp_f32 v20, |v20|, v25
	s_delay_alu instid0(VALU_DEP_2) | instskip(NEXT) | instid1(VALU_DEP_1)
	v_mul_f32_e32 v21, v21, v21
	v_fmac_f32_e32 v21, v20, v20
	s_delay_alu instid0(VALU_DEP_1) | instskip(SKIP_2) | instid1(VALU_DEP_1)
	v_sqrt_f32_e32 v21, v21
	s_waitcnt_depctr 0xfff
	v_ldexp_f32 v18, v21, v18
	v_cndmask_b32_e32 v18, 0x7f800000, v18, vcc_lo
	s_delay_alu instid0(VALU_DEP_1) | instskip(SKIP_1) | instid1(VALU_DEP_1)
	v_cmp_gt_f32_e32 vcc_lo, 0x800000, v18
	v_cndmask_b32_e64 v22, 1.0, 0x4f800000, vcc_lo
	v_mul_f32_e32 v18, v18, v22
	s_delay_alu instid0(VALU_DEP_1) | instskip(SKIP_1) | instid1(VALU_DEP_1)
	v_log_f32_e32 v18, v18
	v_mul_f32_e32 v19, v19, v23
	v_ldexp_f32 v19, v19, v24
	s_delay_alu instid0(VALU_DEP_1) | instskip(NEXT) | instid1(VALU_DEP_1)
	v_mul_f32_e32 v20, v19, v19
	v_fmaak_f32 v23, s26, v20, 0xbc7a590c
	s_delay_alu instid0(VALU_DEP_1) | instskip(NEXT) | instid1(VALU_DEP_1)
	v_fmaak_f32 v23, v20, v23, 0x3d29fb3f
	v_fmaak_f32 v21, v20, v23, 0xbd97d4d7
	v_cndmask_b32_e64 v23, 0, 0x41b17218, vcc_lo
	s_delay_alu instid0(TRANS32_DEP_1) | instskip(NEXT) | instid1(VALU_DEP_3)
	v_cmp_gt_f32_e64 vcc_lo, 0x7f800000, |v18|
	v_fmaak_f32 v21, v20, v21, 0x3dd931b2
	s_delay_alu instid0(VALU_DEP_1) | instskip(NEXT) | instid1(VALU_DEP_1)
	v_fmaak_f32 v21, v20, v21, 0xbe1160e6
	v_fmaak_f32 v21, v20, v21, 0x3e4cb8bf
	s_delay_alu instid0(VALU_DEP_1) | instskip(NEXT) | instid1(VALU_DEP_1)
	v_fmaak_f32 v21, v20, v21, 0xbeaaaa62
	v_dual_mul_f32 v20, v20, v21 :: v_dual_mul_f32 v21, 0x3f317217, v18
	s_delay_alu instid0(VALU_DEP_1) | instskip(NEXT) | instid1(VALU_DEP_2)
	v_fmac_f32_e32 v19, v19, v20
	v_fma_f32 v20, 0x3f317217, v18, -v21
	s_delay_alu instid0(VALU_DEP_2) | instskip(NEXT) | instid1(VALU_DEP_2)
	v_sub_f32_e32 v22, 0x3fc90fdb, v19
	v_fmac_f32_e32 v20, 0x3377d1cf, v18
	s_delay_alu instid0(VALU_DEP_2) | instskip(SKIP_1) | instid1(VALU_DEP_2)
	v_cndmask_b32_e64 v19, v19, v22, s4
	v_cmp_gt_i32_e64 s4, 0, v15
	v_dual_add_f32 v20, v21, v20 :: v_dual_sub_f32 v21, 0x40490fdb, v19
	s_delay_alu instid0(VALU_DEP_2) | instskip(NEXT) | instid1(VALU_DEP_2)
	v_cndmask_b32_e64 v22, 0, 0x40490fdb, s4
	v_cndmask_b32_e32 v18, v18, v20, vcc_lo
	v_cmp_gt_f32_e64 s4, 0, v15
	v_cmp_eq_f32_e32 vcc_lo, 0, v16
	s_delay_alu instid0(VALU_DEP_3) | instskip(NEXT) | instid1(VALU_DEP_3)
	v_sub_f32_e32 v18, v18, v23
	v_cndmask_b32_e64 v15, v19, v21, s4
	v_cndmask_b32_e64 v19, 0x3f490fdb, v17, s4
	s_delay_alu instid0(VALU_DEP_3) | instskip(NEXT) | instid1(VALU_DEP_3)
	v_add_f32_e32 v18, 1.0, v18
	v_cndmask_b32_e32 v15, v15, v22, vcc_lo
	s_and_b32 vcc_lo, s7, s5
	s_delay_alu instid0(VALU_DEP_1)
	v_cndmask_b32_e32 v19, v15, v19, vcc_lo
.LBB181_180:                            ;   in Loop: Header=BB181_145 Depth=1
	s_or_b32 exec_lo, exec_lo, s6
.LBB181_181:                            ;   in Loop: Header=BB181_145 Depth=1
	s_and_not1_saveexec_b32 s4, s27
	s_cbranch_execz .LBB181_187
; %bb.182:                              ;   in Loop: Header=BB181_145 Depth=1
	v_cmp_ngt_f32_e64 s5, 0x20000000, |v15|
	v_cmp_ngt_f32_e64 s6, 0x20000000, |v16|
                                        ; implicit-def: $vgpr18
	s_delay_alu instid0(VALU_DEP_1) | instskip(NEXT) | instid1(SALU_CYCLE_1)
	s_or_b32 s5, s6, s5
	s_and_saveexec_b32 s6, s5
	s_delay_alu instid0(SALU_CYCLE_1)
	s_xor_b32 s5, exec_lo, s6
; %bb.183:                              ;   in Loop: Header=BB181_145 Depth=1
	v_mul_f32_e32 v18, v15, v15
	s_delay_alu instid0(VALU_DEP_1)
	v_fmac_f32_e32 v18, v16, v16
; %bb.184:                              ;   in Loop: Header=BB181_145 Depth=1
	s_and_not1_saveexec_b32 s5, s5
; %bb.185:                              ;   in Loop: Header=BB181_145 Depth=1
	v_dual_mul_f32 v15, 4.0, v15 :: v_dual_mul_f32 v18, 4.0, v16
	s_delay_alu instid0(VALU_DEP_1) | instskip(NEXT) | instid1(VALU_DEP_1)
	v_mul_f32_e32 v15, v15, v15
	v_fmac_f32_e32 v15, v18, v18
	s_delay_alu instid0(VALU_DEP_1)
	v_mul_f32_e32 v18, 0x3d800000, v15
; %bb.186:                              ;   in Loop: Header=BB181_145 Depth=1
	s_or_b32 exec_lo, exec_lo, s5
	s_delay_alu instid0(VALU_DEP_1) | instskip(SKIP_1) | instid1(VALU_DEP_1)
	v_cmp_gt_f32_e32 vcc_lo, 0x800000, v18
	v_cndmask_b32_e64 v15, 1.0, 0x4f800000, vcc_lo
	v_mul_f32_e32 v15, v18, v15
	s_delay_alu instid0(VALU_DEP_1) | instskip(SKIP_2) | instid1(VALU_DEP_1)
	v_log_f32_e32 v15, v15
	s_waitcnt_depctr 0xfff
	v_mul_f32_e32 v18, 0x3f317217, v15
	v_fma_f32 v19, 0x3f317217, v15, -v18
	s_delay_alu instid0(VALU_DEP_1) | instskip(NEXT) | instid1(VALU_DEP_1)
	v_fmac_f32_e32 v19, 0x3377d1cf, v15
	v_add_f32_e32 v18, v18, v19
	v_cndmask_b32_e64 v19, 0, 0x41b17218, vcc_lo
	v_cmp_gt_f32_e64 vcc_lo, 0x7f800000, |v15|
	s_delay_alu instid0(VALU_DEP_3) | instskip(NEXT) | instid1(VALU_DEP_1)
	v_cndmask_b32_e32 v15, v15, v18, vcc_lo
	v_dual_sub_f32 v18, v15, v19 :: v_dual_mov_b32 v19, 0x7fc00000
.LBB181_187:                            ;   in Loop: Header=BB181_145 Depth=1
	s_or_b32 exec_lo, exec_lo, s4
                                        ; implicit-def: $vgpr15
                                        ; implicit-def: $vgpr20
	s_delay_alu instid0(SALU_CYCLE_1)
	s_mov_b32 s4, exec_lo
	v_cmpx_o_f32_e32 v14, v13
	s_xor_b32 s27, exec_lo, s4
	s_cbranch_execz .LBB181_215
; %bb.188:                              ;   in Loop: Header=BB181_145 Depth=1
	v_cmp_lt_f32_e64 s4, |v13|, |v14|
                                        ; implicit-def: $vgpr15
                                        ; implicit-def: $vgpr20
	s_mov_b32 s5, exec_lo
	s_delay_alu instid0(VALU_DEP_1) | instskip(NEXT) | instid1(VALU_DEP_1)
	v_cndmask_b32_e64 v21, |v14|, |v13|, s4
	v_cmpx_nlt_f32_e32 0x77f684df, v21
	s_xor_b32 s28, exec_lo, s5
	s_cbranch_execz .LBB181_212
; %bb.189:                              ;   in Loop: Header=BB181_145 Depth=1
	v_and_b32_e32 v15, 0x7fffffff, v14
                                        ; implicit-def: $vgpr20
	s_mov_b32 s5, exec_lo
	s_delay_alu instid0(VALU_DEP_1) | instskip(NEXT) | instid1(VALU_DEP_1)
	v_cndmask_b32_e64 v22, |v13|, v15, s4
                                        ; implicit-def: $vgpr15
	v_cmpx_neq_f32_e32 1.0, v22
	s_xor_b32 s29, exec_lo, s5
	s_cbranch_execz .LBB181_205
; %bb.190:                              ;   in Loop: Header=BB181_145 Depth=1
	v_dual_max_f32 v15, v21, v21 :: v_dual_max_f32 v20, v22, v22
	s_delay_alu instid0(VALU_DEP_1) | instskip(SKIP_1) | instid1(VALU_DEP_2)
	v_min_f32_e32 v23, v20, v15
	v_max_f32_e32 v15, v20, v15
                                        ; implicit-def: $vgpr20
	v_cmp_ngt_f32_e32 vcc_lo, 0x358637bd, v23
	s_delay_alu instid0(VALU_DEP_2) | instskip(NEXT) | instid1(VALU_DEP_1)
	v_cmp_nlt_f32_e64 s5, 0x49742400, v15
                                        ; implicit-def: $vgpr15
	s_and_b32 s5, s5, vcc_lo
	s_delay_alu instid0(SALU_CYCLE_1) | instskip(NEXT) | instid1(SALU_CYCLE_1)
	s_and_saveexec_b32 s6, s5
	s_xor_b32 s30, exec_lo, s6
	s_cbranch_execz .LBB181_202
; %bb.191:                              ;   in Loop: Header=BB181_145 Depth=1
                                        ; implicit-def: $vgpr15
                                        ; implicit-def: $vgpr20
	s_mov_b32 s5, exec_lo
	v_cmpx_le_f32_e32 1.0, v22
	s_xor_b32 s6, exec_lo, s5
	s_cbranch_execz .LBB181_193
; %bb.192:                              ;   in Loop: Header=BB181_145 Depth=1
	v_add_f32_e32 v15, -1.0, v22
	v_add_f32_e32 v20, 1.0, v22
	v_cmp_class_f32_e64 s7, v13, 0x204
	s_delay_alu instid0(VALU_DEP_2) | instskip(NEXT) | instid1(VALU_DEP_1)
	v_mul_f32_e32 v15, v15, v20
	v_fmac_f32_e32 v15, v21, v21
	s_delay_alu instid0(VALU_DEP_1) | instskip(SKIP_1) | instid1(VALU_DEP_2)
	v_add_f32_e32 v22, 1.0, v15
	v_cmp_neq_f32_e64 s5, -1.0, v15
	v_cvt_f64_f32_e32 v[20:21], v22
	s_delay_alu instid0(VALU_DEP_1) | instskip(SKIP_1) | instid1(VALU_DEP_1)
	v_frexp_exp_i32_f64_e32 v20, v[20:21]
	v_frexp_mant_f32_e32 v21, v22
	v_cmp_gt_f32_e32 vcc_lo, 0x3f2aaaab, v21
	v_add_f32_e32 v21, -1.0, v22
	s_delay_alu instid0(VALU_DEP_1) | instskip(NEXT) | instid1(VALU_DEP_1)
	v_dual_sub_f32 v24, v21, v22 :: v_dual_sub_f32 v21, v15, v21
	v_add_f32_e32 v24, 1.0, v24
	s_delay_alu instid0(VALU_DEP_1) | instskip(SKIP_2) | instid1(VALU_DEP_2)
	v_add_f32_e32 v21, v21, v24
	v_subrev_co_ci_u32_e32 v20, vcc_lo, 0, v20, vcc_lo
	v_cmp_eq_f32_e32 vcc_lo, 0x7f800000, v15
	v_sub_nc_u32_e32 v23, 0, v20
	v_cvt_f32_i32_e32 v20, v20
	s_delay_alu instid0(VALU_DEP_2) | instskip(SKIP_1) | instid1(VALU_DEP_2)
	v_ldexp_f32 v22, v22, v23
	v_ldexp_f32 v21, v21, v23
	v_add_f32_e32 v25, 1.0, v22
	s_delay_alu instid0(VALU_DEP_1) | instskip(NEXT) | instid1(VALU_DEP_1)
	v_add_f32_e32 v24, -1.0, v25
	v_dual_sub_f32 v24, v22, v24 :: v_dual_add_f32 v23, -1.0, v22
	s_delay_alu instid0(VALU_DEP_1) | instskip(NEXT) | instid1(VALU_DEP_2)
	v_add_f32_e32 v24, v21, v24
	v_add_f32_e32 v26, 1.0, v23
	s_delay_alu instid0(VALU_DEP_1) | instskip(NEXT) | instid1(VALU_DEP_1)
	v_sub_f32_e32 v22, v22, v26
	v_add_f32_e32 v21, v21, v22
	s_delay_alu instid0(VALU_DEP_1) | instskip(NEXT) | instid1(VALU_DEP_1)
	v_dual_add_f32 v27, v23, v21 :: v_dual_add_f32 v26, v25, v24
	v_sub_f32_e32 v23, v27, v23
	s_delay_alu instid0(VALU_DEP_2) | instskip(SKIP_1) | instid1(VALU_DEP_1)
	v_rcp_f32_e32 v22, v26
	v_sub_f32_e32 v25, v26, v25
	v_dual_sub_f32 v24, v24, v25 :: v_dual_sub_f32 v21, v21, v23
	s_waitcnt_depctr 0xfff
	v_mul_f32_e32 v28, v27, v22
	s_delay_alu instid0(VALU_DEP_1) | instskip(NEXT) | instid1(VALU_DEP_1)
	v_mul_f32_e32 v29, v26, v28
	v_fma_f32 v25, v28, v26, -v29
	s_delay_alu instid0(VALU_DEP_1) | instskip(NEXT) | instid1(VALU_DEP_1)
	v_fmac_f32_e32 v25, v28, v24
	v_add_f32_e32 v30, v29, v25
	s_delay_alu instid0(VALU_DEP_1) | instskip(SKIP_1) | instid1(VALU_DEP_2)
	v_sub_f32_e32 v31, v27, v30
	v_sub_f32_e32 v23, v30, v29
	;; [unrolled: 1-line block ×3, first 2 shown]
	s_delay_alu instid0(VALU_DEP_2) | instskip(NEXT) | instid1(VALU_DEP_2)
	v_sub_f32_e32 v23, v23, v25
	v_sub_f32_e32 v27, v27, v30
	s_delay_alu instid0(VALU_DEP_1) | instskip(NEXT) | instid1(VALU_DEP_1)
	v_add_f32_e32 v21, v21, v27
	v_add_f32_e32 v21, v23, v21
	s_delay_alu instid0(VALU_DEP_1) | instskip(NEXT) | instid1(VALU_DEP_1)
	v_add_f32_e32 v23, v31, v21
	v_mul_f32_e32 v25, v22, v23
	s_delay_alu instid0(VALU_DEP_1) | instskip(NEXT) | instid1(VALU_DEP_1)
	v_dual_sub_f32 v30, v31, v23 :: v_dual_mul_f32 v27, v26, v25
	v_add_f32_e32 v21, v21, v30
	s_delay_alu instid0(VALU_DEP_2) | instskip(NEXT) | instid1(VALU_DEP_1)
	v_fma_f32 v26, v25, v26, -v27
	v_fmac_f32_e32 v26, v25, v24
	s_delay_alu instid0(VALU_DEP_1) | instskip(NEXT) | instid1(VALU_DEP_1)
	v_add_f32_e32 v24, v27, v26
	v_sub_f32_e32 v29, v23, v24
	v_sub_f32_e32 v27, v24, v27
	s_delay_alu instid0(VALU_DEP_2) | instskip(NEXT) | instid1(VALU_DEP_1)
	v_sub_f32_e32 v23, v23, v29
	v_sub_f32_e32 v23, v23, v24
	s_delay_alu instid0(VALU_DEP_3) | instskip(SKIP_1) | instid1(VALU_DEP_3)
	v_sub_f32_e32 v24, v27, v26
	v_max_f32_e64 v26, |v14|, |v14|
	v_add_f32_e32 v21, v21, v23
	v_add_f32_e32 v23, v28, v25
	s_delay_alu instid0(VALU_DEP_1) | instskip(NEXT) | instid1(VALU_DEP_1)
	v_dual_add_f32 v21, v24, v21 :: v_dual_sub_f32 v24, v23, v28
	v_add_f32_e32 v21, v29, v21
	s_delay_alu instid0(VALU_DEP_2) | instskip(SKIP_1) | instid1(VALU_DEP_3)
	v_sub_f32_e32 v24, v25, v24
	v_mul_f32_e32 v29, 0x3f317218, v20
	v_mul_f32_e32 v21, v22, v21
	s_delay_alu instid0(VALU_DEP_2) | instskip(NEXT) | instid1(VALU_DEP_1)
	v_fma_f32 v30, 0x3f317218, v20, -v29
	v_dual_add_f32 v21, v24, v21 :: v_dual_fmac_f32 v30, 0xb102e308, v20
	s_delay_alu instid0(VALU_DEP_1) | instskip(NEXT) | instid1(VALU_DEP_1)
	v_add_f32_e32 v22, v23, v21
	v_mul_f32_e32 v24, v22, v22
	v_ldexp_f32 v28, v22, 1
	s_delay_alu instid0(VALU_DEP_2) | instskip(SKIP_2) | instid1(VALU_DEP_3)
	v_fmaak_f32 v25, s21, v24, 0x3ecc95a3
	v_mul_f32_e32 v27, v22, v24
	v_sub_f32_e32 v22, v22, v23
	v_fmaak_f32 v24, v24, v25, 0x3f2aaada
	v_max_f32_e64 v25, |v13|, |v13|
	s_delay_alu instid0(VALU_DEP_2) | instskip(NEXT) | instid1(VALU_DEP_2)
	v_dual_sub_f32 v21, v21, v22 :: v_dual_mul_f32 v24, v27, v24
	v_max_f32_e32 v27, v25, v26
	v_min_f32_e32 v25, v25, v26
	s_delay_alu instid0(VALU_DEP_3) | instskip(NEXT) | instid1(VALU_DEP_4)
	v_ldexp_f32 v21, v21, 1
	v_add_f32_e32 v23, v28, v24
	s_delay_alu instid0(VALU_DEP_4) | instskip(SKIP_1) | instid1(VALU_DEP_3)
	v_frexp_mant_f32_e32 v26, v27
	v_frexp_exp_i32_f32_e32 v27, v27
	v_sub_f32_e32 v22, v23, v28
	s_delay_alu instid0(VALU_DEP_3) | instskip(SKIP_1) | instid1(VALU_DEP_2)
	v_rcp_f32_e32 v26, v26
	v_frexp_exp_i32_f32_e32 v28, v25
	v_sub_f32_e32 v22, v24, v22
	v_frexp_mant_f32_e32 v24, v25
	s_delay_alu instid0(VALU_DEP_3) | instskip(NEXT) | instid1(VALU_DEP_3)
	v_sub_nc_u32_e32 v25, v28, v27
	v_add_f32_e32 v20, v21, v22
	v_add_f32_e32 v22, v29, v30
	s_delay_alu instid0(VALU_DEP_1) | instskip(NEXT) | instid1(VALU_DEP_1)
	v_sub_f32_e32 v29, v22, v29
	v_sub_f32_e32 v29, v30, v29
	s_delay_alu instid0(TRANS32_DEP_1) | instid1(VALU_DEP_4)
	v_dual_mul_f32 v21, v24, v26 :: v_dual_add_f32 v24, v23, v20
	s_delay_alu instid0(VALU_DEP_1) | instskip(NEXT) | instid1(VALU_DEP_2)
	v_ldexp_f32 v21, v21, v25
	v_add_f32_e32 v25, v22, v24
	s_delay_alu instid0(VALU_DEP_2) | instskip(NEXT) | instid1(VALU_DEP_1)
	v_dual_sub_f32 v23, v24, v23 :: v_dual_mul_f32 v26, v21, v21
	v_dual_sub_f32 v27, v25, v22 :: v_dual_sub_f32 v20, v20, v23
	s_delay_alu instid0(VALU_DEP_1) | instskip(SKIP_1) | instid1(VALU_DEP_3)
	v_dual_fmaak_f32 v28, s26, v26, 0xbc7a590c :: v_dual_sub_f32 v31, v25, v27
	v_sub_f32_e32 v23, v24, v27
	v_add_f32_e32 v27, v29, v20
	s_delay_alu instid0(VALU_DEP_3) | instskip(NEXT) | instid1(VALU_DEP_4)
	v_fmaak_f32 v28, v26, v28, 0x3d29fb3f
	v_sub_f32_e32 v22, v22, v31
	s_delay_alu instid0(VALU_DEP_2) | instskip(NEXT) | instid1(VALU_DEP_1)
	v_fmaak_f32 v24, v26, v28, 0xbd97d4d7
	v_dual_add_f32 v22, v23, v22 :: v_dual_fmaak_f32 v23, v26, v24, 0x3dd931b2
	v_sub_f32_e32 v24, v27, v29
	s_delay_alu instid0(VALU_DEP_2) | instskip(NEXT) | instid1(VALU_DEP_1)
	v_dual_add_f32 v22, v27, v22 :: v_dual_fmaak_f32 v23, v26, v23, 0xbe1160e6
	v_dual_sub_f32 v27, v27, v24 :: v_dual_add_f32 v28, v25, v22
	s_delay_alu instid0(VALU_DEP_2) | instskip(NEXT) | instid1(VALU_DEP_2)
	v_dual_sub_f32 v20, v20, v24 :: v_dual_fmaak_f32 v23, v26, v23, 0x3e4cb8bf
	v_dual_sub_f32 v24, v29, v27 :: v_dual_sub_f32 v25, v28, v25
	s_delay_alu instid0(VALU_DEP_1) | instskip(NEXT) | instid1(VALU_DEP_2)
	v_dual_fmaak_f32 v23, v26, v23, 0xbeaaaa62 :: v_dual_add_f32 v20, v20, v24
	v_sub_f32_e32 v22, v22, v25
	s_delay_alu instid0(VALU_DEP_1) | instskip(NEXT) | instid1(VALU_DEP_1)
	v_dual_mul_f32 v23, v26, v23 :: v_dual_add_f32 v20, v20, v22
	v_dual_fmac_f32 v21, v21, v23 :: v_dual_add_f32 v20, v28, v20
	s_delay_alu instid0(VALU_DEP_1) | instskip(NEXT) | instid1(VALU_DEP_2)
	v_sub_f32_e32 v22, 0x3fc90fdb, v21
	v_cndmask_b32_e32 v20, v20, v15, vcc_lo
	v_cmp_gt_i32_e32 vcc_lo, 0, v13
	s_delay_alu instid0(VALU_DEP_3) | instskip(SKIP_2) | instid1(VALU_DEP_3)
	v_cndmask_b32_e64 v21, v21, v22, s4
	v_cndmask_b32_e64 v22, 0, 0x40490fdb, vcc_lo
	v_cmp_ngt_f32_e32 vcc_lo, -1.0, v15
	v_sub_f32_e32 v23, 0x40490fdb, v21
	v_cndmask_b32_e32 v20, 0x7fc00000, v20, vcc_lo
	v_cmp_gt_f32_e32 vcc_lo, 0, v13
	s_delay_alu instid0(VALU_DEP_2) | instskip(NEXT) | instid1(VALU_DEP_4)
	v_cndmask_b32_e64 v13, 0xff800000, v20, s5
	v_cndmask_b32_e32 v20, v21, v23, vcc_lo
	v_cndmask_b32_e32 v21, 0x3f490fdb, v17, vcc_lo
	v_cmp_gt_f32_e64 vcc_lo, 0x33800000, |v15|
	v_cmp_class_f32_e64 s5, v14, 0x204
	v_cndmask_b32_e32 v13, v13, v15, vcc_lo
	v_cmp_eq_f32_e32 vcc_lo, 0, v14
	s_delay_alu instid0(VALU_DEP_2) | instskip(NEXT) | instid1(VALU_DEP_4)
	v_dual_mul_f32 v15, 0.5, v13 :: v_dual_cndmask_b32 v20, v20, v22
	s_and_b32 vcc_lo, s5, s7
                                        ; implicit-def: $vgpr22
	s_delay_alu instid0(VALU_DEP_1)
	v_cndmask_b32_e32 v20, v20, v21, vcc_lo
                                        ; implicit-def: $vgpr21
.LBB181_193:                            ;   in Loop: Header=BB181_145 Depth=1
	s_and_not1_saveexec_b32 s31, s6
	s_cbranch_execz .LBB181_201
; %bb.194:                              ;   in Loop: Header=BB181_145 Depth=1
	v_mul_f32_e32 v23, v21, v21
                                        ; implicit-def: $vgpr15
                                        ; implicit-def: $vgpr20
	s_mov_b32 s5, exec_lo
	s_delay_alu instid0(VALU_DEP_1) | instskip(NEXT) | instid1(VALU_DEP_1)
	v_fmac_f32_e32 v23, v22, v22
	v_cmpx_ge_f32_e32 0x3f333333, v23
	s_xor_b32 s6, exec_lo, s5
	s_cbranch_execz .LBB181_196
; %bb.195:                              ;   in Loop: Header=BB181_145 Depth=1
	v_max_f32_e64 v15, |v14|, |v14|
	v_max_f32_e64 v20, |v13|, |v13|
	v_cmp_gt_f32_e32 vcc_lo, 0x800000, v23
	v_cmp_gt_i32_e64 s5, 0, v13
	v_cmp_class_f32_e64 s7, v13, 0x204
	v_cmp_class_f32_e64 s8, v14, 0x204
	v_max_f32_e32 v21, v20, v15
	v_min_f32_e32 v15, v20, v15
	v_cndmask_b32_e64 v24, 0, 0x41b17218, vcc_lo
	s_delay_alu instid0(VALU_DEP_3) | instskip(SKIP_1) | instid1(VALU_DEP_2)
	v_frexp_mant_f32_e32 v22, v21
	v_frexp_exp_i32_f32_e32 v21, v21
	v_rcp_f32_e32 v20, v22
	v_frexp_exp_i32_f32_e32 v22, v15
	v_frexp_mant_f32_e32 v15, v15
	s_delay_alu instid0(VALU_DEP_2) | instskip(SKIP_4) | instid1(VALU_DEP_2)
	v_sub_nc_u32_e32 v21, v22, v21
	v_cndmask_b32_e64 v22, 1.0, 0x4f800000, vcc_lo
	s_waitcnt_depctr 0xfff
	v_mul_f32_e32 v15, v15, v20
	v_mul_f32_e32 v22, v23, v22
	v_ldexp_f32 v15, v15, v21
	s_delay_alu instid0(VALU_DEP_2) | instskip(NEXT) | instid1(VALU_DEP_1)
	v_log_f32_e32 v22, v22
	v_mul_f32_e32 v20, v15, v15
	s_delay_alu instid0(VALU_DEP_1) | instskip(SKIP_3) | instid1(VALU_DEP_1)
	v_fmaak_f32 v21, s26, v20, 0xbc7a590c
	s_waitcnt_depctr 0xfff
	v_cmp_gt_f32_e64 vcc_lo, 0x7f800000, |v22|
	v_fmaak_f32 v21, v20, v21, 0x3d29fb3f
	v_fmaak_f32 v21, v20, v21, 0xbd97d4d7
	s_delay_alu instid0(VALU_DEP_1) | instskip(NEXT) | instid1(VALU_DEP_1)
	v_fmaak_f32 v21, v20, v21, 0x3dd931b2
	v_fmaak_f32 v21, v20, v21, 0xbe1160e6
	s_delay_alu instid0(VALU_DEP_1) | instskip(NEXT) | instid1(VALU_DEP_1)
	;; [unrolled: 3-line block ×3, first 2 shown]
	v_dual_mul_f32 v20, v20, v21 :: v_dual_mul_f32 v21, 0x3f317217, v22
	v_fmac_f32_e32 v15, v15, v20
	s_delay_alu instid0(VALU_DEP_2) | instskip(NEXT) | instid1(VALU_DEP_1)
	v_fma_f32 v20, 0x3f317217, v22, -v21
	v_fmac_f32_e32 v20, 0x3377d1cf, v22
	s_delay_alu instid0(VALU_DEP_1) | instskip(NEXT) | instid1(VALU_DEP_1)
	v_dual_sub_f32 v23, 0x3fc90fdb, v15 :: v_dual_add_f32 v20, v21, v20
	v_cndmask_b32_e64 v15, v15, v23, s4
	v_cndmask_b32_e64 v21, 0, 0x40490fdb, s5
	v_cmp_eq_f32_e64 s5, 0, v14
	s_delay_alu instid0(VALU_DEP_3) | instskip(SKIP_1) | instid1(VALU_DEP_2)
	v_dual_cndmask_b32 v20, v22, v20 :: v_dual_sub_f32 v23, 0x40490fdb, v15
	v_cmp_gt_f32_e32 vcc_lo, 0, v13
                                        ; implicit-def: $vgpr22
	v_sub_f32_e32 v13, v20, v24
	s_delay_alu instid0(VALU_DEP_3) | instskip(NEXT) | instid1(VALU_DEP_1)
	v_cndmask_b32_e32 v15, v15, v23, vcc_lo
	v_cndmask_b32_e64 v20, v15, v21, s5
	v_cndmask_b32_e32 v21, 0x3f490fdb, v17, vcc_lo
	s_and_b32 vcc_lo, s8, s7
	v_mul_f32_e32 v15, 0.5, v13
	s_delay_alu instid0(VALU_DEP_2)
	v_cndmask_b32_e32 v20, v20, v21, vcc_lo
                                        ; implicit-def: $vgpr21
.LBB181_196:                            ;   in Loop: Header=BB181_145 Depth=1
	s_and_not1_saveexec_b32 s33, s6
	s_cbranch_execz .LBB181_200
; %bb.197:                              ;   in Loop: Header=BB181_145 Depth=1
	v_and_b32_e32 v23, 0x7fff0000, v21
	v_and_b32_e32 v20, 0x7fff0000, v22
	s_mov_b32 s34, 0
	s_delay_alu instid0(VALU_DEP_2) | instskip(SKIP_1) | instid1(VALU_DEP_3)
	v_sub_f32_e32 v24, v21, v23
	v_mul_f32_e32 v21, v23, v23
	v_mul_f32_e32 v15, v20, v20
	v_sub_f32_e32 v22, v22, v20
	s_delay_alu instid0(VALU_DEP_1) | instskip(NEXT) | instid1(VALU_DEP_1)
	v_dual_add_f32 v30, v23, v23 :: v_dual_and_b32 v25, 0xffff0000, v22
	v_dual_sub_f32 v23, v22, v25 :: v_dual_and_b32 v26, 0xffff0000, v24
	s_delay_alu instid0(VALU_DEP_1) | instskip(SKIP_2) | instid1(VALU_DEP_3)
	v_dual_add_f32 v27, v20, v20 :: v_dual_mul_f32 v20, v30, v26
	v_dual_sub_f32 v31, v24, v26 :: v_dual_mul_f32 v22, v25, v25
	v_add_f32_e32 v24, v25, v25
	v_dual_mul_f32 v29, v27, v25 :: v_dual_add_f32 v32, v26, v26
	v_dual_mul_f32 v28, v26, v26 :: v_dual_mul_f32 v25, v27, v23
	s_delay_alu instid0(VALU_DEP_4) | instskip(NEXT) | instid1(VALU_DEP_4)
	v_mul_f32_e32 v27, v30, v31
	v_mul_f32_e32 v26, v24, v23
	;; [unrolled: 1-line block ×5, first 2 shown]
.LBB181_198:                            ;   Parent Loop BB181_145 Depth=1
                                        ; =>  This Inner Loop Header: Depth=2
	v_cmp_nlt_f32_e32 vcc_lo, v15, v21
	s_delay_alu instid0(VALU_DEP_2) | instskip(SKIP_1) | instid1(VALU_DEP_2)
	v_dual_mov_b32 v32, v30 :: v_dual_cndmask_b32 v31, v15, v21
	v_cndmask_b32_e32 v15, v21, v15, vcc_lo
	v_cmp_nlt_f32_e64 s5, v31, v29
	s_delay_alu instid0(VALU_DEP_1) | instskip(SKIP_2) | instid1(VALU_DEP_2)
	v_cndmask_b32_e64 v30, v31, v29, s5
	v_cndmask_b32_e64 v21, v29, v31, s5
	s_and_b32 s35, vcc_lo, s5
	v_cmp_nlt_f32_e64 s6, v30, v20
	s_delay_alu instid0(VALU_DEP_1) | instskip(SKIP_1) | instid1(VALU_DEP_2)
	v_cndmask_b32_e64 v33, v30, v20, s6
	v_cndmask_b32_e64 v29, v20, v30, s6
	v_cmp_nlt_f32_e64 s7, v33, v22
	s_delay_alu instid0(VALU_DEP_1) | instskip(SKIP_2) | instid1(VALU_DEP_2)
	v_cndmask_b32_e64 v31, v33, v22, s7
	v_cndmask_b32_e64 v20, v22, v33, s7
	s_and_b32 s36, s6, s7
	v_cmp_nlt_f32_e64 s8, v31, v28
	s_delay_alu instid0(VALU_DEP_1) | instskip(SKIP_1) | instid1(VALU_DEP_2)
	v_cndmask_b32_e64 v34, v31, v28, s8
	v_cndmask_b32_e64 v22, v28, v31, s8
	v_cmp_nlt_f32_e64 s9, v34, v25
	s_delay_alu instid0(VALU_DEP_1) | instskip(SKIP_2) | instid1(VALU_DEP_2)
	v_cndmask_b32_e64 v35, v34, v25, s9
	s_and_b32 s7, s8, s9
	v_cndmask_b32_e64 v28, v25, v34, s9
	v_cmp_nlt_f32_e64 s10, v35, v27
	s_delay_alu instid0(VALU_DEP_1) | instskip(SKIP_2) | instid1(VALU_DEP_2)
	v_cndmask_b32_e64 v36, v35, v27, s10
	s_and_b32 s7, s7, s10
	v_cndmask_b32_e64 v25, v27, v35, s10
	v_cmp_nlt_f32_e32 vcc_lo, v36, v26
	v_cndmask_b32_e32 v37, v36, v26, vcc_lo
	s_and_b32 s8, s7, vcc_lo
	v_cndmask_b32_e32 v27, v26, v36, vcc_lo
	s_delay_alu instid0(VALU_DEP_2) | instskip(NEXT) | instid1(VALU_DEP_1)
	v_cmp_nlt_f32_e64 s5, v37, v24
	v_cndmask_b32_e64 v33, v37, v24, s5
	s_and_b32 s8, s8, s5
	v_cndmask_b32_e64 v26, v24, v37, s5
	s_delay_alu instid0(VALU_DEP_2) | instskip(NEXT) | instid1(VALU_DEP_1)
	v_cmp_nlt_f32_e64 s6, v33, v23
	v_cndmask_b32_e64 v31, v33, v23, s6
	s_and_b32 s8, s8, s6
	v_cndmask_b32_e64 v24, v23, v33, s6
	s_delay_alu instid0(VALU_DEP_2) | instskip(NEXT) | instid1(VALU_DEP_1)
	v_cmp_nlt_f32_e64 s7, v31, v32
	s_and_b32 s8, s8, s7
	v_cndmask_b32_e64 v30, v31, v32, s7
	s_and_b32 s5, s8, s36
	v_cndmask_b32_e64 v23, v32, v31, s7
	s_and_b32 s5, s5, s35
	s_delay_alu instid0(SALU_CYCLE_1) | instskip(NEXT) | instid1(SALU_CYCLE_1)
	s_and_b32 s5, exec_lo, s5
	s_or_b32 s34, s5, s34
	s_delay_alu instid0(SALU_CYCLE_1)
	s_and_not1_b32 exec_lo, exec_lo, s34
	s_cbranch_execnz .LBB181_198
; %bb.199:                              ;   in Loop: Header=BB181_145 Depth=1
	s_or_b32 exec_lo, exec_lo, s34
	v_add_f32_e32 v15, -1.0, v15
	v_cmp_class_f32_e64 s6, v13, 0x204
	s_delay_alu instid0(VALU_DEP_2) | instskip(NEXT) | instid1(VALU_DEP_1)
	v_add_f32_e32 v15, v15, v21
	v_add_f32_e32 v15, v15, v29
	s_delay_alu instid0(VALU_DEP_1) | instskip(NEXT) | instid1(VALU_DEP_1)
	v_add_f32_e32 v15, v15, v20
	v_add_f32_e32 v15, v15, v22
	s_delay_alu instid0(VALU_DEP_1) | instskip(NEXT) | instid1(VALU_DEP_1)
	;; [unrolled: 3-line block ×5, first 2 shown]
	v_add_f32_e32 v15, v30, v15
	v_add_f32_e32 v22, 1.0, v15
	s_delay_alu instid0(VALU_DEP_1) | instskip(NEXT) | instid1(VALU_DEP_1)
	v_cvt_f64_f32_e32 v[20:21], v22
	v_frexp_exp_i32_f64_e32 v20, v[20:21]
	v_frexp_mant_f32_e32 v21, v22
	s_delay_alu instid0(VALU_DEP_1) | instskip(SKIP_1) | instid1(VALU_DEP_1)
	v_cmp_gt_f32_e32 vcc_lo, 0x3f2aaaab, v21
	v_add_f32_e32 v21, -1.0, v22
	v_dual_sub_f32 v24, v21, v22 :: v_dual_sub_f32 v21, v15, v21
	s_delay_alu instid0(VALU_DEP_1) | instskip(NEXT) | instid1(VALU_DEP_1)
	v_add_f32_e32 v24, 1.0, v24
	v_add_f32_e32 v21, v21, v24
	v_subrev_co_ci_u32_e32 v20, vcc_lo, 0, v20, vcc_lo
	s_delay_alu instid0(VALU_DEP_1) | instskip(SKIP_1) | instid1(VALU_DEP_2)
	v_sub_nc_u32_e32 v23, 0, v20
	v_cvt_f32_i32_e32 v20, v20
	v_ldexp_f32 v22, v22, v23
	v_ldexp_f32 v21, v21, v23
	s_delay_alu instid0(VALU_DEP_2) | instskip(NEXT) | instid1(VALU_DEP_1)
	v_add_f32_e32 v25, 1.0, v22
	v_dual_add_f32 v23, -1.0, v22 :: v_dual_add_f32 v24, -1.0, v25
	s_delay_alu instid0(VALU_DEP_1) | instskip(NEXT) | instid1(VALU_DEP_2)
	v_add_f32_e32 v26, 1.0, v23
	v_sub_f32_e32 v24, v22, v24
	s_delay_alu instid0(VALU_DEP_2) | instskip(NEXT) | instid1(VALU_DEP_2)
	v_sub_f32_e32 v22, v22, v26
	v_add_f32_e32 v24, v21, v24
	s_delay_alu instid0(VALU_DEP_2) | instskip(NEXT) | instid1(VALU_DEP_1)
	v_add_f32_e32 v21, v21, v22
	v_dual_add_f32 v26, v25, v24 :: v_dual_add_f32 v27, v23, v21
	s_delay_alu instid0(VALU_DEP_1) | instskip(SKIP_1) | instid1(VALU_DEP_1)
	v_rcp_f32_e32 v22, v26
	v_sub_f32_e32 v25, v26, v25
	v_dual_sub_f32 v23, v27, v23 :: v_dual_sub_f32 v24, v24, v25
	s_waitcnt_depctr 0xfff
	v_dual_sub_f32 v21, v21, v23 :: v_dual_mul_f32 v28, v27, v22
	v_cmp_eq_f32_e32 vcc_lo, 0x7f800000, v15
	v_cmp_neq_f32_e64 s5, -1.0, v15
	s_delay_alu instid0(VALU_DEP_3) | instskip(NEXT) | instid1(VALU_DEP_1)
	v_mul_f32_e32 v29, v26, v28
	v_fma_f32 v25, v28, v26, -v29
	s_delay_alu instid0(VALU_DEP_1) | instskip(NEXT) | instid1(VALU_DEP_1)
	v_fmac_f32_e32 v25, v28, v24
	v_add_f32_e32 v30, v29, v25
	s_delay_alu instid0(VALU_DEP_1) | instskip(SKIP_1) | instid1(VALU_DEP_2)
	v_sub_f32_e32 v31, v27, v30
	v_sub_f32_e32 v23, v30, v29
	;; [unrolled: 1-line block ×3, first 2 shown]
	s_delay_alu instid0(VALU_DEP_2) | instskip(NEXT) | instid1(VALU_DEP_2)
	v_sub_f32_e32 v23, v23, v25
	v_sub_f32_e32 v27, v27, v30
	s_delay_alu instid0(VALU_DEP_1) | instskip(NEXT) | instid1(VALU_DEP_1)
	v_add_f32_e32 v21, v21, v27
	v_add_f32_e32 v21, v23, v21
	s_delay_alu instid0(VALU_DEP_1) | instskip(NEXT) | instid1(VALU_DEP_1)
	v_add_f32_e32 v23, v31, v21
	v_mul_f32_e32 v25, v22, v23
	s_delay_alu instid0(VALU_DEP_1) | instskip(NEXT) | instid1(VALU_DEP_1)
	v_dual_sub_f32 v30, v31, v23 :: v_dual_mul_f32 v27, v26, v25
	v_add_f32_e32 v21, v21, v30
	s_delay_alu instid0(VALU_DEP_2) | instskip(NEXT) | instid1(VALU_DEP_1)
	v_fma_f32 v26, v25, v26, -v27
	v_fmac_f32_e32 v26, v25, v24
	s_delay_alu instid0(VALU_DEP_1) | instskip(NEXT) | instid1(VALU_DEP_1)
	v_add_f32_e32 v24, v27, v26
	v_sub_f32_e32 v29, v23, v24
	v_sub_f32_e32 v27, v24, v27
	s_delay_alu instid0(VALU_DEP_2) | instskip(NEXT) | instid1(VALU_DEP_1)
	v_sub_f32_e32 v23, v23, v29
	v_sub_f32_e32 v23, v23, v24
	s_delay_alu instid0(VALU_DEP_3) | instskip(SKIP_1) | instid1(VALU_DEP_3)
	v_sub_f32_e32 v24, v27, v26
	v_max_f32_e64 v26, |v14|, |v14|
	v_add_f32_e32 v21, v21, v23
	v_add_f32_e32 v23, v28, v25
	s_delay_alu instid0(VALU_DEP_1) | instskip(NEXT) | instid1(VALU_DEP_1)
	v_dual_add_f32 v21, v24, v21 :: v_dual_sub_f32 v24, v23, v28
	v_add_f32_e32 v21, v29, v21
	s_delay_alu instid0(VALU_DEP_2) | instskip(SKIP_1) | instid1(VALU_DEP_3)
	v_sub_f32_e32 v24, v25, v24
	v_mul_f32_e32 v29, 0x3f317218, v20
	v_mul_f32_e32 v21, v22, v21
	s_delay_alu instid0(VALU_DEP_2) | instskip(NEXT) | instid1(VALU_DEP_1)
	v_fma_f32 v30, 0x3f317218, v20, -v29
	v_dual_add_f32 v21, v24, v21 :: v_dual_fmac_f32 v30, 0xb102e308, v20
	s_delay_alu instid0(VALU_DEP_1) | instskip(NEXT) | instid1(VALU_DEP_1)
	v_add_f32_e32 v22, v23, v21
	v_mul_f32_e32 v24, v22, v22
	v_ldexp_f32 v28, v22, 1
	s_delay_alu instid0(VALU_DEP_2) | instskip(SKIP_2) | instid1(VALU_DEP_3)
	v_fmaak_f32 v25, s21, v24, 0x3ecc95a3
	v_mul_f32_e32 v27, v22, v24
	v_sub_f32_e32 v22, v22, v23
	v_fmaak_f32 v24, v24, v25, 0x3f2aaada
	v_max_f32_e64 v25, |v13|, |v13|
	s_delay_alu instid0(VALU_DEP_2) | instskip(NEXT) | instid1(VALU_DEP_2)
	v_dual_sub_f32 v21, v21, v22 :: v_dual_mul_f32 v24, v27, v24
	v_max_f32_e32 v27, v25, v26
	v_min_f32_e32 v25, v25, v26
	s_delay_alu instid0(VALU_DEP_3) | instskip(NEXT) | instid1(VALU_DEP_4)
	v_ldexp_f32 v21, v21, 1
	v_add_f32_e32 v23, v28, v24
	s_delay_alu instid0(VALU_DEP_4) | instskip(SKIP_1) | instid1(VALU_DEP_3)
	v_frexp_mant_f32_e32 v26, v27
	v_frexp_exp_i32_f32_e32 v27, v27
	v_sub_f32_e32 v22, v23, v28
	s_delay_alu instid0(VALU_DEP_3) | instskip(SKIP_1) | instid1(VALU_DEP_2)
	v_rcp_f32_e32 v26, v26
	v_frexp_exp_i32_f32_e32 v28, v25
	v_sub_f32_e32 v22, v24, v22
	v_frexp_mant_f32_e32 v24, v25
	s_delay_alu instid0(VALU_DEP_3) | instskip(NEXT) | instid1(VALU_DEP_3)
	v_sub_nc_u32_e32 v25, v28, v27
	v_add_f32_e32 v20, v21, v22
	s_waitcnt_depctr 0xfff
	v_mul_f32_e32 v21, v24, v26
	v_add_f32_e32 v22, v29, v30
	v_add_f32_e32 v24, v23, v20
	s_delay_alu instid0(VALU_DEP_3) | instskip(NEXT) | instid1(VALU_DEP_3)
	v_ldexp_f32 v21, v21, v25
	v_sub_f32_e32 v29, v22, v29
	s_delay_alu instid0(VALU_DEP_2) | instskip(SKIP_1) | instid1(VALU_DEP_3)
	v_dual_add_f32 v25, v22, v24 :: v_dual_mul_f32 v26, v21, v21
	v_sub_f32_e32 v23, v24, v23
	v_sub_f32_e32 v29, v30, v29
	s_delay_alu instid0(VALU_DEP_3) | instskip(NEXT) | instid1(VALU_DEP_4)
	v_sub_f32_e32 v27, v25, v22
	v_fmaak_f32 v28, s26, v26, 0xbc7a590c
	s_delay_alu instid0(VALU_DEP_4) | instskip(NEXT) | instid1(VALU_DEP_2)
	v_sub_f32_e32 v20, v20, v23
	v_dual_sub_f32 v31, v25, v27 :: v_dual_fmaak_f32 v28, v26, v28, 0x3d29fb3f
	v_sub_f32_e32 v23, v24, v27
	s_delay_alu instid0(VALU_DEP_2) | instskip(NEXT) | instid1(VALU_DEP_3)
	v_dual_add_f32 v27, v29, v20 :: v_dual_sub_f32 v22, v22, v31
	v_fmaak_f32 v24, v26, v28, 0xbd97d4d7
	s_delay_alu instid0(VALU_DEP_1) | instskip(NEXT) | instid1(VALU_DEP_3)
	v_dual_add_f32 v22, v23, v22 :: v_dual_fmaak_f32 v23, v26, v24, 0x3dd931b2
	v_sub_f32_e32 v24, v27, v29
	s_delay_alu instid0(VALU_DEP_2) | instskip(NEXT) | instid1(VALU_DEP_2)
	v_dual_add_f32 v22, v27, v22 :: v_dual_fmaak_f32 v23, v26, v23, 0xbe1160e6
	v_sub_f32_e32 v27, v27, v24
	v_sub_f32_e32 v20, v20, v24
	s_delay_alu instid0(VALU_DEP_3) | instskip(NEXT) | instid1(VALU_DEP_1)
	v_dual_add_f32 v28, v25, v22 :: v_dual_fmaak_f32 v23, v26, v23, 0x3e4cb8bf
	v_dual_sub_f32 v24, v29, v27 :: v_dual_sub_f32 v25, v28, v25
	s_delay_alu instid0(VALU_DEP_1) | instskip(NEXT) | instid1(VALU_DEP_2)
	v_dual_fmaak_f32 v23, v26, v23, 0xbeaaaa62 :: v_dual_add_f32 v20, v20, v24
	v_sub_f32_e32 v22, v22, v25
	s_delay_alu instid0(VALU_DEP_1) | instskip(NEXT) | instid1(VALU_DEP_1)
	v_dual_mul_f32 v23, v26, v23 :: v_dual_add_f32 v20, v20, v22
	v_dual_fmac_f32 v21, v21, v23 :: v_dual_add_f32 v20, v28, v20
	s_delay_alu instid0(VALU_DEP_1) | instskip(NEXT) | instid1(VALU_DEP_2)
	v_sub_f32_e32 v22, 0x3fc90fdb, v21
	v_cndmask_b32_e32 v20, v20, v15, vcc_lo
	v_cmp_gt_i32_e32 vcc_lo, 0, v13
	s_delay_alu instid0(VALU_DEP_3) | instskip(SKIP_2) | instid1(VALU_DEP_3)
	v_cndmask_b32_e64 v21, v21, v22, s4
	v_cndmask_b32_e64 v22, 0, 0x40490fdb, vcc_lo
	v_cmp_ngt_f32_e32 vcc_lo, -1.0, v15
	v_sub_f32_e32 v23, 0x40490fdb, v21
	v_cndmask_b32_e32 v20, 0x7fc00000, v20, vcc_lo
	v_cmp_gt_f32_e32 vcc_lo, 0, v13
	s_delay_alu instid0(VALU_DEP_2) | instskip(NEXT) | instid1(VALU_DEP_4)
	v_cndmask_b32_e64 v13, 0xff800000, v20, s5
	v_cndmask_b32_e32 v20, v21, v23, vcc_lo
	v_cndmask_b32_e32 v21, 0x3f490fdb, v17, vcc_lo
	v_cmp_gt_f32_e64 vcc_lo, 0x33800000, |v15|
	v_cmp_class_f32_e64 s5, v14, 0x204
	v_cndmask_b32_e32 v13, v13, v15, vcc_lo
	v_cmp_eq_f32_e32 vcc_lo, 0, v14
	s_delay_alu instid0(VALU_DEP_2) | instskip(NEXT) | instid1(VALU_DEP_4)
	v_dual_mul_f32 v15, 0.5, v13 :: v_dual_cndmask_b32 v20, v20, v22
	s_and_b32 vcc_lo, s5, s6
	s_delay_alu instid0(VALU_DEP_1)
	v_cndmask_b32_e32 v20, v20, v21, vcc_lo
.LBB181_200:                            ;   in Loop: Header=BB181_145 Depth=1
	s_or_b32 exec_lo, exec_lo, s33
.LBB181_201:                            ;   in Loop: Header=BB181_145 Depth=1
	s_delay_alu instid0(SALU_CYCLE_1)
	s_or_b32 exec_lo, exec_lo, s31
.LBB181_202:                            ;   in Loop: Header=BB181_145 Depth=1
	s_and_not1_saveexec_b32 s6, s30
	s_cbranch_execz .LBB181_204
; %bb.203:                              ;   in Loop: Header=BB181_145 Depth=1
	v_max_f32_e64 v15, |v14|, |v14|
	v_max_f32_e64 v22, |v13|, |v13|
	v_cmp_gt_i32_e64 s5, 0, v13
	v_cmp_class_f32_e64 s7, v13, 0x204
	v_cmp_class_f32_e64 s8, v14, 0x204
	s_delay_alu instid0(VALU_DEP_4) | instskip(SKIP_1) | instid1(VALU_DEP_2)
	v_max_f32_e32 v23, v22, v15
	v_min_f32_e32 v15, v22, v15
	v_cvt_f64_f32_e32 v[20:21], v23
	v_frexp_exp_i32_f32_e32 v22, v23
	s_delay_alu instid0(VALU_DEP_3) | instskip(SKIP_1) | instid1(VALU_DEP_2)
	v_frexp_exp_i32_f32_e32 v24, v15
	v_frexp_mant_f32_e32 v15, v15
	v_sub_nc_u32_e32 v22, v24, v22
	v_frexp_exp_i32_f64_e32 v20, v[20:21]
	v_frexp_mant_f32_e32 v21, v23
	s_delay_alu instid0(VALU_DEP_1) | instskip(SKIP_2) | instid1(VALU_DEP_1)
	v_rcp_f32_e32 v21, v21
	s_waitcnt_depctr 0xfff
	v_mul_f32_e32 v15, v15, v21
	v_ldexp_f32 v15, v15, v22
	s_delay_alu instid0(VALU_DEP_1) | instskip(SKIP_1) | instid1(VALU_DEP_1)
	v_mul_f32_e32 v24, v15, v15
	v_sub_nc_u32_e32 v25, 0, v20
	v_ldexp_f32 v21, |v14|, v25
	v_ldexp_f32 v22, |v13|, v25
	s_delay_alu instid0(VALU_DEP_2) | instskip(NEXT) | instid1(VALU_DEP_1)
	v_mul_f32_e32 v21, v21, v21
	v_dual_fmac_f32 v21, v22, v22 :: v_dual_fmaak_f32 v22, s26, v24, 0xbc7a590c
	v_cmp_neq_f32_e32 vcc_lo, 0x7f800000, v23
	s_delay_alu instid0(VALU_DEP_2) | instskip(NEXT) | instid1(VALU_DEP_2)
	v_sqrt_f32_e32 v21, v21
	v_fmaak_f32 v22, v24, v22, 0x3d29fb3f
	s_delay_alu instid0(VALU_DEP_1) | instskip(SKIP_3) | instid1(VALU_DEP_2)
	v_fmaak_f32 v22, v24, v22, 0xbd97d4d7
	s_waitcnt_depctr 0xfff
	v_ldexp_f32 v20, v21, v20
	v_fmaak_f32 v21, v24, v22, 0x3dd931b2
	v_cndmask_b32_e32 v20, 0x7f800000, v20, vcc_lo
	s_delay_alu instid0(VALU_DEP_2) | instskip(NEXT) | instid1(VALU_DEP_2)
	v_fmaak_f32 v21, v24, v21, 0xbe1160e6
	v_cmp_gt_f32_e32 vcc_lo, 0x800000, v20
	s_delay_alu instid0(VALU_DEP_2) | instskip(SKIP_1) | instid1(VALU_DEP_2)
	v_fmaak_f32 v21, v24, v21, 0x3e4cb8bf
	v_cndmask_b32_e64 v22, 1.0, 0x4f800000, vcc_lo
	v_fmaak_f32 v21, v24, v21, 0xbeaaaa62
	s_delay_alu instid0(VALU_DEP_1) | instskip(NEXT) | instid1(VALU_DEP_1)
	v_mul_f32_e32 v21, v24, v21
	v_dual_mul_f32 v20, v20, v22 :: v_dual_fmac_f32 v15, v15, v21
	s_delay_alu instid0(VALU_DEP_1) | instskip(NEXT) | instid1(VALU_DEP_1)
	v_log_f32_e32 v20, v20
	v_sub_f32_e32 v22, 0x3fc90fdb, v15
	s_delay_alu instid0(VALU_DEP_1) | instskip(SKIP_4) | instid1(VALU_DEP_3)
	v_cndmask_b32_e64 v15, v15, v22, s4
	s_waitcnt_depctr 0xfff
	v_mul_f32_e32 v21, 0x3f317217, v20
	v_cndmask_b32_e64 v22, 0, 0x40490fdb, s5
	v_cmp_gt_f32_e64 s5, 0, v13
	v_fma_f32 v23, 0x3f317217, v20, -v21
	s_delay_alu instid0(VALU_DEP_1) | instskip(NEXT) | instid1(VALU_DEP_1)
	v_fmac_f32_e32 v23, 0x3377d1cf, v20
	v_add_f32_e32 v13, v21, v23
	v_cndmask_b32_e64 v23, 0, 0x41b17218, vcc_lo
	v_cmp_gt_f32_e64 vcc_lo, 0x7f800000, |v20|
	v_sub_f32_e32 v24, 0x40490fdb, v15
	v_cndmask_b32_e64 v21, 0x3f490fdb, v17, s5
	v_cndmask_b32_e32 v13, v20, v13, vcc_lo
	s_delay_alu instid0(VALU_DEP_3) | instskip(SKIP_1) | instid1(VALU_DEP_2)
	v_cndmask_b32_e64 v15, v15, v24, s5
	v_cmp_eq_f32_e32 vcc_lo, 0, v14
	v_cndmask_b32_e32 v20, v15, v22, vcc_lo
	s_and_b32 vcc_lo, s8, s7
	s_delay_alu instid0(VALU_DEP_1)
	v_dual_sub_f32 v15, v13, v23 :: v_dual_cndmask_b32 v20, v20, v21
.LBB181_204:                            ;   in Loop: Header=BB181_145 Depth=1
	s_or_b32 exec_lo, exec_lo, s6
                                        ; implicit-def: $vgpr21
.LBB181_205:                            ;   in Loop: Header=BB181_145 Depth=1
	s_and_not1_saveexec_b32 s6, s29
	s_cbranch_execz .LBB181_211
; %bb.206:                              ;   in Loop: Header=BB181_145 Depth=1
                                        ; implicit-def: $vgpr15
                                        ; implicit-def: $vgpr20
	s_mov_b32 s5, exec_lo
	v_cmpx_ngt_f32_e32 0x1fec1e4a, v21
	s_xor_b32 s7, exec_lo, s5
	s_cbranch_execz .LBB181_208
; %bb.207:                              ;   in Loop: Header=BB181_145 Depth=1
	v_mul_f32_e32 v15, v21, v21
	v_cmp_class_f32_e64 s8, v13, 0x204
	v_cmp_gt_f32_e64 s5, 0, v13
	v_cmp_class_f32_e64 s10, v14, 0x204
	s_delay_alu instid0(VALU_DEP_4) | instskip(NEXT) | instid1(VALU_DEP_1)
	v_add_f32_e32 v22, 1.0, v15
	v_cvt_f64_f32_e32 v[20:21], v22
	s_delay_alu instid0(VALU_DEP_1) | instskip(SKIP_1) | instid1(VALU_DEP_1)
	v_frexp_exp_i32_f64_e32 v20, v[20:21]
	v_frexp_mant_f32_e32 v21, v22
	v_cmp_gt_f32_e32 vcc_lo, 0x3f2aaaab, v21
	v_add_f32_e32 v21, -1.0, v22
	s_delay_alu instid0(VALU_DEP_1) | instskip(NEXT) | instid1(VALU_DEP_1)
	v_sub_f32_e32 v24, v21, v22
	v_dual_add_f32 v24, 1.0, v24 :: v_dual_sub_f32 v21, v15, v21
	v_cmp_gt_f32_e64 s9, 0x33800000, |v15|
	s_delay_alu instid0(VALU_DEP_2) | instskip(SKIP_2) | instid1(VALU_DEP_2)
	v_add_f32_e32 v21, v21, v24
	v_subrev_co_ci_u32_e32 v20, vcc_lo, 0, v20, vcc_lo
	v_cmp_gt_i32_e32 vcc_lo, 0, v13
	v_sub_nc_u32_e32 v23, 0, v20
	v_cvt_f32_i32_e32 v20, v20
	s_delay_alu instid0(VALU_DEP_2) | instskip(SKIP_1) | instid1(VALU_DEP_2)
	v_ldexp_f32 v22, v22, v23
	v_ldexp_f32 v21, v21, v23
	v_add_f32_e32 v25, 1.0, v22
	s_delay_alu instid0(VALU_DEP_1) | instskip(NEXT) | instid1(VALU_DEP_1)
	v_add_f32_e32 v24, -1.0, v25
	v_dual_sub_f32 v24, v22, v24 :: v_dual_add_f32 v23, -1.0, v22
	s_delay_alu instid0(VALU_DEP_1) | instskip(NEXT) | instid1(VALU_DEP_2)
	v_add_f32_e32 v24, v21, v24
	v_add_f32_e32 v26, 1.0, v23
	s_delay_alu instid0(VALU_DEP_1) | instskip(NEXT) | instid1(VALU_DEP_1)
	v_sub_f32_e32 v22, v22, v26
	v_add_f32_e32 v21, v21, v22
	s_delay_alu instid0(VALU_DEP_1) | instskip(NEXT) | instid1(VALU_DEP_1)
	v_dual_add_f32 v27, v23, v21 :: v_dual_add_f32 v26, v25, v24
	v_rcp_f32_e32 v22, v26
	v_sub_f32_e32 v25, v25, v26
	s_delay_alu instid0(VALU_DEP_1) | instskip(SKIP_2) | instid1(VALU_DEP_1)
	v_dual_add_f32 v24, v24, v25 :: v_dual_sub_f32 v23, v23, v27
	s_waitcnt_depctr 0xfff
	v_dual_mul_f32 v28, v27, v22 :: v_dual_add_f32 v21, v21, v23
	v_mul_f32_e32 v29, v26, v28
	s_delay_alu instid0(VALU_DEP_1) | instskip(NEXT) | instid1(VALU_DEP_1)
	v_fma_f32 v25, v28, v26, -v29
	v_fmac_f32_e32 v25, v28, v24
	s_delay_alu instid0(VALU_DEP_1) | instskip(NEXT) | instid1(VALU_DEP_1)
	v_add_f32_e32 v30, v29, v25
	v_sub_f32_e32 v31, v27, v30
	s_delay_alu instid0(VALU_DEP_1) | instskip(SKIP_1) | instid1(VALU_DEP_2)
	v_sub_f32_e32 v27, v27, v31
	v_sub_f32_e32 v23, v30, v29
	;; [unrolled: 1-line block ×3, first 2 shown]
	s_delay_alu instid0(VALU_DEP_2) | instskip(NEXT) | instid1(VALU_DEP_2)
	v_sub_f32_e32 v23, v23, v25
	v_add_f32_e32 v21, v21, v27
	s_delay_alu instid0(VALU_DEP_1) | instskip(NEXT) | instid1(VALU_DEP_1)
	v_add_f32_e32 v21, v23, v21
	v_add_f32_e32 v23, v31, v21
	s_delay_alu instid0(VALU_DEP_1) | instskip(NEXT) | instid1(VALU_DEP_1)
	v_mul_f32_e32 v25, v22, v23
	v_dual_sub_f32 v30, v31, v23 :: v_dual_mul_f32 v27, v26, v25
	s_delay_alu instid0(VALU_DEP_1) | instskip(NEXT) | instid1(VALU_DEP_2)
	v_add_f32_e32 v21, v21, v30
	v_fma_f32 v26, v25, v26, -v27
	s_delay_alu instid0(VALU_DEP_1) | instskip(NEXT) | instid1(VALU_DEP_1)
	v_fmac_f32_e32 v26, v25, v24
	v_add_f32_e32 v24, v27, v26
	s_delay_alu instid0(VALU_DEP_1) | instskip(SKIP_1) | instid1(VALU_DEP_2)
	v_sub_f32_e32 v29, v23, v24
	v_sub_f32_e32 v27, v24, v27
	;; [unrolled: 1-line block ×3, first 2 shown]
	s_delay_alu instid0(VALU_DEP_1) | instskip(NEXT) | instid1(VALU_DEP_1)
	v_sub_f32_e32 v23, v23, v24
	v_dual_sub_f32 v24, v27, v26 :: v_dual_add_f32 v21, v21, v23
	v_add_f32_e32 v23, v28, v25
	s_delay_alu instid0(VALU_DEP_1) | instskip(NEXT) | instid1(VALU_DEP_1)
	v_dual_add_f32 v21, v24, v21 :: v_dual_sub_f32 v24, v23, v28
	v_add_f32_e32 v21, v29, v21
	s_delay_alu instid0(VALU_DEP_2) | instskip(SKIP_1) | instid1(VALU_DEP_3)
	v_sub_f32_e32 v24, v25, v24
	v_max_f32_e64 v25, |v13|, |v13|
	v_mul_f32_e32 v21, v22, v21
	v_max_f32_e64 v22, |v14|, |v14|
	s_delay_alu instid0(VALU_DEP_2) | instskip(NEXT) | instid1(VALU_DEP_2)
	v_add_f32_e32 v21, v24, v21
	v_max_f32_e32 v27, v25, v22
	v_min_f32_e32 v22, v25, v22
	s_delay_alu instid0(VALU_DEP_3) | instskip(NEXT) | instid1(VALU_DEP_3)
	v_add_f32_e32 v24, v23, v21
	v_frexp_mant_f32_e32 v29, v27
	v_frexp_exp_i32_f32_e32 v25, v27
	s_delay_alu instid0(VALU_DEP_3) | instskip(SKIP_1) | instid1(VALU_DEP_2)
	v_mul_f32_e32 v26, v24, v24
	v_ldexp_f32 v30, v24, 1
	v_dual_sub_f32 v23, v24, v23 :: v_dual_fmaak_f32 v28, s21, v26, 0x3ecc95a3
	v_mul_f32_e32 v27, v24, v26
	s_delay_alu instid0(VALU_DEP_2) | instskip(SKIP_3) | instid1(VALU_DEP_3)
	v_dual_sub_f32 v21, v21, v23 :: v_dual_fmaak_f32 v26, v26, v28, 0x3f2aaada
	v_rcp_f32_e32 v28, v29
	v_frexp_exp_i32_f32_e32 v29, v22
	v_frexp_mant_f32_e32 v22, v22
	v_ldexp_f32 v21, v21, 1
	v_dual_mul_f32 v26, v27, v26 :: v_dual_mul_f32 v27, 0x3f317218, v20
	s_delay_alu instid0(VALU_DEP_4) | instskip(NEXT) | instid1(VALU_DEP_2)
	v_sub_nc_u32_e32 v25, v29, v25
	v_add_f32_e32 v24, v30, v26
	s_delay_alu instid0(TRANS32_DEP_1) | instid1(VALU_DEP_1)
	v_dual_mul_f32 v22, v22, v28 :: v_dual_sub_f32 v23, v24, v30
	s_delay_alu instid0(VALU_DEP_1) | instskip(SKIP_1) | instid1(VALU_DEP_3)
	v_ldexp_f32 v22, v22, v25
	v_fma_f32 v25, 0x3f317218, v20, -v27
	v_sub_f32_e32 v23, v26, v23
	s_delay_alu instid0(VALU_DEP_2) | instskip(NEXT) | instid1(VALU_DEP_1)
	v_dual_mul_f32 v26, v22, v22 :: v_dual_fmac_f32 v25, 0xb102e308, v20
	v_dual_add_f32 v20, v21, v23 :: v_dual_fmaak_f32 v21, s26, v26, 0xbc7a590c
	s_delay_alu instid0(VALU_DEP_1) | instskip(NEXT) | instid1(VALU_DEP_2)
	v_dual_add_f32 v23, v27, v25 :: v_dual_add_f32 v28, v24, v20
	v_fmaak_f32 v21, v26, v21, 0x3d29fb3f
	s_delay_alu instid0(VALU_DEP_2) | instskip(NEXT) | instid1(VALU_DEP_3)
	v_sub_f32_e32 v27, v23, v27
	v_add_f32_e32 v29, v23, v28
	s_delay_alu instid0(VALU_DEP_3) | instskip(NEXT) | instid1(VALU_DEP_3)
	v_dual_fmaak_f32 v21, v26, v21, 0xbd97d4d7 :: v_dual_sub_f32 v24, v28, v24
	v_sub_f32_e32 v25, v25, v27
	s_delay_alu instid0(VALU_DEP_2) | instskip(NEXT) | instid1(VALU_DEP_1)
	v_dual_sub_f32 v30, v29, v23 :: v_dual_fmaak_f32 v21, v26, v21, 0x3dd931b2
	v_dual_sub_f32 v20, v20, v24 :: v_dual_sub_f32 v31, v29, v30
	s_delay_alu instid0(VALU_DEP_2) | instskip(NEXT) | instid1(VALU_DEP_2)
	v_dual_fmaak_f32 v21, v26, v21, 0xbe1160e6 :: v_dual_sub_f32 v24, v28, v30
	v_add_f32_e32 v27, v25, v20
	s_delay_alu instid0(VALU_DEP_3) | instskip(NEXT) | instid1(VALU_DEP_3)
	v_sub_f32_e32 v23, v23, v31
	v_fmaak_f32 v21, v26, v21, 0x3e4cb8bf
	s_delay_alu instid0(VALU_DEP_2) | instskip(NEXT) | instid1(VALU_DEP_2)
	v_add_f32_e32 v23, v24, v23
	v_fmaak_f32 v21, v26, v21, 0xbeaaaa62
	v_sub_f32_e32 v24, v27, v25
	s_delay_alu instid0(VALU_DEP_3) | instskip(NEXT) | instid1(VALU_DEP_2)
	v_add_f32_e32 v23, v27, v23
	v_dual_mul_f32 v21, v26, v21 :: v_dual_sub_f32 v26, v27, v24
	s_delay_alu instid0(VALU_DEP_2) | instskip(NEXT) | instid1(VALU_DEP_2)
	v_dual_sub_f32 v20, v20, v24 :: v_dual_add_f32 v27, v29, v23
	v_dual_fmac_f32 v22, v22, v21 :: v_dual_sub_f32 v21, v25, v26
	s_delay_alu instid0(VALU_DEP_1) | instskip(NEXT) | instid1(VALU_DEP_1)
	v_dual_sub_f32 v24, v27, v29 :: v_dual_sub_f32 v25, 0x3fc90fdb, v22
	v_dual_add_f32 v20, v20, v21 :: v_dual_sub_f32 v21, v23, v24
	s_delay_alu instid0(VALU_DEP_2) | instskip(SKIP_2) | instid1(VALU_DEP_3)
	v_cndmask_b32_e64 v22, v22, v25, s4
	v_cndmask_b32_e64 v23, 0, 0x40490fdb, vcc_lo
	v_cmp_eq_f32_e32 vcc_lo, 0x7f800000, v15
	v_dual_add_f32 v20, v20, v21 :: v_dual_sub_f32 v21, 0x40490fdb, v22
	s_or_b32 vcc_lo, vcc_lo, s9
	s_delay_alu instid0(VALU_DEP_1) | instskip(NEXT) | instid1(VALU_DEP_2)
	v_add_f32_e32 v13, v27, v20
	v_cndmask_b32_e64 v20, v22, v21, s5
	v_cndmask_b32_e64 v21, 0x3f490fdb, v17, s5
	s_delay_alu instid0(VALU_DEP_3) | instskip(SKIP_1) | instid1(VALU_DEP_2)
	v_cndmask_b32_e32 v13, v13, v15, vcc_lo
	v_cmp_eq_f32_e32 vcc_lo, 0, v14
	v_dual_mul_f32 v15, 0.5, v13 :: v_dual_cndmask_b32 v20, v20, v23
	s_and_b32 vcc_lo, s10, s8
	s_delay_alu instid0(VALU_DEP_1)
	v_cndmask_b32_e32 v20, v20, v21, vcc_lo
                                        ; implicit-def: $vgpr21
.LBB181_208:                            ;   in Loop: Header=BB181_145 Depth=1
	s_and_not1_saveexec_b32 s7, s7
	s_cbranch_execz .LBB181_210
; %bb.209:                              ;   in Loop: Header=BB181_145 Depth=1
	v_max_f32_e64 v15, |v14|, |v14|
	v_max_f32_e64 v20, |v13|, |v13|
	v_cmp_gt_i32_e32 vcc_lo, 0, v13
	v_cmp_eq_f32_e64 s5, 0, v14
	v_cmp_class_f32_e64 s8, v13, 0x204
	v_cmp_class_f32_e64 s9, v14, 0x204
	v_max_f32_e32 v22, v20, v15
	v_min_f32_e32 v15, v20, v15
	s_delay_alu instid0(VALU_DEP_2) | instskip(NEXT) | instid1(VALU_DEP_1)
	v_frexp_mant_f32_e32 v23, v22
	v_rcp_f32_e32 v20, v23
	s_delay_alu instid0(VALU_DEP_2) | instskip(SKIP_4) | instid1(VALU_DEP_1)
	v_frexp_exp_i32_f32_e32 v23, v15
	v_frexp_mant_f32_e32 v15, v15
	s_waitcnt_depctr 0xfff
	v_mul_f32_e32 v15, v15, v20
	v_frexp_exp_i32_f32_e32 v22, v22
	v_sub_nc_u32_e32 v22, v23, v22
	s_delay_alu instid0(VALU_DEP_1) | instskip(NEXT) | instid1(VALU_DEP_1)
	v_ldexp_f32 v15, v15, v22
	v_mul_f32_e32 v20, v15, v15
	s_delay_alu instid0(VALU_DEP_1) | instskip(NEXT) | instid1(VALU_DEP_1)
	v_fmaak_f32 v22, s26, v20, 0xbc7a590c
	v_fmaak_f32 v22, v20, v22, 0x3d29fb3f
	s_delay_alu instid0(VALU_DEP_1) | instskip(NEXT) | instid1(VALU_DEP_1)
	v_fmaak_f32 v22, v20, v22, 0xbd97d4d7
	v_fmaak_f32 v22, v20, v22, 0x3dd931b2
	;; [unrolled: 3-line block ×3, first 2 shown]
	s_delay_alu instid0(VALU_DEP_1) | instskip(NEXT) | instid1(VALU_DEP_1)
	v_fmaak_f32 v22, v20, v22, 0xbeaaaa62
	v_mul_f32_e32 v20, v20, v22
	v_cndmask_b32_e64 v22, 0, 0x40490fdb, vcc_lo
	v_cmp_gt_f32_e32 vcc_lo, 0, v13
	s_delay_alu instid0(VALU_DEP_3) | instskip(NEXT) | instid1(VALU_DEP_1)
	v_fmac_f32_e32 v15, v15, v20
	v_sub_f32_e32 v20, 0x3fc90fdb, v15
	s_delay_alu instid0(VALU_DEP_1) | instskip(NEXT) | instid1(VALU_DEP_1)
	v_cndmask_b32_e64 v15, v15, v20, s4
	v_sub_f32_e32 v20, 0x40490fdb, v15
	s_delay_alu instid0(VALU_DEP_1) | instskip(NEXT) | instid1(VALU_DEP_1)
	v_dual_cndmask_b32 v15, v15, v20 :: v_dual_mul_f32 v20, 0.5, v21
	v_cndmask_b32_e64 v13, v15, v22, s5
	s_delay_alu instid0(VALU_DEP_2) | instskip(SKIP_1) | instid1(VALU_DEP_1)
	v_dual_mul_f32 v15, v21, v20 :: v_dual_cndmask_b32 v22, 0x3f490fdb, v17
	s_and_b32 vcc_lo, s9, s8
	v_cndmask_b32_e32 v20, v13, v22, vcc_lo
.LBB181_210:                            ;   in Loop: Header=BB181_145 Depth=1
	s_or_b32 exec_lo, exec_lo, s7
.LBB181_211:                            ;   in Loop: Header=BB181_145 Depth=1
	s_delay_alu instid0(SALU_CYCLE_1)
	s_or_b32 exec_lo, exec_lo, s6
.LBB181_212:                            ;   in Loop: Header=BB181_145 Depth=1
	s_and_not1_saveexec_b32 s6, s28
	s_cbranch_execz .LBB181_214
; %bb.213:                              ;   in Loop: Header=BB181_145 Depth=1
	v_div_scale_f32 v15, null, 0x402df854, 0x402df854, v13
	v_div_scale_f32 v20, null, 0x402df854, 0x402df854, v14
	v_div_scale_f32 v25, vcc_lo, v13, 0x402df854, v13
	s_delay_alu instid0(VALU_DEP_3) | instskip(NEXT) | instid1(VALU_DEP_2)
	v_rcp_f32_e32 v21, v15
	v_rcp_f32_e32 v22, v20
	v_cmp_class_f32_e64 s7, v14, 0x204
	s_waitcnt_depctr 0xfff
	v_fma_f32 v23, -v15, v21, 1.0
	v_fma_f32 v24, -v20, v22, 1.0
	s_delay_alu instid0(VALU_DEP_1) | instskip(SKIP_1) | instid1(VALU_DEP_2)
	v_dual_fmac_f32 v21, v23, v21 :: v_dual_fmac_f32 v22, v24, v22
	v_div_scale_f32 v23, s5, v14, 0x402df854, v14
	v_mul_f32_e32 v24, v25, v21
	s_delay_alu instid0(VALU_DEP_1) | instskip(NEXT) | instid1(VALU_DEP_1)
	v_fma_f32 v27, -v15, v24, v25
	v_fmac_f32_e32 v24, v27, v21
	s_delay_alu instid0(VALU_DEP_1) | instskip(NEXT) | instid1(VALU_DEP_1)
	v_fma_f32 v15, -v15, v24, v25
	v_div_fmas_f32 v15, v15, v21, v24
	v_max_f32_e64 v24, |v13|, |v13|
	v_mul_f32_e32 v26, v23, v22
	s_mov_b32 vcc_lo, s5
	v_cmp_class_f32_e64 s5, v13, 0x204
	v_div_fixup_f32 v15, v15, 0x402df854, v13
	s_delay_alu instid0(VALU_DEP_3) | instskip(NEXT) | instid1(VALU_DEP_1)
	v_fma_f32 v28, -v20, v26, v23
	v_fmac_f32_e32 v26, v28, v22
	s_delay_alu instid0(VALU_DEP_1) | instskip(NEXT) | instid1(VALU_DEP_1)
	v_fma_f32 v20, -v20, v26, v23
	v_div_fmas_f32 v20, v20, v22, v26
	s_delay_alu instid0(VALU_DEP_1) | instskip(NEXT) | instid1(VALU_DEP_1)
	v_div_fixup_f32 v22, v20, 0x402df854, v14
	v_max_f32_e64 v23, |v15|, |v22|
	s_delay_alu instid0(VALU_DEP_1) | instskip(SKIP_1) | instid1(VALU_DEP_2)
	v_cvt_f64_f32_e32 v[20:21], v23
	v_cmp_neq_f32_e32 vcc_lo, 0x7f800000, v23
	v_frexp_exp_i32_f64_e32 v20, v[20:21]
	v_max_f32_e64 v21, |v14|, |v14|
	s_delay_alu instid0(VALU_DEP_1) | instskip(SKIP_1) | instid1(VALU_DEP_2)
	v_max_f32_e32 v25, v24, v21
	v_min_f32_e32 v21, v24, v21
	v_frexp_mant_f32_e32 v26, v25
	v_frexp_exp_i32_f32_e32 v25, v25
	s_delay_alu instid0(VALU_DEP_2) | instskip(SKIP_1) | instid1(VALU_DEP_1)
	v_rcp_f32_e32 v24, v26
	v_sub_nc_u32_e32 v26, 0, v20
	v_ldexp_f32 v22, |v22|, v26
	v_ldexp_f32 v15, |v15|, v26
	s_delay_alu instid0(VALU_DEP_2) | instskip(SKIP_2) | instid1(VALU_DEP_2)
	v_mul_f32_e32 v22, v22, v22
	v_frexp_exp_i32_f32_e32 v27, v21
	v_frexp_mant_f32_e32 v21, v21
	v_sub_nc_u32_e32 v25, v27, v25
	s_delay_alu instid0(TRANS32_DEP_1) | instid1(VALU_DEP_2)
	v_mul_f32_e32 v21, v21, v24
	s_delay_alu instid0(VALU_DEP_1) | instskip(NEXT) | instid1(VALU_DEP_1)
	v_ldexp_f32 v21, v21, v25
	v_dual_fmac_f32 v22, v15, v15 :: v_dual_mul_f32 v15, v21, v21
	s_delay_alu instid0(VALU_DEP_1) | instskip(NEXT) | instid1(VALU_DEP_1)
	v_sqrt_f32_e32 v22, v22
	v_fmaak_f32 v24, s26, v15, 0xbc7a590c
	s_delay_alu instid0(VALU_DEP_1) | instskip(SKIP_2) | instid1(VALU_DEP_1)
	v_fmaak_f32 v24, v15, v24, 0x3d29fb3f
	s_waitcnt_depctr 0xfff
	v_ldexp_f32 v20, v22, v20
	v_cndmask_b32_e32 v20, 0x7f800000, v20, vcc_lo
	s_delay_alu instid0(VALU_DEP_1) | instskip(SKIP_1) | instid1(VALU_DEP_1)
	v_cmp_gt_f32_e32 vcc_lo, 0x800000, v20
	v_cndmask_b32_e64 v23, 1.0, 0x4f800000, vcc_lo
	v_mul_f32_e32 v20, v20, v23
	s_delay_alu instid0(VALU_DEP_1) | instskip(SKIP_2) | instid1(VALU_DEP_2)
	v_log_f32_e32 v20, v20
	v_fmaak_f32 v22, v15, v24, 0xbd97d4d7
	v_cndmask_b32_e64 v24, 0, 0x41b17218, vcc_lo
	v_fmaak_f32 v22, v15, v22, 0x3dd931b2
	s_waitcnt_depctr 0xfff
	v_cmp_gt_f32_e64 vcc_lo, 0x7f800000, |v20|
	v_fmaak_f32 v22, v15, v22, 0xbe1160e6
	s_delay_alu instid0(VALU_DEP_1) | instskip(NEXT) | instid1(VALU_DEP_1)
	v_fmaak_f32 v22, v15, v22, 0x3e4cb8bf
	v_fmaak_f32 v22, v15, v22, 0xbeaaaa62
	s_delay_alu instid0(VALU_DEP_1) | instskip(NEXT) | instid1(VALU_DEP_1)
	v_dual_mul_f32 v15, v15, v22 :: v_dual_mul_f32 v22, 0x3f317217, v20
	v_fmac_f32_e32 v21, v21, v15
	s_delay_alu instid0(VALU_DEP_2) | instskip(NEXT) | instid1(VALU_DEP_2)
	v_fma_f32 v15, 0x3f317217, v20, -v22
	v_sub_f32_e32 v23, 0x3fc90fdb, v21
	s_delay_alu instid0(VALU_DEP_2) | instskip(NEXT) | instid1(VALU_DEP_2)
	v_fmac_f32_e32 v15, 0x3377d1cf, v20
	v_cndmask_b32_e64 v21, v21, v23, s4
	v_cmp_gt_i32_e64 s4, 0, v13
	s_delay_alu instid0(VALU_DEP_3) | instskip(NEXT) | instid1(VALU_DEP_2)
	v_add_f32_e32 v15, v22, v15
	v_cndmask_b32_e64 v23, 0, 0x40490fdb, s4
	v_cmp_gt_f32_e64 s4, 0, v13
	s_delay_alu instid0(VALU_DEP_3) | instskip(SKIP_1) | instid1(VALU_DEP_3)
	v_dual_cndmask_b32 v15, v20, v15 :: v_dual_sub_f32 v22, 0x40490fdb, v21
	v_cmp_eq_f32_e32 vcc_lo, 0, v14
	v_cndmask_b32_e64 v20, 0x3f490fdb, v17, s4
	s_delay_alu instid0(VALU_DEP_3) | instskip(NEXT) | instid1(VALU_DEP_4)
	v_sub_f32_e32 v15, v15, v24
	v_cndmask_b32_e64 v13, v21, v22, s4
	s_delay_alu instid0(VALU_DEP_2) | instskip(NEXT) | instid1(VALU_DEP_2)
	v_add_f32_e32 v15, 1.0, v15
	v_cndmask_b32_e32 v13, v13, v23, vcc_lo
	s_and_b32 vcc_lo, s7, s5
	s_delay_alu instid0(VALU_DEP_1)
	v_cndmask_b32_e32 v20, v13, v20, vcc_lo
.LBB181_214:                            ;   in Loop: Header=BB181_145 Depth=1
	s_or_b32 exec_lo, exec_lo, s6
.LBB181_215:                            ;   in Loop: Header=BB181_145 Depth=1
	s_and_not1_saveexec_b32 s4, s27
	s_cbranch_execz .LBB181_221
; %bb.216:                              ;   in Loop: Header=BB181_145 Depth=1
	v_cmp_ngt_f32_e64 s5, 0x20000000, |v13|
	v_cmp_ngt_f32_e64 s6, 0x20000000, |v14|
                                        ; implicit-def: $vgpr15
	s_delay_alu instid0(VALU_DEP_1) | instskip(NEXT) | instid1(SALU_CYCLE_1)
	s_or_b32 s5, s6, s5
	s_and_saveexec_b32 s6, s5
	s_delay_alu instid0(SALU_CYCLE_1)
	s_xor_b32 s5, exec_lo, s6
; %bb.217:                              ;   in Loop: Header=BB181_145 Depth=1
	v_mul_f32_e32 v15, v13, v13
	s_delay_alu instid0(VALU_DEP_1)
	v_fmac_f32_e32 v15, v14, v14
; %bb.218:                              ;   in Loop: Header=BB181_145 Depth=1
	s_and_not1_saveexec_b32 s5, s5
; %bb.219:                              ;   in Loop: Header=BB181_145 Depth=1
	v_mul_f32_e32 v13, 4.0, v13
	v_mul_f32_e32 v15, 4.0, v14
	s_delay_alu instid0(VALU_DEP_2) | instskip(NEXT) | instid1(VALU_DEP_1)
	v_mul_f32_e32 v13, v13, v13
	v_fmac_f32_e32 v13, v15, v15
	s_delay_alu instid0(VALU_DEP_1)
	v_mul_f32_e32 v15, 0x3d800000, v13
; %bb.220:                              ;   in Loop: Header=BB181_145 Depth=1
	s_or_b32 exec_lo, exec_lo, s5
	s_delay_alu instid0(VALU_DEP_1) | instskip(SKIP_1) | instid1(VALU_DEP_1)
	v_cmp_gt_f32_e32 vcc_lo, 0x800000, v15
	v_cndmask_b32_e64 v13, 1.0, 0x4f800000, vcc_lo
	v_mul_f32_e32 v13, v15, v13
	s_delay_alu instid0(VALU_DEP_1) | instskip(SKIP_2) | instid1(VALU_DEP_1)
	v_log_f32_e32 v13, v13
	s_waitcnt_depctr 0xfff
	v_mul_f32_e32 v15, 0x3f317217, v13
	v_fma_f32 v20, 0x3f317217, v13, -v15
	s_delay_alu instid0(VALU_DEP_1) | instskip(NEXT) | instid1(VALU_DEP_1)
	v_fmac_f32_e32 v20, 0x3377d1cf, v13
	v_add_f32_e32 v15, v15, v20
	v_cndmask_b32_e64 v20, 0, 0x41b17218, vcc_lo
	v_cmp_gt_f32_e64 vcc_lo, 0x7f800000, |v13|
	s_delay_alu instid0(VALU_DEP_3) | instskip(NEXT) | instid1(VALU_DEP_1)
	v_cndmask_b32_e32 v13, v13, v15, vcc_lo
	v_dual_sub_f32 v15, v13, v20 :: v_dual_mov_b32 v20, 0x7fc00000
.LBB181_221:                            ;   in Loop: Header=BB181_145 Depth=1
	s_or_b32 exec_lo, exec_lo, s4
                                        ; implicit-def: $vgpr13
                                        ; implicit-def: $vgpr21
	s_delay_alu instid0(SALU_CYCLE_1)
	s_mov_b32 s4, exec_lo
	v_cmpx_o_f32_e32 v8, v7
	s_xor_b32 s27, exec_lo, s4
	s_cbranch_execz .LBB181_249
; %bb.222:                              ;   in Loop: Header=BB181_145 Depth=1
	v_cmp_lt_f32_e64 s4, |v7|, |v8|
                                        ; implicit-def: $vgpr13
                                        ; implicit-def: $vgpr21
	s_mov_b32 s5, exec_lo
	s_delay_alu instid0(VALU_DEP_1) | instskip(NEXT) | instid1(VALU_DEP_1)
	v_cndmask_b32_e64 v22, |v8|, |v7|, s4
	v_cmpx_nlt_f32_e32 0x77f684df, v22
	s_xor_b32 s28, exec_lo, s5
	s_cbranch_execz .LBB181_246
; %bb.223:                              ;   in Loop: Header=BB181_145 Depth=1
	v_and_b32_e32 v13, 0x7fffffff, v8
                                        ; implicit-def: $vgpr21
	s_mov_b32 s5, exec_lo
	s_delay_alu instid0(VALU_DEP_1) | instskip(NEXT) | instid1(VALU_DEP_1)
	v_cndmask_b32_e64 v23, |v7|, v13, s4
                                        ; implicit-def: $vgpr13
	v_cmpx_neq_f32_e32 1.0, v23
	s_xor_b32 s29, exec_lo, s5
	s_cbranch_execz .LBB181_239
; %bb.224:                              ;   in Loop: Header=BB181_145 Depth=1
	v_max_f32_e32 v13, v22, v22
	v_max_f32_e32 v21, v23, v23
	s_delay_alu instid0(VALU_DEP_1) | instskip(SKIP_1) | instid1(VALU_DEP_2)
	v_min_f32_e32 v24, v21, v13
	v_max_f32_e32 v13, v21, v13
                                        ; implicit-def: $vgpr21
	v_cmp_ngt_f32_e32 vcc_lo, 0x358637bd, v24
	s_delay_alu instid0(VALU_DEP_2) | instskip(NEXT) | instid1(VALU_DEP_1)
	v_cmp_nlt_f32_e64 s5, 0x49742400, v13
                                        ; implicit-def: $vgpr13
	s_and_b32 s5, s5, vcc_lo
	s_delay_alu instid0(SALU_CYCLE_1) | instskip(NEXT) | instid1(SALU_CYCLE_1)
	s_and_saveexec_b32 s6, s5
	s_xor_b32 s30, exec_lo, s6
	s_cbranch_execz .LBB181_236
; %bb.225:                              ;   in Loop: Header=BB181_145 Depth=1
                                        ; implicit-def: $vgpr13
                                        ; implicit-def: $vgpr21
	s_mov_b32 s5, exec_lo
	v_cmpx_le_f32_e32 1.0, v23
	s_xor_b32 s6, exec_lo, s5
	s_cbranch_execz .LBB181_227
; %bb.226:                              ;   in Loop: Header=BB181_145 Depth=1
	v_add_f32_e32 v13, -1.0, v23
	v_add_f32_e32 v21, 1.0, v23
	v_cmp_class_f32_e64 s7, v7, 0x204
	s_delay_alu instid0(VALU_DEP_2) | instskip(NEXT) | instid1(VALU_DEP_1)
	v_mul_f32_e32 v13, v13, v21
	v_fmac_f32_e32 v13, v22, v22
	s_delay_alu instid0(VALU_DEP_1) | instskip(NEXT) | instid1(VALU_DEP_1)
	v_add_f32_e32 v23, 1.0, v13
	v_cvt_f64_f32_e32 v[21:22], v23
	s_delay_alu instid0(VALU_DEP_1) | instskip(SKIP_1) | instid1(VALU_DEP_1)
	v_frexp_exp_i32_f64_e32 v21, v[21:22]
	v_frexp_mant_f32_e32 v22, v23
	v_cmp_gt_f32_e32 vcc_lo, 0x3f2aaaab, v22
	v_add_f32_e32 v22, -1.0, v23
	s_delay_alu instid0(VALU_DEP_1) | instskip(SKIP_1) | instid1(VALU_DEP_1)
	v_sub_f32_e32 v25, v22, v23
	v_subrev_co_ci_u32_e32 v21, vcc_lo, 0, v21, vcc_lo
	v_sub_nc_u32_e32 v24, 0, v21
	v_cvt_f32_i32_e32 v21, v21
	s_delay_alu instid0(VALU_DEP_2) | instskip(NEXT) | instid1(VALU_DEP_1)
	v_ldexp_f32 v23, v23, v24
	v_dual_add_f32 v25, 1.0, v25 :: v_dual_add_f32 v26, 1.0, v23
	v_sub_f32_e32 v22, v13, v22
	v_cmp_eq_f32_e32 vcc_lo, 0x7f800000, v13
	v_cmp_neq_f32_e64 s5, -1.0, v13
	s_delay_alu instid0(VALU_DEP_3) | instskip(NEXT) | instid1(VALU_DEP_1)
	v_add_f32_e32 v22, v22, v25
	v_ldexp_f32 v22, v22, v24
	v_dual_add_f32 v24, -1.0, v23 :: v_dual_add_f32 v25, -1.0, v26
	s_delay_alu instid0(VALU_DEP_1) | instskip(NEXT) | instid1(VALU_DEP_2)
	v_add_f32_e32 v27, 1.0, v24
	v_sub_f32_e32 v25, v23, v25
	s_delay_alu instid0(VALU_DEP_2) | instskip(NEXT) | instid1(VALU_DEP_2)
	v_sub_f32_e32 v23, v23, v27
	v_add_f32_e32 v25, v22, v25
	s_delay_alu instid0(VALU_DEP_2) | instskip(NEXT) | instid1(VALU_DEP_1)
	v_add_f32_e32 v22, v22, v23
	v_add_f32_e32 v28, v24, v22
	s_delay_alu instid0(VALU_DEP_1) | instskip(NEXT) | instid1(VALU_DEP_1)
	v_dual_sub_f32 v24, v28, v24 :: v_dual_add_f32 v27, v26, v25
	v_sub_f32_e32 v22, v22, v24
	s_delay_alu instid0(VALU_DEP_2) | instskip(SKIP_1) | instid1(VALU_DEP_1)
	v_rcp_f32_e32 v23, v27
	v_sub_f32_e32 v26, v27, v26
	v_sub_f32_e32 v25, v25, v26
	s_waitcnt_depctr 0xfff
	v_mul_f32_e32 v29, v28, v23
	s_delay_alu instid0(VALU_DEP_1) | instskip(NEXT) | instid1(VALU_DEP_1)
	v_mul_f32_e32 v30, v27, v29
	v_fma_f32 v26, v29, v27, -v30
	s_delay_alu instid0(VALU_DEP_1) | instskip(NEXT) | instid1(VALU_DEP_1)
	v_fmac_f32_e32 v26, v29, v25
	v_add_f32_e32 v31, v30, v26
	s_delay_alu instid0(VALU_DEP_1) | instskip(SKIP_1) | instid1(VALU_DEP_2)
	v_sub_f32_e32 v32, v28, v31
	v_sub_f32_e32 v24, v31, v30
	;; [unrolled: 1-line block ×3, first 2 shown]
	s_delay_alu instid0(VALU_DEP_2) | instskip(NEXT) | instid1(VALU_DEP_2)
	v_sub_f32_e32 v24, v24, v26
	v_sub_f32_e32 v28, v28, v31
	s_delay_alu instid0(VALU_DEP_1) | instskip(NEXT) | instid1(VALU_DEP_1)
	v_add_f32_e32 v22, v22, v28
	v_add_f32_e32 v22, v24, v22
	s_delay_alu instid0(VALU_DEP_1) | instskip(NEXT) | instid1(VALU_DEP_1)
	v_add_f32_e32 v24, v32, v22
	v_mul_f32_e32 v26, v23, v24
	s_delay_alu instid0(VALU_DEP_1) | instskip(NEXT) | instid1(VALU_DEP_1)
	v_dual_sub_f32 v31, v32, v24 :: v_dual_mul_f32 v28, v27, v26
	v_add_f32_e32 v22, v22, v31
	s_delay_alu instid0(VALU_DEP_2) | instskip(NEXT) | instid1(VALU_DEP_1)
	v_fma_f32 v27, v26, v27, -v28
	v_fmac_f32_e32 v27, v26, v25
	s_delay_alu instid0(VALU_DEP_1) | instskip(NEXT) | instid1(VALU_DEP_1)
	v_add_f32_e32 v25, v28, v27
	v_sub_f32_e32 v30, v24, v25
	s_delay_alu instid0(VALU_DEP_1) | instskip(NEXT) | instid1(VALU_DEP_1)
	v_sub_f32_e32 v24, v24, v30
	v_sub_f32_e32 v24, v24, v25
	s_delay_alu instid0(VALU_DEP_1) | instskip(SKIP_2) | instid1(VALU_DEP_1)
	v_add_f32_e32 v22, v22, v24
	v_add_f32_e32 v24, v29, v26
	v_sub_f32_e32 v28, v25, v28
	v_sub_f32_e32 v25, v28, v27
	v_max_f32_e64 v27, |v8|, |v8|
	s_delay_alu instid0(VALU_DEP_2) | instskip(NEXT) | instid1(VALU_DEP_1)
	v_dual_add_f32 v22, v25, v22 :: v_dual_sub_f32 v25, v24, v29
	v_add_f32_e32 v22, v30, v22
	s_delay_alu instid0(VALU_DEP_2) | instskip(SKIP_1) | instid1(VALU_DEP_3)
	v_sub_f32_e32 v25, v26, v25
	v_mul_f32_e32 v30, 0x3f317218, v21
	v_mul_f32_e32 v22, v23, v22
	s_delay_alu instid0(VALU_DEP_2) | instskip(NEXT) | instid1(VALU_DEP_1)
	v_fma_f32 v31, 0x3f317218, v21, -v30
	v_dual_add_f32 v22, v25, v22 :: v_dual_fmac_f32 v31, 0xb102e308, v21
	s_delay_alu instid0(VALU_DEP_1) | instskip(NEXT) | instid1(VALU_DEP_1)
	v_add_f32_e32 v23, v24, v22
	v_mul_f32_e32 v25, v23, v23
	v_ldexp_f32 v29, v23, 1
	s_delay_alu instid0(VALU_DEP_2) | instskip(SKIP_2) | instid1(VALU_DEP_3)
	v_fmaak_f32 v26, s21, v25, 0x3ecc95a3
	v_mul_f32_e32 v28, v23, v25
	v_sub_f32_e32 v23, v23, v24
	v_fmaak_f32 v25, v25, v26, 0x3f2aaada
	v_max_f32_e64 v26, |v7|, |v7|
	s_delay_alu instid0(VALU_DEP_2) | instskip(NEXT) | instid1(VALU_DEP_2)
	v_dual_sub_f32 v22, v22, v23 :: v_dual_mul_f32 v25, v28, v25
	v_max_f32_e32 v28, v26, v27
	s_delay_alu instid0(VALU_DEP_2) | instskip(NEXT) | instid1(VALU_DEP_3)
	v_ldexp_f32 v22, v22, 1
	v_add_f32_e32 v24, v29, v25
	s_delay_alu instid0(VALU_DEP_1) | instskip(NEXT) | instid1(VALU_DEP_1)
	v_sub_f32_e32 v23, v24, v29
	v_sub_f32_e32 v23, v25, v23
	s_delay_alu instid0(VALU_DEP_1) | instskip(SKIP_4) | instid1(VALU_DEP_4)
	v_add_f32_e32 v21, v22, v23
	v_min_f32_e32 v26, v26, v27
	v_frexp_mant_f32_e32 v27, v28
	v_add_f32_e32 v23, v30, v31
	v_frexp_exp_i32_f32_e32 v28, v28
	v_frexp_mant_f32_e32 v25, v26
	s_delay_alu instid0(VALU_DEP_4) | instskip(NEXT) | instid1(VALU_DEP_3)
	v_rcp_f32_e32 v27, v27
	v_sub_f32_e32 v30, v23, v30
	s_delay_alu instid0(VALU_DEP_1) | instskip(SKIP_2) | instid1(VALU_DEP_1)
	v_sub_f32_e32 v30, v31, v30
	s_waitcnt_depctr 0xfff
	v_dual_mul_f32 v22, v25, v27 :: v_dual_add_f32 v25, v24, v21
	v_sub_f32_e32 v24, v25, v24
	s_delay_alu instid0(VALU_DEP_1) | instskip(SKIP_1) | instid1(VALU_DEP_1)
	v_sub_f32_e32 v21, v21, v24
	v_frexp_exp_i32_f32_e32 v29, v26
	v_sub_nc_u32_e32 v26, v29, v28
	s_delay_alu instid0(VALU_DEP_1) | instskip(NEXT) | instid1(VALU_DEP_1)
	v_ldexp_f32 v22, v22, v26
	v_dual_add_f32 v26, v23, v25 :: v_dual_mul_f32 v27, v22, v22
	s_delay_alu instid0(VALU_DEP_1) | instskip(NEXT) | instid1(VALU_DEP_1)
	v_sub_f32_e32 v28, v26, v23
	v_dual_fmaak_f32 v29, s26, v27, 0xbc7a590c :: v_dual_sub_f32 v32, v26, v28
	v_sub_f32_e32 v24, v25, v28
	v_add_f32_e32 v28, v30, v21
	s_delay_alu instid0(VALU_DEP_3) | instskip(NEXT) | instid1(VALU_DEP_4)
	v_fmaak_f32 v29, v27, v29, 0x3d29fb3f
	v_sub_f32_e32 v23, v23, v32
	s_delay_alu instid0(VALU_DEP_2) | instskip(NEXT) | instid1(VALU_DEP_1)
	v_fmaak_f32 v25, v27, v29, 0xbd97d4d7
	v_dual_add_f32 v23, v24, v23 :: v_dual_fmaak_f32 v24, v27, v25, 0x3dd931b2
	v_sub_f32_e32 v25, v28, v30
	s_delay_alu instid0(VALU_DEP_2) | instskip(NEXT) | instid1(VALU_DEP_1)
	v_add_f32_e32 v23, v28, v23
	v_dual_sub_f32 v28, v28, v25 :: v_dual_add_f32 v29, v26, v23
	v_sub_f32_e32 v21, v21, v25
	s_delay_alu instid0(VALU_DEP_2) | instskip(NEXT) | instid1(VALU_DEP_1)
	v_dual_sub_f32 v25, v30, v28 :: v_dual_sub_f32 v26, v29, v26
	v_add_f32_e32 v21, v21, v25
	s_delay_alu instid0(VALU_DEP_2) | instskip(NEXT) | instid1(VALU_DEP_1)
	v_sub_f32_e32 v23, v23, v26
	v_dual_add_f32 v21, v21, v23 :: v_dual_fmaak_f32 v24, v27, v24, 0xbe1160e6
	s_delay_alu instid0(VALU_DEP_1) | instskip(NEXT) | instid1(VALU_DEP_1)
	v_dual_add_f32 v21, v29, v21 :: v_dual_fmaak_f32 v24, v27, v24, 0x3e4cb8bf
	v_dual_cndmask_b32 v21, v21, v13 :: v_dual_fmaak_f32 v24, v27, v24, 0xbeaaaa62
	v_cmp_gt_i32_e32 vcc_lo, 0, v7
	s_delay_alu instid0(VALU_DEP_2) | instskip(NEXT) | instid1(VALU_DEP_1)
	v_mul_f32_e32 v24, v27, v24
	v_fmac_f32_e32 v22, v22, v24
	s_delay_alu instid0(VALU_DEP_1) | instskip(NEXT) | instid1(VALU_DEP_1)
	v_sub_f32_e32 v23, 0x3fc90fdb, v22
	v_cndmask_b32_e64 v22, v22, v23, s4
	v_cndmask_b32_e64 v23, 0, 0x40490fdb, vcc_lo
	v_cmp_ngt_f32_e32 vcc_lo, -1.0, v13
	s_delay_alu instid0(VALU_DEP_3) | instskip(SKIP_2) | instid1(VALU_DEP_2)
	v_sub_f32_e32 v24, 0x40490fdb, v22
	v_cndmask_b32_e32 v21, 0x7fc00000, v21, vcc_lo
	v_cmp_gt_f32_e32 vcc_lo, 0, v7
	v_cndmask_b32_e64 v7, 0xff800000, v21, s5
	s_delay_alu instid0(VALU_DEP_4)
	v_cndmask_b32_e32 v21, v22, v24, vcc_lo
	v_cndmask_b32_e32 v22, 0x3f490fdb, v17, vcc_lo
	v_cmp_gt_f32_e64 vcc_lo, 0x33800000, |v13|
	v_cmp_class_f32_e64 s5, v8, 0x204
	v_cndmask_b32_e32 v7, v7, v13, vcc_lo
	v_cmp_eq_f32_e32 vcc_lo, 0, v8
	s_delay_alu instid0(VALU_DEP_2) | instskip(SKIP_2) | instid1(VALU_DEP_1)
	v_mul_f32_e32 v13, 0.5, v7
	v_cndmask_b32_e32 v21, v21, v23, vcc_lo
	s_and_b32 vcc_lo, s5, s7
                                        ; implicit-def: $vgpr23
	v_cndmask_b32_e32 v21, v21, v22, vcc_lo
                                        ; implicit-def: $vgpr22
.LBB181_227:                            ;   in Loop: Header=BB181_145 Depth=1
	s_and_not1_saveexec_b32 s31, s6
	s_cbranch_execz .LBB181_235
; %bb.228:                              ;   in Loop: Header=BB181_145 Depth=1
	v_mul_f32_e32 v24, v22, v22
                                        ; implicit-def: $vgpr13
                                        ; implicit-def: $vgpr21
	s_mov_b32 s5, exec_lo
	s_delay_alu instid0(VALU_DEP_1) | instskip(NEXT) | instid1(VALU_DEP_1)
	v_fmac_f32_e32 v24, v23, v23
	v_cmpx_ge_f32_e32 0x3f333333, v24
	s_xor_b32 s6, exec_lo, s5
	s_cbranch_execz .LBB181_230
; %bb.229:                              ;   in Loop: Header=BB181_145 Depth=1
	v_max_f32_e64 v13, |v8|, |v8|
	v_max_f32_e64 v21, |v7|, |v7|
	v_cmp_gt_f32_e32 vcc_lo, 0x800000, v24
	v_cmp_gt_i32_e64 s5, 0, v7
	v_cmp_class_f32_e64 s7, v7, 0x204
	v_cmp_class_f32_e64 s8, v8, 0x204
	v_max_f32_e32 v22, v21, v13
	v_min_f32_e32 v13, v21, v13
	v_cndmask_b32_e64 v25, 0, 0x41b17218, vcc_lo
	s_delay_alu instid0(VALU_DEP_3) | instskip(SKIP_1) | instid1(VALU_DEP_2)
	v_frexp_mant_f32_e32 v23, v22
	v_frexp_exp_i32_f32_e32 v22, v22
	v_rcp_f32_e32 v21, v23
	v_frexp_exp_i32_f32_e32 v23, v13
	v_frexp_mant_f32_e32 v13, v13
	s_delay_alu instid0(VALU_DEP_2) | instskip(SKIP_4) | instid1(VALU_DEP_2)
	v_sub_nc_u32_e32 v22, v23, v22
	v_cndmask_b32_e64 v23, 1.0, 0x4f800000, vcc_lo
	s_waitcnt_depctr 0xfff
	v_mul_f32_e32 v13, v13, v21
	v_mul_f32_e32 v23, v24, v23
	v_ldexp_f32 v13, v13, v22
	s_delay_alu instid0(VALU_DEP_2) | instskip(NEXT) | instid1(VALU_DEP_1)
	v_log_f32_e32 v23, v23
	v_mul_f32_e32 v21, v13, v13
	s_delay_alu instid0(VALU_DEP_1) | instskip(SKIP_3) | instid1(VALU_DEP_1)
	v_fmaak_f32 v22, s26, v21, 0xbc7a590c
	s_waitcnt_depctr 0xfff
	v_cmp_gt_f32_e64 vcc_lo, 0x7f800000, |v23|
	v_fmaak_f32 v22, v21, v22, 0x3d29fb3f
	v_fmaak_f32 v22, v21, v22, 0xbd97d4d7
	s_delay_alu instid0(VALU_DEP_1) | instskip(NEXT) | instid1(VALU_DEP_1)
	v_fmaak_f32 v22, v21, v22, 0x3dd931b2
	v_fmaak_f32 v22, v21, v22, 0xbe1160e6
	s_delay_alu instid0(VALU_DEP_1) | instskip(NEXT) | instid1(VALU_DEP_1)
	;; [unrolled: 3-line block ×3, first 2 shown]
	v_dual_mul_f32 v21, v21, v22 :: v_dual_mul_f32 v22, 0x3f317217, v23
	v_fmac_f32_e32 v13, v13, v21
	s_delay_alu instid0(VALU_DEP_2) | instskip(NEXT) | instid1(VALU_DEP_2)
	v_fma_f32 v21, 0x3f317217, v23, -v22
	v_sub_f32_e32 v24, 0x3fc90fdb, v13
	s_delay_alu instid0(VALU_DEP_2) | instskip(NEXT) | instid1(VALU_DEP_2)
	v_fmac_f32_e32 v21, 0x3377d1cf, v23
	v_cndmask_b32_e64 v13, v13, v24, s4
	s_delay_alu instid0(VALU_DEP_2) | instskip(SKIP_2) | instid1(VALU_DEP_4)
	v_add_f32_e32 v21, v22, v21
	v_cndmask_b32_e64 v22, 0, 0x40490fdb, s5
	v_cmp_eq_f32_e64 s5, 0, v8
	v_sub_f32_e32 v24, 0x40490fdb, v13
	s_delay_alu instid0(VALU_DEP_4) | instskip(SKIP_1) | instid1(VALU_DEP_2)
	v_cndmask_b32_e32 v21, v23, v21, vcc_lo
	v_cmp_gt_f32_e32 vcc_lo, 0, v7
                                        ; implicit-def: $vgpr23
	v_sub_f32_e32 v7, v21, v25
	s_delay_alu instid0(VALU_DEP_4) | instskip(NEXT) | instid1(VALU_DEP_1)
	v_cndmask_b32_e32 v13, v13, v24, vcc_lo
	v_cndmask_b32_e64 v21, v13, v22, s5
	v_cndmask_b32_e32 v22, 0x3f490fdb, v17, vcc_lo
	s_and_b32 vcc_lo, s8, s7
	v_mul_f32_e32 v13, 0.5, v7
	s_delay_alu instid0(VALU_DEP_2)
	v_cndmask_b32_e32 v21, v21, v22, vcc_lo
                                        ; implicit-def: $vgpr22
.LBB181_230:                            ;   in Loop: Header=BB181_145 Depth=1
	s_and_not1_saveexec_b32 s33, s6
	s_cbranch_execz .LBB181_234
; %bb.231:                              ;   in Loop: Header=BB181_145 Depth=1
	v_and_b32_e32 v24, 0x7fff0000, v22
	v_and_b32_e32 v21, 0x7fff0000, v23
	s_mov_b32 s34, 0
	s_delay_alu instid0(VALU_DEP_2) | instskip(NEXT) | instid1(VALU_DEP_2)
	v_sub_f32_e32 v25, v22, v24
	v_dual_mul_f32 v22, v24, v24 :: v_dual_sub_f32 v23, v23, v21
	v_dual_add_f32 v28, v21, v21 :: v_dual_add_f32 v31, v24, v24
	s_delay_alu instid0(VALU_DEP_2) | instskip(NEXT) | instid1(VALU_DEP_4)
	v_and_b32_e32 v26, 0xffff0000, v23
	v_and_b32_e32 v27, 0xffff0000, v25
	s_delay_alu instid0(VALU_DEP_2) | instskip(NEXT) | instid1(VALU_DEP_4)
	v_dual_mul_f32 v13, v21, v21 :: v_dual_sub_f32 v24, v23, v26
	v_mul_f32_e32 v30, v28, v26
	s_delay_alu instid0(VALU_DEP_3)
	v_dual_sub_f32 v32, v25, v27 :: v_dual_mul_f32 v23, v26, v26
	v_add_f32_e32 v25, v26, v26
	v_add_f32_e32 v33, v27, v27
	v_dual_mul_f32 v21, v31, v27 :: v_dual_mul_f32 v26, v28, v24
	v_mul_f32_e32 v29, v27, v27
	v_mul_f32_e32 v28, v31, v32
	;; [unrolled: 1-line block ×6, first 2 shown]
.LBB181_232:                            ;   Parent Loop BB181_145 Depth=1
                                        ; =>  This Inner Loop Header: Depth=2
	v_cmp_nlt_f32_e32 vcc_lo, v13, v22
	s_delay_alu instid0(VALU_DEP_2) | instskip(SKIP_1) | instid1(VALU_DEP_2)
	v_dual_mov_b32 v33, v31 :: v_dual_cndmask_b32 v32, v13, v22
	v_cndmask_b32_e32 v13, v22, v13, vcc_lo
	v_cmp_nlt_f32_e64 s5, v32, v30
	s_delay_alu instid0(VALU_DEP_1) | instskip(SKIP_2) | instid1(VALU_DEP_2)
	v_cndmask_b32_e64 v31, v32, v30, s5
	v_cndmask_b32_e64 v22, v30, v32, s5
	s_and_b32 s35, vcc_lo, s5
	v_cmp_nlt_f32_e64 s6, v31, v21
	s_delay_alu instid0(VALU_DEP_1) | instskip(SKIP_1) | instid1(VALU_DEP_2)
	v_cndmask_b32_e64 v34, v31, v21, s6
	v_cndmask_b32_e64 v30, v21, v31, s6
	v_cmp_nlt_f32_e64 s7, v34, v23
	s_delay_alu instid0(VALU_DEP_1) | instskip(SKIP_2) | instid1(VALU_DEP_2)
	v_cndmask_b32_e64 v32, v34, v23, s7
	v_cndmask_b32_e64 v21, v23, v34, s7
	s_and_b32 s36, s6, s7
	v_cmp_nlt_f32_e64 s8, v32, v29
	s_delay_alu instid0(VALU_DEP_1) | instskip(SKIP_1) | instid1(VALU_DEP_2)
	v_cndmask_b32_e64 v35, v32, v29, s8
	v_cndmask_b32_e64 v23, v29, v32, s8
	v_cmp_nlt_f32_e64 s9, v35, v26
	s_delay_alu instid0(VALU_DEP_1) | instskip(SKIP_2) | instid1(VALU_DEP_2)
	v_cndmask_b32_e64 v36, v35, v26, s9
	s_and_b32 s7, s8, s9
	v_cndmask_b32_e64 v29, v26, v35, s9
	v_cmp_nlt_f32_e64 s10, v36, v28
	s_delay_alu instid0(VALU_DEP_1) | instskip(SKIP_2) | instid1(VALU_DEP_2)
	v_cndmask_b32_e64 v37, v36, v28, s10
	s_and_b32 s7, s7, s10
	v_cndmask_b32_e64 v26, v28, v36, s10
	v_cmp_nlt_f32_e32 vcc_lo, v37, v27
	v_cndmask_b32_e32 v38, v37, v27, vcc_lo
	s_and_b32 s8, s7, vcc_lo
	v_cndmask_b32_e32 v28, v27, v37, vcc_lo
	s_delay_alu instid0(VALU_DEP_2) | instskip(NEXT) | instid1(VALU_DEP_1)
	v_cmp_nlt_f32_e64 s5, v38, v25
	v_cndmask_b32_e64 v34, v38, v25, s5
	s_and_b32 s8, s8, s5
	v_cndmask_b32_e64 v27, v25, v38, s5
	s_delay_alu instid0(VALU_DEP_2) | instskip(NEXT) | instid1(VALU_DEP_1)
	v_cmp_nlt_f32_e64 s6, v34, v24
	v_cndmask_b32_e64 v32, v34, v24, s6
	s_and_b32 s8, s8, s6
	v_cndmask_b32_e64 v25, v24, v34, s6
	s_delay_alu instid0(VALU_DEP_2) | instskip(NEXT) | instid1(VALU_DEP_1)
	v_cmp_nlt_f32_e64 s7, v32, v33
	s_and_b32 s8, s8, s7
	v_cndmask_b32_e64 v31, v32, v33, s7
	s_and_b32 s5, s8, s36
	v_cndmask_b32_e64 v24, v33, v32, s7
	s_and_b32 s5, s5, s35
	s_delay_alu instid0(SALU_CYCLE_1) | instskip(NEXT) | instid1(SALU_CYCLE_1)
	s_and_b32 s5, exec_lo, s5
	s_or_b32 s34, s5, s34
	s_delay_alu instid0(SALU_CYCLE_1)
	s_and_not1_b32 exec_lo, exec_lo, s34
	s_cbranch_execnz .LBB181_232
; %bb.233:                              ;   in Loop: Header=BB181_145 Depth=1
	s_or_b32 exec_lo, exec_lo, s34
	v_add_f32_e32 v13, -1.0, v13
	v_cmp_class_f32_e64 s6, v7, 0x204
	s_delay_alu instid0(VALU_DEP_2) | instskip(NEXT) | instid1(VALU_DEP_1)
	v_add_f32_e32 v13, v13, v22
	v_add_f32_e32 v13, v13, v30
	s_delay_alu instid0(VALU_DEP_1) | instskip(NEXT) | instid1(VALU_DEP_1)
	v_add_f32_e32 v13, v13, v21
	v_add_f32_e32 v13, v13, v23
	s_delay_alu instid0(VALU_DEP_1) | instskip(NEXT) | instid1(VALU_DEP_1)
	;; [unrolled: 3-line block ×5, first 2 shown]
	v_add_f32_e32 v13, v31, v13
	v_add_f32_e32 v23, 1.0, v13
	s_delay_alu instid0(VALU_DEP_1) | instskip(NEXT) | instid1(VALU_DEP_1)
	v_cvt_f64_f32_e32 v[21:22], v23
	v_frexp_exp_i32_f64_e32 v21, v[21:22]
	v_frexp_mant_f32_e32 v22, v23
	s_delay_alu instid0(VALU_DEP_1) | instskip(SKIP_1) | instid1(VALU_DEP_1)
	v_cmp_gt_f32_e32 vcc_lo, 0x3f2aaaab, v22
	v_add_f32_e32 v22, -1.0, v23
	v_dual_sub_f32 v25, v22, v23 :: v_dual_sub_f32 v22, v13, v22
	s_delay_alu instid0(VALU_DEP_1) | instskip(NEXT) | instid1(VALU_DEP_1)
	v_add_f32_e32 v25, 1.0, v25
	v_add_f32_e32 v22, v22, v25
	v_subrev_co_ci_u32_e32 v21, vcc_lo, 0, v21, vcc_lo
	s_delay_alu instid0(VALU_DEP_1) | instskip(SKIP_1) | instid1(VALU_DEP_2)
	v_sub_nc_u32_e32 v24, 0, v21
	v_cvt_f32_i32_e32 v21, v21
	v_ldexp_f32 v23, v23, v24
	v_ldexp_f32 v22, v22, v24
	s_delay_alu instid0(VALU_DEP_2) | instskip(NEXT) | instid1(VALU_DEP_1)
	v_add_f32_e32 v26, 1.0, v23
	v_dual_add_f32 v24, -1.0, v23 :: v_dual_add_f32 v25, -1.0, v26
	s_delay_alu instid0(VALU_DEP_1) | instskip(NEXT) | instid1(VALU_DEP_2)
	v_add_f32_e32 v27, 1.0, v24
	v_sub_f32_e32 v25, v23, v25
	s_delay_alu instid0(VALU_DEP_2) | instskip(NEXT) | instid1(VALU_DEP_2)
	v_sub_f32_e32 v23, v23, v27
	v_add_f32_e32 v25, v22, v25
	s_delay_alu instid0(VALU_DEP_2) | instskip(NEXT) | instid1(VALU_DEP_1)
	v_add_f32_e32 v22, v22, v23
	v_dual_add_f32 v27, v26, v25 :: v_dual_add_f32 v28, v24, v22
	s_delay_alu instid0(VALU_DEP_1) | instskip(SKIP_1) | instid1(VALU_DEP_1)
	v_rcp_f32_e32 v23, v27
	v_sub_f32_e32 v26, v27, v26
	v_dual_sub_f32 v24, v28, v24 :: v_dual_sub_f32 v25, v25, v26
	s_waitcnt_depctr 0xfff
	v_dual_sub_f32 v22, v22, v24 :: v_dual_mul_f32 v29, v28, v23
	s_delay_alu instid0(VALU_DEP_1) | instskip(NEXT) | instid1(VALU_DEP_1)
	v_mul_f32_e32 v30, v27, v29
	v_fma_f32 v26, v29, v27, -v30
	s_delay_alu instid0(VALU_DEP_1) | instskip(NEXT) | instid1(VALU_DEP_1)
	v_fmac_f32_e32 v26, v29, v25
	v_add_f32_e32 v31, v30, v26
	s_delay_alu instid0(VALU_DEP_1) | instskip(SKIP_1) | instid1(VALU_DEP_2)
	v_sub_f32_e32 v32, v28, v31
	v_sub_f32_e32 v24, v31, v30
	;; [unrolled: 1-line block ×3, first 2 shown]
	s_delay_alu instid0(VALU_DEP_2) | instskip(SKIP_2) | instid1(VALU_DEP_4)
	v_sub_f32_e32 v24, v24, v26
	v_cmp_eq_f32_e32 vcc_lo, 0x7f800000, v13
	v_cmp_neq_f32_e64 s5, -1.0, v13
	v_sub_f32_e32 v28, v28, v31
	s_delay_alu instid0(VALU_DEP_1) | instskip(NEXT) | instid1(VALU_DEP_1)
	v_add_f32_e32 v22, v22, v28
	v_add_f32_e32 v22, v24, v22
	s_delay_alu instid0(VALU_DEP_1) | instskip(NEXT) | instid1(VALU_DEP_1)
	v_add_f32_e32 v24, v32, v22
	v_mul_f32_e32 v26, v23, v24
	s_delay_alu instid0(VALU_DEP_1) | instskip(NEXT) | instid1(VALU_DEP_1)
	v_dual_mul_f32 v28, v27, v26 :: v_dual_sub_f32 v31, v32, v24
	v_fma_f32 v27, v26, v27, -v28
	s_delay_alu instid0(VALU_DEP_2) | instskip(NEXT) | instid1(VALU_DEP_2)
	v_add_f32_e32 v22, v22, v31
	v_fmac_f32_e32 v27, v26, v25
	s_delay_alu instid0(VALU_DEP_1) | instskip(NEXT) | instid1(VALU_DEP_1)
	v_add_f32_e32 v25, v28, v27
	v_sub_f32_e32 v30, v24, v25
	s_delay_alu instid0(VALU_DEP_1) | instskip(NEXT) | instid1(VALU_DEP_1)
	v_sub_f32_e32 v24, v24, v30
	v_sub_f32_e32 v24, v24, v25
	s_delay_alu instid0(VALU_DEP_1) | instskip(SKIP_2) | instid1(VALU_DEP_1)
	v_add_f32_e32 v22, v22, v24
	v_add_f32_e32 v24, v29, v26
	v_sub_f32_e32 v28, v25, v28
	v_sub_f32_e32 v25, v28, v27
	v_max_f32_e64 v27, |v8|, |v8|
	s_delay_alu instid0(VALU_DEP_2) | instskip(NEXT) | instid1(VALU_DEP_1)
	v_dual_add_f32 v22, v25, v22 :: v_dual_sub_f32 v25, v24, v29
	v_sub_f32_e32 v25, v26, v25
	s_delay_alu instid0(VALU_DEP_2) | instskip(NEXT) | instid1(VALU_DEP_1)
	v_add_f32_e32 v22, v30, v22
	v_mul_f32_e32 v22, v23, v22
	s_delay_alu instid0(VALU_DEP_1) | instskip(NEXT) | instid1(VALU_DEP_1)
	v_add_f32_e32 v22, v25, v22
	v_add_f32_e32 v23, v24, v22
	s_delay_alu instid0(VALU_DEP_1) | instskip(NEXT) | instid1(VALU_DEP_1)
	v_mul_f32_e32 v25, v23, v23
	v_fmaak_f32 v26, s21, v25, 0x3ecc95a3
	v_mul_f32_e32 v28, v23, v25
	v_ldexp_f32 v29, v23, 1
	v_sub_f32_e32 v23, v23, v24
	s_delay_alu instid0(VALU_DEP_4) | instskip(SKIP_1) | instid1(VALU_DEP_2)
	v_fmaak_f32 v25, v25, v26, 0x3f2aaada
	v_max_f32_e64 v26, |v7|, |v7|
	v_dual_sub_f32 v22, v22, v23 :: v_dual_mul_f32 v25, v28, v25
	s_delay_alu instid0(VALU_DEP_1) | instskip(NEXT) | instid1(VALU_DEP_2)
	v_ldexp_f32 v22, v22, 1
	v_add_f32_e32 v24, v29, v25
	s_delay_alu instid0(VALU_DEP_1) | instskip(NEXT) | instid1(VALU_DEP_1)
	v_dual_max_f32 v28, v26, v27 :: v_dual_sub_f32 v23, v24, v29
	v_dual_mul_f32 v30, 0x3f317218, v21 :: v_dual_sub_f32 v23, v25, v23
	s_delay_alu instid0(VALU_DEP_1) | instskip(SKIP_1) | instid1(VALU_DEP_4)
	v_fma_f32 v31, 0x3f317218, v21, -v30
	v_min_f32_e32 v26, v26, v27
	v_frexp_mant_f32_e32 v27, v28
	v_frexp_exp_i32_f32_e32 v28, v28
	s_delay_alu instid0(VALU_DEP_4) | instskip(NEXT) | instid1(VALU_DEP_4)
	v_fmac_f32_e32 v31, 0xb102e308, v21
	v_frexp_exp_i32_f32_e32 v29, v26
	s_delay_alu instid0(VALU_DEP_4) | instskip(SKIP_2) | instid1(VALU_DEP_3)
	v_rcp_f32_e32 v27, v27
	v_frexp_mant_f32_e32 v25, v26
	v_add_f32_e32 v21, v22, v23
	v_sub_nc_u32_e32 v26, v29, v28
	s_waitcnt_depctr 0xfff
	v_dual_mul_f32 v22, v25, v27 :: v_dual_add_f32 v25, v24, v21
	v_add_f32_e32 v23, v30, v31
	s_delay_alu instid0(VALU_DEP_2) | instskip(NEXT) | instid1(VALU_DEP_3)
	v_ldexp_f32 v22, v22, v26
	v_sub_f32_e32 v24, v25, v24
	s_delay_alu instid0(VALU_DEP_3) | instskip(SKIP_1) | instid1(VALU_DEP_4)
	v_add_f32_e32 v26, v23, v25
	v_sub_f32_e32 v30, v23, v30
	v_mul_f32_e32 v27, v22, v22
	s_delay_alu instid0(VALU_DEP_3) | instskip(NEXT) | instid1(VALU_DEP_1)
	v_dual_sub_f32 v21, v21, v24 :: v_dual_sub_f32 v28, v26, v23
	v_dual_fmaak_f32 v29, s26, v27, 0xbc7a590c :: v_dual_sub_f32 v24, v25, v28
	s_delay_alu instid0(VALU_DEP_1) | instskip(NEXT) | instid1(VALU_DEP_1)
	v_dual_fmaak_f32 v29, v27, v29, 0x3d29fb3f :: v_dual_sub_f32 v32, v26, v28
	v_fmaak_f32 v25, v27, v29, 0xbd97d4d7
	s_delay_alu instid0(VALU_DEP_2) | instskip(NEXT) | instid1(VALU_DEP_1)
	v_sub_f32_e32 v23, v23, v32
	v_dual_sub_f32 v30, v31, v30 :: v_dual_add_f32 v23, v24, v23
	s_delay_alu instid0(VALU_DEP_1) | instskip(NEXT) | instid1(VALU_DEP_1)
	v_add_f32_e32 v28, v30, v21
	v_dual_fmaak_f32 v24, v27, v25, 0x3dd931b2 :: v_dual_add_f32 v23, v28, v23
	s_delay_alu instid0(VALU_DEP_1) | instskip(NEXT) | instid1(VALU_DEP_2)
	v_dual_sub_f32 v25, v28, v30 :: v_dual_fmaak_f32 v24, v27, v24, 0xbe1160e6
	v_add_f32_e32 v29, v26, v23
	s_delay_alu instid0(VALU_DEP_2) | instskip(NEXT) | instid1(VALU_DEP_2)
	v_dual_sub_f32 v21, v21, v25 :: v_dual_fmaak_f32 v24, v27, v24, 0x3e4cb8bf
	v_sub_f32_e32 v26, v29, v26
	s_delay_alu instid0(VALU_DEP_1) | instskip(NEXT) | instid1(VALU_DEP_1)
	v_dual_sub_f32 v28, v28, v25 :: v_dual_sub_f32 v23, v23, v26
	v_sub_f32_e32 v25, v30, v28
	s_delay_alu instid0(VALU_DEP_1) | instskip(NEXT) | instid1(VALU_DEP_1)
	v_dual_fmaak_f32 v24, v27, v24, 0xbeaaaa62 :: v_dual_add_f32 v21, v21, v25
	v_dual_mul_f32 v24, v27, v24 :: v_dual_add_f32 v21, v21, v23
	s_delay_alu instid0(VALU_DEP_1) | instskip(NEXT) | instid1(VALU_DEP_1)
	v_dual_fmac_f32 v22, v22, v24 :: v_dual_add_f32 v21, v29, v21
	v_sub_f32_e32 v23, 0x3fc90fdb, v22
	s_delay_alu instid0(VALU_DEP_2) | instskip(SKIP_1) | instid1(VALU_DEP_3)
	v_cndmask_b32_e32 v21, v21, v13, vcc_lo
	v_cmp_gt_i32_e32 vcc_lo, 0, v7
	v_cndmask_b32_e64 v22, v22, v23, s4
	v_cndmask_b32_e64 v23, 0, 0x40490fdb, vcc_lo
	v_cmp_ngt_f32_e32 vcc_lo, -1.0, v13
	s_delay_alu instid0(VALU_DEP_3) | instskip(SKIP_2) | instid1(VALU_DEP_2)
	v_sub_f32_e32 v24, 0x40490fdb, v22
	v_cndmask_b32_e32 v21, 0x7fc00000, v21, vcc_lo
	v_cmp_gt_f32_e32 vcc_lo, 0, v7
	v_cndmask_b32_e64 v7, 0xff800000, v21, s5
	s_delay_alu instid0(VALU_DEP_4)
	v_cndmask_b32_e32 v21, v22, v24, vcc_lo
	v_cndmask_b32_e32 v22, 0x3f490fdb, v17, vcc_lo
	v_cmp_gt_f32_e64 vcc_lo, 0x33800000, |v13|
	v_cmp_class_f32_e64 s5, v8, 0x204
	v_cndmask_b32_e32 v7, v7, v13, vcc_lo
	v_cmp_eq_f32_e32 vcc_lo, 0, v8
	s_delay_alu instid0(VALU_DEP_2) | instskip(SKIP_2) | instid1(VALU_DEP_1)
	v_mul_f32_e32 v13, 0.5, v7
	v_cndmask_b32_e32 v21, v21, v23, vcc_lo
	s_and_b32 vcc_lo, s5, s6
	v_cndmask_b32_e32 v21, v21, v22, vcc_lo
.LBB181_234:                            ;   in Loop: Header=BB181_145 Depth=1
	s_or_b32 exec_lo, exec_lo, s33
.LBB181_235:                            ;   in Loop: Header=BB181_145 Depth=1
	s_delay_alu instid0(SALU_CYCLE_1)
	s_or_b32 exec_lo, exec_lo, s31
.LBB181_236:                            ;   in Loop: Header=BB181_145 Depth=1
	s_and_not1_saveexec_b32 s6, s30
	s_cbranch_execz .LBB181_238
; %bb.237:                              ;   in Loop: Header=BB181_145 Depth=1
	v_max_f32_e64 v13, |v8|, |v8|
	v_max_f32_e64 v23, |v7|, |v7|
	v_cmp_gt_i32_e64 s5, 0, v7
	v_cmp_class_f32_e64 s7, v7, 0x204
	v_cmp_class_f32_e64 s8, v8, 0x204
	s_delay_alu instid0(VALU_DEP_4) | instskip(SKIP_1) | instid1(VALU_DEP_2)
	v_max_f32_e32 v24, v23, v13
	v_min_f32_e32 v13, v23, v13
	v_cvt_f64_f32_e32 v[21:22], v24
	s_delay_alu instid0(VALU_DEP_2) | instskip(SKIP_1) | instid1(VALU_DEP_3)
	v_frexp_exp_i32_f32_e32 v25, v13
	v_frexp_mant_f32_e32 v13, v13
	v_frexp_exp_i32_f64_e32 v21, v[21:22]
	v_frexp_mant_f32_e32 v22, v24
	s_delay_alu instid0(VALU_DEP_1) | instskip(SKIP_4) | instid1(VALU_DEP_2)
	v_rcp_f32_e32 v22, v22
	s_waitcnt_depctr 0xfff
	v_mul_f32_e32 v13, v13, v22
	v_frexp_exp_i32_f32_e32 v23, v24
	v_cmp_neq_f32_e32 vcc_lo, 0x7f800000, v24
	v_sub_nc_u32_e32 v23, v25, v23
	s_delay_alu instid0(VALU_DEP_1) | instskip(SKIP_1) | instid1(VALU_DEP_1)
	v_ldexp_f32 v13, v13, v23
	v_sub_nc_u32_e32 v26, 0, v21
	v_ldexp_f32 v22, |v8|, v26
	v_ldexp_f32 v23, |v7|, v26
	s_delay_alu instid0(VALU_DEP_2) | instskip(NEXT) | instid1(VALU_DEP_1)
	v_dual_mul_f32 v22, v22, v22 :: v_dual_mul_f32 v25, v13, v13
	v_dual_fmac_f32 v22, v23, v23 :: v_dual_fmaak_f32 v23, s26, v25, 0xbc7a590c
	s_delay_alu instid0(VALU_DEP_1) | instskip(NEXT) | instid1(VALU_DEP_1)
	v_sqrt_f32_e32 v22, v22
	v_fmaak_f32 v23, v25, v23, 0x3d29fb3f
	s_delay_alu instid0(VALU_DEP_1) | instskip(SKIP_3) | instid1(VALU_DEP_2)
	v_fmaak_f32 v23, v25, v23, 0xbd97d4d7
	s_waitcnt_depctr 0xfff
	v_ldexp_f32 v21, v22, v21
	v_fmaak_f32 v22, v25, v23, 0x3dd931b2
	v_cndmask_b32_e32 v21, 0x7f800000, v21, vcc_lo
	s_delay_alu instid0(VALU_DEP_2) | instskip(NEXT) | instid1(VALU_DEP_2)
	v_fmaak_f32 v22, v25, v22, 0xbe1160e6
	v_cmp_gt_f32_e32 vcc_lo, 0x800000, v21
	s_delay_alu instid0(VALU_DEP_2) | instskip(SKIP_1) | instid1(VALU_DEP_2)
	v_fmaak_f32 v22, v25, v22, 0x3e4cb8bf
	v_cndmask_b32_e64 v23, 1.0, 0x4f800000, vcc_lo
	v_fmaak_f32 v22, v25, v22, 0xbeaaaa62
	s_delay_alu instid0(VALU_DEP_2) | instskip(NEXT) | instid1(VALU_DEP_2)
	v_mul_f32_e32 v21, v21, v23
	v_mul_f32_e32 v22, v25, v22
	s_delay_alu instid0(VALU_DEP_2) | instskip(SKIP_2) | instid1(VALU_DEP_1)
	v_log_f32_e32 v21, v21
	s_waitcnt_depctr 0xfff
	v_dual_fmac_f32 v13, v13, v22 :: v_dual_mul_f32 v22, 0x3f317217, v21
	v_sub_f32_e32 v23, 0x3fc90fdb, v13
	s_delay_alu instid0(VALU_DEP_2) | instskip(NEXT) | instid1(VALU_DEP_2)
	v_fma_f32 v24, 0x3f317217, v21, -v22
	v_cndmask_b32_e64 v13, v13, v23, s4
	v_cndmask_b32_e64 v23, 0, 0x40490fdb, s5
	v_cmp_gt_f32_e64 s5, 0, v7
	s_delay_alu instid0(VALU_DEP_4) | instskip(NEXT) | instid1(VALU_DEP_4)
	v_fmac_f32_e32 v24, 0x3377d1cf, v21
	v_sub_f32_e32 v25, 0x40490fdb, v13
	s_delay_alu instid0(VALU_DEP_2) | instskip(SKIP_2) | instid1(VALU_DEP_4)
	v_add_f32_e32 v7, v22, v24
	v_cndmask_b32_e64 v24, 0, 0x41b17218, vcc_lo
	v_cmp_gt_f32_e64 vcc_lo, 0x7f800000, |v21|
	v_cndmask_b32_e64 v13, v13, v25, s5
	v_cndmask_b32_e64 v22, 0x3f490fdb, v17, s5
	v_cndmask_b32_e32 v7, v21, v7, vcc_lo
	v_cmp_eq_f32_e32 vcc_lo, 0, v8
	s_delay_alu instid0(VALU_DEP_4) | instskip(SKIP_1) | instid1(VALU_DEP_3)
	v_cndmask_b32_e32 v21, v13, v23, vcc_lo
	s_and_b32 vcc_lo, s8, s7
	v_sub_f32_e32 v13, v7, v24
	s_delay_alu instid0(VALU_DEP_2)
	v_cndmask_b32_e32 v21, v21, v22, vcc_lo
.LBB181_238:                            ;   in Loop: Header=BB181_145 Depth=1
	s_or_b32 exec_lo, exec_lo, s6
                                        ; implicit-def: $vgpr22
.LBB181_239:                            ;   in Loop: Header=BB181_145 Depth=1
	s_and_not1_saveexec_b32 s6, s29
	s_cbranch_execz .LBB181_245
; %bb.240:                              ;   in Loop: Header=BB181_145 Depth=1
                                        ; implicit-def: $vgpr13
                                        ; implicit-def: $vgpr21
	s_mov_b32 s5, exec_lo
	v_cmpx_ngt_f32_e32 0x1fec1e4a, v22
	s_xor_b32 s7, exec_lo, s5
	s_cbranch_execz .LBB181_242
; %bb.241:                              ;   in Loop: Header=BB181_145 Depth=1
	v_mul_f32_e32 v13, v22, v22
	v_cmp_class_f32_e64 s8, v7, 0x204
	v_cmp_gt_f32_e64 s5, 0, v7
	v_cmp_class_f32_e64 s10, v8, 0x204
	s_delay_alu instid0(VALU_DEP_4) | instskip(NEXT) | instid1(VALU_DEP_1)
	v_add_f32_e32 v23, 1.0, v13
	v_cvt_f64_f32_e32 v[21:22], v23
	s_delay_alu instid0(VALU_DEP_1) | instskip(SKIP_1) | instid1(VALU_DEP_1)
	v_frexp_exp_i32_f64_e32 v21, v[21:22]
	v_frexp_mant_f32_e32 v22, v23
	v_cmp_gt_f32_e32 vcc_lo, 0x3f2aaaab, v22
	v_add_f32_e32 v22, -1.0, v23
	v_cmp_gt_f32_e64 s9, 0x33800000, |v13|
	s_delay_alu instid0(VALU_DEP_2) | instskip(SKIP_2) | instid1(VALU_DEP_2)
	v_dual_sub_f32 v25, v22, v23 :: v_dual_sub_f32 v22, v13, v22
	v_subrev_co_ci_u32_e32 v21, vcc_lo, 0, v21, vcc_lo
	v_cmp_gt_i32_e32 vcc_lo, 0, v7
	v_sub_nc_u32_e32 v24, 0, v21
	v_cvt_f32_i32_e32 v21, v21
	s_delay_alu instid0(VALU_DEP_2) | instskip(NEXT) | instid1(VALU_DEP_1)
	v_ldexp_f32 v23, v23, v24
	v_dual_add_f32 v25, 1.0, v25 :: v_dual_add_f32 v26, 1.0, v23
	s_delay_alu instid0(VALU_DEP_1) | instskip(NEXT) | instid1(VALU_DEP_1)
	v_dual_add_f32 v22, v22, v25 :: v_dual_add_f32 v25, -1.0, v26
	v_ldexp_f32 v22, v22, v24
	s_delay_alu instid0(VALU_DEP_2) | instskip(NEXT) | instid1(VALU_DEP_1)
	v_dual_add_f32 v24, -1.0, v23 :: v_dual_sub_f32 v25, v23, v25
	v_add_f32_e32 v27, 1.0, v24
	s_delay_alu instid0(VALU_DEP_2) | instskip(NEXT) | instid1(VALU_DEP_2)
	v_add_f32_e32 v25, v22, v25
	v_sub_f32_e32 v23, v23, v27
	s_delay_alu instid0(VALU_DEP_1) | instskip(NEXT) | instid1(VALU_DEP_1)
	v_add_f32_e32 v22, v22, v23
	v_dual_add_f32 v28, v24, v22 :: v_dual_add_f32 v27, v26, v25
	s_delay_alu instid0(VALU_DEP_1) | instskip(NEXT) | instid1(VALU_DEP_2)
	v_sub_f32_e32 v24, v24, v28
	v_rcp_f32_e32 v23, v27
	v_sub_f32_e32 v26, v26, v27
	s_delay_alu instid0(VALU_DEP_1) | instskip(SKIP_2) | instid1(VALU_DEP_1)
	v_dual_add_f32 v22, v22, v24 :: v_dual_add_f32 v25, v25, v26
	s_waitcnt_depctr 0xfff
	v_mul_f32_e32 v29, v28, v23
	v_mul_f32_e32 v30, v27, v29
	s_delay_alu instid0(VALU_DEP_1) | instskip(NEXT) | instid1(VALU_DEP_1)
	v_fma_f32 v26, v29, v27, -v30
	v_fmac_f32_e32 v26, v29, v25
	s_delay_alu instid0(VALU_DEP_1) | instskip(NEXT) | instid1(VALU_DEP_1)
	v_add_f32_e32 v31, v30, v26
	v_sub_f32_e32 v32, v28, v31
	s_delay_alu instid0(VALU_DEP_1) | instskip(SKIP_1) | instid1(VALU_DEP_2)
	v_sub_f32_e32 v28, v28, v32
	v_sub_f32_e32 v24, v31, v30
	;; [unrolled: 1-line block ×3, first 2 shown]
	s_delay_alu instid0(VALU_DEP_2) | instskip(NEXT) | instid1(VALU_DEP_2)
	v_sub_f32_e32 v24, v24, v26
	v_add_f32_e32 v22, v22, v28
	s_delay_alu instid0(VALU_DEP_1) | instskip(NEXT) | instid1(VALU_DEP_1)
	v_add_f32_e32 v22, v24, v22
	v_add_f32_e32 v24, v32, v22
	s_delay_alu instid0(VALU_DEP_1) | instskip(NEXT) | instid1(VALU_DEP_1)
	v_mul_f32_e32 v26, v23, v24
	v_dual_sub_f32 v31, v32, v24 :: v_dual_mul_f32 v28, v27, v26
	s_delay_alu instid0(VALU_DEP_1) | instskip(NEXT) | instid1(VALU_DEP_2)
	v_add_f32_e32 v22, v22, v31
	v_fma_f32 v27, v26, v27, -v28
	s_delay_alu instid0(VALU_DEP_1) | instskip(NEXT) | instid1(VALU_DEP_1)
	v_fmac_f32_e32 v27, v26, v25
	v_add_f32_e32 v25, v28, v27
	s_delay_alu instid0(VALU_DEP_1) | instskip(SKIP_1) | instid1(VALU_DEP_2)
	v_sub_f32_e32 v30, v24, v25
	v_sub_f32_e32 v28, v25, v28
	;; [unrolled: 1-line block ×3, first 2 shown]
	s_delay_alu instid0(VALU_DEP_1) | instskip(NEXT) | instid1(VALU_DEP_1)
	v_sub_f32_e32 v24, v24, v25
	v_dual_sub_f32 v25, v28, v27 :: v_dual_add_f32 v22, v22, v24
	v_add_f32_e32 v24, v29, v26
	s_delay_alu instid0(VALU_DEP_1) | instskip(NEXT) | instid1(VALU_DEP_1)
	v_dual_add_f32 v22, v25, v22 :: v_dual_sub_f32 v25, v24, v29
	v_add_f32_e32 v22, v30, v22
	s_delay_alu instid0(VALU_DEP_2) | instskip(SKIP_1) | instid1(VALU_DEP_3)
	v_sub_f32_e32 v25, v26, v25
	v_max_f32_e64 v26, |v7|, |v7|
	v_mul_f32_e32 v22, v23, v22
	v_max_f32_e64 v23, |v8|, |v8|
	s_delay_alu instid0(VALU_DEP_2) | instskip(NEXT) | instid1(VALU_DEP_2)
	v_add_f32_e32 v22, v25, v22
	v_max_f32_e32 v28, v26, v23
	v_min_f32_e32 v23, v26, v23
	s_delay_alu instid0(VALU_DEP_3) | instskip(NEXT) | instid1(VALU_DEP_3)
	v_add_f32_e32 v25, v24, v22
	v_frexp_mant_f32_e32 v30, v28
	v_frexp_exp_i32_f32_e32 v26, v28
	s_delay_alu instid0(VALU_DEP_3) | instskip(SKIP_2) | instid1(VALU_DEP_2)
	v_mul_f32_e32 v27, v25, v25
	v_sub_f32_e32 v24, v25, v24
	v_ldexp_f32 v31, v25, 1
	v_dual_fmaak_f32 v29, s21, v27, 0x3ecc95a3 :: v_dual_sub_f32 v22, v22, v24
	s_delay_alu instid0(VALU_DEP_1) | instskip(NEXT) | instid1(VALU_DEP_2)
	v_ldexp_f32 v22, v22, 1
	v_dual_mul_f32 v28, v25, v27 :: v_dual_fmaak_f32 v27, v27, v29, 0x3f2aaada
	v_rcp_f32_e32 v29, v30
	v_frexp_exp_i32_f32_e32 v30, v23
	v_frexp_mant_f32_e32 v23, v23
	s_delay_alu instid0(VALU_DEP_3) | instskip(NEXT) | instid1(VALU_DEP_3)
	v_dual_mul_f32 v27, v28, v27 :: v_dual_mul_f32 v28, 0x3f317218, v21
	v_sub_nc_u32_e32 v26, v30, v26
	s_delay_alu instid0(VALU_DEP_2) | instskip(SKIP_2) | instid1(VALU_DEP_1)
	v_add_f32_e32 v25, v31, v27
	s_waitcnt_depctr 0xfff
	v_mul_f32_e32 v23, v23, v29
	v_ldexp_f32 v23, v23, v26
	v_sub_f32_e32 v24, v25, v31
	v_fma_f32 v26, 0x3f317218, v21, -v28
	s_delay_alu instid0(VALU_DEP_2) | instskip(NEXT) | instid1(VALU_DEP_2)
	v_sub_f32_e32 v24, v27, v24
	v_dual_mul_f32 v27, v23, v23 :: v_dual_fmac_f32 v26, 0xb102e308, v21
	s_delay_alu instid0(VALU_DEP_1) | instskip(NEXT) | instid1(VALU_DEP_1)
	v_dual_add_f32 v21, v22, v24 :: v_dual_fmaak_f32 v22, s26, v27, 0xbc7a590c
	v_dual_add_f32 v24, v28, v26 :: v_dual_add_f32 v29, v25, v21
	s_delay_alu instid0(VALU_DEP_2) | instskip(NEXT) | instid1(VALU_DEP_2)
	v_fmaak_f32 v22, v27, v22, 0x3d29fb3f
	v_add_f32_e32 v30, v24, v29
	s_delay_alu instid0(VALU_DEP_2) | instskip(NEXT) | instid1(VALU_DEP_1)
	v_dual_fmaak_f32 v22, v27, v22, 0xbd97d4d7 :: v_dual_sub_f32 v25, v29, v25
	v_dual_sub_f32 v31, v30, v24 :: v_dual_fmaak_f32 v22, v27, v22, 0x3dd931b2
	s_delay_alu instid0(VALU_DEP_1) | instskip(SKIP_1) | instid1(VALU_DEP_3)
	v_dual_sub_f32 v21, v21, v25 :: v_dual_sub_f32 v32, v30, v31
	v_dual_sub_f32 v25, v29, v31 :: v_dual_sub_f32 v28, v24, v28
	v_fmaak_f32 v22, v27, v22, 0xbe1160e6
	s_delay_alu instid0(VALU_DEP_3) | instskip(NEXT) | instid1(VALU_DEP_3)
	v_sub_f32_e32 v24, v24, v32
	v_sub_f32_e32 v26, v26, v28
	s_delay_alu instid0(VALU_DEP_3) | instskip(NEXT) | instid1(VALU_DEP_3)
	v_fmaak_f32 v22, v27, v22, 0x3e4cb8bf
	v_add_f32_e32 v24, v25, v24
	s_delay_alu instid0(VALU_DEP_3) | instskip(NEXT) | instid1(VALU_DEP_3)
	v_add_f32_e32 v28, v26, v21
	v_fmaak_f32 v22, v27, v22, 0xbeaaaa62
	s_delay_alu instid0(VALU_DEP_2) | instskip(NEXT) | instid1(VALU_DEP_4)
	v_sub_f32_e32 v25, v28, v26
	v_add_f32_e32 v24, v28, v24
	s_delay_alu instid0(VALU_DEP_2) | instskip(NEXT) | instid1(VALU_DEP_1)
	v_dual_mul_f32 v22, v27, v22 :: v_dual_sub_f32 v27, v28, v25
	v_dual_add_f32 v28, v30, v24 :: v_dual_fmac_f32 v23, v23, v22
	s_delay_alu instid0(VALU_DEP_2) | instskip(NEXT) | instid1(VALU_DEP_2)
	v_dual_sub_f32 v21, v21, v25 :: v_dual_sub_f32 v22, v26, v27
	v_dual_sub_f32 v25, v28, v30 :: v_dual_sub_f32 v26, 0x3fc90fdb, v23
	s_delay_alu instid0(VALU_DEP_1) | instskip(NEXT) | instid1(VALU_DEP_2)
	v_dual_add_f32 v21, v21, v22 :: v_dual_sub_f32 v22, v24, v25
	v_cndmask_b32_e64 v23, v23, v26, s4
	v_cndmask_b32_e64 v24, 0, 0x40490fdb, vcc_lo
	v_cmp_eq_f32_e32 vcc_lo, 0x7f800000, v13
	s_delay_alu instid0(VALU_DEP_3) | instskip(SKIP_1) | instid1(VALU_DEP_1)
	v_dual_add_f32 v21, v21, v22 :: v_dual_sub_f32 v22, 0x40490fdb, v23
	s_or_b32 vcc_lo, vcc_lo, s9
	v_add_f32_e32 v7, v28, v21
	s_delay_alu instid0(VALU_DEP_2) | instskip(SKIP_1) | instid1(VALU_DEP_3)
	v_cndmask_b32_e64 v21, v23, v22, s5
	v_cndmask_b32_e64 v22, 0x3f490fdb, v17, s5
	v_cndmask_b32_e32 v7, v7, v13, vcc_lo
	v_cmp_eq_f32_e32 vcc_lo, 0, v8
	s_delay_alu instid0(VALU_DEP_2) | instskip(SKIP_2) | instid1(VALU_DEP_1)
	v_mul_f32_e32 v13, 0.5, v7
	v_cndmask_b32_e32 v21, v21, v24, vcc_lo
	s_and_b32 vcc_lo, s10, s8
	v_cndmask_b32_e32 v21, v21, v22, vcc_lo
                                        ; implicit-def: $vgpr22
.LBB181_242:                            ;   in Loop: Header=BB181_145 Depth=1
	s_and_not1_saveexec_b32 s7, s7
	s_cbranch_execz .LBB181_244
; %bb.243:                              ;   in Loop: Header=BB181_145 Depth=1
	v_max_f32_e64 v13, |v8|, |v8|
	v_max_f32_e64 v21, |v7|, |v7|
	v_cmp_gt_i32_e32 vcc_lo, 0, v7
	v_cmp_eq_f32_e64 s5, 0, v8
	v_cmp_class_f32_e64 s8, v7, 0x204
	v_cmp_class_f32_e64 s9, v8, 0x204
	v_max_f32_e32 v23, v21, v13
	v_min_f32_e32 v13, v21, v13
	s_delay_alu instid0(VALU_DEP_2) | instskip(SKIP_1) | instid1(VALU_DEP_2)
	v_frexp_mant_f32_e32 v24, v23
	v_frexp_exp_i32_f32_e32 v23, v23
	v_rcp_f32_e32 v21, v24
	s_delay_alu instid0(VALU_DEP_3) | instskip(SKIP_1) | instid1(VALU_DEP_2)
	v_frexp_exp_i32_f32_e32 v24, v13
	v_frexp_mant_f32_e32 v13, v13
	v_sub_nc_u32_e32 v23, v24, v23
	s_waitcnt_depctr 0xfff
	v_mul_f32_e32 v13, v13, v21
	s_delay_alu instid0(VALU_DEP_1) | instskip(NEXT) | instid1(VALU_DEP_1)
	v_ldexp_f32 v13, v13, v23
	v_mul_f32_e32 v21, v13, v13
	s_delay_alu instid0(VALU_DEP_1) | instskip(NEXT) | instid1(VALU_DEP_1)
	v_fmaak_f32 v23, s26, v21, 0xbc7a590c
	v_fmaak_f32 v23, v21, v23, 0x3d29fb3f
	s_delay_alu instid0(VALU_DEP_1) | instskip(NEXT) | instid1(VALU_DEP_1)
	v_fmaak_f32 v23, v21, v23, 0xbd97d4d7
	v_fmaak_f32 v23, v21, v23, 0x3dd931b2
	;; [unrolled: 3-line block ×3, first 2 shown]
	s_delay_alu instid0(VALU_DEP_1) | instskip(NEXT) | instid1(VALU_DEP_1)
	v_fmaak_f32 v23, v21, v23, 0xbeaaaa62
	v_mul_f32_e32 v21, v21, v23
	v_cndmask_b32_e64 v23, 0, 0x40490fdb, vcc_lo
	v_cmp_gt_f32_e32 vcc_lo, 0, v7
	s_delay_alu instid0(VALU_DEP_3) | instskip(NEXT) | instid1(VALU_DEP_1)
	v_fmac_f32_e32 v13, v13, v21
	v_sub_f32_e32 v21, 0x3fc90fdb, v13
	s_delay_alu instid0(VALU_DEP_1) | instskip(NEXT) | instid1(VALU_DEP_1)
	v_cndmask_b32_e64 v13, v13, v21, s4
	v_sub_f32_e32 v21, 0x40490fdb, v13
	s_delay_alu instid0(VALU_DEP_1) | instskip(SKIP_1) | instid1(VALU_DEP_2)
	v_cndmask_b32_e32 v13, v13, v21, vcc_lo
	v_mul_f32_e32 v21, 0.5, v22
	v_cndmask_b32_e64 v7, v13, v23, s5
	v_cndmask_b32_e32 v23, 0x3f490fdb, v17, vcc_lo
	s_and_b32 vcc_lo, s9, s8
	s_delay_alu instid0(VALU_DEP_3) | instskip(NEXT) | instid1(VALU_DEP_2)
	v_mul_f32_e32 v13, v22, v21
	v_cndmask_b32_e32 v21, v7, v23, vcc_lo
.LBB181_244:                            ;   in Loop: Header=BB181_145 Depth=1
	s_or_b32 exec_lo, exec_lo, s7
.LBB181_245:                            ;   in Loop: Header=BB181_145 Depth=1
	s_delay_alu instid0(SALU_CYCLE_1)
	s_or_b32 exec_lo, exec_lo, s6
.LBB181_246:                            ;   in Loop: Header=BB181_145 Depth=1
	s_and_not1_saveexec_b32 s6, s28
	s_cbranch_execz .LBB181_248
; %bb.247:                              ;   in Loop: Header=BB181_145 Depth=1
	v_div_scale_f32 v13, null, 0x402df854, 0x402df854, v7
	v_div_scale_f32 v21, null, 0x402df854, 0x402df854, v8
	v_div_scale_f32 v26, vcc_lo, v7, 0x402df854, v7
	s_delay_alu instid0(VALU_DEP_3) | instskip(NEXT) | instid1(VALU_DEP_2)
	v_rcp_f32_e32 v22, v13
	v_rcp_f32_e32 v23, v21
	v_cmp_class_f32_e64 s7, v8, 0x204
	s_waitcnt_depctr 0xfff
	v_fma_f32 v24, -v13, v22, 1.0
	v_fma_f32 v25, -v21, v23, 1.0
	s_delay_alu instid0(VALU_DEP_1) | instskip(SKIP_1) | instid1(VALU_DEP_2)
	v_dual_fmac_f32 v22, v24, v22 :: v_dual_fmac_f32 v23, v25, v23
	v_div_scale_f32 v24, s5, v8, 0x402df854, v8
	v_mul_f32_e32 v25, v26, v22
	s_delay_alu instid0(VALU_DEP_1) | instskip(NEXT) | instid1(VALU_DEP_1)
	v_fma_f32 v28, -v13, v25, v26
	v_fmac_f32_e32 v25, v28, v22
	s_delay_alu instid0(VALU_DEP_1) | instskip(NEXT) | instid1(VALU_DEP_1)
	v_fma_f32 v13, -v13, v25, v26
	v_div_fmas_f32 v13, v13, v22, v25
	v_max_f32_e64 v25, |v7|, |v7|
	v_mul_f32_e32 v27, v24, v23
	s_mov_b32 vcc_lo, s5
	v_cmp_class_f32_e64 s5, v7, 0x204
	v_div_fixup_f32 v13, v13, 0x402df854, v7
	s_delay_alu instid0(VALU_DEP_3) | instskip(NEXT) | instid1(VALU_DEP_1)
	v_fma_f32 v29, -v21, v27, v24
	v_fmac_f32_e32 v27, v29, v23
	s_delay_alu instid0(VALU_DEP_1) | instskip(NEXT) | instid1(VALU_DEP_1)
	v_fma_f32 v21, -v21, v27, v24
	v_div_fmas_f32 v21, v21, v23, v27
	s_delay_alu instid0(VALU_DEP_1) | instskip(NEXT) | instid1(VALU_DEP_1)
	v_div_fixup_f32 v23, v21, 0x402df854, v8
	v_max_f32_e64 v24, |v13|, |v23|
	s_delay_alu instid0(VALU_DEP_1) | instskip(SKIP_1) | instid1(VALU_DEP_2)
	v_cvt_f64_f32_e32 v[21:22], v24
	v_cmp_neq_f32_e32 vcc_lo, 0x7f800000, v24
	v_frexp_exp_i32_f64_e32 v21, v[21:22]
	v_max_f32_e64 v22, |v8|, |v8|
	s_delay_alu instid0(VALU_DEP_1) | instskip(SKIP_1) | instid1(VALU_DEP_2)
	v_max_f32_e32 v26, v25, v22
	v_min_f32_e32 v22, v25, v22
	v_frexp_mant_f32_e32 v27, v26
	v_frexp_exp_i32_f32_e32 v26, v26
	s_delay_alu instid0(VALU_DEP_2) | instskip(SKIP_1) | instid1(VALU_DEP_1)
	v_rcp_f32_e32 v25, v27
	v_sub_nc_u32_e32 v27, 0, v21
	v_ldexp_f32 v23, |v23|, v27
	v_ldexp_f32 v13, |v13|, v27
	s_delay_alu instid0(VALU_DEP_2) | instskip(SKIP_2) | instid1(VALU_DEP_3)
	v_mul_f32_e32 v23, v23, v23
	v_frexp_exp_i32_f32_e32 v28, v22
	v_frexp_mant_f32_e32 v22, v22
	v_fmac_f32_e32 v23, v13, v13
	s_delay_alu instid0(VALU_DEP_3)
	v_sub_nc_u32_e32 v26, v28, v26
	s_delay_alu instid0(TRANS32_DEP_1) | instid1(VALU_DEP_3)
	v_mul_f32_e32 v22, v22, v25
	s_delay_alu instid0(VALU_DEP_3) | instskip(NEXT) | instid1(VALU_DEP_1)
	v_sqrt_f32_e32 v23, v23
	v_ldexp_f32 v22, v22, v26
	s_delay_alu instid0(VALU_DEP_1) | instskip(SKIP_3) | instid1(VALU_DEP_2)
	v_mul_f32_e32 v13, v22, v22
	s_waitcnt_depctr 0xfff
	v_ldexp_f32 v21, v23, v21
	v_fmaak_f32 v25, s26, v13, 0xbc7a590c
	v_cndmask_b32_e32 v21, 0x7f800000, v21, vcc_lo
	s_delay_alu instid0(VALU_DEP_2) | instskip(NEXT) | instid1(VALU_DEP_2)
	v_fmaak_f32 v25, v13, v25, 0x3d29fb3f
	v_cmp_gt_f32_e32 vcc_lo, 0x800000, v21
	s_delay_alu instid0(VALU_DEP_2) | instskip(SKIP_2) | instid1(VALU_DEP_3)
	v_fmaak_f32 v23, v13, v25, 0xbd97d4d7
	v_cndmask_b32_e64 v24, 1.0, 0x4f800000, vcc_lo
	v_cndmask_b32_e64 v25, 0, 0x41b17218, vcc_lo
	v_fmaak_f32 v23, v13, v23, 0x3dd931b2
	s_delay_alu instid0(VALU_DEP_3) | instskip(NEXT) | instid1(VALU_DEP_2)
	v_mul_f32_e32 v21, v21, v24
	v_fmaak_f32 v23, v13, v23, 0xbe1160e6
	s_delay_alu instid0(VALU_DEP_2) | instskip(NEXT) | instid1(VALU_DEP_1)
	v_log_f32_e32 v21, v21
	v_fmaak_f32 v23, v13, v23, 0x3e4cb8bf
	s_delay_alu instid0(VALU_DEP_1) | instskip(SKIP_4) | instid1(VALU_DEP_2)
	v_fmaak_f32 v23, v13, v23, 0xbeaaaa62
	s_waitcnt_depctr 0xfff
	v_cmp_gt_f32_e64 vcc_lo, 0x7f800000, |v21|
	v_mul_f32_e32 v13, v13, v23
	v_mul_f32_e32 v23, 0x3f317217, v21
	v_fmac_f32_e32 v22, v22, v13
	s_delay_alu instid0(VALU_DEP_2) | instskip(NEXT) | instid1(VALU_DEP_2)
	v_fma_f32 v13, 0x3f317217, v21, -v23
	v_sub_f32_e32 v24, 0x3fc90fdb, v22
	s_delay_alu instid0(VALU_DEP_2) | instskip(NEXT) | instid1(VALU_DEP_2)
	v_fmac_f32_e32 v13, 0x3377d1cf, v21
	v_cndmask_b32_e64 v22, v22, v24, s4
	v_cmp_gt_i32_e64 s4, 0, v7
	s_delay_alu instid0(VALU_DEP_3) | instskip(NEXT) | instid1(VALU_DEP_3)
	v_add_f32_e32 v13, v23, v13
	v_sub_f32_e32 v23, 0x40490fdb, v22
	s_delay_alu instid0(VALU_DEP_3) | instskip(SKIP_1) | instid1(VALU_DEP_4)
	v_cndmask_b32_e64 v24, 0, 0x40490fdb, s4
	v_cmp_gt_f32_e64 s4, 0, v7
	v_cndmask_b32_e32 v13, v21, v13, vcc_lo
	v_cmp_eq_f32_e32 vcc_lo, 0, v8
	s_delay_alu instid0(VALU_DEP_3) | instskip(SKIP_1) | instid1(VALU_DEP_4)
	v_cndmask_b32_e64 v7, v22, v23, s4
	v_cndmask_b32_e64 v21, 0x3f490fdb, v17, s4
	v_sub_f32_e32 v13, v13, v25
	s_delay_alu instid0(VALU_DEP_3) | instskip(SKIP_1) | instid1(VALU_DEP_2)
	v_cndmask_b32_e32 v7, v7, v24, vcc_lo
	s_and_b32 vcc_lo, s7, s5
	v_add_f32_e32 v13, 1.0, v13
	s_delay_alu instid0(VALU_DEP_2)
	v_cndmask_b32_e32 v21, v7, v21, vcc_lo
.LBB181_248:                            ;   in Loop: Header=BB181_145 Depth=1
	s_or_b32 exec_lo, exec_lo, s6
.LBB181_249:                            ;   in Loop: Header=BB181_145 Depth=1
	s_and_not1_saveexec_b32 s4, s27
	s_cbranch_execz .LBB181_255
; %bb.250:                              ;   in Loop: Header=BB181_145 Depth=1
	v_cmp_ngt_f32_e64 s5, 0x20000000, |v7|
	v_cmp_ngt_f32_e64 s6, 0x20000000, |v8|
                                        ; implicit-def: $vgpr13
	s_delay_alu instid0(VALU_DEP_1) | instskip(NEXT) | instid1(SALU_CYCLE_1)
	s_or_b32 s5, s6, s5
	s_and_saveexec_b32 s6, s5
	s_delay_alu instid0(SALU_CYCLE_1)
	s_xor_b32 s5, exec_lo, s6
; %bb.251:                              ;   in Loop: Header=BB181_145 Depth=1
	v_mul_f32_e32 v13, v7, v7
	s_delay_alu instid0(VALU_DEP_1)
	v_fmac_f32_e32 v13, v8, v8
; %bb.252:                              ;   in Loop: Header=BB181_145 Depth=1
	s_and_not1_saveexec_b32 s5, s5
; %bb.253:                              ;   in Loop: Header=BB181_145 Depth=1
	v_mul_f32_e32 v7, 4.0, v7
	v_mul_f32_e32 v13, 4.0, v8
	s_delay_alu instid0(VALU_DEP_2) | instskip(NEXT) | instid1(VALU_DEP_1)
	v_mul_f32_e32 v7, v7, v7
	v_fmac_f32_e32 v7, v13, v13
	s_delay_alu instid0(VALU_DEP_1)
	v_mul_f32_e32 v13, 0x3d800000, v7
; %bb.254:                              ;   in Loop: Header=BB181_145 Depth=1
	s_or_b32 exec_lo, exec_lo, s5
	s_delay_alu instid0(VALU_DEP_1) | instskip(SKIP_1) | instid1(VALU_DEP_1)
	v_cmp_gt_f32_e32 vcc_lo, 0x800000, v13
	v_cndmask_b32_e64 v7, 1.0, 0x4f800000, vcc_lo
	v_mul_f32_e32 v7, v13, v7
	s_delay_alu instid0(VALU_DEP_1) | instskip(SKIP_2) | instid1(VALU_DEP_1)
	v_log_f32_e32 v7, v7
	s_waitcnt_depctr 0xfff
	v_mul_f32_e32 v13, 0x3f317217, v7
	v_fma_f32 v21, 0x3f317217, v7, -v13
	s_delay_alu instid0(VALU_DEP_1) | instskip(NEXT) | instid1(VALU_DEP_1)
	v_fmac_f32_e32 v21, 0x3377d1cf, v7
	v_add_f32_e32 v13, v13, v21
	v_cndmask_b32_e64 v21, 0, 0x41b17218, vcc_lo
	v_cmp_gt_f32_e64 vcc_lo, 0x7f800000, |v7|
	s_delay_alu instid0(VALU_DEP_3) | instskip(NEXT) | instid1(VALU_DEP_1)
	v_cndmask_b32_e32 v7, v7, v13, vcc_lo
	v_sub_f32_e32 v13, v7, v21
	v_mov_b32_e32 v21, 0x7fc00000
.LBB181_255:                            ;   in Loop: Header=BB181_145 Depth=1
	s_or_b32 exec_lo, exec_lo, s4
                                        ; implicit-def: $vgpr7
                                        ; implicit-def: $vgpr22
	s_delay_alu instid0(SALU_CYCLE_1)
	s_mov_b32 s4, exec_lo
	v_cmpx_o_f32_e32 v6, v5
	s_xor_b32 s27, exec_lo, s4
	s_cbranch_execnz .LBB181_261
; %bb.256:                              ;   in Loop: Header=BB181_145 Depth=1
	s_and_not1_saveexec_b32 s4, s27
	s_cbranch_execnz .LBB181_288
.LBB181_257:                            ;   in Loop: Header=BB181_145 Depth=1
	s_or_b32 exec_lo, exec_lo, s4
	s_and_saveexec_b32 s4, s3
	s_delay_alu instid0(SALU_CYCLE_1)
	s_xor_b32 s4, exec_lo, s4
	s_cbranch_execnz .LBB181_293
.LBB181_258:                            ;   in Loop: Header=BB181_145 Depth=1
	s_or_b32 exec_lo, exec_lo, s4
	s_and_saveexec_b32 s3, s2
	s_cbranch_execnz .LBB181_294
.LBB181_259:                            ;   in Loop: Header=BB181_145 Depth=1
	s_or_b32 exec_lo, exec_lo, s3
	s_and_saveexec_b32 s2, s1
	s_cbranch_execnz .LBB181_295
.LBB181_260:                            ;   in Loop: Header=BB181_145 Depth=1
	s_or_b32 exec_lo, exec_lo, s2
	s_and_saveexec_b32 s1, s0
	s_cbranch_execz .LBB181_144
	s_branch .LBB181_296
.LBB181_261:                            ;   in Loop: Header=BB181_145 Depth=1
	v_cmp_lt_f32_e64 s4, |v5|, |v6|
                                        ; implicit-def: $vgpr7
                                        ; implicit-def: $vgpr22
	s_mov_b32 s5, exec_lo
	s_delay_alu instid0(VALU_DEP_1) | instskip(NEXT) | instid1(VALU_DEP_1)
	v_cndmask_b32_e64 v23, |v6|, |v5|, s4
	v_cmpx_nlt_f32_e32 0x77f684df, v23
	s_xor_b32 s28, exec_lo, s5
	s_cbranch_execz .LBB181_285
; %bb.262:                              ;   in Loop: Header=BB181_145 Depth=1
	v_and_b32_e32 v7, 0x7fffffff, v6
                                        ; implicit-def: $vgpr22
	s_mov_b32 s5, exec_lo
	s_delay_alu instid0(VALU_DEP_1) | instskip(NEXT) | instid1(VALU_DEP_1)
	v_cndmask_b32_e64 v24, |v5|, v7, s4
                                        ; implicit-def: $vgpr7
	v_cmpx_neq_f32_e32 1.0, v24
	s_xor_b32 s29, exec_lo, s5
	s_cbranch_execz .LBB181_278
; %bb.263:                              ;   in Loop: Header=BB181_145 Depth=1
	v_dual_max_f32 v7, v23, v23 :: v_dual_max_f32 v22, v24, v24
	s_delay_alu instid0(VALU_DEP_1) | instskip(SKIP_1) | instid1(VALU_DEP_2)
	v_min_f32_e32 v25, v22, v7
	v_max_f32_e32 v7, v22, v7
                                        ; implicit-def: $vgpr22
	v_cmp_ngt_f32_e32 vcc_lo, 0x358637bd, v25
	s_delay_alu instid0(VALU_DEP_2) | instskip(NEXT) | instid1(VALU_DEP_1)
	v_cmp_nlt_f32_e64 s5, 0x49742400, v7
                                        ; implicit-def: $vgpr7
	s_and_b32 s5, s5, vcc_lo
	s_delay_alu instid0(SALU_CYCLE_1) | instskip(NEXT) | instid1(SALU_CYCLE_1)
	s_and_saveexec_b32 s6, s5
	s_xor_b32 s30, exec_lo, s6
	s_cbranch_execz .LBB181_275
; %bb.264:                              ;   in Loop: Header=BB181_145 Depth=1
                                        ; implicit-def: $vgpr7
                                        ; implicit-def: $vgpr22
	s_mov_b32 s5, exec_lo
	v_cmpx_le_f32_e32 1.0, v24
	s_xor_b32 s6, exec_lo, s5
	s_cbranch_execz .LBB181_266
; %bb.265:                              ;   in Loop: Header=BB181_145 Depth=1
	v_add_f32_e32 v7, -1.0, v24
	v_add_f32_e32 v22, 1.0, v24
	v_cmp_class_f32_e64 s7, v5, 0x204
	s_delay_alu instid0(VALU_DEP_2) | instskip(NEXT) | instid1(VALU_DEP_1)
	v_mul_f32_e32 v7, v7, v22
	v_fmac_f32_e32 v7, v23, v23
	s_delay_alu instid0(VALU_DEP_1) | instskip(SKIP_1) | instid1(VALU_DEP_2)
	v_add_f32_e32 v24, 1.0, v7
	v_cmp_neq_f32_e64 s5, -1.0, v7
	v_cvt_f64_f32_e32 v[22:23], v24
	s_delay_alu instid0(VALU_DEP_1) | instskip(SKIP_1) | instid1(VALU_DEP_1)
	v_frexp_exp_i32_f64_e32 v22, v[22:23]
	v_frexp_mant_f32_e32 v23, v24
	v_cmp_gt_f32_e32 vcc_lo, 0x3f2aaaab, v23
	v_add_f32_e32 v23, -1.0, v24
	s_delay_alu instid0(VALU_DEP_1) | instskip(NEXT) | instid1(VALU_DEP_1)
	v_sub_f32_e32 v26, v23, v24
	v_dual_sub_f32 v23, v7, v23 :: v_dual_add_f32 v26, 1.0, v26
	s_delay_alu instid0(VALU_DEP_1) | instskip(SKIP_2) | instid1(VALU_DEP_2)
	v_add_f32_e32 v23, v23, v26
	v_subrev_co_ci_u32_e32 v22, vcc_lo, 0, v22, vcc_lo
	v_cmp_eq_f32_e32 vcc_lo, 0x7f800000, v7
	v_sub_nc_u32_e32 v25, 0, v22
	v_cvt_f32_i32_e32 v22, v22
	s_delay_alu instid0(VALU_DEP_2) | instskip(SKIP_1) | instid1(VALU_DEP_2)
	v_ldexp_f32 v24, v24, v25
	v_ldexp_f32 v23, v23, v25
	v_add_f32_e32 v27, 1.0, v24
	s_delay_alu instid0(VALU_DEP_1) | instskip(NEXT) | instid1(VALU_DEP_1)
	v_add_f32_e32 v26, -1.0, v27
	v_sub_f32_e32 v26, v24, v26
	s_delay_alu instid0(VALU_DEP_1) | instskip(NEXT) | instid1(VALU_DEP_1)
	v_dual_add_f32 v26, v23, v26 :: v_dual_add_f32 v25, -1.0, v24
	v_add_f32_e32 v28, 1.0, v25
	s_delay_alu instid0(VALU_DEP_1) | instskip(NEXT) | instid1(VALU_DEP_3)
	v_sub_f32_e32 v24, v24, v28
	v_add_f32_e32 v28, v27, v26
	s_delay_alu instid0(VALU_DEP_1) | instskip(NEXT) | instid1(VALU_DEP_3)
	v_sub_f32_e32 v27, v28, v27
	v_add_f32_e32 v23, v23, v24
	v_rcp_f32_e32 v24, v28
	s_delay_alu instid0(VALU_DEP_2) | instskip(NEXT) | instid1(VALU_DEP_2)
	v_sub_f32_e32 v26, v26, v27
	v_add_f32_e32 v29, v25, v23
	s_delay_alu instid0(VALU_DEP_1) | instskip(SKIP_2) | instid1(VALU_DEP_1)
	v_sub_f32_e32 v25, v29, v25
	s_waitcnt_depctr 0xfff
	v_dual_mul_f32 v30, v29, v24 :: v_dual_sub_f32 v23, v23, v25
	v_mul_f32_e32 v31, v28, v30
	s_delay_alu instid0(VALU_DEP_1) | instskip(NEXT) | instid1(VALU_DEP_1)
	v_fma_f32 v27, v30, v28, -v31
	v_fmac_f32_e32 v27, v30, v26
	s_delay_alu instid0(VALU_DEP_1) | instskip(NEXT) | instid1(VALU_DEP_1)
	v_add_f32_e32 v32, v31, v27
	v_sub_f32_e32 v33, v29, v32
	s_delay_alu instid0(VALU_DEP_1) | instskip(SKIP_1) | instid1(VALU_DEP_2)
	v_sub_f32_e32 v29, v29, v33
	v_sub_f32_e32 v25, v32, v31
	v_sub_f32_e32 v29, v29, v32
	s_delay_alu instid0(VALU_DEP_2) | instskip(NEXT) | instid1(VALU_DEP_2)
	v_sub_f32_e32 v25, v25, v27
	v_add_f32_e32 v23, v23, v29
	s_delay_alu instid0(VALU_DEP_1) | instskip(NEXT) | instid1(VALU_DEP_1)
	v_add_f32_e32 v23, v25, v23
	v_add_f32_e32 v25, v33, v23
	s_delay_alu instid0(VALU_DEP_1) | instskip(NEXT) | instid1(VALU_DEP_1)
	v_mul_f32_e32 v27, v24, v25
	v_mul_f32_e32 v29, v28, v27
	s_delay_alu instid0(VALU_DEP_1) | instskip(NEXT) | instid1(VALU_DEP_1)
	v_fma_f32 v28, v27, v28, -v29
	v_fmac_f32_e32 v28, v27, v26
	v_sub_f32_e32 v32, v33, v25
	s_delay_alu instid0(VALU_DEP_2) | instskip(NEXT) | instid1(VALU_DEP_2)
	v_add_f32_e32 v26, v29, v28
	v_add_f32_e32 v23, v23, v32
	s_delay_alu instid0(VALU_DEP_2) | instskip(SKIP_1) | instid1(VALU_DEP_2)
	v_sub_f32_e32 v31, v25, v26
	v_sub_f32_e32 v29, v26, v29
	;; [unrolled: 1-line block ×3, first 2 shown]
	s_delay_alu instid0(VALU_DEP_1) | instskip(NEXT) | instid1(VALU_DEP_3)
	v_sub_f32_e32 v25, v25, v26
	v_sub_f32_e32 v26, v29, v28
	v_max_f32_e64 v28, |v6|, |v6|
	s_delay_alu instid0(VALU_DEP_3) | instskip(SKIP_1) | instid1(VALU_DEP_1)
	v_add_f32_e32 v23, v23, v25
	v_add_f32_e32 v25, v30, v27
	v_dual_add_f32 v23, v26, v23 :: v_dual_sub_f32 v26, v25, v30
	s_delay_alu instid0(VALU_DEP_1) | instskip(NEXT) | instid1(VALU_DEP_2)
	v_add_f32_e32 v23, v31, v23
	v_sub_f32_e32 v26, v27, v26
	v_mul_f32_e32 v31, 0x3f317218, v22
	s_delay_alu instid0(VALU_DEP_3) | instskip(NEXT) | instid1(VALU_DEP_2)
	v_mul_f32_e32 v23, v24, v23
	v_fma_f32 v32, 0x3f317218, v22, -v31
	s_delay_alu instid0(VALU_DEP_1) | instskip(NEXT) | instid1(VALU_DEP_1)
	v_dual_add_f32 v23, v26, v23 :: v_dual_fmac_f32 v32, 0xb102e308, v22
	v_add_f32_e32 v24, v25, v23
	s_delay_alu instid0(VALU_DEP_1) | instskip(SKIP_1) | instid1(VALU_DEP_2)
	v_mul_f32_e32 v26, v24, v24
	v_ldexp_f32 v30, v24, 1
	v_fmaak_f32 v27, s21, v26, 0x3ecc95a3
	v_mul_f32_e32 v29, v24, v26
	v_sub_f32_e32 v24, v24, v25
	s_delay_alu instid0(VALU_DEP_3) | instskip(SKIP_1) | instid1(VALU_DEP_2)
	v_fmaak_f32 v26, v26, v27, 0x3f2aaada
	v_max_f32_e64 v27, |v5|, |v5|
	v_dual_sub_f32 v23, v23, v24 :: v_dual_mul_f32 v26, v29, v26
	s_delay_alu instid0(VALU_DEP_2) | instskip(SKIP_1) | instid1(VALU_DEP_3)
	v_max_f32_e32 v29, v27, v28
	v_min_f32_e32 v27, v27, v28
	v_ldexp_f32 v23, v23, 1
	s_delay_alu instid0(VALU_DEP_4) | instskip(NEXT) | instid1(VALU_DEP_4)
	v_add_f32_e32 v25, v30, v26
	v_frexp_mant_f32_e32 v28, v29
	v_frexp_exp_i32_f32_e32 v29, v29
	s_delay_alu instid0(VALU_DEP_3) | instskip(NEXT) | instid1(VALU_DEP_3)
	v_sub_f32_e32 v24, v25, v30
	v_rcp_f32_e32 v28, v28
	v_frexp_exp_i32_f32_e32 v30, v27
	s_delay_alu instid0(VALU_DEP_2) | instskip(SKIP_1) | instid1(VALU_DEP_3)
	v_sub_f32_e32 v24, v26, v24
	v_frexp_mant_f32_e32 v26, v27
	v_sub_nc_u32_e32 v27, v30, v29
	s_delay_alu instid0(VALU_DEP_3) | instskip(SKIP_1) | instid1(VALU_DEP_1)
	v_add_f32_e32 v22, v23, v24
	v_add_f32_e32 v24, v31, v32
	v_sub_f32_e32 v31, v24, v31
	s_delay_alu instid0(VALU_DEP_1)
	v_sub_f32_e32 v31, v32, v31
	s_delay_alu instid0(TRANS32_DEP_1) | instid1(VALU_DEP_4)
	v_dual_mul_f32 v23, v26, v28 :: v_dual_add_f32 v26, v25, v22
	s_delay_alu instid0(VALU_DEP_1) | instskip(NEXT) | instid1(VALU_DEP_2)
	v_ldexp_f32 v23, v23, v27
	v_add_f32_e32 v27, v24, v26
	s_delay_alu instid0(VALU_DEP_2) | instskip(NEXT) | instid1(VALU_DEP_1)
	v_dual_sub_f32 v25, v26, v25 :: v_dual_mul_f32 v28, v23, v23
	v_dual_sub_f32 v29, v27, v24 :: v_dual_sub_f32 v22, v22, v25
	s_delay_alu instid0(VALU_DEP_1) | instskip(SKIP_1) | instid1(VALU_DEP_3)
	v_dual_fmaak_f32 v30, s26, v28, 0xbc7a590c :: v_dual_sub_f32 v33, v27, v29
	v_sub_f32_e32 v25, v26, v29
	v_add_f32_e32 v29, v31, v22
	s_delay_alu instid0(VALU_DEP_3) | instskip(NEXT) | instid1(VALU_DEP_4)
	v_fmaak_f32 v30, v28, v30, 0x3d29fb3f
	v_sub_f32_e32 v24, v24, v33
	s_delay_alu instid0(VALU_DEP_2) | instskip(NEXT) | instid1(VALU_DEP_1)
	v_fmaak_f32 v26, v28, v30, 0xbd97d4d7
	v_dual_add_f32 v24, v25, v24 :: v_dual_fmaak_f32 v25, v28, v26, 0x3dd931b2
	v_sub_f32_e32 v26, v29, v31
	s_delay_alu instid0(VALU_DEP_2) | instskip(NEXT) | instid1(VALU_DEP_1)
	v_dual_add_f32 v24, v29, v24 :: v_dual_fmaak_f32 v25, v28, v25, 0xbe1160e6
	v_dual_sub_f32 v29, v29, v26 :: v_dual_add_f32 v30, v27, v24
	s_delay_alu instid0(VALU_DEP_2) | instskip(NEXT) | instid1(VALU_DEP_2)
	v_dual_sub_f32 v22, v22, v26 :: v_dual_fmaak_f32 v25, v28, v25, 0x3e4cb8bf
	v_dual_sub_f32 v26, v31, v29 :: v_dual_sub_f32 v27, v30, v27
	s_delay_alu instid0(VALU_DEP_1) | instskip(NEXT) | instid1(VALU_DEP_2)
	v_dual_fmaak_f32 v25, v28, v25, 0xbeaaaa62 :: v_dual_add_f32 v22, v22, v26
	v_sub_f32_e32 v24, v24, v27
	s_delay_alu instid0(VALU_DEP_1) | instskip(NEXT) | instid1(VALU_DEP_1)
	v_dual_mul_f32 v25, v28, v25 :: v_dual_add_f32 v22, v22, v24
	v_dual_fmac_f32 v23, v23, v25 :: v_dual_add_f32 v22, v30, v22
	s_delay_alu instid0(VALU_DEP_1) | instskip(NEXT) | instid1(VALU_DEP_2)
	v_sub_f32_e32 v24, 0x3fc90fdb, v23
	v_cndmask_b32_e32 v22, v22, v7, vcc_lo
	v_cmp_gt_i32_e32 vcc_lo, 0, v5
	s_delay_alu instid0(VALU_DEP_3) | instskip(SKIP_2) | instid1(VALU_DEP_3)
	v_cndmask_b32_e64 v23, v23, v24, s4
	v_cndmask_b32_e64 v24, 0, 0x40490fdb, vcc_lo
	v_cmp_ngt_f32_e32 vcc_lo, -1.0, v7
	v_sub_f32_e32 v25, 0x40490fdb, v23
	v_cndmask_b32_e32 v22, 0x7fc00000, v22, vcc_lo
	v_cmp_gt_f32_e32 vcc_lo, 0, v5
	s_delay_alu instid0(VALU_DEP_2) | instskip(NEXT) | instid1(VALU_DEP_4)
	v_cndmask_b32_e64 v5, 0xff800000, v22, s5
	v_cndmask_b32_e32 v22, v23, v25, vcc_lo
	v_cndmask_b32_e32 v23, 0x3f490fdb, v17, vcc_lo
	v_cmp_gt_f32_e64 vcc_lo, 0x33800000, |v7|
	v_cmp_class_f32_e64 s5, v6, 0x204
	v_cndmask_b32_e32 v5, v5, v7, vcc_lo
	v_cmp_eq_f32_e32 vcc_lo, 0, v6
	s_delay_alu instid0(VALU_DEP_2) | instskip(NEXT) | instid1(VALU_DEP_4)
	v_dual_mul_f32 v7, 0.5, v5 :: v_dual_cndmask_b32 v22, v22, v24
	s_and_b32 vcc_lo, s5, s7
                                        ; implicit-def: $vgpr24
	s_delay_alu instid0(VALU_DEP_1)
	v_cndmask_b32_e32 v22, v22, v23, vcc_lo
                                        ; implicit-def: $vgpr23
.LBB181_266:                            ;   in Loop: Header=BB181_145 Depth=1
	s_and_not1_saveexec_b32 s31, s6
	s_cbranch_execz .LBB181_274
; %bb.267:                              ;   in Loop: Header=BB181_145 Depth=1
	v_mul_f32_e32 v25, v23, v23
                                        ; implicit-def: $vgpr7
                                        ; implicit-def: $vgpr22
	s_mov_b32 s5, exec_lo
	s_delay_alu instid0(VALU_DEP_1) | instskip(NEXT) | instid1(VALU_DEP_1)
	v_fmac_f32_e32 v25, v24, v24
	v_cmpx_ge_f32_e32 0x3f333333, v25
	s_xor_b32 s6, exec_lo, s5
	s_cbranch_execz .LBB181_269
; %bb.268:                              ;   in Loop: Header=BB181_145 Depth=1
	v_max_f32_e64 v7, |v6|, |v6|
	v_max_f32_e64 v22, |v5|, |v5|
	v_cmp_gt_f32_e32 vcc_lo, 0x800000, v25
	v_cmp_gt_i32_e64 s5, 0, v5
	v_cmp_class_f32_e64 s7, v5, 0x204
	v_cmp_class_f32_e64 s8, v6, 0x204
	v_max_f32_e32 v23, v22, v7
	v_min_f32_e32 v7, v22, v7
	v_cndmask_b32_e64 v26, 0, 0x41b17218, vcc_lo
	s_delay_alu instid0(VALU_DEP_3) | instskip(SKIP_1) | instid1(VALU_DEP_2)
	v_frexp_mant_f32_e32 v24, v23
	v_frexp_exp_i32_f32_e32 v23, v23
	v_rcp_f32_e32 v22, v24
	v_frexp_exp_i32_f32_e32 v24, v7
	v_frexp_mant_f32_e32 v7, v7
	s_delay_alu instid0(VALU_DEP_2) | instskip(SKIP_3) | instid1(VALU_DEP_1)
	v_sub_nc_u32_e32 v23, v24, v23
	v_cndmask_b32_e64 v24, 1.0, 0x4f800000, vcc_lo
	s_waitcnt_depctr 0xfff
	v_dual_mul_f32 v7, v7, v22 :: v_dual_mul_f32 v24, v25, v24
	v_ldexp_f32 v7, v7, v23
	s_delay_alu instid0(VALU_DEP_2) | instskip(NEXT) | instid1(VALU_DEP_1)
	v_log_f32_e32 v24, v24
	v_mul_f32_e32 v22, v7, v7
	s_delay_alu instid0(VALU_DEP_1) | instskip(SKIP_3) | instid1(VALU_DEP_1)
	v_fmaak_f32 v23, s26, v22, 0xbc7a590c
	s_waitcnt_depctr 0xfff
	v_cmp_gt_f32_e64 vcc_lo, 0x7f800000, |v24|
	v_fmaak_f32 v23, v22, v23, 0x3d29fb3f
	v_fmaak_f32 v23, v22, v23, 0xbd97d4d7
	s_delay_alu instid0(VALU_DEP_1) | instskip(NEXT) | instid1(VALU_DEP_1)
	v_fmaak_f32 v23, v22, v23, 0x3dd931b2
	v_fmaak_f32 v23, v22, v23, 0xbe1160e6
	s_delay_alu instid0(VALU_DEP_1) | instskip(NEXT) | instid1(VALU_DEP_1)
	;; [unrolled: 3-line block ×3, first 2 shown]
	v_dual_mul_f32 v22, v22, v23 :: v_dual_mul_f32 v23, 0x3f317217, v24
	v_fmac_f32_e32 v7, v7, v22
	s_delay_alu instid0(VALU_DEP_2) | instskip(NEXT) | instid1(VALU_DEP_1)
	v_fma_f32 v22, 0x3f317217, v24, -v23
	v_fmac_f32_e32 v22, 0x3377d1cf, v24
	s_delay_alu instid0(VALU_DEP_1) | instskip(NEXT) | instid1(VALU_DEP_1)
	v_dual_sub_f32 v25, 0x3fc90fdb, v7 :: v_dual_add_f32 v22, v23, v22
	v_cndmask_b32_e64 v7, v7, v25, s4
	v_cndmask_b32_e64 v23, 0, 0x40490fdb, s5
	v_cmp_eq_f32_e64 s5, 0, v6
	s_delay_alu instid0(VALU_DEP_3) | instskip(SKIP_1) | instid1(VALU_DEP_2)
	v_dual_cndmask_b32 v22, v24, v22 :: v_dual_sub_f32 v25, 0x40490fdb, v7
	v_cmp_gt_f32_e32 vcc_lo, 0, v5
                                        ; implicit-def: $vgpr24
	v_sub_f32_e32 v5, v22, v26
	s_delay_alu instid0(VALU_DEP_3) | instskip(NEXT) | instid1(VALU_DEP_1)
	v_cndmask_b32_e32 v7, v7, v25, vcc_lo
	v_cndmask_b32_e64 v22, v7, v23, s5
	v_cndmask_b32_e32 v23, 0x3f490fdb, v17, vcc_lo
	s_and_b32 vcc_lo, s8, s7
	s_delay_alu instid0(VALU_DEP_1)
	v_dual_mul_f32 v7, 0.5, v5 :: v_dual_cndmask_b32 v22, v22, v23
                                        ; implicit-def: $vgpr23
.LBB181_269:                            ;   in Loop: Header=BB181_145 Depth=1
	s_and_not1_saveexec_b32 s33, s6
	s_cbranch_execz .LBB181_273
; %bb.270:                              ;   in Loop: Header=BB181_145 Depth=1
	v_and_b32_e32 v25, 0x7fff0000, v23
	v_and_b32_e32 v22, 0x7fff0000, v24
	s_mov_b32 s34, 0
	s_delay_alu instid0(VALU_DEP_2) | instskip(SKIP_1) | instid1(VALU_DEP_3)
	v_sub_f32_e32 v26, v23, v25
	v_mul_f32_e32 v23, v25, v25
	v_mul_f32_e32 v7, v22, v22
	v_sub_f32_e32 v24, v24, v22
	s_delay_alu instid0(VALU_DEP_1) | instskip(NEXT) | instid1(VALU_DEP_1)
	v_dual_add_f32 v32, v25, v25 :: v_dual_and_b32 v27, 0xffff0000, v24
	v_dual_sub_f32 v25, v24, v27 :: v_dual_and_b32 v28, 0xffff0000, v26
	s_delay_alu instid0(VALU_DEP_1) | instskip(SKIP_2) | instid1(VALU_DEP_3)
	v_dual_add_f32 v29, v22, v22 :: v_dual_mul_f32 v22, v32, v28
	v_dual_sub_f32 v33, v26, v28 :: v_dual_mul_f32 v24, v27, v27
	v_add_f32_e32 v26, v27, v27
	v_dual_mul_f32 v31, v29, v27 :: v_dual_add_f32 v34, v28, v28
	v_dual_mul_f32 v30, v28, v28 :: v_dual_mul_f32 v27, v29, v25
	s_delay_alu instid0(VALU_DEP_4) | instskip(NEXT) | instid1(VALU_DEP_4)
	v_mul_f32_e32 v29, v32, v33
	v_mul_f32_e32 v28, v26, v25
	;; [unrolled: 1-line block ×5, first 2 shown]
.LBB181_271:                            ;   Parent Loop BB181_145 Depth=1
                                        ; =>  This Inner Loop Header: Depth=2
	v_cmp_nlt_f32_e32 vcc_lo, v7, v23
	s_delay_alu instid0(VALU_DEP_2) | instskip(SKIP_1) | instid1(VALU_DEP_2)
	v_dual_mov_b32 v34, v32 :: v_dual_cndmask_b32 v33, v7, v23
	v_cndmask_b32_e32 v7, v23, v7, vcc_lo
	v_cmp_nlt_f32_e64 s5, v33, v31
	s_delay_alu instid0(VALU_DEP_1) | instskip(SKIP_2) | instid1(VALU_DEP_2)
	v_cndmask_b32_e64 v32, v33, v31, s5
	v_cndmask_b32_e64 v23, v31, v33, s5
	s_and_b32 s35, vcc_lo, s5
	v_cmp_nlt_f32_e64 s6, v32, v22
	s_delay_alu instid0(VALU_DEP_1) | instskip(SKIP_1) | instid1(VALU_DEP_2)
	v_cndmask_b32_e64 v35, v32, v22, s6
	v_cndmask_b32_e64 v31, v22, v32, s6
	v_cmp_nlt_f32_e64 s7, v35, v24
	s_delay_alu instid0(VALU_DEP_1) | instskip(SKIP_2) | instid1(VALU_DEP_2)
	v_cndmask_b32_e64 v33, v35, v24, s7
	v_cndmask_b32_e64 v22, v24, v35, s7
	s_and_b32 s36, s6, s7
	v_cmp_nlt_f32_e64 s8, v33, v30
	s_delay_alu instid0(VALU_DEP_1) | instskip(SKIP_1) | instid1(VALU_DEP_2)
	v_cndmask_b32_e64 v36, v33, v30, s8
	v_cndmask_b32_e64 v24, v30, v33, s8
	v_cmp_nlt_f32_e64 s9, v36, v27
	s_delay_alu instid0(VALU_DEP_1) | instskip(SKIP_2) | instid1(VALU_DEP_2)
	v_cndmask_b32_e64 v37, v36, v27, s9
	s_and_b32 s7, s8, s9
	v_cndmask_b32_e64 v30, v27, v36, s9
	v_cmp_nlt_f32_e64 s10, v37, v29
	s_delay_alu instid0(VALU_DEP_1) | instskip(SKIP_2) | instid1(VALU_DEP_2)
	v_cndmask_b32_e64 v38, v37, v29, s10
	s_and_b32 s7, s7, s10
	v_cndmask_b32_e64 v27, v29, v37, s10
	v_cmp_nlt_f32_e32 vcc_lo, v38, v28
	v_cndmask_b32_e32 v39, v38, v28, vcc_lo
	s_and_b32 s8, s7, vcc_lo
	v_cndmask_b32_e32 v29, v28, v38, vcc_lo
	s_delay_alu instid0(VALU_DEP_2) | instskip(NEXT) | instid1(VALU_DEP_1)
	v_cmp_nlt_f32_e64 s5, v39, v26
	v_cndmask_b32_e64 v35, v39, v26, s5
	s_and_b32 s8, s8, s5
	v_cndmask_b32_e64 v28, v26, v39, s5
	s_delay_alu instid0(VALU_DEP_2) | instskip(NEXT) | instid1(VALU_DEP_1)
	v_cmp_nlt_f32_e64 s6, v35, v25
	v_cndmask_b32_e64 v33, v35, v25, s6
	s_and_b32 s8, s8, s6
	v_cndmask_b32_e64 v26, v25, v35, s6
	s_delay_alu instid0(VALU_DEP_2) | instskip(NEXT) | instid1(VALU_DEP_1)
	v_cmp_nlt_f32_e64 s7, v33, v34
	s_and_b32 s8, s8, s7
	v_cndmask_b32_e64 v32, v33, v34, s7
	s_and_b32 s5, s8, s36
	v_cndmask_b32_e64 v25, v34, v33, s7
	s_and_b32 s5, s5, s35
	s_delay_alu instid0(SALU_CYCLE_1) | instskip(NEXT) | instid1(SALU_CYCLE_1)
	s_and_b32 s5, exec_lo, s5
	s_or_b32 s34, s5, s34
	s_delay_alu instid0(SALU_CYCLE_1)
	s_and_not1_b32 exec_lo, exec_lo, s34
	s_cbranch_execnz .LBB181_271
; %bb.272:                              ;   in Loop: Header=BB181_145 Depth=1
	s_or_b32 exec_lo, exec_lo, s34
	v_add_f32_e32 v7, -1.0, v7
	v_cmp_class_f32_e64 s6, v5, 0x204
	s_delay_alu instid0(VALU_DEP_2) | instskip(NEXT) | instid1(VALU_DEP_1)
	v_add_f32_e32 v7, v7, v23
	v_add_f32_e32 v7, v7, v31
	s_delay_alu instid0(VALU_DEP_1) | instskip(NEXT) | instid1(VALU_DEP_1)
	v_add_f32_e32 v7, v7, v22
	v_add_f32_e32 v7, v7, v24
	s_delay_alu instid0(VALU_DEP_1) | instskip(NEXT) | instid1(VALU_DEP_1)
	v_add_f32_e32 v7, v7, v30
	v_add_f32_e32 v7, v7, v27
	s_delay_alu instid0(VALU_DEP_1) | instskip(NEXT) | instid1(VALU_DEP_1)
	v_add_f32_e32 v7, v7, v29
	v_add_f32_e32 v7, v7, v28
	s_delay_alu instid0(VALU_DEP_1) | instskip(NEXT) | instid1(VALU_DEP_1)
	v_add_f32_e32 v7, v7, v26
	v_add_f32_e32 v7, v7, v25
	s_delay_alu instid0(VALU_DEP_1) | instskip(NEXT) | instid1(VALU_DEP_1)
	v_add_f32_e32 v7, v32, v7
	v_add_f32_e32 v24, 1.0, v7
	s_delay_alu instid0(VALU_DEP_1) | instskip(NEXT) | instid1(VALU_DEP_1)
	v_cvt_f64_f32_e32 v[22:23], v24
	v_frexp_exp_i32_f64_e32 v22, v[22:23]
	v_frexp_mant_f32_e32 v23, v24
	s_delay_alu instid0(VALU_DEP_1) | instskip(SKIP_1) | instid1(VALU_DEP_1)
	v_cmp_gt_f32_e32 vcc_lo, 0x3f2aaaab, v23
	v_add_f32_e32 v23, -1.0, v24
	v_sub_f32_e32 v26, v23, v24
	s_delay_alu instid0(VALU_DEP_1) | instskip(NEXT) | instid1(VALU_DEP_1)
	v_dual_sub_f32 v23, v7, v23 :: v_dual_add_f32 v26, 1.0, v26
	v_add_f32_e32 v23, v23, v26
	v_subrev_co_ci_u32_e32 v22, vcc_lo, 0, v22, vcc_lo
	s_delay_alu instid0(VALU_DEP_1) | instskip(SKIP_1) | instid1(VALU_DEP_2)
	v_sub_nc_u32_e32 v25, 0, v22
	v_cvt_f32_i32_e32 v22, v22
	v_ldexp_f32 v24, v24, v25
	v_ldexp_f32 v23, v23, v25
	s_delay_alu instid0(VALU_DEP_2) | instskip(NEXT) | instid1(VALU_DEP_1)
	v_add_f32_e32 v27, 1.0, v24
	v_dual_add_f32 v25, -1.0, v24 :: v_dual_add_f32 v26, -1.0, v27
	s_delay_alu instid0(VALU_DEP_1) | instskip(NEXT) | instid1(VALU_DEP_2)
	v_add_f32_e32 v28, 1.0, v25
	v_sub_f32_e32 v26, v24, v26
	s_delay_alu instid0(VALU_DEP_2) | instskip(NEXT) | instid1(VALU_DEP_2)
	v_sub_f32_e32 v24, v24, v28
	v_add_f32_e32 v26, v23, v26
	s_delay_alu instid0(VALU_DEP_2) | instskip(SKIP_2) | instid1(VALU_DEP_4)
	v_add_f32_e32 v23, v23, v24
	v_cmp_eq_f32_e32 vcc_lo, 0x7f800000, v7
	v_cmp_neq_f32_e64 s5, -1.0, v7
	v_add_f32_e32 v28, v27, v26
	s_delay_alu instid0(VALU_DEP_1) | instskip(SKIP_1) | instid1(VALU_DEP_1)
	v_rcp_f32_e32 v24, v28
	v_sub_f32_e32 v27, v28, v27
	v_sub_f32_e32 v26, v26, v27
	v_add_f32_e32 v29, v25, v23
	s_waitcnt_depctr 0xfff
	v_mul_f32_e32 v30, v29, v24
	s_delay_alu instid0(VALU_DEP_1) | instskip(NEXT) | instid1(VALU_DEP_1)
	v_mul_f32_e32 v31, v28, v30
	v_fma_f32 v27, v30, v28, -v31
	s_delay_alu instid0(VALU_DEP_1) | instskip(NEXT) | instid1(VALU_DEP_1)
	v_fmac_f32_e32 v27, v30, v26
	v_dual_add_f32 v32, v31, v27 :: v_dual_sub_f32 v25, v29, v25
	s_delay_alu instid0(VALU_DEP_1) | instskip(NEXT) | instid1(VALU_DEP_2)
	v_sub_f32_e32 v33, v29, v32
	v_sub_f32_e32 v23, v23, v25
	;; [unrolled: 1-line block ×3, first 2 shown]
	s_delay_alu instid0(VALU_DEP_3) | instskip(NEXT) | instid1(VALU_DEP_2)
	v_sub_f32_e32 v29, v29, v33
	v_sub_f32_e32 v25, v25, v27
	s_delay_alu instid0(VALU_DEP_2) | instskip(NEXT) | instid1(VALU_DEP_1)
	v_sub_f32_e32 v29, v29, v32
	v_add_f32_e32 v23, v23, v29
	s_delay_alu instid0(VALU_DEP_1) | instskip(NEXT) | instid1(VALU_DEP_1)
	v_add_f32_e32 v23, v25, v23
	v_add_f32_e32 v25, v33, v23
	s_delay_alu instid0(VALU_DEP_1) | instskip(NEXT) | instid1(VALU_DEP_1)
	v_mul_f32_e32 v27, v24, v25
	v_dual_sub_f32 v32, v33, v25 :: v_dual_mul_f32 v29, v28, v27
	s_delay_alu instid0(VALU_DEP_1) | instskip(NEXT) | instid1(VALU_DEP_2)
	v_add_f32_e32 v23, v23, v32
	v_fma_f32 v28, v27, v28, -v29
	s_delay_alu instid0(VALU_DEP_1) | instskip(NEXT) | instid1(VALU_DEP_1)
	v_fmac_f32_e32 v28, v27, v26
	v_add_f32_e32 v26, v29, v28
	s_delay_alu instid0(VALU_DEP_1) | instskip(SKIP_1) | instid1(VALU_DEP_2)
	v_sub_f32_e32 v31, v25, v26
	v_sub_f32_e32 v29, v26, v29
	;; [unrolled: 1-line block ×3, first 2 shown]
	s_delay_alu instid0(VALU_DEP_1) | instskip(NEXT) | instid1(VALU_DEP_3)
	v_sub_f32_e32 v25, v25, v26
	v_sub_f32_e32 v26, v29, v28
	v_max_f32_e64 v28, |v6|, |v6|
	s_delay_alu instid0(VALU_DEP_3) | instskip(SKIP_1) | instid1(VALU_DEP_1)
	v_add_f32_e32 v23, v23, v25
	v_add_f32_e32 v25, v30, v27
	v_dual_add_f32 v23, v26, v23 :: v_dual_sub_f32 v26, v25, v30
	s_delay_alu instid0(VALU_DEP_1) | instskip(NEXT) | instid1(VALU_DEP_2)
	v_add_f32_e32 v23, v31, v23
	v_sub_f32_e32 v26, v27, v26
	v_mul_f32_e32 v31, 0x3f317218, v22
	s_delay_alu instid0(VALU_DEP_3) | instskip(NEXT) | instid1(VALU_DEP_2)
	v_mul_f32_e32 v23, v24, v23
	v_fma_f32 v32, 0x3f317218, v22, -v31
	s_delay_alu instid0(VALU_DEP_1) | instskip(NEXT) | instid1(VALU_DEP_1)
	v_dual_add_f32 v23, v26, v23 :: v_dual_fmac_f32 v32, 0xb102e308, v22
	v_add_f32_e32 v24, v25, v23
	s_delay_alu instid0(VALU_DEP_1) | instskip(SKIP_1) | instid1(VALU_DEP_2)
	v_mul_f32_e32 v26, v24, v24
	v_ldexp_f32 v30, v24, 1
	v_fmaak_f32 v27, s21, v26, 0x3ecc95a3
	v_mul_f32_e32 v29, v24, v26
	v_sub_f32_e32 v24, v24, v25
	s_delay_alu instid0(VALU_DEP_3) | instskip(SKIP_1) | instid1(VALU_DEP_2)
	v_fmaak_f32 v26, v26, v27, 0x3f2aaada
	v_max_f32_e64 v27, |v5|, |v5|
	v_dual_sub_f32 v23, v23, v24 :: v_dual_mul_f32 v26, v29, v26
	s_delay_alu instid0(VALU_DEP_2) | instskip(SKIP_1) | instid1(VALU_DEP_3)
	v_max_f32_e32 v29, v27, v28
	v_min_f32_e32 v27, v27, v28
	v_ldexp_f32 v23, v23, 1
	s_delay_alu instid0(VALU_DEP_4) | instskip(NEXT) | instid1(VALU_DEP_4)
	v_add_f32_e32 v25, v30, v26
	v_frexp_mant_f32_e32 v28, v29
	v_frexp_exp_i32_f32_e32 v29, v29
	s_delay_alu instid0(VALU_DEP_3) | instskip(NEXT) | instid1(VALU_DEP_3)
	v_sub_f32_e32 v24, v25, v30
	v_rcp_f32_e32 v28, v28
	v_frexp_exp_i32_f32_e32 v30, v27
	s_delay_alu instid0(VALU_DEP_2) | instskip(SKIP_1) | instid1(VALU_DEP_3)
	v_sub_f32_e32 v24, v26, v24
	v_frexp_mant_f32_e32 v26, v27
	v_sub_nc_u32_e32 v27, v30, v29
	s_delay_alu instid0(VALU_DEP_3) | instskip(SKIP_4) | instid1(VALU_DEP_3)
	v_add_f32_e32 v22, v23, v24
	s_waitcnt_depctr 0xfff
	v_mul_f32_e32 v23, v26, v28
	v_add_f32_e32 v24, v31, v32
	v_add_f32_e32 v26, v25, v22
	v_ldexp_f32 v23, v23, v27
	s_delay_alu instid0(VALU_DEP_3) | instskip(NEXT) | instid1(VALU_DEP_2)
	v_sub_f32_e32 v31, v24, v31
	v_dual_add_f32 v27, v24, v26 :: v_dual_mul_f32 v28, v23, v23
	v_sub_f32_e32 v25, v26, v25
	s_delay_alu instid0(VALU_DEP_3) | instskip(NEXT) | instid1(VALU_DEP_3)
	v_sub_f32_e32 v31, v32, v31
	v_sub_f32_e32 v29, v27, v24
	s_delay_alu instid0(VALU_DEP_4) | instskip(NEXT) | instid1(VALU_DEP_4)
	v_fmaak_f32 v30, s26, v28, 0xbc7a590c
	v_sub_f32_e32 v22, v22, v25
	s_delay_alu instid0(VALU_DEP_2) | instskip(SKIP_1) | instid1(VALU_DEP_2)
	v_dual_sub_f32 v33, v27, v29 :: v_dual_fmaak_f32 v30, v28, v30, 0x3d29fb3f
	v_sub_f32_e32 v25, v26, v29
	v_dual_add_f32 v29, v31, v22 :: v_dual_sub_f32 v24, v24, v33
	s_delay_alu instid0(VALU_DEP_3) | instskip(NEXT) | instid1(VALU_DEP_1)
	v_fmaak_f32 v26, v28, v30, 0xbd97d4d7
	v_dual_add_f32 v24, v25, v24 :: v_dual_fmaak_f32 v25, v28, v26, 0x3dd931b2
	s_delay_alu instid0(VALU_DEP_3) | instskip(NEXT) | instid1(VALU_DEP_2)
	v_sub_f32_e32 v26, v29, v31
	v_dual_add_f32 v24, v29, v24 :: v_dual_fmaak_f32 v25, v28, v25, 0xbe1160e6
	s_delay_alu instid0(VALU_DEP_2) | instskip(SKIP_1) | instid1(VALU_DEP_3)
	v_sub_f32_e32 v29, v29, v26
	v_sub_f32_e32 v22, v22, v26
	v_dual_add_f32 v30, v27, v24 :: v_dual_fmaak_f32 v25, v28, v25, 0x3e4cb8bf
	s_delay_alu instid0(VALU_DEP_1) | instskip(NEXT) | instid1(VALU_DEP_1)
	v_dual_sub_f32 v26, v31, v29 :: v_dual_sub_f32 v27, v30, v27
	v_dual_fmaak_f32 v25, v28, v25, 0xbeaaaa62 :: v_dual_add_f32 v22, v22, v26
	s_delay_alu instid0(VALU_DEP_2) | instskip(NEXT) | instid1(VALU_DEP_1)
	v_sub_f32_e32 v24, v24, v27
	v_dual_mul_f32 v25, v28, v25 :: v_dual_add_f32 v22, v22, v24
	s_delay_alu instid0(VALU_DEP_1) | instskip(NEXT) | instid1(VALU_DEP_1)
	v_dual_fmac_f32 v23, v23, v25 :: v_dual_add_f32 v22, v30, v22
	v_sub_f32_e32 v24, 0x3fc90fdb, v23
	s_delay_alu instid0(VALU_DEP_2) | instskip(SKIP_1) | instid1(VALU_DEP_3)
	v_cndmask_b32_e32 v22, v22, v7, vcc_lo
	v_cmp_gt_i32_e32 vcc_lo, 0, v5
	v_cndmask_b32_e64 v23, v23, v24, s4
	v_cndmask_b32_e64 v24, 0, 0x40490fdb, vcc_lo
	v_cmp_ngt_f32_e32 vcc_lo, -1.0, v7
	s_delay_alu instid0(VALU_DEP_3) | instskip(SKIP_2) | instid1(VALU_DEP_2)
	v_sub_f32_e32 v25, 0x40490fdb, v23
	v_cndmask_b32_e32 v22, 0x7fc00000, v22, vcc_lo
	v_cmp_gt_f32_e32 vcc_lo, 0, v5
	v_cndmask_b32_e64 v5, 0xff800000, v22, s5
	s_delay_alu instid0(VALU_DEP_4)
	v_cndmask_b32_e32 v22, v23, v25, vcc_lo
	v_cndmask_b32_e32 v23, 0x3f490fdb, v17, vcc_lo
	v_cmp_gt_f32_e64 vcc_lo, 0x33800000, |v7|
	v_cmp_class_f32_e64 s5, v6, 0x204
	v_cndmask_b32_e32 v5, v5, v7, vcc_lo
	v_cmp_eq_f32_e32 vcc_lo, 0, v6
	s_delay_alu instid0(VALU_DEP_2) | instskip(NEXT) | instid1(VALU_DEP_4)
	v_dual_mul_f32 v7, 0.5, v5 :: v_dual_cndmask_b32 v22, v22, v24
	s_and_b32 vcc_lo, s5, s6
	s_delay_alu instid0(VALU_DEP_1)
	v_cndmask_b32_e32 v22, v22, v23, vcc_lo
.LBB181_273:                            ;   in Loop: Header=BB181_145 Depth=1
	s_or_b32 exec_lo, exec_lo, s33
.LBB181_274:                            ;   in Loop: Header=BB181_145 Depth=1
	s_delay_alu instid0(SALU_CYCLE_1)
	s_or_b32 exec_lo, exec_lo, s31
.LBB181_275:                            ;   in Loop: Header=BB181_145 Depth=1
	s_and_not1_saveexec_b32 s6, s30
	s_cbranch_execz .LBB181_277
; %bb.276:                              ;   in Loop: Header=BB181_145 Depth=1
	v_max_f32_e64 v7, |v6|, |v6|
	v_max_f32_e64 v24, |v5|, |v5|
	v_cmp_gt_i32_e64 s5, 0, v5
	v_cmp_class_f32_e64 s7, v5, 0x204
	v_cmp_class_f32_e64 s8, v6, 0x204
	s_delay_alu instid0(VALU_DEP_4) | instskip(SKIP_1) | instid1(VALU_DEP_2)
	v_max_f32_e32 v25, v24, v7
	v_min_f32_e32 v7, v24, v7
	v_cvt_f64_f32_e32 v[22:23], v25
	v_frexp_exp_i32_f32_e32 v24, v25
	s_delay_alu instid0(VALU_DEP_3) | instskip(SKIP_1) | instid1(VALU_DEP_2)
	v_frexp_exp_i32_f32_e32 v26, v7
	v_frexp_mant_f32_e32 v7, v7
	v_sub_nc_u32_e32 v24, v26, v24
	v_frexp_exp_i32_f64_e32 v22, v[22:23]
	v_frexp_mant_f32_e32 v23, v25
	s_delay_alu instid0(VALU_DEP_1) | instskip(SKIP_2) | instid1(VALU_DEP_1)
	v_rcp_f32_e32 v23, v23
	s_waitcnt_depctr 0xfff
	v_mul_f32_e32 v7, v7, v23
	v_ldexp_f32 v7, v7, v24
	v_sub_nc_u32_e32 v27, 0, v22
	s_delay_alu instid0(VALU_DEP_1) | instskip(SKIP_1) | instid1(VALU_DEP_2)
	v_ldexp_f32 v23, |v6|, v27
	v_ldexp_f32 v24, |v5|, v27
	v_mul_f32_e32 v23, v23, v23
	s_delay_alu instid0(VALU_DEP_1) | instskip(NEXT) | instid1(VALU_DEP_1)
	v_dual_mul_f32 v26, v7, v7 :: v_dual_fmac_f32 v23, v24, v24
	v_fmaak_f32 v24, s26, v26, 0xbc7a590c
	v_cmp_neq_f32_e32 vcc_lo, 0x7f800000, v25
	s_delay_alu instid0(VALU_DEP_3) | instskip(NEXT) | instid1(VALU_DEP_2)
	v_sqrt_f32_e32 v23, v23
	v_fmaak_f32 v24, v26, v24, 0x3d29fb3f
	s_delay_alu instid0(VALU_DEP_1) | instskip(SKIP_3) | instid1(VALU_DEP_2)
	v_fmaak_f32 v24, v26, v24, 0xbd97d4d7
	s_waitcnt_depctr 0xfff
	v_ldexp_f32 v22, v23, v22
	v_fmaak_f32 v23, v26, v24, 0x3dd931b2
	v_cndmask_b32_e32 v22, 0x7f800000, v22, vcc_lo
	s_delay_alu instid0(VALU_DEP_2) | instskip(NEXT) | instid1(VALU_DEP_2)
	v_fmaak_f32 v23, v26, v23, 0xbe1160e6
	v_cmp_gt_f32_e32 vcc_lo, 0x800000, v22
	s_delay_alu instid0(VALU_DEP_2) | instskip(SKIP_1) | instid1(VALU_DEP_2)
	v_fmaak_f32 v23, v26, v23, 0x3e4cb8bf
	v_cndmask_b32_e64 v24, 1.0, 0x4f800000, vcc_lo
	v_fmaak_f32 v23, v26, v23, 0xbeaaaa62
	s_delay_alu instid0(VALU_DEP_1) | instskip(NEXT) | instid1(VALU_DEP_1)
	v_mul_f32_e32 v23, v26, v23
	v_dual_mul_f32 v22, v22, v24 :: v_dual_fmac_f32 v7, v7, v23
	s_delay_alu instid0(VALU_DEP_1) | instskip(SKIP_2) | instid1(VALU_DEP_1)
	v_log_f32_e32 v22, v22
	s_waitcnt_depctr 0xfff
	v_mul_f32_e32 v23, 0x3f317217, v22
	v_fma_f32 v25, 0x3f317217, v22, -v23
	s_delay_alu instid0(VALU_DEP_1) | instskip(SKIP_1) | instid1(VALU_DEP_1)
	v_fmac_f32_e32 v25, 0x3377d1cf, v22
	v_sub_f32_e32 v24, 0x3fc90fdb, v7
	v_cndmask_b32_e64 v7, v7, v24, s4
	v_cndmask_b32_e64 v24, 0, 0x40490fdb, s5
	v_cmp_gt_f32_e64 s5, 0, v5
	v_add_f32_e32 v5, v23, v25
	v_cndmask_b32_e64 v25, 0, 0x41b17218, vcc_lo
	v_cmp_gt_f32_e64 vcc_lo, 0x7f800000, |v22|
	v_sub_f32_e32 v26, 0x40490fdb, v7
	v_cndmask_b32_e64 v23, 0x3f490fdb, v17, s5
	v_cndmask_b32_e32 v5, v22, v5, vcc_lo
	s_delay_alu instid0(VALU_DEP_3) | instskip(SKIP_1) | instid1(VALU_DEP_2)
	v_cndmask_b32_e64 v7, v7, v26, s5
	v_cmp_eq_f32_e32 vcc_lo, 0, v6
	v_cndmask_b32_e32 v22, v7, v24, vcc_lo
	s_and_b32 vcc_lo, s8, s7
	s_delay_alu instid0(VALU_DEP_1)
	v_dual_sub_f32 v7, v5, v25 :: v_dual_cndmask_b32 v22, v22, v23
.LBB181_277:                            ;   in Loop: Header=BB181_145 Depth=1
	s_or_b32 exec_lo, exec_lo, s6
                                        ; implicit-def: $vgpr23
.LBB181_278:                            ;   in Loop: Header=BB181_145 Depth=1
	s_and_not1_saveexec_b32 s6, s29
	s_cbranch_execz .LBB181_284
; %bb.279:                              ;   in Loop: Header=BB181_145 Depth=1
                                        ; implicit-def: $vgpr7
                                        ; implicit-def: $vgpr22
	s_mov_b32 s5, exec_lo
	v_cmpx_ngt_f32_e32 0x1fec1e4a, v23
	s_xor_b32 s7, exec_lo, s5
	s_cbranch_execz .LBB181_281
; %bb.280:                              ;   in Loop: Header=BB181_145 Depth=1
	v_mul_f32_e32 v7, v23, v23
	v_cmp_class_f32_e64 s8, v5, 0x204
	v_cmp_gt_f32_e64 s5, 0, v5
	v_cmp_class_f32_e64 s10, v6, 0x204
	s_delay_alu instid0(VALU_DEP_4) | instskip(NEXT) | instid1(VALU_DEP_1)
	v_add_f32_e32 v24, 1.0, v7
	v_cvt_f64_f32_e32 v[22:23], v24
	s_delay_alu instid0(VALU_DEP_1) | instskip(SKIP_1) | instid1(VALU_DEP_1)
	v_frexp_exp_i32_f64_e32 v22, v[22:23]
	v_frexp_mant_f32_e32 v23, v24
	v_cmp_gt_f32_e32 vcc_lo, 0x3f2aaaab, v23
	v_add_f32_e32 v23, -1.0, v24
	s_delay_alu instid0(VALU_DEP_1) | instskip(NEXT) | instid1(VALU_DEP_1)
	v_sub_f32_e32 v26, v23, v24
	v_dual_add_f32 v26, 1.0, v26 :: v_dual_sub_f32 v23, v7, v23
	v_cmp_gt_f32_e64 s9, 0x33800000, |v7|
	s_delay_alu instid0(VALU_DEP_2) | instskip(SKIP_2) | instid1(VALU_DEP_2)
	v_add_f32_e32 v23, v23, v26
	v_subrev_co_ci_u32_e32 v22, vcc_lo, 0, v22, vcc_lo
	v_cmp_gt_i32_e32 vcc_lo, 0, v5
	v_sub_nc_u32_e32 v25, 0, v22
	v_cvt_f32_i32_e32 v22, v22
	s_delay_alu instid0(VALU_DEP_2) | instskip(SKIP_1) | instid1(VALU_DEP_2)
	v_ldexp_f32 v24, v24, v25
	v_ldexp_f32 v23, v23, v25
	v_add_f32_e32 v25, -1.0, v24
	s_delay_alu instid0(VALU_DEP_1) | instskip(NEXT) | instid1(VALU_DEP_1)
	v_dual_add_f32 v27, 1.0, v24 :: v_dual_add_f32 v28, 1.0, v25
	v_add_f32_e32 v26, -1.0, v27
	s_delay_alu instid0(VALU_DEP_1) | instskip(NEXT) | instid1(VALU_DEP_3)
	v_sub_f32_e32 v26, v24, v26
	v_sub_f32_e32 v24, v24, v28
	s_delay_alu instid0(VALU_DEP_2) | instskip(NEXT) | instid1(VALU_DEP_2)
	v_add_f32_e32 v26, v23, v26
	v_add_f32_e32 v23, v23, v24
	s_delay_alu instid0(VALU_DEP_1) | instskip(NEXT) | instid1(VALU_DEP_1)
	v_dual_add_f32 v29, v25, v23 :: v_dual_add_f32 v28, v27, v26
	v_rcp_f32_e32 v24, v28
	v_sub_f32_e32 v27, v27, v28
	s_delay_alu instid0(VALU_DEP_1) | instskip(SKIP_2) | instid1(VALU_DEP_1)
	v_dual_add_f32 v26, v26, v27 :: v_dual_sub_f32 v25, v25, v29
	s_waitcnt_depctr 0xfff
	v_dual_mul_f32 v30, v29, v24 :: v_dual_add_f32 v23, v23, v25
	v_mul_f32_e32 v31, v28, v30
	s_delay_alu instid0(VALU_DEP_1) | instskip(NEXT) | instid1(VALU_DEP_1)
	v_fma_f32 v27, v30, v28, -v31
	v_fmac_f32_e32 v27, v30, v26
	s_delay_alu instid0(VALU_DEP_1) | instskip(NEXT) | instid1(VALU_DEP_1)
	v_add_f32_e32 v32, v31, v27
	v_sub_f32_e32 v33, v29, v32
	s_delay_alu instid0(VALU_DEP_1) | instskip(SKIP_1) | instid1(VALU_DEP_2)
	v_sub_f32_e32 v29, v29, v33
	v_sub_f32_e32 v25, v32, v31
	;; [unrolled: 1-line block ×3, first 2 shown]
	s_delay_alu instid0(VALU_DEP_2) | instskip(NEXT) | instid1(VALU_DEP_2)
	v_sub_f32_e32 v25, v25, v27
	v_add_f32_e32 v23, v23, v29
	s_delay_alu instid0(VALU_DEP_1) | instskip(NEXT) | instid1(VALU_DEP_1)
	v_add_f32_e32 v23, v25, v23
	v_add_f32_e32 v25, v33, v23
	s_delay_alu instid0(VALU_DEP_1) | instskip(NEXT) | instid1(VALU_DEP_1)
	v_mul_f32_e32 v27, v24, v25
	v_dual_sub_f32 v32, v33, v25 :: v_dual_mul_f32 v29, v28, v27
	s_delay_alu instid0(VALU_DEP_1) | instskip(NEXT) | instid1(VALU_DEP_2)
	v_add_f32_e32 v23, v23, v32
	v_fma_f32 v28, v27, v28, -v29
	s_delay_alu instid0(VALU_DEP_1) | instskip(NEXT) | instid1(VALU_DEP_1)
	v_fmac_f32_e32 v28, v27, v26
	v_add_f32_e32 v26, v29, v28
	s_delay_alu instid0(VALU_DEP_1) | instskip(SKIP_1) | instid1(VALU_DEP_2)
	v_sub_f32_e32 v31, v25, v26
	v_sub_f32_e32 v29, v26, v29
	;; [unrolled: 1-line block ×3, first 2 shown]
	s_delay_alu instid0(VALU_DEP_1) | instskip(NEXT) | instid1(VALU_DEP_1)
	v_sub_f32_e32 v25, v25, v26
	v_dual_sub_f32 v26, v29, v28 :: v_dual_add_f32 v23, v23, v25
	v_add_f32_e32 v25, v30, v27
	s_delay_alu instid0(VALU_DEP_1) | instskip(NEXT) | instid1(VALU_DEP_1)
	v_dual_add_f32 v23, v26, v23 :: v_dual_sub_f32 v26, v25, v30
	v_add_f32_e32 v23, v31, v23
	s_delay_alu instid0(VALU_DEP_2) | instskip(SKIP_1) | instid1(VALU_DEP_3)
	v_sub_f32_e32 v26, v27, v26
	v_max_f32_e64 v27, |v5|, |v5|
	v_mul_f32_e32 v23, v24, v23
	v_max_f32_e64 v24, |v6|, |v6|
	s_delay_alu instid0(VALU_DEP_2) | instskip(NEXT) | instid1(VALU_DEP_2)
	v_add_f32_e32 v23, v26, v23
	v_max_f32_e32 v29, v27, v24
	v_min_f32_e32 v24, v27, v24
	s_delay_alu instid0(VALU_DEP_3) | instskip(NEXT) | instid1(VALU_DEP_3)
	v_add_f32_e32 v26, v25, v23
	v_frexp_mant_f32_e32 v31, v29
	v_frexp_exp_i32_f32_e32 v27, v29
	s_delay_alu instid0(VALU_DEP_3) | instskip(SKIP_1) | instid1(VALU_DEP_2)
	v_mul_f32_e32 v28, v26, v26
	v_ldexp_f32 v32, v26, 1
	v_dual_sub_f32 v25, v26, v25 :: v_dual_fmaak_f32 v30, s21, v28, 0x3ecc95a3
	v_mul_f32_e32 v29, v26, v28
	s_delay_alu instid0(VALU_DEP_2) | instskip(SKIP_3) | instid1(VALU_DEP_3)
	v_dual_sub_f32 v23, v23, v25 :: v_dual_fmaak_f32 v28, v28, v30, 0x3f2aaada
	v_rcp_f32_e32 v30, v31
	v_frexp_exp_i32_f32_e32 v31, v24
	v_frexp_mant_f32_e32 v24, v24
	v_ldexp_f32 v23, v23, 1
	v_dual_mul_f32 v28, v29, v28 :: v_dual_mul_f32 v29, 0x3f317218, v22
	s_delay_alu instid0(VALU_DEP_4) | instskip(NEXT) | instid1(VALU_DEP_2)
	v_sub_nc_u32_e32 v27, v31, v27
	v_add_f32_e32 v26, v32, v28
	s_delay_alu instid0(TRANS32_DEP_1) | instid1(VALU_DEP_1)
	v_dual_mul_f32 v24, v24, v30 :: v_dual_sub_f32 v25, v26, v32
	s_delay_alu instid0(VALU_DEP_1) | instskip(SKIP_1) | instid1(VALU_DEP_3)
	v_ldexp_f32 v24, v24, v27
	v_fma_f32 v27, 0x3f317218, v22, -v29
	v_sub_f32_e32 v25, v28, v25
	s_delay_alu instid0(VALU_DEP_2) | instskip(NEXT) | instid1(VALU_DEP_1)
	v_dual_mul_f32 v28, v24, v24 :: v_dual_fmac_f32 v27, 0xb102e308, v22
	v_dual_add_f32 v22, v23, v25 :: v_dual_fmaak_f32 v23, s26, v28, 0xbc7a590c
	s_delay_alu instid0(VALU_DEP_1) | instskip(NEXT) | instid1(VALU_DEP_2)
	v_dual_add_f32 v25, v29, v27 :: v_dual_add_f32 v30, v26, v22
	v_fmaak_f32 v23, v28, v23, 0x3d29fb3f
	s_delay_alu instid0(VALU_DEP_2) | instskip(NEXT) | instid1(VALU_DEP_3)
	v_sub_f32_e32 v29, v25, v29
	v_add_f32_e32 v31, v25, v30
	s_delay_alu instid0(VALU_DEP_3) | instskip(NEXT) | instid1(VALU_DEP_3)
	v_dual_fmaak_f32 v23, v28, v23, 0xbd97d4d7 :: v_dual_sub_f32 v26, v30, v26
	v_sub_f32_e32 v27, v27, v29
	s_delay_alu instid0(VALU_DEP_2) | instskip(NEXT) | instid1(VALU_DEP_1)
	v_dual_sub_f32 v32, v31, v25 :: v_dual_fmaak_f32 v23, v28, v23, 0x3dd931b2
	v_dual_sub_f32 v22, v22, v26 :: v_dual_sub_f32 v33, v31, v32
	s_delay_alu instid0(VALU_DEP_2) | instskip(NEXT) | instid1(VALU_DEP_2)
	v_dual_fmaak_f32 v23, v28, v23, 0xbe1160e6 :: v_dual_sub_f32 v26, v30, v32
	v_add_f32_e32 v29, v27, v22
	s_delay_alu instid0(VALU_DEP_3) | instskip(NEXT) | instid1(VALU_DEP_3)
	v_sub_f32_e32 v25, v25, v33
	v_fmaak_f32 v23, v28, v23, 0x3e4cb8bf
	s_delay_alu instid0(VALU_DEP_2) | instskip(NEXT) | instid1(VALU_DEP_2)
	v_add_f32_e32 v25, v26, v25
	v_fmaak_f32 v23, v28, v23, 0xbeaaaa62
	v_sub_f32_e32 v26, v29, v27
	s_delay_alu instid0(VALU_DEP_3) | instskip(NEXT) | instid1(VALU_DEP_2)
	v_add_f32_e32 v25, v29, v25
	v_dual_mul_f32 v23, v28, v23 :: v_dual_sub_f32 v28, v29, v26
	s_delay_alu instid0(VALU_DEP_2) | instskip(NEXT) | instid1(VALU_DEP_2)
	v_dual_sub_f32 v22, v22, v26 :: v_dual_add_f32 v29, v31, v25
	v_dual_fmac_f32 v24, v24, v23 :: v_dual_sub_f32 v23, v27, v28
	s_delay_alu instid0(VALU_DEP_1) | instskip(NEXT) | instid1(VALU_DEP_1)
	v_dual_sub_f32 v26, v29, v31 :: v_dual_sub_f32 v27, 0x3fc90fdb, v24
	v_dual_add_f32 v22, v22, v23 :: v_dual_sub_f32 v23, v25, v26
	s_delay_alu instid0(VALU_DEP_2) | instskip(SKIP_2) | instid1(VALU_DEP_3)
	v_cndmask_b32_e64 v24, v24, v27, s4
	v_cndmask_b32_e64 v25, 0, 0x40490fdb, vcc_lo
	v_cmp_eq_f32_e32 vcc_lo, 0x7f800000, v7
	v_dual_add_f32 v22, v22, v23 :: v_dual_sub_f32 v23, 0x40490fdb, v24
	s_or_b32 vcc_lo, vcc_lo, s9
	s_delay_alu instid0(VALU_DEP_1) | instskip(NEXT) | instid1(VALU_DEP_2)
	v_add_f32_e32 v5, v29, v22
	v_cndmask_b32_e64 v22, v24, v23, s5
	v_cndmask_b32_e64 v23, 0x3f490fdb, v17, s5
	s_delay_alu instid0(VALU_DEP_3) | instskip(SKIP_1) | instid1(VALU_DEP_2)
	v_cndmask_b32_e32 v5, v5, v7, vcc_lo
	v_cmp_eq_f32_e32 vcc_lo, 0, v6
	v_mul_f32_e32 v7, 0.5, v5
	v_cndmask_b32_e32 v22, v22, v25, vcc_lo
	s_and_b32 vcc_lo, s10, s8
	s_delay_alu instid0(VALU_DEP_1)
	v_cndmask_b32_e32 v22, v22, v23, vcc_lo
                                        ; implicit-def: $vgpr23
.LBB181_281:                            ;   in Loop: Header=BB181_145 Depth=1
	s_and_not1_saveexec_b32 s7, s7
	s_cbranch_execz .LBB181_283
; %bb.282:                              ;   in Loop: Header=BB181_145 Depth=1
	v_max_f32_e64 v7, |v6|, |v6|
	v_max_f32_e64 v22, |v5|, |v5|
	v_cmp_gt_i32_e32 vcc_lo, 0, v5
	v_cmp_eq_f32_e64 s5, 0, v6
	v_cmp_class_f32_e64 s8, v5, 0x204
	v_cmp_class_f32_e64 s9, v6, 0x204
	v_max_f32_e32 v24, v22, v7
	v_min_f32_e32 v7, v22, v7
	s_delay_alu instid0(VALU_DEP_2) | instskip(NEXT) | instid1(VALU_DEP_1)
	v_frexp_mant_f32_e32 v25, v24
	v_rcp_f32_e32 v22, v25
	s_delay_alu instid0(VALU_DEP_2) | instskip(SKIP_4) | instid1(VALU_DEP_1)
	v_frexp_exp_i32_f32_e32 v25, v7
	v_frexp_mant_f32_e32 v7, v7
	s_waitcnt_depctr 0xfff
	v_mul_f32_e32 v7, v7, v22
	v_frexp_exp_i32_f32_e32 v24, v24
	v_sub_nc_u32_e32 v24, v25, v24
	s_delay_alu instid0(VALU_DEP_1) | instskip(NEXT) | instid1(VALU_DEP_1)
	v_ldexp_f32 v7, v7, v24
	v_mul_f32_e32 v22, v7, v7
	s_delay_alu instid0(VALU_DEP_1) | instskip(NEXT) | instid1(VALU_DEP_1)
	v_fmaak_f32 v24, s26, v22, 0xbc7a590c
	v_fmaak_f32 v24, v22, v24, 0x3d29fb3f
	s_delay_alu instid0(VALU_DEP_1) | instskip(NEXT) | instid1(VALU_DEP_1)
	v_fmaak_f32 v24, v22, v24, 0xbd97d4d7
	v_fmaak_f32 v24, v22, v24, 0x3dd931b2
	;; [unrolled: 3-line block ×3, first 2 shown]
	s_delay_alu instid0(VALU_DEP_1) | instskip(NEXT) | instid1(VALU_DEP_1)
	v_fmaak_f32 v24, v22, v24, 0xbeaaaa62
	v_mul_f32_e32 v22, v22, v24
	v_cndmask_b32_e64 v24, 0, 0x40490fdb, vcc_lo
	v_cmp_gt_f32_e32 vcc_lo, 0, v5
	s_delay_alu instid0(VALU_DEP_3) | instskip(NEXT) | instid1(VALU_DEP_1)
	v_fmac_f32_e32 v7, v7, v22
	v_sub_f32_e32 v22, 0x3fc90fdb, v7
	s_delay_alu instid0(VALU_DEP_1) | instskip(NEXT) | instid1(VALU_DEP_1)
	v_cndmask_b32_e64 v7, v7, v22, s4
	v_sub_f32_e32 v22, 0x40490fdb, v7
	s_delay_alu instid0(VALU_DEP_1) | instskip(NEXT) | instid1(VALU_DEP_1)
	v_dual_cndmask_b32 v7, v7, v22 :: v_dual_mul_f32 v22, 0.5, v23
	v_cndmask_b32_e64 v5, v7, v24, s5
	s_delay_alu instid0(VALU_DEP_2) | instskip(SKIP_1) | instid1(VALU_DEP_1)
	v_dual_mul_f32 v7, v23, v22 :: v_dual_cndmask_b32 v24, 0x3f490fdb, v17
	s_and_b32 vcc_lo, s9, s8
	v_cndmask_b32_e32 v22, v5, v24, vcc_lo
.LBB181_283:                            ;   in Loop: Header=BB181_145 Depth=1
	s_or_b32 exec_lo, exec_lo, s7
.LBB181_284:                            ;   in Loop: Header=BB181_145 Depth=1
	s_delay_alu instid0(SALU_CYCLE_1)
	s_or_b32 exec_lo, exec_lo, s6
.LBB181_285:                            ;   in Loop: Header=BB181_145 Depth=1
	s_and_not1_saveexec_b32 s6, s28
	s_cbranch_execz .LBB181_287
; %bb.286:                              ;   in Loop: Header=BB181_145 Depth=1
	v_div_scale_f32 v7, null, 0x402df854, 0x402df854, v5
	v_div_scale_f32 v22, null, 0x402df854, 0x402df854, v6
	v_div_scale_f32 v27, vcc_lo, v5, 0x402df854, v5
	s_delay_alu instid0(VALU_DEP_3) | instskip(NEXT) | instid1(VALU_DEP_2)
	v_rcp_f32_e32 v23, v7
	v_rcp_f32_e32 v24, v22
	v_cmp_class_f32_e64 s7, v6, 0x204
	s_waitcnt_depctr 0xfff
	v_fma_f32 v25, -v7, v23, 1.0
	v_fma_f32 v26, -v22, v24, 1.0
	s_delay_alu instid0(VALU_DEP_1) | instskip(SKIP_1) | instid1(VALU_DEP_2)
	v_dual_fmac_f32 v23, v25, v23 :: v_dual_fmac_f32 v24, v26, v24
	v_div_scale_f32 v25, s5, v6, 0x402df854, v6
	v_mul_f32_e32 v26, v27, v23
	s_delay_alu instid0(VALU_DEP_1) | instskip(NEXT) | instid1(VALU_DEP_1)
	v_fma_f32 v29, -v7, v26, v27
	v_fmac_f32_e32 v26, v29, v23
	s_delay_alu instid0(VALU_DEP_1) | instskip(NEXT) | instid1(VALU_DEP_1)
	v_fma_f32 v7, -v7, v26, v27
	v_div_fmas_f32 v7, v7, v23, v26
	v_max_f32_e64 v26, |v5|, |v5|
	v_mul_f32_e32 v28, v25, v24
	s_mov_b32 vcc_lo, s5
	v_cmp_class_f32_e64 s5, v5, 0x204
	v_div_fixup_f32 v7, v7, 0x402df854, v5
	s_delay_alu instid0(VALU_DEP_3) | instskip(NEXT) | instid1(VALU_DEP_1)
	v_fma_f32 v30, -v22, v28, v25
	v_fmac_f32_e32 v28, v30, v24
	s_delay_alu instid0(VALU_DEP_1) | instskip(NEXT) | instid1(VALU_DEP_1)
	v_fma_f32 v22, -v22, v28, v25
	v_div_fmas_f32 v22, v22, v24, v28
	s_delay_alu instid0(VALU_DEP_1) | instskip(NEXT) | instid1(VALU_DEP_1)
	v_div_fixup_f32 v24, v22, 0x402df854, v6
	v_max_f32_e64 v25, |v7|, |v24|
	s_delay_alu instid0(VALU_DEP_1) | instskip(SKIP_1) | instid1(VALU_DEP_2)
	v_cvt_f64_f32_e32 v[22:23], v25
	v_cmp_neq_f32_e32 vcc_lo, 0x7f800000, v25
	v_frexp_exp_i32_f64_e32 v22, v[22:23]
	v_max_f32_e64 v23, |v6|, |v6|
	s_delay_alu instid0(VALU_DEP_1) | instskip(SKIP_1) | instid1(VALU_DEP_2)
	v_max_f32_e32 v27, v26, v23
	v_min_f32_e32 v23, v26, v23
	v_frexp_mant_f32_e32 v28, v27
	v_frexp_exp_i32_f32_e32 v27, v27
	s_delay_alu instid0(VALU_DEP_2) | instskip(SKIP_1) | instid1(VALU_DEP_1)
	v_rcp_f32_e32 v26, v28
	v_sub_nc_u32_e32 v28, 0, v22
	v_ldexp_f32 v24, |v24|, v28
	v_ldexp_f32 v7, |v7|, v28
	s_delay_alu instid0(VALU_DEP_2) | instskip(SKIP_2) | instid1(VALU_DEP_3)
	v_mul_f32_e32 v24, v24, v24
	v_frexp_exp_i32_f32_e32 v29, v23
	v_frexp_mant_f32_e32 v23, v23
	v_fmac_f32_e32 v24, v7, v7
	s_delay_alu instid0(VALU_DEP_3)
	v_sub_nc_u32_e32 v27, v29, v27
	s_delay_alu instid0(TRANS32_DEP_1) | instid1(VALU_DEP_3)
	v_mul_f32_e32 v23, v23, v26
	s_delay_alu instid0(VALU_DEP_3) | instskip(NEXT) | instid1(VALU_DEP_1)
	v_sqrt_f32_e32 v24, v24
	v_ldexp_f32 v23, v23, v27
	s_waitcnt_depctr 0xfff
	v_ldexp_f32 v22, v24, v22
	s_delay_alu instid0(VALU_DEP_1) | instskip(NEXT) | instid1(VALU_DEP_1)
	v_dual_mul_f32 v7, v23, v23 :: v_dual_cndmask_b32 v22, 0x7f800000, v22
	v_fmaak_f32 v26, s26, v7, 0xbc7a590c
	s_delay_alu instid0(VALU_DEP_2) | instskip(NEXT) | instid1(VALU_DEP_2)
	v_cmp_gt_f32_e32 vcc_lo, 0x800000, v22
	v_fmaak_f32 v26, v7, v26, 0x3d29fb3f
	v_cndmask_b32_e64 v25, 1.0, 0x4f800000, vcc_lo
	s_delay_alu instid0(VALU_DEP_1) | instskip(NEXT) | instid1(VALU_DEP_1)
	v_mul_f32_e32 v22, v22, v25
	v_log_f32_e32 v22, v22
	s_delay_alu instid0(VALU_DEP_3) | instskip(SKIP_1) | instid1(VALU_DEP_2)
	v_fmaak_f32 v24, v7, v26, 0xbd97d4d7
	v_cndmask_b32_e64 v26, 0, 0x41b17218, vcc_lo
	v_fmaak_f32 v24, v7, v24, 0x3dd931b2
	s_waitcnt_depctr 0xfff
	v_cmp_gt_f32_e64 vcc_lo, 0x7f800000, |v22|
	v_fmaak_f32 v24, v7, v24, 0xbe1160e6
	s_delay_alu instid0(VALU_DEP_1) | instskip(NEXT) | instid1(VALU_DEP_1)
	v_fmaak_f32 v24, v7, v24, 0x3e4cb8bf
	v_fmaak_f32 v24, v7, v24, 0xbeaaaa62
	s_delay_alu instid0(VALU_DEP_1) | instskip(NEXT) | instid1(VALU_DEP_1)
	v_dual_mul_f32 v7, v7, v24 :: v_dual_mul_f32 v24, 0x3f317217, v22
	v_fmac_f32_e32 v23, v23, v7
	s_delay_alu instid0(VALU_DEP_2) | instskip(NEXT) | instid1(VALU_DEP_2)
	v_fma_f32 v7, 0x3f317217, v22, -v24
	v_sub_f32_e32 v25, 0x3fc90fdb, v23
	s_delay_alu instid0(VALU_DEP_2) | instskip(NEXT) | instid1(VALU_DEP_2)
	v_fmac_f32_e32 v7, 0x3377d1cf, v22
	v_cndmask_b32_e64 v23, v23, v25, s4
	v_cmp_gt_i32_e64 s4, 0, v5
	s_delay_alu instid0(VALU_DEP_3) | instskip(NEXT) | instid1(VALU_DEP_2)
	v_add_f32_e32 v7, v24, v7
	v_cndmask_b32_e64 v25, 0, 0x40490fdb, s4
	v_cmp_gt_f32_e64 s4, 0, v5
	s_delay_alu instid0(VALU_DEP_3) | instskip(SKIP_2) | instid1(VALU_DEP_4)
	v_cndmask_b32_e32 v7, v22, v7, vcc_lo
	v_sub_f32_e32 v24, 0x40490fdb, v23
	v_cmp_eq_f32_e32 vcc_lo, 0, v6
	v_cndmask_b32_e64 v22, 0x3f490fdb, v17, s4
	s_delay_alu instid0(VALU_DEP_4) | instskip(NEXT) | instid1(VALU_DEP_4)
	v_sub_f32_e32 v7, v7, v26
	v_cndmask_b32_e64 v5, v23, v24, s4
	s_delay_alu instid0(VALU_DEP_2) | instskip(NEXT) | instid1(VALU_DEP_2)
	v_add_f32_e32 v7, 1.0, v7
	v_cndmask_b32_e32 v5, v5, v25, vcc_lo
	s_and_b32 vcc_lo, s7, s5
	s_delay_alu instid0(VALU_DEP_1)
	v_cndmask_b32_e32 v22, v5, v22, vcc_lo
.LBB181_287:                            ;   in Loop: Header=BB181_145 Depth=1
	s_or_b32 exec_lo, exec_lo, s6
	s_and_not1_saveexec_b32 s4, s27
	s_cbranch_execz .LBB181_257
.LBB181_288:                            ;   in Loop: Header=BB181_145 Depth=1
	v_cmp_ngt_f32_e64 s5, 0x20000000, |v5|
	v_cmp_ngt_f32_e64 s6, 0x20000000, |v6|
                                        ; implicit-def: $vgpr7
	s_delay_alu instid0(VALU_DEP_1) | instskip(NEXT) | instid1(SALU_CYCLE_1)
	s_or_b32 s5, s6, s5
	s_and_saveexec_b32 s6, s5
	s_delay_alu instid0(SALU_CYCLE_1)
	s_xor_b32 s5, exec_lo, s6
; %bb.289:                              ;   in Loop: Header=BB181_145 Depth=1
	v_mul_f32_e32 v7, v5, v5
	s_delay_alu instid0(VALU_DEP_1)
	v_fmac_f32_e32 v7, v6, v6
; %bb.290:                              ;   in Loop: Header=BB181_145 Depth=1
	s_and_not1_saveexec_b32 s5, s5
; %bb.291:                              ;   in Loop: Header=BB181_145 Depth=1
	v_mul_f32_e32 v5, 4.0, v5
	v_mul_f32_e32 v7, 4.0, v6
	s_delay_alu instid0(VALU_DEP_2) | instskip(NEXT) | instid1(VALU_DEP_1)
	v_mul_f32_e32 v5, v5, v5
	v_fmac_f32_e32 v5, v7, v7
	s_delay_alu instid0(VALU_DEP_1)
	v_mul_f32_e32 v7, 0x3d800000, v5
; %bb.292:                              ;   in Loop: Header=BB181_145 Depth=1
	s_or_b32 exec_lo, exec_lo, s5
	s_delay_alu instid0(VALU_DEP_1) | instskip(SKIP_1) | instid1(VALU_DEP_1)
	v_cmp_gt_f32_e32 vcc_lo, 0x800000, v7
	v_cndmask_b32_e64 v5, 1.0, 0x4f800000, vcc_lo
	v_mul_f32_e32 v5, v7, v5
	s_delay_alu instid0(VALU_DEP_1) | instskip(SKIP_2) | instid1(VALU_DEP_1)
	v_log_f32_e32 v5, v5
	s_waitcnt_depctr 0xfff
	v_mul_f32_e32 v7, 0x3f317217, v5
	v_fma_f32 v22, 0x3f317217, v5, -v7
	s_delay_alu instid0(VALU_DEP_1) | instskip(NEXT) | instid1(VALU_DEP_1)
	v_fmac_f32_e32 v22, 0x3377d1cf, v5
	v_add_f32_e32 v7, v7, v22
	v_cndmask_b32_e64 v22, 0, 0x41b17218, vcc_lo
	v_cmp_gt_f32_e64 vcc_lo, 0x7f800000, |v5|
	s_delay_alu instid0(VALU_DEP_3) | instskip(NEXT) | instid1(VALU_DEP_1)
	v_cndmask_b32_e32 v5, v5, v7, vcc_lo
	v_dual_sub_f32 v7, v5, v22 :: v_dual_mov_b32 v22, 0x7fc00000
	s_or_b32 exec_lo, exec_lo, s4
	s_and_saveexec_b32 s4, s3
	s_delay_alu instid0(SALU_CYCLE_1)
	s_xor_b32 s4, exec_lo, s4
	s_cbranch_execz .LBB181_258
.LBB181_293:                            ;   in Loop: Header=BB181_145 Depth=1
	v_bfi_b32 v5, 0x7fffffff, v19, v16
	v_div_scale_f32 v16, null, 0x40135d8e, 0x40135d8e, v18
	v_div_scale_f32 v27, vcc_lo, v18, 0x40135d8e, v18
	s_delay_alu instid0(VALU_DEP_3) | instskip(NEXT) | instid1(VALU_DEP_3)
	v_div_scale_f32 v19, null, 0x40135d8e, 0x40135d8e, v5
	v_rcp_f32_e32 v23, v16
	v_lshlrev_b64 v[11:12], 3, v[11:12]
	s_delay_alu instid0(VALU_DEP_2) | instskip(SKIP_3) | instid1(VALU_DEP_2)
	v_rcp_f32_e32 v24, v19
	s_waitcnt_depctr 0xfff
	v_fma_f32 v25, -v16, v23, 1.0
	v_fma_f32 v26, -v19, v24, 1.0
	v_fmac_f32_e32 v23, v25, v23
	v_div_scale_f32 v25, s3, v5, 0x40135d8e, v5
	s_delay_alu instid0(VALU_DEP_3) | instskip(NEXT) | instid1(VALU_DEP_3)
	v_fmac_f32_e32 v24, v26, v24
	v_mul_f32_e32 v26, v27, v23
	s_delay_alu instid0(VALU_DEP_2) | instskip(NEXT) | instid1(VALU_DEP_2)
	v_mul_f32_e32 v28, v25, v24
	v_fma_f32 v29, -v16, v26, v27
	s_delay_alu instid0(VALU_DEP_2) | instskip(NEXT) | instid1(VALU_DEP_2)
	v_fma_f32 v30, -v19, v28, v25
	v_fmac_f32_e32 v26, v29, v23
	s_delay_alu instid0(VALU_DEP_2) | instskip(NEXT) | instid1(VALU_DEP_2)
	v_fmac_f32_e32 v28, v30, v24
	v_fma_f32 v16, -v16, v26, v27
	s_delay_alu instid0(VALU_DEP_2) | instskip(NEXT) | instid1(VALU_DEP_2)
	v_fma_f32 v19, -v19, v28, v25
	v_div_fmas_f32 v16, v16, v23, v26
	s_mov_b32 vcc_lo, s3
	s_delay_alu instid0(VALU_DEP_2) | instskip(SKIP_1) | instid1(VALU_DEP_3)
	v_div_fmas_f32 v19, v19, v24, v28
	v_add_co_u32 v11, vcc_lo, s19, v11
	v_div_fixup_f32 v18, v16, 0x40135d8e, v18
	v_add_co_ci_u32_e32 v12, vcc_lo, s20, v12, vcc_lo
	s_delay_alu instid0(VALU_DEP_4)
	v_div_fixup_f32 v19, v19, 0x40135d8e, v5
	global_store_b64 v[11:12], v[18:19], off
	s_or_b32 exec_lo, exec_lo, s4
	s_and_saveexec_b32 s3, s2
	s_cbranch_execz .LBB181_259
.LBB181_294:                            ;   in Loop: Header=BB181_145 Depth=1
	v_bfi_b32 v5, 0x7fffffff, v20, v14
	v_div_scale_f32 v11, null, 0x40135d8e, 0x40135d8e, v15
	v_div_scale_f32 v20, vcc_lo, v15, 0x40135d8e, v15
	s_delay_alu instid0(VALU_DEP_3) | instskip(NEXT) | instid1(VALU_DEP_3)
	v_div_scale_f32 v12, null, 0x40135d8e, 0x40135d8e, v5
	v_rcp_f32_e32 v14, v11
	v_lshlrev_b64 v[9:10], 3, v[9:10]
	s_delay_alu instid0(VALU_DEP_2) | instskip(SKIP_3) | instid1(VALU_DEP_1)
	v_rcp_f32_e32 v16, v12
	s_waitcnt_depctr 0xfff
	v_fma_f32 v18, -v11, v14, 1.0
	v_fma_f32 v19, -v12, v16, 1.0
	v_fmac_f32_e32 v16, v19, v16
	s_delay_alu instid0(VALU_DEP_3) | instskip(SKIP_1) | instid1(VALU_DEP_1)
	v_fmac_f32_e32 v14, v18, v14
	v_div_scale_f32 v18, s2, v5, 0x40135d8e, v5
	v_mul_f32_e32 v23, v18, v16
	s_delay_alu instid0(VALU_DEP_1) | instskip(NEXT) | instid1(VALU_DEP_1)
	v_fma_f32 v25, -v12, v23, v18
	v_fmac_f32_e32 v23, v25, v16
	v_mul_f32_e32 v19, v20, v14
	s_delay_alu instid0(VALU_DEP_2) | instskip(NEXT) | instid1(VALU_DEP_2)
	v_fma_f32 v12, -v12, v23, v18
	v_fma_f32 v24, -v11, v19, v20
	s_delay_alu instid0(VALU_DEP_1) | instskip(NEXT) | instid1(VALU_DEP_1)
	v_fmac_f32_e32 v19, v24, v14
	v_fma_f32 v11, -v11, v19, v20
	s_delay_alu instid0(VALU_DEP_1) | instskip(SKIP_3) | instid1(VALU_DEP_3)
	v_div_fmas_f32 v11, v11, v14, v19
	s_mov_b32 vcc_lo, s2
	v_div_fmas_f32 v12, v12, v16, v23
	v_add_co_u32 v9, vcc_lo, s19, v9
	v_div_fixup_f32 v11, v11, 0x40135d8e, v15
	v_add_co_ci_u32_e32 v10, vcc_lo, s20, v10, vcc_lo
	s_delay_alu instid0(VALU_DEP_4)
	v_div_fixup_f32 v12, v12, 0x40135d8e, v5
	global_store_b64 v[9:10], v[11:12], off
	s_or_b32 exec_lo, exec_lo, s3
	s_and_saveexec_b32 s2, s1
	s_cbranch_execz .LBB181_260
.LBB181_295:                            ;   in Loop: Header=BB181_145 Depth=1
	v_bfi_b32 v5, 0x7fffffff, v21, v8
	v_div_scale_f32 v8, null, 0x40135d8e, 0x40135d8e, v13
	v_div_scale_f32 v15, vcc_lo, v13, 0x40135d8e, v13
	s_delay_alu instid0(VALU_DEP_3) | instskip(NEXT) | instid1(VALU_DEP_3)
	v_div_scale_f32 v9, null, 0x40135d8e, 0x40135d8e, v5
	v_rcp_f32_e32 v10, v8
	v_lshlrev_b64 v[3:4], 3, v[3:4]
	s_delay_alu instid0(VALU_DEP_2) | instskip(SKIP_3) | instid1(VALU_DEP_2)
	v_rcp_f32_e32 v11, v9
	s_waitcnt_depctr 0xfff
	v_fma_f32 v12, -v8, v10, 1.0
	v_fma_f32 v14, -v9, v11, 1.0
	v_fmac_f32_e32 v10, v12, v10
	v_div_scale_f32 v12, s1, v5, 0x40135d8e, v5
	s_delay_alu instid0(VALU_DEP_2) | instskip(NEXT) | instid1(VALU_DEP_1)
	v_dual_fmac_f32 v11, v14, v11 :: v_dual_mul_f32 v14, v15, v10
	v_mul_f32_e32 v16, v12, v11
	s_delay_alu instid0(VALU_DEP_2) | instskip(NEXT) | instid1(VALU_DEP_2)
	v_fma_f32 v18, -v8, v14, v15
	v_fma_f32 v19, -v9, v16, v12
	s_delay_alu instid0(VALU_DEP_2) | instskip(NEXT) | instid1(VALU_DEP_2)
	v_fmac_f32_e32 v14, v18, v10
	v_fmac_f32_e32 v16, v19, v11
	s_delay_alu instid0(VALU_DEP_2) | instskip(NEXT) | instid1(VALU_DEP_2)
	v_fma_f32 v8, -v8, v14, v15
	v_fma_f32 v9, -v9, v16, v12
	s_delay_alu instid0(VALU_DEP_2) | instskip(SKIP_1) | instid1(VALU_DEP_2)
	v_div_fmas_f32 v8, v8, v10, v14
	s_mov_b32 vcc_lo, s1
	v_div_fmas_f32 v9, v9, v11, v16
	v_add_co_u32 v3, vcc_lo, s19, v3
	s_delay_alu instid0(VALU_DEP_3) | instskip(SKIP_1) | instid1(VALU_DEP_4)
	v_div_fixup_f32 v8, v8, 0x40135d8e, v13
	v_add_co_ci_u32_e32 v4, vcc_lo, s20, v4, vcc_lo
	v_div_fixup_f32 v9, v9, 0x40135d8e, v5
	global_store_b64 v[3:4], v[8:9], off
	s_or_b32 exec_lo, exec_lo, s2
	s_and_saveexec_b32 s1, s0
	s_cbranch_execz .LBB181_144
.LBB181_296:                            ;   in Loop: Header=BB181_145 Depth=1
	v_bfi_b32 v4, 0x7fffffff, v22, v6
	v_div_scale_f32 v3, null, 0x40135d8e, 0x40135d8e, v7
	v_div_scale_f32 v11, vcc_lo, v7, 0x40135d8e, v7
	s_delay_alu instid0(VALU_DEP_3) | instskip(NEXT) | instid1(VALU_DEP_3)
	v_div_scale_f32 v5, null, 0x40135d8e, 0x40135d8e, v4
	v_rcp_f32_e32 v6, v3
	v_lshlrev_b64 v[1:2], 3, v[1:2]
	s_delay_alu instid0(VALU_DEP_2) | instskip(SKIP_3) | instid1(VALU_DEP_2)
	v_rcp_f32_e32 v8, v5
	s_waitcnt_depctr 0xfff
	v_fma_f32 v9, -v3, v6, 1.0
	v_fma_f32 v10, -v5, v8, 1.0
	v_fmac_f32_e32 v6, v9, v6
	v_div_scale_f32 v9, s0, v4, 0x40135d8e, v4
	s_delay_alu instid0(VALU_DEP_3) | instskip(NEXT) | instid1(VALU_DEP_3)
	v_fmac_f32_e32 v8, v10, v8
	v_mul_f32_e32 v10, v11, v6
	s_delay_alu instid0(VALU_DEP_2) | instskip(NEXT) | instid1(VALU_DEP_2)
	v_mul_f32_e32 v12, v9, v8
	v_fma_f32 v13, -v3, v10, v11
	s_delay_alu instid0(VALU_DEP_2) | instskip(NEXT) | instid1(VALU_DEP_2)
	v_fma_f32 v14, -v5, v12, v9
	v_fmac_f32_e32 v10, v13, v6
	s_delay_alu instid0(VALU_DEP_2) | instskip(NEXT) | instid1(VALU_DEP_2)
	v_fmac_f32_e32 v12, v14, v8
	v_fma_f32 v3, -v3, v10, v11
	s_delay_alu instid0(VALU_DEP_2) | instskip(NEXT) | instid1(VALU_DEP_2)
	v_fma_f32 v5, -v5, v12, v9
	v_div_fmas_f32 v3, v3, v6, v10
	s_mov_b32 vcc_lo, s0
	s_delay_alu instid0(VALU_DEP_2) | instskip(SKIP_1) | instid1(VALU_DEP_3)
	v_div_fmas_f32 v5, v5, v8, v12
	v_add_co_u32 v1, vcc_lo, s19, v1
	v_div_fixup_f32 v3, v3, 0x40135d8e, v7
	v_add_co_ci_u32_e32 v2, vcc_lo, s20, v2, vcc_lo
	s_delay_alu instid0(VALU_DEP_4)
	v_div_fixup_f32 v4, v5, 0x40135d8e, v4
	global_store_b64 v[1:2], v[3:4], off
	s_branch .LBB181_144
.LBB181_297:
	s_nop 0
	s_sendmsg sendmsg(MSG_DEALLOC_VGPRS)
	s_endpgm
	.section	.rodata,"a",@progbits
	.p2align	6, 0x0
	.amdhsa_kernel _ZN2at6native12_GLOBAL__N_125multi_tensor_apply_kernelINS1_18TensorListMetadataILi2EEENS1_14UnaryOpFunctorIN3c107complexIfEELi2ELi1ELi1EEEJNS0_5Log10IS8_EEEEEvT_T0_DpT1_
		.amdhsa_group_segment_fixed_size 0
		.amdhsa_private_segment_fixed_size 0
		.amdhsa_kernarg_size 3408
		.amdhsa_user_sgpr_count 15
		.amdhsa_user_sgpr_dispatch_ptr 0
		.amdhsa_user_sgpr_queue_ptr 0
		.amdhsa_user_sgpr_kernarg_segment_ptr 1
		.amdhsa_user_sgpr_dispatch_id 0
		.amdhsa_user_sgpr_private_segment_size 0
		.amdhsa_wavefront_size32 1
		.amdhsa_uses_dynamic_stack 0
		.amdhsa_enable_private_segment 0
		.amdhsa_system_sgpr_workgroup_id_x 1
		.amdhsa_system_sgpr_workgroup_id_y 0
		.amdhsa_system_sgpr_workgroup_id_z 0
		.amdhsa_system_sgpr_workgroup_info 0
		.amdhsa_system_vgpr_workitem_id 0
		.amdhsa_next_free_vgpr 40
		.amdhsa_next_free_sgpr 37
		.amdhsa_reserve_vcc 1
		.amdhsa_float_round_mode_32 0
		.amdhsa_float_round_mode_16_64 0
		.amdhsa_float_denorm_mode_32 3
		.amdhsa_float_denorm_mode_16_64 3
		.amdhsa_dx10_clamp 1
		.amdhsa_ieee_mode 1
		.amdhsa_fp16_overflow 0
		.amdhsa_workgroup_processor_mode 1
		.amdhsa_memory_ordered 1
		.amdhsa_forward_progress 0
		.amdhsa_shared_vgpr_count 0
		.amdhsa_exception_fp_ieee_invalid_op 0
		.amdhsa_exception_fp_denorm_src 0
		.amdhsa_exception_fp_ieee_div_zero 0
		.amdhsa_exception_fp_ieee_overflow 0
		.amdhsa_exception_fp_ieee_underflow 0
		.amdhsa_exception_fp_ieee_inexact 0
		.amdhsa_exception_int_div_zero 0
	.end_amdhsa_kernel
	.section	.text._ZN2at6native12_GLOBAL__N_125multi_tensor_apply_kernelINS1_18TensorListMetadataILi2EEENS1_14UnaryOpFunctorIN3c107complexIfEELi2ELi1ELi1EEEJNS0_5Log10IS8_EEEEEvT_T0_DpT1_,"axG",@progbits,_ZN2at6native12_GLOBAL__N_125multi_tensor_apply_kernelINS1_18TensorListMetadataILi2EEENS1_14UnaryOpFunctorIN3c107complexIfEELi2ELi1ELi1EEEJNS0_5Log10IS8_EEEEEvT_T0_DpT1_,comdat
.Lfunc_end181:
	.size	_ZN2at6native12_GLOBAL__N_125multi_tensor_apply_kernelINS1_18TensorListMetadataILi2EEENS1_14UnaryOpFunctorIN3c107complexIfEELi2ELi1ELi1EEEJNS0_5Log10IS8_EEEEEvT_T0_DpT1_, .Lfunc_end181-_ZN2at6native12_GLOBAL__N_125multi_tensor_apply_kernelINS1_18TensorListMetadataILi2EEENS1_14UnaryOpFunctorIN3c107complexIfEELi2ELi1ELi1EEEJNS0_5Log10IS8_EEEEEvT_T0_DpT1_
                                        ; -- End function
	.section	.AMDGPU.csdata,"",@progbits
; Kernel info:
; codeLenInByte = 49084
; NumSgprs: 39
; NumVgprs: 40
; ScratchSize: 0
; MemoryBound: 1
; FloatMode: 240
; IeeeMode: 1
; LDSByteSize: 0 bytes/workgroup (compile time only)
; SGPRBlocks: 4
; VGPRBlocks: 4
; NumSGPRsForWavesPerEU: 39
; NumVGPRsForWavesPerEU: 40
; Occupancy: 16
; WaveLimiterHint : 0
; COMPUTE_PGM_RSRC2:SCRATCH_EN: 0
; COMPUTE_PGM_RSRC2:USER_SGPR: 15
; COMPUTE_PGM_RSRC2:TRAP_HANDLER: 0
; COMPUTE_PGM_RSRC2:TGID_X_EN: 1
; COMPUTE_PGM_RSRC2:TGID_Y_EN: 0
; COMPUTE_PGM_RSRC2:TGID_Z_EN: 0
; COMPUTE_PGM_RSRC2:TIDIG_COMP_CNT: 0
	.section	.text._ZN2at6native12_GLOBAL__N_125multi_tensor_apply_kernelINS1_18TensorListMetadataILi2EEENS1_14UnaryOpFunctorIN3c104HalfELi2ELi1ELi1EEEJNS0_5Log10IfEEEEEvT_T0_DpT1_,"axG",@progbits,_ZN2at6native12_GLOBAL__N_125multi_tensor_apply_kernelINS1_18TensorListMetadataILi2EEENS1_14UnaryOpFunctorIN3c104HalfELi2ELi1ELi1EEEJNS0_5Log10IfEEEEEvT_T0_DpT1_,comdat
	.globl	_ZN2at6native12_GLOBAL__N_125multi_tensor_apply_kernelINS1_18TensorListMetadataILi2EEENS1_14UnaryOpFunctorIN3c104HalfELi2ELi1ELi1EEEJNS0_5Log10IfEEEEEvT_T0_DpT1_ ; -- Begin function _ZN2at6native12_GLOBAL__N_125multi_tensor_apply_kernelINS1_18TensorListMetadataILi2EEENS1_14UnaryOpFunctorIN3c104HalfELi2ELi1ELi1EEEJNS0_5Log10IfEEEEEvT_T0_DpT1_
	.p2align	8
	.type	_ZN2at6native12_GLOBAL__N_125multi_tensor_apply_kernelINS1_18TensorListMetadataILi2EEENS1_14UnaryOpFunctorIN3c104HalfELi2ELi1ELi1EEEJNS0_5Log10IfEEEEEvT_T0_DpT1_,@function
_ZN2at6native12_GLOBAL__N_125multi_tensor_apply_kernelINS1_18TensorListMetadataILi2EEENS1_14UnaryOpFunctorIN3c104HalfELi2ELi1ELi1EEEJNS0_5Log10IfEEEEEvT_T0_DpT1_: ; @_ZN2at6native12_GLOBAL__N_125multi_tensor_apply_kernelINS1_18TensorListMetadataILi2EEENS1_14UnaryOpFunctorIN3c104HalfELi2ELi1ELi1EEEJNS0_5Log10IfEEEEEvT_T0_DpT1_
; %bb.0:
	v_mov_b32_e32 v1, s15
	s_add_u32 s2, s0, s15
	s_mul_hi_u32 s3, s15, 3
	s_mul_i32 s15, s15, 3
	s_addc_u32 s4, s1, 0
	global_load_u8 v1, v1, s[0:1] offset:1536
	s_add_u32 s2, s2, s15
	s_addc_u32 s3, s4, s3
	s_mov_b32 s17, 0
	s_load_b32 s2, s[2:3], 0x740
	s_mov_b32 s19, s17
	s_mov_b32 s21, s17
	s_waitcnt vmcnt(0)
	v_readfirstlane_b32 s5, v1
	s_delay_alu instid0(VALU_DEP_1)
	s_lshl_b32 s3, s5, 3
	s_clause 0x2
	s_load_b64 s[10:11], s[0:1], s3 offset:0x0
	s_load_b64 s[12:13], s[0:1], s3 offset:0x200
	;; [unrolled: 1-line block ×3, first 2 shown]
	s_waitcnt lgkmcnt(0)
	s_ashr_i32 s3, s2, 31
	s_delay_alu instid0(SALU_CYCLE_1) | instskip(NEXT) | instid1(SALU_CYCLE_1)
	s_lshl_b64 s[4:5], s[2:3], 17
	s_add_u32 s8, s10, s4
	s_addc_u32 s9, s11, s5
	s_and_b32 s16, s8, 7
	s_add_u32 s14, s12, s4
	s_addc_u32 s15, s13, s5
	s_and_b32 s18, s6, 3
	s_and_b32 s20, s14, 7
	s_or_b64 s[16:17], s[16:17], s[18:19]
	s_lshl_b64 s[2:3], s[2:3], 16
	s_or_b64 s[16:17], s[20:21], s[16:17]
	s_sub_u32 s6, s6, s2
	s_subb_u32 s7, s7, s3
	s_cmp_eq_u64 s[16:17], 0
	s_mov_b32 s2, -1
	s_cbranch_scc0 .LBB182_5
; %bb.1:
	v_dual_mov_b32 v2, 0 :: v_dual_lshlrev_b32 v1, 2, v0
	s_mov_b32 s16, exec_lo
	s_delay_alu instid0(VALU_DEP_1)
	v_cmpx_gt_i64_e64 s[6:7], v[1:2]
	s_cbranch_execz .LBB182_4
; %bb.2:
	s_load_b32 s2, s[0:1], 0xc5c
	v_lshlrev_b32_e32 v3, 3, v0
	s_mov_b32 s17, 0
	s_waitcnt lgkmcnt(0)
	s_and_b32 s2, s2, 0xffff
	s_delay_alu instid0(SALU_CYCLE_1)
	v_add_lshl_u32 v1, v0, s2, 2
	s_lshl_b32 s18, s2, 2
	s_lshl_b32 s19, s2, 3
.LBB182_3:                              ; =>This Inner Loop Header: Depth=1
	v_add_co_u32 v4, s2, s8, v3
	s_delay_alu instid0(VALU_DEP_1) | instskip(SKIP_1) | instid1(VALU_DEP_1)
	v_add_co_ci_u32_e64 v5, null, s9, 0, s2
	v_add_co_u32 v6, s2, s14, v3
	v_add_co_ci_u32_e64 v7, null, s15, 0, s2
	global_load_b64 v[4:5], v[4:5], off
	v_cmp_le_i64_e32 vcc_lo, s[6:7], v[1:2]
	v_cmp_lt_u64_e64 s2, 0xffff, v[1:2]
	v_add_co_u32 v1, s3, v1, s18
	s_delay_alu instid0(VALU_DEP_1) | instskip(NEXT) | instid1(VALU_DEP_3)
	v_add_co_ci_u32_e64 v2, s3, 0, v2, s3
	s_or_b32 s3, vcc_lo, s2
	s_add_u32 s8, s8, s19
	s_addc_u32 s9, s9, 0
	s_add_u32 s14, s14, s19
	s_addc_u32 s15, s15, 0
	s_waitcnt vmcnt(0)
	v_cvt_f32_f16_e32 v8, v4
	v_lshrrev_b32_e32 v4, 16, v4
	v_lshrrev_b32_e32 v9, 16, v5
	v_cvt_f32_f16_e32 v5, v5
	s_delay_alu instid0(VALU_DEP_4) | instskip(NEXT) | instid1(VALU_DEP_3)
	v_log_f32_e32 v8, v8
	v_cvt_f32_f16_e32 v4, v4
	s_delay_alu instid0(VALU_DEP_3) | instskip(NEXT) | instid1(VALU_DEP_3)
	v_cvt_f32_f16_e32 v9, v9
	v_log_f32_e32 v5, v5
	s_delay_alu instid0(VALU_DEP_2) | instskip(NEXT) | instid1(VALU_DEP_1)
	v_log_f32_e32 v4, v4
	v_log_f32_e32 v9, v9
	v_mul_f32_e32 v10, 0x3e9a209a, v8
	v_cmp_gt_f32_e64 s2, 0x7f800000, |v8|
	s_delay_alu instid0(TRANS32_DEP_3) | instskip(SKIP_1) | instid1(VALU_DEP_4)
	v_mul_f32_e32 v11, 0x3e9a209a, v5
	v_cmp_gt_f32_e64 vcc_lo, 0x7f800000, |v5|
	v_fma_f32 v10, 0x3e9a209a, v8, -v10
	s_waitcnt_depctr 0xfff
	v_dual_mul_f32 v12, 0x3e9a209a, v4 :: v_dual_mul_f32 v13, 0x3e9a209a, v9
	v_fma_f32 v11, 0x3e9a209a, v5, -v11
	v_fmac_f32_e32 v10, 0x3284fbcf, v8
	s_delay_alu instid0(VALU_DEP_3) | instskip(NEXT) | instid1(VALU_DEP_4)
	v_fma_f32 v12, 0x3e9a209a, v4, -v12
	v_fma_f32 v13, 0x3e9a209a, v9, -v13
	s_delay_alu instid0(VALU_DEP_4) | instskip(NEXT) | instid1(VALU_DEP_4)
	v_fmac_f32_e32 v11, 0x3284fbcf, v5
	v_fmac_f32_e32 v10, 0x3e9a209a, v8
	s_delay_alu instid0(VALU_DEP_3) | instskip(NEXT) | instid1(VALU_DEP_3)
	v_dual_fmac_f32 v12, 0x3284fbcf, v4 :: v_dual_fmac_f32 v13, 0x3284fbcf, v9
	v_fmac_f32_e32 v11, 0x3e9a209a, v5
	s_delay_alu instid0(VALU_DEP_3) | instskip(NEXT) | instid1(VALU_DEP_3)
	v_cndmask_b32_e64 v8, v8, v10, s2
	v_dual_fmac_f32 v12, 0x3e9a209a, v4 :: v_dual_fmac_f32 v13, 0x3e9a209a, v9
	v_cmp_gt_f32_e64 s2, 0x7f800000, |v4|
	s_delay_alu instid0(VALU_DEP_4) | instskip(SKIP_2) | instid1(VALU_DEP_4)
	v_cndmask_b32_e32 v5, v5, v11, vcc_lo
	v_cmp_gt_f32_e64 vcc_lo, 0x7f800000, |v9|
	v_cvt_f16_f32_e32 v8, v8
	v_cndmask_b32_e64 v4, v4, v12, s2
	s_delay_alu instid0(VALU_DEP_4) | instskip(SKIP_2) | instid1(VALU_DEP_3)
	v_cvt_f16_f32_e32 v5, v5
	v_cndmask_b32_e32 v9, v9, v13, vcc_lo
	s_and_b32 s2, exec_lo, s3
	v_cvt_f16_f32_e32 v4, v4
	s_or_b32 s17, s2, s17
	s_delay_alu instid0(VALU_DEP_2) | instskip(NEXT) | instid1(VALU_DEP_2)
	v_cvt_f16_f32_e32 v9, v9
	v_pack_b32_f16 v4, v8, v4
	s_delay_alu instid0(VALU_DEP_2)
	v_pack_b32_f16 v5, v5, v9
	global_store_b64 v[6:7], v[4:5], off
	s_and_not1_b32 exec_lo, exec_lo, s17
	s_cbranch_execnz .LBB182_3
.LBB182_4:
	s_or_b32 exec_lo, exec_lo, s16
	s_mov_b32 s2, 0
.LBB182_5:
	s_delay_alu instid0(SALU_CYCLE_1)
	s_and_not1_b32 vcc_lo, exec_lo, s2
	s_cbranch_vccnz .LBB182_25
; %bb.6:
	v_cmp_lt_i64_e64 s2, s[6:7], 1
	s_delay_alu instid0(VALU_DEP_1)
	s_and_b32 vcc_lo, exec_lo, s2
	s_cbranch_vccnz .LBB182_25
; %bb.7:
	s_load_b32 s0, s[0:1], 0xc5c
	v_dual_mov_b32 v10, 0 :: v_dual_lshlrev_b32 v9, 1, v0
	v_cmp_gt_u64_e64 s1, 0x10000, s[6:7]
	s_delay_alu instid0(VALU_DEP_2) | instskip(NEXT) | instid1(VALU_DEP_1)
	v_add_co_u32 v1, s2, s10, v9
	v_add_co_ci_u32_e64 v2, null, s11, 0, s2
	v_add_co_u32 v3, s2, s12, v9
	s_delay_alu instid0(VALU_DEP_1)
	v_add_co_ci_u32_e64 v4, null, s13, 0, s2
	s_waitcnt lgkmcnt(0)
	s_and_b32 s0, s0, 0xffff
	s_and_b32 s1, s1, exec_lo
	v_mad_u64_u32 v[7:8], null, s0, 6, v[9:10]
	s_cselect_b32 s9, s7, 0
	s_cselect_b32 s8, s6, 0x10000
	s_mul_i32 s2, s0, 3
	s_lshl_b32 s14, s0, 2
	s_lshl_b32 s1, s0, 1
	v_add_co_u32 v14, s3, s14, v9
	v_add_co_u32 v9, s2, s2, v0
	s_delay_alu instid0(VALU_DEP_1) | instskip(SKIP_3) | instid1(VALU_DEP_3)
	v_add_co_ci_u32_e64 v10, null, 0, 0, s2
	v_add_co_u32 v13, s2, v0, s0
	v_add_co_u32 v5, vcc_lo, s10, v7
	v_add_co_ci_u32_e32 v6, vcc_lo, s11, v8, vcc_lo
	v_lshlrev_b32_e32 v21, 1, v13
	v_add_co_u32 v7, vcc_lo, s12, v7
	v_add_co_ci_u32_e64 v15, null, 0, 0, s3
	v_add_co_ci_u32_e32 v8, vcc_lo, s13, v8, vcc_lo
	v_add_co_u32 v17, s1, s1, v0
	v_add_co_u32 v11, vcc_lo, s10, v14
	v_add_co_ci_u32_e64 v18, null, 0, 0, s1
	v_add_co_u32 v19, s1, s10, v21
	v_add_co_ci_u32_e32 v12, vcc_lo, s11, v15, vcc_lo
	v_add_co_u32 v14, vcc_lo, s12, v14
	v_add_co_ci_u32_e64 v20, null, s11, 0, s1
	v_add_co_u32 v21, s1, s12, v21
	v_add_co_ci_u32_e32 v15, vcc_lo, s13, v15, vcc_lo
	v_add_co_ci_u32_e64 v16, null, 0, 0, s2
	v_add_co_ci_u32_e64 v22, null, s13, 0, s1
	s_lshl_b32 s12, s0, 3
	s_mov_b64 s[10:11], 0
	s_branch .LBB182_9
.LBB182_8:                              ;   in Loop: Header=BB182_9 Depth=1
	s_or_b32 exec_lo, exec_lo, s0
	v_add_co_u32 v1, vcc_lo, v1, s12
	v_add_co_ci_u32_e32 v2, vcc_lo, 0, v2, vcc_lo
	v_add_co_u32 v3, vcc_lo, v3, s12
	v_add_co_ci_u32_e32 v4, vcc_lo, 0, v4, vcc_lo
	;; [unrolled: 2-line block ×5, first 2 shown]
	s_add_u32 s10, s10, s14
	v_add_co_u32 v14, vcc_lo, v14, s12
	s_addc_u32 s11, s11, 0
	v_add_co_ci_u32_e32 v15, vcc_lo, 0, v15, vcc_lo
	v_cmp_ge_i64_e64 s0, s[10:11], s[6:7]
	v_cmp_lt_u64_e64 s1, 0xffff, s[10:11]
	v_add_co_u32 v19, vcc_lo, v19, s12
	v_add_co_ci_u32_e32 v20, vcc_lo, 0, v20, vcc_lo
	v_add_co_u32 v21, vcc_lo, v21, s12
	v_add_co_ci_u32_e32 v22, vcc_lo, 0, v22, vcc_lo
	s_or_b32 s0, s0, s1
	s_delay_alu instid0(SALU_CYCLE_1)
	s_and_b32 vcc_lo, exec_lo, s0
	s_cbranch_vccnz .LBB182_25
.LBB182_9:                              ; =>This Inner Loop Header: Depth=1
	s_waitcnt vmcnt(0)
	v_add_co_u32 v23, s0, v0, s10
	s_delay_alu instid0(VALU_DEP_1) | instskip(SKIP_1) | instid1(VALU_DEP_2)
	v_add_co_ci_u32_e64 v24, null, 0, s11, s0
	v_mov_b32_e32 v26, 0
	v_cmp_gt_u64_e64 s2, s[8:9], v[23:24]
	s_delay_alu instid0(VALU_DEP_1)
	s_and_saveexec_b32 s0, s2
	s_cbranch_execz .LBB182_11
; %bb.10:                               ;   in Loop: Header=BB182_9 Depth=1
	v_add_co_u32 v23, vcc_lo, v1, s4
	v_add_co_ci_u32_e32 v24, vcc_lo, s5, v2, vcc_lo
	global_load_u16 v26, v[23:24], off
.LBB182_11:                             ;   in Loop: Header=BB182_9 Depth=1
	s_or_b32 exec_lo, exec_lo, s0
	v_add_co_u32 v23, vcc_lo, v13, s10
	v_add_co_ci_u32_e32 v24, vcc_lo, s11, v16, vcc_lo
	v_mov_b32_e32 v25, 0
	s_delay_alu instid0(VALU_DEP_2) | instskip(NEXT) | instid1(VALU_DEP_1)
	v_cmp_gt_u64_e64 s1, s[8:9], v[23:24]
	s_and_saveexec_b32 s0, s1
	s_cbranch_execz .LBB182_13
; %bb.12:                               ;   in Loop: Header=BB182_9 Depth=1
	v_add_co_u32 v23, vcc_lo, v19, s4
	v_add_co_ci_u32_e32 v24, vcc_lo, s5, v20, vcc_lo
	global_load_u16 v25, v[23:24], off
.LBB182_13:                             ;   in Loop: Header=BB182_9 Depth=1
	s_or_b32 exec_lo, exec_lo, s0
	v_add_co_u32 v23, vcc_lo, v17, s10
	v_add_co_ci_u32_e32 v24, vcc_lo, s11, v18, vcc_lo
	s_delay_alu instid0(VALU_DEP_1) | instskip(SKIP_1) | instid1(VALU_DEP_2)
	v_cmp_gt_u64_e64 s0, s[8:9], v[23:24]
	v_dual_mov_b32 v23, 0 :: v_dual_mov_b32 v24, 0
	s_and_saveexec_b32 s3, s0
	s_cbranch_execz .LBB182_15
; %bb.14:                               ;   in Loop: Header=BB182_9 Depth=1
	v_add_co_u32 v27, vcc_lo, v11, s4
	v_add_co_ci_u32_e32 v28, vcc_lo, s5, v12, vcc_lo
	global_load_u16 v24, v[27:28], off
.LBB182_15:                             ;   in Loop: Header=BB182_9 Depth=1
	s_or_b32 exec_lo, exec_lo, s3
	v_add_co_u32 v27, vcc_lo, v9, s10
	v_add_co_ci_u32_e32 v28, vcc_lo, s11, v10, vcc_lo
	s_delay_alu instid0(VALU_DEP_1)
	v_cmp_gt_u64_e32 vcc_lo, s[8:9], v[27:28]
	s_and_saveexec_b32 s13, vcc_lo
	s_cbranch_execnz .LBB182_20
; %bb.16:                               ;   in Loop: Header=BB182_9 Depth=1
	s_or_b32 exec_lo, exec_lo, s13
	s_and_saveexec_b32 s3, s2
	s_cbranch_execnz .LBB182_21
.LBB182_17:                             ;   in Loop: Header=BB182_9 Depth=1
	s_or_b32 exec_lo, exec_lo, s3
	s_and_saveexec_b32 s2, s1
	s_cbranch_execnz .LBB182_22
.LBB182_18:                             ;   in Loop: Header=BB182_9 Depth=1
	s_or_b32 exec_lo, exec_lo, s2
	s_and_saveexec_b32 s1, s0
	s_cbranch_execnz .LBB182_23
.LBB182_19:                             ;   in Loop: Header=BB182_9 Depth=1
	s_or_b32 exec_lo, exec_lo, s1
	s_and_saveexec_b32 s0, vcc_lo
	s_cbranch_execz .LBB182_8
	s_branch .LBB182_24
.LBB182_20:                             ;   in Loop: Header=BB182_9 Depth=1
	v_add_co_u32 v27, s3, v5, s4
	s_delay_alu instid0(VALU_DEP_1)
	v_add_co_ci_u32_e64 v28, s3, s5, v6, s3
	global_load_u16 v23, v[27:28], off
	s_or_b32 exec_lo, exec_lo, s13
	s_and_saveexec_b32 s3, s2
	s_cbranch_execz .LBB182_17
.LBB182_21:                             ;   in Loop: Header=BB182_9 Depth=1
	s_waitcnt vmcnt(0)
	v_cvt_f32_f16_e32 v26, v26
	s_delay_alu instid0(VALU_DEP_1) | instskip(SKIP_3) | instid1(VALU_DEP_2)
	v_log_f32_e32 v26, v26
	s_waitcnt_depctr 0xfff
	v_mul_f32_e32 v27, 0x3e9a209a, v26
	v_cmp_gt_f32_e64 s2, 0x7f800000, |v26|
	v_fma_f32 v27, 0x3e9a209a, v26, -v27
	s_delay_alu instid0(VALU_DEP_1) | instskip(NEXT) | instid1(VALU_DEP_1)
	v_fmac_f32_e32 v27, 0x3284fbcf, v26
	v_fmac_f32_e32 v27, 0x3e9a209a, v26
	s_delay_alu instid0(VALU_DEP_1) | instskip(SKIP_1) | instid1(VALU_DEP_1)
	v_cndmask_b32_e64 v28, v26, v27, s2
	v_add_co_u32 v26, s2, v3, s4
	v_add_co_ci_u32_e64 v27, s2, s5, v4, s2
	s_delay_alu instid0(VALU_DEP_3)
	v_cvt_f16_f32_e32 v28, v28
	global_store_b16 v[26:27], v28, off
	s_or_b32 exec_lo, exec_lo, s3
	s_and_saveexec_b32 s2, s1
	s_cbranch_execz .LBB182_18
.LBB182_22:                             ;   in Loop: Header=BB182_9 Depth=1
	s_waitcnt vmcnt(0)
	v_cvt_f32_f16_e32 v25, v25
	s_delay_alu instid0(VALU_DEP_1) | instskip(SKIP_3) | instid1(VALU_DEP_2)
	v_log_f32_e32 v25, v25
	s_waitcnt_depctr 0xfff
	v_mul_f32_e32 v26, 0x3e9a209a, v25
	v_cmp_gt_f32_e64 s1, 0x7f800000, |v25|
	v_fma_f32 v26, 0x3e9a209a, v25, -v26
	s_delay_alu instid0(VALU_DEP_1) | instskip(NEXT) | instid1(VALU_DEP_1)
	v_fmac_f32_e32 v26, 0x3284fbcf, v25
	v_fmac_f32_e32 v26, 0x3e9a209a, v25
	s_delay_alu instid0(VALU_DEP_1) | instskip(NEXT) | instid1(VALU_DEP_1)
	v_cndmask_b32_e64 v25, v25, v26, s1
	v_cvt_f16_f32_e32 v27, v25
	v_add_co_u32 v25, s1, v21, s4
	s_delay_alu instid0(VALU_DEP_1)
	v_add_co_ci_u32_e64 v26, s1, s5, v22, s1
	global_store_b16 v[25:26], v27, off
	s_or_b32 exec_lo, exec_lo, s2
	s_and_saveexec_b32 s1, s0
	s_cbranch_execz .LBB182_19
.LBB182_23:                             ;   in Loop: Header=BB182_9 Depth=1
	s_waitcnt vmcnt(0)
	v_cvt_f32_f16_e32 v24, v24
	s_delay_alu instid0(VALU_DEP_1) | instskip(SKIP_3) | instid1(VALU_DEP_2)
	v_log_f32_e32 v24, v24
	s_waitcnt_depctr 0xfff
	v_mul_f32_e32 v25, 0x3e9a209a, v24
	v_cmp_gt_f32_e64 s0, 0x7f800000, |v24|
	v_fma_f32 v25, 0x3e9a209a, v24, -v25
	s_delay_alu instid0(VALU_DEP_1) | instskip(NEXT) | instid1(VALU_DEP_1)
	v_fmac_f32_e32 v25, 0x3284fbcf, v24
	v_fmac_f32_e32 v25, 0x3e9a209a, v24
	s_delay_alu instid0(VALU_DEP_1) | instskip(NEXT) | instid1(VALU_DEP_1)
	v_cndmask_b32_e64 v24, v24, v25, s0
	v_cvt_f16_f32_e32 v26, v24
	v_add_co_u32 v24, s0, v14, s4
	s_delay_alu instid0(VALU_DEP_1)
	v_add_co_ci_u32_e64 v25, s0, s5, v15, s0
	global_store_b16 v[24:25], v26, off
	s_or_b32 exec_lo, exec_lo, s1
	s_and_saveexec_b32 s0, vcc_lo
	s_cbranch_execz .LBB182_8
.LBB182_24:                             ;   in Loop: Header=BB182_9 Depth=1
	s_waitcnt vmcnt(0)
	v_cvt_f32_f16_e32 v23, v23
	s_delay_alu instid0(VALU_DEP_1) | instskip(SKIP_3) | instid1(VALU_DEP_2)
	v_log_f32_e32 v23, v23
	s_waitcnt_depctr 0xfff
	v_mul_f32_e32 v24, 0x3e9a209a, v23
	v_cmp_gt_f32_e64 vcc_lo, 0x7f800000, |v23|
	v_fma_f32 v24, 0x3e9a209a, v23, -v24
	s_delay_alu instid0(VALU_DEP_1) | instskip(NEXT) | instid1(VALU_DEP_1)
	v_fmac_f32_e32 v24, 0x3284fbcf, v23
	v_fmac_f32_e32 v24, 0x3e9a209a, v23
	s_delay_alu instid0(VALU_DEP_1) | instskip(NEXT) | instid1(VALU_DEP_1)
	v_cndmask_b32_e32 v23, v23, v24, vcc_lo
	v_cvt_f16_f32_e32 v25, v23
	v_add_co_u32 v23, vcc_lo, v7, s4
	v_add_co_ci_u32_e32 v24, vcc_lo, s5, v8, vcc_lo
	global_store_b16 v[23:24], v25, off
	s_branch .LBB182_8
.LBB182_25:
	s_nop 0
	s_sendmsg sendmsg(MSG_DEALLOC_VGPRS)
	s_endpgm
	.section	.rodata,"a",@progbits
	.p2align	6, 0x0
	.amdhsa_kernel _ZN2at6native12_GLOBAL__N_125multi_tensor_apply_kernelINS1_18TensorListMetadataILi2EEENS1_14UnaryOpFunctorIN3c104HalfELi2ELi1ELi1EEEJNS0_5Log10IfEEEEEvT_T0_DpT1_
		.amdhsa_group_segment_fixed_size 0
		.amdhsa_private_segment_fixed_size 0
		.amdhsa_kernarg_size 3408
		.amdhsa_user_sgpr_count 15
		.amdhsa_user_sgpr_dispatch_ptr 0
		.amdhsa_user_sgpr_queue_ptr 0
		.amdhsa_user_sgpr_kernarg_segment_ptr 1
		.amdhsa_user_sgpr_dispatch_id 0
		.amdhsa_user_sgpr_private_segment_size 0
		.amdhsa_wavefront_size32 1
		.amdhsa_uses_dynamic_stack 0
		.amdhsa_enable_private_segment 0
		.amdhsa_system_sgpr_workgroup_id_x 1
		.amdhsa_system_sgpr_workgroup_id_y 0
		.amdhsa_system_sgpr_workgroup_id_z 0
		.amdhsa_system_sgpr_workgroup_info 0
		.amdhsa_system_vgpr_workitem_id 0
		.amdhsa_next_free_vgpr 29
		.amdhsa_next_free_sgpr 22
		.amdhsa_reserve_vcc 1
		.amdhsa_float_round_mode_32 0
		.amdhsa_float_round_mode_16_64 0
		.amdhsa_float_denorm_mode_32 3
		.amdhsa_float_denorm_mode_16_64 3
		.amdhsa_dx10_clamp 1
		.amdhsa_ieee_mode 1
		.amdhsa_fp16_overflow 0
		.amdhsa_workgroup_processor_mode 1
		.amdhsa_memory_ordered 1
		.amdhsa_forward_progress 0
		.amdhsa_shared_vgpr_count 0
		.amdhsa_exception_fp_ieee_invalid_op 0
		.amdhsa_exception_fp_denorm_src 0
		.amdhsa_exception_fp_ieee_div_zero 0
		.amdhsa_exception_fp_ieee_overflow 0
		.amdhsa_exception_fp_ieee_underflow 0
		.amdhsa_exception_fp_ieee_inexact 0
		.amdhsa_exception_int_div_zero 0
	.end_amdhsa_kernel
	.section	.text._ZN2at6native12_GLOBAL__N_125multi_tensor_apply_kernelINS1_18TensorListMetadataILi2EEENS1_14UnaryOpFunctorIN3c104HalfELi2ELi1ELi1EEEJNS0_5Log10IfEEEEEvT_T0_DpT1_,"axG",@progbits,_ZN2at6native12_GLOBAL__N_125multi_tensor_apply_kernelINS1_18TensorListMetadataILi2EEENS1_14UnaryOpFunctorIN3c104HalfELi2ELi1ELi1EEEJNS0_5Log10IfEEEEEvT_T0_DpT1_,comdat
.Lfunc_end182:
	.size	_ZN2at6native12_GLOBAL__N_125multi_tensor_apply_kernelINS1_18TensorListMetadataILi2EEENS1_14UnaryOpFunctorIN3c104HalfELi2ELi1ELi1EEEJNS0_5Log10IfEEEEEvT_T0_DpT1_, .Lfunc_end182-_ZN2at6native12_GLOBAL__N_125multi_tensor_apply_kernelINS1_18TensorListMetadataILi2EEENS1_14UnaryOpFunctorIN3c104HalfELi2ELi1ELi1EEEJNS0_5Log10IfEEEEEvT_T0_DpT1_
                                        ; -- End function
	.section	.AMDGPU.csdata,"",@progbits
; Kernel info:
; codeLenInByte = 1992
; NumSgprs: 24
; NumVgprs: 29
; ScratchSize: 0
; MemoryBound: 0
; FloatMode: 240
; IeeeMode: 1
; LDSByteSize: 0 bytes/workgroup (compile time only)
; SGPRBlocks: 2
; VGPRBlocks: 3
; NumSGPRsForWavesPerEU: 24
; NumVGPRsForWavesPerEU: 29
; Occupancy: 16
; WaveLimiterHint : 0
; COMPUTE_PGM_RSRC2:SCRATCH_EN: 0
; COMPUTE_PGM_RSRC2:USER_SGPR: 15
; COMPUTE_PGM_RSRC2:TRAP_HANDLER: 0
; COMPUTE_PGM_RSRC2:TGID_X_EN: 1
; COMPUTE_PGM_RSRC2:TGID_Y_EN: 0
; COMPUTE_PGM_RSRC2:TGID_Z_EN: 0
; COMPUTE_PGM_RSRC2:TIDIG_COMP_CNT: 0
	.section	.text._ZN2at6native12_GLOBAL__N_125multi_tensor_apply_kernelINS1_18TensorListMetadataILi2EEENS1_14UnaryOpFunctorIN3c108BFloat16ELi2ELi1ELi1EEEJNS0_5Log10IfEEEEEvT_T0_DpT1_,"axG",@progbits,_ZN2at6native12_GLOBAL__N_125multi_tensor_apply_kernelINS1_18TensorListMetadataILi2EEENS1_14UnaryOpFunctorIN3c108BFloat16ELi2ELi1ELi1EEEJNS0_5Log10IfEEEEEvT_T0_DpT1_,comdat
	.globl	_ZN2at6native12_GLOBAL__N_125multi_tensor_apply_kernelINS1_18TensorListMetadataILi2EEENS1_14UnaryOpFunctorIN3c108BFloat16ELi2ELi1ELi1EEEJNS0_5Log10IfEEEEEvT_T0_DpT1_ ; -- Begin function _ZN2at6native12_GLOBAL__N_125multi_tensor_apply_kernelINS1_18TensorListMetadataILi2EEENS1_14UnaryOpFunctorIN3c108BFloat16ELi2ELi1ELi1EEEJNS0_5Log10IfEEEEEvT_T0_DpT1_
	.p2align	8
	.type	_ZN2at6native12_GLOBAL__N_125multi_tensor_apply_kernelINS1_18TensorListMetadataILi2EEENS1_14UnaryOpFunctorIN3c108BFloat16ELi2ELi1ELi1EEEJNS0_5Log10IfEEEEEvT_T0_DpT1_,@function
_ZN2at6native12_GLOBAL__N_125multi_tensor_apply_kernelINS1_18TensorListMetadataILi2EEENS1_14UnaryOpFunctorIN3c108BFloat16ELi2ELi1ELi1EEEJNS0_5Log10IfEEEEEvT_T0_DpT1_: ; @_ZN2at6native12_GLOBAL__N_125multi_tensor_apply_kernelINS1_18TensorListMetadataILi2EEENS1_14UnaryOpFunctorIN3c108BFloat16ELi2ELi1ELi1EEEJNS0_5Log10IfEEEEEvT_T0_DpT1_
; %bb.0:
	v_mov_b32_e32 v1, s15
	s_add_u32 s2, s0, s15
	s_mul_hi_u32 s3, s15, 3
	s_mul_i32 s15, s15, 3
	s_addc_u32 s4, s1, 0
	global_load_u8 v1, v1, s[0:1] offset:1536
	s_add_u32 s2, s2, s15
	s_addc_u32 s3, s4, s3
	s_mov_b32 s7, 0
	s_load_b32 s2, s[2:3], 0x740
	s_mov_b32 s17, s7
	s_mov_b32 s11, s7
	s_waitcnt vmcnt(0)
	v_readfirstlane_b32 s5, v1
	s_delay_alu instid0(VALU_DEP_1)
	s_lshl_b32 s3, s5, 3
	s_clause 0x2
	s_load_b64 s[12:13], s[0:1], s3 offset:0x0
	s_load_b64 s[14:15], s[0:1], s3 offset:0x200
	;; [unrolled: 1-line block ×3, first 2 shown]
	s_waitcnt lgkmcnt(0)
	s_ashr_i32 s3, s2, 31
	s_delay_alu instid0(SALU_CYCLE_1) | instskip(SKIP_4) | instid1(SALU_CYCLE_1)
	s_lshl_b64 s[8:9], s[2:3], 17
	s_lshl_b64 s[2:3], s[2:3], 16
	s_and_b32 s6, s12, 7
	s_and_b32 s10, s14, 7
	;; [unrolled: 1-line block ×3, first 2 shown]
	s_or_b64 s[6:7], s[6:7], s[16:17]
	s_delay_alu instid0(SALU_CYCLE_1)
	s_or_b64 s[6:7], s[10:11], s[6:7]
	s_sub_u32 s10, s4, s2
	s_subb_u32 s11, s5, s3
	s_cmp_eq_u64 s[6:7], 0
	s_mov_b32 s2, -1
	s_cbranch_scc0 .LBB183_5
; %bb.1:
	v_dual_mov_b32 v2, 0 :: v_dual_lshlrev_b32 v1, 2, v0
	s_mov_b32 s7, exec_lo
	s_delay_alu instid0(VALU_DEP_1)
	v_cmpx_gt_i64_e64 s[10:11], v[1:2]
	s_cbranch_execz .LBB183_4
; %bb.2:
	s_load_b32 s2, s[0:1], 0xc5c
	v_lshlrev_b32_e32 v1, 3, v0
	s_mov_b32 s16, 0
	s_delay_alu instid0(VALU_DEP_1) | instskip(NEXT) | instid1(VALU_DEP_1)
	v_add_co_u32 v3, s3, s8, v1
	v_add_co_ci_u32_e64 v4, null, s9, 0, s3
	s_waitcnt lgkmcnt(0)
	s_and_b32 s2, s2, 0xffff
	s_delay_alu instid0(SALU_CYCLE_1)
	v_add_lshl_u32 v1, v0, s2, 2
	s_lshl_b32 s17, s2, 3
	s_lshl_b32 s18, s2, 2
.LBB183_3:                              ; =>This Inner Loop Header: Depth=1
	v_add_co_u32 v5, vcc_lo, s12, v3
	v_add_co_ci_u32_e32 v6, vcc_lo, s13, v4, vcc_lo
	v_add_co_u32 v7, vcc_lo, s14, v3
	v_add_co_ci_u32_e32 v8, vcc_lo, s15, v4, vcc_lo
	global_load_b64 v[5:6], v[5:6], off
	v_cmp_le_i64_e32 vcc_lo, s[10:11], v[1:2]
	v_cmp_lt_u64_e64 s2, 0xffff, v[1:2]
	v_add_co_u32 v3, s3, v3, s17
	s_delay_alu instid0(VALU_DEP_1) | instskip(SKIP_1) | instid1(VALU_DEP_4)
	v_add_co_ci_u32_e64 v4, s3, 0, v4, s3
	v_add_co_u32 v1, s3, v1, s18
	s_or_b32 s2, vcc_lo, s2
	v_add_co_ci_u32_e64 v2, s3, 0, v2, s3
	s_and_b32 s2, exec_lo, s2
	s_delay_alu instid0(SALU_CYCLE_1) | instskip(SKIP_2) | instid1(VALU_DEP_1)
	s_or_b32 s16, s2, s16
	s_waitcnt vmcnt(0)
	v_and_b32_e32 v10, 0xffff0000, v5
	v_cmp_gt_f32_e64 s5, 0x800000, v10
	s_delay_alu instid0(VALU_DEP_1) | instskip(SKIP_2) | instid1(VALU_DEP_3)
	v_cndmask_b32_e64 v12, 1.0, 0x4f800000, s5
	v_lshlrev_b32_e32 v9, 16, v5
	v_alignbit_b32 v5, v6, v5, 16
	v_mul_f32_e32 v10, v10, v12
	s_delay_alu instid0(VALU_DEP_3) | instskip(SKIP_1) | instid1(VALU_DEP_4)
	v_cmp_gt_f32_e64 s4, 0x800000, v9
	v_cndmask_b32_e64 v12, 0, 0x411a209b, s5
	v_and_b32_e32 v5, 0xffff0000, v5
	s_delay_alu instid0(VALU_DEP_4) | instskip(NEXT) | instid1(VALU_DEP_3)
	v_log_f32_e32 v10, v10
	v_cndmask_b32_e64 v11, 1.0, 0x4f800000, s4
	s_delay_alu instid0(VALU_DEP_1)
	v_mul_f32_e32 v9, v9, v11
	v_cndmask_b32_e64 v11, 0, 0x411a209b, s4
	v_and_b32_e32 v6, 0xffff0000, v6
	v_cmp_gt_f32_e64 s4, 0x800000, v5
	s_waitcnt_depctr 0xfff
	v_mul_f32_e32 v16, 0x3e9a209a, v10
	v_log_f32_e32 v9, v9
	v_cmp_gt_f32_e64 s6, 0x800000, v6
	v_cndmask_b32_e64 v14, 1.0, 0x4f800000, s4
	s_delay_alu instid0(VALU_DEP_3) | instskip(NEXT) | instid1(VALU_DEP_3)
	v_fma_f32 v16, 0x3e9a209a, v10, -v16
	v_cndmask_b32_e64 v13, 1.0, 0x4f800000, s6
	s_delay_alu instid0(VALU_DEP_3) | instskip(SKIP_1) | instid1(TRANS32_DEP_1)
	v_mul_f32_e32 v5, v5, v14
	v_cndmask_b32_e64 v14, 0, 0x411a209b, s4
	v_mul_f32_e32 v15, 0x3e9a209a, v9
	v_cmp_gt_f32_e64 s4, 0x7f800000, |v10|
	v_mul_f32_e32 v6, v6, v13
	v_log_f32_e32 v5, v5
	v_cndmask_b32_e64 v13, 0, 0x411a209b, s6
	v_fma_f32 v15, 0x3e9a209a, v9, -v15
	v_cmp_gt_f32_e64 s6, 0x7f800000, |v9|
	v_log_f32_e32 v6, v6
	s_delay_alu instid0(VALU_DEP_2) | instskip(SKIP_4) | instid1(VALU_DEP_3)
	v_dual_fmac_f32 v16, 0x3284fbcf, v10 :: v_dual_fmac_f32 v15, 0x3284fbcf, v9
	s_waitcnt_depctr 0xfff
	v_mul_f32_e32 v18, 0x3e9a209a, v5
	v_dual_fmac_f32 v16, 0x3e9a209a, v10 :: v_dual_fmac_f32 v15, 0x3e9a209a, v9
	v_mul_f32_e32 v17, 0x3e9a209a, v6
	v_fma_f32 v18, 0x3e9a209a, v5, -v18
	v_cmp_gt_f32_e64 s5, 0x7f800000, |v6|
	s_delay_alu instid0(VALU_DEP_4) | instskip(SKIP_4) | instid1(VALU_DEP_4)
	v_cndmask_b32_e64 v9, v9, v15, s6
	v_cndmask_b32_e64 v10, v10, v16, s4
	v_fma_f32 v17, 0x3e9a209a, v6, -v17
	v_fmac_f32_e32 v18, 0x3284fbcf, v5
	v_cmp_gt_f32_e64 s4, 0x7f800000, |v5|
	v_dual_sub_f32 v9, v9, v11 :: v_dual_sub_f32 v10, v10, v12
	s_delay_alu instid0(VALU_DEP_4) | instskip(NEXT) | instid1(VALU_DEP_4)
	v_fmac_f32_e32 v17, 0x3284fbcf, v6
	v_fmac_f32_e32 v18, 0x3e9a209a, v5
	s_delay_alu instid0(VALU_DEP_3) | instskip(NEXT) | instid1(VALU_DEP_4)
	v_bfe_u32 v11, v9, 16, 1
	v_bfe_u32 v12, v10, 16, 1
	s_delay_alu instid0(VALU_DEP_4) | instskip(NEXT) | instid1(VALU_DEP_4)
	v_fmac_f32_e32 v17, 0x3e9a209a, v6
	v_cndmask_b32_e64 v5, v5, v18, s4
	v_cmp_o_f32_e64 s4, v9, v9
	v_add3_u32 v11, v9, v11, 0x7fff
	v_add3_u32 v12, v10, v12, 0x7fff
	v_cndmask_b32_e64 v6, v6, v17, s5
	v_sub_f32_e32 v5, v5, v14
	v_cmp_o_f32_e64 s5, v10, v10
	v_lshrrev_b32_e32 v11, 16, v11
	v_and_b32_e32 v12, 0xffff0000, v12
	v_sub_f32_e32 v6, v6, v13
	v_bfe_u32 v14, v5, 16, 1
	s_delay_alu instid0(VALU_DEP_4) | instskip(NEXT) | instid1(VALU_DEP_4)
	v_cndmask_b32_e64 v11, 0x7fc0, v11, s4
	v_cndmask_b32_e64 v10, 0x7fc00000, v12, s5
	s_delay_alu instid0(VALU_DEP_4) | instskip(NEXT) | instid1(VALU_DEP_4)
	v_bfe_u32 v13, v6, 16, 1
	v_add3_u32 v14, v5, v14, 0x7fff
	v_cmp_o_f32_e64 s4, v6, v6
	s_delay_alu instid0(VALU_DEP_3) | instskip(NEXT) | instid1(VALU_DEP_3)
	v_add3_u32 v13, v6, v13, 0x7fff
	v_lshrrev_b32_e32 v9, 16, v14
	s_delay_alu instid0(VALU_DEP_2) | instskip(NEXT) | instid1(VALU_DEP_1)
	v_and_b32_e32 v13, 0xffff0000, v13
	v_cndmask_b32_e64 v6, 0x7fc00000, v13, s4
	v_cmp_o_f32_e64 s4, v5, v5
	s_delay_alu instid0(VALU_DEP_1) | instskip(SKIP_1) | instid1(VALU_DEP_2)
	v_cndmask_b32_e64 v5, 0x7fc0, v9, s4
	v_or_b32_e32 v9, v11, v10
	v_or3_b32 v6, 0, v5, v6
	s_delay_alu instid0(VALU_DEP_2)
	v_or3_b32 v5, v9, 0, 0
	global_store_b64 v[7:8], v[5:6], off
	s_and_not1_b32 exec_lo, exec_lo, s16
	s_cbranch_execnz .LBB183_3
.LBB183_4:
	s_or_b32 exec_lo, exec_lo, s7
	s_mov_b32 s2, 0
.LBB183_5:
	s_delay_alu instid0(SALU_CYCLE_1)
	s_and_not1_b32 vcc_lo, exec_lo, s2
	s_cbranch_vccnz .LBB183_25
; %bb.6:
	v_cmp_lt_i64_e64 s2, s[10:11], 1
	s_delay_alu instid0(VALU_DEP_1)
	s_and_b32 vcc_lo, exec_lo, s2
	s_cbranch_vccnz .LBB183_25
; %bb.7:
	s_load_b32 s0, s[0:1], 0xc5c
	v_dual_mov_b32 v10, 0 :: v_dual_lshlrev_b32 v9, 1, v0
	v_cmp_gt_u64_e64 s1, 0x10000, s[10:11]
	s_mov_b64 s[6:7], 0
	s_delay_alu instid0(VALU_DEP_2) | instskip(NEXT) | instid1(VALU_DEP_1)
	v_add_co_u32 v1, s2, s12, v9
	v_add_co_ci_u32_e64 v2, null, s13, 0, s2
	v_add_co_u32 v3, s2, s14, v9
	s_delay_alu instid0(VALU_DEP_1)
	v_add_co_ci_u32_e64 v4, null, s15, 0, s2
	s_waitcnt lgkmcnt(0)
	s_and_b32 s0, s0, 0xffff
	s_and_b32 s1, s1, exec_lo
	v_mad_u64_u32 v[7:8], null, s0, 6, v[9:10]
	s_cselect_b32 s5, s11, 0
	s_cselect_b32 s4, s10, 0x10000
	s_mul_i32 s2, s0, 3
	s_lshl_b32 s16, s0, 2
	s_lshl_b32 s1, s0, 1
	v_add_co_u32 v14, s3, s16, v9
	v_add_co_u32 v9, s2, s2, v0
	s_delay_alu instid0(VALU_DEP_1) | instskip(SKIP_3) | instid1(VALU_DEP_3)
	v_add_co_ci_u32_e64 v10, null, 0, 0, s2
	v_add_co_u32 v13, s2, v0, s0
	v_add_co_u32 v5, vcc_lo, s12, v7
	v_add_co_ci_u32_e32 v6, vcc_lo, s13, v8, vcc_lo
	v_lshlrev_b32_e32 v21, 1, v13
	v_add_co_u32 v7, vcc_lo, s14, v7
	v_add_co_ci_u32_e64 v15, null, 0, 0, s3
	v_add_co_ci_u32_e32 v8, vcc_lo, s15, v8, vcc_lo
	v_add_co_u32 v17, s1, s1, v0
	v_add_co_u32 v11, vcc_lo, s12, v14
	v_add_co_ci_u32_e64 v18, null, 0, 0, s1
	v_add_co_u32 v19, s1, s12, v21
	v_add_co_ci_u32_e32 v12, vcc_lo, s13, v15, vcc_lo
	v_add_co_u32 v14, vcc_lo, s14, v14
	v_add_co_ci_u32_e64 v20, null, s13, 0, s1
	v_add_co_u32 v21, s1, s14, v21
	v_add_co_ci_u32_e32 v15, vcc_lo, s15, v15, vcc_lo
	v_add_co_ci_u32_e64 v16, null, 0, 0, s2
	v_add_co_ci_u32_e64 v22, null, s15, 0, s1
	s_lshl_b32 s12, s0, 3
	s_branch .LBB183_9
.LBB183_8:                              ;   in Loop: Header=BB183_9 Depth=1
	s_or_b32 exec_lo, exec_lo, s0
	v_add_co_u32 v1, vcc_lo, v1, s12
	v_add_co_ci_u32_e32 v2, vcc_lo, 0, v2, vcc_lo
	v_add_co_u32 v3, vcc_lo, v3, s12
	v_add_co_ci_u32_e32 v4, vcc_lo, 0, v4, vcc_lo
	;; [unrolled: 2-line block ×5, first 2 shown]
	s_add_u32 s6, s6, s16
	v_add_co_u32 v14, vcc_lo, v14, s12
	s_addc_u32 s7, s7, 0
	v_add_co_ci_u32_e32 v15, vcc_lo, 0, v15, vcc_lo
	v_cmp_ge_i64_e64 s0, s[6:7], s[10:11]
	v_cmp_lt_u64_e64 s1, 0xffff, s[6:7]
	v_add_co_u32 v19, vcc_lo, v19, s12
	v_add_co_ci_u32_e32 v20, vcc_lo, 0, v20, vcc_lo
	v_add_co_u32 v21, vcc_lo, v21, s12
	v_add_co_ci_u32_e32 v22, vcc_lo, 0, v22, vcc_lo
	s_or_b32 s0, s0, s1
	s_delay_alu instid0(SALU_CYCLE_1)
	s_and_b32 vcc_lo, exec_lo, s0
	s_cbranch_vccnz .LBB183_25
.LBB183_9:                              ; =>This Inner Loop Header: Depth=1
	s_waitcnt vmcnt(0)
	v_add_co_u32 v23, s0, v0, s6
	s_delay_alu instid0(VALU_DEP_1) | instskip(SKIP_1) | instid1(VALU_DEP_2)
	v_add_co_ci_u32_e64 v24, null, 0, s7, s0
	v_mov_b32_e32 v26, 0
	v_cmp_gt_u64_e64 s2, s[4:5], v[23:24]
	s_delay_alu instid0(VALU_DEP_1)
	s_and_saveexec_b32 s0, s2
	s_cbranch_execz .LBB183_11
; %bb.10:                               ;   in Loop: Header=BB183_9 Depth=1
	v_add_co_u32 v23, vcc_lo, v1, s8
	v_add_co_ci_u32_e32 v24, vcc_lo, s9, v2, vcc_lo
	global_load_u16 v26, v[23:24], off
.LBB183_11:                             ;   in Loop: Header=BB183_9 Depth=1
	s_or_b32 exec_lo, exec_lo, s0
	v_add_co_u32 v23, vcc_lo, v13, s6
	v_add_co_ci_u32_e32 v24, vcc_lo, s7, v16, vcc_lo
	v_mov_b32_e32 v25, 0
	s_delay_alu instid0(VALU_DEP_2) | instskip(NEXT) | instid1(VALU_DEP_1)
	v_cmp_gt_u64_e64 s1, s[4:5], v[23:24]
	s_and_saveexec_b32 s0, s1
	s_cbranch_execz .LBB183_13
; %bb.12:                               ;   in Loop: Header=BB183_9 Depth=1
	v_add_co_u32 v23, vcc_lo, v19, s8
	v_add_co_ci_u32_e32 v24, vcc_lo, s9, v20, vcc_lo
	global_load_u16 v25, v[23:24], off
.LBB183_13:                             ;   in Loop: Header=BB183_9 Depth=1
	s_or_b32 exec_lo, exec_lo, s0
	v_add_co_u32 v23, vcc_lo, v17, s6
	v_add_co_ci_u32_e32 v24, vcc_lo, s7, v18, vcc_lo
	s_delay_alu instid0(VALU_DEP_1) | instskip(SKIP_1) | instid1(VALU_DEP_2)
	v_cmp_gt_u64_e64 s0, s[4:5], v[23:24]
	v_dual_mov_b32 v23, 0 :: v_dual_mov_b32 v24, 0
	s_and_saveexec_b32 s3, s0
	s_cbranch_execz .LBB183_15
; %bb.14:                               ;   in Loop: Header=BB183_9 Depth=1
	v_add_co_u32 v27, vcc_lo, v11, s8
	v_add_co_ci_u32_e32 v28, vcc_lo, s9, v12, vcc_lo
	global_load_u16 v24, v[27:28], off
.LBB183_15:                             ;   in Loop: Header=BB183_9 Depth=1
	s_or_b32 exec_lo, exec_lo, s3
	v_add_co_u32 v27, vcc_lo, v9, s6
	v_add_co_ci_u32_e32 v28, vcc_lo, s7, v10, vcc_lo
	s_delay_alu instid0(VALU_DEP_1)
	v_cmp_gt_u64_e32 vcc_lo, s[4:5], v[27:28]
	s_and_saveexec_b32 s13, vcc_lo
	s_cbranch_execnz .LBB183_20
; %bb.16:                               ;   in Loop: Header=BB183_9 Depth=1
	s_or_b32 exec_lo, exec_lo, s13
	s_and_saveexec_b32 s3, s2
	s_cbranch_execnz .LBB183_21
.LBB183_17:                             ;   in Loop: Header=BB183_9 Depth=1
	s_or_b32 exec_lo, exec_lo, s3
	s_and_saveexec_b32 s2, s1
	s_cbranch_execnz .LBB183_22
.LBB183_18:                             ;   in Loop: Header=BB183_9 Depth=1
	s_or_b32 exec_lo, exec_lo, s2
	s_and_saveexec_b32 s1, s0
	s_cbranch_execnz .LBB183_23
.LBB183_19:                             ;   in Loop: Header=BB183_9 Depth=1
	s_or_b32 exec_lo, exec_lo, s1
	s_and_saveexec_b32 s0, vcc_lo
	s_cbranch_execz .LBB183_8
	s_branch .LBB183_24
.LBB183_20:                             ;   in Loop: Header=BB183_9 Depth=1
	v_add_co_u32 v27, s3, v5, s8
	s_delay_alu instid0(VALU_DEP_1)
	v_add_co_ci_u32_e64 v28, s3, s9, v6, s3
	global_load_u16 v23, v[27:28], off
	s_or_b32 exec_lo, exec_lo, s13
	s_and_saveexec_b32 s3, s2
	s_cbranch_execz .LBB183_17
.LBB183_21:                             ;   in Loop: Header=BB183_9 Depth=1
	s_waitcnt vmcnt(0)
	v_lshlrev_b32_e32 v26, 16, v26
	s_delay_alu instid0(VALU_DEP_1) | instskip(NEXT) | instid1(VALU_DEP_1)
	v_cmp_gt_f32_e64 s2, 0x800000, v26
	v_cndmask_b32_e64 v27, 1.0, 0x4f800000, s2
	v_cndmask_b32_e64 v28, 0, 0x411a209b, s2
	s_delay_alu instid0(VALU_DEP_2) | instskip(NEXT) | instid1(VALU_DEP_1)
	v_mul_f32_e32 v26, v26, v27
	v_log_f32_e32 v26, v26
	s_waitcnt_depctr 0xfff
	v_mul_f32_e32 v27, 0x3e9a209a, v26
	v_cmp_gt_f32_e64 s2, 0x7f800000, |v26|
	s_delay_alu instid0(VALU_DEP_2) | instskip(NEXT) | instid1(VALU_DEP_1)
	v_fma_f32 v27, 0x3e9a209a, v26, -v27
	v_fmac_f32_e32 v27, 0x3284fbcf, v26
	s_delay_alu instid0(VALU_DEP_1) | instskip(NEXT) | instid1(VALU_DEP_1)
	v_fmac_f32_e32 v27, 0x3e9a209a, v26
	v_cndmask_b32_e64 v26, v26, v27, s2
	s_delay_alu instid0(VALU_DEP_1) | instskip(NEXT) | instid1(VALU_DEP_1)
	v_sub_f32_e32 v26, v26, v28
	v_bfe_u32 v27, v26, 16, 1
	v_cmp_o_f32_e64 s2, v26, v26
	s_delay_alu instid0(VALU_DEP_2) | instskip(NEXT) | instid1(VALU_DEP_1)
	v_add3_u32 v27, v26, v27, 0x7fff
	v_lshrrev_b32_e32 v27, 16, v27
	s_delay_alu instid0(VALU_DEP_1) | instskip(SKIP_1) | instid1(VALU_DEP_1)
	v_cndmask_b32_e64 v28, 0x7fc0, v27, s2
	v_add_co_u32 v26, s2, v3, s8
	v_add_co_ci_u32_e64 v27, s2, s9, v4, s2
	global_store_b16 v[26:27], v28, off
	s_or_b32 exec_lo, exec_lo, s3
	s_and_saveexec_b32 s2, s1
	s_cbranch_execz .LBB183_18
.LBB183_22:                             ;   in Loop: Header=BB183_9 Depth=1
	s_waitcnt vmcnt(0)
	v_lshlrev_b32_e32 v25, 16, v25
	s_delay_alu instid0(VALU_DEP_1) | instskip(NEXT) | instid1(VALU_DEP_1)
	v_cmp_gt_f32_e64 s1, 0x800000, v25
	v_cndmask_b32_e64 v26, 1.0, 0x4f800000, s1
	v_cndmask_b32_e64 v27, 0, 0x411a209b, s1
	s_delay_alu instid0(VALU_DEP_2) | instskip(NEXT) | instid1(VALU_DEP_1)
	v_mul_f32_e32 v25, v25, v26
	v_log_f32_e32 v25, v25
	s_waitcnt_depctr 0xfff
	v_mul_f32_e32 v26, 0x3e9a209a, v25
	v_cmp_gt_f32_e64 s1, 0x7f800000, |v25|
	s_delay_alu instid0(VALU_DEP_2) | instskip(NEXT) | instid1(VALU_DEP_1)
	v_fma_f32 v26, 0x3e9a209a, v25, -v26
	v_fmac_f32_e32 v26, 0x3284fbcf, v25
	s_delay_alu instid0(VALU_DEP_1) | instskip(NEXT) | instid1(VALU_DEP_1)
	v_fmac_f32_e32 v26, 0x3e9a209a, v25
	v_cndmask_b32_e64 v25, v25, v26, s1
	s_delay_alu instid0(VALU_DEP_1) | instskip(NEXT) | instid1(VALU_DEP_1)
	v_sub_f32_e32 v25, v25, v27
	v_bfe_u32 v26, v25, 16, 1
	v_cmp_o_f32_e64 s1, v25, v25
	s_delay_alu instid0(VALU_DEP_2) | instskip(NEXT) | instid1(VALU_DEP_1)
	v_add3_u32 v26, v25, v26, 0x7fff
	v_lshrrev_b32_e32 v26, 16, v26
	s_delay_alu instid0(VALU_DEP_1) | instskip(SKIP_1) | instid1(VALU_DEP_1)
	v_cndmask_b32_e64 v27, 0x7fc0, v26, s1
	v_add_co_u32 v25, s1, v21, s8
	v_add_co_ci_u32_e64 v26, s1, s9, v22, s1
	global_store_b16 v[25:26], v27, off
	s_or_b32 exec_lo, exec_lo, s2
	s_and_saveexec_b32 s1, s0
	s_cbranch_execz .LBB183_19
.LBB183_23:                             ;   in Loop: Header=BB183_9 Depth=1
	s_waitcnt vmcnt(0)
	v_lshlrev_b32_e32 v24, 16, v24
	s_delay_alu instid0(VALU_DEP_1) | instskip(NEXT) | instid1(VALU_DEP_1)
	v_cmp_gt_f32_e64 s0, 0x800000, v24
	v_cndmask_b32_e64 v25, 1.0, 0x4f800000, s0
	v_cndmask_b32_e64 v26, 0, 0x411a209b, s0
	s_delay_alu instid0(VALU_DEP_2) | instskip(NEXT) | instid1(VALU_DEP_1)
	v_mul_f32_e32 v24, v24, v25
	v_log_f32_e32 v24, v24
	s_waitcnt_depctr 0xfff
	v_mul_f32_e32 v25, 0x3e9a209a, v24
	v_cmp_gt_f32_e64 s0, 0x7f800000, |v24|
	s_delay_alu instid0(VALU_DEP_2) | instskip(NEXT) | instid1(VALU_DEP_1)
	v_fma_f32 v25, 0x3e9a209a, v24, -v25
	v_fmac_f32_e32 v25, 0x3284fbcf, v24
	s_delay_alu instid0(VALU_DEP_1) | instskip(NEXT) | instid1(VALU_DEP_1)
	v_fmac_f32_e32 v25, 0x3e9a209a, v24
	v_cndmask_b32_e64 v24, v24, v25, s0
	s_delay_alu instid0(VALU_DEP_1) | instskip(NEXT) | instid1(VALU_DEP_1)
	v_sub_f32_e32 v24, v24, v26
	v_bfe_u32 v25, v24, 16, 1
	v_cmp_o_f32_e64 s0, v24, v24
	s_delay_alu instid0(VALU_DEP_2) | instskip(NEXT) | instid1(VALU_DEP_1)
	v_add3_u32 v25, v24, v25, 0x7fff
	v_lshrrev_b32_e32 v25, 16, v25
	s_delay_alu instid0(VALU_DEP_1) | instskip(SKIP_1) | instid1(VALU_DEP_1)
	v_cndmask_b32_e64 v26, 0x7fc0, v25, s0
	v_add_co_u32 v24, s0, v14, s8
	v_add_co_ci_u32_e64 v25, s0, s9, v15, s0
	global_store_b16 v[24:25], v26, off
	s_or_b32 exec_lo, exec_lo, s1
	s_and_saveexec_b32 s0, vcc_lo
	s_cbranch_execz .LBB183_8
.LBB183_24:                             ;   in Loop: Header=BB183_9 Depth=1
	s_waitcnt vmcnt(0)
	v_lshlrev_b32_e32 v23, 16, v23
	s_delay_alu instid0(VALU_DEP_1) | instskip(SKIP_2) | instid1(VALU_DEP_2)
	v_cmp_gt_f32_e32 vcc_lo, 0x800000, v23
	v_cndmask_b32_e64 v24, 1.0, 0x4f800000, vcc_lo
	v_cndmask_b32_e64 v25, 0, 0x411a209b, vcc_lo
	v_mul_f32_e32 v23, v23, v24
	s_delay_alu instid0(VALU_DEP_1) | instskip(SKIP_3) | instid1(VALU_DEP_2)
	v_log_f32_e32 v23, v23
	s_waitcnt_depctr 0xfff
	v_mul_f32_e32 v24, 0x3e9a209a, v23
	v_cmp_gt_f32_e64 vcc_lo, 0x7f800000, |v23|
	v_fma_f32 v24, 0x3e9a209a, v23, -v24
	s_delay_alu instid0(VALU_DEP_1) | instskip(NEXT) | instid1(VALU_DEP_1)
	v_fmac_f32_e32 v24, 0x3284fbcf, v23
	v_fmac_f32_e32 v24, 0x3e9a209a, v23
	s_delay_alu instid0(VALU_DEP_1) | instskip(NEXT) | instid1(VALU_DEP_1)
	v_cndmask_b32_e32 v23, v23, v24, vcc_lo
	v_sub_f32_e32 v23, v23, v25
	s_delay_alu instid0(VALU_DEP_1) | instskip(SKIP_1) | instid1(VALU_DEP_2)
	v_bfe_u32 v24, v23, 16, 1
	v_cmp_o_f32_e32 vcc_lo, v23, v23
	v_add3_u32 v24, v23, v24, 0x7fff
	s_delay_alu instid0(VALU_DEP_1) | instskip(NEXT) | instid1(VALU_DEP_1)
	v_lshrrev_b32_e32 v24, 16, v24
	v_cndmask_b32_e32 v25, 0x7fc0, v24, vcc_lo
	v_add_co_u32 v23, vcc_lo, v7, s8
	v_add_co_ci_u32_e32 v24, vcc_lo, s9, v8, vcc_lo
	global_store_b16 v[23:24], v25, off
	s_branch .LBB183_8
.LBB183_25:
	s_nop 0
	s_sendmsg sendmsg(MSG_DEALLOC_VGPRS)
	s_endpgm
	.section	.rodata,"a",@progbits
	.p2align	6, 0x0
	.amdhsa_kernel _ZN2at6native12_GLOBAL__N_125multi_tensor_apply_kernelINS1_18TensorListMetadataILi2EEENS1_14UnaryOpFunctorIN3c108BFloat16ELi2ELi1ELi1EEEJNS0_5Log10IfEEEEEvT_T0_DpT1_
		.amdhsa_group_segment_fixed_size 0
		.amdhsa_private_segment_fixed_size 0
		.amdhsa_kernarg_size 3408
		.amdhsa_user_sgpr_count 15
		.amdhsa_user_sgpr_dispatch_ptr 0
		.amdhsa_user_sgpr_queue_ptr 0
		.amdhsa_user_sgpr_kernarg_segment_ptr 1
		.amdhsa_user_sgpr_dispatch_id 0
		.amdhsa_user_sgpr_private_segment_size 0
		.amdhsa_wavefront_size32 1
		.amdhsa_uses_dynamic_stack 0
		.amdhsa_enable_private_segment 0
		.amdhsa_system_sgpr_workgroup_id_x 1
		.amdhsa_system_sgpr_workgroup_id_y 0
		.amdhsa_system_sgpr_workgroup_id_z 0
		.amdhsa_system_sgpr_workgroup_info 0
		.amdhsa_system_vgpr_workitem_id 0
		.amdhsa_next_free_vgpr 29
		.amdhsa_next_free_sgpr 19
		.amdhsa_reserve_vcc 1
		.amdhsa_float_round_mode_32 0
		.amdhsa_float_round_mode_16_64 0
		.amdhsa_float_denorm_mode_32 3
		.amdhsa_float_denorm_mode_16_64 3
		.amdhsa_dx10_clamp 1
		.amdhsa_ieee_mode 1
		.amdhsa_fp16_overflow 0
		.amdhsa_workgroup_processor_mode 1
		.amdhsa_memory_ordered 1
		.amdhsa_forward_progress 0
		.amdhsa_shared_vgpr_count 0
		.amdhsa_exception_fp_ieee_invalid_op 0
		.amdhsa_exception_fp_denorm_src 0
		.amdhsa_exception_fp_ieee_div_zero 0
		.amdhsa_exception_fp_ieee_overflow 0
		.amdhsa_exception_fp_ieee_underflow 0
		.amdhsa_exception_fp_ieee_inexact 0
		.amdhsa_exception_int_div_zero 0
	.end_amdhsa_kernel
	.section	.text._ZN2at6native12_GLOBAL__N_125multi_tensor_apply_kernelINS1_18TensorListMetadataILi2EEENS1_14UnaryOpFunctorIN3c108BFloat16ELi2ELi1ELi1EEEJNS0_5Log10IfEEEEEvT_T0_DpT1_,"axG",@progbits,_ZN2at6native12_GLOBAL__N_125multi_tensor_apply_kernelINS1_18TensorListMetadataILi2EEENS1_14UnaryOpFunctorIN3c108BFloat16ELi2ELi1ELi1EEEJNS0_5Log10IfEEEEEvT_T0_DpT1_,comdat
.Lfunc_end183:
	.size	_ZN2at6native12_GLOBAL__N_125multi_tensor_apply_kernelINS1_18TensorListMetadataILi2EEENS1_14UnaryOpFunctorIN3c108BFloat16ELi2ELi1ELi1EEEJNS0_5Log10IfEEEEEvT_T0_DpT1_, .Lfunc_end183-_ZN2at6native12_GLOBAL__N_125multi_tensor_apply_kernelINS1_18TensorListMetadataILi2EEENS1_14UnaryOpFunctorIN3c108BFloat16ELi2ELi1ELi1EEEJNS0_5Log10IfEEEEEvT_T0_DpT1_
                                        ; -- End function
	.section	.AMDGPU.csdata,"",@progbits
; Kernel info:
; codeLenInByte = 2760
; NumSgprs: 21
; NumVgprs: 29
; ScratchSize: 0
; MemoryBound: 0
; FloatMode: 240
; IeeeMode: 1
; LDSByteSize: 0 bytes/workgroup (compile time only)
; SGPRBlocks: 2
; VGPRBlocks: 3
; NumSGPRsForWavesPerEU: 21
; NumVGPRsForWavesPerEU: 29
; Occupancy: 16
; WaveLimiterHint : 0
; COMPUTE_PGM_RSRC2:SCRATCH_EN: 0
; COMPUTE_PGM_RSRC2:USER_SGPR: 15
; COMPUTE_PGM_RSRC2:TRAP_HANDLER: 0
; COMPUTE_PGM_RSRC2:TGID_X_EN: 1
; COMPUTE_PGM_RSRC2:TGID_Y_EN: 0
; COMPUTE_PGM_RSRC2:TGID_Z_EN: 0
; COMPUTE_PGM_RSRC2:TIDIG_COMP_CNT: 0
	.section	.text._ZN2at6native12_GLOBAL__N_125multi_tensor_apply_kernelINS1_18TensorListMetadataILi1EEENS1_14UnaryOpFunctorIdLi1ELi1ELi0EEEJNS0_5Log10IdEEEEEvT_T0_DpT1_,"axG",@progbits,_ZN2at6native12_GLOBAL__N_125multi_tensor_apply_kernelINS1_18TensorListMetadataILi1EEENS1_14UnaryOpFunctorIdLi1ELi1ELi0EEEJNS0_5Log10IdEEEEEvT_T0_DpT1_,comdat
	.globl	_ZN2at6native12_GLOBAL__N_125multi_tensor_apply_kernelINS1_18TensorListMetadataILi1EEENS1_14UnaryOpFunctorIdLi1ELi1ELi0EEEJNS0_5Log10IdEEEEEvT_T0_DpT1_ ; -- Begin function _ZN2at6native12_GLOBAL__N_125multi_tensor_apply_kernelINS1_18TensorListMetadataILi1EEENS1_14UnaryOpFunctorIdLi1ELi1ELi0EEEJNS0_5Log10IdEEEEEvT_T0_DpT1_
	.p2align	8
	.type	_ZN2at6native12_GLOBAL__N_125multi_tensor_apply_kernelINS1_18TensorListMetadataILi1EEENS1_14UnaryOpFunctorIdLi1ELi1ELi0EEEJNS0_5Log10IdEEEEEvT_T0_DpT1_,@function
_ZN2at6native12_GLOBAL__N_125multi_tensor_apply_kernelINS1_18TensorListMetadataILi1EEENS1_14UnaryOpFunctorIdLi1ELi1ELi0EEEJNS0_5Log10IdEEEEEvT_T0_DpT1_: ; @_ZN2at6native12_GLOBAL__N_125multi_tensor_apply_kernelINS1_18TensorListMetadataILi1EEENS1_14UnaryOpFunctorIdLi1ELi1ELi0EEEJNS0_5Log10IdEEEEEvT_T0_DpT1_
; %bb.0:
	v_mov_b32_e32 v1, s15
	s_add_u32 s2, s0, s15
	s_mul_hi_u32 s3, s15, 3
	s_mul_i32 s15, s15, 3
	s_addc_u32 s4, s1, 0
	global_load_u8 v1, v1, s[0:1] offset:1760
	s_add_u32 s2, s2, s15
	s_addc_u32 s3, s4, s3
	s_mov_b32 s13, 0
	s_load_b32 s2, s[2:3], 0x820
	s_waitcnt vmcnt(0)
	v_readfirstlane_b32 s5, v1
	s_delay_alu instid0(VALU_DEP_1)
	s_lshl_b32 s3, s5, 3
	s_clause 0x1
	s_load_b64 s[8:9], s[0:1], s3 offset:0x0
	s_load_b64 s[4:5], s[0:1], s3 offset:0x370
	s_waitcnt lgkmcnt(0)
	s_ashr_i32 s3, s2, 31
	s_delay_alu instid0(SALU_CYCLE_1)
	s_lshl_b64 s[10:11], s[2:3], 19
	s_lshl_b64 s[2:3], s[2:3], 16
	s_and_b32 s12, s8, 31
	s_sub_u32 s6, s4, s2
	s_subb_u32 s7, s5, s3
	s_and_b32 s2, s4, 3
	s_mov_b32 s3, s13
	s_delay_alu instid0(SALU_CYCLE_1) | instskip(NEXT) | instid1(SALU_CYCLE_1)
	s_or_b64 s[2:3], s[12:13], s[2:3]
	s_cmp_eq_u64 s[2:3], 0
	s_cbranch_scc1 .LBB184_21
; %bb.1:
	v_cmp_lt_i64_e64 s2, s[6:7], 1
	s_delay_alu instid0(VALU_DEP_1)
	s_and_b32 vcc_lo, exec_lo, s2
	s_cbranch_vccnz .LBB184_20
; %bb.2:
	s_load_b32 s2, s[0:1], 0xd3c
	v_cmp_gt_u64_e64 s3, 0x10000, s[6:7]
	v_dual_mov_b32 v1, 0 :: v_dual_lshlrev_b32 v2, 3, v0
	s_mov_b32 s14, 0x55555555
	s_mov_b32 s16, 0x509f79ff
	;; [unrolled: 1-line block ×16, first 2 shown]
	s_waitcnt lgkmcnt(0)
	s_and_b32 s2, s2, 0xffff
	s_and_b32 s3, s3, exec_lo
	v_add_co_u32 v15, s5, v0, s2
	s_mul_i32 s4, s2, 3
	s_cselect_b32 s13, s7, 0
	s_cselect_b32 s12, s6, 0x10000
	s_lshl_b32 s3, s2, 1
	s_lshl_b32 s33, s2, 2
	s_add_u32 s38, s8, s10
	v_add_co_u32 v16, s4, s4, v0
	s_delay_alu instid0(VALU_DEP_1)
	v_add_co_ci_u32_e64 v17, null, 0, 0, s4
	v_add_co_u32 v3, s4, s38, v2
	v_lshlrev_b32_e32 v2, 3, v15
	v_add_co_u32 v18, s3, s3, v0
	s_addc_u32 s39, s9, s11
	v_add_co_ci_u32_e64 v19, null, 0, 0, s3
	s_delay_alu instid0(VALU_DEP_3)
	v_add_co_u32 v5, s3, s38, v2
	v_add_co_ci_u32_e64 v4, null, s39, 0, s4
	v_add_co_ci_u32_e64 v20, null, 0, 0, s5
	;; [unrolled: 1-line block ×3, first 2 shown]
	s_mul_i32 s42, s2, 24
	s_lshl_b32 s43, s2, 5
	s_mov_b32 s25, 0x3fc7474d
	s_mov_b32 s27, 0x3fcc71c0
	;; [unrolled: 1-line block ×6, first 2 shown]
	s_lshl_b32 s44, s2, 4
	s_mov_b64 s[38:39], 0
	s_mov_b32 s40, 0x55555780
	s_branch .LBB184_4
.LBB184_3:                              ;   in Loop: Header=BB184_4 Depth=1
	s_or_b32 exec_lo, exec_lo, s2
	s_add_u32 s38, s38, s33
	s_addc_u32 s39, s39, 0
	v_add_co_u32 v3, vcc_lo, v3, s43
	v_cmp_lt_i64_e64 s2, s[38:39], s[6:7]
	v_cmp_gt_u64_e64 s3, 0x10000, s[38:39]
	v_add_co_ci_u32_e32 v4, vcc_lo, 0, v4, vcc_lo
	v_add_co_u32 v5, vcc_lo, v5, s43
	v_add_co_ci_u32_e32 v6, vcc_lo, 0, v6, vcc_lo
	s_delay_alu instid0(VALU_DEP_4) | instskip(NEXT) | instid1(SALU_CYCLE_1)
	s_and_b32 s2, s2, s3
	s_and_b32 vcc_lo, exec_lo, s2
	s_cbranch_vccz .LBB184_20
.LBB184_4:                              ; =>This Inner Loop Header: Depth=1
	s_waitcnt vmcnt(0)
	v_add_co_u32 v7, s2, v0, s38
	s_delay_alu instid0(VALU_DEP_1) | instskip(SKIP_2) | instid1(VALU_DEP_3)
	v_add_co_ci_u32_e64 v8, null, 0, s39, s2
	v_mov_b32_e32 v11, 0
	v_mov_b32_e32 v12, 0
	v_cmp_gt_u64_e64 s4, s[12:13], v[7:8]
	s_delay_alu instid0(VALU_DEP_2) | instskip(NEXT) | instid1(VALU_DEP_2)
	v_dual_mov_b32 v14, v12 :: v_dual_mov_b32 v13, v11
	s_and_saveexec_b32 s2, s4
	s_cbranch_execz .LBB184_6
; %bb.5:                                ;   in Loop: Header=BB184_4 Depth=1
	global_load_b64 v[13:14], v[3:4], off
.LBB184_6:                              ;   in Loop: Header=BB184_4 Depth=1
	s_or_b32 exec_lo, exec_lo, s2
	v_add_co_u32 v7, vcc_lo, v15, s38
	v_add_co_ci_u32_e32 v8, vcc_lo, s39, v20, vcc_lo
	s_delay_alu instid0(VALU_DEP_1) | instskip(NEXT) | instid1(VALU_DEP_1)
	v_cmp_gt_u64_e64 s3, s[12:13], v[7:8]
	s_and_saveexec_b32 s2, s3
	s_cbranch_execz .LBB184_8
; %bb.7:                                ;   in Loop: Header=BB184_4 Depth=1
	global_load_b64 v[11:12], v[5:6], off
.LBB184_8:                              ;   in Loop: Header=BB184_4 Depth=1
	s_or_b32 exec_lo, exec_lo, s2
	v_add_co_u32 v9, vcc_lo, v18, s38
	v_add_co_ci_u32_e32 v10, vcc_lo, s39, v19, vcc_lo
	v_mov_b32_e32 v7, 0
	v_mov_b32_e32 v8, 0
	s_delay_alu instid0(VALU_DEP_3) | instskip(NEXT) | instid1(VALU_DEP_2)
	v_cmp_gt_u64_e64 s2, s[12:13], v[9:10]
	v_dual_mov_b32 v10, v8 :: v_dual_mov_b32 v9, v7
	s_delay_alu instid0(VALU_DEP_2)
	s_and_saveexec_b32 s5, s2
	s_cbranch_execz .LBB184_10
; %bb.9:                                ;   in Loop: Header=BB184_4 Depth=1
	v_add_co_u32 v9, vcc_lo, v3, s44
	v_add_co_ci_u32_e32 v10, vcc_lo, 0, v4, vcc_lo
	global_load_b64 v[9:10], v[9:10], off
.LBB184_10:                             ;   in Loop: Header=BB184_4 Depth=1
	s_or_b32 exec_lo, exec_lo, s5
	v_add_co_u32 v21, vcc_lo, v16, s38
	v_add_co_ci_u32_e32 v22, vcc_lo, s39, v17, vcc_lo
	s_delay_alu instid0(VALU_DEP_1)
	v_cmp_gt_u64_e32 vcc_lo, s[12:13], v[21:22]
	s_and_saveexec_b32 s41, vcc_lo
	s_cbranch_execnz .LBB184_15
; %bb.11:                               ;   in Loop: Header=BB184_4 Depth=1
	s_or_b32 exec_lo, exec_lo, s41
	s_and_saveexec_b32 s45, s4
	s_cbranch_execnz .LBB184_16
.LBB184_12:                             ;   in Loop: Header=BB184_4 Depth=1
	s_or_b32 exec_lo, exec_lo, s45
	s_and_saveexec_b32 s4, s3
	s_cbranch_execnz .LBB184_17
.LBB184_13:                             ;   in Loop: Header=BB184_4 Depth=1
	s_or_b32 exec_lo, exec_lo, s4
	s_and_saveexec_b32 s3, s2
	s_cbranch_execnz .LBB184_18
.LBB184_14:                             ;   in Loop: Header=BB184_4 Depth=1
	s_or_b32 exec_lo, exec_lo, s3
	s_and_saveexec_b32 s2, vcc_lo
	s_cbranch_execz .LBB184_3
	s_branch .LBB184_19
.LBB184_15:                             ;   in Loop: Header=BB184_4 Depth=1
	v_add_co_u32 v7, s5, v3, s42
	s_delay_alu instid0(VALU_DEP_1)
	v_add_co_ci_u32_e64 v8, s5, 0, v4, s5
	global_load_b64 v[7:8], v[7:8], off
	s_or_b32 exec_lo, exec_lo, s41
	s_and_saveexec_b32 s45, s4
	s_cbranch_execz .LBB184_12
.LBB184_16:                             ;   in Loop: Header=BB184_4 Depth=1
	s_waitcnt vmcnt(0)
	v_frexp_mant_f64_e32 v[21:22], v[13:14]
	v_frexp_exp_i32_f64_e32 v2, v[13:14]
	s_mov_b32 s41, s15
	s_delay_alu instid0(VALU_DEP_2) | instskip(NEXT) | instid1(VALU_DEP_1)
	v_cmp_gt_f64_e64 s4, s[14:15], v[21:22]
	v_subrev_co_ci_u32_e64 v35, s5, 0, v2, s4
	v_cndmask_b32_e64 v2, 0x3ff00000, 2.0, s4
	v_cmp_class_f64_e64 s4, v[13:14], 0x204
	s_delay_alu instid0(VALU_DEP_2) | instskip(NEXT) | instid1(VALU_DEP_1)
	v_mul_f64 v[21:22], v[21:22], v[1:2]
	v_add_f64 v[23:24], v[21:22], 1.0
	v_add_f64 v[29:30], v[21:22], -1.0
	s_delay_alu instid0(VALU_DEP_2) | instskip(SKIP_1) | instid1(VALU_DEP_1)
	v_rcp_f64_e32 v[25:26], v[23:24]
	v_add_f64 v[31:32], v[23:24], -1.0
	v_add_f64 v[21:22], v[21:22], -v[31:32]
	s_waitcnt_depctr 0xfff
	v_fma_f64 v[27:28], -v[23:24], v[25:26], 1.0
	s_delay_alu instid0(VALU_DEP_1) | instskip(NEXT) | instid1(VALU_DEP_1)
	v_fma_f64 v[25:26], v[27:28], v[25:26], v[25:26]
	v_fma_f64 v[27:28], -v[23:24], v[25:26], 1.0
	s_delay_alu instid0(VALU_DEP_1) | instskip(NEXT) | instid1(VALU_DEP_1)
	v_fma_f64 v[25:26], v[27:28], v[25:26], v[25:26]
	v_mul_f64 v[27:28], v[29:30], v[25:26]
	s_delay_alu instid0(VALU_DEP_1) | instskip(NEXT) | instid1(VALU_DEP_1)
	v_mul_f64 v[33:34], v[23:24], v[27:28]
	v_fma_f64 v[23:24], v[27:28], v[23:24], -v[33:34]
	s_delay_alu instid0(VALU_DEP_1) | instskip(NEXT) | instid1(VALU_DEP_1)
	v_fma_f64 v[21:22], v[27:28], v[21:22], v[23:24]
	v_add_f64 v[23:24], v[33:34], v[21:22]
	s_delay_alu instid0(VALU_DEP_1) | instskip(SKIP_1) | instid1(VALU_DEP_2)
	v_add_f64 v[31:32], v[29:30], -v[23:24]
	v_add_f64 v[33:34], v[23:24], -v[33:34]
	;; [unrolled: 1-line block ×3, first 2 shown]
	s_delay_alu instid0(VALU_DEP_2) | instskip(NEXT) | instid1(VALU_DEP_2)
	v_add_f64 v[21:22], v[33:34], -v[21:22]
	v_add_f64 v[23:24], v[29:30], -v[23:24]
	s_delay_alu instid0(VALU_DEP_1) | instskip(NEXT) | instid1(VALU_DEP_1)
	v_add_f64 v[21:22], v[21:22], v[23:24]
	v_add_f64 v[21:22], v[31:32], v[21:22]
	s_delay_alu instid0(VALU_DEP_1) | instskip(NEXT) | instid1(VALU_DEP_1)
	v_mul_f64 v[21:22], v[25:26], v[21:22]
	v_add_f64 v[23:24], v[27:28], v[21:22]
	s_delay_alu instid0(VALU_DEP_1) | instskip(NEXT) | instid1(VALU_DEP_1)
	v_mul_f64 v[25:26], v[23:24], v[23:24]
	v_fma_f64 v[29:30], v[25:26], s[22:23], s[20:21]
	v_mul_f64 v[31:32], v[23:24], v[25:26]
	s_delay_alu instid0(VALU_DEP_2) | instskip(NEXT) | instid1(VALU_DEP_1)
	v_fma_f64 v[29:30], v[25:26], v[29:30], s[24:25]
	v_fma_f64 v[29:30], v[25:26], v[29:30], s[26:27]
	s_delay_alu instid0(VALU_DEP_1) | instskip(NEXT) | instid1(VALU_DEP_1)
	v_fma_f64 v[29:30], v[25:26], v[29:30], s[28:29]
	v_fma_f64 v[29:30], v[25:26], v[29:30], s[30:31]
	s_delay_alu instid0(VALU_DEP_1) | instskip(SKIP_2) | instid1(VALU_DEP_3)
	v_fma_f64 v[25:26], v[25:26], v[29:30], s[40:41]
	v_ldexp_f64 v[29:30], v[23:24], 1
	v_add_f64 v[23:24], v[23:24], -v[27:28]
	v_mul_f64 v[25:26], v[31:32], v[25:26]
	s_delay_alu instid0(VALU_DEP_2) | instskip(NEXT) | instid1(VALU_DEP_2)
	v_add_f64 v[21:22], v[21:22], -v[23:24]
	v_add_f64 v[27:28], v[29:30], v[25:26]
	s_delay_alu instid0(VALU_DEP_2) | instskip(NEXT) | instid1(VALU_DEP_2)
	v_ldexp_f64 v[21:22], v[21:22], 1
	v_add_f64 v[23:24], v[27:28], -v[29:30]
	s_delay_alu instid0(VALU_DEP_1) | instskip(SKIP_1) | instid1(VALU_DEP_2)
	v_add_f64 v[23:24], v[25:26], -v[23:24]
	v_cvt_f64_i32_e32 v[25:26], v35
	v_add_f64 v[21:22], v[21:22], v[23:24]
	s_delay_alu instid0(VALU_DEP_2) | instskip(NEXT) | instid1(VALU_DEP_2)
	v_mul_f64 v[31:32], v[25:26], s[16:17]
	v_add_f64 v[23:24], v[27:28], v[21:22]
	s_delay_alu instid0(VALU_DEP_2) | instskip(NEXT) | instid1(VALU_DEP_2)
	v_fma_f64 v[33:34], v[25:26], s[16:17], -v[31:32]
	v_add_f64 v[27:28], v[23:24], -v[27:28]
	v_mul_f64 v[29:30], v[23:24], s[34:35]
	s_delay_alu instid0(VALU_DEP_3) | instskip(NEXT) | instid1(VALU_DEP_3)
	v_fma_f64 v[25:26], v[25:26], s[18:19], v[33:34]
	v_add_f64 v[21:22], v[21:22], -v[27:28]
	s_delay_alu instid0(VALU_DEP_3) | instskip(NEXT) | instid1(VALU_DEP_1)
	v_fma_f64 v[27:28], v[23:24], s[34:35], -v[29:30]
	v_fma_f64 v[21:22], v[21:22], s[34:35], v[27:28]
	s_delay_alu instid0(VALU_DEP_1) | instskip(SKIP_1) | instid1(VALU_DEP_2)
	v_fma_f64 v[21:22], v[23:24], s[36:37], v[21:22]
	v_add_f64 v[23:24], v[31:32], v[25:26]
	v_add_f64 v[27:28], v[29:30], v[21:22]
	s_delay_alu instid0(VALU_DEP_2) | instskip(NEXT) | instid1(VALU_DEP_2)
	v_add_f64 v[31:32], v[23:24], -v[31:32]
	v_add_f64 v[33:34], v[23:24], v[27:28]
	v_add_f64 v[29:30], v[27:28], -v[29:30]
	s_delay_alu instid0(VALU_DEP_3) | instskip(NEXT) | instid1(VALU_DEP_3)
	v_add_f64 v[25:26], v[25:26], -v[31:32]
	v_add_f64 v[35:36], v[33:34], -v[23:24]
	s_delay_alu instid0(VALU_DEP_3) | instskip(NEXT) | instid1(VALU_DEP_2)
	v_add_f64 v[21:22], v[21:22], -v[29:30]
	v_add_f64 v[37:38], v[33:34], -v[35:36]
	;; [unrolled: 1-line block ×3, first 2 shown]
	s_delay_alu instid0(VALU_DEP_3) | instskip(NEXT) | instid1(VALU_DEP_3)
	v_add_f64 v[29:30], v[25:26], v[21:22]
	v_add_f64 v[23:24], v[23:24], -v[37:38]
	s_delay_alu instid0(VALU_DEP_1) | instskip(NEXT) | instid1(VALU_DEP_3)
	v_add_f64 v[23:24], v[27:28], v[23:24]
	v_add_f64 v[27:28], v[29:30], -v[25:26]
	s_delay_alu instid0(VALU_DEP_2) | instskip(NEXT) | instid1(VALU_DEP_2)
	v_add_f64 v[23:24], v[29:30], v[23:24]
	v_add_f64 v[29:30], v[29:30], -v[27:28]
	v_add_f64 v[21:22], v[21:22], -v[27:28]
	s_delay_alu instid0(VALU_DEP_3) | instskip(NEXT) | instid1(VALU_DEP_3)
	v_add_f64 v[31:32], v[33:34], v[23:24]
	v_add_f64 v[25:26], v[25:26], -v[29:30]
	s_delay_alu instid0(VALU_DEP_2) | instskip(NEXT) | instid1(VALU_DEP_2)
	v_add_f64 v[27:28], v[31:32], -v[33:34]
	v_add_f64 v[21:22], v[21:22], v[25:26]
	s_delay_alu instid0(VALU_DEP_2) | instskip(NEXT) | instid1(VALU_DEP_1)
	v_add_f64 v[23:24], v[23:24], -v[27:28]
	v_add_f64 v[21:22], v[21:22], v[23:24]
	s_delay_alu instid0(VALU_DEP_1) | instskip(NEXT) | instid1(VALU_DEP_1)
	v_add_f64 v[21:22], v[31:32], v[21:22]
	v_cndmask_b32_e64 v2, v21, v13, s4
	s_delay_alu instid0(VALU_DEP_2) | instskip(SKIP_1) | instid1(VALU_DEP_1)
	v_cndmask_b32_e64 v21, v22, v14, s4
	v_cmp_ngt_f64_e64 s4, 0, v[13:14]
	v_cndmask_b32_e64 v22, 0x7ff80000, v21, s4
	v_cmp_nge_f64_e64 s4, 0, v[13:14]
	s_delay_alu instid0(VALU_DEP_1) | instskip(SKIP_1) | instid1(VALU_DEP_1)
	v_cndmask_b32_e64 v21, 0, v2, s4
	v_cmp_neq_f64_e64 s4, 0, v[13:14]
	v_cndmask_b32_e64 v22, 0xfff00000, v22, s4
	global_store_b64 v[3:4], v[21:22], off
	s_or_b32 exec_lo, exec_lo, s45
	s_and_saveexec_b32 s4, s3
	s_cbranch_execz .LBB184_13
.LBB184_17:                             ;   in Loop: Header=BB184_4 Depth=1
	s_waitcnt vmcnt(0)
	v_frexp_mant_f64_e32 v[13:14], v[11:12]
	s_mov_b32 s41, s15
	s_delay_alu instid0(VALU_DEP_1) | instskip(NEXT) | instid1(VALU_DEP_1)
	v_cmp_gt_f64_e64 s3, s[14:15], v[13:14]
	v_cndmask_b32_e64 v2, 0x3ff00000, 2.0, s3
	s_delay_alu instid0(VALU_DEP_1) | instskip(SKIP_1) | instid1(VALU_DEP_2)
	v_mul_f64 v[13:14], v[13:14], v[1:2]
	v_frexp_exp_i32_f64_e32 v2, v[11:12]
	v_add_f64 v[21:22], v[13:14], 1.0
	v_add_f64 v[27:28], v[13:14], -1.0
	s_delay_alu instid0(VALU_DEP_3) | instskip(SKIP_1) | instid1(VALU_DEP_4)
	v_subrev_co_ci_u32_e64 v2, s3, 0, v2, s3
	v_cmp_class_f64_e64 s3, v[11:12], 0x204
	v_rcp_f64_e32 v[23:24], v[21:22]
	v_add_f64 v[29:30], v[21:22], -1.0
	s_delay_alu instid0(VALU_DEP_1) | instskip(SKIP_2) | instid1(VALU_DEP_1)
	v_add_f64 v[13:14], v[13:14], -v[29:30]
	s_waitcnt_depctr 0xfff
	v_fma_f64 v[25:26], -v[21:22], v[23:24], 1.0
	v_fma_f64 v[23:24], v[25:26], v[23:24], v[23:24]
	s_delay_alu instid0(VALU_DEP_1) | instskip(NEXT) | instid1(VALU_DEP_1)
	v_fma_f64 v[25:26], -v[21:22], v[23:24], 1.0
	v_fma_f64 v[23:24], v[25:26], v[23:24], v[23:24]
	s_delay_alu instid0(VALU_DEP_1) | instskip(NEXT) | instid1(VALU_DEP_1)
	v_mul_f64 v[25:26], v[27:28], v[23:24]
	v_mul_f64 v[31:32], v[21:22], v[25:26]
	s_delay_alu instid0(VALU_DEP_1) | instskip(NEXT) | instid1(VALU_DEP_1)
	v_fma_f64 v[21:22], v[25:26], v[21:22], -v[31:32]
	v_fma_f64 v[13:14], v[25:26], v[13:14], v[21:22]
	s_delay_alu instid0(VALU_DEP_1) | instskip(NEXT) | instid1(VALU_DEP_1)
	v_add_f64 v[21:22], v[31:32], v[13:14]
	v_add_f64 v[29:30], v[27:28], -v[21:22]
	v_add_f64 v[31:32], v[21:22], -v[31:32]
	s_delay_alu instid0(VALU_DEP_2) | instskip(NEXT) | instid1(VALU_DEP_2)
	v_add_f64 v[27:28], v[27:28], -v[29:30]
	v_add_f64 v[13:14], v[31:32], -v[13:14]
	s_delay_alu instid0(VALU_DEP_2) | instskip(NEXT) | instid1(VALU_DEP_1)
	v_add_f64 v[21:22], v[27:28], -v[21:22]
	v_add_f64 v[13:14], v[13:14], v[21:22]
	s_delay_alu instid0(VALU_DEP_1) | instskip(NEXT) | instid1(VALU_DEP_1)
	v_add_f64 v[13:14], v[29:30], v[13:14]
	v_mul_f64 v[13:14], v[23:24], v[13:14]
	s_delay_alu instid0(VALU_DEP_1) | instskip(NEXT) | instid1(VALU_DEP_1)
	v_add_f64 v[21:22], v[25:26], v[13:14]
	v_mul_f64 v[23:24], v[21:22], v[21:22]
	s_delay_alu instid0(VALU_DEP_1) | instskip(SKIP_1) | instid1(VALU_DEP_2)
	v_fma_f64 v[27:28], v[23:24], s[22:23], s[20:21]
	v_mul_f64 v[29:30], v[21:22], v[23:24]
	v_fma_f64 v[27:28], v[23:24], v[27:28], s[24:25]
	s_delay_alu instid0(VALU_DEP_1) | instskip(NEXT) | instid1(VALU_DEP_1)
	v_fma_f64 v[27:28], v[23:24], v[27:28], s[26:27]
	v_fma_f64 v[27:28], v[23:24], v[27:28], s[28:29]
	s_delay_alu instid0(VALU_DEP_1) | instskip(NEXT) | instid1(VALU_DEP_1)
	v_fma_f64 v[27:28], v[23:24], v[27:28], s[30:31]
	v_fma_f64 v[23:24], v[23:24], v[27:28], s[40:41]
	v_ldexp_f64 v[27:28], v[21:22], 1
	v_add_f64 v[21:22], v[21:22], -v[25:26]
	s_delay_alu instid0(VALU_DEP_3) | instskip(NEXT) | instid1(VALU_DEP_2)
	v_mul_f64 v[23:24], v[29:30], v[23:24]
	v_add_f64 v[13:14], v[13:14], -v[21:22]
	s_delay_alu instid0(VALU_DEP_2) | instskip(NEXT) | instid1(VALU_DEP_2)
	v_add_f64 v[25:26], v[27:28], v[23:24]
	v_ldexp_f64 v[13:14], v[13:14], 1
	s_delay_alu instid0(VALU_DEP_2) | instskip(NEXT) | instid1(VALU_DEP_1)
	v_add_f64 v[21:22], v[25:26], -v[27:28]
	v_add_f64 v[21:22], v[23:24], -v[21:22]
	v_cvt_f64_i32_e32 v[23:24], v2
	s_delay_alu instid0(VALU_DEP_2) | instskip(NEXT) | instid1(VALU_DEP_2)
	v_add_f64 v[13:14], v[13:14], v[21:22]
	v_mul_f64 v[29:30], v[23:24], s[16:17]
	s_delay_alu instid0(VALU_DEP_2) | instskip(NEXT) | instid1(VALU_DEP_2)
	v_add_f64 v[21:22], v[25:26], v[13:14]
	v_fma_f64 v[31:32], v[23:24], s[16:17], -v[29:30]
	s_delay_alu instid0(VALU_DEP_2) | instskip(SKIP_1) | instid1(VALU_DEP_3)
	v_add_f64 v[25:26], v[21:22], -v[25:26]
	v_mul_f64 v[27:28], v[21:22], s[34:35]
	v_fma_f64 v[23:24], v[23:24], s[18:19], v[31:32]
	s_delay_alu instid0(VALU_DEP_3) | instskip(NEXT) | instid1(VALU_DEP_3)
	v_add_f64 v[13:14], v[13:14], -v[25:26]
	v_fma_f64 v[25:26], v[21:22], s[34:35], -v[27:28]
	s_delay_alu instid0(VALU_DEP_1) | instskip(NEXT) | instid1(VALU_DEP_1)
	v_fma_f64 v[13:14], v[13:14], s[34:35], v[25:26]
	v_fma_f64 v[13:14], v[21:22], s[36:37], v[13:14]
	v_add_f64 v[21:22], v[29:30], v[23:24]
	s_delay_alu instid0(VALU_DEP_2) | instskip(NEXT) | instid1(VALU_DEP_2)
	v_add_f64 v[25:26], v[27:28], v[13:14]
	v_add_f64 v[29:30], v[21:22], -v[29:30]
	s_delay_alu instid0(VALU_DEP_2) | instskip(SKIP_1) | instid1(VALU_DEP_3)
	v_add_f64 v[31:32], v[21:22], v[25:26]
	v_add_f64 v[27:28], v[25:26], -v[27:28]
	v_add_f64 v[23:24], v[23:24], -v[29:30]
	s_delay_alu instid0(VALU_DEP_3) | instskip(NEXT) | instid1(VALU_DEP_3)
	v_add_f64 v[33:34], v[31:32], -v[21:22]
	v_add_f64 v[13:14], v[13:14], -v[27:28]
	s_delay_alu instid0(VALU_DEP_2) | instskip(SKIP_1) | instid1(VALU_DEP_3)
	v_add_f64 v[35:36], v[31:32], -v[33:34]
	v_add_f64 v[25:26], v[25:26], -v[33:34]
	v_add_f64 v[27:28], v[23:24], v[13:14]
	s_delay_alu instid0(VALU_DEP_3) | instskip(NEXT) | instid1(VALU_DEP_1)
	v_add_f64 v[21:22], v[21:22], -v[35:36]
	v_add_f64 v[21:22], v[25:26], v[21:22]
	s_delay_alu instid0(VALU_DEP_3) | instskip(NEXT) | instid1(VALU_DEP_2)
	v_add_f64 v[25:26], v[27:28], -v[23:24]
	v_add_f64 v[21:22], v[27:28], v[21:22]
	s_delay_alu instid0(VALU_DEP_2) | instskip(SKIP_1) | instid1(VALU_DEP_3)
	v_add_f64 v[27:28], v[27:28], -v[25:26]
	v_add_f64 v[13:14], v[13:14], -v[25:26]
	v_add_f64 v[29:30], v[31:32], v[21:22]
	s_delay_alu instid0(VALU_DEP_3) | instskip(NEXT) | instid1(VALU_DEP_2)
	v_add_f64 v[23:24], v[23:24], -v[27:28]
	v_add_f64 v[25:26], v[29:30], -v[31:32]
	s_delay_alu instid0(VALU_DEP_2) | instskip(NEXT) | instid1(VALU_DEP_2)
	v_add_f64 v[13:14], v[13:14], v[23:24]
	v_add_f64 v[21:22], v[21:22], -v[25:26]
	s_delay_alu instid0(VALU_DEP_1) | instskip(NEXT) | instid1(VALU_DEP_1)
	v_add_f64 v[13:14], v[13:14], v[21:22]
	v_add_f64 v[13:14], v[29:30], v[13:14]
	s_delay_alu instid0(VALU_DEP_1) | instskip(NEXT) | instid1(VALU_DEP_2)
	v_cndmask_b32_e64 v2, v13, v11, s3
	v_cndmask_b32_e64 v13, v14, v12, s3
	v_cmp_ngt_f64_e64 s3, 0, v[11:12]
	s_delay_alu instid0(VALU_DEP_1) | instskip(SKIP_1) | instid1(VALU_DEP_1)
	v_cndmask_b32_e64 v14, 0x7ff80000, v13, s3
	v_cmp_nge_f64_e64 s3, 0, v[11:12]
	v_cndmask_b32_e64 v13, 0, v2, s3
	v_cmp_neq_f64_e64 s3, 0, v[11:12]
	s_delay_alu instid0(VALU_DEP_1)
	v_cndmask_b32_e64 v14, 0xfff00000, v14, s3
	global_store_b64 v[5:6], v[13:14], off
	s_or_b32 exec_lo, exec_lo, s4
	s_and_saveexec_b32 s3, s2
	s_cbranch_execz .LBB184_14
.LBB184_18:                             ;   in Loop: Header=BB184_4 Depth=1
	s_waitcnt vmcnt(0)
	v_frexp_mant_f64_e32 v[11:12], v[9:10]
	s_mov_b32 s41, s15
	s_delay_alu instid0(VALU_DEP_1) | instskip(NEXT) | instid1(VALU_DEP_1)
	v_cmp_gt_f64_e64 s2, s[14:15], v[11:12]
	v_cndmask_b32_e64 v2, 0x3ff00000, 2.0, s2
	s_delay_alu instid0(VALU_DEP_1) | instskip(SKIP_1) | instid1(VALU_DEP_2)
	v_mul_f64 v[11:12], v[11:12], v[1:2]
	v_frexp_exp_i32_f64_e32 v2, v[9:10]
	v_add_f64 v[13:14], v[11:12], 1.0
	v_add_f64 v[25:26], v[11:12], -1.0
	s_delay_alu instid0(VALU_DEP_3) | instskip(SKIP_1) | instid1(VALU_DEP_4)
	v_subrev_co_ci_u32_e64 v2, s2, 0, v2, s2
	v_cmp_class_f64_e64 s2, v[9:10], 0x204
	v_rcp_f64_e32 v[21:22], v[13:14]
	v_add_f64 v[27:28], v[13:14], -1.0
	s_delay_alu instid0(VALU_DEP_1) | instskip(SKIP_2) | instid1(VALU_DEP_1)
	v_add_f64 v[11:12], v[11:12], -v[27:28]
	s_waitcnt_depctr 0xfff
	v_fma_f64 v[23:24], -v[13:14], v[21:22], 1.0
	v_fma_f64 v[21:22], v[23:24], v[21:22], v[21:22]
	s_delay_alu instid0(VALU_DEP_1) | instskip(NEXT) | instid1(VALU_DEP_1)
	v_fma_f64 v[23:24], -v[13:14], v[21:22], 1.0
	v_fma_f64 v[21:22], v[23:24], v[21:22], v[21:22]
	s_delay_alu instid0(VALU_DEP_1) | instskip(NEXT) | instid1(VALU_DEP_1)
	v_mul_f64 v[23:24], v[25:26], v[21:22]
	v_mul_f64 v[29:30], v[13:14], v[23:24]
	s_delay_alu instid0(VALU_DEP_1) | instskip(NEXT) | instid1(VALU_DEP_1)
	v_fma_f64 v[13:14], v[23:24], v[13:14], -v[29:30]
	v_fma_f64 v[11:12], v[23:24], v[11:12], v[13:14]
	s_delay_alu instid0(VALU_DEP_1) | instskip(NEXT) | instid1(VALU_DEP_1)
	v_add_f64 v[13:14], v[29:30], v[11:12]
	v_add_f64 v[27:28], v[25:26], -v[13:14]
	v_add_f64 v[29:30], v[13:14], -v[29:30]
	s_delay_alu instid0(VALU_DEP_2) | instskip(NEXT) | instid1(VALU_DEP_2)
	v_add_f64 v[25:26], v[25:26], -v[27:28]
	v_add_f64 v[11:12], v[29:30], -v[11:12]
	s_delay_alu instid0(VALU_DEP_2) | instskip(NEXT) | instid1(VALU_DEP_1)
	v_add_f64 v[13:14], v[25:26], -v[13:14]
	v_add_f64 v[11:12], v[11:12], v[13:14]
	s_delay_alu instid0(VALU_DEP_1) | instskip(NEXT) | instid1(VALU_DEP_1)
	v_add_f64 v[11:12], v[27:28], v[11:12]
	v_mul_f64 v[11:12], v[21:22], v[11:12]
	s_delay_alu instid0(VALU_DEP_1) | instskip(NEXT) | instid1(VALU_DEP_1)
	v_add_f64 v[13:14], v[23:24], v[11:12]
	v_mul_f64 v[21:22], v[13:14], v[13:14]
	s_delay_alu instid0(VALU_DEP_1) | instskip(SKIP_1) | instid1(VALU_DEP_2)
	v_fma_f64 v[25:26], v[21:22], s[22:23], s[20:21]
	v_mul_f64 v[27:28], v[13:14], v[21:22]
	v_fma_f64 v[25:26], v[21:22], v[25:26], s[24:25]
	s_delay_alu instid0(VALU_DEP_1) | instskip(NEXT) | instid1(VALU_DEP_1)
	v_fma_f64 v[25:26], v[21:22], v[25:26], s[26:27]
	v_fma_f64 v[25:26], v[21:22], v[25:26], s[28:29]
	s_delay_alu instid0(VALU_DEP_1) | instskip(NEXT) | instid1(VALU_DEP_1)
	v_fma_f64 v[25:26], v[21:22], v[25:26], s[30:31]
	v_fma_f64 v[21:22], v[21:22], v[25:26], s[40:41]
	v_ldexp_f64 v[25:26], v[13:14], 1
	v_add_f64 v[13:14], v[13:14], -v[23:24]
	s_delay_alu instid0(VALU_DEP_3) | instskip(NEXT) | instid1(VALU_DEP_2)
	v_mul_f64 v[21:22], v[27:28], v[21:22]
	v_add_f64 v[11:12], v[11:12], -v[13:14]
	s_delay_alu instid0(VALU_DEP_2) | instskip(NEXT) | instid1(VALU_DEP_2)
	v_add_f64 v[23:24], v[25:26], v[21:22]
	v_ldexp_f64 v[11:12], v[11:12], 1
	s_delay_alu instid0(VALU_DEP_2) | instskip(NEXT) | instid1(VALU_DEP_1)
	v_add_f64 v[13:14], v[23:24], -v[25:26]
	v_add_f64 v[13:14], v[21:22], -v[13:14]
	v_cvt_f64_i32_e32 v[21:22], v2
	s_delay_alu instid0(VALU_DEP_2) | instskip(NEXT) | instid1(VALU_DEP_2)
	v_add_f64 v[11:12], v[11:12], v[13:14]
	v_mul_f64 v[27:28], v[21:22], s[16:17]
	s_delay_alu instid0(VALU_DEP_2) | instskip(NEXT) | instid1(VALU_DEP_2)
	v_add_f64 v[13:14], v[23:24], v[11:12]
	v_fma_f64 v[29:30], v[21:22], s[16:17], -v[27:28]
	s_delay_alu instid0(VALU_DEP_2) | instskip(SKIP_1) | instid1(VALU_DEP_3)
	v_add_f64 v[23:24], v[13:14], -v[23:24]
	v_mul_f64 v[25:26], v[13:14], s[34:35]
	v_fma_f64 v[21:22], v[21:22], s[18:19], v[29:30]
	s_delay_alu instid0(VALU_DEP_3) | instskip(NEXT) | instid1(VALU_DEP_3)
	v_add_f64 v[11:12], v[11:12], -v[23:24]
	v_fma_f64 v[23:24], v[13:14], s[34:35], -v[25:26]
	s_delay_alu instid0(VALU_DEP_1) | instskip(NEXT) | instid1(VALU_DEP_1)
	v_fma_f64 v[11:12], v[11:12], s[34:35], v[23:24]
	v_fma_f64 v[11:12], v[13:14], s[36:37], v[11:12]
	v_add_f64 v[13:14], v[27:28], v[21:22]
	s_delay_alu instid0(VALU_DEP_2) | instskip(NEXT) | instid1(VALU_DEP_2)
	v_add_f64 v[23:24], v[25:26], v[11:12]
	v_add_f64 v[27:28], v[13:14], -v[27:28]
	s_delay_alu instid0(VALU_DEP_2) | instskip(SKIP_1) | instid1(VALU_DEP_3)
	v_add_f64 v[29:30], v[13:14], v[23:24]
	v_add_f64 v[25:26], v[23:24], -v[25:26]
	v_add_f64 v[21:22], v[21:22], -v[27:28]
	s_delay_alu instid0(VALU_DEP_3) | instskip(NEXT) | instid1(VALU_DEP_3)
	v_add_f64 v[31:32], v[29:30], -v[13:14]
	v_add_f64 v[11:12], v[11:12], -v[25:26]
	s_delay_alu instid0(VALU_DEP_2) | instskip(SKIP_1) | instid1(VALU_DEP_3)
	v_add_f64 v[33:34], v[29:30], -v[31:32]
	v_add_f64 v[23:24], v[23:24], -v[31:32]
	v_add_f64 v[25:26], v[21:22], v[11:12]
	s_delay_alu instid0(VALU_DEP_3) | instskip(NEXT) | instid1(VALU_DEP_1)
	v_add_f64 v[13:14], v[13:14], -v[33:34]
	v_add_f64 v[13:14], v[23:24], v[13:14]
	s_delay_alu instid0(VALU_DEP_3) | instskip(NEXT) | instid1(VALU_DEP_2)
	v_add_f64 v[23:24], v[25:26], -v[21:22]
	v_add_f64 v[13:14], v[25:26], v[13:14]
	s_delay_alu instid0(VALU_DEP_2) | instskip(SKIP_1) | instid1(VALU_DEP_3)
	v_add_f64 v[25:26], v[25:26], -v[23:24]
	v_add_f64 v[11:12], v[11:12], -v[23:24]
	v_add_f64 v[27:28], v[29:30], v[13:14]
	s_delay_alu instid0(VALU_DEP_3) | instskip(NEXT) | instid1(VALU_DEP_2)
	v_add_f64 v[21:22], v[21:22], -v[25:26]
	v_add_f64 v[23:24], v[27:28], -v[29:30]
	s_delay_alu instid0(VALU_DEP_2) | instskip(NEXT) | instid1(VALU_DEP_2)
	v_add_f64 v[11:12], v[11:12], v[21:22]
	v_add_f64 v[13:14], v[13:14], -v[23:24]
	s_delay_alu instid0(VALU_DEP_1) | instskip(NEXT) | instid1(VALU_DEP_1)
	v_add_f64 v[11:12], v[11:12], v[13:14]
	v_add_f64 v[11:12], v[27:28], v[11:12]
	s_delay_alu instid0(VALU_DEP_1) | instskip(NEXT) | instid1(VALU_DEP_2)
	v_cndmask_b32_e64 v2, v11, v9, s2
	v_cndmask_b32_e64 v11, v12, v10, s2
	v_cmp_ngt_f64_e64 s2, 0, v[9:10]
	s_delay_alu instid0(VALU_DEP_1) | instskip(SKIP_1) | instid1(VALU_DEP_1)
	v_cndmask_b32_e64 v12, 0x7ff80000, v11, s2
	v_cmp_nge_f64_e64 s2, 0, v[9:10]
	v_cndmask_b32_e64 v11, 0, v2, s2
	v_cmp_neq_f64_e64 s2, 0, v[9:10]
	s_delay_alu instid0(VALU_DEP_1) | instskip(SKIP_1) | instid1(VALU_DEP_1)
	v_cndmask_b32_e64 v12, 0xfff00000, v12, s2
	v_add_co_u32 v9, s2, v3, s44
	v_add_co_ci_u32_e64 v10, s2, 0, v4, s2
	global_store_b64 v[9:10], v[11:12], off
	s_or_b32 exec_lo, exec_lo, s3
	s_and_saveexec_b32 s2, vcc_lo
	s_cbranch_execz .LBB184_3
.LBB184_19:                             ;   in Loop: Header=BB184_4 Depth=1
	s_waitcnt vmcnt(0)
	v_frexp_mant_f64_e32 v[9:10], v[7:8]
	s_mov_b32 s41, s15
	s_delay_alu instid0(VALU_DEP_1) | instskip(SKIP_1) | instid1(VALU_DEP_1)
	v_cmp_gt_f64_e32 vcc_lo, s[14:15], v[9:10]
	v_cndmask_b32_e64 v2, 0x3ff00000, 2.0, vcc_lo
	v_mul_f64 v[9:10], v[9:10], v[1:2]
	v_frexp_exp_i32_f64_e32 v2, v[7:8]
	s_delay_alu instid0(VALU_DEP_2) | instskip(SKIP_1) | instid1(VALU_DEP_3)
	v_add_f64 v[11:12], v[9:10], 1.0
	v_add_f64 v[23:24], v[9:10], -1.0
	v_subrev_co_ci_u32_e32 v2, vcc_lo, 0, v2, vcc_lo
	v_cmp_class_f64_e64 vcc_lo, v[7:8], 0x204
	s_delay_alu instid0(VALU_DEP_4) | instskip(SKIP_1) | instid1(VALU_DEP_1)
	v_rcp_f64_e32 v[13:14], v[11:12]
	v_add_f64 v[25:26], v[11:12], -1.0
	v_add_f64 v[9:10], v[9:10], -v[25:26]
	s_waitcnt_depctr 0xfff
	v_fma_f64 v[21:22], -v[11:12], v[13:14], 1.0
	s_delay_alu instid0(VALU_DEP_1) | instskip(NEXT) | instid1(VALU_DEP_1)
	v_fma_f64 v[13:14], v[21:22], v[13:14], v[13:14]
	v_fma_f64 v[21:22], -v[11:12], v[13:14], 1.0
	s_delay_alu instid0(VALU_DEP_1) | instskip(NEXT) | instid1(VALU_DEP_1)
	v_fma_f64 v[13:14], v[21:22], v[13:14], v[13:14]
	v_mul_f64 v[21:22], v[23:24], v[13:14]
	s_delay_alu instid0(VALU_DEP_1) | instskip(NEXT) | instid1(VALU_DEP_1)
	v_mul_f64 v[27:28], v[11:12], v[21:22]
	v_fma_f64 v[11:12], v[21:22], v[11:12], -v[27:28]
	s_delay_alu instid0(VALU_DEP_1) | instskip(NEXT) | instid1(VALU_DEP_1)
	v_fma_f64 v[9:10], v[21:22], v[9:10], v[11:12]
	v_add_f64 v[11:12], v[27:28], v[9:10]
	s_delay_alu instid0(VALU_DEP_1) | instskip(SKIP_1) | instid1(VALU_DEP_2)
	v_add_f64 v[25:26], v[23:24], -v[11:12]
	v_add_f64 v[27:28], v[11:12], -v[27:28]
	;; [unrolled: 1-line block ×3, first 2 shown]
	s_delay_alu instid0(VALU_DEP_2) | instskip(NEXT) | instid1(VALU_DEP_2)
	v_add_f64 v[9:10], v[27:28], -v[9:10]
	v_add_f64 v[11:12], v[23:24], -v[11:12]
	s_delay_alu instid0(VALU_DEP_1) | instskip(NEXT) | instid1(VALU_DEP_1)
	v_add_f64 v[9:10], v[9:10], v[11:12]
	v_add_f64 v[9:10], v[25:26], v[9:10]
	s_delay_alu instid0(VALU_DEP_1) | instskip(NEXT) | instid1(VALU_DEP_1)
	v_mul_f64 v[9:10], v[13:14], v[9:10]
	v_add_f64 v[11:12], v[21:22], v[9:10]
	s_delay_alu instid0(VALU_DEP_1) | instskip(NEXT) | instid1(VALU_DEP_1)
	v_mul_f64 v[13:14], v[11:12], v[11:12]
	v_fma_f64 v[23:24], v[13:14], s[22:23], s[20:21]
	v_mul_f64 v[25:26], v[11:12], v[13:14]
	s_delay_alu instid0(VALU_DEP_2) | instskip(NEXT) | instid1(VALU_DEP_1)
	v_fma_f64 v[23:24], v[13:14], v[23:24], s[24:25]
	v_fma_f64 v[23:24], v[13:14], v[23:24], s[26:27]
	s_delay_alu instid0(VALU_DEP_1) | instskip(NEXT) | instid1(VALU_DEP_1)
	v_fma_f64 v[23:24], v[13:14], v[23:24], s[28:29]
	v_fma_f64 v[23:24], v[13:14], v[23:24], s[30:31]
	s_delay_alu instid0(VALU_DEP_1) | instskip(SKIP_2) | instid1(VALU_DEP_3)
	v_fma_f64 v[13:14], v[13:14], v[23:24], s[40:41]
	v_ldexp_f64 v[23:24], v[11:12], 1
	v_add_f64 v[11:12], v[11:12], -v[21:22]
	v_mul_f64 v[13:14], v[25:26], v[13:14]
	s_delay_alu instid0(VALU_DEP_2) | instskip(NEXT) | instid1(VALU_DEP_2)
	v_add_f64 v[9:10], v[9:10], -v[11:12]
	v_add_f64 v[21:22], v[23:24], v[13:14]
	s_delay_alu instid0(VALU_DEP_2) | instskip(NEXT) | instid1(VALU_DEP_2)
	v_ldexp_f64 v[9:10], v[9:10], 1
	v_add_f64 v[11:12], v[21:22], -v[23:24]
	s_delay_alu instid0(VALU_DEP_1) | instskip(SKIP_1) | instid1(VALU_DEP_2)
	v_add_f64 v[11:12], v[13:14], -v[11:12]
	v_cvt_f64_i32_e32 v[13:14], v2
	v_add_f64 v[9:10], v[9:10], v[11:12]
	s_delay_alu instid0(VALU_DEP_2) | instskip(NEXT) | instid1(VALU_DEP_2)
	v_mul_f64 v[25:26], v[13:14], s[16:17]
	v_add_f64 v[11:12], v[21:22], v[9:10]
	s_delay_alu instid0(VALU_DEP_2) | instskip(NEXT) | instid1(VALU_DEP_2)
	v_fma_f64 v[27:28], v[13:14], s[16:17], -v[25:26]
	v_add_f64 v[21:22], v[11:12], -v[21:22]
	v_mul_f64 v[23:24], v[11:12], s[34:35]
	s_delay_alu instid0(VALU_DEP_3) | instskip(NEXT) | instid1(VALU_DEP_3)
	v_fma_f64 v[13:14], v[13:14], s[18:19], v[27:28]
	v_add_f64 v[9:10], v[9:10], -v[21:22]
	s_delay_alu instid0(VALU_DEP_3) | instskip(NEXT) | instid1(VALU_DEP_1)
	v_fma_f64 v[21:22], v[11:12], s[34:35], -v[23:24]
	v_fma_f64 v[9:10], v[9:10], s[34:35], v[21:22]
	s_delay_alu instid0(VALU_DEP_1) | instskip(SKIP_1) | instid1(VALU_DEP_2)
	v_fma_f64 v[9:10], v[11:12], s[36:37], v[9:10]
	v_add_f64 v[11:12], v[25:26], v[13:14]
	v_add_f64 v[21:22], v[23:24], v[9:10]
	s_delay_alu instid0(VALU_DEP_2) | instskip(NEXT) | instid1(VALU_DEP_2)
	v_add_f64 v[25:26], v[11:12], -v[25:26]
	v_add_f64 v[27:28], v[11:12], v[21:22]
	v_add_f64 v[23:24], v[21:22], -v[23:24]
	s_delay_alu instid0(VALU_DEP_3) | instskip(NEXT) | instid1(VALU_DEP_3)
	v_add_f64 v[13:14], v[13:14], -v[25:26]
	v_add_f64 v[29:30], v[27:28], -v[11:12]
	s_delay_alu instid0(VALU_DEP_3) | instskip(NEXT) | instid1(VALU_DEP_2)
	v_add_f64 v[9:10], v[9:10], -v[23:24]
	v_add_f64 v[31:32], v[27:28], -v[29:30]
	;; [unrolled: 1-line block ×3, first 2 shown]
	s_delay_alu instid0(VALU_DEP_3) | instskip(NEXT) | instid1(VALU_DEP_3)
	v_add_f64 v[23:24], v[13:14], v[9:10]
	v_add_f64 v[11:12], v[11:12], -v[31:32]
	s_delay_alu instid0(VALU_DEP_1) | instskip(NEXT) | instid1(VALU_DEP_3)
	v_add_f64 v[11:12], v[21:22], v[11:12]
	v_add_f64 v[21:22], v[23:24], -v[13:14]
	s_delay_alu instid0(VALU_DEP_2) | instskip(NEXT) | instid1(VALU_DEP_2)
	v_add_f64 v[11:12], v[23:24], v[11:12]
	v_add_f64 v[23:24], v[23:24], -v[21:22]
	v_add_f64 v[9:10], v[9:10], -v[21:22]
	s_delay_alu instid0(VALU_DEP_3) | instskip(NEXT) | instid1(VALU_DEP_3)
	v_add_f64 v[25:26], v[27:28], v[11:12]
	v_add_f64 v[13:14], v[13:14], -v[23:24]
	s_delay_alu instid0(VALU_DEP_2) | instskip(NEXT) | instid1(VALU_DEP_2)
	v_add_f64 v[21:22], v[25:26], -v[27:28]
	v_add_f64 v[9:10], v[9:10], v[13:14]
	s_delay_alu instid0(VALU_DEP_2) | instskip(NEXT) | instid1(VALU_DEP_1)
	v_add_f64 v[11:12], v[11:12], -v[21:22]
	v_add_f64 v[9:10], v[9:10], v[11:12]
	s_delay_alu instid0(VALU_DEP_1) | instskip(NEXT) | instid1(VALU_DEP_1)
	v_add_f64 v[9:10], v[25:26], v[9:10]
	v_dual_cndmask_b32 v2, v9, v7 :: v_dual_cndmask_b32 v9, v10, v8
	v_cmp_ngt_f64_e32 vcc_lo, 0, v[7:8]
	s_delay_alu instid0(VALU_DEP_2) | instskip(SKIP_1) | instid1(VALU_DEP_4)
	v_cndmask_b32_e32 v10, 0x7ff80000, v9, vcc_lo
	v_cmp_nge_f64_e32 vcc_lo, 0, v[7:8]
	v_cndmask_b32_e32 v9, 0, v2, vcc_lo
	v_cmp_neq_f64_e32 vcc_lo, 0, v[7:8]
	s_delay_alu instid0(VALU_DEP_4)
	v_cndmask_b32_e32 v10, 0xfff00000, v10, vcc_lo
	v_add_co_u32 v7, vcc_lo, v3, s42
	v_add_co_ci_u32_e32 v8, vcc_lo, 0, v4, vcc_lo
	global_store_b64 v[7:8], v[9:10], off
	s_branch .LBB184_3
.LBB184_20:
	s_cbranch_execz .LBB184_22
	s_branch .LBB184_25
.LBB184_21:
.LBB184_22:
	s_waitcnt vmcnt(0)
	v_dual_mov_b32 v8, 0 :: v_dual_lshlrev_b32 v1, 2, v0
	s_mov_b32 s5, 0
	s_mov_b32 s2, exec_lo
	s_delay_alu instid0(VALU_DEP_1) | instskip(NEXT) | instid1(VALU_DEP_1)
	v_mov_b32_e32 v2, v8
	v_cmpx_gt_i64_e64 s[6:7], v[1:2]
	s_cbranch_execz .LBB184_25
; %bb.23:
	s_load_b32 s0, s[0:1], 0xd3c
	v_lshlrev_b32_e32 v1, 5, v0
	v_mov_b32_e32 v11, v8
	s_mov_b32 s28, 0x55555555
	s_mov_b32 s29, 0x3fe55555
	;; [unrolled: 1-line block ×17, first 2 shown]
	s_waitcnt lgkmcnt(0)
	s_and_b32 s0, s0, 0xffff
	s_mov_b32 s27, 0x3c695355
	s_lshl_b32 s33, s0, 2
	s_add_u32 s1, s8, s10
	v_add_lshl_u32 v10, v0, s0, 2
	s_addc_u32 s2, s9, s11
	v_add_co_u32 v0, s1, s1, v1
	s_delay_alu instid0(VALU_DEP_1) | instskip(SKIP_1) | instid1(VALU_DEP_2)
	v_add_co_ci_u32_e64 v1, null, s2, 0, s1
	s_mov_b32 s8, 0xa994fd21
	v_add_co_u32 v12, vcc_lo, v0, 16
	s_delay_alu instid0(VALU_DEP_2)
	v_add_co_ci_u32_e32 v13, vcc_lo, 0, v1, vcc_lo
	s_mov_b32 s10, 0x1526e50e
	s_lshl_b32 s34, s0, 5
	s_mov_b32 s9, 0xbc49dc1d
	s_mov_b32 s11, 0x3fdbcb7b
	;; [unrolled: 1-line block ×4, first 2 shown]
.LBB184_24:                             ; =>This Inner Loop Header: Depth=1
	s_clause 0x1
	global_load_b128 v[4:7], v[12:13], off offset:-16
	global_load_b128 v[0:3], v[12:13], off
	v_cmp_lt_u64_e64 s3, 0xffff, v[10:11]
	s_waitcnt vmcnt(1)
	v_frexp_mant_f64_e32 v[14:15], v[4:5]
	v_frexp_mant_f64_e32 v[16:17], v[6:7]
	s_waitcnt vmcnt(0)
	v_frexp_mant_f64_e32 v[18:19], v[0:1]
	v_frexp_mant_f64_e32 v[20:21], v[2:3]
	v_cmp_ngt_f64_e64 s4, 0, v[4:5]
	v_cmp_gt_f64_e32 vcc_lo, s[28:29], v[14:15]
	v_cmp_gt_f64_e64 s0, s[28:29], v[16:17]
	v_cmp_gt_f64_e64 s1, s[28:29], v[18:19]
	;; [unrolled: 1-line block ×3, first 2 shown]
	v_cndmask_b32_e64 v9, 0x3ff00000, 2.0, vcc_lo
	s_delay_alu instid0(VALU_DEP_1) | instskip(SKIP_1) | instid1(VALU_DEP_1)
	v_mul_f64 v[14:15], v[14:15], v[8:9]
	v_cndmask_b32_e64 v9, 0x3ff00000, 2.0, s0
	v_mul_f64 v[16:17], v[16:17], v[8:9]
	v_cndmask_b32_e64 v9, 0x3ff00000, 2.0, s1
	s_delay_alu instid0(VALU_DEP_1) | instskip(SKIP_1) | instid1(VALU_DEP_1)
	v_mul_f64 v[18:19], v[18:19], v[8:9]
	v_cndmask_b32_e64 v9, 0x3ff00000, 2.0, s2
	v_mul_f64 v[20:21], v[20:21], v[8:9]
	v_frexp_exp_i32_f64_e32 v9, v[4:5]
	v_add_f64 v[22:23], v[14:15], 1.0
	v_add_f64 v[46:47], v[14:15], -1.0
	v_add_f64 v[24:25], v[16:17], 1.0
	v_add_f64 v[26:27], v[18:19], 1.0
	;; [unrolled: 1-line block ×3, first 2 shown]
	v_subrev_co_ci_u32_e32 v9, vcc_lo, 0, v9, vcc_lo
	v_rcp_f64_e32 v[30:31], v[22:23]
	v_add_f64 v[54:55], v[22:23], -1.0
	v_rcp_f64_e32 v[32:33], v[24:25]
	v_add_f64 v[58:59], v[24:25], -1.0
	;; [unrolled: 2-line block ×4, first 2 shown]
	s_delay_alu instid0(VALU_DEP_4) | instskip(SKIP_1) | instid1(TRANS32_DEP_3)
	v_add_f64 v[14:15], v[14:15], -v[54:55]
	v_fma_f64 v[38:39], -v[22:23], v[30:31], 1.0
	v_fma_f64 v[40:41], -v[24:25], v[32:33], 1.0
	s_delay_alu instid0(TRANS32_DEP_2)
	v_fma_f64 v[42:43], -v[26:27], v[34:35], 1.0
	s_waitcnt_depctr 0xfff
	v_fma_f64 v[44:45], -v[28:29], v[36:37], 1.0
	v_fma_f64 v[30:31], v[38:39], v[30:31], v[30:31]
	v_fma_f64 v[32:33], v[40:41], v[32:33], v[32:33]
	;; [unrolled: 1-line block ×3, first 2 shown]
	s_delay_alu instid0(VALU_DEP_4) | instskip(NEXT) | instid1(VALU_DEP_4)
	v_fma_f64 v[36:37], v[44:45], v[36:37], v[36:37]
	v_fma_f64 v[38:39], -v[22:23], v[30:31], 1.0
	s_delay_alu instid0(VALU_DEP_4) | instskip(NEXT) | instid1(VALU_DEP_4)
	v_fma_f64 v[40:41], -v[24:25], v[32:33], 1.0
	v_fma_f64 v[42:43], -v[26:27], v[34:35], 1.0
	s_delay_alu instid0(VALU_DEP_4) | instskip(NEXT) | instid1(VALU_DEP_4)
	v_fma_f64 v[44:45], -v[28:29], v[36:37], 1.0
	v_fma_f64 v[30:31], v[38:39], v[30:31], v[30:31]
	v_add_f64 v[38:39], v[16:17], -1.0
	v_add_f64 v[16:17], v[16:17], -v[58:59]
	v_fma_f64 v[32:33], v[40:41], v[32:33], v[32:33]
	v_add_f64 v[40:41], v[18:19], -1.0
	v_add_f64 v[18:19], v[18:19], -v[62:63]
	;; [unrolled: 3-line block ×3, first 2 shown]
	v_fma_f64 v[36:37], v[44:45], v[36:37], v[36:37]
	v_mul_f64 v[44:45], v[46:47], v[30:31]
	v_mul_f64 v[48:49], v[38:39], v[32:33]
	;; [unrolled: 1-line block ×3, first 2 shown]
	s_delay_alu instid0(VALU_DEP_4) | instskip(NEXT) | instid1(VALU_DEP_4)
	v_mul_f64 v[52:53], v[42:43], v[36:37]
	v_mul_f64 v[56:57], v[22:23], v[44:45]
	s_delay_alu instid0(VALU_DEP_4) | instskip(NEXT) | instid1(VALU_DEP_4)
	v_mul_f64 v[60:61], v[24:25], v[48:49]
	v_mul_f64 v[64:65], v[26:27], v[50:51]
	s_delay_alu instid0(VALU_DEP_4) | instskip(NEXT) | instid1(VALU_DEP_4)
	v_mul_f64 v[68:69], v[28:29], v[52:53]
	v_fma_f64 v[22:23], v[44:45], v[22:23], -v[56:57]
	s_delay_alu instid0(VALU_DEP_4) | instskip(NEXT) | instid1(VALU_DEP_4)
	v_fma_f64 v[24:25], v[48:49], v[24:25], -v[60:61]
	v_fma_f64 v[26:27], v[50:51], v[26:27], -v[64:65]
	s_delay_alu instid0(VALU_DEP_4) | instskip(NEXT) | instid1(VALU_DEP_4)
	v_fma_f64 v[28:29], v[52:53], v[28:29], -v[68:69]
	v_fma_f64 v[14:15], v[44:45], v[14:15], v[22:23]
	s_delay_alu instid0(VALU_DEP_4) | instskip(NEXT) | instid1(VALU_DEP_4)
	v_fma_f64 v[16:17], v[48:49], v[16:17], v[24:25]
	v_fma_f64 v[18:19], v[50:51], v[18:19], v[26:27]
	s_delay_alu instid0(VALU_DEP_4) | instskip(NEXT) | instid1(VALU_DEP_4)
	v_fma_f64 v[20:21], v[52:53], v[20:21], v[28:29]
	v_add_f64 v[22:23], v[56:57], v[14:15]
	s_delay_alu instid0(VALU_DEP_4) | instskip(NEXT) | instid1(VALU_DEP_4)
	v_add_f64 v[24:25], v[60:61], v[16:17]
	v_add_f64 v[26:27], v[64:65], v[18:19]
	s_delay_alu instid0(VALU_DEP_4) | instskip(NEXT) | instid1(VALU_DEP_4)
	v_add_f64 v[28:29], v[68:69], v[20:21]
	v_add_f64 v[54:55], v[46:47], -v[22:23]
	v_add_f64 v[56:57], v[22:23], -v[56:57]
	v_add_f64 v[58:59], v[38:39], -v[24:25]
	v_add_f64 v[60:61], v[24:25], -v[60:61]
	v_add_f64 v[62:63], v[40:41], -v[26:27]
	v_add_f64 v[64:65], v[26:27], -v[64:65]
	v_add_f64 v[66:67], v[42:43], -v[28:29]
	v_add_f64 v[68:69], v[28:29], -v[68:69]
	v_add_f64 v[46:47], v[46:47], -v[54:55]
	v_add_f64 v[14:15], v[56:57], -v[14:15]
	v_add_f64 v[38:39], v[38:39], -v[58:59]
	v_add_f64 v[16:17], v[60:61], -v[16:17]
	v_add_f64 v[40:41], v[40:41], -v[62:63]
	v_add_f64 v[18:19], v[64:65], -v[18:19]
	v_add_f64 v[42:43], v[42:43], -v[66:67]
	v_add_f64 v[20:21], v[68:69], -v[20:21]
	v_add_f64 v[22:23], v[46:47], -v[22:23]
	v_add_f64 v[24:25], v[38:39], -v[24:25]
	v_add_f64 v[26:27], v[40:41], -v[26:27]
	v_add_f64 v[28:29], v[42:43], -v[28:29]
	s_delay_alu instid0(VALU_DEP_4) | instskip(NEXT) | instid1(VALU_DEP_4)
	v_add_f64 v[14:15], v[14:15], v[22:23]
	v_add_f64 v[16:17], v[16:17], v[24:25]
	s_delay_alu instid0(VALU_DEP_4) | instskip(NEXT) | instid1(VALU_DEP_4)
	v_add_f64 v[18:19], v[18:19], v[26:27]
	v_add_f64 v[20:21], v[20:21], v[28:29]
	;; [unrolled: 3-line block ×4, first 2 shown]
	s_delay_alu instid0(VALU_DEP_4) | instskip(NEXT) | instid1(VALU_DEP_4)
	v_mul_f64 v[14:15], v[30:31], v[14:15]
	v_mul_f64 v[16:17], v[32:33], v[16:17]
	s_delay_alu instid0(VALU_DEP_4) | instskip(NEXT) | instid1(VALU_DEP_4)
	v_mul_f64 v[18:19], v[34:35], v[18:19]
	v_mul_f64 v[20:21], v[36:37], v[20:21]
	s_delay_alu instid0(VALU_DEP_4) | instskip(NEXT) | instid1(VALU_DEP_4)
	v_add_f64 v[22:23], v[44:45], v[14:15]
	v_add_f64 v[24:25], v[48:49], v[16:17]
	s_delay_alu instid0(VALU_DEP_4) | instskip(NEXT) | instid1(VALU_DEP_4)
	v_add_f64 v[26:27], v[50:51], v[18:19]
	v_add_f64 v[28:29], v[52:53], v[20:21]
	s_delay_alu instid0(VALU_DEP_4) | instskip(NEXT) | instid1(VALU_DEP_4)
	v_mul_f64 v[30:31], v[22:23], v[22:23]
	v_mul_f64 v[32:33], v[24:25], v[24:25]
	s_delay_alu instid0(VALU_DEP_4) | instskip(NEXT) | instid1(VALU_DEP_4)
	v_mul_f64 v[34:35], v[26:27], v[26:27]
	v_mul_f64 v[36:37], v[28:29], v[28:29]
	s_delay_alu instid0(VALU_DEP_4)
	v_fma_f64 v[38:39], v[30:31], s[14:15], s[12:13]
	v_mul_f64 v[54:55], v[22:23], v[30:31]
	v_fma_f64 v[40:41], v[32:33], s[14:15], s[12:13]
	v_fma_f64 v[42:43], v[34:35], s[14:15], s[12:13]
	;; [unrolled: 1-line block ×4, first 2 shown]
	s_delay_alu instid0(VALU_DEP_4) | instskip(NEXT) | instid1(VALU_DEP_4)
	v_fma_f64 v[40:41], v[32:33], v[40:41], s[16:17]
	v_fma_f64 v[42:43], v[34:35], v[42:43], s[16:17]
	s_delay_alu instid0(VALU_DEP_4) | instskip(NEXT) | instid1(VALU_DEP_4)
	v_fma_f64 v[46:47], v[36:37], v[46:47], s[16:17]
	v_fma_f64 v[38:39], v[30:31], v[38:39], s[18:19]
	;; [unrolled: 3-line block ×8, first 2 shown]
	v_mul_f64 v[38:39], v[24:25], v[32:33]
	v_fma_f64 v[32:33], v[32:33], v[40:41], s[30:31]
	v_mul_f64 v[40:41], v[26:27], v[34:35]
	v_fma_f64 v[34:35], v[34:35], v[42:43], s[30:31]
	;; [unrolled: 2-line block ×3, first 2 shown]
	v_ldexp_f64 v[46:47], v[22:23], 1
	v_add_f64 v[22:23], v[22:23], -v[44:45]
	v_mul_f64 v[30:31], v[54:55], v[30:31]
	v_ldexp_f64 v[54:55], v[24:25], 1
	v_add_f64 v[24:25], v[24:25], -v[48:49]
	v_mul_f64 v[32:33], v[38:39], v[32:33]
	;; [unrolled: 3-line block ×4, first 2 shown]
	v_add_f64 v[14:15], v[14:15], -v[22:23]
	v_add_f64 v[42:43], v[46:47], v[30:31]
	v_add_f64 v[16:17], v[16:17], -v[24:25]
	v_add_f64 v[44:45], v[54:55], v[32:33]
	v_add_f64 v[18:19], v[18:19], -v[26:27]
	v_add_f64 v[48:49], v[38:39], v[34:35]
	v_add_f64 v[20:21], v[20:21], -v[28:29]
	v_add_f64 v[50:51], v[40:41], v[36:37]
	v_ldexp_f64 v[14:15], v[14:15], 1
	v_add_f64 v[22:23], v[42:43], -v[46:47]
	v_frexp_exp_i32_f64_e32 v46, v[0:1]
	v_ldexp_f64 v[16:17], v[16:17], 1
	v_frexp_exp_i32_f64_e32 v47, v[2:3]
	v_add_f64 v[24:25], v[44:45], -v[54:55]
	v_ldexp_f64 v[18:19], v[18:19], 1
	v_add_f64 v[26:27], v[48:49], -v[38:39]
	v_ldexp_f64 v[20:21], v[20:21], 1
	v_add_f64 v[28:29], v[50:51], -v[40:41]
	v_add_f64 v[22:23], v[30:31], -v[22:23]
	v_frexp_exp_i32_f64_e32 v30, v[6:7]
	v_subrev_co_ci_u32_e64 v52, vcc_lo, 0, v47, s2
	v_cmp_class_f64_e64 s2, v[2:3], 0x204
	v_add_f64 v[24:25], v[32:33], -v[24:25]
	v_add_f64 v[26:27], v[34:35], -v[26:27]
	v_add_f64 v[28:29], v[36:37], -v[28:29]
	v_add_f64 v[14:15], v[14:15], v[22:23]
	v_subrev_co_ci_u32_e64 v36, vcc_lo, 0, v30, s0
	v_cvt_f64_i32_e32 v[30:31], v9
	v_subrev_co_ci_u32_e64 v9, vcc_lo, 0, v46, s1
	v_add_f64 v[16:17], v[16:17], v[24:25]
	s_delay_alu instid0(VALU_DEP_4)
	v_cvt_f64_i32_e32 v[36:37], v36
	v_cmp_class_f64_e64 s0, v[6:7], 0x204
	v_cmp_class_f64_e64 vcc_lo, v[4:5], 0x204
	v_cmp_class_f64_e64 s1, v[0:1], 0x204
	v_add_f64 v[18:19], v[18:19], v[26:27]
	v_add_f64 v[20:21], v[20:21], v[28:29]
	;; [unrolled: 1-line block ×3, first 2 shown]
	v_mul_f64 v[54:55], v[30:31], s[24:25]
	v_add_f64 v[24:25], v[44:45], v[16:17]
	v_mul_f64 v[56:57], v[36:37], s[24:25]
	v_add_f64 v[26:27], v[48:49], v[18:19]
	v_add_f64 v[28:29], v[50:51], v[20:21]
	v_add_f64 v[32:33], v[22:23], -v[42:43]
	v_mul_f64 v[34:35], v[22:23], s[10:11]
	v_cvt_f64_i32_e32 v[42:43], v9
	v_fma_f64 v[62:63], v[30:31], s[24:25], -v[54:55]
	v_add_f64 v[38:39], v[24:25], -v[44:45]
	v_mul_f64 v[40:41], v[24:25], s[10:11]
	v_add_f64 v[44:45], v[26:27], -v[48:49]
	v_cvt_f64_i32_e32 v[48:49], v52
	v_mul_f64 v[46:47], v[26:27], s[10:11]
	v_add_f64 v[50:51], v[28:29], -v[50:51]
	v_mul_f64 v[52:53], v[28:29], s[10:11]
	v_add_f64 v[14:15], v[14:15], -v[32:33]
	v_fma_f64 v[32:33], v[22:23], s[10:11], -v[34:35]
	v_mul_f64 v[58:59], v[42:43], s[24:25]
	v_fma_f64 v[30:31], v[30:31], s[8:9], v[62:63]
	v_add_f64 v[16:17], v[16:17], -v[38:39]
	v_fma_f64 v[38:39], v[24:25], s[10:11], -v[40:41]
	v_add_f64 v[18:19], v[18:19], -v[44:45]
	v_mul_f64 v[60:61], v[48:49], s[24:25]
	v_fma_f64 v[44:45], v[26:27], s[10:11], -v[46:47]
	v_add_f64 v[20:21], v[20:21], -v[50:51]
	v_fma_f64 v[50:51], v[28:29], s[10:11], -v[52:53]
	v_fma_f64 v[14:15], v[14:15], s[10:11], v[32:33]
	v_fma_f64 v[32:33], v[36:37], s[24:25], -v[56:57]
	v_fma_f64 v[16:17], v[16:17], s[10:11], v[38:39]
	;; [unrolled: 2-line block ×4, first 2 shown]
	v_fma_f64 v[14:15], v[22:23], s[26:27], v[14:15]
	v_fma_f64 v[22:23], v[36:37], s[8:9], v[32:33]
	;; [unrolled: 1-line block ×7, first 2 shown]
	v_add_f64 v[28:29], v[54:55], v[30:31]
	v_add_f64 v[32:33], v[34:35], v[14:15]
	;; [unrolled: 1-line block ×8, first 2 shown]
	v_add_f64 v[54:55], v[28:29], -v[54:55]
	v_add_f64 v[62:63], v[28:29], v[32:33]
	v_add_f64 v[34:35], v[32:33], -v[34:35]
	v_add_f64 v[56:57], v[36:37], -v[56:57]
	v_add_f64 v[64:65], v[36:37], v[38:39]
	v_add_f64 v[40:41], v[38:39], -v[40:41]
	;; [unrolled: 3-line block ×4, first 2 shown]
	v_add_f64 v[52:53], v[50:51], -v[52:53]
	v_add_f64 v[70:71], v[62:63], -v[28:29]
	;; [unrolled: 1-line block ×14, first 2 shown]
	v_add_f64 v[46:47], v[30:31], v[14:15]
	v_add_f64 v[80:81], v[64:65], -v[72:73]
	v_add_f64 v[34:35], v[38:39], -v[72:73]
	;; [unrolled: 1-line block ×10, first 2 shown]
	v_add_f64 v[28:29], v[32:33], v[28:29]
	v_add_f64 v[32:33], v[22:23], v[16:17]
	;; [unrolled: 1-line block ×7, first 2 shown]
	v_add_f64 v[44:45], v[46:47], -v[30:31]
	v_add_f64 v[28:29], v[46:47], v[28:29]
	v_add_f64 v[48:49], v[32:33], -v[22:23]
	v_add_f64 v[34:35], v[32:33], v[34:35]
	;; [unrolled: 2-line block ×4, first 2 shown]
	v_add_f64 v[46:47], v[46:47], -v[44:45]
	v_add_f64 v[14:15], v[14:15], -v[44:45]
	v_add_f64 v[54:55], v[62:63], v[28:29]
	v_add_f64 v[32:33], v[32:33], -v[48:49]
	v_add_f64 v[16:17], v[16:17], -v[48:49]
	v_add_f64 v[56:57], v[64:65], v[34:35]
	;; [unrolled: 3-line block ×4, first 2 shown]
	v_add_f64 v[30:31], v[30:31], -v[46:47]
	v_add_f64 v[44:45], v[54:55], -v[62:63]
	v_add_f64 v[22:23], v[22:23], -v[32:33]
	v_add_f64 v[32:33], v[56:57], -v[64:65]
	v_add_f64 v[24:25], v[24:25], -v[36:37]
	v_add_f64 v[36:37], v[58:59], -v[66:67]
	v_add_f64 v[26:27], v[26:27], -v[40:41]
	v_add_f64 v[40:41], v[60:61], -v[68:69]
	v_add_f64 v[14:15], v[14:15], v[30:31]
	v_add_f64 v[28:29], v[28:29], -v[44:45]
	v_add_f64 v[16:17], v[16:17], v[22:23]
	v_add_f64 v[22:23], v[34:35], -v[32:33]
	v_add_f64 v[18:19], v[18:19], v[24:25]
	v_add_f64 v[24:25], v[38:39], -v[36:37]
	v_add_f64 v[20:21], v[20:21], v[26:27]
	v_add_f64 v[26:27], v[42:43], -v[40:41]
	v_add_f64 v[14:15], v[14:15], v[28:29]
	v_add_f64 v[16:17], v[16:17], v[22:23]
	;; [unrolled: 1-line block ×3, first 2 shown]
	s_delay_alu instid0(VALU_DEP_4) | instskip(NEXT) | instid1(VALU_DEP_4)
	v_add_f64 v[20:21], v[20:21], v[26:27]
	v_add_f64 v[14:15], v[54:55], v[14:15]
	s_delay_alu instid0(VALU_DEP_4) | instskip(NEXT) | instid1(VALU_DEP_4)
	v_add_f64 v[16:17], v[56:57], v[16:17]
	v_add_f64 v[18:19], v[58:59], v[18:19]
	s_delay_alu instid0(VALU_DEP_4) | instskip(NEXT) | instid1(VALU_DEP_4)
	v_add_f64 v[20:21], v[60:61], v[20:21]
	v_dual_cndmask_b32 v9, v14, v4 :: v_dual_cndmask_b32 v14, v15, v5
	v_cmp_le_i64_e32 vcc_lo, s[6:7], v[10:11]
	v_cndmask_b32_e64 v16, v16, v6, s0
	v_cndmask_b32_e64 v17, v17, v7, s0
	v_cmp_nge_f64_e64 s0, 0, v[4:5]
	v_cndmask_b32_e64 v15, 0x7ff80000, v14, s4
	s_delay_alu instid0(VALU_DEP_2) | instskip(SKIP_3) | instid1(VALU_DEP_3)
	v_cndmask_b32_e64 v14, 0, v9, s0
	v_cmp_neq_f64_e64 s0, 0, v[4:5]
	v_cndmask_b32_e64 v9, v19, v1, s1
	v_cndmask_b32_e64 v5, v18, v0, s1
	;; [unrolled: 1-line block ×3, first 2 shown]
	v_cmp_ngt_f64_e64 s0, 0, v[6:7]
	s_delay_alu instid0(VALU_DEP_1) | instskip(SKIP_1) | instid1(VALU_DEP_1)
	v_cndmask_b32_e64 v4, 0x7ff80000, v17, s0
	v_cmp_nge_f64_e64 s0, 0, v[6:7]
	v_cndmask_b32_e64 v16, 0, v16, s0
	v_cmp_neq_f64_e64 s0, 0, v[6:7]
	v_cndmask_b32_e64 v7, v21, v3, s2
	v_cndmask_b32_e64 v6, v20, v2, s2
	s_delay_alu instid0(VALU_DEP_3) | instskip(SKIP_1) | instid1(VALU_DEP_1)
	v_cndmask_b32_e64 v17, 0xfff00000, v4, s0
	v_cmp_ngt_f64_e64 s0, 0, v[0:1]
	v_cndmask_b32_e64 v9, 0x7ff80000, v9, s0
	v_cmp_nge_f64_e64 s0, 0, v[0:1]
	s_delay_alu instid0(VALU_DEP_1) | instskip(SKIP_1) | instid1(VALU_DEP_1)
	v_cndmask_b32_e64 v4, 0, v5, s0
	v_cmp_ngt_f64_e64 s0, 0, v[2:3]
	v_cndmask_b32_e64 v7, 0x7ff80000, v7, s0
	v_cmp_neq_f64_e64 s0, 0, v[0:1]
	s_delay_alu instid0(VALU_DEP_1) | instskip(SKIP_1) | instid1(VALU_DEP_1)
	v_cndmask_b32_e64 v5, 0xfff00000, v9, s0
	v_cmp_nge_f64_e64 s0, 0, v[2:3]
	v_cndmask_b32_e64 v6, 0, v6, s0
	v_cmp_neq_f64_e64 s0, 0, v[2:3]
	s_delay_alu instid0(VALU_DEP_1) | instskip(SKIP_1) | instid1(VALU_DEP_1)
	v_cndmask_b32_e64 v7, 0xfff00000, v7, s0
	v_add_co_u32 v10, s0, v10, s33
	v_add_co_ci_u32_e64 v11, s0, 0, v11, s0
	s_or_b32 s0, vcc_lo, s3
	s_clause 0x1
	global_store_b128 v[12:13], v[14:17], off offset:-16
	global_store_b128 v[12:13], v[4:7], off
	v_add_co_u32 v12, vcc_lo, v12, s34
	v_add_co_ci_u32_e32 v13, vcc_lo, 0, v13, vcc_lo
	s_and_b32 s0, exec_lo, s0
	s_delay_alu instid0(SALU_CYCLE_1) | instskip(NEXT) | instid1(SALU_CYCLE_1)
	s_or_b32 s5, s0, s5
	s_and_not1_b32 exec_lo, exec_lo, s5
	s_cbranch_execnz .LBB184_24
.LBB184_25:
	s_nop 0
	s_sendmsg sendmsg(MSG_DEALLOC_VGPRS)
	s_endpgm
	.section	.rodata,"a",@progbits
	.p2align	6, 0x0
	.amdhsa_kernel _ZN2at6native12_GLOBAL__N_125multi_tensor_apply_kernelINS1_18TensorListMetadataILi1EEENS1_14UnaryOpFunctorIdLi1ELi1ELi0EEEJNS0_5Log10IdEEEEEvT_T0_DpT1_
		.amdhsa_group_segment_fixed_size 0
		.amdhsa_private_segment_fixed_size 0
		.amdhsa_kernarg_size 3632
		.amdhsa_user_sgpr_count 15
		.amdhsa_user_sgpr_dispatch_ptr 0
		.amdhsa_user_sgpr_queue_ptr 0
		.amdhsa_user_sgpr_kernarg_segment_ptr 1
		.amdhsa_user_sgpr_dispatch_id 0
		.amdhsa_user_sgpr_private_segment_size 0
		.amdhsa_wavefront_size32 1
		.amdhsa_uses_dynamic_stack 0
		.amdhsa_enable_private_segment 0
		.amdhsa_system_sgpr_workgroup_id_x 1
		.amdhsa_system_sgpr_workgroup_id_y 0
		.amdhsa_system_sgpr_workgroup_id_z 0
		.amdhsa_system_sgpr_workgroup_info 0
		.amdhsa_system_vgpr_workitem_id 0
		.amdhsa_next_free_vgpr 86
		.amdhsa_next_free_sgpr 46
		.amdhsa_reserve_vcc 1
		.amdhsa_float_round_mode_32 0
		.amdhsa_float_round_mode_16_64 0
		.amdhsa_float_denorm_mode_32 3
		.amdhsa_float_denorm_mode_16_64 3
		.amdhsa_dx10_clamp 1
		.amdhsa_ieee_mode 1
		.amdhsa_fp16_overflow 0
		.amdhsa_workgroup_processor_mode 1
		.amdhsa_memory_ordered 1
		.amdhsa_forward_progress 0
		.amdhsa_shared_vgpr_count 0
		.amdhsa_exception_fp_ieee_invalid_op 0
		.amdhsa_exception_fp_denorm_src 0
		.amdhsa_exception_fp_ieee_div_zero 0
		.amdhsa_exception_fp_ieee_overflow 0
		.amdhsa_exception_fp_ieee_underflow 0
		.amdhsa_exception_fp_ieee_inexact 0
		.amdhsa_exception_int_div_zero 0
	.end_amdhsa_kernel
	.section	.text._ZN2at6native12_GLOBAL__N_125multi_tensor_apply_kernelINS1_18TensorListMetadataILi1EEENS1_14UnaryOpFunctorIdLi1ELi1ELi0EEEJNS0_5Log10IdEEEEEvT_T0_DpT1_,"axG",@progbits,_ZN2at6native12_GLOBAL__N_125multi_tensor_apply_kernelINS1_18TensorListMetadataILi1EEENS1_14UnaryOpFunctorIdLi1ELi1ELi0EEEJNS0_5Log10IdEEEEEvT_T0_DpT1_,comdat
.Lfunc_end184:
	.size	_ZN2at6native12_GLOBAL__N_125multi_tensor_apply_kernelINS1_18TensorListMetadataILi1EEENS1_14UnaryOpFunctorIdLi1ELi1ELi0EEEJNS0_5Log10IdEEEEEvT_T0_DpT1_, .Lfunc_end184-_ZN2at6native12_GLOBAL__N_125multi_tensor_apply_kernelINS1_18TensorListMetadataILi1EEENS1_14UnaryOpFunctorIdLi1ELi1ELi0EEEJNS0_5Log10IdEEEEEvT_T0_DpT1_
                                        ; -- End function
	.section	.AMDGPU.csdata,"",@progbits
; Kernel info:
; codeLenInByte = 7972
; NumSgprs: 48
; NumVgprs: 86
; ScratchSize: 0
; MemoryBound: 0
; FloatMode: 240
; IeeeMode: 1
; LDSByteSize: 0 bytes/workgroup (compile time only)
; SGPRBlocks: 5
; VGPRBlocks: 10
; NumSGPRsForWavesPerEU: 48
; NumVGPRsForWavesPerEU: 86
; Occupancy: 16
; WaveLimiterHint : 0
; COMPUTE_PGM_RSRC2:SCRATCH_EN: 0
; COMPUTE_PGM_RSRC2:USER_SGPR: 15
; COMPUTE_PGM_RSRC2:TRAP_HANDLER: 0
; COMPUTE_PGM_RSRC2:TGID_X_EN: 1
; COMPUTE_PGM_RSRC2:TGID_Y_EN: 0
; COMPUTE_PGM_RSRC2:TGID_Z_EN: 0
; COMPUTE_PGM_RSRC2:TIDIG_COMP_CNT: 0
	.section	.text._ZN2at6native12_GLOBAL__N_125multi_tensor_apply_kernelINS1_18TensorListMetadataILi1EEENS1_14UnaryOpFunctorIfLi1ELi1ELi0EEEJNS0_5Log10IfEEEEEvT_T0_DpT1_,"axG",@progbits,_ZN2at6native12_GLOBAL__N_125multi_tensor_apply_kernelINS1_18TensorListMetadataILi1EEENS1_14UnaryOpFunctorIfLi1ELi1ELi0EEEJNS0_5Log10IfEEEEEvT_T0_DpT1_,comdat
	.globl	_ZN2at6native12_GLOBAL__N_125multi_tensor_apply_kernelINS1_18TensorListMetadataILi1EEENS1_14UnaryOpFunctorIfLi1ELi1ELi0EEEJNS0_5Log10IfEEEEEvT_T0_DpT1_ ; -- Begin function _ZN2at6native12_GLOBAL__N_125multi_tensor_apply_kernelINS1_18TensorListMetadataILi1EEENS1_14UnaryOpFunctorIfLi1ELi1ELi0EEEJNS0_5Log10IfEEEEEvT_T0_DpT1_
	.p2align	8
	.type	_ZN2at6native12_GLOBAL__N_125multi_tensor_apply_kernelINS1_18TensorListMetadataILi1EEENS1_14UnaryOpFunctorIfLi1ELi1ELi0EEEJNS0_5Log10IfEEEEEvT_T0_DpT1_,@function
_ZN2at6native12_GLOBAL__N_125multi_tensor_apply_kernelINS1_18TensorListMetadataILi1EEENS1_14UnaryOpFunctorIfLi1ELi1ELi0EEEJNS0_5Log10IfEEEEEvT_T0_DpT1_: ; @_ZN2at6native12_GLOBAL__N_125multi_tensor_apply_kernelINS1_18TensorListMetadataILi1EEENS1_14UnaryOpFunctorIfLi1ELi1ELi0EEEJNS0_5Log10IfEEEEEvT_T0_DpT1_
; %bb.0:
	v_mov_b32_e32 v1, s15
	s_add_u32 s2, s0, s15
	s_mul_hi_u32 s3, s15, 3
	s_mul_i32 s15, s15, 3
	s_addc_u32 s4, s1, 0
	global_load_u8 v1, v1, s[0:1] offset:1760
	s_add_u32 s2, s2, s15
	s_addc_u32 s3, s4, s3
	s_mov_b32 s13, 0
	s_load_b32 s2, s[2:3], 0x820
	s_waitcnt vmcnt(0)
	v_readfirstlane_b32 s5, v1
	s_delay_alu instid0(VALU_DEP_1)
	s_lshl_b32 s3, s5, 3
	s_clause 0x1
	s_load_b64 s[8:9], s[0:1], s3 offset:0x0
	s_load_b64 s[4:5], s[0:1], s3 offset:0x370
	s_waitcnt lgkmcnt(0)
	s_ashr_i32 s3, s2, 31
	s_delay_alu instid0(SALU_CYCLE_1)
	s_lshl_b64 s[10:11], s[2:3], 18
	s_lshl_b64 s[2:3], s[2:3], 16
	s_and_b32 s12, s8, 15
	s_sub_u32 s6, s4, s2
	s_subb_u32 s7, s5, s3
	s_and_b32 s2, s4, 3
	s_mov_b32 s3, s13
	s_delay_alu instid0(SALU_CYCLE_1) | instskip(NEXT) | instid1(SALU_CYCLE_1)
	s_or_b64 s[2:3], s[12:13], s[2:3]
	s_cmp_eq_u64 s[2:3], 0
	s_cbranch_scc1 .LBB185_21
; %bb.1:
	v_cmp_lt_i64_e64 s2, s[6:7], 1
	s_delay_alu instid0(VALU_DEP_1)
	s_and_b32 vcc_lo, exec_lo, s2
	s_cbranch_vccnz .LBB185_20
; %bb.2:
	s_load_b32 s2, s[0:1], 0xd3c
	v_cmp_gt_u64_e64 s3, 0x10000, s[6:7]
	v_lshlrev_b32_e32 v1, 2, v0
	s_waitcnt lgkmcnt(0)
	s_and_b32 s2, s2, 0xffff
	s_delay_alu instid0(VALU_DEP_2)
	s_and_b32 s3, s3, exec_lo
	v_add_co_u32 v5, s5, v0, s2
	s_cselect_b32 s13, s7, 0
	s_cselect_b32 s12, s6, 0x10000
	s_lshl_b32 s3, s2, 1
	s_lshl_b32 s16, s2, 2
	v_lshlrev_b32_e32 v3, 2, v5
	v_add_co_ci_u32_e64 v6, null, 0, 0, s5
	s_add_u32 s5, s8, s10
	v_add_co_u32 v9, s3, s3, v0
	s_mul_i32 s4, s2, 3
	s_addc_u32 s14, s9, s11
	v_add_co_ci_u32_e64 v10, null, 0, 0, s3
	v_add_co_u32 v1, s3, s5, v1
	v_add_co_u32 v7, s4, s4, v0
	v_add_co_ci_u32_e64 v2, null, s14, 0, s3
	v_add_co_u32 v3, s3, s5, v3
	v_add_co_ci_u32_e64 v8, null, 0, 0, s4
	v_add_co_ci_u32_e64 v4, null, s14, 0, s3
	s_lshl_b32 s17, s2, 4
	s_mul_i32 s18, s2, 12
	s_lshl_b32 s19, s2, 3
	s_mov_b64 s[14:15], 0
	s_branch .LBB185_4
.LBB185_3:                              ;   in Loop: Header=BB185_4 Depth=1
	s_or_b32 exec_lo, exec_lo, s2
	s_add_u32 s14, s14, s16
	s_addc_u32 s15, s15, 0
	v_add_co_u32 v1, vcc_lo, v1, s17
	v_cmp_lt_i64_e64 s2, s[14:15], s[6:7]
	v_cmp_gt_u64_e64 s3, 0x10000, s[14:15]
	v_add_co_ci_u32_e32 v2, vcc_lo, 0, v2, vcc_lo
	v_add_co_u32 v3, vcc_lo, v3, s17
	v_add_co_ci_u32_e32 v4, vcc_lo, 0, v4, vcc_lo
	s_delay_alu instid0(VALU_DEP_4) | instskip(NEXT) | instid1(SALU_CYCLE_1)
	s_and_b32 s2, s2, s3
	s_and_b32 vcc_lo, exec_lo, s2
	s_cbranch_vccz .LBB185_20
.LBB185_4:                              ; =>This Inner Loop Header: Depth=1
	s_waitcnt vmcnt(0)
	v_add_co_u32 v11, s2, v0, s14
	s_delay_alu instid0(VALU_DEP_1) | instskip(SKIP_1) | instid1(VALU_DEP_2)
	v_add_co_ci_u32_e64 v12, null, 0, s15, s2
	v_mov_b32_e32 v14, 0
	v_cmp_gt_u64_e64 s4, s[12:13], v[11:12]
	s_delay_alu instid0(VALU_DEP_1)
	s_and_saveexec_b32 s2, s4
	s_cbranch_execz .LBB185_6
; %bb.5:                                ;   in Loop: Header=BB185_4 Depth=1
	global_load_b32 v14, v[1:2], off
.LBB185_6:                              ;   in Loop: Header=BB185_4 Depth=1
	s_or_b32 exec_lo, exec_lo, s2
	v_add_co_u32 v11, vcc_lo, v5, s14
	v_add_co_ci_u32_e32 v12, vcc_lo, s15, v6, vcc_lo
	v_mov_b32_e32 v13, 0
	s_delay_alu instid0(VALU_DEP_2) | instskip(NEXT) | instid1(VALU_DEP_1)
	v_cmp_gt_u64_e64 s3, s[12:13], v[11:12]
	s_and_saveexec_b32 s2, s3
	s_cbranch_execz .LBB185_8
; %bb.7:                                ;   in Loop: Header=BB185_4 Depth=1
	global_load_b32 v13, v[3:4], off
.LBB185_8:                              ;   in Loop: Header=BB185_4 Depth=1
	s_or_b32 exec_lo, exec_lo, s2
	v_add_co_u32 v11, vcc_lo, v9, s14
	v_add_co_ci_u32_e32 v12, vcc_lo, s15, v10, vcc_lo
	s_delay_alu instid0(VALU_DEP_1) | instskip(SKIP_1) | instid1(VALU_DEP_2)
	v_cmp_gt_u64_e64 s2, s[12:13], v[11:12]
	v_dual_mov_b32 v11, 0 :: v_dual_mov_b32 v12, 0
	s_and_saveexec_b32 s5, s2
	s_cbranch_execz .LBB185_10
; %bb.9:                                ;   in Loop: Header=BB185_4 Depth=1
	v_add_co_u32 v15, vcc_lo, v1, s19
	v_add_co_ci_u32_e32 v16, vcc_lo, 0, v2, vcc_lo
	global_load_b32 v12, v[15:16], off
.LBB185_10:                             ;   in Loop: Header=BB185_4 Depth=1
	s_or_b32 exec_lo, exec_lo, s5
	v_add_co_u32 v15, vcc_lo, v7, s14
	v_add_co_ci_u32_e32 v16, vcc_lo, s15, v8, vcc_lo
	s_delay_alu instid0(VALU_DEP_1)
	v_cmp_gt_u64_e32 vcc_lo, s[12:13], v[15:16]
	s_and_saveexec_b32 s20, vcc_lo
	s_cbranch_execnz .LBB185_15
; %bb.11:                               ;   in Loop: Header=BB185_4 Depth=1
	s_or_b32 exec_lo, exec_lo, s20
	s_and_saveexec_b32 s20, s4
	s_cbranch_execnz .LBB185_16
.LBB185_12:                             ;   in Loop: Header=BB185_4 Depth=1
	s_or_b32 exec_lo, exec_lo, s20
	s_and_saveexec_b32 s5, s3
	s_cbranch_execnz .LBB185_17
.LBB185_13:                             ;   in Loop: Header=BB185_4 Depth=1
	s_or_b32 exec_lo, exec_lo, s5
	s_and_saveexec_b32 s3, s2
	s_cbranch_execnz .LBB185_18
.LBB185_14:                             ;   in Loop: Header=BB185_4 Depth=1
	s_or_b32 exec_lo, exec_lo, s3
	s_and_saveexec_b32 s2, vcc_lo
	s_cbranch_execz .LBB185_3
	s_branch .LBB185_19
.LBB185_15:                             ;   in Loop: Header=BB185_4 Depth=1
	v_add_co_u32 v15, s5, v1, s18
	s_delay_alu instid0(VALU_DEP_1)
	v_add_co_ci_u32_e64 v16, s5, 0, v2, s5
	global_load_b32 v11, v[15:16], off
	s_or_b32 exec_lo, exec_lo, s20
	s_and_saveexec_b32 s20, s4
	s_cbranch_execz .LBB185_12
.LBB185_16:                             ;   in Loop: Header=BB185_4 Depth=1
	s_waitcnt vmcnt(0)
	v_cmp_gt_f32_e64 s4, 0x800000, v14
	s_delay_alu instid0(VALU_DEP_1) | instskip(NEXT) | instid1(VALU_DEP_1)
	v_cndmask_b32_e64 v15, 1.0, 0x4f800000, s4
	v_mul_f32_e32 v14, v14, v15
	s_delay_alu instid0(VALU_DEP_1) | instskip(SKIP_3) | instid1(VALU_DEP_2)
	v_log_f32_e32 v14, v14
	s_waitcnt_depctr 0xfff
	v_mul_f32_e32 v15, 0x3e9a209a, v14
	v_cmp_gt_f32_e64 s5, 0x7f800000, |v14|
	v_fma_f32 v15, 0x3e9a209a, v14, -v15
	s_delay_alu instid0(VALU_DEP_1) | instskip(NEXT) | instid1(VALU_DEP_1)
	v_fmac_f32_e32 v15, 0x3284fbcf, v14
	v_fmac_f32_e32 v15, 0x3e9a209a, v14
	s_delay_alu instid0(VALU_DEP_1) | instskip(SKIP_1) | instid1(VALU_DEP_1)
	v_cndmask_b32_e64 v14, v14, v15, s5
	v_cndmask_b32_e64 v15, 0, 0x411a209b, s4
	v_sub_f32_e32 v14, v14, v15
	global_store_b32 v[1:2], v14, off
	s_or_b32 exec_lo, exec_lo, s20
	s_and_saveexec_b32 s5, s3
	s_cbranch_execz .LBB185_13
.LBB185_17:                             ;   in Loop: Header=BB185_4 Depth=1
	s_waitcnt vmcnt(0)
	v_cmp_gt_f32_e64 s3, 0x800000, v13
	s_delay_alu instid0(VALU_DEP_1) | instskip(NEXT) | instid1(VALU_DEP_1)
	v_cndmask_b32_e64 v14, 1.0, 0x4f800000, s3
	v_mul_f32_e32 v13, v13, v14
	s_delay_alu instid0(VALU_DEP_1) | instskip(SKIP_3) | instid1(VALU_DEP_2)
	v_log_f32_e32 v13, v13
	s_waitcnt_depctr 0xfff
	v_mul_f32_e32 v14, 0x3e9a209a, v13
	v_cmp_gt_f32_e64 s4, 0x7f800000, |v13|
	v_fma_f32 v14, 0x3e9a209a, v13, -v14
	s_delay_alu instid0(VALU_DEP_1) | instskip(NEXT) | instid1(VALU_DEP_1)
	v_fmac_f32_e32 v14, 0x3284fbcf, v13
	v_fmac_f32_e32 v14, 0x3e9a209a, v13
	s_delay_alu instid0(VALU_DEP_1) | instskip(SKIP_1) | instid1(VALU_DEP_1)
	v_cndmask_b32_e64 v13, v13, v14, s4
	v_cndmask_b32_e64 v14, 0, 0x411a209b, s3
	v_sub_f32_e32 v13, v13, v14
	global_store_b32 v[3:4], v13, off
	s_or_b32 exec_lo, exec_lo, s5
	s_and_saveexec_b32 s3, s2
	s_cbranch_execz .LBB185_14
.LBB185_18:                             ;   in Loop: Header=BB185_4 Depth=1
	s_waitcnt vmcnt(0)
	v_cmp_gt_f32_e64 s2, 0x800000, v12
	s_delay_alu instid0(VALU_DEP_1) | instskip(SKIP_1) | instid1(VALU_DEP_2)
	v_cndmask_b32_e64 v13, 1.0, 0x4f800000, s2
	v_cndmask_b32_e64 v14, 0, 0x411a209b, s2
	v_mul_f32_e32 v12, v12, v13
	s_delay_alu instid0(VALU_DEP_1) | instskip(SKIP_3) | instid1(VALU_DEP_2)
	v_log_f32_e32 v12, v12
	s_waitcnt_depctr 0xfff
	v_mul_f32_e32 v13, 0x3e9a209a, v12
	v_cmp_gt_f32_e64 s2, 0x7f800000, |v12|
	v_fma_f32 v13, 0x3e9a209a, v12, -v13
	s_delay_alu instid0(VALU_DEP_1) | instskip(NEXT) | instid1(VALU_DEP_1)
	v_fmac_f32_e32 v13, 0x3284fbcf, v12
	v_fmac_f32_e32 v13, 0x3e9a209a, v12
	s_delay_alu instid0(VALU_DEP_1) | instskip(NEXT) | instid1(VALU_DEP_1)
	v_cndmask_b32_e64 v12, v12, v13, s2
	v_sub_f32_e32 v14, v12, v14
	v_add_co_u32 v12, s2, v1, s19
	s_delay_alu instid0(VALU_DEP_1)
	v_add_co_ci_u32_e64 v13, s2, 0, v2, s2
	global_store_b32 v[12:13], v14, off
	s_or_b32 exec_lo, exec_lo, s3
	s_and_saveexec_b32 s2, vcc_lo
	s_cbranch_execz .LBB185_3
.LBB185_19:                             ;   in Loop: Header=BB185_4 Depth=1
	s_waitcnt vmcnt(0)
	v_cmp_gt_f32_e32 vcc_lo, 0x800000, v11
	v_cndmask_b32_e64 v12, 1.0, 0x4f800000, vcc_lo
	v_cndmask_b32_e64 v13, 0, 0x411a209b, vcc_lo
	s_delay_alu instid0(VALU_DEP_2) | instskip(NEXT) | instid1(VALU_DEP_1)
	v_mul_f32_e32 v11, v11, v12
	v_log_f32_e32 v11, v11
	s_waitcnt_depctr 0xfff
	v_mul_f32_e32 v12, 0x3e9a209a, v11
	v_cmp_gt_f32_e64 vcc_lo, 0x7f800000, |v11|
	s_delay_alu instid0(VALU_DEP_2) | instskip(NEXT) | instid1(VALU_DEP_1)
	v_fma_f32 v12, 0x3e9a209a, v11, -v12
	v_fmac_f32_e32 v12, 0x3284fbcf, v11
	s_delay_alu instid0(VALU_DEP_1) | instskip(NEXT) | instid1(VALU_DEP_1)
	v_fmac_f32_e32 v12, 0x3e9a209a, v11
	v_cndmask_b32_e32 v11, v11, v12, vcc_lo
	s_delay_alu instid0(VALU_DEP_1)
	v_sub_f32_e32 v13, v11, v13
	v_add_co_u32 v11, vcc_lo, v1, s18
	v_add_co_ci_u32_e32 v12, vcc_lo, 0, v2, vcc_lo
	global_store_b32 v[11:12], v13, off
	s_branch .LBB185_3
.LBB185_20:
	s_cbranch_execz .LBB185_22
	s_branch .LBB185_25
.LBB185_21:
.LBB185_22:
	v_dual_mov_b32 v2, 0 :: v_dual_lshlrev_b32 v1, 2, v0
	s_mov_b32 s4, 0
	s_mov_b32 s2, exec_lo
	s_delay_alu instid0(VALU_DEP_1)
	v_cmpx_gt_i64_e64 s[6:7], v[1:2]
	s_cbranch_execz .LBB185_25
; %bb.23:
	s_load_b32 s0, s[0:1], 0xd3c
	v_lshlrev_b32_e32 v1, 4, v0
	s_waitcnt lgkmcnt(0)
	s_and_b32 s0, s0, 0xffff
	s_delay_alu instid0(SALU_CYCLE_1) | instskip(SKIP_3) | instid1(VALU_DEP_1)
	s_lshl_b32 s5, s0, 2
	s_add_u32 s1, s8, s10
	s_addc_u32 s2, s9, s11
	v_add_co_u32 v3, s1, s1, v1
	v_add_co_ci_u32_e64 v4, null, s2, 0, s1
	v_add_lshl_u32 v1, v0, s0, 2
	s_delay_alu instid0(VALU_DEP_3) | instskip(NEXT) | instid1(VALU_DEP_3)
	v_add_co_u32 v3, vcc_lo, v3, 8
	v_add_co_ci_u32_e32 v4, vcc_lo, 0, v4, vcc_lo
	s_lshl_b32 s8, s0, 4
.LBB185_24:                             ; =>This Inner Loop Header: Depth=1
	global_load_b128 v[5:8], v[3:4], off offset:-8
	v_cmp_le_i64_e64 s3, s[6:7], v[1:2]
	s_waitcnt vmcnt(0)
	v_cmp_gt_f32_e32 vcc_lo, 0x800000, v5
	v_cmp_gt_f32_e64 s0, 0x800000, v6
	v_cmp_gt_f32_e64 s1, 0x800000, v7
	;; [unrolled: 1-line block ×3, first 2 shown]
	v_cndmask_b32_e64 v0, 1.0, 0x4f800000, vcc_lo
	s_delay_alu instid0(VALU_DEP_4) | instskip(NEXT) | instid1(VALU_DEP_4)
	v_cndmask_b32_e64 v9, 1.0, 0x4f800000, s0
	v_cndmask_b32_e64 v10, 1.0, 0x4f800000, s1
	s_delay_alu instid0(VALU_DEP_4) | instskip(SKIP_1) | instid1(VALU_DEP_4)
	v_cndmask_b32_e64 v11, 1.0, 0x4f800000, s2
	v_cndmask_b32_e64 v13, 0, 0x411a209b, s0
	v_dual_mul_f32 v0, v5, v0 :: v_dual_mul_f32 v5, v6, v9
	s_delay_alu instid0(VALU_DEP_3) | instskip(SKIP_1) | instid1(VALU_DEP_3)
	v_dual_mul_f32 v6, v7, v10 :: v_dual_mul_f32 v7, v8, v11
	v_cndmask_b32_e64 v8, 0, 0x411a209b, vcc_lo
	v_log_f32_e32 v0, v0
	s_delay_alu instid0(VALU_DEP_3) | instskip(NEXT) | instid1(VALU_DEP_2)
	v_log_f32_e32 v5, v5
	v_log_f32_e32 v6, v6
	;; [unrolled: 1-line block ×3, first 2 shown]
	v_cndmask_b32_e64 v14, 0, 0x411a209b, s1
	v_cndmask_b32_e64 v15, 0, 0x411a209b, s2
	s_delay_alu instid0(TRANS32_DEP_3)
	v_dual_mul_f32 v9, 0x3e9a209a, v0 :: v_dual_mul_f32 v10, 0x3e9a209a, v5
	s_waitcnt_depctr 0xfff
	v_dual_mul_f32 v11, 0x3e9a209a, v6 :: v_dual_mul_f32 v12, 0x3e9a209a, v7
	v_cmp_gt_f32_e64 vcc_lo, 0x7f800000, |v0|
	v_fma_f32 v9, 0x3e9a209a, v0, -v9
	v_fma_f32 v10, 0x3e9a209a, v5, -v10
	s_delay_alu instid0(VALU_DEP_4) | instskip(SKIP_1) | instid1(VALU_DEP_3)
	v_fma_f32 v11, 0x3e9a209a, v6, -v11
	v_fma_f32 v12, 0x3e9a209a, v7, -v12
	v_dual_fmac_f32 v9, 0x3284fbcf, v0 :: v_dual_fmac_f32 v10, 0x3284fbcf, v5
	s_delay_alu instid0(VALU_DEP_2) | instskip(NEXT) | instid1(VALU_DEP_2)
	v_dual_fmac_f32 v11, 0x3284fbcf, v6 :: v_dual_fmac_f32 v12, 0x3284fbcf, v7
	v_dual_fmac_f32 v9, 0x3e9a209a, v0 :: v_dual_fmac_f32 v10, 0x3e9a209a, v5
	s_delay_alu instid0(VALU_DEP_2) | instskip(NEXT) | instid1(VALU_DEP_2)
	v_dual_fmac_f32 v11, 0x3e9a209a, v6 :: v_dual_fmac_f32 v12, 0x3e9a209a, v7
	v_cndmask_b32_e32 v0, v0, v9, vcc_lo
	v_cmp_gt_f32_e64 vcc_lo, 0x7f800000, |v5|
	s_delay_alu instid0(VALU_DEP_4) | instskip(SKIP_1) | instid1(VALU_DEP_4)
	v_cndmask_b32_e32 v9, v5, v10, vcc_lo
	v_cmp_gt_f32_e64 vcc_lo, 0x7f800000, |v6|
	v_dual_sub_f32 v5, v0, v8 :: v_dual_cndmask_b32 v10, v6, v11
	v_cmp_gt_f32_e64 vcc_lo, 0x7f800000, |v7|
	s_delay_alu instid0(VALU_DEP_4) | instskip(SKIP_1) | instid1(VALU_DEP_4)
	v_dual_sub_f32 v6, v9, v13 :: v_dual_cndmask_b32 v11, v7, v12
	v_cmp_lt_u64_e32 vcc_lo, 0xffff, v[1:2]
	v_sub_f32_e32 v7, v10, v14
	v_add_co_u32 v1, s0, v1, s5
	s_delay_alu instid0(VALU_DEP_4)
	v_sub_f32_e32 v8, v11, v15
	v_add_co_ci_u32_e64 v2, s0, 0, v2, s0
	s_or_b32 s0, s3, vcc_lo
	global_store_b128 v[3:4], v[5:8], off offset:-8
	v_add_co_u32 v3, vcc_lo, v3, s8
	v_add_co_ci_u32_e32 v4, vcc_lo, 0, v4, vcc_lo
	s_and_b32 s0, exec_lo, s0
	s_delay_alu instid0(SALU_CYCLE_1) | instskip(NEXT) | instid1(SALU_CYCLE_1)
	s_or_b32 s4, s0, s4
	s_and_not1_b32 exec_lo, exec_lo, s4
	s_cbranch_execnz .LBB185_24
.LBB185_25:
	s_nop 0
	s_sendmsg sendmsg(MSG_DEALLOC_VGPRS)
	s_endpgm
	.section	.rodata,"a",@progbits
	.p2align	6, 0x0
	.amdhsa_kernel _ZN2at6native12_GLOBAL__N_125multi_tensor_apply_kernelINS1_18TensorListMetadataILi1EEENS1_14UnaryOpFunctorIfLi1ELi1ELi0EEEJNS0_5Log10IfEEEEEvT_T0_DpT1_
		.amdhsa_group_segment_fixed_size 0
		.amdhsa_private_segment_fixed_size 0
		.amdhsa_kernarg_size 3632
		.amdhsa_user_sgpr_count 15
		.amdhsa_user_sgpr_dispatch_ptr 0
		.amdhsa_user_sgpr_queue_ptr 0
		.amdhsa_user_sgpr_kernarg_segment_ptr 1
		.amdhsa_user_sgpr_dispatch_id 0
		.amdhsa_user_sgpr_private_segment_size 0
		.amdhsa_wavefront_size32 1
		.amdhsa_uses_dynamic_stack 0
		.amdhsa_enable_private_segment 0
		.amdhsa_system_sgpr_workgroup_id_x 1
		.amdhsa_system_sgpr_workgroup_id_y 0
		.amdhsa_system_sgpr_workgroup_id_z 0
		.amdhsa_system_sgpr_workgroup_info 0
		.amdhsa_system_vgpr_workitem_id 0
		.amdhsa_next_free_vgpr 17
		.amdhsa_next_free_sgpr 21
		.amdhsa_reserve_vcc 1
		.amdhsa_float_round_mode_32 0
		.amdhsa_float_round_mode_16_64 0
		.amdhsa_float_denorm_mode_32 3
		.amdhsa_float_denorm_mode_16_64 3
		.amdhsa_dx10_clamp 1
		.amdhsa_ieee_mode 1
		.amdhsa_fp16_overflow 0
		.amdhsa_workgroup_processor_mode 1
		.amdhsa_memory_ordered 1
		.amdhsa_forward_progress 0
		.amdhsa_shared_vgpr_count 0
		.amdhsa_exception_fp_ieee_invalid_op 0
		.amdhsa_exception_fp_denorm_src 0
		.amdhsa_exception_fp_ieee_div_zero 0
		.amdhsa_exception_fp_ieee_overflow 0
		.amdhsa_exception_fp_ieee_underflow 0
		.amdhsa_exception_fp_ieee_inexact 0
		.amdhsa_exception_int_div_zero 0
	.end_amdhsa_kernel
	.section	.text._ZN2at6native12_GLOBAL__N_125multi_tensor_apply_kernelINS1_18TensorListMetadataILi1EEENS1_14UnaryOpFunctorIfLi1ELi1ELi0EEEJNS0_5Log10IfEEEEEvT_T0_DpT1_,"axG",@progbits,_ZN2at6native12_GLOBAL__N_125multi_tensor_apply_kernelINS1_18TensorListMetadataILi1EEENS1_14UnaryOpFunctorIfLi1ELi1ELi0EEEJNS0_5Log10IfEEEEEvT_T0_DpT1_,comdat
.Lfunc_end185:
	.size	_ZN2at6native12_GLOBAL__N_125multi_tensor_apply_kernelINS1_18TensorListMetadataILi1EEENS1_14UnaryOpFunctorIfLi1ELi1ELi0EEEJNS0_5Log10IfEEEEEvT_T0_DpT1_, .Lfunc_end185-_ZN2at6native12_GLOBAL__N_125multi_tensor_apply_kernelINS1_18TensorListMetadataILi1EEENS1_14UnaryOpFunctorIfLi1ELi1ELi0EEEJNS0_5Log10IfEEEEEvT_T0_DpT1_
                                        ; -- End function
	.section	.AMDGPU.csdata,"",@progbits
; Kernel info:
; codeLenInByte = 1956
; NumSgprs: 23
; NumVgprs: 17
; ScratchSize: 0
; MemoryBound: 0
; FloatMode: 240
; IeeeMode: 1
; LDSByteSize: 0 bytes/workgroup (compile time only)
; SGPRBlocks: 2
; VGPRBlocks: 2
; NumSGPRsForWavesPerEU: 23
; NumVGPRsForWavesPerEU: 17
; Occupancy: 16
; WaveLimiterHint : 0
; COMPUTE_PGM_RSRC2:SCRATCH_EN: 0
; COMPUTE_PGM_RSRC2:USER_SGPR: 15
; COMPUTE_PGM_RSRC2:TRAP_HANDLER: 0
; COMPUTE_PGM_RSRC2:TGID_X_EN: 1
; COMPUTE_PGM_RSRC2:TGID_Y_EN: 0
; COMPUTE_PGM_RSRC2:TGID_Z_EN: 0
; COMPUTE_PGM_RSRC2:TIDIG_COMP_CNT: 0
	.section	.text._ZN2at6native12_GLOBAL__N_125multi_tensor_apply_kernelINS1_18TensorListMetadataILi1EEENS1_14UnaryOpFunctorIN3c107complexIdEELi1ELi1ELi0EEEJNS0_5Log10IS8_EEEEEvT_T0_DpT1_,"axG",@progbits,_ZN2at6native12_GLOBAL__N_125multi_tensor_apply_kernelINS1_18TensorListMetadataILi1EEENS1_14UnaryOpFunctorIN3c107complexIdEELi1ELi1ELi0EEEJNS0_5Log10IS8_EEEEEvT_T0_DpT1_,comdat
	.globl	_ZN2at6native12_GLOBAL__N_125multi_tensor_apply_kernelINS1_18TensorListMetadataILi1EEENS1_14UnaryOpFunctorIN3c107complexIdEELi1ELi1ELi0EEEJNS0_5Log10IS8_EEEEEvT_T0_DpT1_ ; -- Begin function _ZN2at6native12_GLOBAL__N_125multi_tensor_apply_kernelINS1_18TensorListMetadataILi1EEENS1_14UnaryOpFunctorIN3c107complexIdEELi1ELi1ELi0EEEJNS0_5Log10IS8_EEEEEvT_T0_DpT1_
	.p2align	8
	.type	_ZN2at6native12_GLOBAL__N_125multi_tensor_apply_kernelINS1_18TensorListMetadataILi1EEENS1_14UnaryOpFunctorIN3c107complexIdEELi1ELi1ELi0EEEJNS0_5Log10IS8_EEEEEvT_T0_DpT1_,@function
_ZN2at6native12_GLOBAL__N_125multi_tensor_apply_kernelINS1_18TensorListMetadataILi1EEENS1_14UnaryOpFunctorIN3c107complexIdEELi1ELi1ELi0EEEJNS0_5Log10IS8_EEEEEvT_T0_DpT1_: ; @_ZN2at6native12_GLOBAL__N_125multi_tensor_apply_kernelINS1_18TensorListMetadataILi1EEENS1_14UnaryOpFunctorIN3c107complexIdEELi1ELi1ELi0EEEJNS0_5Log10IS8_EEEEEvT_T0_DpT1_
; %bb.0:
	v_mov_b32_e32 v1, s15
	s_add_u32 s2, s0, s15
	s_mul_hi_u32 s3, s15, 3
	s_mul_i32 s15, s15, 3
	s_addc_u32 s4, s1, 0
	global_load_u8 v1, v1, s[0:1] offset:1760
	s_add_u32 s2, s2, s15
	s_addc_u32 s3, s4, s3
	s_mov_b32 s11, 0
	s_load_b32 s2, s[2:3], 0x820
	s_waitcnt vmcnt(0)
	v_readfirstlane_b32 s5, v1
	s_delay_alu instid0(VALU_DEP_1)
	s_lshl_b32 s3, s5, 3
	s_clause 0x1
	s_load_b64 s[4:5], s[0:1], s3 offset:0x0
	s_load_b64 s[6:7], s[0:1], s3 offset:0x370
	s_waitcnt lgkmcnt(0)
	s_ashr_i32 s3, s2, 31
	s_delay_alu instid0(SALU_CYCLE_1) | instskip(NEXT) | instid1(SALU_CYCLE_1)
	s_lshl_b64 s[8:9], s[2:3], 20
	s_add_u32 s33, s4, s8
	s_addc_u32 s102, s5, s9
	s_lshl_b64 s[2:3], s[2:3], 16
	s_and_b32 s10, s33, 63
	s_sub_u32 s18, s6, s2
	s_subb_u32 s19, s7, s3
	s_and_b32 s2, s6, 3
	s_mov_b32 s3, s11
	s_delay_alu instid0(SALU_CYCLE_1) | instskip(NEXT) | instid1(SALU_CYCLE_1)
	s_or_b64 s[2:3], s[10:11], s[2:3]
	s_cmp_eq_u64 s[2:3], 0
	s_cbranch_scc1 .LBB186_157
; %bb.1:
	v_cmp_lt_i64_e64 s2, s[18:19], 1
	s_delay_alu instid0(VALU_DEP_1)
	s_and_b32 vcc_lo, exec_lo, s2
	s_cbranch_vccnz .LBB186_156
; %bb.2:
	s_load_b32 s2, s[0:1], 0xd3c
	v_cmp_gt_u64_e64 s3, 0x10000, s[18:19]
	v_dual_mov_b32 v17, 0 :: v_dual_mov_b32 v60, 0x4002d97c
	v_mov_b32_e32 v59, 0x7f3321d2
	s_mov_b32 s20, 0x85ebc8a0
	s_mov_b32 s14, 0x4ad4b81f
	;; [unrolled: 1-line block ×15, first 2 shown]
	s_waitcnt lgkmcnt(0)
	s_and_b32 s103, s2, 0xffff
	s_and_b32 s2, s3, exec_lo
	s_mov_b32 s56, 0xa595c56f
	s_mov_b32 s58, 0xa57d9582
	;; [unrolled: 1-line block ×24, first 2 shown]
	s_cselect_b32 s35, s19, 0
	s_cselect_b32 s34, s18, 0x10000
	s_lshl_b32 s104, s103, 1
	s_mul_i32 vcc_hi, s103, 3
	s_lshl_b32 s90, s103, 2
	s_mov_b32 s37, 0x3fc7474d
	s_mov_b32 s39, 0x3fcc71c0
	;; [unrolled: 1-line block ×29, first 2 shown]
	s_mov_b64 s[98:99], 0
	s_mov_b32 s100, 0x55555780
	s_mov_b32 s17, 0x400921fb
	s_branch .LBB186_4
.LBB186_3:                              ;   in Loop: Header=BB186_4 Depth=1
	s_or_b32 exec_lo, exec_lo, s3
	s_add_u32 s98, s98, s90
	s_addc_u32 s99, s99, 0
	s_delay_alu instid0(SALU_CYCLE_1) | instskip(SKIP_1) | instid1(VALU_DEP_1)
	v_cmp_ge_i64_e64 s2, s[98:99], s[18:19]
	v_cmp_lt_u64_e64 s3, 0xffff, s[98:99]
	s_or_b32 s2, s2, s3
	s_delay_alu instid0(SALU_CYCLE_1)
	s_and_b32 vcc_lo, exec_lo, s2
	s_cbranch_vccnz .LBB186_156
.LBB186_4:                              ; =>This Loop Header: Depth=1
                                        ;     Child Loop BB186_23 Depth 2
                                        ;     Child Loop BB186_57 Depth 2
	;; [unrolled: 1-line block ×4, first 2 shown]
	v_add_co_u32 v1, s2, s98, v0
	s_delay_alu instid0(VALU_DEP_1) | instskip(SKIP_2) | instid1(VALU_DEP_3)
	v_add_co_ci_u32_e64 v2, null, s99, 0, s2
	v_mov_b32_e32 v7, 0
	v_mov_b32_e32 v8, 0
	v_cmp_gt_u64_e64 s5, s[34:35], v[1:2]
	v_lshlrev_b64 v[25:26], 4, v[1:2]
	s_delay_alu instid0(VALU_DEP_3) | instskip(SKIP_1) | instid1(VALU_DEP_4)
	v_dual_mov_b32 v16, v8 :: v_dual_mov_b32 v15, v7
	v_dual_mov_b32 v14, v8 :: v_dual_mov_b32 v13, v7
	s_and_saveexec_b32 s2, s5
	s_cbranch_execz .LBB186_6
; %bb.5:                                ;   in Loop: Header=BB186_4 Depth=1
	s_delay_alu instid0(VALU_DEP_3)
	v_add_co_u32 v3, vcc_lo, s33, v25
	v_add_co_ci_u32_e32 v4, vcc_lo, s102, v26, vcc_lo
	global_load_b128 v[13:16], v[3:4], off
.LBB186_6:                              ;   in Loop: Header=BB186_4 Depth=1
	s_or_b32 exec_lo, exec_lo, s2
	v_add_co_u32 v3, vcc_lo, v1, s103
	v_add_co_ci_u32_e32 v4, vcc_lo, 0, v2, vcc_lo
	v_dual_mov_b32 v5, v7 :: v_dual_mov_b32 v6, v8
	s_delay_alu instid0(VALU_DEP_2) | instskip(SKIP_1) | instid1(VALU_DEP_2)
	v_cmp_gt_u64_e64 s4, s[34:35], v[3:4]
	v_lshlrev_b64 v[23:24], 4, v[3:4]
	s_and_saveexec_b32 s2, s4
	s_cbranch_execz .LBB186_8
; %bb.7:                                ;   in Loop: Header=BB186_4 Depth=1
	s_delay_alu instid0(VALU_DEP_1) | instskip(NEXT) | instid1(VALU_DEP_2)
	v_add_co_u32 v3, vcc_lo, s33, v23
	v_add_co_ci_u32_e32 v4, vcc_lo, s102, v24, vcc_lo
	global_load_b128 v[5:8], v[3:4], off
.LBB186_8:                              ;   in Loop: Header=BB186_4 Depth=1
	s_or_b32 exec_lo, exec_lo, s2
	v_add_co_u32 v9, vcc_lo, v1, s104
	v_add_co_ci_u32_e32 v10, vcc_lo, 0, v2, vcc_lo
	v_mov_b32_e32 v3, 0
	v_mov_b32_e32 v4, 0
	s_delay_alu instid0(VALU_DEP_3) | instskip(SKIP_1) | instid1(VALU_DEP_3)
	v_cmp_gt_u64_e64 s3, s[34:35], v[9:10]
	v_lshlrev_b64 v[21:22], 4, v[9:10]
	v_dual_mov_b32 v12, v4 :: v_dual_mov_b32 v11, v3
	v_dual_mov_b32 v10, v4 :: v_dual_mov_b32 v9, v3
	s_delay_alu instid0(VALU_DEP_4)
	s_and_saveexec_b32 s2, s3
	s_cbranch_execz .LBB186_10
; %bb.9:                                ;   in Loop: Header=BB186_4 Depth=1
	s_delay_alu instid0(VALU_DEP_3)
	v_add_co_u32 v9, vcc_lo, s33, v21
	v_add_co_ci_u32_e32 v10, vcc_lo, s102, v22, vcc_lo
	global_load_b128 v[9:12], v[9:10], off
.LBB186_10:                             ;   in Loop: Header=BB186_4 Depth=1
	s_or_b32 exec_lo, exec_lo, s2
	v_add_co_u32 v1, vcc_lo, v1, vcc_hi
	v_add_co_ci_u32_e32 v2, vcc_lo, 0, v2, vcc_lo
	s_delay_alu instid0(VALU_DEP_1) | instskip(SKIP_2) | instid1(VALU_DEP_3)
	v_cmp_gt_u64_e64 s2, s[34:35], v[1:2]
	v_lshlrev_b64 v[19:20], 4, v[1:2]
	v_dual_mov_b32 v1, v3 :: v_dual_mov_b32 v2, v4
	s_and_saveexec_b32 s6, s2
	s_cbranch_execz .LBB186_12
; %bb.11:                               ;   in Loop: Header=BB186_4 Depth=1
	s_delay_alu instid0(VALU_DEP_2) | instskip(NEXT) | instid1(VALU_DEP_3)
	v_add_co_u32 v1, vcc_lo, s33, v19
	v_add_co_ci_u32_e32 v2, vcc_lo, s102, v20, vcc_lo
	global_load_b128 v[1:4], v[1:2], off
.LBB186_12:                             ;   in Loop: Header=BB186_4 Depth=1
	s_or_b32 exec_lo, exec_lo, s6
                                        ; implicit-def: $vgpr27_vgpr28
                                        ; implicit-def: $vgpr29_vgpr30
	s_delay_alu instid0(SALU_CYCLE_1)
	s_mov_b32 s6, exec_lo
	s_waitcnt vmcnt(0)
	v_cmpx_o_f64_e32 v[13:14], v[15:16]
	s_xor_b32 s91, exec_lo, s6
	s_cbranch_execz .LBB186_40
; %bb.13:                               ;   in Loop: Header=BB186_4 Depth=1
	v_cmp_lt_f64_e64 s6, |v[13:14]|, |v[15:16]|
	v_and_b32_e32 v18, 0x7fffffff, v14
	v_dual_mov_b32 v32, v15 :: v_dual_and_b32 v31, 0x7fffffff, v16
                                        ; implicit-def: $vgpr27_vgpr28
                                        ; implicit-def: $vgpr29_vgpr30
	s_mov_b32 s7, exec_lo
	s_delay_alu instid0(VALU_DEP_1) | instskip(NEXT) | instid1(VALU_DEP_2)
	v_cndmask_b32_e64 v34, v31, v18, s6
	v_cndmask_b32_e64 v33, v32, v13, s6
	s_delay_alu instid0(VALU_DEP_1)
	v_cmpx_nlt_f64_e32 s[20:21], v[33:34]
	s_xor_b32 s22, exec_lo, s7
	s_cbranch_execz .LBB186_37
; %bb.14:                               ;   in Loop: Header=BB186_4 Depth=1
	v_cndmask_b32_e64 v36, v18, v31, s6
	v_cndmask_b32_e64 v35, v13, v32, s6
                                        ; implicit-def: $vgpr27_vgpr28
                                        ; implicit-def: $vgpr29_vgpr30
	s_mov_b32 s7, exec_lo
	s_delay_alu instid0(VALU_DEP_1)
	v_cmpx_neq_f64_e32 1.0, v[35:36]
	s_xor_b32 s23, exec_lo, s7
	s_cbranch_execz .LBB186_30
; %bb.15:                               ;   in Loop: Header=BB186_4 Depth=1
	v_max_f64 v[27:28], v[33:34], v[33:34]
	v_max_f64 v[29:30], v[35:36], v[35:36]
	s_mov_b32 s8, 0xc57e649a
	s_mov_b32 s9, 0x4a511b0e
	s_delay_alu instid0(VALU_DEP_1) | instskip(SKIP_1) | instid1(VALU_DEP_2)
	v_min_f64 v[31:32], v[29:30], v[27:28]
	v_max_f64 v[27:28], v[29:30], v[27:28]
                                        ; implicit-def: $vgpr29_vgpr30
	v_cmp_ngt_f64_e32 vcc_lo, s[14:15], v[31:32]
	s_delay_alu instid0(VALU_DEP_2) | instskip(NEXT) | instid1(VALU_DEP_1)
	v_cmp_nlt_f64_e64 s7, s[8:9], v[27:28]
                                        ; implicit-def: $vgpr27_vgpr28
	s_and_b32 s7, s7, vcc_lo
	s_delay_alu instid0(SALU_CYCLE_1) | instskip(NEXT) | instid1(SALU_CYCLE_1)
	s_and_saveexec_b32 s8, s7
	s_xor_b32 s24, exec_lo, s8
	s_cbranch_execz .LBB186_27
; %bb.16:                               ;   in Loop: Header=BB186_4 Depth=1
                                        ; implicit-def: $vgpr27_vgpr28
                                        ; implicit-def: $vgpr29_vgpr30
	s_mov_b32 s7, exec_lo
	v_cmpx_le_f64_e32 1.0, v[35:36]
	s_xor_b32 s8, exec_lo, s7
	s_cbranch_execz .LBB186_18
; %bb.17:                               ;   in Loop: Header=BB186_4 Depth=1
	v_add_f64 v[27:28], v[35:36], -1.0
	v_add_f64 v[29:30], v[35:36], 1.0
	s_mov_b32 s101, s27
	s_mov_b32 s16, s88
	v_cmp_gt_i32_e64 s7, 0, v14
	v_cmp_class_f64_e64 s10, v[13:14], 0x204
	v_cmp_class_f64_e64 s9, v[15:16], 0x204
	s_delay_alu instid0(VALU_DEP_4) | instskip(NEXT) | instid1(VALU_DEP_1)
	v_mul_f64 v[27:28], v[27:28], v[29:30]
	v_fma_f64 v[28:29], v[33:34], v[33:34], v[27:28]
	s_delay_alu instid0(VALU_DEP_1) | instskip(NEXT) | instid1(VALU_DEP_1)
	v_add_f64 v[30:31], v[28:29], 1.0
	v_frexp_mant_f64_e32 v[32:33], v[30:31]
	v_frexp_exp_i32_f64_e32 v18, v[30:31]
	v_add_f64 v[34:35], v[30:31], -1.0
	s_delay_alu instid0(VALU_DEP_3) | instskip(NEXT) | instid1(VALU_DEP_2)
	v_cmp_gt_f64_e32 vcc_lo, s[26:27], v[32:33]
	v_add_f64 v[32:33], v[34:35], -v[30:31]
	v_add_f64 v[34:35], v[28:29], -v[34:35]
	v_subrev_co_ci_u32_e32 v18, vcc_lo, 0, v18, vcc_lo
	s_delay_alu instid0(VALU_DEP_3) | instskip(NEXT) | instid1(VALU_DEP_2)
	v_add_f64 v[32:33], v[32:33], 1.0
	v_sub_nc_u32_e32 v27, 0, v18
	s_delay_alu instid0(VALU_DEP_1) | instskip(NEXT) | instid1(VALU_DEP_3)
	v_ldexp_f64 v[30:31], v[30:31], v27
	v_add_f64 v[32:33], v[34:35], v[32:33]
	s_delay_alu instid0(VALU_DEP_2) | instskip(SKIP_1) | instid1(VALU_DEP_3)
	v_add_f64 v[36:37], v[30:31], 1.0
	v_add_f64 v[42:43], v[30:31], -1.0
	v_ldexp_f64 v[32:33], v[32:33], v27
	s_delay_alu instid0(VALU_DEP_3) | instskip(NEXT) | instid1(VALU_DEP_3)
	v_add_f64 v[34:35], v[36:37], -1.0
	v_add_f64 v[44:45], v[42:43], 1.0
	s_delay_alu instid0(VALU_DEP_2) | instskip(NEXT) | instid1(VALU_DEP_2)
	v_add_f64 v[34:35], v[30:31], -v[34:35]
	v_add_f64 v[30:31], v[30:31], -v[44:45]
	s_delay_alu instid0(VALU_DEP_2) | instskip(NEXT) | instid1(VALU_DEP_2)
	v_add_f64 v[34:35], v[32:33], v[34:35]
	v_add_f64 v[30:31], v[32:33], v[30:31]
	s_delay_alu instid0(VALU_DEP_2) | instskip(NEXT) | instid1(VALU_DEP_2)
	v_add_f64 v[38:39], v[36:37], v[34:35]
	v_add_f64 v[44:45], v[42:43], v[30:31]
	s_delay_alu instid0(VALU_DEP_2) | instskip(SKIP_1) | instid1(VALU_DEP_2)
	v_rcp_f64_e32 v[40:41], v[38:39]
	v_add_f64 v[36:37], v[38:39], -v[36:37]
	v_add_f64 v[42:43], v[44:45], -v[42:43]
	s_delay_alu instid0(VALU_DEP_2) | instskip(SKIP_3) | instid1(VALU_DEP_2)
	v_add_f64 v[34:35], v[34:35], -v[36:37]
	s_waitcnt_depctr 0xfff
	v_fma_f64 v[46:47], -v[38:39], v[40:41], 1.0
	v_add_f64 v[30:31], v[30:31], -v[42:43]
	v_fma_f64 v[40:41], v[46:47], v[40:41], v[40:41]
	s_delay_alu instid0(VALU_DEP_1) | instskip(NEXT) | instid1(VALU_DEP_1)
	v_fma_f64 v[32:33], -v[38:39], v[40:41], 1.0
	v_fma_f64 v[32:33], v[32:33], v[40:41], v[40:41]
	s_delay_alu instid0(VALU_DEP_1) | instskip(NEXT) | instid1(VALU_DEP_1)
	v_mul_f64 v[40:41], v[44:45], v[32:33]
	v_mul_f64 v[46:47], v[38:39], v[40:41]
	s_delay_alu instid0(VALU_DEP_1) | instskip(NEXT) | instid1(VALU_DEP_1)
	v_fma_f64 v[36:37], v[40:41], v[38:39], -v[46:47]
	v_fma_f64 v[36:37], v[40:41], v[34:35], v[36:37]
	s_delay_alu instid0(VALU_DEP_1) | instskip(NEXT) | instid1(VALU_DEP_1)
	v_add_f64 v[48:49], v[46:47], v[36:37]
	v_add_f64 v[50:51], v[44:45], -v[48:49]
	v_add_f64 v[42:43], v[48:49], -v[46:47]
	v_max_f64 v[46:47], |v[15:16]|, |v[15:16]|
	s_delay_alu instid0(VALU_DEP_3) | instskip(NEXT) | instid1(VALU_DEP_3)
	v_add_f64 v[44:45], v[44:45], -v[50:51]
	v_add_f64 v[36:37], v[42:43], -v[36:37]
	s_delay_alu instid0(VALU_DEP_2) | instskip(SKIP_2) | instid1(VALU_DEP_1)
	v_add_f64 v[44:45], v[44:45], -v[48:49]
	v_max_f64 v[48:49], |v[13:14]|, |v[13:14]|
	v_cndmask_b32_e64 v13, 0x3fe921fb, v60, s7
	v_bfi_b32 v13, 0x7fffffff, v13, v16
	s_delay_alu instid0(VALU_DEP_4) | instskip(NEXT) | instid1(VALU_DEP_4)
	v_add_f64 v[30:31], v[30:31], v[44:45]
	v_max_f64 v[52:53], v[48:49], v[46:47]
	v_min_f64 v[46:47], v[48:49], v[46:47]
	s_delay_alu instid0(VALU_DEP_3) | instskip(NEXT) | instid1(VALU_DEP_1)
	v_add_f64 v[30:31], v[36:37], v[30:31]
	v_add_f64 v[36:37], v[50:51], v[30:31]
	s_delay_alu instid0(VALU_DEP_1) | instskip(SKIP_1) | instid1(VALU_DEP_2)
	v_mul_f64 v[42:43], v[32:33], v[36:37]
	v_add_f64 v[50:51], v[50:51], -v[36:37]
	v_mul_f64 v[44:45], v[38:39], v[42:43]
	s_delay_alu instid0(VALU_DEP_2) | instskip(NEXT) | instid1(VALU_DEP_2)
	v_add_f64 v[30:31], v[30:31], v[50:51]
	v_fma_f64 v[38:39], v[42:43], v[38:39], -v[44:45]
	s_delay_alu instid0(VALU_DEP_1) | instskip(SKIP_1) | instid1(VALU_DEP_2)
	v_fma_f64 v[34:35], v[42:43], v[34:35], v[38:39]
	v_div_scale_f64 v[38:39], null, v[52:53], v[52:53], v[46:47]
	v_add_f64 v[48:49], v[44:45], v[34:35]
	s_delay_alu instid0(VALU_DEP_2) | instskip(NEXT) | instid1(VALU_DEP_1)
	v_rcp_f64_e32 v[54:55], v[38:39]
	v_add_f64 v[56:57], v[36:37], -v[48:49]
	v_add_f64 v[44:45], v[48:49], -v[44:45]
	s_waitcnt_depctr 0xfff
	v_fma_f64 v[61:62], -v[38:39], v[54:55], 1.0
	v_add_f64 v[36:37], v[36:37], -v[56:57]
	v_add_f64 v[34:35], v[44:45], -v[34:35]
	s_delay_alu instid0(VALU_DEP_3) | instskip(NEXT) | instid1(VALU_DEP_3)
	v_fma_f64 v[54:55], v[54:55], v[61:62], v[54:55]
	v_add_f64 v[36:37], v[36:37], -v[48:49]
	s_delay_alu instid0(VALU_DEP_2) | instskip(NEXT) | instid1(VALU_DEP_2)
	v_fma_f64 v[48:49], -v[38:39], v[54:55], 1.0
	v_add_f64 v[30:31], v[30:31], v[36:37]
	v_div_scale_f64 v[36:37], vcc_lo, v[46:47], v[52:53], v[46:47]
	s_delay_alu instid0(VALU_DEP_3) | instskip(SKIP_1) | instid1(VALU_DEP_4)
	v_fma_f64 v[44:45], v[54:55], v[48:49], v[54:55]
	v_add_f64 v[48:49], v[40:41], v[42:43]
	v_add_f64 v[30:31], v[34:35], v[30:31]
	s_delay_alu instid0(VALU_DEP_3) | instskip(NEXT) | instid1(VALU_DEP_3)
	v_mul_f64 v[34:35], v[36:37], v[44:45]
	v_add_f64 v[40:41], v[48:49], -v[40:41]
	s_delay_alu instid0(VALU_DEP_3) | instskip(NEXT) | instid1(VALU_DEP_3)
	v_add_f64 v[30:31], v[56:57], v[30:31]
	v_fma_f64 v[36:37], -v[38:39], v[34:35], v[36:37]
	s_delay_alu instid0(VALU_DEP_3) | instskip(NEXT) | instid1(VALU_DEP_3)
	v_add_f64 v[38:39], v[42:43], -v[40:41]
	v_mul_f64 v[30:31], v[32:33], v[30:31]
	s_delay_alu instid0(VALU_DEP_3) | instskip(SKIP_1) | instid1(VALU_DEP_3)
	v_div_fmas_f64 v[32:33], v[36:37], v[44:45], v[34:35]
	v_cmp_eq_f64_e32 vcc_lo, 0x7ff00000, v[28:29]
	v_add_f64 v[30:31], v[38:39], v[30:31]
	s_delay_alu instid0(VALU_DEP_3) | instskip(NEXT) | instid1(VALU_DEP_2)
	v_div_fixup_f64 v[32:33], v[32:33], v[52:53], v[46:47]
	v_add_f64 v[34:35], v[48:49], v[30:31]
	s_delay_alu instid0(VALU_DEP_2) | instskip(NEXT) | instid1(VALU_DEP_2)
	v_mul_f64 v[36:37], v[32:33], v[32:33]
	v_mul_f64 v[38:39], v[34:35], v[34:35]
	s_delay_alu instid0(VALU_DEP_2) | instskip(NEXT) | instid1(VALU_DEP_2)
	v_fma_f64 v[40:41], v[36:37], s[50:51], s[48:49]
	v_fma_f64 v[42:43], v[38:39], s[30:31], s[28:29]
	v_mul_f64 v[44:45], v[34:35], v[38:39]
	s_delay_alu instid0(VALU_DEP_3) | instskip(NEXT) | instid1(VALU_DEP_3)
	v_fma_f64 v[40:41], v[36:37], v[40:41], s[52:53]
	v_fma_f64 v[42:43], v[38:39], v[42:43], s[36:37]
	s_delay_alu instid0(VALU_DEP_2) | instskip(NEXT) | instid1(VALU_DEP_2)
	v_fma_f64 v[40:41], v[36:37], v[40:41], s[54:55]
	v_fma_f64 v[42:43], v[38:39], v[42:43], s[38:39]
	s_delay_alu instid0(VALU_DEP_2) | instskip(NEXT) | instid1(VALU_DEP_2)
	;; [unrolled: 3-line block ×4, first 2 shown]
	v_fma_f64 v[40:41], v[36:37], v[40:41], s[60:61]
	v_fma_f64 v[38:39], v[38:39], v[42:43], s[100:101]
	v_ldexp_f64 v[42:43], v[34:35], 1
	v_add_f64 v[34:35], v[34:35], -v[48:49]
	s_delay_alu instid0(VALU_DEP_4) | instskip(NEXT) | instid1(VALU_DEP_4)
	v_fma_f64 v[40:41], v[36:37], v[40:41], s[62:63]
	v_mul_f64 v[38:39], v[44:45], v[38:39]
	v_cvt_f64_i32_e32 v[44:45], v18
	s_delay_alu instid0(VALU_DEP_4) | instskip(NEXT) | instid1(VALU_DEP_4)
	v_add_f64 v[30:31], v[30:31], -v[34:35]
	v_fma_f64 v[40:41], v[36:37], v[40:41], s[64:65]
	v_ashrrev_i32_e32 v18, 31, v14
	s_delay_alu instid0(VALU_DEP_1) | instskip(SKIP_4) | instid1(VALU_DEP_4)
	v_and_b32_e32 v14, 0x400921fb, v18
	v_add_f64 v[46:47], v[42:43], v[38:39]
	v_mul_f64 v[48:49], v[44:45], s[44:45]
	v_ldexp_f64 v[30:31], v[30:31], 1
	v_fma_f64 v[40:41], v[36:37], v[40:41], s[66:67]
	v_add_f64 v[34:35], v[46:47], -v[42:43]
	s_delay_alu instid0(VALU_DEP_4) | instskip(NEXT) | instid1(VALU_DEP_3)
	v_fma_f64 v[42:43], v[44:45], s[44:45], -v[48:49]
	v_fma_f64 v[40:41], v[36:37], v[40:41], s[68:69]
	s_delay_alu instid0(VALU_DEP_3) | instskip(NEXT) | instid1(VALU_DEP_2)
	v_add_f64 v[34:35], v[38:39], -v[34:35]
	v_fma_f64 v[38:39], v[36:37], v[40:41], s[70:71]
	s_delay_alu instid0(VALU_DEP_4) | instskip(NEXT) | instid1(VALU_DEP_3)
	v_fma_f64 v[40:41], v[44:45], s[46:47], v[42:43]
	v_add_f64 v[30:31], v[30:31], v[34:35]
	s_delay_alu instid0(VALU_DEP_3) | instskip(NEXT) | instid1(VALU_DEP_3)
	v_fma_f64 v[34:35], v[36:37], v[38:39], s[72:73]
	v_add_f64 v[38:39], v[48:49], v[40:41]
	s_delay_alu instid0(VALU_DEP_3) | instskip(NEXT) | instid1(VALU_DEP_3)
	v_add_f64 v[42:43], v[46:47], v[30:31]
	v_fma_f64 v[34:35], v[36:37], v[34:35], s[74:75]
	s_delay_alu instid0(VALU_DEP_3) | instskip(NEXT) | instid1(VALU_DEP_3)
	v_add_f64 v[48:49], v[38:39], -v[48:49]
	v_add_f64 v[44:45], v[38:39], v[42:43]
	v_add_f64 v[46:47], v[42:43], -v[46:47]
	s_delay_alu instid0(VALU_DEP_4) | instskip(NEXT) | instid1(VALU_DEP_4)
	v_fma_f64 v[34:35], v[36:37], v[34:35], s[76:77]
	v_add_f64 v[40:41], v[40:41], -v[48:49]
	s_delay_alu instid0(VALU_DEP_4) | instskip(NEXT) | instid1(VALU_DEP_4)
	v_add_f64 v[50:51], v[44:45], -v[38:39]
	v_add_f64 v[30:31], v[30:31], -v[46:47]
	s_delay_alu instid0(VALU_DEP_4) | instskip(NEXT) | instid1(VALU_DEP_3)
	v_fma_f64 v[34:35], v[36:37], v[34:35], s[78:79]
	v_add_f64 v[52:53], v[44:45], -v[50:51]
	v_add_f64 v[42:43], v[42:43], -v[50:51]
	s_delay_alu instid0(VALU_DEP_4) | instskip(NEXT) | instid1(VALU_DEP_4)
	v_add_f64 v[46:47], v[40:41], v[30:31]
	v_fma_f64 v[34:35], v[36:37], v[34:35], s[80:81]
	s_delay_alu instid0(VALU_DEP_4) | instskip(NEXT) | instid1(VALU_DEP_2)
	v_add_f64 v[38:39], v[38:39], -v[52:53]
	v_fma_f64 v[34:35], v[36:37], v[34:35], s[82:83]
	s_delay_alu instid0(VALU_DEP_2) | instskip(SKIP_1) | instid1(VALU_DEP_3)
	v_add_f64 v[38:39], v[42:43], v[38:39]
	v_add_f64 v[42:43], v[46:47], -v[40:41]
	v_fma_f64 v[34:35], v[36:37], v[34:35], s[84:85]
	s_delay_alu instid0(VALU_DEP_3) | instskip(NEXT) | instid1(VALU_DEP_3)
	v_add_f64 v[38:39], v[46:47], v[38:39]
	v_add_f64 v[46:47], v[46:47], -v[42:43]
	v_add_f64 v[30:31], v[30:31], -v[42:43]
	s_delay_alu instid0(VALU_DEP_4) | instskip(NEXT) | instid1(VALU_DEP_4)
	v_fma_f64 v[34:35], v[36:37], v[34:35], s[86:87]
	v_add_f64 v[48:49], v[44:45], v[38:39]
	s_delay_alu instid0(VALU_DEP_2) | instskip(SKIP_1) | instid1(VALU_DEP_3)
	v_mul_f64 v[34:35], v[36:37], v[34:35]
	v_add_f64 v[36:37], v[40:41], -v[46:47]
	v_add_f64 v[40:41], v[48:49], -v[44:45]
	s_delay_alu instid0(VALU_DEP_3) | instskip(NEXT) | instid1(VALU_DEP_3)
	v_fma_f64 v[32:33], v[32:33], v[34:35], v[32:33]
	v_add_f64 v[30:31], v[30:31], v[36:37]
	s_delay_alu instid0(VALU_DEP_3) | instskip(NEXT) | instid1(VALU_DEP_3)
	v_add_f64 v[34:35], v[38:39], -v[40:41]
	v_add_f64 v[36:37], -v[32:33], s[88:89]
	s_delay_alu instid0(VALU_DEP_2) | instskip(NEXT) | instid1(VALU_DEP_2)
	v_add_f64 v[30:31], v[30:31], v[34:35]
	v_cndmask_b32_e64 v33, v33, v37, s6
	s_delay_alu instid0(VALU_DEP_3) | instskip(SKIP_1) | instid1(VALU_DEP_2)
	v_cndmask_b32_e64 v32, v32, v36, s6
	v_cndmask_b32_e64 v36, 0x54442d18, v59, s7
	v_add_f64 v[34:35], -v[32:33], s[16:17]
	v_add_f64 v[30:31], v[48:49], v[30:31]
	v_and_b32_e32 v27, 0x54442d18, v18
	s_delay_alu instid0(VALU_DEP_3) | instskip(NEXT) | instid1(VALU_DEP_4)
	v_cndmask_b32_e64 v34, v32, v34, s7
	v_cndmask_b32_e64 v18, v33, v35, s7
	v_cmp_nge_f64_e64 s7, -1.0, v[28:29]
	v_dual_cndmask_b32 v30, v30, v28 :: v_dual_cndmask_b32 v31, v31, v29
	v_cmp_eq_f64_e32 vcc_lo, 0, v[15:16]
	s_delay_alu instid0(VALU_DEP_2) | instskip(SKIP_3) | instid1(VALU_DEP_4)
	v_mul_f64 v[31:32], v[30:31], 0.5
	v_cndmask_b32_e32 v33, v34, v27, vcc_lo
	v_cndmask_b32_e32 v14, v18, v14, vcc_lo
	v_cmp_ngt_f64_e32 vcc_lo, -1.0, v[28:29]
	v_cndmask_b32_e64 v27, 0, v31, s7
	v_cmp_neq_f64_e64 s7, -1.0, v[28:29]
	v_cndmask_b32_e32 v18, 0x7ff80000, v32, vcc_lo
	s_and_b32 vcc_lo, s9, s10
	v_dual_cndmask_b32 v29, v33, v36 :: v_dual_cndmask_b32 v30, v14, v13
	s_delay_alu instid0(VALU_DEP_2)
	v_cndmask_b32_e64 v28, 0xfff00000, v18, s7
                                        ; implicit-def: $vgpr33_vgpr34
                                        ; implicit-def: $vgpr35_vgpr36
.LBB186_18:                             ;   in Loop: Header=BB186_4 Depth=1
	s_and_not1_saveexec_b32 s25, s8
	s_cbranch_execz .LBB186_26
; %bb.19:                               ;   in Loop: Header=BB186_4 Depth=1
	v_mul_f64 v[27:28], v[33:34], v[33:34]
	s_mov_b32 s8, 0x66666666
	s_mov_b32 s9, 0x3fe66666
                                        ; implicit-def: $vgpr29_vgpr30
	s_mov_b32 s7, exec_lo
	s_delay_alu instid0(VALU_DEP_1) | instskip(NEXT) | instid1(VALU_DEP_1)
	v_fma_f64 v[31:32], v[35:36], v[35:36], v[27:28]
                                        ; implicit-def: $vgpr27_vgpr28
	v_cmpx_ge_f64_e32 s[8:9], v[31:32]
	s_xor_b32 s9, exec_lo, s7
	s_cbranch_execz .LBB186_21
; %bb.20:                               ;   in Loop: Header=BB186_4 Depth=1
	v_frexp_mant_f64_e32 v[27:28], v[31:32]
	v_max_f64 v[39:40], |v[13:14]|, |v[13:14]|
	s_mov_b32 s101, s27
	s_mov_b32 s16, s88
	v_cmp_class_f64_e64 s10, v[15:16], 0x204
	v_cmp_class_f64_e64 s11, v[13:14], 0x204
	v_cmp_neq_f64_e64 s8, 0, v[31:32]
	v_cmp_gt_f64_e64 s7, s[26:27], v[27:28]
	s_delay_alu instid0(VALU_DEP_1) | instskip(NEXT) | instid1(VALU_DEP_1)
	v_cndmask_b32_e64 v18, 0x3ff00000, 2.0, s7
	v_mul_f64 v[27:28], v[27:28], v[17:18]
	v_frexp_exp_i32_f64_e32 v18, v[31:32]
	s_delay_alu instid0(VALU_DEP_2) | instskip(SKIP_1) | instid1(VALU_DEP_2)
	v_add_f64 v[29:30], v[27:28], 1.0
	v_add_f64 v[37:38], v[27:28], -1.0
	v_rcp_f64_e32 v[33:34], v[29:30]
	s_waitcnt_depctr 0xfff
	v_fma_f64 v[35:36], -v[29:30], v[33:34], 1.0
	s_delay_alu instid0(VALU_DEP_1) | instskip(NEXT) | instid1(VALU_DEP_1)
	v_fma_f64 v[33:34], v[35:36], v[33:34], v[33:34]
	v_fma_f64 v[35:36], -v[29:30], v[33:34], 1.0
	s_delay_alu instid0(VALU_DEP_1) | instskip(SKIP_1) | instid1(VALU_DEP_2)
	v_fma_f64 v[33:34], v[35:36], v[33:34], v[33:34]
	v_max_f64 v[35:36], |v[15:16]|, |v[15:16]|
	v_mul_f64 v[41:42], v[37:38], v[33:34]
	s_delay_alu instid0(VALU_DEP_2) | instskip(SKIP_2) | instid1(VALU_DEP_4)
	v_max_f64 v[43:44], v[39:40], v[35:36]
	v_min_f64 v[35:36], v[39:40], v[35:36]
	v_add_f64 v[39:40], v[29:30], -1.0
	v_mul_f64 v[45:46], v[29:30], v[41:42]
	s_delay_alu instid0(VALU_DEP_3) | instskip(NEXT) | instid1(VALU_DEP_3)
	v_div_scale_f64 v[47:48], null, v[43:44], v[43:44], v[35:36]
	v_add_f64 v[27:28], v[27:28], -v[39:40]
	v_div_scale_f64 v[53:54], vcc_lo, v[35:36], v[43:44], v[35:36]
	s_delay_alu instid0(VALU_DEP_4) | instskip(NEXT) | instid1(VALU_DEP_4)
	v_fma_f64 v[29:30], v[41:42], v[29:30], -v[45:46]
	v_rcp_f64_e32 v[39:40], v[47:48]
	s_delay_alu instid0(VALU_DEP_1) | instskip(SKIP_3) | instid1(VALU_DEP_2)
	v_fma_f64 v[27:28], v[41:42], v[27:28], v[29:30]
	s_waitcnt_depctr 0xfff
	v_fma_f64 v[29:30], -v[47:48], v[39:40], 1.0
	v_add_f64 v[49:50], v[45:46], v[27:28]
	v_fma_f64 v[29:30], v[39:40], v[29:30], v[39:40]
	s_delay_alu instid0(VALU_DEP_2) | instskip(SKIP_1) | instid1(VALU_DEP_3)
	v_add_f64 v[39:40], v[37:38], -v[49:50]
	v_add_f64 v[45:46], v[49:50], -v[45:46]
	v_fma_f64 v[51:52], -v[47:48], v[29:30], 1.0
	s_delay_alu instid0(VALU_DEP_3) | instskip(NEXT) | instid1(VALU_DEP_3)
	v_add_f64 v[37:38], v[37:38], -v[39:40]
	v_add_f64 v[27:28], v[45:46], -v[27:28]
	s_delay_alu instid0(VALU_DEP_3) | instskip(NEXT) | instid1(VALU_DEP_3)
	v_fma_f64 v[29:30], v[29:30], v[51:52], v[29:30]
	v_add_f64 v[37:38], v[37:38], -v[49:50]
	s_delay_alu instid0(VALU_DEP_2) | instskip(NEXT) | instid1(VALU_DEP_2)
	v_mul_f64 v[45:46], v[53:54], v[29:30]
	v_add_f64 v[27:28], v[27:28], v[37:38]
	s_delay_alu instid0(VALU_DEP_2) | instskip(NEXT) | instid1(VALU_DEP_2)
	v_fma_f64 v[37:38], -v[47:48], v[45:46], v[53:54]
	v_add_f64 v[27:28], v[39:40], v[27:28]
	s_delay_alu instid0(VALU_DEP_2)
	v_div_fmas_f64 v[29:30], v[37:38], v[29:30], v[45:46]
	v_subrev_co_ci_u32_e64 v18, vcc_lo, 0, v18, s7
	v_cmp_eq_f64_e64 s7, 0, v[15:16]
	v_cmp_gt_i32_e32 vcc_lo, 0, v14
	v_mul_f64 v[27:28], v[33:34], v[27:28]
	v_div_fixup_f64 v[29:30], v[29:30], v[43:44], v[35:36]
	s_delay_alu instid0(VALU_DEP_2) | instskip(NEXT) | instid1(VALU_DEP_2)
	v_add_f64 v[33:34], v[41:42], v[27:28]
	v_mul_f64 v[35:36], v[29:30], v[29:30]
	s_delay_alu instid0(VALU_DEP_2) | instskip(NEXT) | instid1(VALU_DEP_2)
	v_mul_f64 v[37:38], v[33:34], v[33:34]
	v_fma_f64 v[39:40], v[35:36], s[50:51], s[48:49]
	s_delay_alu instid0(VALU_DEP_2) | instskip(SKIP_1) | instid1(VALU_DEP_3)
	v_fma_f64 v[43:44], v[37:38], s[30:31], s[28:29]
	v_mul_f64 v[45:46], v[33:34], v[37:38]
	v_fma_f64 v[39:40], v[35:36], v[39:40], s[52:53]
	s_delay_alu instid0(VALU_DEP_3) | instskip(NEXT) | instid1(VALU_DEP_2)
	v_fma_f64 v[43:44], v[37:38], v[43:44], s[36:37]
	v_fma_f64 v[39:40], v[35:36], v[39:40], s[54:55]
	s_delay_alu instid0(VALU_DEP_2) | instskip(NEXT) | instid1(VALU_DEP_2)
	v_fma_f64 v[43:44], v[37:38], v[43:44], s[38:39]
	v_fma_f64 v[39:40], v[35:36], v[39:40], s[56:57]
	s_delay_alu instid0(VALU_DEP_2) | instskip(NEXT) | instid1(VALU_DEP_2)
	;; [unrolled: 3-line block ×3, first 2 shown]
	v_fma_f64 v[43:44], v[37:38], v[43:44], s[42:43]
	v_fma_f64 v[39:40], v[35:36], v[39:40], s[60:61]
	s_delay_alu instid0(VALU_DEP_2) | instskip(SKIP_2) | instid1(VALU_DEP_4)
	v_fma_f64 v[37:38], v[37:38], v[43:44], s[100:101]
	v_ldexp_f64 v[43:44], v[33:34], 1
	v_add_f64 v[33:34], v[33:34], -v[41:42]
	v_fma_f64 v[39:40], v[35:36], v[39:40], s[62:63]
	s_delay_alu instid0(VALU_DEP_4) | instskip(SKIP_1) | instid1(VALU_DEP_4)
	v_mul_f64 v[37:38], v[45:46], v[37:38]
	v_cvt_f64_i32_e32 v[45:46], v18
	v_add_f64 v[27:28], v[27:28], -v[33:34]
	v_ashrrev_i32_e32 v18, 31, v14
	v_fma_f64 v[39:40], v[35:36], v[39:40], s[64:65]
	v_add_f64 v[41:42], v[43:44], v[37:38]
	v_mul_f64 v[47:48], v[45:46], s[44:45]
	v_ldexp_f64 v[27:28], v[27:28], 1
	s_delay_alu instid0(VALU_DEP_4) | instskip(NEXT) | instid1(VALU_DEP_4)
	v_fma_f64 v[39:40], v[35:36], v[39:40], s[66:67]
	v_add_f64 v[33:34], v[41:42], -v[43:44]
	s_delay_alu instid0(VALU_DEP_4) | instskip(NEXT) | instid1(VALU_DEP_3)
	v_fma_f64 v[43:44], v[45:46], s[44:45], -v[47:48]
	v_fma_f64 v[39:40], v[35:36], v[39:40], s[68:69]
	s_delay_alu instid0(VALU_DEP_3) | instskip(NEXT) | instid1(VALU_DEP_2)
	v_add_f64 v[33:34], v[37:38], -v[33:34]
	v_fma_f64 v[37:38], v[35:36], v[39:40], s[70:71]
	s_delay_alu instid0(VALU_DEP_4) | instskip(NEXT) | instid1(VALU_DEP_3)
	v_fma_f64 v[39:40], v[45:46], s[46:47], v[43:44]
	v_add_f64 v[27:28], v[27:28], v[33:34]
	s_delay_alu instid0(VALU_DEP_3) | instskip(NEXT) | instid1(VALU_DEP_3)
	v_fma_f64 v[33:34], v[35:36], v[37:38], s[72:73]
	v_add_f64 v[37:38], v[47:48], v[39:40]
	s_delay_alu instid0(VALU_DEP_3) | instskip(NEXT) | instid1(VALU_DEP_3)
	v_add_f64 v[43:44], v[41:42], v[27:28]
	v_fma_f64 v[33:34], v[35:36], v[33:34], s[74:75]
	s_delay_alu instid0(VALU_DEP_3) | instskip(NEXT) | instid1(VALU_DEP_3)
	v_add_f64 v[47:48], v[37:38], -v[47:48]
	v_add_f64 v[45:46], v[37:38], v[43:44]
	v_add_f64 v[41:42], v[43:44], -v[41:42]
	s_delay_alu instid0(VALU_DEP_4) | instskip(NEXT) | instid1(VALU_DEP_4)
	v_fma_f64 v[33:34], v[35:36], v[33:34], s[76:77]
	v_add_f64 v[39:40], v[39:40], -v[47:48]
	s_delay_alu instid0(VALU_DEP_4) | instskip(NEXT) | instid1(VALU_DEP_4)
	v_add_f64 v[49:50], v[45:46], -v[37:38]
	v_add_f64 v[27:28], v[27:28], -v[41:42]
	s_delay_alu instid0(VALU_DEP_4) | instskip(NEXT) | instid1(VALU_DEP_3)
	v_fma_f64 v[33:34], v[35:36], v[33:34], s[78:79]
	v_add_f64 v[51:52], v[45:46], -v[49:50]
	v_add_f64 v[41:42], v[43:44], -v[49:50]
	s_delay_alu instid0(VALU_DEP_4) | instskip(NEXT) | instid1(VALU_DEP_4)
	v_add_f64 v[43:44], v[39:40], v[27:28]
	v_fma_f64 v[33:34], v[35:36], v[33:34], s[80:81]
	s_delay_alu instid0(VALU_DEP_4) | instskip(NEXT) | instid1(VALU_DEP_2)
	v_add_f64 v[37:38], v[37:38], -v[51:52]
	v_fma_f64 v[33:34], v[35:36], v[33:34], s[82:83]
	s_delay_alu instid0(VALU_DEP_2) | instskip(SKIP_1) | instid1(VALU_DEP_3)
	v_add_f64 v[37:38], v[41:42], v[37:38]
	v_add_f64 v[41:42], v[43:44], -v[39:40]
	v_fma_f64 v[33:34], v[35:36], v[33:34], s[84:85]
	s_delay_alu instid0(VALU_DEP_3) | instskip(NEXT) | instid1(VALU_DEP_3)
	v_add_f64 v[37:38], v[43:44], v[37:38]
	v_add_f64 v[43:44], v[43:44], -v[41:42]
	v_add_f64 v[27:28], v[27:28], -v[41:42]
	s_delay_alu instid0(VALU_DEP_4) | instskip(NEXT) | instid1(VALU_DEP_4)
	v_fma_f64 v[33:34], v[35:36], v[33:34], s[86:87]
	v_add_f64 v[47:48], v[45:46], v[37:38]
	s_delay_alu instid0(VALU_DEP_2) | instskip(SKIP_1) | instid1(VALU_DEP_3)
	v_mul_f64 v[33:34], v[35:36], v[33:34]
	v_add_f64 v[35:36], v[39:40], -v[43:44]
	v_add_f64 v[39:40], v[47:48], -v[45:46]
	s_delay_alu instid0(VALU_DEP_3) | instskip(NEXT) | instid1(VALU_DEP_3)
	v_fma_f64 v[29:30], v[29:30], v[33:34], v[29:30]
	v_add_f64 v[27:28], v[27:28], v[35:36]
	s_delay_alu instid0(VALU_DEP_3) | instskip(NEXT) | instid1(VALU_DEP_3)
	v_add_f64 v[33:34], v[37:38], -v[39:40]
	v_add_f64 v[35:36], -v[29:30], s[88:89]
	s_delay_alu instid0(VALU_DEP_2) | instskip(NEXT) | instid1(VALU_DEP_2)
	v_add_f64 v[27:28], v[27:28], v[33:34]
	v_cndmask_b32_e64 v30, v30, v36, s6
	s_delay_alu instid0(VALU_DEP_3) | instskip(SKIP_2) | instid1(VALU_DEP_3)
	v_cndmask_b32_e64 v29, v29, v35, s6
	v_dual_cndmask_b32 v35, 0x54442d18, v59 :: v_dual_and_b32 v36, 0x54442d18, v18
	v_and_b32_e32 v18, 0x400921fb, v18
	v_add_f64 v[33:34], -v[29:30], s[16:17]
	v_add_f64 v[27:28], v[47:48], v[27:28]
	s_delay_alu instid0(VALU_DEP_2) | instskip(NEXT) | instid1(VALU_DEP_1)
	v_cndmask_b32_e32 v29, v29, v33, vcc_lo
	v_cndmask_b32_e64 v29, v29, v36, s7
	s_delay_alu instid0(VALU_DEP_3) | instskip(SKIP_4) | instid1(VALU_DEP_3)
	v_mul_f64 v[13:14], v[27:28], 0.5
	v_cndmask_b32_e32 v27, 0x3fe921fb, v60, vcc_lo
	v_cndmask_b32_e32 v28, v30, v34, vcc_lo
	s_and_b32 vcc_lo, s10, s11
                                        ; implicit-def: $vgpr33_vgpr34
	v_cndmask_b32_e32 v29, v29, v35, vcc_lo
	v_bfi_b32 v27, 0x7fffffff, v27, v16
	s_delay_alu instid0(VALU_DEP_3) | instskip(NEXT) | instid1(VALU_DEP_1)
	v_cndmask_b32_e64 v18, v28, v18, s7
                                        ; implicit-def: $vgpr35_vgpr36
	v_cndmask_b32_e32 v30, v18, v27, vcc_lo
	v_cndmask_b32_e64 v28, 0xfff00000, v14, s8
	v_cndmask_b32_e64 v27, 0, v13, s8
.LBB186_21:                             ;   in Loop: Header=BB186_4 Depth=1
	s_and_not1_saveexec_b32 s92, s9
	s_cbranch_execz .LBB186_25
; %bb.22:                               ;   in Loop: Header=BB186_4 Depth=1
	v_dual_mov_b32 v29, v17 :: v_dual_and_b32 v18, 0x7ffffff8, v36
	v_and_b32_e32 v30, 0x7ffffff8, v34
	s_mov_b32 s93, 0
	s_delay_alu instid0(VALU_DEP_2) | instskip(SKIP_1) | instid1(VALU_DEP_3)
	v_add_f64 v[27:28], v[35:36], -v[17:18]
	v_mov_b32_e32 v35, v17
	v_add_f64 v[31:32], v[33:34], -v[29:30]
	v_mov_b32_e32 v37, v17
	v_add_f64 v[39:40], v[17:18], v[17:18]
	v_add_f64 v[47:48], v[29:30], v[29:30]
	v_mul_f64 v[33:34], v[29:30], v[29:30]
	v_and_b32_e32 v36, -8, v28
	v_and_b32_e32 v38, -8, v32
	s_delay_alu instid0(VALU_DEP_2) | instskip(SKIP_1) | instid1(VALU_DEP_3)
	v_add_f64 v[49:50], v[27:28], -v[35:36]
	v_add_f64 v[53:54], v[35:36], v[35:36]
	v_add_f64 v[51:52], v[31:32], -v[37:38]
	v_add_f64 v[55:56], v[37:38], v[37:38]
	v_mul_f64 v[27:28], v[17:18], v[17:18]
	v_mul_f64 v[45:46], v[39:40], v[35:36]
	;; [unrolled: 1-line block ×11, first 2 shown]
.LBB186_23:                             ;   Parent Loop BB186_4 Depth=1
                                        ; =>  This Inner Loop Header: Depth=2
	v_cmp_nlt_f64_e32 vcc_lo, v[27:28], v[33:34]
	v_dual_cndmask_b32 v52, v28, v34 :: v_dual_cndmask_b32 v51, v27, v33
	v_dual_cndmask_b32 v28, v34, v28 :: v_dual_cndmask_b32 v27, v33, v27
	s_delay_alu instid0(VALU_DEP_2) | instskip(NEXT) | instid1(VALU_DEP_1)
	v_cmp_nlt_f64_e64 s7, v[51:52], v[45:46]
	v_cndmask_b32_e64 v54, v52, v46, s7
	v_cndmask_b32_e64 v53, v51, v45, s7
	;; [unrolled: 1-line block ×4, first 2 shown]
	s_and_b32 s7, vcc_lo, s7
	s_delay_alu instid0(VALU_DEP_3) | instskip(NEXT) | instid1(VALU_DEP_1)
	v_cmp_nlt_f64_e64 s8, v[53:54], v[31:32]
	v_cndmask_b32_e64 v52, v54, v32, s8
	v_cndmask_b32_e64 v51, v53, v31, s8
	;; [unrolled: 1-line block ×4, first 2 shown]
	s_delay_alu instid0(VALU_DEP_3) | instskip(NEXT) | instid1(VALU_DEP_1)
	v_cmp_nlt_f64_e64 s9, v[51:52], v[43:44]
	v_cndmask_b32_e64 v54, v52, v44, s9
	v_cndmask_b32_e64 v53, v51, v43, s9
	v_cndmask_b32_e64 v32, v44, v52, s9
	v_cndmask_b32_e64 v31, v43, v51, s9
	s_and_b32 s8, s8, s9
	s_delay_alu instid0(VALU_DEP_3) | instskip(NEXT) | instid1(VALU_DEP_1)
	v_cmp_nlt_f64_e64 s10, v[53:54], v[29:30]
	v_cndmask_b32_e64 v52, v54, v30, s10
	v_cndmask_b32_e64 v51, v53, v29, s10
	;; [unrolled: 1-line block ×4, first 2 shown]
	s_delay_alu instid0(VALU_DEP_3) | instskip(NEXT) | instid1(VALU_DEP_1)
	v_cmp_nlt_f64_e64 s11, v[51:52], v[41:42]
	v_cndmask_b32_e64 v54, v52, v42, s11
	v_cndmask_b32_e64 v53, v51, v41, s11
	v_cndmask_b32_e64 v30, v42, v52, s11
	v_cndmask_b32_e64 v29, v41, v51, s11
	s_and_b32 s9, s10, s11
	s_delay_alu instid0(VALU_DEP_3) | instskip(NEXT) | instid1(VALU_DEP_1)
	v_cmp_nlt_f64_e64 s12, v[53:54], v[39:40]
	v_cndmask_b32_e64 v52, v54, v40, s12
	v_cndmask_b32_e64 v51, v53, v39, s12
	v_cndmask_b32_e64 v42, v40, v54, s12
	v_cndmask_b32_e64 v41, v39, v53, s12
	s_and_b32 s9, s9, s12
	;; [unrolled: 7-line block ×4, first 2 shown]
	s_delay_alu instid0(VALU_DEP_3) | instskip(NEXT) | instid1(VALU_DEP_1)
	v_cmp_nlt_f64_e64 s15, v[51:52], v[47:48]
	v_cndmask_b32_e64 v54, v52, v48, s15
	v_cndmask_b32_e64 v53, v51, v47, s15
	s_and_b32 s9, s9, s15
	v_cndmask_b32_e64 v36, v48, v52, s15
	v_cndmask_b32_e64 v35, v47, v51, s15
	s_delay_alu instid0(VALU_DEP_3) | instskip(NEXT) | instid1(VALU_DEP_1)
	v_cmp_nlt_f64_e64 s16, v[53:54], v[49:50]
	v_cndmask_b32_e64 v52, v54, v50, s16
	v_cndmask_b32_e64 v51, v53, v49, s16
	s_and_b32 s9, s9, s16
	v_cndmask_b32_e64 v48, v50, v54, s16
	s_and_b32 s8, s9, s8
	;; [unrolled: 2-line block ×3, first 2 shown]
	v_dual_mov_b32 v49, v51 :: v_dual_mov_b32 v50, v52
	s_and_b32 s7, exec_lo, s7
	s_delay_alu instid0(SALU_CYCLE_1) | instskip(NEXT) | instid1(SALU_CYCLE_1)
	s_or_b32 s93, s7, s93
	s_and_not1_b32 exec_lo, exec_lo, s93
	s_cbranch_execnz .LBB186_23
; %bb.24:                               ;   in Loop: Header=BB186_4 Depth=1
	s_or_b32 exec_lo, exec_lo, s93
	v_add_f64 v[27:28], v[27:28], -1.0
	s_mov_b32 s101, s27
	s_mov_b32 s16, s88
	v_cmp_gt_i32_e64 s7, 0, v14
	v_cmp_class_f64_e64 s9, v[13:14], 0x204
	v_cmp_class_f64_e64 s8, v[15:16], 0x204
	s_mov_b32 s14, 0x4ad4b81f
	s_mov_b32 s15, 0x358dee7a
	s_delay_alu instid0(VALU_DEP_4) | instskip(NEXT) | instid1(VALU_DEP_1)
	v_add_f64 v[27:28], v[27:28], v[33:34]
	v_add_f64 v[27:28], v[27:28], v[45:46]
	s_delay_alu instid0(VALU_DEP_1) | instskip(NEXT) | instid1(VALU_DEP_1)
	v_add_f64 v[27:28], v[27:28], v[31:32]
	v_add_f64 v[27:28], v[27:28], v[43:44]
	s_delay_alu instid0(VALU_DEP_1) | instskip(NEXT) | instid1(VALU_DEP_1)
	;; [unrolled: 3-line block ×5, first 2 shown]
	v_add_f64 v[28:29], v[51:52], v[27:28]
	v_add_f64 v[30:31], v[28:29], 1.0
	s_delay_alu instid0(VALU_DEP_1) | instskip(SKIP_2) | instid1(VALU_DEP_3)
	v_frexp_mant_f64_e32 v[32:33], v[30:31]
	v_frexp_exp_i32_f64_e32 v18, v[30:31]
	v_add_f64 v[34:35], v[30:31], -1.0
	v_cmp_gt_f64_e32 vcc_lo, s[26:27], v[32:33]
	s_delay_alu instid0(VALU_DEP_2) | instskip(SKIP_2) | instid1(VALU_DEP_3)
	v_add_f64 v[32:33], v[34:35], -v[30:31]
	v_add_f64 v[34:35], v[28:29], -v[34:35]
	v_subrev_co_ci_u32_e32 v18, vcc_lo, 0, v18, vcc_lo
	v_add_f64 v[32:33], v[32:33], 1.0
	s_delay_alu instid0(VALU_DEP_2) | instskip(NEXT) | instid1(VALU_DEP_1)
	v_sub_nc_u32_e32 v27, 0, v18
	v_ldexp_f64 v[30:31], v[30:31], v27
	s_delay_alu instid0(VALU_DEP_3) | instskip(NEXT) | instid1(VALU_DEP_2)
	v_add_f64 v[32:33], v[34:35], v[32:33]
	v_add_f64 v[36:37], v[30:31], 1.0
	v_add_f64 v[42:43], v[30:31], -1.0
	s_delay_alu instid0(VALU_DEP_3) | instskip(NEXT) | instid1(VALU_DEP_3)
	v_ldexp_f64 v[32:33], v[32:33], v27
	v_add_f64 v[34:35], v[36:37], -1.0
	s_delay_alu instid0(VALU_DEP_3) | instskip(NEXT) | instid1(VALU_DEP_2)
	v_add_f64 v[44:45], v[42:43], 1.0
	v_add_f64 v[34:35], v[30:31], -v[34:35]
	s_delay_alu instid0(VALU_DEP_2) | instskip(NEXT) | instid1(VALU_DEP_2)
	v_add_f64 v[30:31], v[30:31], -v[44:45]
	v_add_f64 v[34:35], v[32:33], v[34:35]
	s_delay_alu instid0(VALU_DEP_2) | instskip(NEXT) | instid1(VALU_DEP_2)
	v_add_f64 v[30:31], v[32:33], v[30:31]
	v_add_f64 v[38:39], v[36:37], v[34:35]
	s_delay_alu instid0(VALU_DEP_2) | instskip(NEXT) | instid1(VALU_DEP_2)
	v_add_f64 v[44:45], v[42:43], v[30:31]
	v_rcp_f64_e32 v[40:41], v[38:39]
	v_add_f64 v[36:37], v[38:39], -v[36:37]
	s_delay_alu instid0(VALU_DEP_2) | instskip(NEXT) | instid1(VALU_DEP_2)
	v_add_f64 v[42:43], v[44:45], -v[42:43]
	v_add_f64 v[34:35], v[34:35], -v[36:37]
	s_waitcnt_depctr 0xfff
	v_fma_f64 v[46:47], -v[38:39], v[40:41], 1.0
	v_add_f64 v[30:31], v[30:31], -v[42:43]
	s_delay_alu instid0(VALU_DEP_2) | instskip(NEXT) | instid1(VALU_DEP_1)
	v_fma_f64 v[40:41], v[46:47], v[40:41], v[40:41]
	v_fma_f64 v[32:33], -v[38:39], v[40:41], 1.0
	s_delay_alu instid0(VALU_DEP_1) | instskip(NEXT) | instid1(VALU_DEP_1)
	v_fma_f64 v[32:33], v[32:33], v[40:41], v[40:41]
	v_mul_f64 v[40:41], v[44:45], v[32:33]
	s_delay_alu instid0(VALU_DEP_1) | instskip(NEXT) | instid1(VALU_DEP_1)
	v_mul_f64 v[46:47], v[38:39], v[40:41]
	v_fma_f64 v[36:37], v[40:41], v[38:39], -v[46:47]
	s_delay_alu instid0(VALU_DEP_1) | instskip(NEXT) | instid1(VALU_DEP_1)
	v_fma_f64 v[36:37], v[40:41], v[34:35], v[36:37]
	v_add_f64 v[48:49], v[46:47], v[36:37]
	s_delay_alu instid0(VALU_DEP_1) | instskip(SKIP_2) | instid1(VALU_DEP_3)
	v_add_f64 v[50:51], v[44:45], -v[48:49]
	v_add_f64 v[42:43], v[48:49], -v[46:47]
	v_max_f64 v[46:47], |v[15:16]|, |v[15:16]|
	v_add_f64 v[44:45], v[44:45], -v[50:51]
	s_delay_alu instid0(VALU_DEP_3) | instskip(NEXT) | instid1(VALU_DEP_2)
	v_add_f64 v[36:37], v[42:43], -v[36:37]
	v_add_f64 v[44:45], v[44:45], -v[48:49]
	v_max_f64 v[48:49], |v[13:14]|, |v[13:14]|
	v_cndmask_b32_e64 v13, 0x3fe921fb, v60, s7
	s_delay_alu instid0(VALU_DEP_1) | instskip(NEXT) | instid1(VALU_DEP_4)
	v_bfi_b32 v13, 0x7fffffff, v13, v16
	v_add_f64 v[30:31], v[30:31], v[44:45]
	s_delay_alu instid0(VALU_DEP_4) | instskip(SKIP_1) | instid1(VALU_DEP_3)
	v_max_f64 v[52:53], v[48:49], v[46:47]
	v_min_f64 v[46:47], v[48:49], v[46:47]
	v_add_f64 v[30:31], v[36:37], v[30:31]
	s_delay_alu instid0(VALU_DEP_1) | instskip(NEXT) | instid1(VALU_DEP_1)
	v_add_f64 v[36:37], v[50:51], v[30:31]
	v_mul_f64 v[42:43], v[32:33], v[36:37]
	v_add_f64 v[50:51], v[50:51], -v[36:37]
	s_delay_alu instid0(VALU_DEP_2) | instskip(NEXT) | instid1(VALU_DEP_2)
	v_mul_f64 v[44:45], v[38:39], v[42:43]
	v_add_f64 v[30:31], v[30:31], v[50:51]
	s_delay_alu instid0(VALU_DEP_2) | instskip(NEXT) | instid1(VALU_DEP_1)
	v_fma_f64 v[38:39], v[42:43], v[38:39], -v[44:45]
	v_fma_f64 v[34:35], v[42:43], v[34:35], v[38:39]
	v_div_scale_f64 v[38:39], null, v[52:53], v[52:53], v[46:47]
	s_delay_alu instid0(VALU_DEP_2) | instskip(NEXT) | instid1(VALU_DEP_2)
	v_add_f64 v[48:49], v[44:45], v[34:35]
	v_rcp_f64_e32 v[54:55], v[38:39]
	s_delay_alu instid0(VALU_DEP_1)
	v_add_f64 v[56:57], v[36:37], -v[48:49]
	v_add_f64 v[44:45], v[48:49], -v[44:45]
	s_waitcnt_depctr 0xfff
	v_fma_f64 v[61:62], -v[38:39], v[54:55], 1.0
	v_add_f64 v[36:37], v[36:37], -v[56:57]
	v_add_f64 v[34:35], v[44:45], -v[34:35]
	s_delay_alu instid0(VALU_DEP_3) | instskip(NEXT) | instid1(VALU_DEP_3)
	v_fma_f64 v[54:55], v[54:55], v[61:62], v[54:55]
	v_add_f64 v[36:37], v[36:37], -v[48:49]
	s_delay_alu instid0(VALU_DEP_2) | instskip(NEXT) | instid1(VALU_DEP_2)
	v_fma_f64 v[48:49], -v[38:39], v[54:55], 1.0
	v_add_f64 v[30:31], v[30:31], v[36:37]
	v_div_scale_f64 v[36:37], vcc_lo, v[46:47], v[52:53], v[46:47]
	s_delay_alu instid0(VALU_DEP_3) | instskip(SKIP_1) | instid1(VALU_DEP_4)
	v_fma_f64 v[44:45], v[54:55], v[48:49], v[54:55]
	v_add_f64 v[48:49], v[40:41], v[42:43]
	v_add_f64 v[30:31], v[34:35], v[30:31]
	s_delay_alu instid0(VALU_DEP_3) | instskip(NEXT) | instid1(VALU_DEP_3)
	v_mul_f64 v[34:35], v[36:37], v[44:45]
	v_add_f64 v[40:41], v[48:49], -v[40:41]
	s_delay_alu instid0(VALU_DEP_3) | instskip(NEXT) | instid1(VALU_DEP_3)
	v_add_f64 v[30:31], v[56:57], v[30:31]
	v_fma_f64 v[36:37], -v[38:39], v[34:35], v[36:37]
	s_delay_alu instid0(VALU_DEP_3) | instskip(NEXT) | instid1(VALU_DEP_3)
	v_add_f64 v[38:39], v[42:43], -v[40:41]
	v_mul_f64 v[30:31], v[32:33], v[30:31]
	s_delay_alu instid0(VALU_DEP_3) | instskip(SKIP_1) | instid1(VALU_DEP_3)
	v_div_fmas_f64 v[32:33], v[36:37], v[44:45], v[34:35]
	v_cmp_eq_f64_e32 vcc_lo, 0x7ff00000, v[28:29]
	v_add_f64 v[30:31], v[38:39], v[30:31]
	s_delay_alu instid0(VALU_DEP_3) | instskip(NEXT) | instid1(VALU_DEP_2)
	v_div_fixup_f64 v[32:33], v[32:33], v[52:53], v[46:47]
	v_add_f64 v[34:35], v[48:49], v[30:31]
	s_delay_alu instid0(VALU_DEP_2) | instskip(NEXT) | instid1(VALU_DEP_2)
	v_mul_f64 v[36:37], v[32:33], v[32:33]
	v_mul_f64 v[38:39], v[34:35], v[34:35]
	s_delay_alu instid0(VALU_DEP_2) | instskip(NEXT) | instid1(VALU_DEP_2)
	v_fma_f64 v[40:41], v[36:37], s[50:51], s[48:49]
	v_fma_f64 v[42:43], v[38:39], s[30:31], s[28:29]
	v_mul_f64 v[44:45], v[34:35], v[38:39]
	s_delay_alu instid0(VALU_DEP_3) | instskip(NEXT) | instid1(VALU_DEP_3)
	v_fma_f64 v[40:41], v[36:37], v[40:41], s[52:53]
	v_fma_f64 v[42:43], v[38:39], v[42:43], s[36:37]
	s_delay_alu instid0(VALU_DEP_2) | instskip(NEXT) | instid1(VALU_DEP_2)
	v_fma_f64 v[40:41], v[36:37], v[40:41], s[54:55]
	v_fma_f64 v[42:43], v[38:39], v[42:43], s[38:39]
	s_delay_alu instid0(VALU_DEP_2) | instskip(NEXT) | instid1(VALU_DEP_2)
	;; [unrolled: 3-line block ×4, first 2 shown]
	v_fma_f64 v[40:41], v[36:37], v[40:41], s[60:61]
	v_fma_f64 v[38:39], v[38:39], v[42:43], s[100:101]
	v_ldexp_f64 v[42:43], v[34:35], 1
	v_add_f64 v[34:35], v[34:35], -v[48:49]
	s_delay_alu instid0(VALU_DEP_4) | instskip(NEXT) | instid1(VALU_DEP_4)
	v_fma_f64 v[40:41], v[36:37], v[40:41], s[62:63]
	v_mul_f64 v[38:39], v[44:45], v[38:39]
	v_cvt_f64_i32_e32 v[44:45], v18
	s_delay_alu instid0(VALU_DEP_4) | instskip(NEXT) | instid1(VALU_DEP_4)
	v_add_f64 v[30:31], v[30:31], -v[34:35]
	v_fma_f64 v[40:41], v[36:37], v[40:41], s[64:65]
	v_ashrrev_i32_e32 v18, 31, v14
	s_delay_alu instid0(VALU_DEP_1) | instskip(SKIP_4) | instid1(VALU_DEP_4)
	v_and_b32_e32 v14, 0x400921fb, v18
	v_add_f64 v[46:47], v[42:43], v[38:39]
	v_mul_f64 v[48:49], v[44:45], s[44:45]
	v_ldexp_f64 v[30:31], v[30:31], 1
	v_fma_f64 v[40:41], v[36:37], v[40:41], s[66:67]
	v_add_f64 v[34:35], v[46:47], -v[42:43]
	s_delay_alu instid0(VALU_DEP_4) | instskip(NEXT) | instid1(VALU_DEP_3)
	v_fma_f64 v[42:43], v[44:45], s[44:45], -v[48:49]
	v_fma_f64 v[40:41], v[36:37], v[40:41], s[68:69]
	s_delay_alu instid0(VALU_DEP_3) | instskip(NEXT) | instid1(VALU_DEP_2)
	v_add_f64 v[34:35], v[38:39], -v[34:35]
	v_fma_f64 v[38:39], v[36:37], v[40:41], s[70:71]
	s_delay_alu instid0(VALU_DEP_4) | instskip(NEXT) | instid1(VALU_DEP_3)
	v_fma_f64 v[40:41], v[44:45], s[46:47], v[42:43]
	v_add_f64 v[30:31], v[30:31], v[34:35]
	s_delay_alu instid0(VALU_DEP_3) | instskip(NEXT) | instid1(VALU_DEP_3)
	v_fma_f64 v[34:35], v[36:37], v[38:39], s[72:73]
	v_add_f64 v[38:39], v[48:49], v[40:41]
	s_delay_alu instid0(VALU_DEP_3) | instskip(NEXT) | instid1(VALU_DEP_3)
	v_add_f64 v[42:43], v[46:47], v[30:31]
	v_fma_f64 v[34:35], v[36:37], v[34:35], s[74:75]
	s_delay_alu instid0(VALU_DEP_3) | instskip(NEXT) | instid1(VALU_DEP_3)
	v_add_f64 v[48:49], v[38:39], -v[48:49]
	v_add_f64 v[44:45], v[38:39], v[42:43]
	v_add_f64 v[46:47], v[42:43], -v[46:47]
	s_delay_alu instid0(VALU_DEP_4) | instskip(NEXT) | instid1(VALU_DEP_4)
	v_fma_f64 v[34:35], v[36:37], v[34:35], s[76:77]
	v_add_f64 v[40:41], v[40:41], -v[48:49]
	s_delay_alu instid0(VALU_DEP_4) | instskip(NEXT) | instid1(VALU_DEP_4)
	v_add_f64 v[50:51], v[44:45], -v[38:39]
	v_add_f64 v[30:31], v[30:31], -v[46:47]
	s_delay_alu instid0(VALU_DEP_4) | instskip(NEXT) | instid1(VALU_DEP_3)
	v_fma_f64 v[34:35], v[36:37], v[34:35], s[78:79]
	v_add_f64 v[52:53], v[44:45], -v[50:51]
	v_add_f64 v[42:43], v[42:43], -v[50:51]
	s_delay_alu instid0(VALU_DEP_4) | instskip(NEXT) | instid1(VALU_DEP_4)
	v_add_f64 v[46:47], v[40:41], v[30:31]
	v_fma_f64 v[34:35], v[36:37], v[34:35], s[80:81]
	s_delay_alu instid0(VALU_DEP_4) | instskip(NEXT) | instid1(VALU_DEP_2)
	v_add_f64 v[38:39], v[38:39], -v[52:53]
	v_fma_f64 v[34:35], v[36:37], v[34:35], s[82:83]
	s_delay_alu instid0(VALU_DEP_2) | instskip(SKIP_1) | instid1(VALU_DEP_3)
	v_add_f64 v[38:39], v[42:43], v[38:39]
	v_add_f64 v[42:43], v[46:47], -v[40:41]
	v_fma_f64 v[34:35], v[36:37], v[34:35], s[84:85]
	s_delay_alu instid0(VALU_DEP_3) | instskip(NEXT) | instid1(VALU_DEP_3)
	v_add_f64 v[38:39], v[46:47], v[38:39]
	v_add_f64 v[46:47], v[46:47], -v[42:43]
	v_add_f64 v[30:31], v[30:31], -v[42:43]
	s_delay_alu instid0(VALU_DEP_4) | instskip(NEXT) | instid1(VALU_DEP_4)
	v_fma_f64 v[34:35], v[36:37], v[34:35], s[86:87]
	v_add_f64 v[48:49], v[44:45], v[38:39]
	s_delay_alu instid0(VALU_DEP_2) | instskip(SKIP_1) | instid1(VALU_DEP_3)
	v_mul_f64 v[34:35], v[36:37], v[34:35]
	v_add_f64 v[36:37], v[40:41], -v[46:47]
	v_add_f64 v[40:41], v[48:49], -v[44:45]
	s_delay_alu instid0(VALU_DEP_3) | instskip(NEXT) | instid1(VALU_DEP_3)
	v_fma_f64 v[32:33], v[32:33], v[34:35], v[32:33]
	v_add_f64 v[30:31], v[30:31], v[36:37]
	s_delay_alu instid0(VALU_DEP_3) | instskip(NEXT) | instid1(VALU_DEP_3)
	v_add_f64 v[34:35], v[38:39], -v[40:41]
	v_add_f64 v[36:37], -v[32:33], s[88:89]
	s_delay_alu instid0(VALU_DEP_2) | instskip(NEXT) | instid1(VALU_DEP_2)
	v_add_f64 v[30:31], v[30:31], v[34:35]
	v_cndmask_b32_e64 v33, v33, v37, s6
	s_delay_alu instid0(VALU_DEP_3) | instskip(SKIP_1) | instid1(VALU_DEP_2)
	v_cndmask_b32_e64 v32, v32, v36, s6
	v_cndmask_b32_e64 v36, 0x54442d18, v59, s7
	v_add_f64 v[34:35], -v[32:33], s[16:17]
	v_add_f64 v[30:31], v[48:49], v[30:31]
	v_and_b32_e32 v27, 0x54442d18, v18
	s_delay_alu instid0(VALU_DEP_3) | instskip(NEXT) | instid1(VALU_DEP_4)
	v_cndmask_b32_e64 v34, v32, v34, s7
	v_cndmask_b32_e64 v18, v33, v35, s7
	v_cmp_nge_f64_e64 s7, -1.0, v[28:29]
	v_dual_cndmask_b32 v30, v30, v28 :: v_dual_cndmask_b32 v31, v31, v29
	v_cmp_eq_f64_e32 vcc_lo, 0, v[15:16]
	s_delay_alu instid0(VALU_DEP_2) | instskip(SKIP_3) | instid1(VALU_DEP_4)
	v_mul_f64 v[31:32], v[30:31], 0.5
	v_cndmask_b32_e32 v33, v34, v27, vcc_lo
	v_cndmask_b32_e32 v14, v18, v14, vcc_lo
	v_cmp_ngt_f64_e32 vcc_lo, -1.0, v[28:29]
	v_cndmask_b32_e64 v27, 0, v31, s7
	v_cmp_neq_f64_e64 s7, -1.0, v[28:29]
	v_cndmask_b32_e32 v18, 0x7ff80000, v32, vcc_lo
	s_and_b32 vcc_lo, s8, s9
	v_dual_cndmask_b32 v29, v33, v36 :: v_dual_cndmask_b32 v30, v14, v13
	s_delay_alu instid0(VALU_DEP_2)
	v_cndmask_b32_e64 v28, 0xfff00000, v18, s7
.LBB186_25:                             ;   in Loop: Header=BB186_4 Depth=1
	s_or_b32 exec_lo, exec_lo, s92
.LBB186_26:                             ;   in Loop: Header=BB186_4 Depth=1
	s_delay_alu instid0(SALU_CYCLE_1)
	s_or_b32 exec_lo, exec_lo, s25
.LBB186_27:                             ;   in Loop: Header=BB186_4 Depth=1
	s_and_not1_saveexec_b32 s9, s24
	s_cbranch_execz .LBB186_29
; %bb.28:                               ;   in Loop: Header=BB186_4 Depth=1
	v_max_f64 v[27:28], |v[15:16]|, |v[15:16]|
	v_max_f64 v[29:30], |v[13:14]|, |v[13:14]|
	v_cmp_class_f64_e64 s10, v[13:14], 0x204
	v_cmp_class_f64_e64 s11, v[15:16], 0x204
	s_mov_b32 s101, s27
	s_mov_b32 s16, s88
	v_cmp_eq_f64_e64 s8, 0, v[15:16]
	s_delay_alu instid0(VALU_DEP_4) | instskip(SKIP_1) | instid1(VALU_DEP_4)
	v_max_f64 v[31:32], v[29:30], v[27:28]
	v_min_f64 v[27:28], v[29:30], v[27:28]
	s_or_b32 s12, s11, s10
	s_delay_alu instid0(VALU_DEP_2) | instskip(NEXT) | instid1(VALU_DEP_1)
	v_frexp_exp_i32_f64_e32 v18, v[31:32]
	v_sub_nc_u32_e32 v35, 0, v18
	s_delay_alu instid0(VALU_DEP_1) | instskip(SKIP_1) | instid1(VALU_DEP_2)
	v_ldexp_f64 v[33:34], |v[15:16]|, v35
	v_ldexp_f64 v[35:36], |v[13:14]|, v35
	v_mul_f64 v[33:34], v[33:34], v[33:34]
	s_delay_alu instid0(VALU_DEP_1) | instskip(NEXT) | instid1(VALU_DEP_1)
	v_fma_f64 v[33:34], v[35:36], v[35:36], v[33:34]
	v_rsq_f64_e32 v[35:36], v[33:34]
	v_cmp_eq_f64_e32 vcc_lo, 0, v[33:34]
	s_waitcnt_depctr 0xfff
	v_mul_f64 v[37:38], v[33:34], v[35:36]
	v_mul_f64 v[35:36], v[35:36], 0.5
	s_delay_alu instid0(VALU_DEP_1) | instskip(NEXT) | instid1(VALU_DEP_1)
	v_fma_f64 v[39:40], -v[35:36], v[37:38], 0.5
	v_fma_f64 v[37:38], v[37:38], v[39:40], v[37:38]
	v_fma_f64 v[35:36], v[35:36], v[39:40], v[35:36]
	s_delay_alu instid0(VALU_DEP_2) | instskip(NEXT) | instid1(VALU_DEP_1)
	v_fma_f64 v[39:40], -v[37:38], v[37:38], v[33:34]
	v_fma_f64 v[35:36], v[39:40], v[35:36], v[37:38]
	s_delay_alu instid0(VALU_DEP_1) | instskip(SKIP_1) | instid1(VALU_DEP_2)
	v_dual_cndmask_b32 v34, v36, v34 :: v_dual_cndmask_b32 v33, v35, v33
	v_div_scale_f64 v[55:56], vcc_lo, v[27:28], v[31:32], v[27:28]
	v_ldexp_f64 v[33:34], v[33:34], v18
	s_delay_alu instid0(VALU_DEP_1) | instskip(NEXT) | instid1(VALU_DEP_2)
	v_cndmask_b32_e64 v36, v34, 0x7ff00000, s12
	v_cndmask_b32_e64 v35, v33, 0, s12
	s_delay_alu instid0(VALU_DEP_1) | instskip(SKIP_1) | instid1(VALU_DEP_2)
	v_frexp_mant_f64_e32 v[37:38], v[35:36]
	v_frexp_exp_i32_f64_e32 v13, v[35:36]
	v_cmp_gt_f64_e64 s7, s[26:27], v[37:38]
	s_delay_alu instid0(VALU_DEP_1) | instskip(NEXT) | instid1(VALU_DEP_1)
	v_cndmask_b32_e64 v18, 0x3ff00000, 2.0, s7
	v_mul_f64 v[37:38], v[37:38], v[17:18]
	s_delay_alu instid0(VALU_DEP_1) | instskip(SKIP_1) | instid1(VALU_DEP_2)
	v_add_f64 v[39:40], v[37:38], 1.0
	v_add_f64 v[45:46], v[37:38], -1.0
	v_rcp_f64_e32 v[41:42], v[39:40]
	v_add_f64 v[47:48], v[39:40], -1.0
	s_delay_alu instid0(VALU_DEP_1) | instskip(SKIP_2) | instid1(VALU_DEP_1)
	v_add_f64 v[37:38], v[37:38], -v[47:48]
	s_waitcnt_depctr 0xfff
	v_fma_f64 v[43:44], -v[39:40], v[41:42], 1.0
	v_fma_f64 v[41:42], v[43:44], v[41:42], v[41:42]
	s_delay_alu instid0(VALU_DEP_1) | instskip(NEXT) | instid1(VALU_DEP_1)
	v_fma_f64 v[43:44], -v[39:40], v[41:42], 1.0
	v_fma_f64 v[41:42], v[43:44], v[41:42], v[41:42]
	v_div_scale_f64 v[43:44], null, v[31:32], v[31:32], v[27:28]
	s_delay_alu instid0(VALU_DEP_2) | instskip(NEXT) | instid1(VALU_DEP_2)
	v_mul_f64 v[29:30], v[45:46], v[41:42]
	v_rcp_f64_e32 v[51:52], v[43:44]
	s_delay_alu instid0(VALU_DEP_1) | instskip(SKIP_3) | instid1(VALU_DEP_1)
	v_mul_f64 v[49:50], v[39:40], v[29:30]
	s_waitcnt_depctr 0xfff
	v_fma_f64 v[47:48], -v[43:44], v[51:52], 1.0
	v_fma_f64 v[39:40], v[29:30], v[39:40], -v[49:50]
	v_fma_f64 v[37:38], v[29:30], v[37:38], v[39:40]
	s_delay_alu instid0(VALU_DEP_3) | instskip(NEXT) | instid1(VALU_DEP_2)
	v_fma_f64 v[39:40], v[51:52], v[47:48], v[51:52]
	v_add_f64 v[47:48], v[49:50], v[37:38]
	s_delay_alu instid0(VALU_DEP_2) | instskip(NEXT) | instid1(VALU_DEP_2)
	v_fma_f64 v[51:52], -v[43:44], v[39:40], 1.0
	v_add_f64 v[53:54], v[45:46], -v[47:48]
	s_delay_alu instid0(VALU_DEP_2) | instskip(SKIP_1) | instid1(VALU_DEP_3)
	v_fma_f64 v[39:40], v[39:40], v[51:52], v[39:40]
	v_add_f64 v[49:50], v[47:48], -v[49:50]
	v_add_f64 v[45:46], v[45:46], -v[53:54]
	s_delay_alu instid0(VALU_DEP_3) | instskip(NEXT) | instid1(VALU_DEP_3)
	v_mul_f64 v[51:52], v[55:56], v[39:40]
	v_add_f64 v[37:38], v[49:50], -v[37:38]
	s_delay_alu instid0(VALU_DEP_3) | instskip(NEXT) | instid1(VALU_DEP_3)
	v_add_f64 v[45:46], v[45:46], -v[47:48]
	v_fma_f64 v[43:44], -v[43:44], v[51:52], v[55:56]
	s_delay_alu instid0(VALU_DEP_2) | instskip(NEXT) | instid1(VALU_DEP_2)
	v_add_f64 v[37:38], v[37:38], v[45:46]
	v_div_fmas_f64 v[39:40], v[43:44], v[39:40], v[51:52]
	v_subrev_co_ci_u32_e64 v13, vcc_lo, 0, v13, s7
	v_cmp_class_f64_e64 s7, v[33:34], 0x204
	v_cmp_gt_i32_e32 vcc_lo, 0, v14
	v_add_f64 v[37:38], v[53:54], v[37:38]
	v_div_fixup_f64 v[27:28], v[39:40], v[31:32], v[27:28]
	s_delay_alu instid0(VALU_DEP_2) | instskip(NEXT) | instid1(VALU_DEP_2)
	v_mul_f64 v[31:32], v[41:42], v[37:38]
	v_mul_f64 v[37:38], v[27:28], v[27:28]
	s_delay_alu instid0(VALU_DEP_2) | instskip(NEXT) | instid1(VALU_DEP_2)
	v_add_f64 v[39:40], v[29:30], v[31:32]
	v_fma_f64 v[41:42], v[37:38], s[50:51], s[48:49]
	s_delay_alu instid0(VALU_DEP_2) | instskip(NEXT) | instid1(VALU_DEP_2)
	v_mul_f64 v[43:44], v[39:40], v[39:40]
	v_fma_f64 v[41:42], v[37:38], v[41:42], s[52:53]
	v_add_f64 v[29:30], v[39:40], -v[29:30]
	s_delay_alu instid0(VALU_DEP_3) | instskip(NEXT) | instid1(VALU_DEP_3)
	v_fma_f64 v[45:46], v[43:44], s[30:31], s[28:29]
	v_fma_f64 v[41:42], v[37:38], v[41:42], s[54:55]
	v_mul_f64 v[47:48], v[39:40], v[43:44]
	s_delay_alu instid0(VALU_DEP_4) | instskip(NEXT) | instid1(VALU_DEP_4)
	v_add_f64 v[29:30], v[31:32], -v[29:30]
	v_fma_f64 v[45:46], v[43:44], v[45:46], s[36:37]
	s_delay_alu instid0(VALU_DEP_4) | instskip(NEXT) | instid1(VALU_DEP_3)
	v_fma_f64 v[41:42], v[37:38], v[41:42], s[56:57]
	v_ldexp_f64 v[29:30], v[29:30], 1
	s_delay_alu instid0(VALU_DEP_3) | instskip(NEXT) | instid1(VALU_DEP_3)
	v_fma_f64 v[45:46], v[43:44], v[45:46], s[38:39]
	v_fma_f64 v[41:42], v[37:38], v[41:42], s[58:59]
	s_delay_alu instid0(VALU_DEP_2) | instskip(NEXT) | instid1(VALU_DEP_2)
	v_fma_f64 v[45:46], v[43:44], v[45:46], s[40:41]
	v_fma_f64 v[41:42], v[37:38], v[41:42], s[60:61]
	s_delay_alu instid0(VALU_DEP_2) | instskip(NEXT) | instid1(VALU_DEP_2)
	;; [unrolled: 3-line block ×3, first 2 shown]
	v_fma_f64 v[43:44], v[43:44], v[45:46], s[100:101]
	v_fma_f64 v[41:42], v[37:38], v[41:42], s[64:65]
	v_ldexp_f64 v[45:46], v[39:40], 1
	s_delay_alu instid0(VALU_DEP_3) | instskip(NEXT) | instid1(VALU_DEP_3)
	v_mul_f64 v[43:44], v[47:48], v[43:44]
	v_fma_f64 v[41:42], v[37:38], v[41:42], s[66:67]
	v_cvt_f64_i32_e32 v[47:48], v13
	v_ashrrev_i32_e32 v13, 31, v14
	v_cndmask_b32_e32 v14, 0x54442d18, v59, vcc_lo
	v_add_f64 v[39:40], v[45:46], v[43:44]
	v_fma_f64 v[41:42], v[37:38], v[41:42], s[68:69]
	v_mul_f64 v[49:50], v[47:48], s[44:45]
	s_delay_alu instid0(VALU_DEP_3) | instskip(NEXT) | instid1(VALU_DEP_3)
	v_add_f64 v[31:32], v[39:40], -v[45:46]
	v_fma_f64 v[41:42], v[37:38], v[41:42], s[70:71]
	s_delay_alu instid0(VALU_DEP_3) | instskip(NEXT) | instid1(VALU_DEP_3)
	v_fma_f64 v[45:46], v[47:48], s[44:45], -v[49:50]
	v_add_f64 v[31:32], v[43:44], -v[31:32]
	s_delay_alu instid0(VALU_DEP_3) | instskip(NEXT) | instid1(VALU_DEP_3)
	v_fma_f64 v[41:42], v[37:38], v[41:42], s[72:73]
	v_fma_f64 v[43:44], v[47:48], s[46:47], v[45:46]
	s_delay_alu instid0(VALU_DEP_3) | instskip(NEXT) | instid1(VALU_DEP_3)
	v_add_f64 v[29:30], v[29:30], v[31:32]
	v_fma_f64 v[31:32], v[37:38], v[41:42], s[74:75]
	s_delay_alu instid0(VALU_DEP_3) | instskip(NEXT) | instid1(VALU_DEP_3)
	v_add_f64 v[41:42], v[49:50], v[43:44]
	v_add_f64 v[45:46], v[39:40], v[29:30]
	s_delay_alu instid0(VALU_DEP_3) | instskip(NEXT) | instid1(VALU_DEP_3)
	v_fma_f64 v[31:32], v[37:38], v[31:32], s[76:77]
	v_add_f64 v[49:50], v[41:42], -v[49:50]
	s_delay_alu instid0(VALU_DEP_3) | instskip(NEXT) | instid1(VALU_DEP_3)
	v_add_f64 v[47:48], v[41:42], v[45:46]
	v_fma_f64 v[31:32], v[37:38], v[31:32], s[78:79]
	v_add_f64 v[39:40], v[45:46], -v[39:40]
	s_delay_alu instid0(VALU_DEP_4) | instskip(NEXT) | instid1(VALU_DEP_4)
	v_add_f64 v[43:44], v[43:44], -v[49:50]
	v_add_f64 v[51:52], v[47:48], -v[41:42]
	s_delay_alu instid0(VALU_DEP_4) | instskip(NEXT) | instid1(VALU_DEP_4)
	v_fma_f64 v[31:32], v[37:38], v[31:32], s[80:81]
	v_add_f64 v[29:30], v[29:30], -v[39:40]
	s_delay_alu instid0(VALU_DEP_3) | instskip(NEXT) | instid1(VALU_DEP_3)
	v_add_f64 v[53:54], v[47:48], -v[51:52]
	v_fma_f64 v[31:32], v[37:38], v[31:32], s[82:83]
	v_add_f64 v[39:40], v[45:46], -v[51:52]
	s_delay_alu instid0(VALU_DEP_4) | instskip(NEXT) | instid1(VALU_DEP_4)
	v_add_f64 v[45:46], v[43:44], v[29:30]
	v_add_f64 v[41:42], v[41:42], -v[53:54]
	s_delay_alu instid0(VALU_DEP_4) | instskip(NEXT) | instid1(VALU_DEP_2)
	v_fma_f64 v[31:32], v[37:38], v[31:32], s[84:85]
	v_add_f64 v[39:40], v[39:40], v[41:42]
	s_delay_alu instid0(VALU_DEP_2) | instskip(SKIP_1) | instid1(VALU_DEP_3)
	v_fma_f64 v[31:32], v[37:38], v[31:32], s[86:87]
	v_add_f64 v[41:42], v[45:46], -v[43:44]
	v_add_f64 v[39:40], v[45:46], v[39:40]
	s_delay_alu instid0(VALU_DEP_3) | instskip(NEXT) | instid1(VALU_DEP_3)
	v_mul_f64 v[31:32], v[37:38], v[31:32]
	v_add_f64 v[37:38], v[45:46], -v[41:42]
	v_add_f64 v[29:30], v[29:30], -v[41:42]
	s_delay_alu instid0(VALU_DEP_4) | instskip(NEXT) | instid1(VALU_DEP_4)
	v_add_f64 v[45:46], v[47:48], v[39:40]
	v_fma_f64 v[27:28], v[27:28], v[31:32], v[27:28]
	s_delay_alu instid0(VALU_DEP_4) | instskip(NEXT) | instid1(VALU_DEP_3)
	v_add_f64 v[31:32], v[43:44], -v[37:38]
	v_add_f64 v[37:38], v[45:46], -v[47:48]
	s_delay_alu instid0(VALU_DEP_3) | instskip(NEXT) | instid1(VALU_DEP_3)
	v_add_f64 v[41:42], -v[27:28], s[88:89]
	v_add_f64 v[29:30], v[29:30], v[31:32]
	s_delay_alu instid0(VALU_DEP_3) | instskip(NEXT) | instid1(VALU_DEP_3)
	v_add_f64 v[31:32], v[39:40], -v[37:38]
	v_cndmask_b32_e64 v28, v28, v42, s6
	s_delay_alu instid0(VALU_DEP_4) | instskip(NEXT) | instid1(VALU_DEP_3)
	v_cndmask_b32_e64 v27, v27, v41, s6
	v_add_f64 v[29:30], v[29:30], v[31:32]
	s_delay_alu instid0(VALU_DEP_2) | instskip(SKIP_2) | instid1(VALU_DEP_4)
	v_add_f64 v[31:32], -v[27:28], s[16:17]
	v_and_b32_e32 v18, 0x54442d18, v13
	v_and_b32_e32 v13, 0x400921fb, v13
	v_add_f64 v[29:30], v[45:46], v[29:30]
	s_delay_alu instid0(VALU_DEP_4) | instskip(SKIP_2) | instid1(VALU_DEP_3)
	v_dual_cndmask_b32 v28, v28, v32 :: v_dual_cndmask_b32 v27, v27, v31
	v_cndmask_b32_e32 v31, 0x3fe921fb, v60, vcc_lo
	v_cmp_ngt_f64_e32 vcc_lo, 0, v[35:36]
	v_cndmask_b32_e64 v13, v28, v13, s8
	s_delay_alu instid0(VALU_DEP_4) | instskip(NEXT) | instid1(VALU_DEP_4)
	v_cndmask_b32_e64 v18, v27, v18, s8
	v_bfi_b32 v31, 0x7fffffff, v31, v16
	v_cndmask_b32_e64 v30, v30, v34, s7
	v_cndmask_b32_e64 v29, v29, v33, s7
	v_cmp_nge_f64_e64 s7, 0, v[35:36]
	s_delay_alu instid0(VALU_DEP_3) | instskip(NEXT) | instid1(VALU_DEP_3)
	v_cndmask_b32_e64 v30, v30, 0x7ff00000, s12
	v_cndmask_b32_e64 v27, v29, 0, s12
	s_delay_alu instid0(VALU_DEP_2) | instskip(SKIP_2) | instid1(VALU_DEP_3)
	v_cndmask_b32_e32 v28, 0x7ff80000, v30, vcc_lo
	s_and_b32 vcc_lo, s11, s10
	v_dual_cndmask_b32 v30, v13, v31 :: v_dual_cndmask_b32 v29, v18, v14
	v_cndmask_b32_e64 v27, 0, v27, s7
	v_cmp_neq_f64_e64 s7, 0, v[35:36]
	s_delay_alu instid0(VALU_DEP_1)
	v_cndmask_b32_e64 v28, 0xfff00000, v28, s7
.LBB186_29:                             ;   in Loop: Header=BB186_4 Depth=1
	s_or_b32 exec_lo, exec_lo, s9
                                        ; implicit-def: $vgpr33_vgpr34
.LBB186_30:                             ;   in Loop: Header=BB186_4 Depth=1
	s_and_not1_saveexec_b32 s9, s23
	s_cbranch_execz .LBB186_36
; %bb.31:                               ;   in Loop: Header=BB186_4 Depth=1
	s_mov_b32 s10, 0x6a3f9475
	s_mov_b32 s11, 0x20ca2fe7
                                        ; implicit-def: $vgpr27_vgpr28
                                        ; implicit-def: $vgpr29_vgpr30
	s_mov_b32 s7, exec_lo
	v_cmpx_ngt_f64_e32 s[10:11], v[33:34]
	s_xor_b32 s10, exec_lo, s7
	s_cbranch_execz .LBB186_33
; %bb.32:                               ;   in Loop: Header=BB186_4 Depth=1
	v_mul_f64 v[27:28], v[33:34], v[33:34]
	s_mov_b32 s101, s27
	s_mov_b32 s16, s88
	v_cmp_eq_f64_e64 s8, 0, v[15:16]
	v_cmp_class_f64_e64 s11, v[15:16], 0x204
	v_cmp_class_f64_e64 s12, v[13:14], 0x204
	v_cmp_gt_i32_e64 s7, 0, v14
	v_add_f64 v[29:30], v[27:28], 1.0
	s_delay_alu instid0(VALU_DEP_1) | instskip(SKIP_2) | instid1(VALU_DEP_3)
	v_frexp_mant_f64_e32 v[31:32], v[29:30]
	v_frexp_exp_i32_f64_e32 v18, v[29:30]
	v_add_f64 v[33:34], v[29:30], -1.0
	v_cmp_gt_f64_e32 vcc_lo, s[26:27], v[31:32]
	s_delay_alu instid0(VALU_DEP_2) | instskip(SKIP_2) | instid1(VALU_DEP_3)
	v_add_f64 v[31:32], v[33:34], -v[29:30]
	v_add_f64 v[33:34], v[27:28], -v[33:34]
	v_subrev_co_ci_u32_e32 v18, vcc_lo, 0, v18, vcc_lo
	v_add_f64 v[31:32], v[31:32], 1.0
	s_delay_alu instid0(VALU_DEP_2) | instskip(NEXT) | instid1(VALU_DEP_1)
	v_sub_nc_u32_e32 v37, 0, v18
	v_ldexp_f64 v[29:30], v[29:30], v37
	s_delay_alu instid0(VALU_DEP_3) | instskip(NEXT) | instid1(VALU_DEP_2)
	v_add_f64 v[31:32], v[33:34], v[31:32]
	v_add_f64 v[35:36], v[29:30], 1.0
	v_add_f64 v[41:42], v[29:30], -1.0
	s_delay_alu instid0(VALU_DEP_3) | instskip(NEXT) | instid1(VALU_DEP_3)
	v_ldexp_f64 v[31:32], v[31:32], v37
	v_add_f64 v[33:34], v[35:36], -1.0
	s_delay_alu instid0(VALU_DEP_3) | instskip(NEXT) | instid1(VALU_DEP_2)
	v_add_f64 v[43:44], v[41:42], 1.0
	v_add_f64 v[33:34], v[29:30], -v[33:34]
	s_delay_alu instid0(VALU_DEP_2) | instskip(NEXT) | instid1(VALU_DEP_2)
	v_add_f64 v[29:30], v[29:30], -v[43:44]
	v_add_f64 v[33:34], v[31:32], v[33:34]
	s_delay_alu instid0(VALU_DEP_2) | instskip(NEXT) | instid1(VALU_DEP_2)
	v_add_f64 v[29:30], v[31:32], v[29:30]
	v_add_f64 v[37:38], v[35:36], v[33:34]
	s_delay_alu instid0(VALU_DEP_2) | instskip(NEXT) | instid1(VALU_DEP_2)
	v_add_f64 v[43:44], v[41:42], v[29:30]
	v_rcp_f64_e32 v[39:40], v[37:38]
	v_add_f64 v[35:36], v[35:36], -v[37:38]
	s_delay_alu instid0(VALU_DEP_2) | instskip(NEXT) | instid1(VALU_DEP_2)
	v_add_f64 v[41:42], v[41:42], -v[43:44]
	v_add_f64 v[33:34], v[33:34], v[35:36]
	s_waitcnt_depctr 0xfff
	v_fma_f64 v[45:46], -v[37:38], v[39:40], 1.0
	v_add_f64 v[29:30], v[29:30], v[41:42]
	s_delay_alu instid0(VALU_DEP_2) | instskip(NEXT) | instid1(VALU_DEP_1)
	v_fma_f64 v[39:40], v[45:46], v[39:40], v[39:40]
	v_fma_f64 v[31:32], -v[37:38], v[39:40], 1.0
	s_delay_alu instid0(VALU_DEP_1) | instskip(NEXT) | instid1(VALU_DEP_1)
	v_fma_f64 v[31:32], v[31:32], v[39:40], v[39:40]
	v_mul_f64 v[39:40], v[43:44], v[31:32]
	s_delay_alu instid0(VALU_DEP_1) | instskip(NEXT) | instid1(VALU_DEP_1)
	v_mul_f64 v[45:46], v[37:38], v[39:40]
	v_fma_f64 v[35:36], v[39:40], v[37:38], -v[45:46]
	s_delay_alu instid0(VALU_DEP_1) | instskip(NEXT) | instid1(VALU_DEP_1)
	v_fma_f64 v[35:36], v[39:40], v[33:34], v[35:36]
	v_add_f64 v[47:48], v[45:46], v[35:36]
	s_delay_alu instid0(VALU_DEP_1) | instskip(SKIP_2) | instid1(VALU_DEP_3)
	v_add_f64 v[49:50], v[43:44], -v[47:48]
	v_add_f64 v[41:42], v[47:48], -v[45:46]
	v_max_f64 v[45:46], |v[15:16]|, |v[15:16]|
	v_add_f64 v[43:44], v[43:44], -v[49:50]
	s_delay_alu instid0(VALU_DEP_3) | instskip(NEXT) | instid1(VALU_DEP_2)
	v_add_f64 v[35:36], v[41:42], -v[35:36]
	v_add_f64 v[43:44], v[43:44], -v[47:48]
	v_max_f64 v[47:48], |v[13:14]|, |v[13:14]|
	s_delay_alu instid0(VALU_DEP_2) | instskip(NEXT) | instid1(VALU_DEP_2)
	v_add_f64 v[29:30], v[29:30], v[43:44]
	v_max_f64 v[51:52], v[47:48], v[45:46]
	v_min_f64 v[45:46], v[47:48], v[45:46]
	s_delay_alu instid0(VALU_DEP_3) | instskip(NEXT) | instid1(VALU_DEP_1)
	v_add_f64 v[29:30], v[35:36], v[29:30]
	v_add_f64 v[35:36], v[49:50], v[29:30]
	s_delay_alu instid0(VALU_DEP_1) | instskip(SKIP_1) | instid1(VALU_DEP_2)
	v_mul_f64 v[41:42], v[31:32], v[35:36]
	v_add_f64 v[49:50], v[49:50], -v[35:36]
	v_mul_f64 v[43:44], v[37:38], v[41:42]
	s_delay_alu instid0(VALU_DEP_2) | instskip(NEXT) | instid1(VALU_DEP_2)
	v_add_f64 v[29:30], v[29:30], v[49:50]
	v_fma_f64 v[37:38], v[41:42], v[37:38], -v[43:44]
	s_delay_alu instid0(VALU_DEP_1) | instskip(SKIP_1) | instid1(VALU_DEP_2)
	v_fma_f64 v[33:34], v[41:42], v[33:34], v[37:38]
	v_div_scale_f64 v[37:38], null, v[51:52], v[51:52], v[45:46]
	v_add_f64 v[47:48], v[43:44], v[33:34]
	s_delay_alu instid0(VALU_DEP_2) | instskip(NEXT) | instid1(VALU_DEP_1)
	v_rcp_f64_e32 v[53:54], v[37:38]
	v_add_f64 v[55:56], v[35:36], -v[47:48]
	v_add_f64 v[43:44], v[47:48], -v[43:44]
	s_waitcnt_depctr 0xfff
	v_fma_f64 v[57:58], -v[37:38], v[53:54], 1.0
	v_add_f64 v[35:36], v[35:36], -v[55:56]
	v_add_f64 v[33:34], v[43:44], -v[33:34]
	s_delay_alu instid0(VALU_DEP_3) | instskip(NEXT) | instid1(VALU_DEP_3)
	v_fma_f64 v[53:54], v[53:54], v[57:58], v[53:54]
	v_add_f64 v[35:36], v[35:36], -v[47:48]
	s_delay_alu instid0(VALU_DEP_2) | instskip(NEXT) | instid1(VALU_DEP_2)
	v_fma_f64 v[47:48], -v[37:38], v[53:54], 1.0
	v_add_f64 v[29:30], v[29:30], v[35:36]
	v_div_scale_f64 v[35:36], vcc_lo, v[45:46], v[51:52], v[45:46]
	s_delay_alu instid0(VALU_DEP_3) | instskip(SKIP_1) | instid1(VALU_DEP_4)
	v_fma_f64 v[43:44], v[53:54], v[47:48], v[53:54]
	v_add_f64 v[47:48], v[39:40], v[41:42]
	v_add_f64 v[29:30], v[33:34], v[29:30]
	s_delay_alu instid0(VALU_DEP_3) | instskip(NEXT) | instid1(VALU_DEP_3)
	v_mul_f64 v[33:34], v[35:36], v[43:44]
	v_add_f64 v[39:40], v[47:48], -v[39:40]
	s_delay_alu instid0(VALU_DEP_3) | instskip(NEXT) | instid1(VALU_DEP_3)
	v_add_f64 v[29:30], v[55:56], v[29:30]
	v_fma_f64 v[35:36], -v[37:38], v[33:34], v[35:36]
	s_delay_alu instid0(VALU_DEP_3) | instskip(NEXT) | instid1(VALU_DEP_3)
	v_add_f64 v[37:38], v[41:42], -v[39:40]
	v_mul_f64 v[29:30], v[31:32], v[29:30]
	s_delay_alu instid0(VALU_DEP_3) | instskip(SKIP_1) | instid1(VALU_DEP_3)
	v_div_fmas_f64 v[31:32], v[35:36], v[43:44], v[33:34]
	v_cmp_eq_f64_e32 vcc_lo, 0x7ff00000, v[27:28]
	v_add_f64 v[29:30], v[37:38], v[29:30]
	s_delay_alu instid0(VALU_DEP_3) | instskip(NEXT) | instid1(VALU_DEP_2)
	v_div_fixup_f64 v[31:32], v[31:32], v[51:52], v[45:46]
	v_add_f64 v[33:34], v[47:48], v[29:30]
	s_delay_alu instid0(VALU_DEP_2) | instskip(NEXT) | instid1(VALU_DEP_2)
	v_mul_f64 v[35:36], v[31:32], v[31:32]
	v_mul_f64 v[37:38], v[33:34], v[33:34]
	s_delay_alu instid0(VALU_DEP_2) | instskip(NEXT) | instid1(VALU_DEP_2)
	v_fma_f64 v[39:40], v[35:36], s[50:51], s[48:49]
	v_fma_f64 v[41:42], v[37:38], s[30:31], s[28:29]
	v_mul_f64 v[43:44], v[33:34], v[37:38]
	s_delay_alu instid0(VALU_DEP_3) | instskip(NEXT) | instid1(VALU_DEP_3)
	v_fma_f64 v[39:40], v[35:36], v[39:40], s[52:53]
	v_fma_f64 v[41:42], v[37:38], v[41:42], s[36:37]
	s_delay_alu instid0(VALU_DEP_2) | instskip(NEXT) | instid1(VALU_DEP_2)
	v_fma_f64 v[39:40], v[35:36], v[39:40], s[54:55]
	v_fma_f64 v[41:42], v[37:38], v[41:42], s[38:39]
	s_delay_alu instid0(VALU_DEP_2) | instskip(NEXT) | instid1(VALU_DEP_2)
	;; [unrolled: 3-line block ×4, first 2 shown]
	v_fma_f64 v[39:40], v[35:36], v[39:40], s[60:61]
	v_fma_f64 v[37:38], v[37:38], v[41:42], s[100:101]
	v_ldexp_f64 v[41:42], v[33:34], 1
	v_add_f64 v[33:34], v[33:34], -v[47:48]
	s_delay_alu instid0(VALU_DEP_4) | instskip(NEXT) | instid1(VALU_DEP_4)
	v_fma_f64 v[39:40], v[35:36], v[39:40], s[62:63]
	v_mul_f64 v[37:38], v[43:44], v[37:38]
	v_cvt_f64_i32_e32 v[43:44], v18
	s_delay_alu instid0(VALU_DEP_4) | instskip(NEXT) | instid1(VALU_DEP_4)
	v_add_f64 v[29:30], v[29:30], -v[33:34]
	v_fma_f64 v[39:40], v[35:36], v[39:40], s[64:65]
	v_ashrrev_i32_e32 v18, 31, v14
	v_add_f64 v[45:46], v[41:42], v[37:38]
	v_mul_f64 v[47:48], v[43:44], s[44:45]
	v_ldexp_f64 v[29:30], v[29:30], 1
	v_fma_f64 v[39:40], v[35:36], v[39:40], s[66:67]
	s_delay_alu instid0(VALU_DEP_4) | instskip(NEXT) | instid1(VALU_DEP_4)
	v_add_f64 v[33:34], v[45:46], -v[41:42]
	v_fma_f64 v[41:42], v[43:44], s[44:45], -v[47:48]
	s_delay_alu instid0(VALU_DEP_3) | instskip(NEXT) | instid1(VALU_DEP_3)
	v_fma_f64 v[39:40], v[35:36], v[39:40], s[68:69]
	v_add_f64 v[33:34], v[37:38], -v[33:34]
	s_delay_alu instid0(VALU_DEP_2) | instskip(NEXT) | instid1(VALU_DEP_4)
	v_fma_f64 v[37:38], v[35:36], v[39:40], s[70:71]
	v_fma_f64 v[39:40], v[43:44], s[46:47], v[41:42]
	s_delay_alu instid0(VALU_DEP_3) | instskip(NEXT) | instid1(VALU_DEP_3)
	v_add_f64 v[29:30], v[29:30], v[33:34]
	v_fma_f64 v[33:34], v[35:36], v[37:38], s[72:73]
	s_delay_alu instid0(VALU_DEP_3) | instskip(NEXT) | instid1(VALU_DEP_3)
	v_add_f64 v[37:38], v[47:48], v[39:40]
	v_add_f64 v[41:42], v[45:46], v[29:30]
	s_delay_alu instid0(VALU_DEP_3) | instskip(NEXT) | instid1(VALU_DEP_3)
	v_fma_f64 v[33:34], v[35:36], v[33:34], s[74:75]
	v_add_f64 v[47:48], v[37:38], -v[47:48]
	s_delay_alu instid0(VALU_DEP_3) | instskip(SKIP_1) | instid1(VALU_DEP_4)
	v_add_f64 v[43:44], v[37:38], v[41:42]
	v_add_f64 v[45:46], v[41:42], -v[45:46]
	v_fma_f64 v[33:34], v[35:36], v[33:34], s[76:77]
	s_delay_alu instid0(VALU_DEP_4) | instskip(NEXT) | instid1(VALU_DEP_4)
	v_add_f64 v[39:40], v[39:40], -v[47:48]
	v_add_f64 v[49:50], v[43:44], -v[37:38]
	s_delay_alu instid0(VALU_DEP_4) | instskip(NEXT) | instid1(VALU_DEP_4)
	v_add_f64 v[29:30], v[29:30], -v[45:46]
	v_fma_f64 v[33:34], v[35:36], v[33:34], s[78:79]
	s_delay_alu instid0(VALU_DEP_3) | instskip(SKIP_1) | instid1(VALU_DEP_4)
	v_add_f64 v[51:52], v[43:44], -v[49:50]
	v_add_f64 v[41:42], v[41:42], -v[49:50]
	v_add_f64 v[45:46], v[39:40], v[29:30]
	s_delay_alu instid0(VALU_DEP_4) | instskip(NEXT) | instid1(VALU_DEP_4)
	v_fma_f64 v[33:34], v[35:36], v[33:34], s[80:81]
	v_add_f64 v[37:38], v[37:38], -v[51:52]
	s_delay_alu instid0(VALU_DEP_2) | instskip(NEXT) | instid1(VALU_DEP_2)
	v_fma_f64 v[33:34], v[35:36], v[33:34], s[82:83]
	v_add_f64 v[37:38], v[41:42], v[37:38]
	v_add_f64 v[41:42], v[45:46], -v[39:40]
	s_delay_alu instid0(VALU_DEP_3) | instskip(NEXT) | instid1(VALU_DEP_3)
	v_fma_f64 v[33:34], v[35:36], v[33:34], s[84:85]
	v_add_f64 v[37:38], v[45:46], v[37:38]
	s_delay_alu instid0(VALU_DEP_3) | instskip(SKIP_1) | instid1(VALU_DEP_4)
	v_add_f64 v[45:46], v[45:46], -v[41:42]
	v_add_f64 v[29:30], v[29:30], -v[41:42]
	v_fma_f64 v[33:34], v[35:36], v[33:34], s[86:87]
	s_delay_alu instid0(VALU_DEP_4) | instskip(NEXT) | instid1(VALU_DEP_2)
	v_add_f64 v[47:48], v[43:44], v[37:38]
	v_mul_f64 v[33:34], v[35:36], v[33:34]
	v_add_f64 v[35:36], v[39:40], -v[45:46]
	s_delay_alu instid0(VALU_DEP_3) | instskip(NEXT) | instid1(VALU_DEP_3)
	v_add_f64 v[39:40], v[47:48], -v[43:44]
	v_fma_f64 v[31:32], v[31:32], v[33:34], v[31:32]
	s_delay_alu instid0(VALU_DEP_3) | instskip(NEXT) | instid1(VALU_DEP_3)
	v_add_f64 v[29:30], v[29:30], v[35:36]
	v_add_f64 v[33:34], v[37:38], -v[39:40]
	s_delay_alu instid0(VALU_DEP_3) | instskip(NEXT) | instid1(VALU_DEP_2)
	v_add_f64 v[35:36], -v[31:32], s[88:89]
	v_add_f64 v[29:30], v[29:30], v[33:34]
	s_delay_alu instid0(VALU_DEP_2) | instskip(NEXT) | instid1(VALU_DEP_3)
	v_cndmask_b32_e64 v32, v32, v36, s6
	v_cndmask_b32_e64 v31, v31, v35, s6
	;; [unrolled: 1-line block ×3, first 2 shown]
	s_delay_alu instid0(VALU_DEP_2) | instskip(SKIP_2) | instid1(VALU_DEP_3)
	v_add_f64 v[33:34], -v[31:32], s[16:17]
	v_add_f64 v[29:30], v[47:48], v[29:30]
	v_and_b32_e32 v36, 0x54442d18, v18
	v_cndmask_b32_e64 v31, v31, v33, s7
	s_delay_alu instid0(VALU_DEP_3) | instskip(NEXT) | instid1(VALU_DEP_2)
	v_cndmask_b32_e32 v13, v29, v27, vcc_lo
	v_cndmask_b32_e64 v29, v31, v36, s8
	v_cndmask_b32_e32 v14, v30, v28, vcc_lo
	s_and_b32 vcc_lo, s11, s12
	s_delay_alu instid0(VALU_DEP_2) | instskip(NEXT) | instid1(VALU_DEP_2)
	v_cndmask_b32_e32 v29, v29, v35, vcc_lo
	v_mul_f64 v[27:28], v[13:14], 0.5
	v_cndmask_b32_e64 v13, 0x3fe921fb, v60, s7
	v_and_b32_e32 v14, 0x400921fb, v18
	v_cndmask_b32_e64 v18, v32, v34, s7
                                        ; implicit-def: $vgpr33_vgpr34
	s_delay_alu instid0(VALU_DEP_3) | instskip(NEXT) | instid1(VALU_DEP_2)
	v_bfi_b32 v13, 0x7fffffff, v13, v16
	v_cndmask_b32_e64 v14, v18, v14, s8
	s_delay_alu instid0(VALU_DEP_1)
	v_cndmask_b32_e32 v30, v14, v13, vcc_lo
.LBB186_33:                             ;   in Loop: Header=BB186_4 Depth=1
	s_and_not1_saveexec_b32 s8, s10
	s_cbranch_execz .LBB186_35
; %bb.34:                               ;   in Loop: Header=BB186_4 Depth=1
	v_max_f64 v[27:28], |v[15:16]|, |v[15:16]|
	v_max_f64 v[29:30], |v[13:14]|, |v[13:14]|
	s_mov_b32 s16, s88
	v_cmp_eq_f64_e64 s7, 0, v[15:16]
	v_cmp_class_f64_e64 s10, v[15:16], 0x204
	v_cmp_class_f64_e64 s11, v[13:14], 0x204
	v_ashrrev_i32_e32 v18, 31, v14
	v_max_f64 v[31:32], v[29:30], v[27:28]
	v_min_f64 v[27:28], v[29:30], v[27:28]
	s_delay_alu instid0(VALU_DEP_1) | instskip(SKIP_1) | instid1(VALU_DEP_2)
	v_div_scale_f64 v[29:30], null, v[31:32], v[31:32], v[27:28]
	v_div_scale_f64 v[39:40], vcc_lo, v[27:28], v[31:32], v[27:28]
	v_rcp_f64_e32 v[35:36], v[29:30]
	s_waitcnt_depctr 0xfff
	v_fma_f64 v[37:38], -v[29:30], v[35:36], 1.0
	s_delay_alu instid0(VALU_DEP_1) | instskip(NEXT) | instid1(VALU_DEP_1)
	v_fma_f64 v[35:36], v[35:36], v[37:38], v[35:36]
	v_fma_f64 v[37:38], -v[29:30], v[35:36], 1.0
	s_delay_alu instid0(VALU_DEP_1) | instskip(NEXT) | instid1(VALU_DEP_1)
	v_fma_f64 v[35:36], v[35:36], v[37:38], v[35:36]
	v_mul_f64 v[37:38], v[39:40], v[35:36]
	s_delay_alu instid0(VALU_DEP_1) | instskip(NEXT) | instid1(VALU_DEP_1)
	v_fma_f64 v[29:30], -v[29:30], v[37:38], v[39:40]
	v_div_fmas_f64 v[29:30], v[29:30], v[35:36], v[37:38]
	v_cmp_gt_i32_e32 vcc_lo, 0, v14
	v_and_b32_e32 v36, 0x54442d18, v18
	v_and_b32_e32 v14, 0x400921fb, v18
	v_cndmask_b32_e32 v35, 0x54442d18, v59, vcc_lo
	v_cndmask_b32_e32 v13, 0x3fe921fb, v60, vcc_lo
	s_delay_alu instid0(VALU_DEP_1) | instskip(SKIP_1) | instid1(VALU_DEP_1)
	v_bfi_b32 v13, 0x7fffffff, v13, v16
	v_div_fixup_f64 v[27:28], v[29:30], v[31:32], v[27:28]
	v_mul_f64 v[29:30], v[27:28], v[27:28]
	s_delay_alu instid0(VALU_DEP_1) | instskip(NEXT) | instid1(VALU_DEP_1)
	v_fma_f64 v[31:32], v[29:30], s[50:51], s[48:49]
	v_fma_f64 v[31:32], v[29:30], v[31:32], s[52:53]
	s_delay_alu instid0(VALU_DEP_1) | instskip(NEXT) | instid1(VALU_DEP_1)
	v_fma_f64 v[31:32], v[29:30], v[31:32], s[54:55]
	v_fma_f64 v[31:32], v[29:30], v[31:32], s[56:57]
	;; [unrolled: 3-line block ×9, first 2 shown]
	s_delay_alu instid0(VALU_DEP_1) | instskip(NEXT) | instid1(VALU_DEP_1)
	v_fma_f64 v[31:32], v[29:30], v[31:32], s[86:87]
	v_mul_f64 v[29:30], v[29:30], v[31:32]
	s_delay_alu instid0(VALU_DEP_1) | instskip(NEXT) | instid1(VALU_DEP_1)
	v_fma_f64 v[27:28], v[27:28], v[29:30], v[27:28]
	v_add_f64 v[29:30], -v[27:28], s[88:89]
	s_delay_alu instid0(VALU_DEP_1) | instskip(NEXT) | instid1(VALU_DEP_2)
	v_cndmask_b32_e64 v30, v28, v30, s6
	v_cndmask_b32_e64 v29, v27, v29, s6
	v_mul_f64 v[27:28], v[33:34], 0.5
	s_delay_alu instid0(VALU_DEP_2) | instskip(NEXT) | instid1(VALU_DEP_2)
	v_add_f64 v[31:32], -v[29:30], s[16:17]
	v_mul_f64 v[27:28], v[33:34], v[27:28]
	s_delay_alu instid0(VALU_DEP_2) | instskip(NEXT) | instid1(VALU_DEP_1)
	v_cndmask_b32_e32 v29, v29, v31, vcc_lo
	v_cndmask_b32_e64 v29, v29, v36, s7
	s_delay_alu instid0(VALU_DEP_4) | instskip(SKIP_1) | instid1(VALU_DEP_2)
	v_cndmask_b32_e32 v18, v30, v32, vcc_lo
	s_and_b32 vcc_lo, s10, s11
	v_cndmask_b32_e32 v29, v29, v35, vcc_lo
	s_delay_alu instid0(VALU_DEP_2) | instskip(NEXT) | instid1(VALU_DEP_1)
	v_cndmask_b32_e64 v14, v18, v14, s7
	v_cndmask_b32_e32 v30, v14, v13, vcc_lo
.LBB186_35:                             ;   in Loop: Header=BB186_4 Depth=1
	s_or_b32 exec_lo, exec_lo, s8
.LBB186_36:                             ;   in Loop: Header=BB186_4 Depth=1
	s_delay_alu instid0(SALU_CYCLE_1)
	s_or_b32 exec_lo, exec_lo, s9
.LBB186_37:                             ;   in Loop: Header=BB186_4 Depth=1
	s_and_not1_saveexec_b32 s9, s22
	s_cbranch_execz .LBB186_39
; %bb.38:                               ;   in Loop: Header=BB186_4 Depth=1
	v_div_scale_f64 v[27:28], null, s[94:95], s[94:95], v[13:14]
	v_div_scale_f64 v[29:30], null, s[94:95], s[94:95], v[15:16]
	v_div_scale_f64 v[39:40], vcc_lo, v[13:14], s[94:95], v[13:14]
	v_max_f64 v[45:46], |v[13:14]|, |v[13:14]|
	s_mov_b32 s101, s27
	s_mov_b32 s16, s88
	s_delay_alu instid0(VALU_DEP_4) | instskip(NEXT) | instid1(VALU_DEP_3)
	v_rcp_f64_e32 v[31:32], v[27:28]
	v_rcp_f64_e32 v[33:34], v[29:30]
	s_waitcnt_depctr 0xfff
	v_fma_f64 v[35:36], -v[27:28], v[31:32], 1.0
	v_fma_f64 v[37:38], -v[29:30], v[33:34], 1.0
	s_delay_alu instid0(VALU_DEP_2) | instskip(NEXT) | instid1(VALU_DEP_2)
	v_fma_f64 v[31:32], v[31:32], v[35:36], v[31:32]
	v_fma_f64 v[33:34], v[33:34], v[37:38], v[33:34]
	s_delay_alu instid0(VALU_DEP_2) | instskip(NEXT) | instid1(VALU_DEP_2)
	v_fma_f64 v[35:36], -v[27:28], v[31:32], 1.0
	v_fma_f64 v[37:38], -v[29:30], v[33:34], 1.0
	s_delay_alu instid0(VALU_DEP_2) | instskip(SKIP_1) | instid1(VALU_DEP_3)
	v_fma_f64 v[31:32], v[31:32], v[35:36], v[31:32]
	v_div_scale_f64 v[35:36], s7, v[15:16], s[94:95], v[15:16]
	v_fma_f64 v[33:34], v[33:34], v[37:38], v[33:34]
	s_delay_alu instid0(VALU_DEP_3) | instskip(NEXT) | instid1(VALU_DEP_2)
	v_mul_f64 v[37:38], v[39:40], v[31:32]
	v_mul_f64 v[41:42], v[35:36], v[33:34]
	s_delay_alu instid0(VALU_DEP_2) | instskip(NEXT) | instid1(VALU_DEP_2)
	v_fma_f64 v[27:28], -v[27:28], v[37:38], v[39:40]
	v_fma_f64 v[29:30], -v[29:30], v[41:42], v[35:36]
	s_delay_alu instid0(VALU_DEP_2) | instskip(SKIP_1) | instid1(VALU_DEP_2)
	v_div_fmas_f64 v[27:28], v[27:28], v[31:32], v[37:38]
	s_mov_b32 vcc_lo, s7
	v_div_fmas_f64 v[29:30], v[29:30], v[33:34], v[41:42]
	s_delay_alu instid0(VALU_DEP_2) | instskip(NEXT) | instid1(VALU_DEP_2)
	v_div_fixup_f64 v[27:28], v[27:28], s[94:95], v[13:14]
	v_div_fixup_f64 v[29:30], v[29:30], s[94:95], v[15:16]
	s_delay_alu instid0(VALU_DEP_2) | instskip(NEXT) | instid1(VALU_DEP_2)
	v_cmp_class_f64_e64 s8, v[27:28], 0x204
	v_max_f64 v[31:32], |v[27:28]|, |v[29:30]|
	v_cmp_o_f64_e64 s7, v[27:28], v[29:30]
	v_cmp_class_f64_e64 s10, v[29:30], 0x204
	s_delay_alu instid0(VALU_DEP_3) | instskip(NEXT) | instid1(VALU_DEP_2)
	v_frexp_exp_i32_f64_e32 v18, v[31:32]
	s_or_b32 s10, s10, s8
	s_delay_alu instid0(VALU_DEP_1) | instskip(NEXT) | instid1(VALU_DEP_1)
	v_sub_nc_u32_e32 v33, 0, v18
	v_ldexp_f64 v[31:32], |v[29:30]|, v33
	v_ldexp_f64 v[33:34], |v[27:28]|, v33
	s_delay_alu instid0(VALU_DEP_2) | instskip(NEXT) | instid1(VALU_DEP_1)
	v_mul_f64 v[31:32], v[31:32], v[31:32]
	v_fma_f64 v[31:32], v[33:34], v[33:34], v[31:32]
	s_delay_alu instid0(VALU_DEP_1) | instskip(SKIP_4) | instid1(VALU_DEP_1)
	v_rsq_f64_e32 v[33:34], v[31:32]
	v_cmp_eq_f64_e32 vcc_lo, 0, v[31:32]
	s_waitcnt_depctr 0xfff
	v_mul_f64 v[35:36], v[31:32], v[33:34]
	v_mul_f64 v[33:34], v[33:34], 0.5
	v_fma_f64 v[37:38], -v[33:34], v[35:36], 0.5
	s_delay_alu instid0(VALU_DEP_1) | instskip(SKIP_1) | instid1(VALU_DEP_2)
	v_fma_f64 v[35:36], v[35:36], v[37:38], v[35:36]
	v_fma_f64 v[33:34], v[33:34], v[37:38], v[33:34]
	v_fma_f64 v[37:38], -v[35:36], v[35:36], v[31:32]
	s_delay_alu instid0(VALU_DEP_1) | instskip(NEXT) | instid1(VALU_DEP_1)
	v_fma_f64 v[33:34], v[37:38], v[33:34], v[35:36]
	v_dual_cndmask_b32 v32, v34, v32 :: v_dual_cndmask_b32 v31, v33, v31
	s_delay_alu instid0(VALU_DEP_1) | instskip(NEXT) | instid1(VALU_DEP_1)
	v_ldexp_f64 v[31:32], v[31:32], v18
	v_cndmask_b32_e64 v27, 0, v31, s7
	s_delay_alu instid0(VALU_DEP_2) | instskip(SKIP_1) | instid1(VALU_DEP_3)
	v_cndmask_b32_e64 v57, 0x7ff80000, v32, s7
	v_and_b32_e32 v32, 0x7fffffff, v32
	v_cndmask_b32_e64 v28, v27, 0, s10
	s_delay_alu instid0(VALU_DEP_3) | instskip(NEXT) | instid1(VALU_DEP_1)
	v_cndmask_b32_e64 v29, v57, 0x7ff00000, s10
	v_frexp_mant_f64_e32 v[33:34], v[28:29]
	s_delay_alu instid0(VALU_DEP_1) | instskip(NEXT) | instid1(VALU_DEP_1)
	v_cmp_gt_f64_e64 s8, s[26:27], v[33:34]
	v_cndmask_b32_e64 v18, 0x3ff00000, 2.0, s8
	s_delay_alu instid0(VALU_DEP_1) | instskip(SKIP_1) | instid1(VALU_DEP_2)
	v_mul_f64 v[33:34], v[33:34], v[17:18]
	v_frexp_exp_i32_f64_e32 v18, v[28:29]
	v_add_f64 v[35:36], v[33:34], 1.0
	v_add_f64 v[41:42], v[33:34], -1.0
	s_delay_alu instid0(VALU_DEP_2) | instskip(SKIP_1) | instid1(VALU_DEP_1)
	v_rcp_f64_e32 v[37:38], v[35:36]
	v_add_f64 v[47:48], v[35:36], -1.0
	v_add_f64 v[33:34], v[33:34], -v[47:48]
	s_waitcnt_depctr 0xfff
	v_fma_f64 v[39:40], -v[35:36], v[37:38], 1.0
	s_delay_alu instid0(VALU_DEP_1) | instskip(NEXT) | instid1(VALU_DEP_1)
	v_fma_f64 v[37:38], v[39:40], v[37:38], v[37:38]
	v_fma_f64 v[39:40], -v[35:36], v[37:38], 1.0
	s_delay_alu instid0(VALU_DEP_1) | instskip(SKIP_1) | instid1(VALU_DEP_2)
	v_fma_f64 v[37:38], v[39:40], v[37:38], v[37:38]
	v_max_f64 v[39:40], |v[15:16]|, |v[15:16]|
	v_mul_f64 v[43:44], v[41:42], v[37:38]
	s_delay_alu instid0(VALU_DEP_2) | instskip(SKIP_1) | instid1(VALU_DEP_3)
	v_max_f64 v[51:52], v[45:46], v[39:40]
	v_min_f64 v[39:40], v[45:46], v[39:40]
	v_mul_f64 v[49:50], v[35:36], v[43:44]
	s_delay_alu instid0(VALU_DEP_2) | instskip(NEXT) | instid1(VALU_DEP_2)
	v_div_scale_f64 v[45:46], null, v[51:52], v[51:52], v[39:40]
	v_fma_f64 v[35:36], v[43:44], v[35:36], -v[49:50]
	s_delay_alu instid0(VALU_DEP_1) | instskip(NEXT) | instid1(VALU_DEP_3)
	v_fma_f64 v[33:34], v[43:44], v[33:34], v[35:36]
	v_rcp_f64_e32 v[35:36], v[45:46]
	s_delay_alu instid0(VALU_DEP_1) | instskip(SKIP_4) | instid1(VALU_DEP_3)
	v_add_f64 v[47:48], v[49:50], v[33:34]
	s_waitcnt_depctr 0xfff
	v_fma_f64 v[53:54], -v[45:46], v[35:36], 1.0
	v_add_f64 v[55:56], v[41:42], -v[47:48]
	v_add_f64 v[49:50], v[47:48], -v[49:50]
	v_fma_f64 v[35:36], v[35:36], v[53:54], v[35:36]
	s_delay_alu instid0(VALU_DEP_3) | instskip(NEXT) | instid1(VALU_DEP_3)
	v_add_f64 v[41:42], v[41:42], -v[55:56]
	v_add_f64 v[33:34], v[49:50], -v[33:34]
	s_delay_alu instid0(VALU_DEP_3) | instskip(NEXT) | instid1(VALU_DEP_3)
	v_fma_f64 v[53:54], -v[45:46], v[35:36], 1.0
	v_add_f64 v[41:42], v[41:42], -v[47:48]
	v_div_scale_f64 v[47:48], vcc_lo, v[39:40], v[51:52], v[39:40]
	s_delay_alu instid0(VALU_DEP_3) | instskip(NEXT) | instid1(VALU_DEP_3)
	v_fma_f64 v[35:36], v[35:36], v[53:54], v[35:36]
	v_add_f64 v[33:34], v[33:34], v[41:42]
	s_delay_alu instid0(VALU_DEP_2) | instskip(NEXT) | instid1(VALU_DEP_2)
	v_mul_f64 v[41:42], v[47:48], v[35:36]
	v_add_f64 v[33:34], v[55:56], v[33:34]
	s_delay_alu instid0(VALU_DEP_2) | instskip(NEXT) | instid1(VALU_DEP_2)
	v_fma_f64 v[45:46], -v[45:46], v[41:42], v[47:48]
	v_mul_f64 v[33:34], v[37:38], v[33:34]
	s_delay_alu instid0(VALU_DEP_2)
	v_div_fmas_f64 v[35:36], v[45:46], v[35:36], v[41:42]
	v_subrev_co_ci_u32_e64 v18, vcc_lo, 0, v18, s8
	v_cmp_eq_f64_e32 vcc_lo, 0x7ff00000, v[31:32]
	v_cmp_class_f64_e64 s8, v[13:14], 0x204
	v_add_f64 v[37:38], v[43:44], v[33:34]
	v_div_fixup_f64 v[35:36], v[35:36], v[51:52], v[39:40]
	s_and_b32 vcc_lo, s7, vcc_lo
	v_cmp_class_f64_e64 s7, v[15:16], 0x204
	s_delay_alu instid0(VALU_DEP_3) | instskip(NEXT) | instid1(VALU_DEP_3)
	v_mul_f64 v[39:40], v[37:38], v[37:38]
	v_mul_f64 v[41:42], v[35:36], v[35:36]
	s_delay_alu instid0(VALU_DEP_2) | instskip(SKIP_1) | instid1(VALU_DEP_3)
	v_fma_f64 v[45:46], v[39:40], s[30:31], s[28:29]
	v_mul_f64 v[49:50], v[37:38], v[39:40]
	v_fma_f64 v[47:48], v[41:42], s[50:51], s[48:49]
	s_delay_alu instid0(VALU_DEP_3) | instskip(NEXT) | instid1(VALU_DEP_2)
	v_fma_f64 v[45:46], v[39:40], v[45:46], s[36:37]
	v_fma_f64 v[47:48], v[41:42], v[47:48], s[52:53]
	s_delay_alu instid0(VALU_DEP_2) | instskip(NEXT) | instid1(VALU_DEP_2)
	v_fma_f64 v[45:46], v[39:40], v[45:46], s[38:39]
	v_fma_f64 v[47:48], v[41:42], v[47:48], s[54:55]
	s_delay_alu instid0(VALU_DEP_2) | instskip(NEXT) | instid1(VALU_DEP_2)
	;; [unrolled: 3-line block ×4, first 2 shown]
	v_fma_f64 v[39:40], v[39:40], v[45:46], s[100:101]
	v_fma_f64 v[45:46], v[41:42], v[47:48], s[60:61]
	v_ldexp_f64 v[47:48], v[37:38], 1
	v_add_f64 v[37:38], v[37:38], -v[43:44]
	s_delay_alu instid0(VALU_DEP_4)
	v_mul_f64 v[39:40], v[49:50], v[39:40]
	v_cvt_f64_i32_e32 v[49:50], v18
	v_ashrrev_i32_e32 v18, 31, v14
	v_fma_f64 v[45:46], v[41:42], v[45:46], s[62:63]
	v_add_f64 v[33:34], v[33:34], -v[37:38]
	v_add_f64 v[43:44], v[47:48], v[39:40]
	v_mul_f64 v[51:52], v[49:50], s[44:45]
	s_delay_alu instid0(VALU_DEP_4) | instskip(NEXT) | instid1(VALU_DEP_4)
	v_fma_f64 v[45:46], v[41:42], v[45:46], s[64:65]
	v_ldexp_f64 v[33:34], v[33:34], 1
	s_delay_alu instid0(VALU_DEP_4) | instskip(NEXT) | instid1(VALU_DEP_4)
	v_add_f64 v[37:38], v[43:44], -v[47:48]
	v_fma_f64 v[47:48], v[49:50], s[44:45], -v[51:52]
	s_delay_alu instid0(VALU_DEP_4) | instskip(NEXT) | instid1(VALU_DEP_3)
	v_fma_f64 v[45:46], v[41:42], v[45:46], s[66:67]
	v_add_f64 v[37:38], v[39:40], -v[37:38]
	s_delay_alu instid0(VALU_DEP_2) | instskip(NEXT) | instid1(VALU_DEP_4)
	v_fma_f64 v[39:40], v[41:42], v[45:46], s[68:69]
	v_fma_f64 v[45:46], v[49:50], s[46:47], v[47:48]
	s_delay_alu instid0(VALU_DEP_3) | instskip(NEXT) | instid1(VALU_DEP_3)
	v_add_f64 v[33:34], v[33:34], v[37:38]
	v_fma_f64 v[37:38], v[41:42], v[39:40], s[70:71]
	s_delay_alu instid0(VALU_DEP_3) | instskip(NEXT) | instid1(VALU_DEP_3)
	v_add_f64 v[39:40], v[51:52], v[45:46]
	v_add_f64 v[47:48], v[43:44], v[33:34]
	s_delay_alu instid0(VALU_DEP_3) | instskip(NEXT) | instid1(VALU_DEP_3)
	v_fma_f64 v[37:38], v[41:42], v[37:38], s[72:73]
	v_add_f64 v[51:52], v[39:40], -v[51:52]
	s_delay_alu instid0(VALU_DEP_3) | instskip(SKIP_1) | instid1(VALU_DEP_4)
	v_add_f64 v[49:50], v[39:40], v[47:48]
	v_add_f64 v[43:44], v[47:48], -v[43:44]
	v_fma_f64 v[37:38], v[41:42], v[37:38], s[74:75]
	s_delay_alu instid0(VALU_DEP_4) | instskip(NEXT) | instid1(VALU_DEP_4)
	v_add_f64 v[45:46], v[45:46], -v[51:52]
	v_add_f64 v[53:54], v[49:50], -v[39:40]
	s_delay_alu instid0(VALU_DEP_4) | instskip(NEXT) | instid1(VALU_DEP_4)
	v_add_f64 v[33:34], v[33:34], -v[43:44]
	v_fma_f64 v[37:38], v[41:42], v[37:38], s[76:77]
	s_delay_alu instid0(VALU_DEP_3) | instskip(SKIP_1) | instid1(VALU_DEP_4)
	v_add_f64 v[55:56], v[49:50], -v[53:54]
	v_add_f64 v[43:44], v[47:48], -v[53:54]
	v_add_f64 v[47:48], v[45:46], v[33:34]
	s_delay_alu instid0(VALU_DEP_4) | instskip(NEXT) | instid1(VALU_DEP_4)
	v_fma_f64 v[37:38], v[41:42], v[37:38], s[78:79]
	v_add_f64 v[39:40], v[39:40], -v[55:56]
	s_delay_alu instid0(VALU_DEP_2) | instskip(NEXT) | instid1(VALU_DEP_2)
	v_fma_f64 v[37:38], v[41:42], v[37:38], s[80:81]
	v_add_f64 v[39:40], v[43:44], v[39:40]
	v_add_f64 v[43:44], v[47:48], -v[45:46]
	s_delay_alu instid0(VALU_DEP_3) | instskip(NEXT) | instid1(VALU_DEP_3)
	v_fma_f64 v[37:38], v[41:42], v[37:38], s[82:83]
	v_add_f64 v[39:40], v[47:48], v[39:40]
	s_delay_alu instid0(VALU_DEP_3) | instskip(SKIP_1) | instid1(VALU_DEP_4)
	v_add_f64 v[47:48], v[47:48], -v[43:44]
	v_add_f64 v[33:34], v[33:34], -v[43:44]
	v_fma_f64 v[37:38], v[41:42], v[37:38], s[84:85]
	s_delay_alu instid0(VALU_DEP_4) | instskip(NEXT) | instid1(VALU_DEP_4)
	v_add_f64 v[51:52], v[49:50], v[39:40]
	v_add_f64 v[43:44], v[45:46], -v[47:48]
	s_delay_alu instid0(VALU_DEP_3) | instskip(NEXT) | instid1(VALU_DEP_3)
	v_fma_f64 v[37:38], v[41:42], v[37:38], s[86:87]
	v_add_f64 v[45:46], v[51:52], -v[49:50]
	s_delay_alu instid0(VALU_DEP_3) | instskip(NEXT) | instid1(VALU_DEP_3)
	v_add_f64 v[33:34], v[33:34], v[43:44]
	v_mul_f64 v[37:38], v[41:42], v[37:38]
	s_delay_alu instid0(VALU_DEP_3) | instskip(NEXT) | instid1(VALU_DEP_2)
	v_add_f64 v[39:40], v[39:40], -v[45:46]
	v_fma_f64 v[35:36], v[35:36], v[37:38], v[35:36]
	s_delay_alu instid0(VALU_DEP_2) | instskip(NEXT) | instid1(VALU_DEP_2)
	v_add_f64 v[33:34], v[33:34], v[39:40]
	v_add_f64 v[37:38], -v[35:36], s[88:89]
	s_delay_alu instid0(VALU_DEP_2) | instskip(NEXT) | instid1(VALU_DEP_2)
	v_add_f64 v[30:31], v[51:52], v[33:34]
	v_cndmask_b32_e64 v33, v36, v38, s6
	s_delay_alu instid0(VALU_DEP_3) | instskip(SKIP_1) | instid1(VALU_DEP_2)
	v_cndmask_b32_e64 v32, v35, v37, s6
	v_cmp_eq_f64_e64 s6, 0, v[15:16]
	v_add_f64 v[34:35], -v[32:33], s[16:17]
	v_dual_cndmask_b32 v31, v31, v57 :: v_dual_cndmask_b32 v30, v30, v27
	v_and_b32_e32 v27, 0x54442d18, v18
	v_cmp_gt_i32_e32 vcc_lo, 0, v14
	s_delay_alu instid0(VALU_DEP_3) | instskip(SKIP_3) | instid1(VALU_DEP_2)
	v_add_f64 v[30:31], v[30:31], 1.0
	v_cndmask_b32_e32 v36, 0x54442d18, v59, vcc_lo
	v_cndmask_b32_e32 v32, v32, v34, vcc_lo
	;; [unrolled: 1-line block ×3, first 2 shown]
	v_cndmask_b32_e64 v32, v32, v27, s6
	v_and_b32_e32 v14, 0x400921fb, v18
	v_cndmask_b32_e32 v18, v33, v35, vcc_lo
	v_cmp_ngt_f64_e32 vcc_lo, 0, v[28:29]
	v_bfi_b32 v13, 0x7fffffff, v13, v16
	s_delay_alu instid0(VALU_DEP_3) | instskip(SKIP_3) | instid1(VALU_DEP_1)
	v_cndmask_b32_e64 v14, v18, v14, s6
	v_cmp_nge_f64_e64 s6, 0, v[28:29]
	v_cndmask_b32_e64 v18, v30, 0, s10
	v_cndmask_b32_e64 v31, v31, 0x7ff00000, s10
	v_cndmask_b32_e32 v31, 0x7ff80000, v31, vcc_lo
	s_and_b32 vcc_lo, s7, s8
	v_cndmask_b32_e32 v30, v14, v13, vcc_lo
	v_cndmask_b32_e64 v27, 0, v18, s6
	v_cmp_neq_f64_e64 s6, 0, v[28:29]
	v_cndmask_b32_e32 v29, v32, v36, vcc_lo
	s_delay_alu instid0(VALU_DEP_2)
	v_cndmask_b32_e64 v28, 0xfff00000, v31, s6
.LBB186_39:                             ;   in Loop: Header=BB186_4 Depth=1
	s_or_b32 exec_lo, exec_lo, s9
.LBB186_40:                             ;   in Loop: Header=BB186_4 Depth=1
	s_and_not1_saveexec_b32 s6, s91
	s_cbranch_execz .LBB186_46
; %bb.41:                               ;   in Loop: Header=BB186_4 Depth=1
	v_cmp_ngt_f64_e64 s7, 0x20000000, |v[13:14]|
	v_cmp_ngt_f64_e64 s8, 0x20000000, |v[15:16]|
                                        ; implicit-def: $vgpr31_vgpr32
	s_delay_alu instid0(VALU_DEP_1) | instskip(NEXT) | instid1(SALU_CYCLE_1)
	s_or_b32 s7, s8, s7
	s_and_saveexec_b32 s8, s7
	s_delay_alu instid0(SALU_CYCLE_1)
	s_xor_b32 s7, exec_lo, s8
; %bb.42:                               ;   in Loop: Header=BB186_4 Depth=1
	v_mul_f64 v[13:14], v[13:14], v[13:14]
	s_delay_alu instid0(VALU_DEP_1)
	v_fma_f64 v[31:32], v[15:16], v[15:16], v[13:14]
; %bb.43:                               ;   in Loop: Header=BB186_4 Depth=1
	s_and_not1_saveexec_b32 s7, s7
; %bb.44:                               ;   in Loop: Header=BB186_4 Depth=1
	v_mul_f64 v[13:14], v[13:14], 4.0
	v_mul_f64 v[27:28], v[15:16], 4.0
	s_delay_alu instid0(VALU_DEP_2) | instskip(NEXT) | instid1(VALU_DEP_1)
	v_mul_f64 v[13:14], v[13:14], v[13:14]
	v_fma_f64 v[13:14], v[27:28], v[27:28], v[13:14]
	s_delay_alu instid0(VALU_DEP_1)
	v_ldexp_f64 v[31:32], v[13:14], -4
; %bb.45:                               ;   in Loop: Header=BB186_4 Depth=1
	s_or_b32 exec_lo, exec_lo, s7
	s_delay_alu instid0(VALU_DEP_1) | instskip(SKIP_2) | instid1(VALU_DEP_2)
	v_frexp_mant_f64_e32 v[13:14], v[31:32]
	s_mov_b32 s101, s27
	v_frexp_exp_i32_f64_e32 v15, v[31:32]
	v_cmp_gt_f64_e32 vcc_lo, s[26:27], v[13:14]
	v_cndmask_b32_e64 v18, 0x3ff00000, 2.0, vcc_lo
	s_delay_alu instid0(VALU_DEP_3) | instskip(SKIP_1) | instid1(VALU_DEP_3)
	v_subrev_co_ci_u32_e32 v15, vcc_lo, 0, v15, vcc_lo
	v_cmp_class_f64_e64 vcc_lo, v[31:32], 0x204
	v_mul_f64 v[13:14], v[13:14], v[17:18]
	s_delay_alu instid0(VALU_DEP_1) | instskip(SKIP_1) | instid1(VALU_DEP_2)
	v_add_f64 v[27:28], v[13:14], 1.0
	v_add_f64 v[35:36], v[13:14], -1.0
	v_rcp_f64_e32 v[29:30], v[27:28]
	v_add_f64 v[37:38], v[27:28], -1.0
	s_delay_alu instid0(VALU_DEP_1) | instskip(SKIP_2) | instid1(VALU_DEP_1)
	v_add_f64 v[13:14], v[13:14], -v[37:38]
	s_waitcnt_depctr 0xfff
	v_fma_f64 v[33:34], -v[27:28], v[29:30], 1.0
	v_fma_f64 v[29:30], v[33:34], v[29:30], v[29:30]
	s_delay_alu instid0(VALU_DEP_1) | instskip(NEXT) | instid1(VALU_DEP_1)
	v_fma_f64 v[33:34], -v[27:28], v[29:30], 1.0
	v_fma_f64 v[29:30], v[33:34], v[29:30], v[29:30]
	s_delay_alu instid0(VALU_DEP_1) | instskip(NEXT) | instid1(VALU_DEP_1)
	v_mul_f64 v[33:34], v[35:36], v[29:30]
	v_mul_f64 v[39:40], v[27:28], v[33:34]
	s_delay_alu instid0(VALU_DEP_1) | instskip(NEXT) | instid1(VALU_DEP_1)
	v_fma_f64 v[27:28], v[33:34], v[27:28], -v[39:40]
	v_fma_f64 v[13:14], v[33:34], v[13:14], v[27:28]
	s_delay_alu instid0(VALU_DEP_1) | instskip(NEXT) | instid1(VALU_DEP_1)
	v_add_f64 v[27:28], v[39:40], v[13:14]
	v_add_f64 v[37:38], v[35:36], -v[27:28]
	v_add_f64 v[39:40], v[27:28], -v[39:40]
	s_delay_alu instid0(VALU_DEP_2) | instskip(NEXT) | instid1(VALU_DEP_2)
	v_add_f64 v[35:36], v[35:36], -v[37:38]
	v_add_f64 v[13:14], v[39:40], -v[13:14]
	s_delay_alu instid0(VALU_DEP_2) | instskip(NEXT) | instid1(VALU_DEP_1)
	v_add_f64 v[27:28], v[35:36], -v[27:28]
	v_add_f64 v[13:14], v[13:14], v[27:28]
	s_delay_alu instid0(VALU_DEP_1) | instskip(NEXT) | instid1(VALU_DEP_1)
	v_add_f64 v[13:14], v[37:38], v[13:14]
	v_mul_f64 v[13:14], v[29:30], v[13:14]
	s_delay_alu instid0(VALU_DEP_1) | instskip(NEXT) | instid1(VALU_DEP_1)
	v_add_f64 v[27:28], v[33:34], v[13:14]
	v_mul_f64 v[29:30], v[27:28], v[27:28]
	s_delay_alu instid0(VALU_DEP_1) | instskip(SKIP_1) | instid1(VALU_DEP_2)
	v_fma_f64 v[35:36], v[29:30], s[30:31], s[28:29]
	v_mul_f64 v[37:38], v[27:28], v[29:30]
	v_fma_f64 v[35:36], v[29:30], v[35:36], s[36:37]
	s_delay_alu instid0(VALU_DEP_1) | instskip(NEXT) | instid1(VALU_DEP_1)
	v_fma_f64 v[35:36], v[29:30], v[35:36], s[38:39]
	v_fma_f64 v[35:36], v[29:30], v[35:36], s[40:41]
	s_delay_alu instid0(VALU_DEP_1) | instskip(NEXT) | instid1(VALU_DEP_1)
	v_fma_f64 v[35:36], v[29:30], v[35:36], s[42:43]
	v_fma_f64 v[29:30], v[29:30], v[35:36], s[100:101]
	v_ldexp_f64 v[35:36], v[27:28], 1
	v_add_f64 v[27:28], v[27:28], -v[33:34]
	s_delay_alu instid0(VALU_DEP_3) | instskip(SKIP_1) | instid1(VALU_DEP_3)
	v_mul_f64 v[29:30], v[37:38], v[29:30]
	v_cvt_f64_i32_e32 v[37:38], v15
	v_add_f64 v[13:14], v[13:14], -v[27:28]
	s_delay_alu instid0(VALU_DEP_3) | instskip(NEXT) | instid1(VALU_DEP_3)
	v_add_f64 v[33:34], v[35:36], v[29:30]
	v_mul_f64 v[39:40], v[37:38], s[44:45]
	s_delay_alu instid0(VALU_DEP_3) | instskip(NEXT) | instid1(VALU_DEP_3)
	v_ldexp_f64 v[13:14], v[13:14], 1
	v_add_f64 v[27:28], v[33:34], -v[35:36]
	s_delay_alu instid0(VALU_DEP_3) | instskip(NEXT) | instid1(VALU_DEP_2)
	v_fma_f64 v[35:36], v[37:38], s[44:45], -v[39:40]
	v_add_f64 v[27:28], v[29:30], -v[27:28]
	s_delay_alu instid0(VALU_DEP_2) | instskip(NEXT) | instid1(VALU_DEP_2)
	v_fma_f64 v[29:30], v[37:38], s[46:47], v[35:36]
	v_add_f64 v[13:14], v[13:14], v[27:28]
	s_delay_alu instid0(VALU_DEP_2) | instskip(NEXT) | instid1(VALU_DEP_2)
	v_add_f64 v[27:28], v[39:40], v[29:30]
	v_add_f64 v[35:36], v[33:34], v[13:14]
	s_delay_alu instid0(VALU_DEP_2) | instskip(NEXT) | instid1(VALU_DEP_2)
	v_add_f64 v[39:40], v[27:28], -v[39:40]
	v_add_f64 v[37:38], v[27:28], v[35:36]
	v_add_f64 v[33:34], v[35:36], -v[33:34]
	s_delay_alu instid0(VALU_DEP_3) | instskip(NEXT) | instid1(VALU_DEP_3)
	v_add_f64 v[29:30], v[29:30], -v[39:40]
	v_add_f64 v[41:42], v[37:38], -v[27:28]
	s_delay_alu instid0(VALU_DEP_3) | instskip(NEXT) | instid1(VALU_DEP_2)
	v_add_f64 v[13:14], v[13:14], -v[33:34]
	v_add_f64 v[43:44], v[37:38], -v[41:42]
	;; [unrolled: 1-line block ×3, first 2 shown]
	s_delay_alu instid0(VALU_DEP_3) | instskip(NEXT) | instid1(VALU_DEP_3)
	v_add_f64 v[35:36], v[29:30], v[13:14]
	v_add_f64 v[27:28], v[27:28], -v[43:44]
	s_delay_alu instid0(VALU_DEP_1) | instskip(NEXT) | instid1(VALU_DEP_3)
	v_add_f64 v[27:28], v[33:34], v[27:28]
	v_add_f64 v[33:34], v[35:36], -v[29:30]
	s_delay_alu instid0(VALU_DEP_2) | instskip(NEXT) | instid1(VALU_DEP_2)
	v_add_f64 v[27:28], v[35:36], v[27:28]
	v_add_f64 v[35:36], v[35:36], -v[33:34]
	v_add_f64 v[13:14], v[13:14], -v[33:34]
	s_delay_alu instid0(VALU_DEP_3) | instskip(NEXT) | instid1(VALU_DEP_3)
	v_add_f64 v[39:40], v[37:38], v[27:28]
	v_add_f64 v[29:30], v[29:30], -v[35:36]
	s_delay_alu instid0(VALU_DEP_2) | instskip(NEXT) | instid1(VALU_DEP_2)
	v_add_f64 v[33:34], v[39:40], -v[37:38]
	v_add_f64 v[13:14], v[13:14], v[29:30]
	v_mov_b32_e32 v29, 0
	v_mov_b32_e32 v30, 0x7ff80000
	s_delay_alu instid0(VALU_DEP_4) | instskip(NEXT) | instid1(VALU_DEP_1)
	v_add_f64 v[27:28], v[27:28], -v[33:34]
	v_add_f64 v[13:14], v[13:14], v[27:28]
	s_delay_alu instid0(VALU_DEP_1) | instskip(NEXT) | instid1(VALU_DEP_1)
	v_add_f64 v[13:14], v[39:40], v[13:14]
	v_dual_cndmask_b32 v13, v13, v31 :: v_dual_cndmask_b32 v14, v14, v32
	v_cmp_ngt_f64_e32 vcc_lo, 0, v[31:32]
	s_delay_alu instid0(VALU_DEP_2) | instskip(SKIP_1) | instid1(VALU_DEP_4)
	v_cndmask_b32_e32 v14, 0x7ff80000, v14, vcc_lo
	v_cmp_nge_f64_e32 vcc_lo, 0, v[31:32]
	v_cndmask_b32_e32 v27, 0, v13, vcc_lo
	v_cmp_neq_f64_e32 vcc_lo, 0, v[31:32]
	s_delay_alu instid0(VALU_DEP_4)
	v_cndmask_b32_e32 v28, 0xfff00000, v14, vcc_lo
.LBB186_46:                             ;   in Loop: Header=BB186_4 Depth=1
	s_or_b32 exec_lo, exec_lo, s6
                                        ; implicit-def: $vgpr13_vgpr14
                                        ; implicit-def: $vgpr31_vgpr32
	s_delay_alu instid0(SALU_CYCLE_1)
	s_mov_b32 s6, exec_lo
	v_cmpx_o_f64_e32 v[5:6], v[7:8]
	s_xor_b32 s91, exec_lo, s6
	s_cbranch_execz .LBB186_74
; %bb.47:                               ;   in Loop: Header=BB186_4 Depth=1
	v_cmp_lt_f64_e64 s6, |v[5:6]|, |v[7:8]|
	v_and_b32_e32 v15, 0x7fffffff, v6
	v_dual_mov_b32 v33, v7 :: v_dual_and_b32 v18, 0x7fffffff, v8
                                        ; implicit-def: $vgpr13_vgpr14
                                        ; implicit-def: $vgpr31_vgpr32
	s_mov_b32 s7, exec_lo
	s_delay_alu instid0(VALU_DEP_1) | instskip(NEXT) | instid1(VALU_DEP_2)
	v_cndmask_b32_e64 v36, v18, v15, s6
	v_cndmask_b32_e64 v35, v33, v5, s6
	s_delay_alu instid0(VALU_DEP_1)
	v_cmpx_nlt_f64_e32 s[20:21], v[35:36]
	s_xor_b32 s22, exec_lo, s7
	s_cbranch_execz .LBB186_71
; %bb.48:                               ;   in Loop: Header=BB186_4 Depth=1
	v_cndmask_b32_e64 v38, v15, v18, s6
	v_cndmask_b32_e64 v37, v5, v33, s6
                                        ; implicit-def: $vgpr13_vgpr14
                                        ; implicit-def: $vgpr31_vgpr32
	s_mov_b32 s7, exec_lo
	s_delay_alu instid0(VALU_DEP_1)
	v_cmpx_neq_f64_e32 1.0, v[37:38]
	s_xor_b32 s23, exec_lo, s7
	s_cbranch_execz .LBB186_64
; %bb.49:                               ;   in Loop: Header=BB186_4 Depth=1
	v_max_f64 v[13:14], v[35:36], v[35:36]
	v_max_f64 v[31:32], v[37:38], v[37:38]
	s_mov_b32 s8, 0xc57e649a
	s_mov_b32 s9, 0x4a511b0e
	s_delay_alu instid0(VALU_DEP_1) | instskip(SKIP_1) | instid1(VALU_DEP_2)
	v_min_f64 v[33:34], v[31:32], v[13:14]
	v_max_f64 v[13:14], v[31:32], v[13:14]
                                        ; implicit-def: $vgpr31_vgpr32
	v_cmp_ngt_f64_e32 vcc_lo, s[14:15], v[33:34]
	s_delay_alu instid0(VALU_DEP_2) | instskip(NEXT) | instid1(VALU_DEP_1)
	v_cmp_nlt_f64_e64 s7, s[8:9], v[13:14]
                                        ; implicit-def: $vgpr13_vgpr14
	s_and_b32 s7, s7, vcc_lo
	s_delay_alu instid0(SALU_CYCLE_1) | instskip(NEXT) | instid1(SALU_CYCLE_1)
	s_and_saveexec_b32 s8, s7
	s_xor_b32 s24, exec_lo, s8
	s_cbranch_execz .LBB186_61
; %bb.50:                               ;   in Loop: Header=BB186_4 Depth=1
                                        ; implicit-def: $vgpr13_vgpr14
                                        ; implicit-def: $vgpr31_vgpr32
	s_mov_b32 s7, exec_lo
	v_cmpx_le_f64_e32 1.0, v[37:38]
	s_xor_b32 s8, exec_lo, s7
	s_cbranch_execz .LBB186_52
; %bb.51:                               ;   in Loop: Header=BB186_4 Depth=1
	v_add_f64 v[13:14], v[37:38], -1.0
	v_add_f64 v[31:32], v[37:38], 1.0
	s_mov_b32 s101, s27
	s_mov_b32 s16, s88
	v_cmp_gt_i32_e64 s7, 0, v6
	v_cmp_class_f64_e64 s10, v[5:6], 0x204
	v_cmp_class_f64_e64 s9, v[7:8], 0x204
	s_delay_alu instid0(VALU_DEP_4) | instskip(NEXT) | instid1(VALU_DEP_1)
	v_mul_f64 v[13:14], v[13:14], v[31:32]
	v_fma_f64 v[14:15], v[35:36], v[35:36], v[13:14]
	s_delay_alu instid0(VALU_DEP_1) | instskip(NEXT) | instid1(VALU_DEP_1)
	v_add_f64 v[31:32], v[14:15], 1.0
	v_frexp_mant_f64_e32 v[33:34], v[31:32]
	v_frexp_exp_i32_f64_e32 v13, v[31:32]
	v_add_f64 v[35:36], v[31:32], -1.0
	s_delay_alu instid0(VALU_DEP_3) | instskip(NEXT) | instid1(VALU_DEP_2)
	v_cmp_gt_f64_e32 vcc_lo, s[26:27], v[33:34]
	v_add_f64 v[33:34], v[35:36], -v[31:32]
	v_add_f64 v[35:36], v[14:15], -v[35:36]
	v_subrev_co_ci_u32_e32 v13, vcc_lo, 0, v13, vcc_lo
	s_delay_alu instid0(VALU_DEP_3) | instskip(NEXT) | instid1(VALU_DEP_2)
	v_add_f64 v[33:34], v[33:34], 1.0
	v_sub_nc_u32_e32 v18, 0, v13
	s_delay_alu instid0(VALU_DEP_1) | instskip(NEXT) | instid1(VALU_DEP_3)
	v_ldexp_f64 v[31:32], v[31:32], v18
	v_add_f64 v[33:34], v[35:36], v[33:34]
	s_delay_alu instid0(VALU_DEP_2) | instskip(SKIP_1) | instid1(VALU_DEP_3)
	v_add_f64 v[37:38], v[31:32], 1.0
	v_add_f64 v[43:44], v[31:32], -1.0
	v_ldexp_f64 v[33:34], v[33:34], v18
	v_cndmask_b32_e64 v18, 0x54442d18, v59, s7
	s_delay_alu instid0(VALU_DEP_4) | instskip(NEXT) | instid1(VALU_DEP_4)
	v_add_f64 v[35:36], v[37:38], -1.0
	v_add_f64 v[45:46], v[43:44], 1.0
	s_delay_alu instid0(VALU_DEP_2) | instskip(NEXT) | instid1(VALU_DEP_2)
	v_add_f64 v[35:36], v[31:32], -v[35:36]
	v_add_f64 v[31:32], v[31:32], -v[45:46]
	s_delay_alu instid0(VALU_DEP_2) | instskip(NEXT) | instid1(VALU_DEP_2)
	v_add_f64 v[35:36], v[33:34], v[35:36]
	v_add_f64 v[31:32], v[33:34], v[31:32]
	s_delay_alu instid0(VALU_DEP_2) | instskip(NEXT) | instid1(VALU_DEP_2)
	v_add_f64 v[39:40], v[37:38], v[35:36]
	v_add_f64 v[45:46], v[43:44], v[31:32]
	s_delay_alu instid0(VALU_DEP_2) | instskip(SKIP_1) | instid1(VALU_DEP_2)
	v_rcp_f64_e32 v[41:42], v[39:40]
	v_add_f64 v[37:38], v[39:40], -v[37:38]
	v_add_f64 v[43:44], v[45:46], -v[43:44]
	s_delay_alu instid0(VALU_DEP_2) | instskip(SKIP_3) | instid1(VALU_DEP_2)
	v_add_f64 v[35:36], v[35:36], -v[37:38]
	s_waitcnt_depctr 0xfff
	v_fma_f64 v[47:48], -v[39:40], v[41:42], 1.0
	v_add_f64 v[31:32], v[31:32], -v[43:44]
	v_fma_f64 v[41:42], v[47:48], v[41:42], v[41:42]
	s_delay_alu instid0(VALU_DEP_1) | instskip(NEXT) | instid1(VALU_DEP_1)
	v_fma_f64 v[33:34], -v[39:40], v[41:42], 1.0
	v_fma_f64 v[33:34], v[33:34], v[41:42], v[41:42]
	s_delay_alu instid0(VALU_DEP_1) | instskip(NEXT) | instid1(VALU_DEP_1)
	v_mul_f64 v[41:42], v[45:46], v[33:34]
	v_mul_f64 v[47:48], v[39:40], v[41:42]
	s_delay_alu instid0(VALU_DEP_1) | instskip(NEXT) | instid1(VALU_DEP_1)
	v_fma_f64 v[37:38], v[41:42], v[39:40], -v[47:48]
	v_fma_f64 v[37:38], v[41:42], v[35:36], v[37:38]
	s_delay_alu instid0(VALU_DEP_1) | instskip(NEXT) | instid1(VALU_DEP_1)
	v_add_f64 v[49:50], v[47:48], v[37:38]
	v_add_f64 v[51:52], v[45:46], -v[49:50]
	v_add_f64 v[43:44], v[49:50], -v[47:48]
	v_max_f64 v[47:48], |v[7:8]|, |v[7:8]|
	s_delay_alu instid0(VALU_DEP_3) | instskip(NEXT) | instid1(VALU_DEP_3)
	v_add_f64 v[45:46], v[45:46], -v[51:52]
	v_add_f64 v[37:38], v[43:44], -v[37:38]
	s_delay_alu instid0(VALU_DEP_2) | instskip(SKIP_2) | instid1(VALU_DEP_1)
	v_add_f64 v[45:46], v[45:46], -v[49:50]
	v_max_f64 v[49:50], |v[5:6]|, |v[5:6]|
	v_cndmask_b32_e64 v5, 0x3fe921fb, v60, s7
	v_bfi_b32 v5, 0x7fffffff, v5, v8
	s_delay_alu instid0(VALU_DEP_4) | instskip(NEXT) | instid1(VALU_DEP_4)
	v_add_f64 v[31:32], v[31:32], v[45:46]
	v_max_f64 v[53:54], v[49:50], v[47:48]
	v_min_f64 v[47:48], v[49:50], v[47:48]
	s_delay_alu instid0(VALU_DEP_3) | instskip(NEXT) | instid1(VALU_DEP_1)
	v_add_f64 v[31:32], v[37:38], v[31:32]
	v_add_f64 v[37:38], v[51:52], v[31:32]
	s_delay_alu instid0(VALU_DEP_1) | instskip(SKIP_1) | instid1(VALU_DEP_2)
	v_mul_f64 v[43:44], v[33:34], v[37:38]
	v_add_f64 v[51:52], v[51:52], -v[37:38]
	v_mul_f64 v[45:46], v[39:40], v[43:44]
	s_delay_alu instid0(VALU_DEP_2) | instskip(NEXT) | instid1(VALU_DEP_2)
	v_add_f64 v[31:32], v[31:32], v[51:52]
	v_fma_f64 v[39:40], v[43:44], v[39:40], -v[45:46]
	s_delay_alu instid0(VALU_DEP_1) | instskip(SKIP_1) | instid1(VALU_DEP_2)
	v_fma_f64 v[35:36], v[43:44], v[35:36], v[39:40]
	v_div_scale_f64 v[39:40], null, v[53:54], v[53:54], v[47:48]
	v_add_f64 v[49:50], v[45:46], v[35:36]
	s_delay_alu instid0(VALU_DEP_2) | instskip(NEXT) | instid1(VALU_DEP_1)
	v_rcp_f64_e32 v[55:56], v[39:40]
	v_add_f64 v[57:58], v[37:38], -v[49:50]
	v_add_f64 v[45:46], v[49:50], -v[45:46]
	s_waitcnt_depctr 0xfff
	v_fma_f64 v[61:62], -v[39:40], v[55:56], 1.0
	v_add_f64 v[37:38], v[37:38], -v[57:58]
	v_add_f64 v[35:36], v[45:46], -v[35:36]
	s_delay_alu instid0(VALU_DEP_3) | instskip(NEXT) | instid1(VALU_DEP_3)
	v_fma_f64 v[55:56], v[55:56], v[61:62], v[55:56]
	v_add_f64 v[37:38], v[37:38], -v[49:50]
	s_delay_alu instid0(VALU_DEP_2) | instskip(NEXT) | instid1(VALU_DEP_2)
	v_fma_f64 v[49:50], -v[39:40], v[55:56], 1.0
	v_add_f64 v[31:32], v[31:32], v[37:38]
	v_div_scale_f64 v[37:38], vcc_lo, v[47:48], v[53:54], v[47:48]
	s_delay_alu instid0(VALU_DEP_3) | instskip(SKIP_1) | instid1(VALU_DEP_4)
	v_fma_f64 v[45:46], v[55:56], v[49:50], v[55:56]
	v_add_f64 v[49:50], v[41:42], v[43:44]
	v_add_f64 v[31:32], v[35:36], v[31:32]
	s_delay_alu instid0(VALU_DEP_3) | instskip(NEXT) | instid1(VALU_DEP_3)
	v_mul_f64 v[35:36], v[37:38], v[45:46]
	v_add_f64 v[41:42], v[49:50], -v[41:42]
	s_delay_alu instid0(VALU_DEP_3) | instskip(NEXT) | instid1(VALU_DEP_3)
	v_add_f64 v[31:32], v[57:58], v[31:32]
	v_fma_f64 v[37:38], -v[39:40], v[35:36], v[37:38]
	s_delay_alu instid0(VALU_DEP_3) | instskip(NEXT) | instid1(VALU_DEP_3)
	v_add_f64 v[39:40], v[43:44], -v[41:42]
	v_mul_f64 v[31:32], v[33:34], v[31:32]
	s_delay_alu instid0(VALU_DEP_3) | instskip(SKIP_1) | instid1(VALU_DEP_3)
	v_div_fmas_f64 v[33:34], v[37:38], v[45:46], v[35:36]
	v_cmp_eq_f64_e32 vcc_lo, 0x7ff00000, v[14:15]
	v_add_f64 v[31:32], v[39:40], v[31:32]
	s_delay_alu instid0(VALU_DEP_3) | instskip(NEXT) | instid1(VALU_DEP_2)
	v_div_fixup_f64 v[33:34], v[33:34], v[53:54], v[47:48]
	v_add_f64 v[35:36], v[49:50], v[31:32]
	s_delay_alu instid0(VALU_DEP_2) | instskip(NEXT) | instid1(VALU_DEP_2)
	v_mul_f64 v[37:38], v[33:34], v[33:34]
	v_mul_f64 v[39:40], v[35:36], v[35:36]
	s_delay_alu instid0(VALU_DEP_2) | instskip(NEXT) | instid1(VALU_DEP_2)
	v_fma_f64 v[41:42], v[37:38], s[50:51], s[48:49]
	v_fma_f64 v[43:44], v[39:40], s[30:31], s[28:29]
	v_mul_f64 v[45:46], v[35:36], v[39:40]
	s_delay_alu instid0(VALU_DEP_3) | instskip(NEXT) | instid1(VALU_DEP_3)
	v_fma_f64 v[41:42], v[37:38], v[41:42], s[52:53]
	v_fma_f64 v[43:44], v[39:40], v[43:44], s[36:37]
	s_delay_alu instid0(VALU_DEP_2) | instskip(NEXT) | instid1(VALU_DEP_2)
	v_fma_f64 v[41:42], v[37:38], v[41:42], s[54:55]
	v_fma_f64 v[43:44], v[39:40], v[43:44], s[38:39]
	s_delay_alu instid0(VALU_DEP_2) | instskip(NEXT) | instid1(VALU_DEP_2)
	;; [unrolled: 3-line block ×4, first 2 shown]
	v_fma_f64 v[41:42], v[37:38], v[41:42], s[60:61]
	v_fma_f64 v[39:40], v[39:40], v[43:44], s[100:101]
	v_ldexp_f64 v[43:44], v[35:36], 1
	v_add_f64 v[35:36], v[35:36], -v[49:50]
	s_delay_alu instid0(VALU_DEP_4) | instskip(NEXT) | instid1(VALU_DEP_4)
	v_fma_f64 v[41:42], v[37:38], v[41:42], s[62:63]
	v_mul_f64 v[39:40], v[45:46], v[39:40]
	v_cvt_f64_i32_e32 v[45:46], v13
	s_delay_alu instid0(VALU_DEP_4) | instskip(NEXT) | instid1(VALU_DEP_4)
	v_add_f64 v[31:32], v[31:32], -v[35:36]
	v_fma_f64 v[41:42], v[37:38], v[41:42], s[64:65]
	v_ashrrev_i32_e32 v13, 31, v6
	s_delay_alu instid0(VALU_DEP_1) | instskip(SKIP_4) | instid1(VALU_DEP_4)
	v_and_b32_e32 v6, 0x400921fb, v13
	v_add_f64 v[47:48], v[43:44], v[39:40]
	v_mul_f64 v[49:50], v[45:46], s[44:45]
	v_ldexp_f64 v[31:32], v[31:32], 1
	v_fma_f64 v[41:42], v[37:38], v[41:42], s[66:67]
	v_add_f64 v[35:36], v[47:48], -v[43:44]
	s_delay_alu instid0(VALU_DEP_4) | instskip(NEXT) | instid1(VALU_DEP_3)
	v_fma_f64 v[43:44], v[45:46], s[44:45], -v[49:50]
	v_fma_f64 v[41:42], v[37:38], v[41:42], s[68:69]
	s_delay_alu instid0(VALU_DEP_3) | instskip(NEXT) | instid1(VALU_DEP_2)
	v_add_f64 v[35:36], v[39:40], -v[35:36]
	v_fma_f64 v[39:40], v[37:38], v[41:42], s[70:71]
	s_delay_alu instid0(VALU_DEP_4) | instskip(NEXT) | instid1(VALU_DEP_3)
	v_fma_f64 v[41:42], v[45:46], s[46:47], v[43:44]
	v_add_f64 v[31:32], v[31:32], v[35:36]
	s_delay_alu instid0(VALU_DEP_3) | instskip(NEXT) | instid1(VALU_DEP_3)
	v_fma_f64 v[35:36], v[37:38], v[39:40], s[72:73]
	v_add_f64 v[39:40], v[49:50], v[41:42]
	s_delay_alu instid0(VALU_DEP_3) | instskip(NEXT) | instid1(VALU_DEP_3)
	v_add_f64 v[43:44], v[47:48], v[31:32]
	v_fma_f64 v[35:36], v[37:38], v[35:36], s[74:75]
	s_delay_alu instid0(VALU_DEP_3) | instskip(NEXT) | instid1(VALU_DEP_3)
	v_add_f64 v[49:50], v[39:40], -v[49:50]
	v_add_f64 v[45:46], v[39:40], v[43:44]
	v_add_f64 v[47:48], v[43:44], -v[47:48]
	s_delay_alu instid0(VALU_DEP_4) | instskip(NEXT) | instid1(VALU_DEP_4)
	v_fma_f64 v[35:36], v[37:38], v[35:36], s[76:77]
	v_add_f64 v[41:42], v[41:42], -v[49:50]
	s_delay_alu instid0(VALU_DEP_4) | instskip(NEXT) | instid1(VALU_DEP_4)
	v_add_f64 v[51:52], v[45:46], -v[39:40]
	v_add_f64 v[31:32], v[31:32], -v[47:48]
	s_delay_alu instid0(VALU_DEP_4) | instskip(NEXT) | instid1(VALU_DEP_3)
	v_fma_f64 v[35:36], v[37:38], v[35:36], s[78:79]
	v_add_f64 v[53:54], v[45:46], -v[51:52]
	v_add_f64 v[43:44], v[43:44], -v[51:52]
	s_delay_alu instid0(VALU_DEP_4) | instskip(NEXT) | instid1(VALU_DEP_4)
	v_add_f64 v[47:48], v[41:42], v[31:32]
	v_fma_f64 v[35:36], v[37:38], v[35:36], s[80:81]
	s_delay_alu instid0(VALU_DEP_4) | instskip(NEXT) | instid1(VALU_DEP_2)
	v_add_f64 v[39:40], v[39:40], -v[53:54]
	v_fma_f64 v[35:36], v[37:38], v[35:36], s[82:83]
	s_delay_alu instid0(VALU_DEP_2) | instskip(SKIP_1) | instid1(VALU_DEP_3)
	v_add_f64 v[39:40], v[43:44], v[39:40]
	v_add_f64 v[43:44], v[47:48], -v[41:42]
	v_fma_f64 v[35:36], v[37:38], v[35:36], s[84:85]
	s_delay_alu instid0(VALU_DEP_3) | instskip(NEXT) | instid1(VALU_DEP_3)
	v_add_f64 v[39:40], v[47:48], v[39:40]
	v_add_f64 v[47:48], v[47:48], -v[43:44]
	v_add_f64 v[31:32], v[31:32], -v[43:44]
	s_delay_alu instid0(VALU_DEP_4) | instskip(NEXT) | instid1(VALU_DEP_4)
	v_fma_f64 v[35:36], v[37:38], v[35:36], s[86:87]
	v_add_f64 v[49:50], v[45:46], v[39:40]
	s_delay_alu instid0(VALU_DEP_2) | instskip(SKIP_1) | instid1(VALU_DEP_3)
	v_mul_f64 v[35:36], v[37:38], v[35:36]
	v_add_f64 v[37:38], v[41:42], -v[47:48]
	v_add_f64 v[41:42], v[49:50], -v[45:46]
	s_delay_alu instid0(VALU_DEP_3) | instskip(NEXT) | instid1(VALU_DEP_3)
	v_fma_f64 v[33:34], v[33:34], v[35:36], v[33:34]
	v_add_f64 v[31:32], v[31:32], v[37:38]
	s_delay_alu instid0(VALU_DEP_3) | instskip(NEXT) | instid1(VALU_DEP_3)
	v_add_f64 v[35:36], v[39:40], -v[41:42]
	v_add_f64 v[37:38], -v[33:34], s[88:89]
	s_delay_alu instid0(VALU_DEP_2) | instskip(NEXT) | instid1(VALU_DEP_2)
	v_add_f64 v[31:32], v[31:32], v[35:36]
	v_cndmask_b32_e64 v34, v34, v38, s6
	s_delay_alu instid0(VALU_DEP_3) | instskip(NEXT) | instid1(VALU_DEP_1)
	v_cndmask_b32_e64 v33, v33, v37, s6
	v_add_f64 v[35:36], -v[33:34], s[16:17]
	s_delay_alu instid0(VALU_DEP_4) | instskip(SKIP_1) | instid1(VALU_DEP_3)
	v_add_f64 v[31:32], v[49:50], v[31:32]
	v_and_b32_e32 v37, 0x54442d18, v13
	v_cndmask_b32_e64 v33, v33, v35, s7
	s_delay_alu instid0(VALU_DEP_4) | instskip(SKIP_3) | instid1(VALU_DEP_2)
	v_cndmask_b32_e64 v13, v34, v36, s7
	v_cmp_nge_f64_e64 s7, -1.0, v[14:15]
                                        ; implicit-def: $vgpr35_vgpr36
	v_dual_cndmask_b32 v32, v32, v15 :: v_dual_cndmask_b32 v31, v31, v14
	v_cmp_eq_f64_e32 vcc_lo, 0, v[7:8]
	v_mul_f64 v[31:32], v[31:32], 0.5
	v_cndmask_b32_e32 v33, v33, v37, vcc_lo
	v_cndmask_b32_e32 v6, v13, v6, vcc_lo
	v_cmp_ngt_f64_e32 vcc_lo, -1.0, v[14:15]
                                        ; implicit-def: $vgpr37_vgpr38
	s_delay_alu instid0(VALU_DEP_4) | instskip(SKIP_4) | instid1(VALU_DEP_2)
	v_cndmask_b32_e64 v13, 0, v31, s7
	v_cmp_neq_f64_e64 s7, -1.0, v[14:15]
	v_cndmask_b32_e32 v34, 0x7ff80000, v32, vcc_lo
	s_and_b32 vcc_lo, s9, s10
	v_dual_cndmask_b32 v32, v6, v5 :: v_dual_cndmask_b32 v31, v33, v18
	v_cndmask_b32_e64 v14, 0xfff00000, v34, s7
.LBB186_52:                             ;   in Loop: Header=BB186_4 Depth=1
	s_and_not1_saveexec_b32 s25, s8
	s_cbranch_execz .LBB186_60
; %bb.53:                               ;   in Loop: Header=BB186_4 Depth=1
	v_mul_f64 v[13:14], v[35:36], v[35:36]
	s_mov_b32 s8, 0x66666666
	s_mov_b32 s9, 0x3fe66666
                                        ; implicit-def: $vgpr31_vgpr32
	s_mov_b32 s7, exec_lo
	s_delay_alu instid0(VALU_DEP_1) | instskip(NEXT) | instid1(VALU_DEP_1)
	v_fma_f64 v[33:34], v[37:38], v[37:38], v[13:14]
                                        ; implicit-def: $vgpr13_vgpr14
	v_cmpx_ge_f64_e32 s[8:9], v[33:34]
	s_xor_b32 s9, exec_lo, s7
	s_cbranch_execz .LBB186_55
; %bb.54:                               ;   in Loop: Header=BB186_4 Depth=1
	v_frexp_mant_f64_e32 v[13:14], v[33:34]
	v_max_f64 v[41:42], |v[5:6]|, |v[5:6]|
	s_mov_b32 s101, s27
	v_frexp_exp_i32_f64_e32 v15, v[33:34]
	s_mov_b32 s16, s88
	v_cmp_class_f64_e64 s10, v[7:8], 0x204
	v_cmp_class_f64_e64 s11, v[5:6], 0x204
	v_cmp_neq_f64_e64 s8, 0, v[33:34]
	v_cmp_gt_f64_e64 s7, s[26:27], v[13:14]
	s_delay_alu instid0(VALU_DEP_1) | instskip(NEXT) | instid1(VALU_DEP_1)
	v_cndmask_b32_e64 v18, 0x3ff00000, 2.0, s7
	v_mul_f64 v[13:14], v[13:14], v[17:18]
	s_delay_alu instid0(VALU_DEP_1) | instskip(SKIP_1) | instid1(VALU_DEP_2)
	v_add_f64 v[31:32], v[13:14], 1.0
	v_add_f64 v[39:40], v[13:14], -1.0
	v_rcp_f64_e32 v[35:36], v[31:32]
	s_waitcnt_depctr 0xfff
	v_fma_f64 v[37:38], -v[31:32], v[35:36], 1.0
	s_delay_alu instid0(VALU_DEP_1) | instskip(NEXT) | instid1(VALU_DEP_1)
	v_fma_f64 v[35:36], v[37:38], v[35:36], v[35:36]
	v_fma_f64 v[37:38], -v[31:32], v[35:36], 1.0
	s_delay_alu instid0(VALU_DEP_1) | instskip(SKIP_1) | instid1(VALU_DEP_2)
	v_fma_f64 v[35:36], v[37:38], v[35:36], v[35:36]
	v_max_f64 v[37:38], |v[7:8]|, |v[7:8]|
	v_mul_f64 v[43:44], v[39:40], v[35:36]
	s_delay_alu instid0(VALU_DEP_2) | instskip(SKIP_2) | instid1(VALU_DEP_4)
	v_max_f64 v[45:46], v[41:42], v[37:38]
	v_min_f64 v[37:38], v[41:42], v[37:38]
	v_add_f64 v[41:42], v[31:32], -1.0
	v_mul_f64 v[47:48], v[31:32], v[43:44]
	s_delay_alu instid0(VALU_DEP_3) | instskip(NEXT) | instid1(VALU_DEP_3)
	v_div_scale_f64 v[49:50], null, v[45:46], v[45:46], v[37:38]
	v_add_f64 v[13:14], v[13:14], -v[41:42]
	v_div_scale_f64 v[55:56], vcc_lo, v[37:38], v[45:46], v[37:38]
	s_delay_alu instid0(VALU_DEP_4) | instskip(NEXT) | instid1(VALU_DEP_4)
	v_fma_f64 v[31:32], v[43:44], v[31:32], -v[47:48]
	v_rcp_f64_e32 v[41:42], v[49:50]
	s_delay_alu instid0(VALU_DEP_1) | instskip(SKIP_3) | instid1(VALU_DEP_2)
	v_fma_f64 v[13:14], v[43:44], v[13:14], v[31:32]
	s_waitcnt_depctr 0xfff
	v_fma_f64 v[31:32], -v[49:50], v[41:42], 1.0
	v_add_f64 v[51:52], v[47:48], v[13:14]
	v_fma_f64 v[31:32], v[41:42], v[31:32], v[41:42]
	s_delay_alu instid0(VALU_DEP_2) | instskip(SKIP_1) | instid1(VALU_DEP_3)
	v_add_f64 v[41:42], v[39:40], -v[51:52]
	v_add_f64 v[47:48], v[51:52], -v[47:48]
	v_fma_f64 v[53:54], -v[49:50], v[31:32], 1.0
	s_delay_alu instid0(VALU_DEP_3) | instskip(NEXT) | instid1(VALU_DEP_3)
	v_add_f64 v[39:40], v[39:40], -v[41:42]
	v_add_f64 v[13:14], v[47:48], -v[13:14]
	s_delay_alu instid0(VALU_DEP_3) | instskip(NEXT) | instid1(VALU_DEP_3)
	v_fma_f64 v[31:32], v[31:32], v[53:54], v[31:32]
	v_add_f64 v[39:40], v[39:40], -v[51:52]
	s_delay_alu instid0(VALU_DEP_2) | instskip(NEXT) | instid1(VALU_DEP_2)
	v_mul_f64 v[47:48], v[55:56], v[31:32]
	v_add_f64 v[13:14], v[13:14], v[39:40]
	s_delay_alu instid0(VALU_DEP_2) | instskip(NEXT) | instid1(VALU_DEP_2)
	v_fma_f64 v[39:40], -v[49:50], v[47:48], v[55:56]
	v_add_f64 v[13:14], v[41:42], v[13:14]
	s_delay_alu instid0(VALU_DEP_2)
	v_div_fmas_f64 v[31:32], v[39:40], v[31:32], v[47:48]
	v_subrev_co_ci_u32_e64 v15, vcc_lo, 0, v15, s7
	v_cmp_eq_f64_e64 s7, 0, v[7:8]
	v_cmp_gt_i32_e32 vcc_lo, 0, v6
	v_cndmask_b32_e32 v18, 0x54442d18, v59, vcc_lo
	v_mul_f64 v[13:14], v[35:36], v[13:14]
	v_div_fixup_f64 v[31:32], v[31:32], v[45:46], v[37:38]
	s_delay_alu instid0(VALU_DEP_2) | instskip(NEXT) | instid1(VALU_DEP_2)
	v_add_f64 v[35:36], v[43:44], v[13:14]
	v_mul_f64 v[37:38], v[31:32], v[31:32]
	s_delay_alu instid0(VALU_DEP_2) | instskip(NEXT) | instid1(VALU_DEP_2)
	v_mul_f64 v[39:40], v[35:36], v[35:36]
	v_fma_f64 v[41:42], v[37:38], s[50:51], s[48:49]
	s_delay_alu instid0(VALU_DEP_2) | instskip(SKIP_1) | instid1(VALU_DEP_3)
	v_fma_f64 v[45:46], v[39:40], s[30:31], s[28:29]
	v_mul_f64 v[47:48], v[35:36], v[39:40]
	v_fma_f64 v[41:42], v[37:38], v[41:42], s[52:53]
	s_delay_alu instid0(VALU_DEP_3) | instskip(NEXT) | instid1(VALU_DEP_2)
	v_fma_f64 v[45:46], v[39:40], v[45:46], s[36:37]
	v_fma_f64 v[41:42], v[37:38], v[41:42], s[54:55]
	s_delay_alu instid0(VALU_DEP_2) | instskip(NEXT) | instid1(VALU_DEP_2)
	v_fma_f64 v[45:46], v[39:40], v[45:46], s[38:39]
	v_fma_f64 v[41:42], v[37:38], v[41:42], s[56:57]
	s_delay_alu instid0(VALU_DEP_2) | instskip(NEXT) | instid1(VALU_DEP_2)
	v_fma_f64 v[45:46], v[39:40], v[45:46], s[40:41]
	v_fma_f64 v[41:42], v[37:38], v[41:42], s[58:59]
	s_delay_alu instid0(VALU_DEP_2) | instskip(NEXT) | instid1(VALU_DEP_2)
	v_fma_f64 v[45:46], v[39:40], v[45:46], s[42:43]
	v_fma_f64 v[41:42], v[37:38], v[41:42], s[60:61]
	s_delay_alu instid0(VALU_DEP_2) | instskip(SKIP_2) | instid1(VALU_DEP_4)
	v_fma_f64 v[39:40], v[39:40], v[45:46], s[100:101]
	v_ldexp_f64 v[45:46], v[35:36], 1
	v_add_f64 v[35:36], v[35:36], -v[43:44]
	v_fma_f64 v[41:42], v[37:38], v[41:42], s[62:63]
	s_delay_alu instid0(VALU_DEP_4) | instskip(SKIP_1) | instid1(VALU_DEP_4)
	v_mul_f64 v[39:40], v[47:48], v[39:40]
	v_cvt_f64_i32_e32 v[47:48], v15
	v_add_f64 v[13:14], v[13:14], -v[35:36]
	v_ashrrev_i32_e32 v15, 31, v6
	v_fma_f64 v[41:42], v[37:38], v[41:42], s[64:65]
	v_add_f64 v[43:44], v[45:46], v[39:40]
	v_mul_f64 v[49:50], v[47:48], s[44:45]
	v_ldexp_f64 v[13:14], v[13:14], 1
	s_delay_alu instid0(VALU_DEP_4) | instskip(NEXT) | instid1(VALU_DEP_4)
	v_fma_f64 v[41:42], v[37:38], v[41:42], s[66:67]
	v_add_f64 v[35:36], v[43:44], -v[45:46]
	s_delay_alu instid0(VALU_DEP_4) | instskip(NEXT) | instid1(VALU_DEP_3)
	v_fma_f64 v[45:46], v[47:48], s[44:45], -v[49:50]
	v_fma_f64 v[41:42], v[37:38], v[41:42], s[68:69]
	s_delay_alu instid0(VALU_DEP_3) | instskip(NEXT) | instid1(VALU_DEP_2)
	v_add_f64 v[35:36], v[39:40], -v[35:36]
	v_fma_f64 v[39:40], v[37:38], v[41:42], s[70:71]
	s_delay_alu instid0(VALU_DEP_4) | instskip(NEXT) | instid1(VALU_DEP_3)
	v_fma_f64 v[41:42], v[47:48], s[46:47], v[45:46]
	v_add_f64 v[13:14], v[13:14], v[35:36]
	s_delay_alu instid0(VALU_DEP_3) | instskip(NEXT) | instid1(VALU_DEP_3)
	v_fma_f64 v[35:36], v[37:38], v[39:40], s[72:73]
	v_add_f64 v[39:40], v[49:50], v[41:42]
	s_delay_alu instid0(VALU_DEP_3) | instskip(NEXT) | instid1(VALU_DEP_3)
	v_add_f64 v[45:46], v[43:44], v[13:14]
	v_fma_f64 v[35:36], v[37:38], v[35:36], s[74:75]
	s_delay_alu instid0(VALU_DEP_3) | instskip(NEXT) | instid1(VALU_DEP_3)
	v_add_f64 v[49:50], v[39:40], -v[49:50]
	v_add_f64 v[47:48], v[39:40], v[45:46]
	v_add_f64 v[43:44], v[45:46], -v[43:44]
	s_delay_alu instid0(VALU_DEP_4) | instskip(NEXT) | instid1(VALU_DEP_4)
	v_fma_f64 v[35:36], v[37:38], v[35:36], s[76:77]
	v_add_f64 v[41:42], v[41:42], -v[49:50]
	s_delay_alu instid0(VALU_DEP_4) | instskip(NEXT) | instid1(VALU_DEP_4)
	v_add_f64 v[51:52], v[47:48], -v[39:40]
	v_add_f64 v[13:14], v[13:14], -v[43:44]
	s_delay_alu instid0(VALU_DEP_4) | instskip(NEXT) | instid1(VALU_DEP_3)
	v_fma_f64 v[35:36], v[37:38], v[35:36], s[78:79]
	v_add_f64 v[53:54], v[47:48], -v[51:52]
	v_add_f64 v[43:44], v[45:46], -v[51:52]
	s_delay_alu instid0(VALU_DEP_4) | instskip(NEXT) | instid1(VALU_DEP_4)
	v_add_f64 v[45:46], v[41:42], v[13:14]
	v_fma_f64 v[35:36], v[37:38], v[35:36], s[80:81]
	s_delay_alu instid0(VALU_DEP_4) | instskip(NEXT) | instid1(VALU_DEP_2)
	v_add_f64 v[39:40], v[39:40], -v[53:54]
	v_fma_f64 v[35:36], v[37:38], v[35:36], s[82:83]
	s_delay_alu instid0(VALU_DEP_2) | instskip(SKIP_1) | instid1(VALU_DEP_3)
	v_add_f64 v[39:40], v[43:44], v[39:40]
	v_add_f64 v[43:44], v[45:46], -v[41:42]
	v_fma_f64 v[35:36], v[37:38], v[35:36], s[84:85]
	s_delay_alu instid0(VALU_DEP_3) | instskip(NEXT) | instid1(VALU_DEP_3)
	v_add_f64 v[39:40], v[45:46], v[39:40]
	v_add_f64 v[45:46], v[45:46], -v[43:44]
	v_add_f64 v[13:14], v[13:14], -v[43:44]
	s_delay_alu instid0(VALU_DEP_4) | instskip(NEXT) | instid1(VALU_DEP_4)
	v_fma_f64 v[35:36], v[37:38], v[35:36], s[86:87]
	v_add_f64 v[49:50], v[47:48], v[39:40]
	s_delay_alu instid0(VALU_DEP_2) | instskip(SKIP_1) | instid1(VALU_DEP_3)
	v_mul_f64 v[35:36], v[37:38], v[35:36]
	v_add_f64 v[37:38], v[41:42], -v[45:46]
	v_add_f64 v[41:42], v[49:50], -v[47:48]
	s_delay_alu instid0(VALU_DEP_3) | instskip(NEXT) | instid1(VALU_DEP_3)
	v_fma_f64 v[31:32], v[31:32], v[35:36], v[31:32]
	v_add_f64 v[13:14], v[13:14], v[37:38]
	s_delay_alu instid0(VALU_DEP_3) | instskip(NEXT) | instid1(VALU_DEP_3)
	v_add_f64 v[35:36], v[39:40], -v[41:42]
	v_add_f64 v[37:38], -v[31:32], s[88:89]
	s_delay_alu instid0(VALU_DEP_2) | instskip(NEXT) | instid1(VALU_DEP_2)
	v_add_f64 v[13:14], v[13:14], v[35:36]
	v_cndmask_b32_e64 v32, v32, v38, s6
	s_delay_alu instid0(VALU_DEP_3) | instskip(NEXT) | instid1(VALU_DEP_1)
	v_cndmask_b32_e64 v31, v31, v37, s6
	v_add_f64 v[35:36], -v[31:32], s[16:17]
	s_delay_alu instid0(VALU_DEP_4) | instskip(NEXT) | instid1(VALU_DEP_2)
	v_add_f64 v[13:14], v[49:50], v[13:14]
	v_cndmask_b32_e32 v31, v31, v35, vcc_lo
	s_delay_alu instid0(VALU_DEP_2) | instskip(SKIP_2) | instid1(VALU_DEP_2)
	v_mul_f64 v[5:6], v[13:14], 0.5
	v_cndmask_b32_e32 v13, 0x3fe921fb, v60, vcc_lo
	v_and_b32_e32 v14, 0x400921fb, v15
	v_bfi_b32 v13, 0x7fffffff, v13, v8
	v_and_b32_e32 v37, 0x54442d18, v15
	v_cndmask_b32_e32 v15, v32, v36, vcc_lo
	s_and_b32 vcc_lo, s10, s11
                                        ; implicit-def: $vgpr35_vgpr36
	s_delay_alu instid0(VALU_DEP_1) | instskip(NEXT) | instid1(VALU_DEP_1)
	v_cndmask_b32_e64 v14, v15, v14, s7
	v_cndmask_b32_e32 v32, v14, v13, vcc_lo
	v_cndmask_b32_e64 v31, v31, v37, s7
                                        ; implicit-def: $vgpr37_vgpr38
	s_delay_alu instid0(VALU_DEP_1)
	v_cndmask_b32_e32 v31, v31, v18, vcc_lo
	v_cndmask_b32_e64 v14, 0xfff00000, v6, s8
	v_cndmask_b32_e64 v13, 0, v5, s8
.LBB186_55:                             ;   in Loop: Header=BB186_4 Depth=1
	s_and_not1_saveexec_b32 s92, s9
	s_cbranch_execz .LBB186_59
; %bb.56:                               ;   in Loop: Header=BB186_4 Depth=1
	v_dual_mov_b32 v31, v17 :: v_dual_and_b32 v18, 0x7ffffff8, v38
	v_and_b32_e32 v32, 0x7ffffff8, v36
	s_mov_b32 s93, 0
	s_delay_alu instid0(VALU_DEP_2) | instskip(SKIP_1) | instid1(VALU_DEP_3)
	v_add_f64 v[13:14], v[37:38], -v[17:18]
	v_mov_b32_e32 v37, v17
	v_add_f64 v[33:34], v[35:36], -v[31:32]
	v_mov_b32_e32 v39, v17
	v_add_f64 v[41:42], v[17:18], v[17:18]
	v_add_f64 v[49:50], v[31:32], v[31:32]
	v_mul_f64 v[35:36], v[31:32], v[31:32]
	v_and_b32_e32 v38, -8, v14
	v_and_b32_e32 v40, -8, v34
	s_delay_alu instid0(VALU_DEP_2) | instskip(SKIP_1) | instid1(VALU_DEP_3)
	v_add_f64 v[51:52], v[13:14], -v[37:38]
	v_add_f64 v[55:56], v[37:38], v[37:38]
	v_add_f64 v[53:54], v[33:34], -v[39:40]
	v_add_f64 v[57:58], v[39:40], v[39:40]
	v_mul_f64 v[13:14], v[17:18], v[17:18]
	v_mul_f64 v[47:48], v[41:42], v[37:38]
	;; [unrolled: 1-line block ×11, first 2 shown]
.LBB186_57:                             ;   Parent Loop BB186_4 Depth=1
                                        ; =>  This Inner Loop Header: Depth=2
	v_cmp_nlt_f64_e32 vcc_lo, v[13:14], v[35:36]
	v_dual_cndmask_b32 v54, v14, v36 :: v_dual_cndmask_b32 v53, v13, v35
	v_dual_cndmask_b32 v14, v36, v14 :: v_dual_cndmask_b32 v13, v35, v13
	s_delay_alu instid0(VALU_DEP_2) | instskip(NEXT) | instid1(VALU_DEP_1)
	v_cmp_nlt_f64_e64 s7, v[53:54], v[47:48]
	v_cndmask_b32_e64 v56, v54, v48, s7
	v_cndmask_b32_e64 v55, v53, v47, s7
	;; [unrolled: 1-line block ×4, first 2 shown]
	s_and_b32 s7, vcc_lo, s7
	s_delay_alu instid0(VALU_DEP_3) | instskip(NEXT) | instid1(VALU_DEP_1)
	v_cmp_nlt_f64_e64 s8, v[55:56], v[33:34]
	v_cndmask_b32_e64 v54, v56, v34, s8
	v_cndmask_b32_e64 v53, v55, v33, s8
	;; [unrolled: 1-line block ×4, first 2 shown]
	s_delay_alu instid0(VALU_DEP_3) | instskip(NEXT) | instid1(VALU_DEP_1)
	v_cmp_nlt_f64_e64 s9, v[53:54], v[45:46]
	v_cndmask_b32_e64 v56, v54, v46, s9
	v_cndmask_b32_e64 v55, v53, v45, s9
	;; [unrolled: 1-line block ×4, first 2 shown]
	s_and_b32 s8, s8, s9
	s_delay_alu instid0(VALU_DEP_3) | instskip(NEXT) | instid1(VALU_DEP_1)
	v_cmp_nlt_f64_e64 s10, v[55:56], v[31:32]
	v_cndmask_b32_e64 v54, v56, v32, s10
	v_cndmask_b32_e64 v53, v55, v31, s10
	;; [unrolled: 1-line block ×4, first 2 shown]
	s_delay_alu instid0(VALU_DEP_3) | instskip(NEXT) | instid1(VALU_DEP_1)
	v_cmp_nlt_f64_e64 s11, v[53:54], v[43:44]
	v_cndmask_b32_e64 v56, v54, v44, s11
	v_cndmask_b32_e64 v55, v53, v43, s11
	v_cndmask_b32_e64 v32, v44, v54, s11
	v_cndmask_b32_e64 v31, v43, v53, s11
	s_and_b32 s9, s10, s11
	s_delay_alu instid0(VALU_DEP_3) | instskip(NEXT) | instid1(VALU_DEP_1)
	v_cmp_nlt_f64_e64 s12, v[55:56], v[41:42]
	v_cndmask_b32_e64 v54, v56, v42, s12
	v_cndmask_b32_e64 v53, v55, v41, s12
	v_cndmask_b32_e64 v44, v42, v56, s12
	v_cndmask_b32_e64 v43, v41, v55, s12
	s_and_b32 s9, s9, s12
	;; [unrolled: 7-line block ×4, first 2 shown]
	s_delay_alu instid0(VALU_DEP_3) | instskip(NEXT) | instid1(VALU_DEP_1)
	v_cmp_nlt_f64_e64 s15, v[53:54], v[49:50]
	v_cndmask_b32_e64 v56, v54, v50, s15
	v_cndmask_b32_e64 v55, v53, v49, s15
	s_and_b32 s9, s9, s15
	v_cndmask_b32_e64 v38, v50, v54, s15
	v_cndmask_b32_e64 v37, v49, v53, s15
	s_delay_alu instid0(VALU_DEP_3) | instskip(NEXT) | instid1(VALU_DEP_1)
	v_cmp_nlt_f64_e64 s16, v[55:56], v[51:52]
	v_cndmask_b32_e64 v54, v56, v52, s16
	v_cndmask_b32_e64 v53, v55, v51, s16
	s_and_b32 s9, s9, s16
	v_cndmask_b32_e64 v50, v52, v56, s16
	s_and_b32 s8, s9, s8
	;; [unrolled: 2-line block ×3, first 2 shown]
	v_dual_mov_b32 v51, v53 :: v_dual_mov_b32 v52, v54
	s_and_b32 s7, exec_lo, s7
	s_delay_alu instid0(SALU_CYCLE_1) | instskip(NEXT) | instid1(SALU_CYCLE_1)
	s_or_b32 s93, s7, s93
	s_and_not1_b32 exec_lo, exec_lo, s93
	s_cbranch_execnz .LBB186_57
; %bb.58:                               ;   in Loop: Header=BB186_4 Depth=1
	s_or_b32 exec_lo, exec_lo, s93
	v_add_f64 v[13:14], v[13:14], -1.0
	s_mov_b32 s101, s27
	s_mov_b32 s16, s88
	v_cmp_gt_i32_e64 s7, 0, v6
	v_cmp_class_f64_e64 s9, v[5:6], 0x204
	v_cmp_class_f64_e64 s8, v[7:8], 0x204
	s_mov_b32 s14, 0x4ad4b81f
	s_mov_b32 s15, 0x358dee7a
	s_delay_alu instid0(VALU_DEP_4) | instskip(NEXT) | instid1(VALU_DEP_1)
	v_add_f64 v[13:14], v[13:14], v[35:36]
	v_add_f64 v[13:14], v[13:14], v[47:48]
	s_delay_alu instid0(VALU_DEP_1) | instskip(NEXT) | instid1(VALU_DEP_1)
	v_add_f64 v[13:14], v[13:14], v[33:34]
	v_add_f64 v[13:14], v[13:14], v[45:46]
	s_delay_alu instid0(VALU_DEP_1) | instskip(NEXT) | instid1(VALU_DEP_1)
	;; [unrolled: 3-line block ×5, first 2 shown]
	v_add_f64 v[14:15], v[53:54], v[13:14]
	v_add_f64 v[31:32], v[14:15], 1.0
	s_delay_alu instid0(VALU_DEP_1) | instskip(SKIP_2) | instid1(VALU_DEP_3)
	v_frexp_mant_f64_e32 v[33:34], v[31:32]
	v_frexp_exp_i32_f64_e32 v13, v[31:32]
	v_add_f64 v[35:36], v[31:32], -1.0
	v_cmp_gt_f64_e32 vcc_lo, s[26:27], v[33:34]
	s_delay_alu instid0(VALU_DEP_2) | instskip(SKIP_2) | instid1(VALU_DEP_3)
	v_add_f64 v[33:34], v[35:36], -v[31:32]
	v_add_f64 v[35:36], v[14:15], -v[35:36]
	v_subrev_co_ci_u32_e32 v13, vcc_lo, 0, v13, vcc_lo
	v_add_f64 v[33:34], v[33:34], 1.0
	s_delay_alu instid0(VALU_DEP_2) | instskip(NEXT) | instid1(VALU_DEP_1)
	v_sub_nc_u32_e32 v18, 0, v13
	v_ldexp_f64 v[31:32], v[31:32], v18
	s_delay_alu instid0(VALU_DEP_3) | instskip(NEXT) | instid1(VALU_DEP_2)
	v_add_f64 v[33:34], v[35:36], v[33:34]
	v_add_f64 v[37:38], v[31:32], 1.0
	v_add_f64 v[43:44], v[31:32], -1.0
	s_delay_alu instid0(VALU_DEP_3) | instskip(SKIP_1) | instid1(VALU_DEP_4)
	v_ldexp_f64 v[33:34], v[33:34], v18
	v_cndmask_b32_e64 v18, 0x54442d18, v59, s7
	v_add_f64 v[35:36], v[37:38], -1.0
	s_delay_alu instid0(VALU_DEP_4) | instskip(NEXT) | instid1(VALU_DEP_2)
	v_add_f64 v[45:46], v[43:44], 1.0
	v_add_f64 v[35:36], v[31:32], -v[35:36]
	s_delay_alu instid0(VALU_DEP_2) | instskip(NEXT) | instid1(VALU_DEP_2)
	v_add_f64 v[31:32], v[31:32], -v[45:46]
	v_add_f64 v[35:36], v[33:34], v[35:36]
	s_delay_alu instid0(VALU_DEP_2) | instskip(NEXT) | instid1(VALU_DEP_2)
	v_add_f64 v[31:32], v[33:34], v[31:32]
	v_add_f64 v[39:40], v[37:38], v[35:36]
	s_delay_alu instid0(VALU_DEP_2) | instskip(NEXT) | instid1(VALU_DEP_2)
	v_add_f64 v[45:46], v[43:44], v[31:32]
	v_rcp_f64_e32 v[41:42], v[39:40]
	v_add_f64 v[37:38], v[39:40], -v[37:38]
	s_delay_alu instid0(VALU_DEP_2) | instskip(NEXT) | instid1(VALU_DEP_2)
	v_add_f64 v[43:44], v[45:46], -v[43:44]
	v_add_f64 v[35:36], v[35:36], -v[37:38]
	s_waitcnt_depctr 0xfff
	v_fma_f64 v[47:48], -v[39:40], v[41:42], 1.0
	v_add_f64 v[31:32], v[31:32], -v[43:44]
	s_delay_alu instid0(VALU_DEP_2) | instskip(NEXT) | instid1(VALU_DEP_1)
	v_fma_f64 v[41:42], v[47:48], v[41:42], v[41:42]
	v_fma_f64 v[33:34], -v[39:40], v[41:42], 1.0
	s_delay_alu instid0(VALU_DEP_1) | instskip(NEXT) | instid1(VALU_DEP_1)
	v_fma_f64 v[33:34], v[33:34], v[41:42], v[41:42]
	v_mul_f64 v[41:42], v[45:46], v[33:34]
	s_delay_alu instid0(VALU_DEP_1) | instskip(NEXT) | instid1(VALU_DEP_1)
	v_mul_f64 v[47:48], v[39:40], v[41:42]
	v_fma_f64 v[37:38], v[41:42], v[39:40], -v[47:48]
	s_delay_alu instid0(VALU_DEP_1) | instskip(NEXT) | instid1(VALU_DEP_1)
	v_fma_f64 v[37:38], v[41:42], v[35:36], v[37:38]
	v_add_f64 v[49:50], v[47:48], v[37:38]
	s_delay_alu instid0(VALU_DEP_1) | instskip(SKIP_2) | instid1(VALU_DEP_3)
	v_add_f64 v[51:52], v[45:46], -v[49:50]
	v_add_f64 v[43:44], v[49:50], -v[47:48]
	v_max_f64 v[47:48], |v[7:8]|, |v[7:8]|
	v_add_f64 v[45:46], v[45:46], -v[51:52]
	s_delay_alu instid0(VALU_DEP_3) | instskip(NEXT) | instid1(VALU_DEP_2)
	v_add_f64 v[37:38], v[43:44], -v[37:38]
	v_add_f64 v[45:46], v[45:46], -v[49:50]
	v_max_f64 v[49:50], |v[5:6]|, |v[5:6]|
	v_cndmask_b32_e64 v5, 0x3fe921fb, v60, s7
	s_delay_alu instid0(VALU_DEP_1) | instskip(NEXT) | instid1(VALU_DEP_4)
	v_bfi_b32 v5, 0x7fffffff, v5, v8
	v_add_f64 v[31:32], v[31:32], v[45:46]
	s_delay_alu instid0(VALU_DEP_4) | instskip(SKIP_1) | instid1(VALU_DEP_3)
	v_max_f64 v[53:54], v[49:50], v[47:48]
	v_min_f64 v[47:48], v[49:50], v[47:48]
	v_add_f64 v[31:32], v[37:38], v[31:32]
	s_delay_alu instid0(VALU_DEP_1) | instskip(NEXT) | instid1(VALU_DEP_1)
	v_add_f64 v[37:38], v[51:52], v[31:32]
	v_mul_f64 v[43:44], v[33:34], v[37:38]
	v_add_f64 v[51:52], v[51:52], -v[37:38]
	s_delay_alu instid0(VALU_DEP_2) | instskip(NEXT) | instid1(VALU_DEP_2)
	v_mul_f64 v[45:46], v[39:40], v[43:44]
	v_add_f64 v[31:32], v[31:32], v[51:52]
	s_delay_alu instid0(VALU_DEP_2) | instskip(NEXT) | instid1(VALU_DEP_1)
	v_fma_f64 v[39:40], v[43:44], v[39:40], -v[45:46]
	v_fma_f64 v[35:36], v[43:44], v[35:36], v[39:40]
	v_div_scale_f64 v[39:40], null, v[53:54], v[53:54], v[47:48]
	s_delay_alu instid0(VALU_DEP_2) | instskip(NEXT) | instid1(VALU_DEP_2)
	v_add_f64 v[49:50], v[45:46], v[35:36]
	v_rcp_f64_e32 v[55:56], v[39:40]
	s_delay_alu instid0(VALU_DEP_1)
	v_add_f64 v[57:58], v[37:38], -v[49:50]
	v_add_f64 v[45:46], v[49:50], -v[45:46]
	s_waitcnt_depctr 0xfff
	v_fma_f64 v[61:62], -v[39:40], v[55:56], 1.0
	v_add_f64 v[37:38], v[37:38], -v[57:58]
	v_add_f64 v[35:36], v[45:46], -v[35:36]
	s_delay_alu instid0(VALU_DEP_3) | instskip(NEXT) | instid1(VALU_DEP_3)
	v_fma_f64 v[55:56], v[55:56], v[61:62], v[55:56]
	v_add_f64 v[37:38], v[37:38], -v[49:50]
	s_delay_alu instid0(VALU_DEP_2) | instskip(NEXT) | instid1(VALU_DEP_2)
	v_fma_f64 v[49:50], -v[39:40], v[55:56], 1.0
	v_add_f64 v[31:32], v[31:32], v[37:38]
	v_div_scale_f64 v[37:38], vcc_lo, v[47:48], v[53:54], v[47:48]
	s_delay_alu instid0(VALU_DEP_3) | instskip(SKIP_1) | instid1(VALU_DEP_4)
	v_fma_f64 v[45:46], v[55:56], v[49:50], v[55:56]
	v_add_f64 v[49:50], v[41:42], v[43:44]
	v_add_f64 v[31:32], v[35:36], v[31:32]
	s_delay_alu instid0(VALU_DEP_3) | instskip(NEXT) | instid1(VALU_DEP_3)
	v_mul_f64 v[35:36], v[37:38], v[45:46]
	v_add_f64 v[41:42], v[49:50], -v[41:42]
	s_delay_alu instid0(VALU_DEP_3) | instskip(NEXT) | instid1(VALU_DEP_3)
	v_add_f64 v[31:32], v[57:58], v[31:32]
	v_fma_f64 v[37:38], -v[39:40], v[35:36], v[37:38]
	s_delay_alu instid0(VALU_DEP_3) | instskip(NEXT) | instid1(VALU_DEP_3)
	v_add_f64 v[39:40], v[43:44], -v[41:42]
	v_mul_f64 v[31:32], v[33:34], v[31:32]
	s_delay_alu instid0(VALU_DEP_3) | instskip(SKIP_1) | instid1(VALU_DEP_3)
	v_div_fmas_f64 v[33:34], v[37:38], v[45:46], v[35:36]
	v_cmp_eq_f64_e32 vcc_lo, 0x7ff00000, v[14:15]
	v_add_f64 v[31:32], v[39:40], v[31:32]
	s_delay_alu instid0(VALU_DEP_3) | instskip(NEXT) | instid1(VALU_DEP_2)
	v_div_fixup_f64 v[33:34], v[33:34], v[53:54], v[47:48]
	v_add_f64 v[35:36], v[49:50], v[31:32]
	s_delay_alu instid0(VALU_DEP_2) | instskip(NEXT) | instid1(VALU_DEP_2)
	v_mul_f64 v[37:38], v[33:34], v[33:34]
	v_mul_f64 v[39:40], v[35:36], v[35:36]
	s_delay_alu instid0(VALU_DEP_2) | instskip(NEXT) | instid1(VALU_DEP_2)
	v_fma_f64 v[41:42], v[37:38], s[50:51], s[48:49]
	v_fma_f64 v[43:44], v[39:40], s[30:31], s[28:29]
	v_mul_f64 v[45:46], v[35:36], v[39:40]
	s_delay_alu instid0(VALU_DEP_3) | instskip(NEXT) | instid1(VALU_DEP_3)
	v_fma_f64 v[41:42], v[37:38], v[41:42], s[52:53]
	v_fma_f64 v[43:44], v[39:40], v[43:44], s[36:37]
	s_delay_alu instid0(VALU_DEP_2) | instskip(NEXT) | instid1(VALU_DEP_2)
	v_fma_f64 v[41:42], v[37:38], v[41:42], s[54:55]
	v_fma_f64 v[43:44], v[39:40], v[43:44], s[38:39]
	s_delay_alu instid0(VALU_DEP_2) | instskip(NEXT) | instid1(VALU_DEP_2)
	;; [unrolled: 3-line block ×4, first 2 shown]
	v_fma_f64 v[41:42], v[37:38], v[41:42], s[60:61]
	v_fma_f64 v[39:40], v[39:40], v[43:44], s[100:101]
	v_ldexp_f64 v[43:44], v[35:36], 1
	v_add_f64 v[35:36], v[35:36], -v[49:50]
	s_delay_alu instid0(VALU_DEP_4) | instskip(NEXT) | instid1(VALU_DEP_4)
	v_fma_f64 v[41:42], v[37:38], v[41:42], s[62:63]
	v_mul_f64 v[39:40], v[45:46], v[39:40]
	v_cvt_f64_i32_e32 v[45:46], v13
	s_delay_alu instid0(VALU_DEP_4) | instskip(NEXT) | instid1(VALU_DEP_4)
	v_add_f64 v[31:32], v[31:32], -v[35:36]
	v_fma_f64 v[41:42], v[37:38], v[41:42], s[64:65]
	v_ashrrev_i32_e32 v13, 31, v6
	s_delay_alu instid0(VALU_DEP_1) | instskip(SKIP_4) | instid1(VALU_DEP_4)
	v_and_b32_e32 v6, 0x400921fb, v13
	v_add_f64 v[47:48], v[43:44], v[39:40]
	v_mul_f64 v[49:50], v[45:46], s[44:45]
	v_ldexp_f64 v[31:32], v[31:32], 1
	v_fma_f64 v[41:42], v[37:38], v[41:42], s[66:67]
	v_add_f64 v[35:36], v[47:48], -v[43:44]
	s_delay_alu instid0(VALU_DEP_4) | instskip(NEXT) | instid1(VALU_DEP_3)
	v_fma_f64 v[43:44], v[45:46], s[44:45], -v[49:50]
	v_fma_f64 v[41:42], v[37:38], v[41:42], s[68:69]
	s_delay_alu instid0(VALU_DEP_3) | instskip(NEXT) | instid1(VALU_DEP_2)
	v_add_f64 v[35:36], v[39:40], -v[35:36]
	v_fma_f64 v[39:40], v[37:38], v[41:42], s[70:71]
	s_delay_alu instid0(VALU_DEP_4) | instskip(NEXT) | instid1(VALU_DEP_3)
	v_fma_f64 v[41:42], v[45:46], s[46:47], v[43:44]
	v_add_f64 v[31:32], v[31:32], v[35:36]
	s_delay_alu instid0(VALU_DEP_3) | instskip(NEXT) | instid1(VALU_DEP_3)
	v_fma_f64 v[35:36], v[37:38], v[39:40], s[72:73]
	v_add_f64 v[39:40], v[49:50], v[41:42]
	s_delay_alu instid0(VALU_DEP_3) | instskip(NEXT) | instid1(VALU_DEP_3)
	v_add_f64 v[43:44], v[47:48], v[31:32]
	v_fma_f64 v[35:36], v[37:38], v[35:36], s[74:75]
	s_delay_alu instid0(VALU_DEP_3) | instskip(NEXT) | instid1(VALU_DEP_3)
	v_add_f64 v[49:50], v[39:40], -v[49:50]
	v_add_f64 v[45:46], v[39:40], v[43:44]
	v_add_f64 v[47:48], v[43:44], -v[47:48]
	s_delay_alu instid0(VALU_DEP_4) | instskip(NEXT) | instid1(VALU_DEP_4)
	v_fma_f64 v[35:36], v[37:38], v[35:36], s[76:77]
	v_add_f64 v[41:42], v[41:42], -v[49:50]
	s_delay_alu instid0(VALU_DEP_4) | instskip(NEXT) | instid1(VALU_DEP_4)
	v_add_f64 v[51:52], v[45:46], -v[39:40]
	v_add_f64 v[31:32], v[31:32], -v[47:48]
	s_delay_alu instid0(VALU_DEP_4) | instskip(NEXT) | instid1(VALU_DEP_3)
	v_fma_f64 v[35:36], v[37:38], v[35:36], s[78:79]
	v_add_f64 v[53:54], v[45:46], -v[51:52]
	v_add_f64 v[43:44], v[43:44], -v[51:52]
	s_delay_alu instid0(VALU_DEP_4) | instskip(NEXT) | instid1(VALU_DEP_4)
	v_add_f64 v[47:48], v[41:42], v[31:32]
	v_fma_f64 v[35:36], v[37:38], v[35:36], s[80:81]
	s_delay_alu instid0(VALU_DEP_4) | instskip(NEXT) | instid1(VALU_DEP_2)
	v_add_f64 v[39:40], v[39:40], -v[53:54]
	v_fma_f64 v[35:36], v[37:38], v[35:36], s[82:83]
	s_delay_alu instid0(VALU_DEP_2) | instskip(SKIP_1) | instid1(VALU_DEP_3)
	v_add_f64 v[39:40], v[43:44], v[39:40]
	v_add_f64 v[43:44], v[47:48], -v[41:42]
	v_fma_f64 v[35:36], v[37:38], v[35:36], s[84:85]
	s_delay_alu instid0(VALU_DEP_3) | instskip(NEXT) | instid1(VALU_DEP_3)
	v_add_f64 v[39:40], v[47:48], v[39:40]
	v_add_f64 v[47:48], v[47:48], -v[43:44]
	v_add_f64 v[31:32], v[31:32], -v[43:44]
	s_delay_alu instid0(VALU_DEP_4) | instskip(NEXT) | instid1(VALU_DEP_4)
	v_fma_f64 v[35:36], v[37:38], v[35:36], s[86:87]
	v_add_f64 v[49:50], v[45:46], v[39:40]
	s_delay_alu instid0(VALU_DEP_2) | instskip(SKIP_1) | instid1(VALU_DEP_3)
	v_mul_f64 v[35:36], v[37:38], v[35:36]
	v_add_f64 v[37:38], v[41:42], -v[47:48]
	v_add_f64 v[41:42], v[49:50], -v[45:46]
	s_delay_alu instid0(VALU_DEP_3) | instskip(NEXT) | instid1(VALU_DEP_3)
	v_fma_f64 v[33:34], v[33:34], v[35:36], v[33:34]
	v_add_f64 v[31:32], v[31:32], v[37:38]
	s_delay_alu instid0(VALU_DEP_3) | instskip(NEXT) | instid1(VALU_DEP_3)
	v_add_f64 v[35:36], v[39:40], -v[41:42]
	v_add_f64 v[37:38], -v[33:34], s[88:89]
	s_delay_alu instid0(VALU_DEP_2) | instskip(NEXT) | instid1(VALU_DEP_2)
	v_add_f64 v[31:32], v[31:32], v[35:36]
	v_cndmask_b32_e64 v34, v34, v38, s6
	s_delay_alu instid0(VALU_DEP_3) | instskip(NEXT) | instid1(VALU_DEP_1)
	v_cndmask_b32_e64 v33, v33, v37, s6
	v_add_f64 v[35:36], -v[33:34], s[16:17]
	s_delay_alu instid0(VALU_DEP_4) | instskip(SKIP_1) | instid1(VALU_DEP_3)
	v_add_f64 v[31:32], v[49:50], v[31:32]
	v_and_b32_e32 v37, 0x54442d18, v13
	v_cndmask_b32_e64 v33, v33, v35, s7
	s_delay_alu instid0(VALU_DEP_4) | instskip(SKIP_3) | instid1(VALU_DEP_2)
	v_cndmask_b32_e64 v13, v34, v36, s7
	v_cmp_nge_f64_e64 s7, -1.0, v[14:15]
	v_dual_cndmask_b32 v32, v32, v15 :: v_dual_cndmask_b32 v31, v31, v14
	v_cmp_eq_f64_e32 vcc_lo, 0, v[7:8]
	v_mul_f64 v[31:32], v[31:32], 0.5
	v_cndmask_b32_e32 v33, v33, v37, vcc_lo
	v_cndmask_b32_e32 v6, v13, v6, vcc_lo
	v_cmp_ngt_f64_e32 vcc_lo, -1.0, v[14:15]
	s_delay_alu instid0(VALU_DEP_4) | instskip(SKIP_4) | instid1(VALU_DEP_2)
	v_cndmask_b32_e64 v13, 0, v31, s7
	v_cmp_neq_f64_e64 s7, -1.0, v[14:15]
	v_cndmask_b32_e32 v34, 0x7ff80000, v32, vcc_lo
	s_and_b32 vcc_lo, s8, s9
	v_dual_cndmask_b32 v32, v6, v5 :: v_dual_cndmask_b32 v31, v33, v18
	v_cndmask_b32_e64 v14, 0xfff00000, v34, s7
.LBB186_59:                             ;   in Loop: Header=BB186_4 Depth=1
	s_or_b32 exec_lo, exec_lo, s92
.LBB186_60:                             ;   in Loop: Header=BB186_4 Depth=1
	s_delay_alu instid0(SALU_CYCLE_1)
	s_or_b32 exec_lo, exec_lo, s25
.LBB186_61:                             ;   in Loop: Header=BB186_4 Depth=1
	s_and_not1_saveexec_b32 s9, s24
	s_cbranch_execz .LBB186_63
; %bb.62:                               ;   in Loop: Header=BB186_4 Depth=1
	v_max_f64 v[13:14], |v[7:8]|, |v[7:8]|
	v_max_f64 v[31:32], |v[5:6]|, |v[5:6]|
	v_cmp_class_f64_e64 s10, v[5:6], 0x204
	v_cmp_class_f64_e64 s11, v[7:8], 0x204
	s_mov_b32 s101, s27
	s_mov_b32 s16, s88
	v_cmp_eq_f64_e64 s8, 0, v[7:8]
	s_delay_alu instid0(VALU_DEP_4) | instskip(SKIP_1) | instid1(VALU_DEP_4)
	v_max_f64 v[33:34], v[31:32], v[13:14]
	v_min_f64 v[13:14], v[31:32], v[13:14]
	s_or_b32 s12, s11, s10
	s_delay_alu instid0(VALU_DEP_2) | instskip(NEXT) | instid1(VALU_DEP_1)
	v_frexp_exp_i32_f64_e32 v15, v[33:34]
	v_sub_nc_u32_e32 v18, 0, v15
	s_delay_alu instid0(VALU_DEP_1) | instskip(SKIP_1) | instid1(VALU_DEP_2)
	v_ldexp_f64 v[35:36], |v[7:8]|, v18
	v_ldexp_f64 v[37:38], |v[5:6]|, v18
	v_mul_f64 v[35:36], v[35:36], v[35:36]
	s_delay_alu instid0(VALU_DEP_1) | instskip(NEXT) | instid1(VALU_DEP_1)
	v_fma_f64 v[35:36], v[37:38], v[37:38], v[35:36]
	v_rsq_f64_e32 v[37:38], v[35:36]
	v_cmp_eq_f64_e32 vcc_lo, 0, v[35:36]
	s_waitcnt_depctr 0xfff
	v_mul_f64 v[39:40], v[35:36], v[37:38]
	v_mul_f64 v[37:38], v[37:38], 0.5
	s_delay_alu instid0(VALU_DEP_1) | instskip(NEXT) | instid1(VALU_DEP_1)
	v_fma_f64 v[41:42], -v[37:38], v[39:40], 0.5
	v_fma_f64 v[39:40], v[39:40], v[41:42], v[39:40]
	v_fma_f64 v[37:38], v[37:38], v[41:42], v[37:38]
	s_delay_alu instid0(VALU_DEP_2) | instskip(NEXT) | instid1(VALU_DEP_1)
	v_fma_f64 v[41:42], -v[39:40], v[39:40], v[35:36]
	v_fma_f64 v[37:38], v[41:42], v[37:38], v[39:40]
	s_delay_alu instid0(VALU_DEP_1) | instskip(SKIP_1) | instid1(VALU_DEP_2)
	v_dual_cndmask_b32 v36, v38, v36 :: v_dual_cndmask_b32 v35, v37, v35
	v_div_scale_f64 v[57:58], vcc_lo, v[13:14], v[33:34], v[13:14]
	v_ldexp_f64 v[35:36], v[35:36], v15
	s_delay_alu instid0(VALU_DEP_1) | instskip(NEXT) | instid1(VALU_DEP_2)
	v_cndmask_b32_e64 v38, v36, 0x7ff00000, s12
	v_cndmask_b32_e64 v37, v35, 0, s12
	s_delay_alu instid0(VALU_DEP_1) | instskip(SKIP_1) | instid1(VALU_DEP_2)
	v_frexp_mant_f64_e32 v[39:40], v[37:38]
	v_frexp_exp_i32_f64_e32 v5, v[37:38]
	v_cmp_gt_f64_e64 s7, s[26:27], v[39:40]
	s_delay_alu instid0(VALU_DEP_1) | instskip(NEXT) | instid1(VALU_DEP_1)
	v_cndmask_b32_e64 v18, 0x3ff00000, 2.0, s7
	v_mul_f64 v[39:40], v[39:40], v[17:18]
	s_delay_alu instid0(VALU_DEP_1) | instskip(SKIP_1) | instid1(VALU_DEP_2)
	v_add_f64 v[41:42], v[39:40], 1.0
	v_add_f64 v[47:48], v[39:40], -1.0
	v_rcp_f64_e32 v[43:44], v[41:42]
	v_add_f64 v[49:50], v[41:42], -1.0
	s_delay_alu instid0(VALU_DEP_1) | instskip(SKIP_2) | instid1(VALU_DEP_1)
	v_add_f64 v[39:40], v[39:40], -v[49:50]
	s_waitcnt_depctr 0xfff
	v_fma_f64 v[45:46], -v[41:42], v[43:44], 1.0
	v_fma_f64 v[43:44], v[45:46], v[43:44], v[43:44]
	s_delay_alu instid0(VALU_DEP_1) | instskip(NEXT) | instid1(VALU_DEP_1)
	v_fma_f64 v[45:46], -v[41:42], v[43:44], 1.0
	v_fma_f64 v[43:44], v[45:46], v[43:44], v[43:44]
	v_div_scale_f64 v[45:46], null, v[33:34], v[33:34], v[13:14]
	s_delay_alu instid0(VALU_DEP_2) | instskip(NEXT) | instid1(VALU_DEP_2)
	v_mul_f64 v[31:32], v[47:48], v[43:44]
	v_rcp_f64_e32 v[53:54], v[45:46]
	s_delay_alu instid0(VALU_DEP_1) | instskip(SKIP_3) | instid1(VALU_DEP_1)
	v_mul_f64 v[51:52], v[41:42], v[31:32]
	s_waitcnt_depctr 0xfff
	v_fma_f64 v[49:50], -v[45:46], v[53:54], 1.0
	v_fma_f64 v[41:42], v[31:32], v[41:42], -v[51:52]
	v_fma_f64 v[39:40], v[31:32], v[39:40], v[41:42]
	s_delay_alu instid0(VALU_DEP_3) | instskip(NEXT) | instid1(VALU_DEP_2)
	v_fma_f64 v[41:42], v[53:54], v[49:50], v[53:54]
	v_add_f64 v[49:50], v[51:52], v[39:40]
	s_delay_alu instid0(VALU_DEP_2) | instskip(NEXT) | instid1(VALU_DEP_2)
	v_fma_f64 v[53:54], -v[45:46], v[41:42], 1.0
	v_add_f64 v[55:56], v[47:48], -v[49:50]
	s_delay_alu instid0(VALU_DEP_2) | instskip(SKIP_1) | instid1(VALU_DEP_3)
	v_fma_f64 v[41:42], v[41:42], v[53:54], v[41:42]
	v_add_f64 v[51:52], v[49:50], -v[51:52]
	v_add_f64 v[47:48], v[47:48], -v[55:56]
	s_delay_alu instid0(VALU_DEP_3) | instskip(NEXT) | instid1(VALU_DEP_3)
	v_mul_f64 v[53:54], v[57:58], v[41:42]
	v_add_f64 v[39:40], v[51:52], -v[39:40]
	s_delay_alu instid0(VALU_DEP_3) | instskip(NEXT) | instid1(VALU_DEP_3)
	v_add_f64 v[47:48], v[47:48], -v[49:50]
	v_fma_f64 v[45:46], -v[45:46], v[53:54], v[57:58]
	s_delay_alu instid0(VALU_DEP_2) | instskip(NEXT) | instid1(VALU_DEP_2)
	v_add_f64 v[39:40], v[39:40], v[47:48]
	v_div_fmas_f64 v[41:42], v[45:46], v[41:42], v[53:54]
	v_subrev_co_ci_u32_e64 v5, vcc_lo, 0, v5, s7
	v_cmp_class_f64_e64 s7, v[35:36], 0x204
	v_cmp_gt_i32_e32 vcc_lo, 0, v6
	v_cndmask_b32_e32 v18, 0x3fe921fb, v60, vcc_lo
	s_delay_alu instid0(VALU_DEP_1) | instskip(SKIP_2) | instid1(VALU_DEP_2)
	v_bfi_b32 v18, 0x7fffffff, v18, v8
	v_add_f64 v[39:40], v[55:56], v[39:40]
	v_div_fixup_f64 v[13:14], v[41:42], v[33:34], v[13:14]
	v_mul_f64 v[33:34], v[43:44], v[39:40]
	s_delay_alu instid0(VALU_DEP_2) | instskip(NEXT) | instid1(VALU_DEP_2)
	v_mul_f64 v[39:40], v[13:14], v[13:14]
	v_add_f64 v[41:42], v[31:32], v[33:34]
	s_delay_alu instid0(VALU_DEP_2) | instskip(NEXT) | instid1(VALU_DEP_2)
	v_fma_f64 v[43:44], v[39:40], s[50:51], s[48:49]
	v_mul_f64 v[45:46], v[41:42], v[41:42]
	s_delay_alu instid0(VALU_DEP_2) | instskip(SKIP_1) | instid1(VALU_DEP_3)
	v_fma_f64 v[43:44], v[39:40], v[43:44], s[52:53]
	v_add_f64 v[31:32], v[41:42], -v[31:32]
	v_fma_f64 v[47:48], v[45:46], s[30:31], s[28:29]
	s_delay_alu instid0(VALU_DEP_3) | instskip(SKIP_1) | instid1(VALU_DEP_4)
	v_fma_f64 v[43:44], v[39:40], v[43:44], s[54:55]
	v_mul_f64 v[49:50], v[41:42], v[45:46]
	v_add_f64 v[31:32], v[33:34], -v[31:32]
	s_delay_alu instid0(VALU_DEP_4) | instskip(NEXT) | instid1(VALU_DEP_4)
	v_fma_f64 v[47:48], v[45:46], v[47:48], s[36:37]
	v_fma_f64 v[43:44], v[39:40], v[43:44], s[56:57]
	s_delay_alu instid0(VALU_DEP_3) | instskip(NEXT) | instid1(VALU_DEP_3)
	v_ldexp_f64 v[31:32], v[31:32], 1
	v_fma_f64 v[47:48], v[45:46], v[47:48], s[38:39]
	s_delay_alu instid0(VALU_DEP_3) | instskip(NEXT) | instid1(VALU_DEP_2)
	v_fma_f64 v[43:44], v[39:40], v[43:44], s[58:59]
	v_fma_f64 v[47:48], v[45:46], v[47:48], s[40:41]
	s_delay_alu instid0(VALU_DEP_2) | instskip(NEXT) | instid1(VALU_DEP_2)
	v_fma_f64 v[43:44], v[39:40], v[43:44], s[60:61]
	v_fma_f64 v[47:48], v[45:46], v[47:48], s[42:43]
	s_delay_alu instid0(VALU_DEP_2) | instskip(NEXT) | instid1(VALU_DEP_2)
	v_fma_f64 v[43:44], v[39:40], v[43:44], s[62:63]
	v_fma_f64 v[45:46], v[45:46], v[47:48], s[100:101]
	s_delay_alu instid0(VALU_DEP_2) | instskip(SKIP_1) | instid1(VALU_DEP_3)
	v_fma_f64 v[43:44], v[39:40], v[43:44], s[64:65]
	v_ldexp_f64 v[47:48], v[41:42], 1
	v_mul_f64 v[45:46], v[49:50], v[45:46]
	s_delay_alu instid0(VALU_DEP_3) | instskip(SKIP_2) | instid1(VALU_DEP_1)
	v_fma_f64 v[43:44], v[39:40], v[43:44], s[66:67]
	v_cvt_f64_i32_e32 v[49:50], v5
	v_ashrrev_i32_e32 v5, 31, v6
	v_dual_cndmask_b32 v6, 0x54442d18, v59 :: v_dual_and_b32 v15, 0x54442d18, v5
	v_and_b32_e32 v5, 0x400921fb, v5
	v_add_f64 v[41:42], v[47:48], v[45:46]
	v_fma_f64 v[43:44], v[39:40], v[43:44], s[68:69]
	v_mul_f64 v[51:52], v[49:50], s[44:45]
	s_delay_alu instid0(VALU_DEP_3) | instskip(NEXT) | instid1(VALU_DEP_3)
	v_add_f64 v[33:34], v[41:42], -v[47:48]
	v_fma_f64 v[43:44], v[39:40], v[43:44], s[70:71]
	s_delay_alu instid0(VALU_DEP_3) | instskip(NEXT) | instid1(VALU_DEP_3)
	v_fma_f64 v[47:48], v[49:50], s[44:45], -v[51:52]
	v_add_f64 v[33:34], v[45:46], -v[33:34]
	s_delay_alu instid0(VALU_DEP_3) | instskip(NEXT) | instid1(VALU_DEP_3)
	v_fma_f64 v[43:44], v[39:40], v[43:44], s[72:73]
	v_fma_f64 v[45:46], v[49:50], s[46:47], v[47:48]
	s_delay_alu instid0(VALU_DEP_3) | instskip(NEXT) | instid1(VALU_DEP_3)
	v_add_f64 v[31:32], v[31:32], v[33:34]
	v_fma_f64 v[33:34], v[39:40], v[43:44], s[74:75]
	s_delay_alu instid0(VALU_DEP_3) | instskip(NEXT) | instid1(VALU_DEP_3)
	v_add_f64 v[43:44], v[51:52], v[45:46]
	v_add_f64 v[47:48], v[41:42], v[31:32]
	s_delay_alu instid0(VALU_DEP_3) | instskip(NEXT) | instid1(VALU_DEP_3)
	v_fma_f64 v[33:34], v[39:40], v[33:34], s[76:77]
	v_add_f64 v[51:52], v[43:44], -v[51:52]
	s_delay_alu instid0(VALU_DEP_3) | instskip(NEXT) | instid1(VALU_DEP_3)
	v_add_f64 v[49:50], v[43:44], v[47:48]
	v_fma_f64 v[33:34], v[39:40], v[33:34], s[78:79]
	v_add_f64 v[41:42], v[47:48], -v[41:42]
	s_delay_alu instid0(VALU_DEP_4) | instskip(NEXT) | instid1(VALU_DEP_4)
	v_add_f64 v[45:46], v[45:46], -v[51:52]
	v_add_f64 v[53:54], v[49:50], -v[43:44]
	s_delay_alu instid0(VALU_DEP_4) | instskip(NEXT) | instid1(VALU_DEP_4)
	v_fma_f64 v[33:34], v[39:40], v[33:34], s[80:81]
	v_add_f64 v[31:32], v[31:32], -v[41:42]
	s_delay_alu instid0(VALU_DEP_3) | instskip(NEXT) | instid1(VALU_DEP_3)
	v_add_f64 v[55:56], v[49:50], -v[53:54]
	v_fma_f64 v[33:34], v[39:40], v[33:34], s[82:83]
	v_add_f64 v[41:42], v[47:48], -v[53:54]
	s_delay_alu instid0(VALU_DEP_4) | instskip(NEXT) | instid1(VALU_DEP_4)
	v_add_f64 v[47:48], v[45:46], v[31:32]
	v_add_f64 v[43:44], v[43:44], -v[55:56]
	s_delay_alu instid0(VALU_DEP_4) | instskip(NEXT) | instid1(VALU_DEP_2)
	v_fma_f64 v[33:34], v[39:40], v[33:34], s[84:85]
	v_add_f64 v[41:42], v[41:42], v[43:44]
	s_delay_alu instid0(VALU_DEP_2) | instskip(SKIP_1) | instid1(VALU_DEP_3)
	v_fma_f64 v[33:34], v[39:40], v[33:34], s[86:87]
	v_add_f64 v[43:44], v[47:48], -v[45:46]
	v_add_f64 v[41:42], v[47:48], v[41:42]
	s_delay_alu instid0(VALU_DEP_3) | instskip(NEXT) | instid1(VALU_DEP_3)
	v_mul_f64 v[33:34], v[39:40], v[33:34]
	v_add_f64 v[39:40], v[47:48], -v[43:44]
	v_add_f64 v[31:32], v[31:32], -v[43:44]
	s_delay_alu instid0(VALU_DEP_4) | instskip(NEXT) | instid1(VALU_DEP_4)
	v_add_f64 v[47:48], v[49:50], v[41:42]
	v_fma_f64 v[13:14], v[13:14], v[33:34], v[13:14]
	s_delay_alu instid0(VALU_DEP_4) | instskip(NEXT) | instid1(VALU_DEP_3)
	v_add_f64 v[33:34], v[45:46], -v[39:40]
	v_add_f64 v[39:40], v[47:48], -v[49:50]
	s_delay_alu instid0(VALU_DEP_3) | instskip(NEXT) | instid1(VALU_DEP_3)
	v_add_f64 v[43:44], -v[13:14], s[88:89]
	v_add_f64 v[31:32], v[31:32], v[33:34]
	s_delay_alu instid0(VALU_DEP_3) | instskip(NEXT) | instid1(VALU_DEP_3)
	v_add_f64 v[33:34], v[41:42], -v[39:40]
	v_cndmask_b32_e64 v14, v14, v44, s6
	s_delay_alu instid0(VALU_DEP_4) | instskip(NEXT) | instid1(VALU_DEP_3)
	v_cndmask_b32_e64 v13, v13, v43, s6
	v_add_f64 v[31:32], v[31:32], v[33:34]
	s_delay_alu instid0(VALU_DEP_2) | instskip(NEXT) | instid1(VALU_DEP_2)
	v_add_f64 v[33:34], -v[13:14], s[16:17]
	v_add_f64 v[31:32], v[47:48], v[31:32]
	s_delay_alu instid0(VALU_DEP_2) | instskip(SKIP_1) | instid1(VALU_DEP_2)
	v_dual_cndmask_b32 v13, v13, v33 :: v_dual_cndmask_b32 v14, v14, v34
	v_cmp_ngt_f64_e32 vcc_lo, 0, v[37:38]
	v_cndmask_b32_e64 v15, v13, v15, s8
	s_delay_alu instid0(VALU_DEP_3) | instskip(SKIP_3) | instid1(VALU_DEP_3)
	v_cndmask_b32_e64 v5, v14, v5, s8
	v_cndmask_b32_e64 v32, v32, v36, s7
	;; [unrolled: 1-line block ×3, first 2 shown]
	v_cmp_nge_f64_e64 s7, 0, v[37:38]
	v_cndmask_b32_e64 v32, v32, 0x7ff00000, s12
	s_delay_alu instid0(VALU_DEP_3) | instskip(NEXT) | instid1(VALU_DEP_2)
	v_cndmask_b32_e64 v13, v31, 0, s12
	v_cndmask_b32_e32 v14, 0x7ff80000, v32, vcc_lo
	s_and_b32 vcc_lo, s11, s10
	v_cndmask_b32_e32 v32, v5, v18, vcc_lo
	v_cndmask_b32_e32 v31, v15, v6, vcc_lo
	v_cndmask_b32_e64 v13, 0, v13, s7
	v_cmp_neq_f64_e64 s7, 0, v[37:38]
	s_delay_alu instid0(VALU_DEP_1)
	v_cndmask_b32_e64 v14, 0xfff00000, v14, s7
.LBB186_63:                             ;   in Loop: Header=BB186_4 Depth=1
	s_or_b32 exec_lo, exec_lo, s9
                                        ; implicit-def: $vgpr35_vgpr36
.LBB186_64:                             ;   in Loop: Header=BB186_4 Depth=1
	s_and_not1_saveexec_b32 s9, s23
	s_cbranch_execz .LBB186_70
; %bb.65:                               ;   in Loop: Header=BB186_4 Depth=1
	s_mov_b32 s10, 0x6a3f9475
	s_mov_b32 s11, 0x20ca2fe7
                                        ; implicit-def: $vgpr13_vgpr14
                                        ; implicit-def: $vgpr31_vgpr32
	s_mov_b32 s7, exec_lo
	v_cmpx_ngt_f64_e32 s[10:11], v[35:36]
	s_xor_b32 s10, exec_lo, s7
	s_cbranch_execz .LBB186_67
; %bb.66:                               ;   in Loop: Header=BB186_4 Depth=1
	v_mul_f64 v[13:14], v[35:36], v[35:36]
	s_mov_b32 s101, s27
	s_mov_b32 s16, s88
	v_cmp_eq_f64_e64 s8, 0, v[7:8]
	v_cmp_class_f64_e64 s11, v[7:8], 0x204
	v_cmp_class_f64_e64 s12, v[5:6], 0x204
	v_cmp_gt_i32_e64 s7, 0, v6
	v_add_f64 v[31:32], v[13:14], 1.0
	s_delay_alu instid0(VALU_DEP_1) | instskip(SKIP_2) | instid1(VALU_DEP_3)
	v_frexp_mant_f64_e32 v[33:34], v[31:32]
	v_frexp_exp_i32_f64_e32 v15, v[31:32]
	v_add_f64 v[35:36], v[31:32], -1.0
	v_cmp_gt_f64_e32 vcc_lo, s[26:27], v[33:34]
	s_delay_alu instid0(VALU_DEP_2) | instskip(SKIP_2) | instid1(VALU_DEP_3)
	v_add_f64 v[33:34], v[35:36], -v[31:32]
	v_add_f64 v[35:36], v[13:14], -v[35:36]
	v_subrev_co_ci_u32_e32 v15, vcc_lo, 0, v15, vcc_lo
	v_add_f64 v[33:34], v[33:34], 1.0
	s_delay_alu instid0(VALU_DEP_2) | instskip(NEXT) | instid1(VALU_DEP_1)
	v_sub_nc_u32_e32 v18, 0, v15
	v_ldexp_f64 v[31:32], v[31:32], v18
	s_delay_alu instid0(VALU_DEP_3) | instskip(NEXT) | instid1(VALU_DEP_2)
	v_add_f64 v[33:34], v[35:36], v[33:34]
	v_add_f64 v[37:38], v[31:32], 1.0
	v_add_f64 v[43:44], v[31:32], -1.0
	s_delay_alu instid0(VALU_DEP_3) | instskip(SKIP_1) | instid1(VALU_DEP_4)
	v_ldexp_f64 v[33:34], v[33:34], v18
	v_cndmask_b32_e64 v18, 0x54442d18, v59, s7
	v_add_f64 v[35:36], v[37:38], -1.0
	s_delay_alu instid0(VALU_DEP_4) | instskip(NEXT) | instid1(VALU_DEP_2)
	v_add_f64 v[45:46], v[43:44], 1.0
	v_add_f64 v[35:36], v[31:32], -v[35:36]
	s_delay_alu instid0(VALU_DEP_2) | instskip(NEXT) | instid1(VALU_DEP_2)
	v_add_f64 v[31:32], v[31:32], -v[45:46]
	v_add_f64 v[35:36], v[33:34], v[35:36]
	s_delay_alu instid0(VALU_DEP_2) | instskip(NEXT) | instid1(VALU_DEP_2)
	v_add_f64 v[31:32], v[33:34], v[31:32]
	v_add_f64 v[39:40], v[37:38], v[35:36]
	s_delay_alu instid0(VALU_DEP_2) | instskip(NEXT) | instid1(VALU_DEP_2)
	v_add_f64 v[45:46], v[43:44], v[31:32]
	v_rcp_f64_e32 v[41:42], v[39:40]
	v_add_f64 v[37:38], v[37:38], -v[39:40]
	s_delay_alu instid0(VALU_DEP_2) | instskip(NEXT) | instid1(VALU_DEP_2)
	v_add_f64 v[43:44], v[43:44], -v[45:46]
	v_add_f64 v[35:36], v[35:36], v[37:38]
	s_waitcnt_depctr 0xfff
	v_fma_f64 v[47:48], -v[39:40], v[41:42], 1.0
	v_add_f64 v[31:32], v[31:32], v[43:44]
	s_delay_alu instid0(VALU_DEP_2) | instskip(NEXT) | instid1(VALU_DEP_1)
	v_fma_f64 v[41:42], v[47:48], v[41:42], v[41:42]
	v_fma_f64 v[33:34], -v[39:40], v[41:42], 1.0
	s_delay_alu instid0(VALU_DEP_1) | instskip(NEXT) | instid1(VALU_DEP_1)
	v_fma_f64 v[33:34], v[33:34], v[41:42], v[41:42]
	v_mul_f64 v[41:42], v[45:46], v[33:34]
	s_delay_alu instid0(VALU_DEP_1) | instskip(NEXT) | instid1(VALU_DEP_1)
	v_mul_f64 v[47:48], v[39:40], v[41:42]
	v_fma_f64 v[37:38], v[41:42], v[39:40], -v[47:48]
	s_delay_alu instid0(VALU_DEP_1) | instskip(NEXT) | instid1(VALU_DEP_1)
	v_fma_f64 v[37:38], v[41:42], v[35:36], v[37:38]
	v_add_f64 v[49:50], v[47:48], v[37:38]
	s_delay_alu instid0(VALU_DEP_1) | instskip(SKIP_2) | instid1(VALU_DEP_3)
	v_add_f64 v[51:52], v[45:46], -v[49:50]
	v_add_f64 v[43:44], v[49:50], -v[47:48]
	v_max_f64 v[47:48], |v[7:8]|, |v[7:8]|
	v_add_f64 v[45:46], v[45:46], -v[51:52]
	s_delay_alu instid0(VALU_DEP_3) | instskip(NEXT) | instid1(VALU_DEP_2)
	v_add_f64 v[37:38], v[43:44], -v[37:38]
	v_add_f64 v[45:46], v[45:46], -v[49:50]
	v_max_f64 v[49:50], |v[5:6]|, |v[5:6]|
	s_delay_alu instid0(VALU_DEP_2) | instskip(NEXT) | instid1(VALU_DEP_2)
	v_add_f64 v[31:32], v[31:32], v[45:46]
	v_max_f64 v[53:54], v[49:50], v[47:48]
	v_min_f64 v[47:48], v[49:50], v[47:48]
	s_delay_alu instid0(VALU_DEP_3) | instskip(NEXT) | instid1(VALU_DEP_1)
	v_add_f64 v[31:32], v[37:38], v[31:32]
	v_add_f64 v[37:38], v[51:52], v[31:32]
	s_delay_alu instid0(VALU_DEP_1) | instskip(SKIP_1) | instid1(VALU_DEP_2)
	v_mul_f64 v[43:44], v[33:34], v[37:38]
	v_add_f64 v[51:52], v[51:52], -v[37:38]
	v_mul_f64 v[45:46], v[39:40], v[43:44]
	s_delay_alu instid0(VALU_DEP_2) | instskip(NEXT) | instid1(VALU_DEP_2)
	v_add_f64 v[31:32], v[31:32], v[51:52]
	v_fma_f64 v[39:40], v[43:44], v[39:40], -v[45:46]
	s_delay_alu instid0(VALU_DEP_1) | instskip(SKIP_1) | instid1(VALU_DEP_2)
	v_fma_f64 v[35:36], v[43:44], v[35:36], v[39:40]
	v_div_scale_f64 v[39:40], null, v[53:54], v[53:54], v[47:48]
	v_add_f64 v[49:50], v[45:46], v[35:36]
	s_delay_alu instid0(VALU_DEP_2) | instskip(NEXT) | instid1(VALU_DEP_1)
	v_rcp_f64_e32 v[55:56], v[39:40]
	v_add_f64 v[57:58], v[37:38], -v[49:50]
	v_add_f64 v[45:46], v[49:50], -v[45:46]
	s_waitcnt_depctr 0xfff
	v_fma_f64 v[61:62], -v[39:40], v[55:56], 1.0
	v_add_f64 v[37:38], v[37:38], -v[57:58]
	v_add_f64 v[35:36], v[45:46], -v[35:36]
	s_delay_alu instid0(VALU_DEP_3) | instskip(NEXT) | instid1(VALU_DEP_3)
	v_fma_f64 v[55:56], v[55:56], v[61:62], v[55:56]
	v_add_f64 v[37:38], v[37:38], -v[49:50]
	s_delay_alu instid0(VALU_DEP_2) | instskip(NEXT) | instid1(VALU_DEP_2)
	v_fma_f64 v[49:50], -v[39:40], v[55:56], 1.0
	v_add_f64 v[31:32], v[31:32], v[37:38]
	v_div_scale_f64 v[37:38], vcc_lo, v[47:48], v[53:54], v[47:48]
	s_delay_alu instid0(VALU_DEP_3) | instskip(SKIP_1) | instid1(VALU_DEP_4)
	v_fma_f64 v[45:46], v[55:56], v[49:50], v[55:56]
	v_add_f64 v[49:50], v[41:42], v[43:44]
	v_add_f64 v[31:32], v[35:36], v[31:32]
	s_delay_alu instid0(VALU_DEP_3) | instskip(NEXT) | instid1(VALU_DEP_3)
	v_mul_f64 v[35:36], v[37:38], v[45:46]
	v_add_f64 v[41:42], v[49:50], -v[41:42]
	s_delay_alu instid0(VALU_DEP_3) | instskip(NEXT) | instid1(VALU_DEP_3)
	v_add_f64 v[31:32], v[57:58], v[31:32]
	v_fma_f64 v[37:38], -v[39:40], v[35:36], v[37:38]
	s_delay_alu instid0(VALU_DEP_3) | instskip(NEXT) | instid1(VALU_DEP_3)
	v_add_f64 v[39:40], v[43:44], -v[41:42]
	v_mul_f64 v[31:32], v[33:34], v[31:32]
	s_delay_alu instid0(VALU_DEP_3) | instskip(SKIP_1) | instid1(VALU_DEP_3)
	v_div_fmas_f64 v[33:34], v[37:38], v[45:46], v[35:36]
	v_cmp_eq_f64_e32 vcc_lo, 0x7ff00000, v[13:14]
	v_add_f64 v[31:32], v[39:40], v[31:32]
	s_delay_alu instid0(VALU_DEP_3) | instskip(NEXT) | instid1(VALU_DEP_2)
	v_div_fixup_f64 v[33:34], v[33:34], v[53:54], v[47:48]
	v_add_f64 v[35:36], v[49:50], v[31:32]
	s_delay_alu instid0(VALU_DEP_2) | instskip(NEXT) | instid1(VALU_DEP_2)
	v_mul_f64 v[37:38], v[33:34], v[33:34]
	v_mul_f64 v[39:40], v[35:36], v[35:36]
	s_delay_alu instid0(VALU_DEP_2) | instskip(NEXT) | instid1(VALU_DEP_2)
	v_fma_f64 v[41:42], v[37:38], s[50:51], s[48:49]
	v_fma_f64 v[43:44], v[39:40], s[30:31], s[28:29]
	v_mul_f64 v[45:46], v[35:36], v[39:40]
	s_delay_alu instid0(VALU_DEP_3) | instskip(NEXT) | instid1(VALU_DEP_3)
	v_fma_f64 v[41:42], v[37:38], v[41:42], s[52:53]
	v_fma_f64 v[43:44], v[39:40], v[43:44], s[36:37]
	s_delay_alu instid0(VALU_DEP_2) | instskip(NEXT) | instid1(VALU_DEP_2)
	v_fma_f64 v[41:42], v[37:38], v[41:42], s[54:55]
	v_fma_f64 v[43:44], v[39:40], v[43:44], s[38:39]
	s_delay_alu instid0(VALU_DEP_2) | instskip(NEXT) | instid1(VALU_DEP_2)
	;; [unrolled: 3-line block ×4, first 2 shown]
	v_fma_f64 v[41:42], v[37:38], v[41:42], s[60:61]
	v_fma_f64 v[39:40], v[39:40], v[43:44], s[100:101]
	v_ldexp_f64 v[43:44], v[35:36], 1
	v_add_f64 v[35:36], v[35:36], -v[49:50]
	s_delay_alu instid0(VALU_DEP_4) | instskip(NEXT) | instid1(VALU_DEP_4)
	v_fma_f64 v[41:42], v[37:38], v[41:42], s[62:63]
	v_mul_f64 v[39:40], v[45:46], v[39:40]
	v_cvt_f64_i32_e32 v[45:46], v15
	s_delay_alu instid0(VALU_DEP_4) | instskip(NEXT) | instid1(VALU_DEP_4)
	v_add_f64 v[31:32], v[31:32], -v[35:36]
	v_fma_f64 v[41:42], v[37:38], v[41:42], s[64:65]
	v_ashrrev_i32_e32 v15, 31, v6
	v_add_f64 v[47:48], v[43:44], v[39:40]
	v_mul_f64 v[49:50], v[45:46], s[44:45]
	v_ldexp_f64 v[31:32], v[31:32], 1
	v_fma_f64 v[41:42], v[37:38], v[41:42], s[66:67]
	s_delay_alu instid0(VALU_DEP_4) | instskip(NEXT) | instid1(VALU_DEP_4)
	v_add_f64 v[35:36], v[47:48], -v[43:44]
	v_fma_f64 v[43:44], v[45:46], s[44:45], -v[49:50]
	s_delay_alu instid0(VALU_DEP_3) | instskip(NEXT) | instid1(VALU_DEP_3)
	v_fma_f64 v[41:42], v[37:38], v[41:42], s[68:69]
	v_add_f64 v[35:36], v[39:40], -v[35:36]
	s_delay_alu instid0(VALU_DEP_2) | instskip(NEXT) | instid1(VALU_DEP_4)
	v_fma_f64 v[39:40], v[37:38], v[41:42], s[70:71]
	v_fma_f64 v[41:42], v[45:46], s[46:47], v[43:44]
	s_delay_alu instid0(VALU_DEP_3) | instskip(NEXT) | instid1(VALU_DEP_3)
	v_add_f64 v[31:32], v[31:32], v[35:36]
	v_fma_f64 v[35:36], v[37:38], v[39:40], s[72:73]
	s_delay_alu instid0(VALU_DEP_3) | instskip(NEXT) | instid1(VALU_DEP_3)
	v_add_f64 v[39:40], v[49:50], v[41:42]
	v_add_f64 v[43:44], v[47:48], v[31:32]
	s_delay_alu instid0(VALU_DEP_3) | instskip(NEXT) | instid1(VALU_DEP_3)
	v_fma_f64 v[35:36], v[37:38], v[35:36], s[74:75]
	v_add_f64 v[49:50], v[39:40], -v[49:50]
	s_delay_alu instid0(VALU_DEP_3) | instskip(SKIP_1) | instid1(VALU_DEP_4)
	v_add_f64 v[45:46], v[39:40], v[43:44]
	v_add_f64 v[47:48], v[43:44], -v[47:48]
	v_fma_f64 v[35:36], v[37:38], v[35:36], s[76:77]
	s_delay_alu instid0(VALU_DEP_4) | instskip(NEXT) | instid1(VALU_DEP_4)
	v_add_f64 v[41:42], v[41:42], -v[49:50]
	v_add_f64 v[51:52], v[45:46], -v[39:40]
	s_delay_alu instid0(VALU_DEP_4) | instskip(NEXT) | instid1(VALU_DEP_4)
	v_add_f64 v[31:32], v[31:32], -v[47:48]
	v_fma_f64 v[35:36], v[37:38], v[35:36], s[78:79]
	s_delay_alu instid0(VALU_DEP_3) | instskip(SKIP_1) | instid1(VALU_DEP_4)
	v_add_f64 v[53:54], v[45:46], -v[51:52]
	v_add_f64 v[43:44], v[43:44], -v[51:52]
	v_add_f64 v[47:48], v[41:42], v[31:32]
	s_delay_alu instid0(VALU_DEP_4) | instskip(NEXT) | instid1(VALU_DEP_4)
	v_fma_f64 v[35:36], v[37:38], v[35:36], s[80:81]
	v_add_f64 v[39:40], v[39:40], -v[53:54]
	s_delay_alu instid0(VALU_DEP_2) | instskip(NEXT) | instid1(VALU_DEP_2)
	v_fma_f64 v[35:36], v[37:38], v[35:36], s[82:83]
	v_add_f64 v[39:40], v[43:44], v[39:40]
	v_add_f64 v[43:44], v[47:48], -v[41:42]
	s_delay_alu instid0(VALU_DEP_3) | instskip(NEXT) | instid1(VALU_DEP_3)
	v_fma_f64 v[35:36], v[37:38], v[35:36], s[84:85]
	v_add_f64 v[39:40], v[47:48], v[39:40]
	s_delay_alu instid0(VALU_DEP_3) | instskip(SKIP_1) | instid1(VALU_DEP_4)
	v_add_f64 v[47:48], v[47:48], -v[43:44]
	v_add_f64 v[31:32], v[31:32], -v[43:44]
	v_fma_f64 v[35:36], v[37:38], v[35:36], s[86:87]
	s_delay_alu instid0(VALU_DEP_4) | instskip(NEXT) | instid1(VALU_DEP_2)
	v_add_f64 v[49:50], v[45:46], v[39:40]
	v_mul_f64 v[35:36], v[37:38], v[35:36]
	v_add_f64 v[37:38], v[41:42], -v[47:48]
	s_delay_alu instid0(VALU_DEP_3) | instskip(NEXT) | instid1(VALU_DEP_3)
	v_add_f64 v[41:42], v[49:50], -v[45:46]
	v_fma_f64 v[33:34], v[33:34], v[35:36], v[33:34]
	s_delay_alu instid0(VALU_DEP_3) | instskip(NEXT) | instid1(VALU_DEP_3)
	v_add_f64 v[31:32], v[31:32], v[37:38]
	v_add_f64 v[35:36], v[39:40], -v[41:42]
	s_delay_alu instid0(VALU_DEP_3) | instskip(NEXT) | instid1(VALU_DEP_2)
	v_add_f64 v[37:38], -v[33:34], s[88:89]
	v_add_f64 v[31:32], v[31:32], v[35:36]
	s_delay_alu instid0(VALU_DEP_2) | instskip(NEXT) | instid1(VALU_DEP_3)
	v_cndmask_b32_e64 v34, v34, v38, s6
	v_cndmask_b32_e64 v33, v33, v37, s6
	s_delay_alu instid0(VALU_DEP_1) | instskip(NEXT) | instid1(VALU_DEP_4)
	v_add_f64 v[35:36], -v[33:34], s[16:17]
	v_add_f64 v[31:32], v[49:50], v[31:32]
	v_and_b32_e32 v37, 0x54442d18, v15
	s_delay_alu instid0(VALU_DEP_3) | instskip(NEXT) | instid1(VALU_DEP_3)
	v_cndmask_b32_e64 v33, v33, v35, s7
	v_dual_cndmask_b32 v6, v32, v14 :: v_dual_cndmask_b32 v5, v31, v13
	s_delay_alu instid0(VALU_DEP_2) | instskip(SKIP_1) | instid1(VALU_DEP_2)
	v_cndmask_b32_e64 v31, v33, v37, s8
	s_and_b32 vcc_lo, s11, s12
	v_mul_f64 v[13:14], v[5:6], 0.5
	v_and_b32_e32 v6, 0x400921fb, v15
	v_cndmask_b32_e64 v5, 0x3fe921fb, v60, s7
	v_cndmask_b32_e64 v15, v34, v36, s7
                                        ; implicit-def: $vgpr35_vgpr36
	v_cndmask_b32_e32 v31, v31, v18, vcc_lo
	s_delay_alu instid0(VALU_DEP_3) | instskip(NEXT) | instid1(VALU_DEP_3)
	v_bfi_b32 v5, 0x7fffffff, v5, v8
	v_cndmask_b32_e64 v6, v15, v6, s8
	s_delay_alu instid0(VALU_DEP_1)
	v_cndmask_b32_e32 v32, v6, v5, vcc_lo
.LBB186_67:                             ;   in Loop: Header=BB186_4 Depth=1
	s_and_not1_saveexec_b32 s8, s10
	s_cbranch_execz .LBB186_69
; %bb.68:                               ;   in Loop: Header=BB186_4 Depth=1
	v_max_f64 v[13:14], |v[7:8]|, |v[7:8]|
	v_max_f64 v[31:32], |v[5:6]|, |v[5:6]|
	s_mov_b32 s16, s88
	v_cmp_eq_f64_e64 s7, 0, v[7:8]
	v_cmp_class_f64_e64 s10, v[7:8], 0x204
	v_cmp_class_f64_e64 s11, v[5:6], 0x204
	v_ashrrev_i32_e32 v18, 31, v6
	v_max_f64 v[33:34], v[31:32], v[13:14]
	v_min_f64 v[13:14], v[31:32], v[13:14]
	s_delay_alu instid0(VALU_DEP_1) | instskip(SKIP_1) | instid1(VALU_DEP_2)
	v_div_scale_f64 v[31:32], null, v[33:34], v[33:34], v[13:14]
	v_div_scale_f64 v[41:42], vcc_lo, v[13:14], v[33:34], v[13:14]
	v_rcp_f64_e32 v[37:38], v[31:32]
	s_waitcnt_depctr 0xfff
	v_fma_f64 v[39:40], -v[31:32], v[37:38], 1.0
	s_delay_alu instid0(VALU_DEP_1) | instskip(NEXT) | instid1(VALU_DEP_1)
	v_fma_f64 v[37:38], v[37:38], v[39:40], v[37:38]
	v_fma_f64 v[39:40], -v[31:32], v[37:38], 1.0
	s_delay_alu instid0(VALU_DEP_1) | instskip(NEXT) | instid1(VALU_DEP_1)
	v_fma_f64 v[37:38], v[37:38], v[39:40], v[37:38]
	v_mul_f64 v[39:40], v[41:42], v[37:38]
	s_delay_alu instid0(VALU_DEP_1) | instskip(NEXT) | instid1(VALU_DEP_1)
	v_fma_f64 v[31:32], -v[31:32], v[39:40], v[41:42]
	v_div_fmas_f64 v[31:32], v[31:32], v[37:38], v[39:40]
	v_cmp_gt_i32_e32 vcc_lo, 0, v6
	v_and_b32_e32 v38, 0x54442d18, v18
	v_and_b32_e32 v6, 0x400921fb, v18
	v_cndmask_b32_e32 v5, 0x3fe921fb, v60, vcc_lo
	v_cndmask_b32_e32 v37, 0x54442d18, v59, vcc_lo
	s_delay_alu instid0(VALU_DEP_2) | instskip(SKIP_1) | instid1(VALU_DEP_1)
	v_bfi_b32 v5, 0x7fffffff, v5, v8
	v_div_fixup_f64 v[13:14], v[31:32], v[33:34], v[13:14]
	v_mul_f64 v[31:32], v[13:14], v[13:14]
	s_delay_alu instid0(VALU_DEP_1) | instskip(NEXT) | instid1(VALU_DEP_1)
	v_fma_f64 v[33:34], v[31:32], s[50:51], s[48:49]
	v_fma_f64 v[33:34], v[31:32], v[33:34], s[52:53]
	s_delay_alu instid0(VALU_DEP_1) | instskip(NEXT) | instid1(VALU_DEP_1)
	v_fma_f64 v[33:34], v[31:32], v[33:34], s[54:55]
	v_fma_f64 v[33:34], v[31:32], v[33:34], s[56:57]
	;; [unrolled: 3-line block ×9, first 2 shown]
	s_delay_alu instid0(VALU_DEP_1) | instskip(NEXT) | instid1(VALU_DEP_1)
	v_fma_f64 v[33:34], v[31:32], v[33:34], s[86:87]
	v_mul_f64 v[31:32], v[31:32], v[33:34]
	v_mul_f64 v[33:34], v[35:36], 0.5
	s_delay_alu instid0(VALU_DEP_2) | instskip(NEXT) | instid1(VALU_DEP_1)
	v_fma_f64 v[13:14], v[13:14], v[31:32], v[13:14]
	v_add_f64 v[31:32], -v[13:14], s[88:89]
	s_delay_alu instid0(VALU_DEP_1) | instskip(NEXT) | instid1(VALU_DEP_2)
	v_cndmask_b32_e64 v15, v14, v32, s6
	v_cndmask_b32_e64 v14, v13, v31, s6
	s_delay_alu instid0(VALU_DEP_1) | instskip(NEXT) | instid1(VALU_DEP_1)
	v_add_f64 v[31:32], -v[14:15], s[16:17]
	v_cndmask_b32_e32 v31, v14, v31, vcc_lo
	v_mul_f64 v[13:14], v[35:36], v[33:34]
	s_delay_alu instid0(VALU_DEP_3) | instskip(SKIP_1) | instid1(VALU_DEP_3)
	v_cndmask_b32_e32 v15, v15, v32, vcc_lo
	s_and_b32 vcc_lo, s10, s11
	v_cndmask_b32_e64 v18, v31, v38, s7
	s_delay_alu instid0(VALU_DEP_2) | instskip(NEXT) | instid1(VALU_DEP_2)
	v_cndmask_b32_e64 v6, v15, v6, s7
	v_cndmask_b32_e32 v31, v18, v37, vcc_lo
	s_delay_alu instid0(VALU_DEP_2)
	v_cndmask_b32_e32 v32, v6, v5, vcc_lo
.LBB186_69:                             ;   in Loop: Header=BB186_4 Depth=1
	s_or_b32 exec_lo, exec_lo, s8
.LBB186_70:                             ;   in Loop: Header=BB186_4 Depth=1
	s_delay_alu instid0(SALU_CYCLE_1)
	s_or_b32 exec_lo, exec_lo, s9
.LBB186_71:                             ;   in Loop: Header=BB186_4 Depth=1
	s_and_not1_saveexec_b32 s9, s22
	s_cbranch_execz .LBB186_73
; %bb.72:                               ;   in Loop: Header=BB186_4 Depth=1
	v_div_scale_f64 v[13:14], null, s[94:95], s[94:95], v[5:6]
	v_div_scale_f64 v[31:32], null, s[94:95], s[94:95], v[7:8]
	v_div_scale_f64 v[41:42], vcc_lo, v[5:6], s[94:95], v[5:6]
	v_max_f64 v[45:46], |v[5:6]|, |v[5:6]|
	s_mov_b32 s101, s27
	s_mov_b32 s16, s88
	s_delay_alu instid0(VALU_DEP_4) | instskip(NEXT) | instid1(VALU_DEP_3)
	v_rcp_f64_e32 v[33:34], v[13:14]
	v_rcp_f64_e32 v[35:36], v[31:32]
	s_waitcnt_depctr 0xfff
	v_fma_f64 v[37:38], -v[13:14], v[33:34], 1.0
	v_fma_f64 v[39:40], -v[31:32], v[35:36], 1.0
	s_delay_alu instid0(VALU_DEP_2) | instskip(NEXT) | instid1(VALU_DEP_2)
	v_fma_f64 v[33:34], v[33:34], v[37:38], v[33:34]
	v_fma_f64 v[35:36], v[35:36], v[39:40], v[35:36]
	s_delay_alu instid0(VALU_DEP_2) | instskip(NEXT) | instid1(VALU_DEP_2)
	v_fma_f64 v[37:38], -v[13:14], v[33:34], 1.0
	v_fma_f64 v[39:40], -v[31:32], v[35:36], 1.0
	s_delay_alu instid0(VALU_DEP_2) | instskip(SKIP_1) | instid1(VALU_DEP_3)
	v_fma_f64 v[33:34], v[33:34], v[37:38], v[33:34]
	v_div_scale_f64 v[37:38], s7, v[7:8], s[94:95], v[7:8]
	v_fma_f64 v[35:36], v[35:36], v[39:40], v[35:36]
	s_delay_alu instid0(VALU_DEP_3) | instskip(NEXT) | instid1(VALU_DEP_2)
	v_mul_f64 v[39:40], v[41:42], v[33:34]
	v_mul_f64 v[43:44], v[37:38], v[35:36]
	s_delay_alu instid0(VALU_DEP_2) | instskip(NEXT) | instid1(VALU_DEP_2)
	v_fma_f64 v[13:14], -v[13:14], v[39:40], v[41:42]
	v_fma_f64 v[31:32], -v[31:32], v[43:44], v[37:38]
	s_delay_alu instid0(VALU_DEP_2) | instskip(SKIP_1) | instid1(VALU_DEP_2)
	v_div_fmas_f64 v[13:14], v[13:14], v[33:34], v[39:40]
	s_mov_b32 vcc_lo, s7
	v_div_fmas_f64 v[31:32], v[31:32], v[35:36], v[43:44]
	s_delay_alu instid0(VALU_DEP_2) | instskip(NEXT) | instid1(VALU_DEP_2)
	v_div_fixup_f64 v[13:14], v[13:14], s[94:95], v[5:6]
	v_div_fixup_f64 v[31:32], v[31:32], s[94:95], v[7:8]
	s_delay_alu instid0(VALU_DEP_2) | instskip(NEXT) | instid1(VALU_DEP_2)
	v_cmp_class_f64_e64 s8, v[13:14], 0x204
	v_max_f64 v[33:34], |v[13:14]|, |v[31:32]|
	v_cmp_o_f64_e64 s7, v[13:14], v[31:32]
	v_cmp_class_f64_e64 s10, v[31:32], 0x204
	s_delay_alu instid0(VALU_DEP_3) | instskip(NEXT) | instid1(VALU_DEP_2)
	v_frexp_exp_i32_f64_e32 v15, v[33:34]
	s_or_b32 s10, s10, s8
	s_delay_alu instid0(VALU_DEP_1) | instskip(NEXT) | instid1(VALU_DEP_1)
	v_sub_nc_u32_e32 v18, 0, v15
	v_ldexp_f64 v[33:34], |v[31:32]|, v18
	v_ldexp_f64 v[35:36], |v[13:14]|, v18
	s_delay_alu instid0(VALU_DEP_2) | instskip(NEXT) | instid1(VALU_DEP_1)
	v_mul_f64 v[33:34], v[33:34], v[33:34]
	v_fma_f64 v[33:34], v[35:36], v[35:36], v[33:34]
	s_delay_alu instid0(VALU_DEP_1) | instskip(SKIP_4) | instid1(VALU_DEP_1)
	v_rsq_f64_e32 v[35:36], v[33:34]
	v_cmp_eq_f64_e32 vcc_lo, 0, v[33:34]
	s_waitcnt_depctr 0xfff
	v_mul_f64 v[37:38], v[33:34], v[35:36]
	v_mul_f64 v[35:36], v[35:36], 0.5
	v_fma_f64 v[39:40], -v[35:36], v[37:38], 0.5
	s_delay_alu instid0(VALU_DEP_1) | instskip(SKIP_1) | instid1(VALU_DEP_2)
	v_fma_f64 v[37:38], v[37:38], v[39:40], v[37:38]
	v_fma_f64 v[35:36], v[35:36], v[39:40], v[35:36]
	v_fma_f64 v[39:40], -v[37:38], v[37:38], v[33:34]
	s_delay_alu instid0(VALU_DEP_1) | instskip(NEXT) | instid1(VALU_DEP_1)
	v_fma_f64 v[35:36], v[39:40], v[35:36], v[37:38]
	v_dual_cndmask_b32 v34, v36, v34 :: v_dual_cndmask_b32 v33, v35, v33
	s_delay_alu instid0(VALU_DEP_1) | instskip(NEXT) | instid1(VALU_DEP_1)
	v_ldexp_f64 v[33:34], v[33:34], v15
	v_cndmask_b32_e64 v13, 0, v33, s7
	s_delay_alu instid0(VALU_DEP_2) | instskip(NEXT) | instid1(VALU_DEP_2)
	v_cndmask_b32_e64 v57, 0x7ff80000, v34, s7
	v_cndmask_b32_e64 v14, v13, 0, s10
	s_delay_alu instid0(VALU_DEP_2) | instskip(NEXT) | instid1(VALU_DEP_1)
	v_cndmask_b32_e64 v15, v57, 0x7ff00000, s10
	v_frexp_mant_f64_e32 v[31:32], v[14:15]
	s_delay_alu instid0(VALU_DEP_1) | instskip(NEXT) | instid1(VALU_DEP_1)
	v_cmp_gt_f64_e64 s8, s[26:27], v[31:32]
	v_cndmask_b32_e64 v18, 0x3ff00000, 2.0, s8
	s_delay_alu instid0(VALU_DEP_1) | instskip(SKIP_1) | instid1(VALU_DEP_2)
	v_mul_f64 v[31:32], v[31:32], v[17:18]
	v_frexp_exp_i32_f64_e32 v18, v[14:15]
	v_add_f64 v[35:36], v[31:32], 1.0
	v_add_f64 v[41:42], v[31:32], -1.0
	s_delay_alu instid0(VALU_DEP_2) | instskip(SKIP_1) | instid1(VALU_DEP_1)
	v_rcp_f64_e32 v[37:38], v[35:36]
	v_add_f64 v[47:48], v[35:36], -1.0
	v_add_f64 v[31:32], v[31:32], -v[47:48]
	s_waitcnt_depctr 0xfff
	v_fma_f64 v[39:40], -v[35:36], v[37:38], 1.0
	s_delay_alu instid0(VALU_DEP_1) | instskip(NEXT) | instid1(VALU_DEP_1)
	v_fma_f64 v[37:38], v[39:40], v[37:38], v[37:38]
	v_fma_f64 v[39:40], -v[35:36], v[37:38], 1.0
	s_delay_alu instid0(VALU_DEP_1) | instskip(SKIP_1) | instid1(VALU_DEP_2)
	v_fma_f64 v[37:38], v[39:40], v[37:38], v[37:38]
	v_max_f64 v[39:40], |v[7:8]|, |v[7:8]|
	v_mul_f64 v[43:44], v[41:42], v[37:38]
	s_delay_alu instid0(VALU_DEP_2) | instskip(SKIP_1) | instid1(VALU_DEP_3)
	v_max_f64 v[51:52], v[45:46], v[39:40]
	v_min_f64 v[39:40], v[45:46], v[39:40]
	v_mul_f64 v[49:50], v[35:36], v[43:44]
	s_delay_alu instid0(VALU_DEP_2) | instskip(NEXT) | instid1(VALU_DEP_2)
	v_div_scale_f64 v[45:46], null, v[51:52], v[51:52], v[39:40]
	v_fma_f64 v[35:36], v[43:44], v[35:36], -v[49:50]
	s_delay_alu instid0(VALU_DEP_1) | instskip(NEXT) | instid1(VALU_DEP_3)
	v_fma_f64 v[31:32], v[43:44], v[31:32], v[35:36]
	v_rcp_f64_e32 v[35:36], v[45:46]
	s_delay_alu instid0(VALU_DEP_1) | instskip(SKIP_4) | instid1(VALU_DEP_3)
	v_add_f64 v[47:48], v[49:50], v[31:32]
	s_waitcnt_depctr 0xfff
	v_fma_f64 v[53:54], -v[45:46], v[35:36], 1.0
	v_add_f64 v[55:56], v[41:42], -v[47:48]
	v_add_f64 v[49:50], v[47:48], -v[49:50]
	v_fma_f64 v[35:36], v[35:36], v[53:54], v[35:36]
	s_delay_alu instid0(VALU_DEP_3) | instskip(NEXT) | instid1(VALU_DEP_3)
	v_add_f64 v[41:42], v[41:42], -v[55:56]
	v_add_f64 v[31:32], v[49:50], -v[31:32]
	s_delay_alu instid0(VALU_DEP_3) | instskip(NEXT) | instid1(VALU_DEP_3)
	v_fma_f64 v[53:54], -v[45:46], v[35:36], 1.0
	v_add_f64 v[41:42], v[41:42], -v[47:48]
	v_div_scale_f64 v[47:48], vcc_lo, v[39:40], v[51:52], v[39:40]
	s_delay_alu instid0(VALU_DEP_3) | instskip(NEXT) | instid1(VALU_DEP_3)
	v_fma_f64 v[35:36], v[35:36], v[53:54], v[35:36]
	v_add_f64 v[31:32], v[31:32], v[41:42]
	s_delay_alu instid0(VALU_DEP_2) | instskip(NEXT) | instid1(VALU_DEP_2)
	v_mul_f64 v[41:42], v[47:48], v[35:36]
	v_add_f64 v[31:32], v[55:56], v[31:32]
	s_delay_alu instid0(VALU_DEP_2) | instskip(NEXT) | instid1(VALU_DEP_2)
	v_fma_f64 v[45:46], -v[45:46], v[41:42], v[47:48]
	v_mul_f64 v[31:32], v[37:38], v[31:32]
	s_delay_alu instid0(VALU_DEP_2) | instskip(SKIP_2) | instid1(VALU_DEP_4)
	v_div_fmas_f64 v[35:36], v[45:46], v[35:36], v[41:42]
	v_subrev_co_ci_u32_e64 v18, vcc_lo, 0, v18, s8
	v_cmp_class_f64_e64 s8, v[5:6], 0x204
	v_add_f64 v[37:38], v[43:44], v[31:32]
	s_delay_alu instid0(VALU_DEP_4) | instskip(NEXT) | instid1(VALU_DEP_2)
	v_div_fixup_f64 v[35:36], v[35:36], v[51:52], v[39:40]
	v_mul_f64 v[39:40], v[37:38], v[37:38]
	s_delay_alu instid0(VALU_DEP_2) | instskip(NEXT) | instid1(VALU_DEP_2)
	v_mul_f64 v[41:42], v[35:36], v[35:36]
	v_fma_f64 v[45:46], v[39:40], s[30:31], s[28:29]
	v_mul_f64 v[49:50], v[37:38], v[39:40]
	s_delay_alu instid0(VALU_DEP_3) | instskip(NEXT) | instid1(VALU_DEP_3)
	v_fma_f64 v[47:48], v[41:42], s[50:51], s[48:49]
	v_fma_f64 v[45:46], v[39:40], v[45:46], s[36:37]
	s_delay_alu instid0(VALU_DEP_2) | instskip(NEXT) | instid1(VALU_DEP_2)
	v_fma_f64 v[47:48], v[41:42], v[47:48], s[52:53]
	v_fma_f64 v[45:46], v[39:40], v[45:46], s[38:39]
	s_delay_alu instid0(VALU_DEP_2) | instskip(NEXT) | instid1(VALU_DEP_2)
	;; [unrolled: 3-line block ×4, first 2 shown]
	v_fma_f64 v[47:48], v[41:42], v[47:48], s[58:59]
	v_fma_f64 v[39:40], v[39:40], v[45:46], s[100:101]
	s_delay_alu instid0(VALU_DEP_2) | instskip(SKIP_2) | instid1(VALU_DEP_4)
	v_fma_f64 v[45:46], v[41:42], v[47:48], s[60:61]
	v_ldexp_f64 v[47:48], v[37:38], 1
	v_add_f64 v[37:38], v[37:38], -v[43:44]
	v_mul_f64 v[39:40], v[49:50], v[39:40]
	v_cvt_f64_i32_e32 v[49:50], v18
	v_ashrrev_i32_e32 v18, 31, v6
	v_fma_f64 v[45:46], v[41:42], v[45:46], s[62:63]
	v_add_f64 v[31:32], v[31:32], -v[37:38]
	v_add_f64 v[43:44], v[47:48], v[39:40]
	v_mul_f64 v[51:52], v[49:50], s[44:45]
	s_delay_alu instid0(VALU_DEP_4) | instskip(NEXT) | instid1(VALU_DEP_4)
	v_fma_f64 v[45:46], v[41:42], v[45:46], s[64:65]
	v_ldexp_f64 v[31:32], v[31:32], 1
	s_delay_alu instid0(VALU_DEP_4) | instskip(NEXT) | instid1(VALU_DEP_4)
	v_add_f64 v[37:38], v[43:44], -v[47:48]
	v_fma_f64 v[47:48], v[49:50], s[44:45], -v[51:52]
	s_delay_alu instid0(VALU_DEP_4) | instskip(NEXT) | instid1(VALU_DEP_3)
	v_fma_f64 v[45:46], v[41:42], v[45:46], s[66:67]
	v_add_f64 v[37:38], v[39:40], -v[37:38]
	s_delay_alu instid0(VALU_DEP_2) | instskip(NEXT) | instid1(VALU_DEP_4)
	v_fma_f64 v[39:40], v[41:42], v[45:46], s[68:69]
	v_fma_f64 v[45:46], v[49:50], s[46:47], v[47:48]
	s_delay_alu instid0(VALU_DEP_3) | instskip(NEXT) | instid1(VALU_DEP_3)
	v_add_f64 v[31:32], v[31:32], v[37:38]
	v_fma_f64 v[37:38], v[41:42], v[39:40], s[70:71]
	s_delay_alu instid0(VALU_DEP_3) | instskip(NEXT) | instid1(VALU_DEP_3)
	v_add_f64 v[39:40], v[51:52], v[45:46]
	v_add_f64 v[47:48], v[43:44], v[31:32]
	s_delay_alu instid0(VALU_DEP_3) | instskip(NEXT) | instid1(VALU_DEP_3)
	v_fma_f64 v[37:38], v[41:42], v[37:38], s[72:73]
	v_add_f64 v[51:52], v[39:40], -v[51:52]
	s_delay_alu instid0(VALU_DEP_3) | instskip(SKIP_1) | instid1(VALU_DEP_4)
	v_add_f64 v[49:50], v[39:40], v[47:48]
	v_add_f64 v[43:44], v[47:48], -v[43:44]
	v_fma_f64 v[37:38], v[41:42], v[37:38], s[74:75]
	s_delay_alu instid0(VALU_DEP_4) | instskip(NEXT) | instid1(VALU_DEP_4)
	v_add_f64 v[45:46], v[45:46], -v[51:52]
	v_add_f64 v[53:54], v[49:50], -v[39:40]
	s_delay_alu instid0(VALU_DEP_4) | instskip(NEXT) | instid1(VALU_DEP_4)
	v_add_f64 v[31:32], v[31:32], -v[43:44]
	v_fma_f64 v[37:38], v[41:42], v[37:38], s[76:77]
	s_delay_alu instid0(VALU_DEP_3) | instskip(SKIP_1) | instid1(VALU_DEP_4)
	v_add_f64 v[55:56], v[49:50], -v[53:54]
	v_add_f64 v[43:44], v[47:48], -v[53:54]
	v_add_f64 v[47:48], v[45:46], v[31:32]
	s_delay_alu instid0(VALU_DEP_4) | instskip(NEXT) | instid1(VALU_DEP_4)
	v_fma_f64 v[37:38], v[41:42], v[37:38], s[78:79]
	v_add_f64 v[39:40], v[39:40], -v[55:56]
	s_delay_alu instid0(VALU_DEP_2) | instskip(NEXT) | instid1(VALU_DEP_2)
	v_fma_f64 v[37:38], v[41:42], v[37:38], s[80:81]
	v_add_f64 v[39:40], v[43:44], v[39:40]
	v_add_f64 v[43:44], v[47:48], -v[45:46]
	s_delay_alu instid0(VALU_DEP_3) | instskip(NEXT) | instid1(VALU_DEP_3)
	v_fma_f64 v[37:38], v[41:42], v[37:38], s[82:83]
	v_add_f64 v[39:40], v[47:48], v[39:40]
	s_delay_alu instid0(VALU_DEP_3) | instskip(SKIP_1) | instid1(VALU_DEP_4)
	v_add_f64 v[47:48], v[47:48], -v[43:44]
	v_add_f64 v[31:32], v[31:32], -v[43:44]
	v_fma_f64 v[37:38], v[41:42], v[37:38], s[84:85]
	s_delay_alu instid0(VALU_DEP_4) | instskip(NEXT) | instid1(VALU_DEP_4)
	v_add_f64 v[51:52], v[49:50], v[39:40]
	v_add_f64 v[43:44], v[45:46], -v[47:48]
	s_delay_alu instid0(VALU_DEP_3) | instskip(NEXT) | instid1(VALU_DEP_3)
	v_fma_f64 v[37:38], v[41:42], v[37:38], s[86:87]
	v_add_f64 v[45:46], v[51:52], -v[49:50]
	s_delay_alu instid0(VALU_DEP_3) | instskip(NEXT) | instid1(VALU_DEP_3)
	v_add_f64 v[31:32], v[31:32], v[43:44]
	v_mul_f64 v[37:38], v[41:42], v[37:38]
	s_delay_alu instid0(VALU_DEP_3) | instskip(NEXT) | instid1(VALU_DEP_2)
	v_add_f64 v[39:40], v[39:40], -v[45:46]
	v_fma_f64 v[35:36], v[35:36], v[37:38], v[35:36]
	s_delay_alu instid0(VALU_DEP_2) | instskip(NEXT) | instid1(VALU_DEP_2)
	v_add_f64 v[31:32], v[31:32], v[39:40]
	v_add_f64 v[37:38], -v[35:36], s[88:89]
	s_delay_alu instid0(VALU_DEP_2) | instskip(SKIP_1) | instid1(VALU_DEP_1)
	v_add_f64 v[31:32], v[51:52], v[31:32]
	v_and_b32_e32 v34, 0x7fffffff, v34
	v_cmp_eq_f64_e32 vcc_lo, 0x7ff00000, v[33:34]
	s_delay_alu instid0(VALU_DEP_4) | instskip(SKIP_2) | instid1(VALU_DEP_2)
	v_cndmask_b32_e64 v34, v36, v38, s6
	v_cndmask_b32_e64 v33, v35, v37, s6
	v_cmp_eq_f64_e64 s6, 0, v[7:8]
	v_add_f64 v[35:36], -v[33:34], s[16:17]
	s_and_b32 vcc_lo, s7, vcc_lo
	v_cmp_class_f64_e64 s7, v[7:8], 0x204
	v_cndmask_b32_e32 v31, v31, v13, vcc_lo
	v_dual_cndmask_b32 v32, v32, v57 :: v_dual_and_b32 v13, 0x54442d18, v18
	v_cmp_gt_i32_e32 vcc_lo, 0, v6
	v_and_b32_e32 v6, 0x400921fb, v18
	s_delay_alu instid0(VALU_DEP_3) | instskip(SKIP_3) | instid1(VALU_DEP_3)
	v_add_f64 v[31:32], v[31:32], 1.0
	v_cndmask_b32_e32 v33, v33, v35, vcc_lo
	v_cndmask_b32_e32 v37, 0x54442d18, v59, vcc_lo
	;; [unrolled: 1-line block ×3, first 2 shown]
	v_cndmask_b32_e64 v33, v33, v13, s6
	v_cndmask_b32_e32 v18, v34, v36, vcc_lo
	v_cmp_ngt_f64_e32 vcc_lo, 0, v[14:15]
	s_delay_alu instid0(VALU_DEP_4) | instskip(NEXT) | instid1(VALU_DEP_3)
	v_bfi_b32 v5, 0x7fffffff, v5, v8
	v_cndmask_b32_e64 v6, v18, v6, s6
	v_cmp_nge_f64_e64 s6, 0, v[14:15]
	v_cndmask_b32_e64 v13, v31, 0, s10
	v_cndmask_b32_e64 v32, v32, 0x7ff00000, s10
	s_delay_alu instid0(VALU_DEP_1)
	v_cndmask_b32_e32 v18, 0x7ff80000, v32, vcc_lo
	s_and_b32 vcc_lo, s7, s8
	v_cndmask_b32_e32 v31, v33, v37, vcc_lo
	v_cndmask_b32_e32 v32, v6, v5, vcc_lo
	v_cndmask_b32_e64 v13, 0, v13, s6
	v_cmp_neq_f64_e64 s6, 0, v[14:15]
	s_delay_alu instid0(VALU_DEP_1)
	v_cndmask_b32_e64 v14, 0xfff00000, v18, s6
.LBB186_73:                             ;   in Loop: Header=BB186_4 Depth=1
	s_or_b32 exec_lo, exec_lo, s9
.LBB186_74:                             ;   in Loop: Header=BB186_4 Depth=1
	s_and_not1_saveexec_b32 s6, s91
	s_cbranch_execz .LBB186_80
; %bb.75:                               ;   in Loop: Header=BB186_4 Depth=1
	v_cmp_ngt_f64_e64 s7, 0x20000000, |v[5:6]|
	v_cmp_ngt_f64_e64 s8, 0x20000000, |v[7:8]|
                                        ; implicit-def: $vgpr14_vgpr15
	s_delay_alu instid0(VALU_DEP_1) | instskip(NEXT) | instid1(SALU_CYCLE_1)
	s_or_b32 s7, s8, s7
	s_and_saveexec_b32 s8, s7
	s_delay_alu instid0(SALU_CYCLE_1)
	s_xor_b32 s7, exec_lo, s8
; %bb.76:                               ;   in Loop: Header=BB186_4 Depth=1
	v_mul_f64 v[5:6], v[5:6], v[5:6]
	s_delay_alu instid0(VALU_DEP_1)
	v_fma_f64 v[14:15], v[7:8], v[7:8], v[5:6]
; %bb.77:                               ;   in Loop: Header=BB186_4 Depth=1
	s_and_not1_saveexec_b32 s7, s7
; %bb.78:                               ;   in Loop: Header=BB186_4 Depth=1
	v_mul_f64 v[5:6], v[5:6], 4.0
	v_mul_f64 v[13:14], v[7:8], 4.0
	s_delay_alu instid0(VALU_DEP_2) | instskip(NEXT) | instid1(VALU_DEP_1)
	v_mul_f64 v[5:6], v[5:6], v[5:6]
	v_fma_f64 v[5:6], v[13:14], v[13:14], v[5:6]
	s_delay_alu instid0(VALU_DEP_1)
	v_ldexp_f64 v[14:15], v[5:6], -4
; %bb.79:                               ;   in Loop: Header=BB186_4 Depth=1
	s_or_b32 exec_lo, exec_lo, s7
	s_delay_alu instid0(VALU_DEP_1) | instskip(SKIP_2) | instid1(VALU_DEP_2)
	v_frexp_mant_f64_e32 v[5:6], v[14:15]
	s_mov_b32 s101, s27
	v_frexp_exp_i32_f64_e32 v7, v[14:15]
	v_cmp_gt_f64_e32 vcc_lo, s[26:27], v[5:6]
	v_cndmask_b32_e64 v18, 0x3ff00000, 2.0, vcc_lo
	s_delay_alu instid0(VALU_DEP_3) | instskip(SKIP_1) | instid1(VALU_DEP_3)
	v_subrev_co_ci_u32_e32 v7, vcc_lo, 0, v7, vcc_lo
	v_cmp_class_f64_e64 vcc_lo, v[14:15], 0x204
	v_mul_f64 v[5:6], v[5:6], v[17:18]
	s_delay_alu instid0(VALU_DEP_1) | instskip(SKIP_1) | instid1(VALU_DEP_2)
	v_add_f64 v[31:32], v[5:6], 1.0
	v_add_f64 v[37:38], v[5:6], -1.0
	v_rcp_f64_e32 v[33:34], v[31:32]
	v_add_f64 v[39:40], v[31:32], -1.0
	s_delay_alu instid0(VALU_DEP_1) | instskip(SKIP_2) | instid1(VALU_DEP_1)
	v_add_f64 v[5:6], v[5:6], -v[39:40]
	s_waitcnt_depctr 0xfff
	v_fma_f64 v[35:36], -v[31:32], v[33:34], 1.0
	v_fma_f64 v[33:34], v[35:36], v[33:34], v[33:34]
	s_delay_alu instid0(VALU_DEP_1) | instskip(NEXT) | instid1(VALU_DEP_1)
	v_fma_f64 v[35:36], -v[31:32], v[33:34], 1.0
	v_fma_f64 v[33:34], v[35:36], v[33:34], v[33:34]
	s_delay_alu instid0(VALU_DEP_1) | instskip(NEXT) | instid1(VALU_DEP_1)
	v_mul_f64 v[35:36], v[37:38], v[33:34]
	v_mul_f64 v[41:42], v[31:32], v[35:36]
	s_delay_alu instid0(VALU_DEP_1) | instskip(NEXT) | instid1(VALU_DEP_1)
	v_fma_f64 v[31:32], v[35:36], v[31:32], -v[41:42]
	v_fma_f64 v[5:6], v[35:36], v[5:6], v[31:32]
	s_delay_alu instid0(VALU_DEP_1) | instskip(NEXT) | instid1(VALU_DEP_1)
	v_add_f64 v[31:32], v[41:42], v[5:6]
	v_add_f64 v[39:40], v[37:38], -v[31:32]
	v_add_f64 v[41:42], v[31:32], -v[41:42]
	s_delay_alu instid0(VALU_DEP_2) | instskip(NEXT) | instid1(VALU_DEP_2)
	v_add_f64 v[37:38], v[37:38], -v[39:40]
	v_add_f64 v[5:6], v[41:42], -v[5:6]
	s_delay_alu instid0(VALU_DEP_2) | instskip(NEXT) | instid1(VALU_DEP_1)
	v_add_f64 v[31:32], v[37:38], -v[31:32]
	v_add_f64 v[5:6], v[5:6], v[31:32]
	s_delay_alu instid0(VALU_DEP_1) | instskip(NEXT) | instid1(VALU_DEP_1)
	v_add_f64 v[5:6], v[39:40], v[5:6]
	v_mul_f64 v[5:6], v[33:34], v[5:6]
	s_delay_alu instid0(VALU_DEP_1) | instskip(NEXT) | instid1(VALU_DEP_1)
	v_add_f64 v[31:32], v[35:36], v[5:6]
	v_mul_f64 v[33:34], v[31:32], v[31:32]
	s_delay_alu instid0(VALU_DEP_1) | instskip(SKIP_1) | instid1(VALU_DEP_2)
	v_fma_f64 v[37:38], v[33:34], s[30:31], s[28:29]
	v_mul_f64 v[39:40], v[31:32], v[33:34]
	v_fma_f64 v[37:38], v[33:34], v[37:38], s[36:37]
	s_delay_alu instid0(VALU_DEP_1) | instskip(NEXT) | instid1(VALU_DEP_1)
	v_fma_f64 v[37:38], v[33:34], v[37:38], s[38:39]
	v_fma_f64 v[37:38], v[33:34], v[37:38], s[40:41]
	s_delay_alu instid0(VALU_DEP_1) | instskip(NEXT) | instid1(VALU_DEP_1)
	v_fma_f64 v[37:38], v[33:34], v[37:38], s[42:43]
	v_fma_f64 v[33:34], v[33:34], v[37:38], s[100:101]
	v_ldexp_f64 v[37:38], v[31:32], 1
	v_add_f64 v[31:32], v[31:32], -v[35:36]
	s_delay_alu instid0(VALU_DEP_3) | instskip(SKIP_1) | instid1(VALU_DEP_3)
	v_mul_f64 v[33:34], v[39:40], v[33:34]
	v_cvt_f64_i32_e32 v[39:40], v7
	v_add_f64 v[5:6], v[5:6], -v[31:32]
	s_delay_alu instid0(VALU_DEP_3) | instskip(NEXT) | instid1(VALU_DEP_3)
	v_add_f64 v[35:36], v[37:38], v[33:34]
	v_mul_f64 v[41:42], v[39:40], s[44:45]
	s_delay_alu instid0(VALU_DEP_3) | instskip(NEXT) | instid1(VALU_DEP_3)
	v_ldexp_f64 v[5:6], v[5:6], 1
	v_add_f64 v[31:32], v[35:36], -v[37:38]
	s_delay_alu instid0(VALU_DEP_3) | instskip(NEXT) | instid1(VALU_DEP_2)
	v_fma_f64 v[37:38], v[39:40], s[44:45], -v[41:42]
	v_add_f64 v[31:32], v[33:34], -v[31:32]
	s_delay_alu instid0(VALU_DEP_2) | instskip(NEXT) | instid1(VALU_DEP_2)
	v_fma_f64 v[33:34], v[39:40], s[46:47], v[37:38]
	v_add_f64 v[5:6], v[5:6], v[31:32]
	s_delay_alu instid0(VALU_DEP_2) | instskip(NEXT) | instid1(VALU_DEP_2)
	v_add_f64 v[31:32], v[41:42], v[33:34]
	v_add_f64 v[37:38], v[35:36], v[5:6]
	s_delay_alu instid0(VALU_DEP_2) | instskip(NEXT) | instid1(VALU_DEP_2)
	v_add_f64 v[41:42], v[31:32], -v[41:42]
	v_add_f64 v[39:40], v[31:32], v[37:38]
	v_add_f64 v[35:36], v[37:38], -v[35:36]
	s_delay_alu instid0(VALU_DEP_3) | instskip(NEXT) | instid1(VALU_DEP_3)
	v_add_f64 v[33:34], v[33:34], -v[41:42]
	v_add_f64 v[43:44], v[39:40], -v[31:32]
	s_delay_alu instid0(VALU_DEP_3) | instskip(NEXT) | instid1(VALU_DEP_2)
	v_add_f64 v[5:6], v[5:6], -v[35:36]
	v_add_f64 v[45:46], v[39:40], -v[43:44]
	;; [unrolled: 1-line block ×3, first 2 shown]
	s_delay_alu instid0(VALU_DEP_3) | instskip(NEXT) | instid1(VALU_DEP_3)
	v_add_f64 v[37:38], v[33:34], v[5:6]
	v_add_f64 v[31:32], v[31:32], -v[45:46]
	s_delay_alu instid0(VALU_DEP_1) | instskip(NEXT) | instid1(VALU_DEP_3)
	v_add_f64 v[31:32], v[35:36], v[31:32]
	v_add_f64 v[35:36], v[37:38], -v[33:34]
	s_delay_alu instid0(VALU_DEP_2) | instskip(NEXT) | instid1(VALU_DEP_2)
	v_add_f64 v[31:32], v[37:38], v[31:32]
	v_add_f64 v[37:38], v[37:38], -v[35:36]
	v_add_f64 v[5:6], v[5:6], -v[35:36]
	s_delay_alu instid0(VALU_DEP_3) | instskip(NEXT) | instid1(VALU_DEP_3)
	v_add_f64 v[41:42], v[39:40], v[31:32]
	v_add_f64 v[33:34], v[33:34], -v[37:38]
	s_delay_alu instid0(VALU_DEP_2) | instskip(NEXT) | instid1(VALU_DEP_2)
	v_add_f64 v[35:36], v[41:42], -v[39:40]
	v_add_f64 v[5:6], v[5:6], v[33:34]
	s_delay_alu instid0(VALU_DEP_2) | instskip(NEXT) | instid1(VALU_DEP_1)
	v_add_f64 v[31:32], v[31:32], -v[35:36]
	v_add_f64 v[5:6], v[5:6], v[31:32]
	v_mov_b32_e32 v31, 0
	v_mov_b32_e32 v32, 0x7ff80000
	s_delay_alu instid0(VALU_DEP_3) | instskip(NEXT) | instid1(VALU_DEP_1)
	v_add_f64 v[5:6], v[41:42], v[5:6]
	v_dual_cndmask_b32 v5, v5, v14 :: v_dual_cndmask_b32 v6, v6, v15
	v_cmp_ngt_f64_e32 vcc_lo, 0, v[14:15]
	s_delay_alu instid0(VALU_DEP_2) | instskip(SKIP_1) | instid1(VALU_DEP_4)
	v_cndmask_b32_e32 v6, 0x7ff80000, v6, vcc_lo
	v_cmp_nge_f64_e32 vcc_lo, 0, v[14:15]
	v_cndmask_b32_e32 v13, 0, v5, vcc_lo
	v_cmp_neq_f64_e32 vcc_lo, 0, v[14:15]
	s_delay_alu instid0(VALU_DEP_4)
	v_cndmask_b32_e32 v14, 0xfff00000, v6, vcc_lo
.LBB186_80:                             ;   in Loop: Header=BB186_4 Depth=1
	s_or_b32 exec_lo, exec_lo, s6
                                        ; implicit-def: $vgpr5_vgpr6
                                        ; implicit-def: $vgpr33_vgpr34
	s_delay_alu instid0(SALU_CYCLE_1)
	s_mov_b32 s6, exec_lo
	v_cmpx_o_f64_e32 v[9:10], v[11:12]
	s_xor_b32 s91, exec_lo, s6
	s_cbranch_execz .LBB186_108
; %bb.81:                               ;   in Loop: Header=BB186_4 Depth=1
	v_cmp_lt_f64_e64 s6, |v[9:10]|, |v[11:12]|
	v_dual_mov_b32 v18, v11 :: v_dual_and_b32 v7, 0x7fffffff, v10
	v_and_b32_e32 v15, 0x7fffffff, v12
                                        ; implicit-def: $vgpr5_vgpr6
                                        ; implicit-def: $vgpr33_vgpr34
	s_mov_b32 s7, exec_lo
	s_delay_alu instid0(VALU_DEP_1) | instskip(NEXT) | instid1(VALU_DEP_3)
	v_cndmask_b32_e64 v38, v15, v7, s6
	v_cndmask_b32_e64 v37, v18, v9, s6
	s_delay_alu instid0(VALU_DEP_1)
	v_cmpx_nlt_f64_e32 s[20:21], v[37:38]
	s_xor_b32 s22, exec_lo, s7
	s_cbranch_execz .LBB186_105
; %bb.82:                               ;   in Loop: Header=BB186_4 Depth=1
	v_cndmask_b32_e64 v40, v7, v15, s6
	v_cndmask_b32_e64 v39, v9, v18, s6
                                        ; implicit-def: $vgpr5_vgpr6
                                        ; implicit-def: $vgpr33_vgpr34
	s_mov_b32 s7, exec_lo
	s_delay_alu instid0(VALU_DEP_1)
	v_cmpx_neq_f64_e32 1.0, v[39:40]
	s_xor_b32 s23, exec_lo, s7
	s_cbranch_execz .LBB186_98
; %bb.83:                               ;   in Loop: Header=BB186_4 Depth=1
	v_max_f64 v[5:6], v[37:38], v[37:38]
	v_max_f64 v[33:34], v[39:40], v[39:40]
	s_mov_b32 s8, 0xc57e649a
	s_mov_b32 s9, 0x4a511b0e
	s_delay_alu instid0(VALU_DEP_1) | instskip(SKIP_1) | instid1(VALU_DEP_2)
	v_min_f64 v[35:36], v[33:34], v[5:6]
	v_max_f64 v[5:6], v[33:34], v[5:6]
                                        ; implicit-def: $vgpr33_vgpr34
	v_cmp_ngt_f64_e32 vcc_lo, s[14:15], v[35:36]
	s_delay_alu instid0(VALU_DEP_2) | instskip(NEXT) | instid1(VALU_DEP_1)
	v_cmp_nlt_f64_e64 s7, s[8:9], v[5:6]
                                        ; implicit-def: $vgpr5_vgpr6
	s_and_b32 s7, s7, vcc_lo
	s_delay_alu instid0(SALU_CYCLE_1) | instskip(NEXT) | instid1(SALU_CYCLE_1)
	s_and_saveexec_b32 s8, s7
	s_xor_b32 s24, exec_lo, s8
	s_cbranch_execz .LBB186_95
; %bb.84:                               ;   in Loop: Header=BB186_4 Depth=1
                                        ; implicit-def: $vgpr5_vgpr6
                                        ; implicit-def: $vgpr33_vgpr34
	s_mov_b32 s7, exec_lo
	v_cmpx_le_f64_e32 1.0, v[39:40]
	s_xor_b32 s8, exec_lo, s7
	s_cbranch_execz .LBB186_86
; %bb.85:                               ;   in Loop: Header=BB186_4 Depth=1
	v_add_f64 v[5:6], v[39:40], -1.0
	v_add_f64 v[33:34], v[39:40], 1.0
	s_mov_b32 s101, s27
	s_mov_b32 s16, s88
	v_cmp_gt_i32_e64 s7, 0, v10
	v_cmp_class_f64_e64 s10, v[9:10], 0x204
	v_cmp_class_f64_e64 s9, v[11:12], 0x204
	s_delay_alu instid0(VALU_DEP_4) | instskip(NEXT) | instid1(VALU_DEP_1)
	v_mul_f64 v[5:6], v[5:6], v[33:34]
	v_fma_f64 v[6:7], v[37:38], v[37:38], v[5:6]
	s_delay_alu instid0(VALU_DEP_1) | instskip(NEXT) | instid1(VALU_DEP_1)
	v_add_f64 v[33:34], v[6:7], 1.0
	v_frexp_mant_f64_e32 v[35:36], v[33:34]
	v_frexp_exp_i32_f64_e32 v5, v[33:34]
	v_add_f64 v[37:38], v[33:34], -1.0
	s_delay_alu instid0(VALU_DEP_3) | instskip(NEXT) | instid1(VALU_DEP_2)
	v_cmp_gt_f64_e32 vcc_lo, s[26:27], v[35:36]
	v_add_f64 v[35:36], v[37:38], -v[33:34]
	v_add_f64 v[37:38], v[6:7], -v[37:38]
	v_subrev_co_ci_u32_e32 v5, vcc_lo, 0, v5, vcc_lo
	s_delay_alu instid0(VALU_DEP_3) | instskip(NEXT) | instid1(VALU_DEP_2)
	v_add_f64 v[35:36], v[35:36], 1.0
	v_sub_nc_u32_e32 v15, 0, v5
	s_delay_alu instid0(VALU_DEP_1) | instskip(NEXT) | instid1(VALU_DEP_3)
	v_ldexp_f64 v[33:34], v[33:34], v15
	v_add_f64 v[35:36], v[37:38], v[35:36]
	s_delay_alu instid0(VALU_DEP_2) | instskip(SKIP_1) | instid1(VALU_DEP_3)
	v_add_f64 v[39:40], v[33:34], 1.0
	v_add_f64 v[45:46], v[33:34], -1.0
	v_ldexp_f64 v[35:36], v[35:36], v15
	v_cndmask_b32_e64 v15, 0x54442d18, v59, s7
	s_delay_alu instid0(VALU_DEP_4) | instskip(NEXT) | instid1(VALU_DEP_4)
	v_add_f64 v[37:38], v[39:40], -1.0
	v_add_f64 v[47:48], v[45:46], 1.0
	s_delay_alu instid0(VALU_DEP_2) | instskip(NEXT) | instid1(VALU_DEP_2)
	v_add_f64 v[37:38], v[33:34], -v[37:38]
	v_add_f64 v[33:34], v[33:34], -v[47:48]
	s_delay_alu instid0(VALU_DEP_2) | instskip(NEXT) | instid1(VALU_DEP_2)
	v_add_f64 v[37:38], v[35:36], v[37:38]
	v_add_f64 v[33:34], v[35:36], v[33:34]
	s_delay_alu instid0(VALU_DEP_2) | instskip(NEXT) | instid1(VALU_DEP_2)
	v_add_f64 v[41:42], v[39:40], v[37:38]
	v_add_f64 v[47:48], v[45:46], v[33:34]
	s_delay_alu instid0(VALU_DEP_2) | instskip(SKIP_1) | instid1(VALU_DEP_2)
	v_rcp_f64_e32 v[43:44], v[41:42]
	v_add_f64 v[39:40], v[41:42], -v[39:40]
	v_add_f64 v[45:46], v[47:48], -v[45:46]
	s_delay_alu instid0(VALU_DEP_2) | instskip(SKIP_3) | instid1(VALU_DEP_2)
	v_add_f64 v[37:38], v[37:38], -v[39:40]
	s_waitcnt_depctr 0xfff
	v_fma_f64 v[49:50], -v[41:42], v[43:44], 1.0
	v_add_f64 v[33:34], v[33:34], -v[45:46]
	v_fma_f64 v[43:44], v[49:50], v[43:44], v[43:44]
	s_delay_alu instid0(VALU_DEP_1) | instskip(NEXT) | instid1(VALU_DEP_1)
	v_fma_f64 v[35:36], -v[41:42], v[43:44], 1.0
	v_fma_f64 v[35:36], v[35:36], v[43:44], v[43:44]
	s_delay_alu instid0(VALU_DEP_1) | instskip(NEXT) | instid1(VALU_DEP_1)
	v_mul_f64 v[43:44], v[47:48], v[35:36]
	v_mul_f64 v[49:50], v[41:42], v[43:44]
	s_delay_alu instid0(VALU_DEP_1) | instskip(NEXT) | instid1(VALU_DEP_1)
	v_fma_f64 v[39:40], v[43:44], v[41:42], -v[49:50]
	v_fma_f64 v[39:40], v[43:44], v[37:38], v[39:40]
	s_delay_alu instid0(VALU_DEP_1) | instskip(NEXT) | instid1(VALU_DEP_1)
	v_add_f64 v[51:52], v[49:50], v[39:40]
	v_add_f64 v[53:54], v[47:48], -v[51:52]
	v_add_f64 v[45:46], v[51:52], -v[49:50]
	v_max_f64 v[49:50], |v[11:12]|, |v[11:12]|
	s_delay_alu instid0(VALU_DEP_3) | instskip(NEXT) | instid1(VALU_DEP_3)
	v_add_f64 v[47:48], v[47:48], -v[53:54]
	v_add_f64 v[39:40], v[45:46], -v[39:40]
	s_delay_alu instid0(VALU_DEP_2) | instskip(SKIP_2) | instid1(VALU_DEP_1)
	v_add_f64 v[47:48], v[47:48], -v[51:52]
	v_max_f64 v[51:52], |v[9:10]|, |v[9:10]|
	v_cndmask_b32_e64 v9, 0x3fe921fb, v60, s7
	v_bfi_b32 v9, 0x7fffffff, v9, v12
	s_delay_alu instid0(VALU_DEP_4) | instskip(NEXT) | instid1(VALU_DEP_4)
	v_add_f64 v[33:34], v[33:34], v[47:48]
	v_max_f64 v[55:56], v[51:52], v[49:50]
	v_min_f64 v[49:50], v[51:52], v[49:50]
	s_delay_alu instid0(VALU_DEP_3) | instskip(NEXT) | instid1(VALU_DEP_1)
	v_add_f64 v[33:34], v[39:40], v[33:34]
	v_add_f64 v[39:40], v[53:54], v[33:34]
	s_delay_alu instid0(VALU_DEP_1) | instskip(SKIP_1) | instid1(VALU_DEP_2)
	v_mul_f64 v[45:46], v[35:36], v[39:40]
	v_add_f64 v[53:54], v[53:54], -v[39:40]
	v_mul_f64 v[47:48], v[41:42], v[45:46]
	s_delay_alu instid0(VALU_DEP_2) | instskip(NEXT) | instid1(VALU_DEP_2)
	v_add_f64 v[33:34], v[33:34], v[53:54]
	v_fma_f64 v[41:42], v[45:46], v[41:42], -v[47:48]
	s_delay_alu instid0(VALU_DEP_1) | instskip(SKIP_1) | instid1(VALU_DEP_2)
	v_fma_f64 v[37:38], v[45:46], v[37:38], v[41:42]
	v_div_scale_f64 v[41:42], null, v[55:56], v[55:56], v[49:50]
	v_add_f64 v[51:52], v[47:48], v[37:38]
	s_delay_alu instid0(VALU_DEP_2) | instskip(NEXT) | instid1(VALU_DEP_1)
	v_rcp_f64_e32 v[57:58], v[41:42]
	v_add_f64 v[61:62], v[39:40], -v[51:52]
	v_add_f64 v[47:48], v[51:52], -v[47:48]
	s_waitcnt_depctr 0xfff
	v_fma_f64 v[63:64], -v[41:42], v[57:58], 1.0
	v_add_f64 v[39:40], v[39:40], -v[61:62]
	v_add_f64 v[37:38], v[47:48], -v[37:38]
	s_delay_alu instid0(VALU_DEP_3) | instskip(NEXT) | instid1(VALU_DEP_3)
	v_fma_f64 v[57:58], v[57:58], v[63:64], v[57:58]
	v_add_f64 v[39:40], v[39:40], -v[51:52]
	s_delay_alu instid0(VALU_DEP_2) | instskip(NEXT) | instid1(VALU_DEP_2)
	v_fma_f64 v[51:52], -v[41:42], v[57:58], 1.0
	v_add_f64 v[33:34], v[33:34], v[39:40]
	v_div_scale_f64 v[39:40], vcc_lo, v[49:50], v[55:56], v[49:50]
	s_delay_alu instid0(VALU_DEP_3) | instskip(SKIP_1) | instid1(VALU_DEP_4)
	v_fma_f64 v[47:48], v[57:58], v[51:52], v[57:58]
	v_add_f64 v[51:52], v[43:44], v[45:46]
	v_add_f64 v[33:34], v[37:38], v[33:34]
	s_delay_alu instid0(VALU_DEP_3) | instskip(NEXT) | instid1(VALU_DEP_3)
	v_mul_f64 v[37:38], v[39:40], v[47:48]
	v_add_f64 v[43:44], v[51:52], -v[43:44]
	s_delay_alu instid0(VALU_DEP_3) | instskip(NEXT) | instid1(VALU_DEP_3)
	v_add_f64 v[33:34], v[61:62], v[33:34]
	v_fma_f64 v[39:40], -v[41:42], v[37:38], v[39:40]
	s_delay_alu instid0(VALU_DEP_3) | instskip(NEXT) | instid1(VALU_DEP_3)
	v_add_f64 v[41:42], v[45:46], -v[43:44]
	v_mul_f64 v[33:34], v[35:36], v[33:34]
	s_delay_alu instid0(VALU_DEP_3) | instskip(SKIP_1) | instid1(VALU_DEP_3)
	v_div_fmas_f64 v[35:36], v[39:40], v[47:48], v[37:38]
	v_cmp_eq_f64_e32 vcc_lo, 0x7ff00000, v[6:7]
	v_add_f64 v[33:34], v[41:42], v[33:34]
	s_delay_alu instid0(VALU_DEP_3) | instskip(NEXT) | instid1(VALU_DEP_2)
	v_div_fixup_f64 v[35:36], v[35:36], v[55:56], v[49:50]
	v_add_f64 v[37:38], v[51:52], v[33:34]
	s_delay_alu instid0(VALU_DEP_2) | instskip(NEXT) | instid1(VALU_DEP_2)
	v_mul_f64 v[39:40], v[35:36], v[35:36]
	v_mul_f64 v[41:42], v[37:38], v[37:38]
	s_delay_alu instid0(VALU_DEP_2) | instskip(NEXT) | instid1(VALU_DEP_2)
	v_fma_f64 v[43:44], v[39:40], s[50:51], s[48:49]
	v_fma_f64 v[45:46], v[41:42], s[30:31], s[28:29]
	v_mul_f64 v[47:48], v[37:38], v[41:42]
	s_delay_alu instid0(VALU_DEP_3) | instskip(NEXT) | instid1(VALU_DEP_3)
	v_fma_f64 v[43:44], v[39:40], v[43:44], s[52:53]
	v_fma_f64 v[45:46], v[41:42], v[45:46], s[36:37]
	s_delay_alu instid0(VALU_DEP_2) | instskip(NEXT) | instid1(VALU_DEP_2)
	v_fma_f64 v[43:44], v[39:40], v[43:44], s[54:55]
	v_fma_f64 v[45:46], v[41:42], v[45:46], s[38:39]
	s_delay_alu instid0(VALU_DEP_2) | instskip(NEXT) | instid1(VALU_DEP_2)
	;; [unrolled: 3-line block ×4, first 2 shown]
	v_fma_f64 v[43:44], v[39:40], v[43:44], s[60:61]
	v_fma_f64 v[41:42], v[41:42], v[45:46], s[100:101]
	v_ldexp_f64 v[45:46], v[37:38], 1
	v_add_f64 v[37:38], v[37:38], -v[51:52]
	s_delay_alu instid0(VALU_DEP_4) | instskip(NEXT) | instid1(VALU_DEP_4)
	v_fma_f64 v[43:44], v[39:40], v[43:44], s[62:63]
	v_mul_f64 v[41:42], v[47:48], v[41:42]
	v_cvt_f64_i32_e32 v[47:48], v5
	s_delay_alu instid0(VALU_DEP_4) | instskip(NEXT) | instid1(VALU_DEP_4)
	v_add_f64 v[33:34], v[33:34], -v[37:38]
	v_fma_f64 v[43:44], v[39:40], v[43:44], s[64:65]
	v_ashrrev_i32_e32 v5, 31, v10
	v_add_f64 v[49:50], v[45:46], v[41:42]
	v_mul_f64 v[51:52], v[47:48], s[44:45]
	v_ldexp_f64 v[33:34], v[33:34], 1
	v_fma_f64 v[43:44], v[39:40], v[43:44], s[66:67]
	s_delay_alu instid0(VALU_DEP_4) | instskip(NEXT) | instid1(VALU_DEP_4)
	v_add_f64 v[37:38], v[49:50], -v[45:46]
	v_fma_f64 v[45:46], v[47:48], s[44:45], -v[51:52]
	s_delay_alu instid0(VALU_DEP_3) | instskip(NEXT) | instid1(VALU_DEP_3)
	v_fma_f64 v[43:44], v[39:40], v[43:44], s[68:69]
	v_add_f64 v[37:38], v[41:42], -v[37:38]
	s_delay_alu instid0(VALU_DEP_2) | instskip(NEXT) | instid1(VALU_DEP_4)
	v_fma_f64 v[41:42], v[39:40], v[43:44], s[70:71]
	v_fma_f64 v[43:44], v[47:48], s[46:47], v[45:46]
	s_delay_alu instid0(VALU_DEP_3) | instskip(NEXT) | instid1(VALU_DEP_3)
	v_add_f64 v[33:34], v[33:34], v[37:38]
	v_fma_f64 v[37:38], v[39:40], v[41:42], s[72:73]
	s_delay_alu instid0(VALU_DEP_3) | instskip(NEXT) | instid1(VALU_DEP_3)
	v_add_f64 v[41:42], v[51:52], v[43:44]
	v_add_f64 v[45:46], v[49:50], v[33:34]
	s_delay_alu instid0(VALU_DEP_3) | instskip(NEXT) | instid1(VALU_DEP_3)
	v_fma_f64 v[37:38], v[39:40], v[37:38], s[74:75]
	v_add_f64 v[51:52], v[41:42], -v[51:52]
	s_delay_alu instid0(VALU_DEP_3) | instskip(SKIP_1) | instid1(VALU_DEP_4)
	v_add_f64 v[47:48], v[41:42], v[45:46]
	v_add_f64 v[49:50], v[45:46], -v[49:50]
	v_fma_f64 v[37:38], v[39:40], v[37:38], s[76:77]
	s_delay_alu instid0(VALU_DEP_4) | instskip(NEXT) | instid1(VALU_DEP_4)
	v_add_f64 v[43:44], v[43:44], -v[51:52]
	v_add_f64 v[53:54], v[47:48], -v[41:42]
	s_delay_alu instid0(VALU_DEP_4) | instskip(NEXT) | instid1(VALU_DEP_4)
	v_add_f64 v[33:34], v[33:34], -v[49:50]
	v_fma_f64 v[37:38], v[39:40], v[37:38], s[78:79]
	s_delay_alu instid0(VALU_DEP_3) | instskip(SKIP_1) | instid1(VALU_DEP_4)
	v_add_f64 v[55:56], v[47:48], -v[53:54]
	v_add_f64 v[45:46], v[45:46], -v[53:54]
	v_add_f64 v[49:50], v[43:44], v[33:34]
	s_delay_alu instid0(VALU_DEP_4) | instskip(NEXT) | instid1(VALU_DEP_4)
	v_fma_f64 v[37:38], v[39:40], v[37:38], s[80:81]
	v_add_f64 v[41:42], v[41:42], -v[55:56]
	s_delay_alu instid0(VALU_DEP_2) | instskip(NEXT) | instid1(VALU_DEP_2)
	v_fma_f64 v[37:38], v[39:40], v[37:38], s[82:83]
	v_add_f64 v[41:42], v[45:46], v[41:42]
	v_add_f64 v[45:46], v[49:50], -v[43:44]
	s_delay_alu instid0(VALU_DEP_3) | instskip(NEXT) | instid1(VALU_DEP_3)
	v_fma_f64 v[37:38], v[39:40], v[37:38], s[84:85]
	v_add_f64 v[41:42], v[49:50], v[41:42]
	s_delay_alu instid0(VALU_DEP_3) | instskip(SKIP_1) | instid1(VALU_DEP_4)
	v_add_f64 v[49:50], v[49:50], -v[45:46]
	v_add_f64 v[33:34], v[33:34], -v[45:46]
	v_fma_f64 v[37:38], v[39:40], v[37:38], s[86:87]
	s_delay_alu instid0(VALU_DEP_4) | instskip(NEXT) | instid1(VALU_DEP_2)
	v_add_f64 v[51:52], v[47:48], v[41:42]
	v_mul_f64 v[37:38], v[39:40], v[37:38]
	v_add_f64 v[39:40], v[43:44], -v[49:50]
	s_delay_alu instid0(VALU_DEP_3) | instskip(NEXT) | instid1(VALU_DEP_3)
	v_add_f64 v[43:44], v[51:52], -v[47:48]
	v_fma_f64 v[35:36], v[35:36], v[37:38], v[35:36]
	s_delay_alu instid0(VALU_DEP_3) | instskip(NEXT) | instid1(VALU_DEP_3)
	v_add_f64 v[33:34], v[33:34], v[39:40]
	v_add_f64 v[37:38], v[41:42], -v[43:44]
	s_delay_alu instid0(VALU_DEP_3) | instskip(NEXT) | instid1(VALU_DEP_2)
	v_add_f64 v[39:40], -v[35:36], s[88:89]
	v_add_f64 v[33:34], v[33:34], v[37:38]
	s_delay_alu instid0(VALU_DEP_2) | instskip(NEXT) | instid1(VALU_DEP_3)
	v_cndmask_b32_e64 v36, v36, v40, s6
	v_cndmask_b32_e64 v35, v35, v39, s6
                                        ; implicit-def: $vgpr39_vgpr40
	s_delay_alu instid0(VALU_DEP_1) | instskip(NEXT) | instid1(VALU_DEP_4)
	v_add_f64 v[37:38], -v[35:36], s[16:17]
	v_add_f64 v[33:34], v[51:52], v[33:34]
	v_and_b32_e32 v18, 0x54442d18, v5
	v_and_b32_e32 v5, 0x400921fb, v5
	s_delay_alu instid0(VALU_DEP_4) | instskip(SKIP_4) | instid1(VALU_DEP_2)
	v_cndmask_b32_e64 v35, v35, v37, s7
	v_cndmask_b32_e64 v10, v36, v38, s7
	v_cmp_nge_f64_e64 s7, -1.0, v[6:7]
                                        ; implicit-def: $vgpr37_vgpr38
	v_dual_cndmask_b32 v33, v33, v6 :: v_dual_cndmask_b32 v34, v34, v7
	v_cmp_eq_f64_e32 vcc_lo, 0, v[11:12]
	v_mul_f64 v[33:34], v[33:34], 0.5
	v_dual_cndmask_b32 v18, v35, v18 :: v_dual_cndmask_b32 v5, v10, v5
	v_cmp_ngt_f64_e32 vcc_lo, -1.0, v[6:7]
	s_delay_alu instid0(VALU_DEP_3) | instskip(SKIP_1) | instid1(VALU_DEP_3)
	v_cndmask_b32_e32 v10, 0x7ff80000, v34, vcc_lo
	s_and_b32 vcc_lo, s9, s10
	v_cndmask_b32_e32 v34, v5, v9, vcc_lo
	v_cndmask_b32_e64 v5, 0, v33, s7
	v_cndmask_b32_e32 v33, v18, v15, vcc_lo
	v_cmp_neq_f64_e64 s7, -1.0, v[6:7]
	s_delay_alu instid0(VALU_DEP_1)
	v_cndmask_b32_e64 v6, 0xfff00000, v10, s7
.LBB186_86:                             ;   in Loop: Header=BB186_4 Depth=1
	s_and_not1_saveexec_b32 s25, s8
	s_cbranch_execz .LBB186_94
; %bb.87:                               ;   in Loop: Header=BB186_4 Depth=1
	v_mul_f64 v[5:6], v[37:38], v[37:38]
	s_mov_b32 s8, 0x66666666
	s_mov_b32 s9, 0x3fe66666
                                        ; implicit-def: $vgpr33_vgpr34
	s_mov_b32 s7, exec_lo
	s_delay_alu instid0(VALU_DEP_1) | instskip(NEXT) | instid1(VALU_DEP_1)
	v_fma_f64 v[35:36], v[39:40], v[39:40], v[5:6]
                                        ; implicit-def: $vgpr5_vgpr6
	v_cmpx_ge_f64_e32 s[8:9], v[35:36]
	s_xor_b32 s9, exec_lo, s7
	s_cbranch_execz .LBB186_89
; %bb.88:                               ;   in Loop: Header=BB186_4 Depth=1
	v_frexp_mant_f64_e32 v[5:6], v[35:36]
	v_max_f64 v[43:44], |v[9:10]|, |v[9:10]|
	s_mov_b32 s101, s27
	v_frexp_exp_i32_f64_e32 v7, v[35:36]
	s_mov_b32 s16, s88
	v_cmp_class_f64_e64 s10, v[11:12], 0x204
	v_cmp_class_f64_e64 s11, v[9:10], 0x204
	v_cmp_neq_f64_e64 s8, 0, v[35:36]
	v_cmp_gt_f64_e64 s7, s[26:27], v[5:6]
	s_delay_alu instid0(VALU_DEP_1) | instskip(NEXT) | instid1(VALU_DEP_1)
	v_cndmask_b32_e64 v18, 0x3ff00000, 2.0, s7
	v_mul_f64 v[5:6], v[5:6], v[17:18]
	s_delay_alu instid0(VALU_DEP_1) | instskip(SKIP_1) | instid1(VALU_DEP_2)
	v_add_f64 v[33:34], v[5:6], 1.0
	v_add_f64 v[41:42], v[5:6], -1.0
	v_rcp_f64_e32 v[37:38], v[33:34]
	s_waitcnt_depctr 0xfff
	v_fma_f64 v[39:40], -v[33:34], v[37:38], 1.0
	s_delay_alu instid0(VALU_DEP_1) | instskip(NEXT) | instid1(VALU_DEP_1)
	v_fma_f64 v[37:38], v[39:40], v[37:38], v[37:38]
	v_fma_f64 v[39:40], -v[33:34], v[37:38], 1.0
	s_delay_alu instid0(VALU_DEP_1) | instskip(SKIP_1) | instid1(VALU_DEP_2)
	v_fma_f64 v[37:38], v[39:40], v[37:38], v[37:38]
	v_max_f64 v[39:40], |v[11:12]|, |v[11:12]|
	v_mul_f64 v[45:46], v[41:42], v[37:38]
	s_delay_alu instid0(VALU_DEP_2) | instskip(SKIP_2) | instid1(VALU_DEP_4)
	v_max_f64 v[47:48], v[43:44], v[39:40]
	v_min_f64 v[39:40], v[43:44], v[39:40]
	v_add_f64 v[43:44], v[33:34], -1.0
	v_mul_f64 v[49:50], v[33:34], v[45:46]
	s_delay_alu instid0(VALU_DEP_3) | instskip(NEXT) | instid1(VALU_DEP_3)
	v_div_scale_f64 v[51:52], null, v[47:48], v[47:48], v[39:40]
	v_add_f64 v[5:6], v[5:6], -v[43:44]
	v_div_scale_f64 v[57:58], vcc_lo, v[39:40], v[47:48], v[39:40]
	s_delay_alu instid0(VALU_DEP_4) | instskip(NEXT) | instid1(VALU_DEP_4)
	v_fma_f64 v[33:34], v[45:46], v[33:34], -v[49:50]
	v_rcp_f64_e32 v[43:44], v[51:52]
	s_delay_alu instid0(VALU_DEP_1) | instskip(SKIP_3) | instid1(VALU_DEP_2)
	v_fma_f64 v[5:6], v[45:46], v[5:6], v[33:34]
	s_waitcnt_depctr 0xfff
	v_fma_f64 v[33:34], -v[51:52], v[43:44], 1.0
	v_add_f64 v[53:54], v[49:50], v[5:6]
	v_fma_f64 v[33:34], v[43:44], v[33:34], v[43:44]
	s_delay_alu instid0(VALU_DEP_2) | instskip(SKIP_1) | instid1(VALU_DEP_3)
	v_add_f64 v[43:44], v[41:42], -v[53:54]
	v_add_f64 v[49:50], v[53:54], -v[49:50]
	v_fma_f64 v[55:56], -v[51:52], v[33:34], 1.0
	s_delay_alu instid0(VALU_DEP_3) | instskip(NEXT) | instid1(VALU_DEP_3)
	v_add_f64 v[41:42], v[41:42], -v[43:44]
	v_add_f64 v[5:6], v[49:50], -v[5:6]
	s_delay_alu instid0(VALU_DEP_3) | instskip(NEXT) | instid1(VALU_DEP_3)
	v_fma_f64 v[33:34], v[33:34], v[55:56], v[33:34]
	v_add_f64 v[41:42], v[41:42], -v[53:54]
	s_delay_alu instid0(VALU_DEP_2) | instskip(NEXT) | instid1(VALU_DEP_2)
	v_mul_f64 v[49:50], v[57:58], v[33:34]
	v_add_f64 v[5:6], v[5:6], v[41:42]
	s_delay_alu instid0(VALU_DEP_2) | instskip(NEXT) | instid1(VALU_DEP_2)
	v_fma_f64 v[41:42], -v[51:52], v[49:50], v[57:58]
	v_add_f64 v[5:6], v[43:44], v[5:6]
	s_delay_alu instid0(VALU_DEP_2)
	v_div_fmas_f64 v[33:34], v[41:42], v[33:34], v[49:50]
	v_subrev_co_ci_u32_e64 v7, vcc_lo, 0, v7, s7
	v_cmp_eq_f64_e64 s7, 0, v[11:12]
	v_cmp_gt_i32_e32 vcc_lo, 0, v10
	v_cndmask_b32_e32 v9, 0x3fe921fb, v60, vcc_lo
	v_cndmask_b32_e32 v15, 0x54442d18, v59, vcc_lo
	s_delay_alu instid0(VALU_DEP_2) | instskip(SKIP_2) | instid1(VALU_DEP_2)
	v_bfi_b32 v9, 0x7fffffff, v9, v12
	v_mul_f64 v[5:6], v[37:38], v[5:6]
	v_div_fixup_f64 v[33:34], v[33:34], v[47:48], v[39:40]
	v_add_f64 v[37:38], v[45:46], v[5:6]
	s_delay_alu instid0(VALU_DEP_2) | instskip(NEXT) | instid1(VALU_DEP_2)
	v_mul_f64 v[39:40], v[33:34], v[33:34]
	v_mul_f64 v[41:42], v[37:38], v[37:38]
	s_delay_alu instid0(VALU_DEP_2) | instskip(NEXT) | instid1(VALU_DEP_2)
	v_fma_f64 v[43:44], v[39:40], s[50:51], s[48:49]
	v_fma_f64 v[47:48], v[41:42], s[30:31], s[28:29]
	v_mul_f64 v[49:50], v[37:38], v[41:42]
	s_delay_alu instid0(VALU_DEP_3) | instskip(NEXT) | instid1(VALU_DEP_3)
	v_fma_f64 v[43:44], v[39:40], v[43:44], s[52:53]
	v_fma_f64 v[47:48], v[41:42], v[47:48], s[36:37]
	s_delay_alu instid0(VALU_DEP_2) | instskip(NEXT) | instid1(VALU_DEP_2)
	v_fma_f64 v[43:44], v[39:40], v[43:44], s[54:55]
	v_fma_f64 v[47:48], v[41:42], v[47:48], s[38:39]
	s_delay_alu instid0(VALU_DEP_2) | instskip(NEXT) | instid1(VALU_DEP_2)
	;; [unrolled: 3-line block ×4, first 2 shown]
	v_fma_f64 v[43:44], v[39:40], v[43:44], s[60:61]
	v_fma_f64 v[41:42], v[41:42], v[47:48], s[100:101]
	v_ldexp_f64 v[47:48], v[37:38], 1
	v_add_f64 v[37:38], v[37:38], -v[45:46]
	s_delay_alu instid0(VALU_DEP_4) | instskip(NEXT) | instid1(VALU_DEP_4)
	v_fma_f64 v[43:44], v[39:40], v[43:44], s[62:63]
	v_mul_f64 v[41:42], v[49:50], v[41:42]
	v_cvt_f64_i32_e32 v[49:50], v7
	s_delay_alu instid0(VALU_DEP_4)
	v_add_f64 v[5:6], v[5:6], -v[37:38]
	v_ashrrev_i32_e32 v7, 31, v10
	v_fma_f64 v[43:44], v[39:40], v[43:44], s[64:65]
	v_add_f64 v[45:46], v[47:48], v[41:42]
	v_mul_f64 v[51:52], v[49:50], s[44:45]
	v_ldexp_f64 v[5:6], v[5:6], 1
	s_delay_alu instid0(VALU_DEP_4) | instskip(NEXT) | instid1(VALU_DEP_4)
	v_fma_f64 v[43:44], v[39:40], v[43:44], s[66:67]
	v_add_f64 v[37:38], v[45:46], -v[47:48]
	s_delay_alu instid0(VALU_DEP_4) | instskip(NEXT) | instid1(VALU_DEP_3)
	v_fma_f64 v[47:48], v[49:50], s[44:45], -v[51:52]
	v_fma_f64 v[43:44], v[39:40], v[43:44], s[68:69]
	s_delay_alu instid0(VALU_DEP_3) | instskip(NEXT) | instid1(VALU_DEP_2)
	v_add_f64 v[37:38], v[41:42], -v[37:38]
	v_fma_f64 v[41:42], v[39:40], v[43:44], s[70:71]
	s_delay_alu instid0(VALU_DEP_4) | instskip(NEXT) | instid1(VALU_DEP_3)
	v_fma_f64 v[43:44], v[49:50], s[46:47], v[47:48]
	v_add_f64 v[5:6], v[5:6], v[37:38]
	s_delay_alu instid0(VALU_DEP_3) | instskip(NEXT) | instid1(VALU_DEP_3)
	v_fma_f64 v[37:38], v[39:40], v[41:42], s[72:73]
	v_add_f64 v[41:42], v[51:52], v[43:44]
	s_delay_alu instid0(VALU_DEP_3) | instskip(NEXT) | instid1(VALU_DEP_3)
	v_add_f64 v[47:48], v[45:46], v[5:6]
	v_fma_f64 v[37:38], v[39:40], v[37:38], s[74:75]
	s_delay_alu instid0(VALU_DEP_3) | instskip(NEXT) | instid1(VALU_DEP_3)
	v_add_f64 v[51:52], v[41:42], -v[51:52]
	v_add_f64 v[49:50], v[41:42], v[47:48]
	v_add_f64 v[45:46], v[47:48], -v[45:46]
	s_delay_alu instid0(VALU_DEP_4) | instskip(NEXT) | instid1(VALU_DEP_4)
	v_fma_f64 v[37:38], v[39:40], v[37:38], s[76:77]
	v_add_f64 v[43:44], v[43:44], -v[51:52]
	s_delay_alu instid0(VALU_DEP_4) | instskip(NEXT) | instid1(VALU_DEP_4)
	v_add_f64 v[53:54], v[49:50], -v[41:42]
	v_add_f64 v[5:6], v[5:6], -v[45:46]
	s_delay_alu instid0(VALU_DEP_4) | instskip(NEXT) | instid1(VALU_DEP_3)
	v_fma_f64 v[37:38], v[39:40], v[37:38], s[78:79]
	v_add_f64 v[55:56], v[49:50], -v[53:54]
	v_add_f64 v[45:46], v[47:48], -v[53:54]
	s_delay_alu instid0(VALU_DEP_4) | instskip(NEXT) | instid1(VALU_DEP_4)
	v_add_f64 v[47:48], v[43:44], v[5:6]
	v_fma_f64 v[37:38], v[39:40], v[37:38], s[80:81]
	s_delay_alu instid0(VALU_DEP_4) | instskip(NEXT) | instid1(VALU_DEP_2)
	v_add_f64 v[41:42], v[41:42], -v[55:56]
	v_fma_f64 v[37:38], v[39:40], v[37:38], s[82:83]
	s_delay_alu instid0(VALU_DEP_2) | instskip(SKIP_1) | instid1(VALU_DEP_3)
	v_add_f64 v[41:42], v[45:46], v[41:42]
	v_add_f64 v[45:46], v[47:48], -v[43:44]
	v_fma_f64 v[37:38], v[39:40], v[37:38], s[84:85]
	s_delay_alu instid0(VALU_DEP_3) | instskip(NEXT) | instid1(VALU_DEP_3)
	v_add_f64 v[41:42], v[47:48], v[41:42]
	v_add_f64 v[47:48], v[47:48], -v[45:46]
	v_add_f64 v[5:6], v[5:6], -v[45:46]
	s_delay_alu instid0(VALU_DEP_4) | instskip(NEXT) | instid1(VALU_DEP_4)
	v_fma_f64 v[37:38], v[39:40], v[37:38], s[86:87]
	v_add_f64 v[51:52], v[49:50], v[41:42]
	s_delay_alu instid0(VALU_DEP_2) | instskip(SKIP_1) | instid1(VALU_DEP_3)
	v_mul_f64 v[37:38], v[39:40], v[37:38]
	v_add_f64 v[39:40], v[43:44], -v[47:48]
	v_add_f64 v[43:44], v[51:52], -v[49:50]
	s_delay_alu instid0(VALU_DEP_3) | instskip(NEXT) | instid1(VALU_DEP_3)
	v_fma_f64 v[33:34], v[33:34], v[37:38], v[33:34]
	v_add_f64 v[5:6], v[5:6], v[39:40]
	s_delay_alu instid0(VALU_DEP_3) | instskip(NEXT) | instid1(VALU_DEP_3)
	v_add_f64 v[37:38], v[41:42], -v[43:44]
	v_add_f64 v[39:40], -v[33:34], s[88:89]
	s_delay_alu instid0(VALU_DEP_2) | instskip(NEXT) | instid1(VALU_DEP_2)
	v_add_f64 v[5:6], v[5:6], v[37:38]
	v_cndmask_b32_e64 v34, v34, v40, s6
	s_delay_alu instid0(VALU_DEP_3) | instskip(NEXT) | instid1(VALU_DEP_1)
	v_cndmask_b32_e64 v33, v33, v39, s6
                                        ; implicit-def: $vgpr39_vgpr40
	v_add_f64 v[37:38], -v[33:34], s[16:17]
	v_and_b32_e32 v18, 0x54442d18, v7
	v_and_b32_e32 v7, 0x400921fb, v7
	v_add_f64 v[5:6], v[51:52], v[5:6]
	s_delay_alu instid0(VALU_DEP_4) | instskip(SKIP_1) | instid1(VALU_DEP_1)
	v_dual_cndmask_b32 v10, v34, v38 :: v_dual_cndmask_b32 v33, v33, v37
	s_and_b32 vcc_lo, s10, s11
                                        ; implicit-def: $vgpr37_vgpr38
	v_cndmask_b32_e64 v7, v10, v7, s7
	s_delay_alu instid0(VALU_DEP_2) | instskip(NEXT) | instid1(VALU_DEP_1)
	v_cndmask_b32_e64 v18, v33, v18, s7
	v_dual_cndmask_b32 v34, v7, v9 :: v_dual_cndmask_b32 v33, v18, v15
	v_mul_f64 v[5:6], v[5:6], 0.5
	s_delay_alu instid0(VALU_DEP_1) | instskip(NEXT) | instid1(VALU_DEP_2)
	v_cndmask_b32_e64 v6, 0xfff00000, v6, s8
	v_cndmask_b32_e64 v5, 0, v5, s8
.LBB186_89:                             ;   in Loop: Header=BB186_4 Depth=1
	s_and_not1_saveexec_b32 s92, s9
	s_cbranch_execz .LBB186_93
; %bb.90:                               ;   in Loop: Header=BB186_4 Depth=1
	v_dual_mov_b32 v33, v17 :: v_dual_and_b32 v18, 0x7ffffff8, v40
	v_and_b32_e32 v34, 0x7ffffff8, v38
	s_mov_b32 s93, 0
	s_delay_alu instid0(VALU_DEP_2) | instskip(SKIP_1) | instid1(VALU_DEP_3)
	v_add_f64 v[5:6], v[39:40], -v[17:18]
	v_mov_b32_e32 v39, v17
	v_add_f64 v[35:36], v[37:38], -v[33:34]
	v_mov_b32_e32 v41, v17
	v_add_f64 v[43:44], v[17:18], v[17:18]
	v_add_f64 v[51:52], v[33:34], v[33:34]
	v_mul_f64 v[37:38], v[33:34], v[33:34]
	v_and_b32_e32 v40, -8, v6
	v_and_b32_e32 v42, -8, v36
	s_delay_alu instid0(VALU_DEP_2) | instskip(SKIP_1) | instid1(VALU_DEP_3)
	v_add_f64 v[53:54], v[5:6], -v[39:40]
	v_add_f64 v[57:58], v[39:40], v[39:40]
	v_add_f64 v[55:56], v[35:36], -v[41:42]
	v_add_f64 v[61:62], v[41:42], v[41:42]
	v_mul_f64 v[5:6], v[17:18], v[17:18]
	v_mul_f64 v[49:50], v[43:44], v[39:40]
	;; [unrolled: 1-line block ×11, first 2 shown]
.LBB186_91:                             ;   Parent Loop BB186_4 Depth=1
                                        ; =>  This Inner Loop Header: Depth=2
	v_cmp_nlt_f64_e32 vcc_lo, v[5:6], v[37:38]
	v_dual_cndmask_b32 v56, v6, v38 :: v_dual_cndmask_b32 v55, v5, v37
	v_dual_cndmask_b32 v6, v38, v6 :: v_dual_cndmask_b32 v5, v37, v5
	s_delay_alu instid0(VALU_DEP_2) | instskip(NEXT) | instid1(VALU_DEP_1)
	v_cmp_nlt_f64_e64 s7, v[55:56], v[49:50]
	v_cndmask_b32_e64 v58, v56, v50, s7
	v_cndmask_b32_e64 v57, v55, v49, s7
	;; [unrolled: 1-line block ×4, first 2 shown]
	s_and_b32 s7, vcc_lo, s7
	s_delay_alu instid0(VALU_DEP_3) | instskip(NEXT) | instid1(VALU_DEP_1)
	v_cmp_nlt_f64_e64 s8, v[57:58], v[35:36]
	v_cndmask_b32_e64 v56, v58, v36, s8
	v_cndmask_b32_e64 v55, v57, v35, s8
	;; [unrolled: 1-line block ×4, first 2 shown]
	s_delay_alu instid0(VALU_DEP_3) | instskip(NEXT) | instid1(VALU_DEP_1)
	v_cmp_nlt_f64_e64 s9, v[55:56], v[47:48]
	v_cndmask_b32_e64 v58, v56, v48, s9
	v_cndmask_b32_e64 v57, v55, v47, s9
	;; [unrolled: 1-line block ×4, first 2 shown]
	s_and_b32 s8, s8, s9
	s_delay_alu instid0(VALU_DEP_3) | instskip(NEXT) | instid1(VALU_DEP_1)
	v_cmp_nlt_f64_e64 s10, v[57:58], v[33:34]
	v_cndmask_b32_e64 v56, v58, v34, s10
	v_cndmask_b32_e64 v55, v57, v33, s10
	;; [unrolled: 1-line block ×4, first 2 shown]
	s_delay_alu instid0(VALU_DEP_3) | instskip(NEXT) | instid1(VALU_DEP_1)
	v_cmp_nlt_f64_e64 s11, v[55:56], v[45:46]
	v_cndmask_b32_e64 v58, v56, v46, s11
	v_cndmask_b32_e64 v57, v55, v45, s11
	v_cndmask_b32_e64 v34, v46, v56, s11
	v_cndmask_b32_e64 v33, v45, v55, s11
	s_and_b32 s9, s10, s11
	s_delay_alu instid0(VALU_DEP_3) | instskip(NEXT) | instid1(VALU_DEP_1)
	v_cmp_nlt_f64_e64 s12, v[57:58], v[43:44]
	v_cndmask_b32_e64 v56, v58, v44, s12
	v_cndmask_b32_e64 v55, v57, v43, s12
	v_cndmask_b32_e64 v46, v44, v58, s12
	v_cndmask_b32_e64 v45, v43, v57, s12
	s_and_b32 s9, s9, s12
	;; [unrolled: 7-line block ×4, first 2 shown]
	s_delay_alu instid0(VALU_DEP_3) | instskip(NEXT) | instid1(VALU_DEP_1)
	v_cmp_nlt_f64_e64 s15, v[55:56], v[51:52]
	v_cndmask_b32_e64 v58, v56, v52, s15
	v_cndmask_b32_e64 v57, v55, v51, s15
	s_and_b32 s9, s9, s15
	v_cndmask_b32_e64 v40, v52, v56, s15
	v_cndmask_b32_e64 v39, v51, v55, s15
	s_delay_alu instid0(VALU_DEP_3) | instskip(NEXT) | instid1(VALU_DEP_1)
	v_cmp_nlt_f64_e64 s16, v[57:58], v[53:54]
	v_cndmask_b32_e64 v56, v58, v54, s16
	v_cndmask_b32_e64 v55, v57, v53, s16
	s_and_b32 s9, s9, s16
	v_cndmask_b32_e64 v52, v54, v58, s16
	s_and_b32 s8, s9, s8
	;; [unrolled: 2-line block ×3, first 2 shown]
	v_dual_mov_b32 v53, v55 :: v_dual_mov_b32 v54, v56
	s_and_b32 s7, exec_lo, s7
	s_delay_alu instid0(SALU_CYCLE_1) | instskip(NEXT) | instid1(SALU_CYCLE_1)
	s_or_b32 s93, s7, s93
	s_and_not1_b32 exec_lo, exec_lo, s93
	s_cbranch_execnz .LBB186_91
; %bb.92:                               ;   in Loop: Header=BB186_4 Depth=1
	s_or_b32 exec_lo, exec_lo, s93
	v_add_f64 v[5:6], v[5:6], -1.0
	s_mov_b32 s101, s27
	s_mov_b32 s16, s88
	v_cmp_gt_i32_e64 s7, 0, v10
	v_cmp_class_f64_e64 s9, v[9:10], 0x204
	v_cmp_class_f64_e64 s8, v[11:12], 0x204
	s_mov_b32 s14, 0x4ad4b81f
	s_mov_b32 s15, 0x358dee7a
	s_delay_alu instid0(VALU_DEP_4) | instskip(NEXT) | instid1(VALU_DEP_1)
	v_add_f64 v[5:6], v[5:6], v[37:38]
	v_add_f64 v[5:6], v[5:6], v[49:50]
	s_delay_alu instid0(VALU_DEP_1) | instskip(NEXT) | instid1(VALU_DEP_1)
	v_add_f64 v[5:6], v[5:6], v[35:36]
	v_add_f64 v[5:6], v[5:6], v[47:48]
	s_delay_alu instid0(VALU_DEP_1) | instskip(NEXT) | instid1(VALU_DEP_1)
	;; [unrolled: 3-line block ×5, first 2 shown]
	v_add_f64 v[6:7], v[55:56], v[5:6]
	v_add_f64 v[33:34], v[6:7], 1.0
	s_delay_alu instid0(VALU_DEP_1) | instskip(SKIP_2) | instid1(VALU_DEP_3)
	v_frexp_mant_f64_e32 v[35:36], v[33:34]
	v_frexp_exp_i32_f64_e32 v5, v[33:34]
	v_add_f64 v[37:38], v[33:34], -1.0
	v_cmp_gt_f64_e32 vcc_lo, s[26:27], v[35:36]
	s_delay_alu instid0(VALU_DEP_2) | instskip(SKIP_2) | instid1(VALU_DEP_3)
	v_add_f64 v[35:36], v[37:38], -v[33:34]
	v_add_f64 v[37:38], v[6:7], -v[37:38]
	v_subrev_co_ci_u32_e32 v5, vcc_lo, 0, v5, vcc_lo
	v_add_f64 v[35:36], v[35:36], 1.0
	s_delay_alu instid0(VALU_DEP_2) | instskip(NEXT) | instid1(VALU_DEP_1)
	v_sub_nc_u32_e32 v15, 0, v5
	v_ldexp_f64 v[33:34], v[33:34], v15
	s_delay_alu instid0(VALU_DEP_3) | instskip(NEXT) | instid1(VALU_DEP_2)
	v_add_f64 v[35:36], v[37:38], v[35:36]
	v_add_f64 v[39:40], v[33:34], 1.0
	v_add_f64 v[45:46], v[33:34], -1.0
	s_delay_alu instid0(VALU_DEP_3) | instskip(SKIP_1) | instid1(VALU_DEP_4)
	v_ldexp_f64 v[35:36], v[35:36], v15
	v_cndmask_b32_e64 v15, 0x54442d18, v59, s7
	v_add_f64 v[37:38], v[39:40], -1.0
	s_delay_alu instid0(VALU_DEP_4) | instskip(NEXT) | instid1(VALU_DEP_2)
	v_add_f64 v[47:48], v[45:46], 1.0
	v_add_f64 v[37:38], v[33:34], -v[37:38]
	s_delay_alu instid0(VALU_DEP_2) | instskip(NEXT) | instid1(VALU_DEP_2)
	v_add_f64 v[33:34], v[33:34], -v[47:48]
	v_add_f64 v[37:38], v[35:36], v[37:38]
	s_delay_alu instid0(VALU_DEP_2) | instskip(NEXT) | instid1(VALU_DEP_2)
	v_add_f64 v[33:34], v[35:36], v[33:34]
	v_add_f64 v[41:42], v[39:40], v[37:38]
	s_delay_alu instid0(VALU_DEP_2) | instskip(NEXT) | instid1(VALU_DEP_2)
	v_add_f64 v[47:48], v[45:46], v[33:34]
	v_rcp_f64_e32 v[43:44], v[41:42]
	v_add_f64 v[39:40], v[41:42], -v[39:40]
	s_delay_alu instid0(VALU_DEP_2) | instskip(NEXT) | instid1(VALU_DEP_2)
	v_add_f64 v[45:46], v[47:48], -v[45:46]
	v_add_f64 v[37:38], v[37:38], -v[39:40]
	s_waitcnt_depctr 0xfff
	v_fma_f64 v[49:50], -v[41:42], v[43:44], 1.0
	v_add_f64 v[33:34], v[33:34], -v[45:46]
	s_delay_alu instid0(VALU_DEP_2) | instskip(NEXT) | instid1(VALU_DEP_1)
	v_fma_f64 v[43:44], v[49:50], v[43:44], v[43:44]
	v_fma_f64 v[35:36], -v[41:42], v[43:44], 1.0
	s_delay_alu instid0(VALU_DEP_1) | instskip(NEXT) | instid1(VALU_DEP_1)
	v_fma_f64 v[35:36], v[35:36], v[43:44], v[43:44]
	v_mul_f64 v[43:44], v[47:48], v[35:36]
	s_delay_alu instid0(VALU_DEP_1) | instskip(NEXT) | instid1(VALU_DEP_1)
	v_mul_f64 v[49:50], v[41:42], v[43:44]
	v_fma_f64 v[39:40], v[43:44], v[41:42], -v[49:50]
	s_delay_alu instid0(VALU_DEP_1) | instskip(NEXT) | instid1(VALU_DEP_1)
	v_fma_f64 v[39:40], v[43:44], v[37:38], v[39:40]
	v_add_f64 v[51:52], v[49:50], v[39:40]
	s_delay_alu instid0(VALU_DEP_1) | instskip(SKIP_2) | instid1(VALU_DEP_3)
	v_add_f64 v[53:54], v[47:48], -v[51:52]
	v_add_f64 v[45:46], v[51:52], -v[49:50]
	v_max_f64 v[49:50], |v[11:12]|, |v[11:12]|
	v_add_f64 v[47:48], v[47:48], -v[53:54]
	s_delay_alu instid0(VALU_DEP_3) | instskip(NEXT) | instid1(VALU_DEP_2)
	v_add_f64 v[39:40], v[45:46], -v[39:40]
	v_add_f64 v[47:48], v[47:48], -v[51:52]
	v_max_f64 v[51:52], |v[9:10]|, |v[9:10]|
	v_cndmask_b32_e64 v9, 0x3fe921fb, v60, s7
	s_delay_alu instid0(VALU_DEP_1) | instskip(NEXT) | instid1(VALU_DEP_4)
	v_bfi_b32 v9, 0x7fffffff, v9, v12
	v_add_f64 v[33:34], v[33:34], v[47:48]
	s_delay_alu instid0(VALU_DEP_4) | instskip(SKIP_1) | instid1(VALU_DEP_3)
	v_max_f64 v[55:56], v[51:52], v[49:50]
	v_min_f64 v[49:50], v[51:52], v[49:50]
	v_add_f64 v[33:34], v[39:40], v[33:34]
	s_delay_alu instid0(VALU_DEP_1) | instskip(NEXT) | instid1(VALU_DEP_1)
	v_add_f64 v[39:40], v[53:54], v[33:34]
	v_mul_f64 v[45:46], v[35:36], v[39:40]
	v_add_f64 v[53:54], v[53:54], -v[39:40]
	s_delay_alu instid0(VALU_DEP_2) | instskip(NEXT) | instid1(VALU_DEP_2)
	v_mul_f64 v[47:48], v[41:42], v[45:46]
	v_add_f64 v[33:34], v[33:34], v[53:54]
	s_delay_alu instid0(VALU_DEP_2) | instskip(NEXT) | instid1(VALU_DEP_1)
	v_fma_f64 v[41:42], v[45:46], v[41:42], -v[47:48]
	v_fma_f64 v[37:38], v[45:46], v[37:38], v[41:42]
	v_div_scale_f64 v[41:42], null, v[55:56], v[55:56], v[49:50]
	s_delay_alu instid0(VALU_DEP_2) | instskip(NEXT) | instid1(VALU_DEP_2)
	v_add_f64 v[51:52], v[47:48], v[37:38]
	v_rcp_f64_e32 v[57:58], v[41:42]
	s_delay_alu instid0(VALU_DEP_1)
	v_add_f64 v[61:62], v[39:40], -v[51:52]
	v_add_f64 v[47:48], v[51:52], -v[47:48]
	s_waitcnt_depctr 0xfff
	v_fma_f64 v[63:64], -v[41:42], v[57:58], 1.0
	v_add_f64 v[39:40], v[39:40], -v[61:62]
	v_add_f64 v[37:38], v[47:48], -v[37:38]
	s_delay_alu instid0(VALU_DEP_3) | instskip(NEXT) | instid1(VALU_DEP_3)
	v_fma_f64 v[57:58], v[57:58], v[63:64], v[57:58]
	v_add_f64 v[39:40], v[39:40], -v[51:52]
	s_delay_alu instid0(VALU_DEP_2) | instskip(NEXT) | instid1(VALU_DEP_2)
	v_fma_f64 v[51:52], -v[41:42], v[57:58], 1.0
	v_add_f64 v[33:34], v[33:34], v[39:40]
	v_div_scale_f64 v[39:40], vcc_lo, v[49:50], v[55:56], v[49:50]
	s_delay_alu instid0(VALU_DEP_3) | instskip(SKIP_1) | instid1(VALU_DEP_4)
	v_fma_f64 v[47:48], v[57:58], v[51:52], v[57:58]
	v_add_f64 v[51:52], v[43:44], v[45:46]
	v_add_f64 v[33:34], v[37:38], v[33:34]
	s_delay_alu instid0(VALU_DEP_3) | instskip(NEXT) | instid1(VALU_DEP_3)
	v_mul_f64 v[37:38], v[39:40], v[47:48]
	v_add_f64 v[43:44], v[51:52], -v[43:44]
	s_delay_alu instid0(VALU_DEP_3) | instskip(NEXT) | instid1(VALU_DEP_3)
	v_add_f64 v[33:34], v[61:62], v[33:34]
	v_fma_f64 v[39:40], -v[41:42], v[37:38], v[39:40]
	s_delay_alu instid0(VALU_DEP_3) | instskip(NEXT) | instid1(VALU_DEP_3)
	v_add_f64 v[41:42], v[45:46], -v[43:44]
	v_mul_f64 v[33:34], v[35:36], v[33:34]
	s_delay_alu instid0(VALU_DEP_3) | instskip(SKIP_1) | instid1(VALU_DEP_3)
	v_div_fmas_f64 v[35:36], v[39:40], v[47:48], v[37:38]
	v_cmp_eq_f64_e32 vcc_lo, 0x7ff00000, v[6:7]
	v_add_f64 v[33:34], v[41:42], v[33:34]
	s_delay_alu instid0(VALU_DEP_3) | instskip(NEXT) | instid1(VALU_DEP_2)
	v_div_fixup_f64 v[35:36], v[35:36], v[55:56], v[49:50]
	v_add_f64 v[37:38], v[51:52], v[33:34]
	s_delay_alu instid0(VALU_DEP_2) | instskip(NEXT) | instid1(VALU_DEP_2)
	v_mul_f64 v[39:40], v[35:36], v[35:36]
	v_mul_f64 v[41:42], v[37:38], v[37:38]
	s_delay_alu instid0(VALU_DEP_2) | instskip(NEXT) | instid1(VALU_DEP_2)
	v_fma_f64 v[43:44], v[39:40], s[50:51], s[48:49]
	v_fma_f64 v[45:46], v[41:42], s[30:31], s[28:29]
	v_mul_f64 v[47:48], v[37:38], v[41:42]
	s_delay_alu instid0(VALU_DEP_3) | instskip(NEXT) | instid1(VALU_DEP_3)
	v_fma_f64 v[43:44], v[39:40], v[43:44], s[52:53]
	v_fma_f64 v[45:46], v[41:42], v[45:46], s[36:37]
	s_delay_alu instid0(VALU_DEP_2) | instskip(NEXT) | instid1(VALU_DEP_2)
	v_fma_f64 v[43:44], v[39:40], v[43:44], s[54:55]
	v_fma_f64 v[45:46], v[41:42], v[45:46], s[38:39]
	s_delay_alu instid0(VALU_DEP_2) | instskip(NEXT) | instid1(VALU_DEP_2)
	;; [unrolled: 3-line block ×4, first 2 shown]
	v_fma_f64 v[43:44], v[39:40], v[43:44], s[60:61]
	v_fma_f64 v[41:42], v[41:42], v[45:46], s[100:101]
	v_ldexp_f64 v[45:46], v[37:38], 1
	v_add_f64 v[37:38], v[37:38], -v[51:52]
	s_delay_alu instid0(VALU_DEP_4) | instskip(NEXT) | instid1(VALU_DEP_4)
	v_fma_f64 v[43:44], v[39:40], v[43:44], s[62:63]
	v_mul_f64 v[41:42], v[47:48], v[41:42]
	v_cvt_f64_i32_e32 v[47:48], v5
	s_delay_alu instid0(VALU_DEP_4) | instskip(NEXT) | instid1(VALU_DEP_4)
	v_add_f64 v[33:34], v[33:34], -v[37:38]
	v_fma_f64 v[43:44], v[39:40], v[43:44], s[64:65]
	v_ashrrev_i32_e32 v5, 31, v10
	v_add_f64 v[49:50], v[45:46], v[41:42]
	v_mul_f64 v[51:52], v[47:48], s[44:45]
	v_ldexp_f64 v[33:34], v[33:34], 1
	v_fma_f64 v[43:44], v[39:40], v[43:44], s[66:67]
	s_delay_alu instid0(VALU_DEP_4) | instskip(NEXT) | instid1(VALU_DEP_4)
	v_add_f64 v[37:38], v[49:50], -v[45:46]
	v_fma_f64 v[45:46], v[47:48], s[44:45], -v[51:52]
	s_delay_alu instid0(VALU_DEP_3) | instskip(NEXT) | instid1(VALU_DEP_3)
	v_fma_f64 v[43:44], v[39:40], v[43:44], s[68:69]
	v_add_f64 v[37:38], v[41:42], -v[37:38]
	s_delay_alu instid0(VALU_DEP_2) | instskip(NEXT) | instid1(VALU_DEP_4)
	v_fma_f64 v[41:42], v[39:40], v[43:44], s[70:71]
	v_fma_f64 v[43:44], v[47:48], s[46:47], v[45:46]
	s_delay_alu instid0(VALU_DEP_3) | instskip(NEXT) | instid1(VALU_DEP_3)
	v_add_f64 v[33:34], v[33:34], v[37:38]
	v_fma_f64 v[37:38], v[39:40], v[41:42], s[72:73]
	s_delay_alu instid0(VALU_DEP_3) | instskip(NEXT) | instid1(VALU_DEP_3)
	v_add_f64 v[41:42], v[51:52], v[43:44]
	v_add_f64 v[45:46], v[49:50], v[33:34]
	s_delay_alu instid0(VALU_DEP_3) | instskip(NEXT) | instid1(VALU_DEP_3)
	v_fma_f64 v[37:38], v[39:40], v[37:38], s[74:75]
	v_add_f64 v[51:52], v[41:42], -v[51:52]
	s_delay_alu instid0(VALU_DEP_3) | instskip(SKIP_1) | instid1(VALU_DEP_4)
	v_add_f64 v[47:48], v[41:42], v[45:46]
	v_add_f64 v[49:50], v[45:46], -v[49:50]
	v_fma_f64 v[37:38], v[39:40], v[37:38], s[76:77]
	s_delay_alu instid0(VALU_DEP_4) | instskip(NEXT) | instid1(VALU_DEP_4)
	v_add_f64 v[43:44], v[43:44], -v[51:52]
	v_add_f64 v[53:54], v[47:48], -v[41:42]
	s_delay_alu instid0(VALU_DEP_4) | instskip(NEXT) | instid1(VALU_DEP_4)
	v_add_f64 v[33:34], v[33:34], -v[49:50]
	v_fma_f64 v[37:38], v[39:40], v[37:38], s[78:79]
	s_delay_alu instid0(VALU_DEP_3) | instskip(SKIP_1) | instid1(VALU_DEP_4)
	v_add_f64 v[55:56], v[47:48], -v[53:54]
	v_add_f64 v[45:46], v[45:46], -v[53:54]
	v_add_f64 v[49:50], v[43:44], v[33:34]
	s_delay_alu instid0(VALU_DEP_4) | instskip(NEXT) | instid1(VALU_DEP_4)
	v_fma_f64 v[37:38], v[39:40], v[37:38], s[80:81]
	v_add_f64 v[41:42], v[41:42], -v[55:56]
	s_delay_alu instid0(VALU_DEP_2) | instskip(NEXT) | instid1(VALU_DEP_2)
	v_fma_f64 v[37:38], v[39:40], v[37:38], s[82:83]
	v_add_f64 v[41:42], v[45:46], v[41:42]
	v_add_f64 v[45:46], v[49:50], -v[43:44]
	s_delay_alu instid0(VALU_DEP_3) | instskip(NEXT) | instid1(VALU_DEP_3)
	v_fma_f64 v[37:38], v[39:40], v[37:38], s[84:85]
	v_add_f64 v[41:42], v[49:50], v[41:42]
	s_delay_alu instid0(VALU_DEP_3) | instskip(SKIP_1) | instid1(VALU_DEP_4)
	v_add_f64 v[49:50], v[49:50], -v[45:46]
	v_add_f64 v[33:34], v[33:34], -v[45:46]
	v_fma_f64 v[37:38], v[39:40], v[37:38], s[86:87]
	s_delay_alu instid0(VALU_DEP_4) | instskip(NEXT) | instid1(VALU_DEP_2)
	v_add_f64 v[51:52], v[47:48], v[41:42]
	v_mul_f64 v[37:38], v[39:40], v[37:38]
	v_add_f64 v[39:40], v[43:44], -v[49:50]
	s_delay_alu instid0(VALU_DEP_3) | instskip(NEXT) | instid1(VALU_DEP_3)
	v_add_f64 v[43:44], v[51:52], -v[47:48]
	v_fma_f64 v[35:36], v[35:36], v[37:38], v[35:36]
	s_delay_alu instid0(VALU_DEP_3) | instskip(NEXT) | instid1(VALU_DEP_3)
	v_add_f64 v[33:34], v[33:34], v[39:40]
	v_add_f64 v[37:38], v[41:42], -v[43:44]
	s_delay_alu instid0(VALU_DEP_3) | instskip(NEXT) | instid1(VALU_DEP_2)
	v_add_f64 v[39:40], -v[35:36], s[88:89]
	v_add_f64 v[33:34], v[33:34], v[37:38]
	s_delay_alu instid0(VALU_DEP_2) | instskip(NEXT) | instid1(VALU_DEP_3)
	v_cndmask_b32_e64 v36, v36, v40, s6
	v_cndmask_b32_e64 v35, v35, v39, s6
	s_delay_alu instid0(VALU_DEP_1) | instskip(NEXT) | instid1(VALU_DEP_4)
	v_add_f64 v[37:38], -v[35:36], s[16:17]
	v_add_f64 v[33:34], v[51:52], v[33:34]
	v_and_b32_e32 v18, 0x54442d18, v5
	v_and_b32_e32 v5, 0x400921fb, v5
	s_delay_alu instid0(VALU_DEP_4) | instskip(SKIP_4) | instid1(VALU_DEP_2)
	v_cndmask_b32_e64 v35, v35, v37, s7
	v_cndmask_b32_e64 v10, v36, v38, s7
	v_cmp_nge_f64_e64 s7, -1.0, v[6:7]
	v_dual_cndmask_b32 v33, v33, v6 :: v_dual_cndmask_b32 v34, v34, v7
	v_cmp_eq_f64_e32 vcc_lo, 0, v[11:12]
	v_mul_f64 v[33:34], v[33:34], 0.5
	v_dual_cndmask_b32 v18, v35, v18 :: v_dual_cndmask_b32 v5, v10, v5
	v_cmp_ngt_f64_e32 vcc_lo, -1.0, v[6:7]
	s_delay_alu instid0(VALU_DEP_3) | instskip(SKIP_1) | instid1(VALU_DEP_3)
	v_cndmask_b32_e32 v10, 0x7ff80000, v34, vcc_lo
	s_and_b32 vcc_lo, s8, s9
	v_cndmask_b32_e32 v34, v5, v9, vcc_lo
	v_cndmask_b32_e64 v5, 0, v33, s7
	v_cndmask_b32_e32 v33, v18, v15, vcc_lo
	v_cmp_neq_f64_e64 s7, -1.0, v[6:7]
	s_delay_alu instid0(VALU_DEP_1)
	v_cndmask_b32_e64 v6, 0xfff00000, v10, s7
.LBB186_93:                             ;   in Loop: Header=BB186_4 Depth=1
	s_or_b32 exec_lo, exec_lo, s92
.LBB186_94:                             ;   in Loop: Header=BB186_4 Depth=1
	s_delay_alu instid0(SALU_CYCLE_1)
	s_or_b32 exec_lo, exec_lo, s25
.LBB186_95:                             ;   in Loop: Header=BB186_4 Depth=1
	s_and_not1_saveexec_b32 s9, s24
	s_cbranch_execz .LBB186_97
; %bb.96:                               ;   in Loop: Header=BB186_4 Depth=1
	v_max_f64 v[5:6], |v[11:12]|, |v[11:12]|
	v_max_f64 v[33:34], |v[9:10]|, |v[9:10]|
	v_cmp_class_f64_e64 s10, v[9:10], 0x204
	v_cmp_class_f64_e64 s11, v[11:12], 0x204
	s_mov_b32 s101, s27
	s_mov_b32 s16, s88
	v_cmp_eq_f64_e64 s8, 0, v[11:12]
	s_delay_alu instid0(VALU_DEP_4) | instskip(SKIP_1) | instid1(VALU_DEP_4)
	v_max_f64 v[35:36], v[33:34], v[5:6]
	v_min_f64 v[5:6], v[33:34], v[5:6]
	s_or_b32 s12, s11, s10
	s_delay_alu instid0(VALU_DEP_2) | instskip(NEXT) | instid1(VALU_DEP_1)
	v_frexp_exp_i32_f64_e32 v7, v[35:36]
	v_sub_nc_u32_e32 v15, 0, v7
	s_delay_alu instid0(VALU_DEP_1) | instskip(SKIP_1) | instid1(VALU_DEP_2)
	v_ldexp_f64 v[37:38], |v[11:12]|, v15
	v_ldexp_f64 v[39:40], |v[9:10]|, v15
	v_mul_f64 v[37:38], v[37:38], v[37:38]
	s_delay_alu instid0(VALU_DEP_1) | instskip(NEXT) | instid1(VALU_DEP_1)
	v_fma_f64 v[37:38], v[39:40], v[39:40], v[37:38]
	v_rsq_f64_e32 v[39:40], v[37:38]
	v_cmp_eq_f64_e32 vcc_lo, 0, v[37:38]
	s_waitcnt_depctr 0xfff
	v_mul_f64 v[41:42], v[37:38], v[39:40]
	v_mul_f64 v[39:40], v[39:40], 0.5
	s_delay_alu instid0(VALU_DEP_1) | instskip(NEXT) | instid1(VALU_DEP_1)
	v_fma_f64 v[43:44], -v[39:40], v[41:42], 0.5
	v_fma_f64 v[41:42], v[41:42], v[43:44], v[41:42]
	v_fma_f64 v[39:40], v[39:40], v[43:44], v[39:40]
	s_delay_alu instid0(VALU_DEP_2) | instskip(NEXT) | instid1(VALU_DEP_1)
	v_fma_f64 v[43:44], -v[41:42], v[41:42], v[37:38]
	v_fma_f64 v[39:40], v[43:44], v[39:40], v[41:42]
	s_delay_alu instid0(VALU_DEP_1) | instskip(SKIP_1) | instid1(VALU_DEP_2)
	v_dual_cndmask_b32 v38, v40, v38 :: v_dual_cndmask_b32 v37, v39, v37
	v_div_scale_f64 v[61:62], vcc_lo, v[5:6], v[35:36], v[5:6]
	v_ldexp_f64 v[37:38], v[37:38], v7
	s_delay_alu instid0(VALU_DEP_1) | instskip(NEXT) | instid1(VALU_DEP_2)
	v_cndmask_b32_e64 v40, v38, 0x7ff00000, s12
	v_cndmask_b32_e64 v39, v37, 0, s12
	s_delay_alu instid0(VALU_DEP_1) | instskip(SKIP_1) | instid1(VALU_DEP_2)
	v_frexp_mant_f64_e32 v[41:42], v[39:40]
	v_frexp_exp_i32_f64_e32 v7, v[39:40]
	v_cmp_gt_f64_e64 s7, s[26:27], v[41:42]
	s_delay_alu instid0(VALU_DEP_1) | instskip(NEXT) | instid1(VALU_DEP_1)
	v_cndmask_b32_e64 v18, 0x3ff00000, 2.0, s7
	v_mul_f64 v[41:42], v[41:42], v[17:18]
	s_delay_alu instid0(VALU_DEP_1) | instskip(SKIP_1) | instid1(VALU_DEP_2)
	v_add_f64 v[43:44], v[41:42], 1.0
	v_add_f64 v[49:50], v[41:42], -1.0
	v_rcp_f64_e32 v[45:46], v[43:44]
	v_add_f64 v[51:52], v[43:44], -1.0
	s_delay_alu instid0(VALU_DEP_1) | instskip(SKIP_2) | instid1(VALU_DEP_1)
	v_add_f64 v[41:42], v[41:42], -v[51:52]
	s_waitcnt_depctr 0xfff
	v_fma_f64 v[47:48], -v[43:44], v[45:46], 1.0
	v_fma_f64 v[45:46], v[47:48], v[45:46], v[45:46]
	s_delay_alu instid0(VALU_DEP_1) | instskip(NEXT) | instid1(VALU_DEP_1)
	v_fma_f64 v[47:48], -v[43:44], v[45:46], 1.0
	v_fma_f64 v[45:46], v[47:48], v[45:46], v[45:46]
	v_div_scale_f64 v[47:48], null, v[35:36], v[35:36], v[5:6]
	s_delay_alu instid0(VALU_DEP_2) | instskip(NEXT) | instid1(VALU_DEP_2)
	v_mul_f64 v[33:34], v[49:50], v[45:46]
	v_rcp_f64_e32 v[55:56], v[47:48]
	s_delay_alu instid0(VALU_DEP_1) | instskip(SKIP_3) | instid1(VALU_DEP_1)
	v_mul_f64 v[53:54], v[43:44], v[33:34]
	s_waitcnt_depctr 0xfff
	v_fma_f64 v[51:52], -v[47:48], v[55:56], 1.0
	v_fma_f64 v[43:44], v[33:34], v[43:44], -v[53:54]
	v_fma_f64 v[41:42], v[33:34], v[41:42], v[43:44]
	s_delay_alu instid0(VALU_DEP_3) | instskip(NEXT) | instid1(VALU_DEP_2)
	v_fma_f64 v[43:44], v[55:56], v[51:52], v[55:56]
	v_add_f64 v[51:52], v[53:54], v[41:42]
	s_delay_alu instid0(VALU_DEP_2) | instskip(NEXT) | instid1(VALU_DEP_2)
	v_fma_f64 v[55:56], -v[47:48], v[43:44], 1.0
	v_add_f64 v[57:58], v[49:50], -v[51:52]
	s_delay_alu instid0(VALU_DEP_2) | instskip(SKIP_1) | instid1(VALU_DEP_3)
	v_fma_f64 v[43:44], v[43:44], v[55:56], v[43:44]
	v_add_f64 v[53:54], v[51:52], -v[53:54]
	v_add_f64 v[49:50], v[49:50], -v[57:58]
	s_delay_alu instid0(VALU_DEP_3) | instskip(NEXT) | instid1(VALU_DEP_3)
	v_mul_f64 v[55:56], v[61:62], v[43:44]
	v_add_f64 v[41:42], v[53:54], -v[41:42]
	s_delay_alu instid0(VALU_DEP_3) | instskip(NEXT) | instid1(VALU_DEP_3)
	v_add_f64 v[49:50], v[49:50], -v[51:52]
	v_fma_f64 v[47:48], -v[47:48], v[55:56], v[61:62]
	s_delay_alu instid0(VALU_DEP_2) | instskip(NEXT) | instid1(VALU_DEP_2)
	v_add_f64 v[41:42], v[41:42], v[49:50]
	v_div_fmas_f64 v[43:44], v[47:48], v[43:44], v[55:56]
	v_subrev_co_ci_u32_e64 v7, vcc_lo, 0, v7, s7
	v_cmp_class_f64_e64 s7, v[37:38], 0x204
	v_cmp_gt_i32_e32 vcc_lo, 0, v10
	v_cndmask_b32_e32 v9, 0x54442d18, v59, vcc_lo
	v_cndmask_b32_e32 v15, 0x3fe921fb, v60, vcc_lo
	s_delay_alu instid0(VALU_DEP_1) | instskip(SKIP_2) | instid1(VALU_DEP_2)
	v_bfi_b32 v15, 0x7fffffff, v15, v12
	v_add_f64 v[41:42], v[57:58], v[41:42]
	v_div_fixup_f64 v[5:6], v[43:44], v[35:36], v[5:6]
	v_mul_f64 v[35:36], v[45:46], v[41:42]
	s_delay_alu instid0(VALU_DEP_2) | instskip(NEXT) | instid1(VALU_DEP_2)
	v_mul_f64 v[41:42], v[5:6], v[5:6]
	v_add_f64 v[43:44], v[33:34], v[35:36]
	s_delay_alu instid0(VALU_DEP_2) | instskip(NEXT) | instid1(VALU_DEP_2)
	v_fma_f64 v[45:46], v[41:42], s[50:51], s[48:49]
	v_mul_f64 v[47:48], v[43:44], v[43:44]
	s_delay_alu instid0(VALU_DEP_2) | instskip(SKIP_1) | instid1(VALU_DEP_3)
	v_fma_f64 v[45:46], v[41:42], v[45:46], s[52:53]
	v_add_f64 v[33:34], v[43:44], -v[33:34]
	v_fma_f64 v[49:50], v[47:48], s[30:31], s[28:29]
	s_delay_alu instid0(VALU_DEP_3) | instskip(SKIP_1) | instid1(VALU_DEP_4)
	v_fma_f64 v[45:46], v[41:42], v[45:46], s[54:55]
	v_mul_f64 v[51:52], v[43:44], v[47:48]
	v_add_f64 v[33:34], v[35:36], -v[33:34]
	s_delay_alu instid0(VALU_DEP_4) | instskip(NEXT) | instid1(VALU_DEP_4)
	v_fma_f64 v[49:50], v[47:48], v[49:50], s[36:37]
	v_fma_f64 v[45:46], v[41:42], v[45:46], s[56:57]
	s_delay_alu instid0(VALU_DEP_3) | instskip(NEXT) | instid1(VALU_DEP_3)
	v_ldexp_f64 v[33:34], v[33:34], 1
	v_fma_f64 v[49:50], v[47:48], v[49:50], s[38:39]
	s_delay_alu instid0(VALU_DEP_3) | instskip(NEXT) | instid1(VALU_DEP_2)
	v_fma_f64 v[45:46], v[41:42], v[45:46], s[58:59]
	v_fma_f64 v[49:50], v[47:48], v[49:50], s[40:41]
	s_delay_alu instid0(VALU_DEP_2) | instskip(NEXT) | instid1(VALU_DEP_2)
	v_fma_f64 v[45:46], v[41:42], v[45:46], s[60:61]
	v_fma_f64 v[49:50], v[47:48], v[49:50], s[42:43]
	s_delay_alu instid0(VALU_DEP_2) | instskip(NEXT) | instid1(VALU_DEP_2)
	v_fma_f64 v[45:46], v[41:42], v[45:46], s[62:63]
	v_fma_f64 v[47:48], v[47:48], v[49:50], s[100:101]
	s_delay_alu instid0(VALU_DEP_2) | instskip(SKIP_1) | instid1(VALU_DEP_3)
	v_fma_f64 v[45:46], v[41:42], v[45:46], s[64:65]
	v_ldexp_f64 v[49:50], v[43:44], 1
	v_mul_f64 v[47:48], v[51:52], v[47:48]
	s_delay_alu instid0(VALU_DEP_3) | instskip(SKIP_2) | instid1(VALU_DEP_1)
	v_fma_f64 v[45:46], v[41:42], v[45:46], s[66:67]
	v_cvt_f64_i32_e32 v[51:52], v7
	v_ashrrev_i32_e32 v7, 31, v10
	v_and_b32_e32 v10, 0x54442d18, v7
	v_and_b32_e32 v7, 0x400921fb, v7
	v_add_f64 v[43:44], v[49:50], v[47:48]
	v_fma_f64 v[45:46], v[41:42], v[45:46], s[68:69]
	v_mul_f64 v[53:54], v[51:52], s[44:45]
	s_delay_alu instid0(VALU_DEP_3) | instskip(NEXT) | instid1(VALU_DEP_3)
	v_add_f64 v[35:36], v[43:44], -v[49:50]
	v_fma_f64 v[45:46], v[41:42], v[45:46], s[70:71]
	s_delay_alu instid0(VALU_DEP_3) | instskip(NEXT) | instid1(VALU_DEP_3)
	v_fma_f64 v[49:50], v[51:52], s[44:45], -v[53:54]
	v_add_f64 v[35:36], v[47:48], -v[35:36]
	s_delay_alu instid0(VALU_DEP_3) | instskip(NEXT) | instid1(VALU_DEP_3)
	v_fma_f64 v[45:46], v[41:42], v[45:46], s[72:73]
	v_fma_f64 v[47:48], v[51:52], s[46:47], v[49:50]
	s_delay_alu instid0(VALU_DEP_3) | instskip(NEXT) | instid1(VALU_DEP_3)
	v_add_f64 v[33:34], v[33:34], v[35:36]
	v_fma_f64 v[35:36], v[41:42], v[45:46], s[74:75]
	s_delay_alu instid0(VALU_DEP_3) | instskip(NEXT) | instid1(VALU_DEP_3)
	v_add_f64 v[45:46], v[53:54], v[47:48]
	v_add_f64 v[49:50], v[43:44], v[33:34]
	s_delay_alu instid0(VALU_DEP_3) | instskip(NEXT) | instid1(VALU_DEP_3)
	v_fma_f64 v[35:36], v[41:42], v[35:36], s[76:77]
	v_add_f64 v[53:54], v[45:46], -v[53:54]
	s_delay_alu instid0(VALU_DEP_3) | instskip(NEXT) | instid1(VALU_DEP_3)
	v_add_f64 v[51:52], v[45:46], v[49:50]
	v_fma_f64 v[35:36], v[41:42], v[35:36], s[78:79]
	v_add_f64 v[43:44], v[49:50], -v[43:44]
	s_delay_alu instid0(VALU_DEP_4) | instskip(NEXT) | instid1(VALU_DEP_4)
	v_add_f64 v[47:48], v[47:48], -v[53:54]
	v_add_f64 v[55:56], v[51:52], -v[45:46]
	s_delay_alu instid0(VALU_DEP_4) | instskip(NEXT) | instid1(VALU_DEP_4)
	v_fma_f64 v[35:36], v[41:42], v[35:36], s[80:81]
	v_add_f64 v[33:34], v[33:34], -v[43:44]
	s_delay_alu instid0(VALU_DEP_3) | instskip(NEXT) | instid1(VALU_DEP_3)
	v_add_f64 v[57:58], v[51:52], -v[55:56]
	v_fma_f64 v[35:36], v[41:42], v[35:36], s[82:83]
	v_add_f64 v[43:44], v[49:50], -v[55:56]
	s_delay_alu instid0(VALU_DEP_4) | instskip(NEXT) | instid1(VALU_DEP_4)
	v_add_f64 v[49:50], v[47:48], v[33:34]
	v_add_f64 v[45:46], v[45:46], -v[57:58]
	s_delay_alu instid0(VALU_DEP_4) | instskip(NEXT) | instid1(VALU_DEP_2)
	v_fma_f64 v[35:36], v[41:42], v[35:36], s[84:85]
	v_add_f64 v[43:44], v[43:44], v[45:46]
	s_delay_alu instid0(VALU_DEP_2) | instskip(SKIP_1) | instid1(VALU_DEP_3)
	v_fma_f64 v[35:36], v[41:42], v[35:36], s[86:87]
	v_add_f64 v[45:46], v[49:50], -v[47:48]
	v_add_f64 v[43:44], v[49:50], v[43:44]
	s_delay_alu instid0(VALU_DEP_3) | instskip(NEXT) | instid1(VALU_DEP_3)
	v_mul_f64 v[35:36], v[41:42], v[35:36]
	v_add_f64 v[41:42], v[49:50], -v[45:46]
	v_add_f64 v[33:34], v[33:34], -v[45:46]
	s_delay_alu instid0(VALU_DEP_4) | instskip(NEXT) | instid1(VALU_DEP_4)
	v_add_f64 v[49:50], v[51:52], v[43:44]
	v_fma_f64 v[5:6], v[5:6], v[35:36], v[5:6]
	s_delay_alu instid0(VALU_DEP_4) | instskip(NEXT) | instid1(VALU_DEP_3)
	v_add_f64 v[35:36], v[47:48], -v[41:42]
	v_add_f64 v[41:42], v[49:50], -v[51:52]
	s_delay_alu instid0(VALU_DEP_3) | instskip(NEXT) | instid1(VALU_DEP_3)
	v_add_f64 v[45:46], -v[5:6], s[88:89]
	v_add_f64 v[33:34], v[33:34], v[35:36]
	s_delay_alu instid0(VALU_DEP_3) | instskip(NEXT) | instid1(VALU_DEP_3)
	v_add_f64 v[35:36], v[43:44], -v[41:42]
	v_cndmask_b32_e64 v6, v6, v46, s6
	s_delay_alu instid0(VALU_DEP_4) | instskip(NEXT) | instid1(VALU_DEP_3)
	v_cndmask_b32_e64 v5, v5, v45, s6
	v_add_f64 v[33:34], v[33:34], v[35:36]
	s_delay_alu instid0(VALU_DEP_2) | instskip(NEXT) | instid1(VALU_DEP_2)
	v_add_f64 v[35:36], -v[5:6], s[16:17]
	v_add_f64 v[33:34], v[49:50], v[33:34]
	s_delay_alu instid0(VALU_DEP_2) | instskip(SKIP_1) | instid1(VALU_DEP_2)
	v_dual_cndmask_b32 v5, v5, v35 :: v_dual_cndmask_b32 v6, v6, v36
	v_cmp_ngt_f64_e32 vcc_lo, 0, v[39:40]
	v_cndmask_b32_e64 v10, v5, v10, s8
	s_delay_alu instid0(VALU_DEP_3) | instskip(SKIP_3) | instid1(VALU_DEP_3)
	v_cndmask_b32_e64 v5, v6, v7, s8
	v_cndmask_b32_e64 v18, v34, v38, s7
	;; [unrolled: 1-line block ×3, first 2 shown]
	v_cmp_nge_f64_e64 s7, 0, v[39:40]
	v_cndmask_b32_e64 v18, v18, 0x7ff00000, s12
	s_delay_alu instid0(VALU_DEP_3) | instskip(NEXT) | instid1(VALU_DEP_2)
	v_cndmask_b32_e64 v6, v33, 0, s12
	v_cndmask_b32_e32 v7, 0x7ff80000, v18, vcc_lo
	s_and_b32 vcc_lo, s11, s10
	v_dual_cndmask_b32 v34, v5, v15 :: v_dual_cndmask_b32 v33, v10, v9
	s_delay_alu instid0(VALU_DEP_3) | instskip(SKIP_1) | instid1(VALU_DEP_1)
	v_cndmask_b32_e64 v5, 0, v6, s7
	v_cmp_neq_f64_e64 s7, 0, v[39:40]
	v_cndmask_b32_e64 v6, 0xfff00000, v7, s7
.LBB186_97:                             ;   in Loop: Header=BB186_4 Depth=1
	s_or_b32 exec_lo, exec_lo, s9
                                        ; implicit-def: $vgpr37_vgpr38
.LBB186_98:                             ;   in Loop: Header=BB186_4 Depth=1
	s_and_not1_saveexec_b32 s9, s23
	s_cbranch_execz .LBB186_104
; %bb.99:                               ;   in Loop: Header=BB186_4 Depth=1
	s_mov_b32 s10, 0x6a3f9475
	s_mov_b32 s11, 0x20ca2fe7
                                        ; implicit-def: $vgpr5_vgpr6
                                        ; implicit-def: $vgpr33_vgpr34
	s_mov_b32 s7, exec_lo
	v_cmpx_ngt_f64_e32 s[10:11], v[37:38]
	s_xor_b32 s10, exec_lo, s7
	s_cbranch_execz .LBB186_101
; %bb.100:                              ;   in Loop: Header=BB186_4 Depth=1
	v_mul_f64 v[5:6], v[37:38], v[37:38]
	s_mov_b32 s101, s27
	s_mov_b32 s16, s88
	v_cmp_eq_f64_e64 s8, 0, v[11:12]
	v_cmp_class_f64_e64 s11, v[11:12], 0x204
	v_cmp_class_f64_e64 s12, v[9:10], 0x204
	v_cmp_gt_i32_e64 s7, 0, v10
	v_add_f64 v[33:34], v[5:6], 1.0
	s_delay_alu instid0(VALU_DEP_1) | instskip(SKIP_2) | instid1(VALU_DEP_3)
	v_frexp_mant_f64_e32 v[35:36], v[33:34]
	v_frexp_exp_i32_f64_e32 v7, v[33:34]
	v_add_f64 v[37:38], v[33:34], -1.0
	v_cmp_gt_f64_e32 vcc_lo, s[26:27], v[35:36]
	s_delay_alu instid0(VALU_DEP_2) | instskip(SKIP_2) | instid1(VALU_DEP_3)
	v_add_f64 v[35:36], v[37:38], -v[33:34]
	v_add_f64 v[37:38], v[5:6], -v[37:38]
	v_subrev_co_ci_u32_e32 v7, vcc_lo, 0, v7, vcc_lo
	v_add_f64 v[35:36], v[35:36], 1.0
	s_delay_alu instid0(VALU_DEP_2) | instskip(NEXT) | instid1(VALU_DEP_1)
	v_sub_nc_u32_e32 v15, 0, v7
	v_ldexp_f64 v[33:34], v[33:34], v15
	s_delay_alu instid0(VALU_DEP_3) | instskip(NEXT) | instid1(VALU_DEP_2)
	v_add_f64 v[35:36], v[37:38], v[35:36]
	v_add_f64 v[39:40], v[33:34], 1.0
	v_add_f64 v[45:46], v[33:34], -1.0
	s_delay_alu instid0(VALU_DEP_3) | instskip(SKIP_1) | instid1(VALU_DEP_4)
	v_ldexp_f64 v[35:36], v[35:36], v15
	v_cndmask_b32_e64 v15, 0x54442d18, v59, s7
	v_add_f64 v[37:38], v[39:40], -1.0
	s_delay_alu instid0(VALU_DEP_4) | instskip(NEXT) | instid1(VALU_DEP_2)
	v_add_f64 v[47:48], v[45:46], 1.0
	v_add_f64 v[37:38], v[33:34], -v[37:38]
	s_delay_alu instid0(VALU_DEP_2) | instskip(NEXT) | instid1(VALU_DEP_2)
	v_add_f64 v[33:34], v[33:34], -v[47:48]
	v_add_f64 v[37:38], v[35:36], v[37:38]
	s_delay_alu instid0(VALU_DEP_2) | instskip(NEXT) | instid1(VALU_DEP_2)
	v_add_f64 v[33:34], v[35:36], v[33:34]
	v_add_f64 v[41:42], v[39:40], v[37:38]
	s_delay_alu instid0(VALU_DEP_2) | instskip(NEXT) | instid1(VALU_DEP_2)
	v_add_f64 v[47:48], v[45:46], v[33:34]
	v_rcp_f64_e32 v[43:44], v[41:42]
	v_add_f64 v[39:40], v[39:40], -v[41:42]
	s_delay_alu instid0(VALU_DEP_2) | instskip(NEXT) | instid1(VALU_DEP_2)
	v_add_f64 v[45:46], v[45:46], -v[47:48]
	v_add_f64 v[37:38], v[37:38], v[39:40]
	s_waitcnt_depctr 0xfff
	v_fma_f64 v[49:50], -v[41:42], v[43:44], 1.0
	v_add_f64 v[33:34], v[33:34], v[45:46]
	s_delay_alu instid0(VALU_DEP_2) | instskip(NEXT) | instid1(VALU_DEP_1)
	v_fma_f64 v[43:44], v[49:50], v[43:44], v[43:44]
	v_fma_f64 v[35:36], -v[41:42], v[43:44], 1.0
	s_delay_alu instid0(VALU_DEP_1) | instskip(NEXT) | instid1(VALU_DEP_1)
	v_fma_f64 v[35:36], v[35:36], v[43:44], v[43:44]
	v_mul_f64 v[43:44], v[47:48], v[35:36]
	s_delay_alu instid0(VALU_DEP_1) | instskip(NEXT) | instid1(VALU_DEP_1)
	v_mul_f64 v[49:50], v[41:42], v[43:44]
	v_fma_f64 v[39:40], v[43:44], v[41:42], -v[49:50]
	s_delay_alu instid0(VALU_DEP_1) | instskip(NEXT) | instid1(VALU_DEP_1)
	v_fma_f64 v[39:40], v[43:44], v[37:38], v[39:40]
	v_add_f64 v[51:52], v[49:50], v[39:40]
	s_delay_alu instid0(VALU_DEP_1) | instskip(SKIP_2) | instid1(VALU_DEP_3)
	v_add_f64 v[53:54], v[47:48], -v[51:52]
	v_add_f64 v[45:46], v[51:52], -v[49:50]
	v_max_f64 v[49:50], |v[11:12]|, |v[11:12]|
	v_add_f64 v[47:48], v[47:48], -v[53:54]
	s_delay_alu instid0(VALU_DEP_3) | instskip(NEXT) | instid1(VALU_DEP_2)
	v_add_f64 v[39:40], v[45:46], -v[39:40]
	v_add_f64 v[47:48], v[47:48], -v[51:52]
	v_max_f64 v[51:52], |v[9:10]|, |v[9:10]|
	v_cndmask_b32_e64 v9, 0x3fe921fb, v60, s7
	s_delay_alu instid0(VALU_DEP_1) | instskip(NEXT) | instid1(VALU_DEP_4)
	v_bfi_b32 v9, 0x7fffffff, v9, v12
	v_add_f64 v[33:34], v[33:34], v[47:48]
	s_delay_alu instid0(VALU_DEP_4) | instskip(SKIP_1) | instid1(VALU_DEP_3)
	v_max_f64 v[55:56], v[51:52], v[49:50]
	v_min_f64 v[49:50], v[51:52], v[49:50]
	v_add_f64 v[33:34], v[39:40], v[33:34]
	s_delay_alu instid0(VALU_DEP_1) | instskip(NEXT) | instid1(VALU_DEP_1)
	v_add_f64 v[39:40], v[53:54], v[33:34]
	v_mul_f64 v[45:46], v[35:36], v[39:40]
	v_add_f64 v[53:54], v[53:54], -v[39:40]
	s_delay_alu instid0(VALU_DEP_2) | instskip(NEXT) | instid1(VALU_DEP_2)
	v_mul_f64 v[47:48], v[41:42], v[45:46]
	v_add_f64 v[33:34], v[33:34], v[53:54]
	s_delay_alu instid0(VALU_DEP_2) | instskip(NEXT) | instid1(VALU_DEP_1)
	v_fma_f64 v[41:42], v[45:46], v[41:42], -v[47:48]
	v_fma_f64 v[37:38], v[45:46], v[37:38], v[41:42]
	v_div_scale_f64 v[41:42], null, v[55:56], v[55:56], v[49:50]
	s_delay_alu instid0(VALU_DEP_2) | instskip(NEXT) | instid1(VALU_DEP_2)
	v_add_f64 v[51:52], v[47:48], v[37:38]
	v_rcp_f64_e32 v[57:58], v[41:42]
	s_delay_alu instid0(VALU_DEP_1)
	v_add_f64 v[61:62], v[39:40], -v[51:52]
	v_add_f64 v[47:48], v[51:52], -v[47:48]
	s_waitcnt_depctr 0xfff
	v_fma_f64 v[63:64], -v[41:42], v[57:58], 1.0
	v_add_f64 v[39:40], v[39:40], -v[61:62]
	v_add_f64 v[37:38], v[47:48], -v[37:38]
	s_delay_alu instid0(VALU_DEP_3) | instskip(NEXT) | instid1(VALU_DEP_3)
	v_fma_f64 v[57:58], v[57:58], v[63:64], v[57:58]
	v_add_f64 v[39:40], v[39:40], -v[51:52]
	s_delay_alu instid0(VALU_DEP_2) | instskip(NEXT) | instid1(VALU_DEP_2)
	v_fma_f64 v[51:52], -v[41:42], v[57:58], 1.0
	v_add_f64 v[33:34], v[33:34], v[39:40]
	v_div_scale_f64 v[39:40], vcc_lo, v[49:50], v[55:56], v[49:50]
	s_delay_alu instid0(VALU_DEP_3) | instskip(SKIP_1) | instid1(VALU_DEP_4)
	v_fma_f64 v[47:48], v[57:58], v[51:52], v[57:58]
	v_add_f64 v[51:52], v[43:44], v[45:46]
	v_add_f64 v[33:34], v[37:38], v[33:34]
	s_delay_alu instid0(VALU_DEP_3) | instskip(NEXT) | instid1(VALU_DEP_3)
	v_mul_f64 v[37:38], v[39:40], v[47:48]
	v_add_f64 v[43:44], v[51:52], -v[43:44]
	s_delay_alu instid0(VALU_DEP_3) | instskip(NEXT) | instid1(VALU_DEP_3)
	v_add_f64 v[33:34], v[61:62], v[33:34]
	v_fma_f64 v[39:40], -v[41:42], v[37:38], v[39:40]
	s_delay_alu instid0(VALU_DEP_3) | instskip(NEXT) | instid1(VALU_DEP_3)
	v_add_f64 v[41:42], v[45:46], -v[43:44]
	v_mul_f64 v[33:34], v[35:36], v[33:34]
	s_delay_alu instid0(VALU_DEP_3) | instskip(SKIP_1) | instid1(VALU_DEP_3)
	v_div_fmas_f64 v[35:36], v[39:40], v[47:48], v[37:38]
	v_cmp_eq_f64_e32 vcc_lo, 0x7ff00000, v[5:6]
	v_add_f64 v[33:34], v[41:42], v[33:34]
	s_delay_alu instid0(VALU_DEP_3) | instskip(NEXT) | instid1(VALU_DEP_2)
	v_div_fixup_f64 v[35:36], v[35:36], v[55:56], v[49:50]
	v_add_f64 v[37:38], v[51:52], v[33:34]
	s_delay_alu instid0(VALU_DEP_2) | instskip(NEXT) | instid1(VALU_DEP_2)
	v_mul_f64 v[39:40], v[35:36], v[35:36]
	v_mul_f64 v[41:42], v[37:38], v[37:38]
	s_delay_alu instid0(VALU_DEP_2) | instskip(NEXT) | instid1(VALU_DEP_2)
	v_fma_f64 v[43:44], v[39:40], s[50:51], s[48:49]
	v_fma_f64 v[45:46], v[41:42], s[30:31], s[28:29]
	v_mul_f64 v[47:48], v[37:38], v[41:42]
	s_delay_alu instid0(VALU_DEP_3) | instskip(NEXT) | instid1(VALU_DEP_3)
	v_fma_f64 v[43:44], v[39:40], v[43:44], s[52:53]
	v_fma_f64 v[45:46], v[41:42], v[45:46], s[36:37]
	s_delay_alu instid0(VALU_DEP_2) | instskip(NEXT) | instid1(VALU_DEP_2)
	v_fma_f64 v[43:44], v[39:40], v[43:44], s[54:55]
	v_fma_f64 v[45:46], v[41:42], v[45:46], s[38:39]
	s_delay_alu instid0(VALU_DEP_2) | instskip(NEXT) | instid1(VALU_DEP_2)
	;; [unrolled: 3-line block ×4, first 2 shown]
	v_fma_f64 v[43:44], v[39:40], v[43:44], s[60:61]
	v_fma_f64 v[41:42], v[41:42], v[45:46], s[100:101]
	v_ldexp_f64 v[45:46], v[37:38], 1
	v_add_f64 v[37:38], v[37:38], -v[51:52]
	s_delay_alu instid0(VALU_DEP_4) | instskip(NEXT) | instid1(VALU_DEP_4)
	v_fma_f64 v[43:44], v[39:40], v[43:44], s[62:63]
	v_mul_f64 v[41:42], v[47:48], v[41:42]
	v_cvt_f64_i32_e32 v[47:48], v7
	s_delay_alu instid0(VALU_DEP_4) | instskip(NEXT) | instid1(VALU_DEP_4)
	v_add_f64 v[33:34], v[33:34], -v[37:38]
	v_fma_f64 v[43:44], v[39:40], v[43:44], s[64:65]
	v_ashrrev_i32_e32 v7, 31, v10
	v_add_f64 v[49:50], v[45:46], v[41:42]
	v_mul_f64 v[51:52], v[47:48], s[44:45]
	v_ldexp_f64 v[33:34], v[33:34], 1
	v_fma_f64 v[43:44], v[39:40], v[43:44], s[66:67]
	s_delay_alu instid0(VALU_DEP_4) | instskip(NEXT) | instid1(VALU_DEP_4)
	v_add_f64 v[37:38], v[49:50], -v[45:46]
	v_fma_f64 v[45:46], v[47:48], s[44:45], -v[51:52]
	s_delay_alu instid0(VALU_DEP_3) | instskip(NEXT) | instid1(VALU_DEP_3)
	v_fma_f64 v[43:44], v[39:40], v[43:44], s[68:69]
	v_add_f64 v[37:38], v[41:42], -v[37:38]
	s_delay_alu instid0(VALU_DEP_2) | instskip(NEXT) | instid1(VALU_DEP_4)
	v_fma_f64 v[41:42], v[39:40], v[43:44], s[70:71]
	v_fma_f64 v[43:44], v[47:48], s[46:47], v[45:46]
	s_delay_alu instid0(VALU_DEP_3) | instskip(NEXT) | instid1(VALU_DEP_3)
	v_add_f64 v[33:34], v[33:34], v[37:38]
	v_fma_f64 v[37:38], v[39:40], v[41:42], s[72:73]
	s_delay_alu instid0(VALU_DEP_3) | instskip(NEXT) | instid1(VALU_DEP_3)
	v_add_f64 v[41:42], v[51:52], v[43:44]
	v_add_f64 v[45:46], v[49:50], v[33:34]
	s_delay_alu instid0(VALU_DEP_3) | instskip(NEXT) | instid1(VALU_DEP_3)
	v_fma_f64 v[37:38], v[39:40], v[37:38], s[74:75]
	v_add_f64 v[51:52], v[41:42], -v[51:52]
	s_delay_alu instid0(VALU_DEP_3) | instskip(SKIP_1) | instid1(VALU_DEP_4)
	v_add_f64 v[47:48], v[41:42], v[45:46]
	v_add_f64 v[49:50], v[45:46], -v[49:50]
	v_fma_f64 v[37:38], v[39:40], v[37:38], s[76:77]
	s_delay_alu instid0(VALU_DEP_4) | instskip(NEXT) | instid1(VALU_DEP_4)
	v_add_f64 v[43:44], v[43:44], -v[51:52]
	v_add_f64 v[53:54], v[47:48], -v[41:42]
	s_delay_alu instid0(VALU_DEP_4) | instskip(NEXT) | instid1(VALU_DEP_4)
	v_add_f64 v[33:34], v[33:34], -v[49:50]
	v_fma_f64 v[37:38], v[39:40], v[37:38], s[78:79]
	s_delay_alu instid0(VALU_DEP_3) | instskip(SKIP_1) | instid1(VALU_DEP_4)
	v_add_f64 v[55:56], v[47:48], -v[53:54]
	v_add_f64 v[45:46], v[45:46], -v[53:54]
	v_add_f64 v[49:50], v[43:44], v[33:34]
	s_delay_alu instid0(VALU_DEP_4) | instskip(NEXT) | instid1(VALU_DEP_4)
	v_fma_f64 v[37:38], v[39:40], v[37:38], s[80:81]
	v_add_f64 v[41:42], v[41:42], -v[55:56]
	s_delay_alu instid0(VALU_DEP_2) | instskip(NEXT) | instid1(VALU_DEP_2)
	v_fma_f64 v[37:38], v[39:40], v[37:38], s[82:83]
	v_add_f64 v[41:42], v[45:46], v[41:42]
	v_add_f64 v[45:46], v[49:50], -v[43:44]
	s_delay_alu instid0(VALU_DEP_3) | instskip(NEXT) | instid1(VALU_DEP_3)
	v_fma_f64 v[37:38], v[39:40], v[37:38], s[84:85]
	v_add_f64 v[41:42], v[49:50], v[41:42]
	s_delay_alu instid0(VALU_DEP_3) | instskip(SKIP_1) | instid1(VALU_DEP_4)
	v_add_f64 v[49:50], v[49:50], -v[45:46]
	v_add_f64 v[33:34], v[33:34], -v[45:46]
	v_fma_f64 v[37:38], v[39:40], v[37:38], s[86:87]
	s_delay_alu instid0(VALU_DEP_4) | instskip(NEXT) | instid1(VALU_DEP_2)
	v_add_f64 v[51:52], v[47:48], v[41:42]
	v_mul_f64 v[37:38], v[39:40], v[37:38]
	v_add_f64 v[39:40], v[43:44], -v[49:50]
	s_delay_alu instid0(VALU_DEP_3) | instskip(NEXT) | instid1(VALU_DEP_3)
	v_add_f64 v[43:44], v[51:52], -v[47:48]
	v_fma_f64 v[35:36], v[35:36], v[37:38], v[35:36]
	s_delay_alu instid0(VALU_DEP_3) | instskip(NEXT) | instid1(VALU_DEP_3)
	v_add_f64 v[33:34], v[33:34], v[39:40]
	v_add_f64 v[37:38], v[41:42], -v[43:44]
	s_delay_alu instid0(VALU_DEP_3) | instskip(NEXT) | instid1(VALU_DEP_2)
	v_add_f64 v[39:40], -v[35:36], s[88:89]
	v_add_f64 v[33:34], v[33:34], v[37:38]
	s_delay_alu instid0(VALU_DEP_2) | instskip(NEXT) | instid1(VALU_DEP_3)
	v_cndmask_b32_e64 v36, v36, v40, s6
	v_cndmask_b32_e64 v35, v35, v39, s6
	s_delay_alu instid0(VALU_DEP_1) | instskip(NEXT) | instid1(VALU_DEP_4)
	v_add_f64 v[37:38], -v[35:36], s[16:17]
	v_add_f64 v[33:34], v[51:52], v[33:34]
	v_and_b32_e32 v18, 0x54442d18, v7
	v_and_b32_e32 v7, 0x400921fb, v7
	s_delay_alu instid0(VALU_DEP_4) | instskip(SKIP_1) | instid1(VALU_DEP_1)
	v_cndmask_b32_e64 v35, v35, v37, s7
	v_cndmask_b32_e64 v10, v36, v38, s7
                                        ; implicit-def: $vgpr37_vgpr38
	v_cndmask_b32_e64 v7, v10, v7, s8
	v_dual_cndmask_b32 v5, v33, v5 :: v_dual_cndmask_b32 v6, v34, v6
	s_delay_alu instid0(VALU_DEP_4) | instskip(SKIP_1) | instid1(VALU_DEP_3)
	v_cndmask_b32_e64 v18, v35, v18, s8
	s_and_b32 vcc_lo, s11, s12
	v_cndmask_b32_e32 v34, v7, v9, vcc_lo
	s_delay_alu instid0(VALU_DEP_3) | instskip(NEXT) | instid1(VALU_DEP_3)
	v_mul_f64 v[5:6], v[5:6], 0.5
	v_cndmask_b32_e32 v33, v18, v15, vcc_lo
.LBB186_101:                            ;   in Loop: Header=BB186_4 Depth=1
	s_and_not1_saveexec_b32 s8, s10
	s_cbranch_execz .LBB186_103
; %bb.102:                              ;   in Loop: Header=BB186_4 Depth=1
	v_max_f64 v[5:6], |v[11:12]|, |v[11:12]|
	v_max_f64 v[33:34], |v[9:10]|, |v[9:10]|
	s_mov_b32 s16, s88
	v_cmp_eq_f64_e64 s7, 0, v[11:12]
	v_cmp_class_f64_e64 s10, v[11:12], 0x204
	v_cmp_class_f64_e64 s11, v[9:10], 0x204
	v_ashrrev_i32_e32 v15, 31, v10
	v_max_f64 v[35:36], v[33:34], v[5:6]
	v_min_f64 v[5:6], v[33:34], v[5:6]
	s_delay_alu instid0(VALU_DEP_1) | instskip(SKIP_1) | instid1(VALU_DEP_2)
	v_div_scale_f64 v[33:34], null, v[35:36], v[35:36], v[5:6]
	v_div_scale_f64 v[43:44], vcc_lo, v[5:6], v[35:36], v[5:6]
	v_rcp_f64_e32 v[39:40], v[33:34]
	s_waitcnt_depctr 0xfff
	v_fma_f64 v[41:42], -v[33:34], v[39:40], 1.0
	s_delay_alu instid0(VALU_DEP_1) | instskip(NEXT) | instid1(VALU_DEP_1)
	v_fma_f64 v[39:40], v[39:40], v[41:42], v[39:40]
	v_fma_f64 v[41:42], -v[33:34], v[39:40], 1.0
	s_delay_alu instid0(VALU_DEP_1) | instskip(NEXT) | instid1(VALU_DEP_1)
	v_fma_f64 v[39:40], v[39:40], v[41:42], v[39:40]
	v_mul_f64 v[41:42], v[43:44], v[39:40]
	s_delay_alu instid0(VALU_DEP_1) | instskip(NEXT) | instid1(VALU_DEP_1)
	v_fma_f64 v[33:34], -v[33:34], v[41:42], v[43:44]
	v_div_fmas_f64 v[33:34], v[33:34], v[39:40], v[41:42]
	v_cmp_gt_i32_e32 vcc_lo, 0, v10
	v_and_b32_e32 v10, 0x400921fb, v15
	v_cndmask_b32_e32 v9, 0x3fe921fb, v60, vcc_lo
	v_cndmask_b32_e32 v18, 0x54442d18, v59, vcc_lo
	s_delay_alu instid0(VALU_DEP_2) | instskip(SKIP_1) | instid1(VALU_DEP_1)
	v_bfi_b32 v9, 0x7fffffff, v9, v12
	v_div_fixup_f64 v[5:6], v[33:34], v[35:36], v[5:6]
	v_mul_f64 v[33:34], v[5:6], v[5:6]
	s_delay_alu instid0(VALU_DEP_1) | instskip(NEXT) | instid1(VALU_DEP_1)
	v_fma_f64 v[35:36], v[33:34], s[50:51], s[48:49]
	v_fma_f64 v[35:36], v[33:34], v[35:36], s[52:53]
	s_delay_alu instid0(VALU_DEP_1) | instskip(NEXT) | instid1(VALU_DEP_1)
	v_fma_f64 v[35:36], v[33:34], v[35:36], s[54:55]
	v_fma_f64 v[35:36], v[33:34], v[35:36], s[56:57]
	;; [unrolled: 3-line block ×9, first 2 shown]
	s_delay_alu instid0(VALU_DEP_1) | instskip(NEXT) | instid1(VALU_DEP_1)
	v_fma_f64 v[35:36], v[33:34], v[35:36], s[86:87]
	v_mul_f64 v[33:34], v[33:34], v[35:36]
	v_mul_f64 v[35:36], v[37:38], 0.5
	s_delay_alu instid0(VALU_DEP_2) | instskip(NEXT) | instid1(VALU_DEP_1)
	v_fma_f64 v[5:6], v[5:6], v[33:34], v[5:6]
	v_add_f64 v[33:34], -v[5:6], s[88:89]
	s_delay_alu instid0(VALU_DEP_1) | instskip(NEXT) | instid1(VALU_DEP_2)
	v_cndmask_b32_e64 v7, v6, v34, s6
	v_cndmask_b32_e64 v6, v5, v33, s6
	s_delay_alu instid0(VALU_DEP_1) | instskip(NEXT) | instid1(VALU_DEP_1)
	v_add_f64 v[33:34], -v[6:7], s[16:17]
	v_cndmask_b32_e32 v33, v6, v33, vcc_lo
	v_mul_f64 v[5:6], v[37:38], v[35:36]
	s_delay_alu instid0(VALU_DEP_3) | instskip(SKIP_1) | instid1(VALU_DEP_1)
	v_cndmask_b32_e32 v7, v7, v34, vcc_lo
	s_and_b32 vcc_lo, s10, s11
	v_cndmask_b32_e64 v7, v7, v10, s7
	s_delay_alu instid0(VALU_DEP_1) | instskip(NEXT) | instid1(VALU_DEP_1)
	v_dual_cndmask_b32 v34, v7, v9 :: v_dual_and_b32 v39, 0x54442d18, v15
	v_cndmask_b32_e64 v15, v33, v39, s7
	s_delay_alu instid0(VALU_DEP_1)
	v_cndmask_b32_e32 v33, v15, v18, vcc_lo
.LBB186_103:                            ;   in Loop: Header=BB186_4 Depth=1
	s_or_b32 exec_lo, exec_lo, s8
.LBB186_104:                            ;   in Loop: Header=BB186_4 Depth=1
	s_delay_alu instid0(SALU_CYCLE_1)
	s_or_b32 exec_lo, exec_lo, s9
.LBB186_105:                            ;   in Loop: Header=BB186_4 Depth=1
	s_and_not1_saveexec_b32 s9, s22
	s_cbranch_execz .LBB186_107
; %bb.106:                              ;   in Loop: Header=BB186_4 Depth=1
	v_div_scale_f64 v[5:6], null, s[94:95], s[94:95], v[9:10]
	v_div_scale_f64 v[33:34], null, s[94:95], s[94:95], v[11:12]
	v_div_scale_f64 v[43:44], vcc_lo, v[9:10], s[94:95], v[9:10]
	v_max_f64 v[47:48], |v[9:10]|, |v[9:10]|
	s_mov_b32 s101, s27
	s_mov_b32 s16, s88
	s_delay_alu instid0(VALU_DEP_4) | instskip(NEXT) | instid1(VALU_DEP_3)
	v_rcp_f64_e32 v[35:36], v[5:6]
	v_rcp_f64_e32 v[37:38], v[33:34]
	s_waitcnt_depctr 0xfff
	v_fma_f64 v[39:40], -v[5:6], v[35:36], 1.0
	v_fma_f64 v[41:42], -v[33:34], v[37:38], 1.0
	s_delay_alu instid0(VALU_DEP_2) | instskip(NEXT) | instid1(VALU_DEP_2)
	v_fma_f64 v[35:36], v[35:36], v[39:40], v[35:36]
	v_fma_f64 v[37:38], v[37:38], v[41:42], v[37:38]
	s_delay_alu instid0(VALU_DEP_2) | instskip(NEXT) | instid1(VALU_DEP_2)
	v_fma_f64 v[39:40], -v[5:6], v[35:36], 1.0
	v_fma_f64 v[41:42], -v[33:34], v[37:38], 1.0
	s_delay_alu instid0(VALU_DEP_2) | instskip(SKIP_1) | instid1(VALU_DEP_3)
	v_fma_f64 v[35:36], v[35:36], v[39:40], v[35:36]
	v_div_scale_f64 v[39:40], s7, v[11:12], s[94:95], v[11:12]
	v_fma_f64 v[37:38], v[37:38], v[41:42], v[37:38]
	s_delay_alu instid0(VALU_DEP_3) | instskip(NEXT) | instid1(VALU_DEP_2)
	v_mul_f64 v[41:42], v[43:44], v[35:36]
	v_mul_f64 v[45:46], v[39:40], v[37:38]
	s_delay_alu instid0(VALU_DEP_2) | instskip(NEXT) | instid1(VALU_DEP_2)
	v_fma_f64 v[5:6], -v[5:6], v[41:42], v[43:44]
	v_fma_f64 v[33:34], -v[33:34], v[45:46], v[39:40]
	s_delay_alu instid0(VALU_DEP_2) | instskip(SKIP_1) | instid1(VALU_DEP_2)
	v_div_fmas_f64 v[5:6], v[5:6], v[35:36], v[41:42]
	s_mov_b32 vcc_lo, s7
	v_div_fmas_f64 v[33:34], v[33:34], v[37:38], v[45:46]
	s_delay_alu instid0(VALU_DEP_2) | instskip(NEXT) | instid1(VALU_DEP_2)
	v_div_fixup_f64 v[5:6], v[5:6], s[94:95], v[9:10]
	v_div_fixup_f64 v[33:34], v[33:34], s[94:95], v[11:12]
	s_delay_alu instid0(VALU_DEP_2) | instskip(NEXT) | instid1(VALU_DEP_2)
	v_cmp_class_f64_e64 s8, v[5:6], 0x204
	v_max_f64 v[35:36], |v[5:6]|, |v[33:34]|
	v_cmp_o_f64_e64 s7, v[5:6], v[33:34]
	v_cmp_class_f64_e64 s10, v[33:34], 0x204
	s_delay_alu instid0(VALU_DEP_3) | instskip(NEXT) | instid1(VALU_DEP_2)
	v_frexp_exp_i32_f64_e32 v7, v[35:36]
	s_or_b32 s10, s10, s8
	s_delay_alu instid0(VALU_DEP_1) | instskip(NEXT) | instid1(VALU_DEP_1)
	v_sub_nc_u32_e32 v15, 0, v7
	v_ldexp_f64 v[35:36], |v[33:34]|, v15
	v_ldexp_f64 v[37:38], |v[5:6]|, v15
	s_delay_alu instid0(VALU_DEP_2) | instskip(NEXT) | instid1(VALU_DEP_1)
	v_mul_f64 v[35:36], v[35:36], v[35:36]
	v_fma_f64 v[35:36], v[37:38], v[37:38], v[35:36]
	s_delay_alu instid0(VALU_DEP_1) | instskip(SKIP_4) | instid1(VALU_DEP_1)
	v_rsq_f64_e32 v[37:38], v[35:36]
	v_cmp_eq_f64_e32 vcc_lo, 0, v[35:36]
	s_waitcnt_depctr 0xfff
	v_mul_f64 v[39:40], v[35:36], v[37:38]
	v_mul_f64 v[37:38], v[37:38], 0.5
	v_fma_f64 v[41:42], -v[37:38], v[39:40], 0.5
	s_delay_alu instid0(VALU_DEP_1) | instskip(SKIP_1) | instid1(VALU_DEP_2)
	v_fma_f64 v[39:40], v[39:40], v[41:42], v[39:40]
	v_fma_f64 v[37:38], v[37:38], v[41:42], v[37:38]
	v_fma_f64 v[41:42], -v[39:40], v[39:40], v[35:36]
	s_delay_alu instid0(VALU_DEP_1) | instskip(NEXT) | instid1(VALU_DEP_1)
	v_fma_f64 v[37:38], v[41:42], v[37:38], v[39:40]
	v_dual_cndmask_b32 v36, v38, v36 :: v_dual_cndmask_b32 v35, v37, v35
	s_delay_alu instid0(VALU_DEP_1) | instskip(NEXT) | instid1(VALU_DEP_1)
	v_ldexp_f64 v[35:36], v[35:36], v7
	v_cndmask_b32_e64 v5, 0, v35, s7
	s_delay_alu instid0(VALU_DEP_2) | instskip(NEXT) | instid1(VALU_DEP_2)
	v_cndmask_b32_e64 v15, 0x7ff80000, v36, s7
	v_cndmask_b32_e64 v6, v5, 0, s10
	s_delay_alu instid0(VALU_DEP_2) | instskip(NEXT) | instid1(VALU_DEP_1)
	v_cndmask_b32_e64 v7, v15, 0x7ff00000, s10
	v_frexp_mant_f64_e32 v[33:34], v[6:7]
	s_delay_alu instid0(VALU_DEP_1) | instskip(NEXT) | instid1(VALU_DEP_1)
	v_cmp_gt_f64_e64 s8, s[26:27], v[33:34]
	v_cndmask_b32_e64 v18, 0x3ff00000, 2.0, s8
	s_delay_alu instid0(VALU_DEP_1) | instskip(SKIP_1) | instid1(VALU_DEP_2)
	v_mul_f64 v[33:34], v[33:34], v[17:18]
	v_frexp_exp_i32_f64_e32 v18, v[6:7]
	v_add_f64 v[37:38], v[33:34], 1.0
	v_add_f64 v[43:44], v[33:34], -1.0
	s_delay_alu instid0(VALU_DEP_2) | instskip(SKIP_1) | instid1(VALU_DEP_1)
	v_rcp_f64_e32 v[39:40], v[37:38]
	v_add_f64 v[49:50], v[37:38], -1.0
	v_add_f64 v[33:34], v[33:34], -v[49:50]
	s_waitcnt_depctr 0xfff
	v_fma_f64 v[41:42], -v[37:38], v[39:40], 1.0
	s_delay_alu instid0(VALU_DEP_1) | instskip(NEXT) | instid1(VALU_DEP_1)
	v_fma_f64 v[39:40], v[41:42], v[39:40], v[39:40]
	v_fma_f64 v[41:42], -v[37:38], v[39:40], 1.0
	s_delay_alu instid0(VALU_DEP_1) | instskip(SKIP_1) | instid1(VALU_DEP_2)
	v_fma_f64 v[39:40], v[41:42], v[39:40], v[39:40]
	v_max_f64 v[41:42], |v[11:12]|, |v[11:12]|
	v_mul_f64 v[45:46], v[43:44], v[39:40]
	s_delay_alu instid0(VALU_DEP_2) | instskip(SKIP_1) | instid1(VALU_DEP_3)
	v_max_f64 v[53:54], v[47:48], v[41:42]
	v_min_f64 v[41:42], v[47:48], v[41:42]
	v_mul_f64 v[51:52], v[37:38], v[45:46]
	s_delay_alu instid0(VALU_DEP_2) | instskip(NEXT) | instid1(VALU_DEP_2)
	v_div_scale_f64 v[47:48], null, v[53:54], v[53:54], v[41:42]
	v_fma_f64 v[37:38], v[45:46], v[37:38], -v[51:52]
	s_delay_alu instid0(VALU_DEP_1) | instskip(NEXT) | instid1(VALU_DEP_3)
	v_fma_f64 v[33:34], v[45:46], v[33:34], v[37:38]
	v_rcp_f64_e32 v[37:38], v[47:48]
	s_delay_alu instid0(VALU_DEP_1) | instskip(SKIP_4) | instid1(VALU_DEP_3)
	v_add_f64 v[49:50], v[51:52], v[33:34]
	s_waitcnt_depctr 0xfff
	v_fma_f64 v[55:56], -v[47:48], v[37:38], 1.0
	v_add_f64 v[57:58], v[43:44], -v[49:50]
	v_add_f64 v[51:52], v[49:50], -v[51:52]
	v_fma_f64 v[37:38], v[37:38], v[55:56], v[37:38]
	s_delay_alu instid0(VALU_DEP_3) | instskip(NEXT) | instid1(VALU_DEP_3)
	v_add_f64 v[43:44], v[43:44], -v[57:58]
	v_add_f64 v[33:34], v[51:52], -v[33:34]
	s_delay_alu instid0(VALU_DEP_3) | instskip(NEXT) | instid1(VALU_DEP_3)
	v_fma_f64 v[55:56], -v[47:48], v[37:38], 1.0
	v_add_f64 v[43:44], v[43:44], -v[49:50]
	v_div_scale_f64 v[49:50], vcc_lo, v[41:42], v[53:54], v[41:42]
	s_delay_alu instid0(VALU_DEP_3) | instskip(NEXT) | instid1(VALU_DEP_3)
	v_fma_f64 v[37:38], v[37:38], v[55:56], v[37:38]
	v_add_f64 v[33:34], v[33:34], v[43:44]
	s_delay_alu instid0(VALU_DEP_2) | instskip(NEXT) | instid1(VALU_DEP_2)
	v_mul_f64 v[43:44], v[49:50], v[37:38]
	v_add_f64 v[33:34], v[57:58], v[33:34]
	s_delay_alu instid0(VALU_DEP_2) | instskip(NEXT) | instid1(VALU_DEP_2)
	v_fma_f64 v[47:48], -v[47:48], v[43:44], v[49:50]
	v_mul_f64 v[33:34], v[39:40], v[33:34]
	s_delay_alu instid0(VALU_DEP_2) | instskip(SKIP_2) | instid1(VALU_DEP_4)
	v_div_fmas_f64 v[37:38], v[47:48], v[37:38], v[43:44]
	v_subrev_co_ci_u32_e64 v18, vcc_lo, 0, v18, s8
	v_cmp_class_f64_e64 s8, v[9:10], 0x204
	v_add_f64 v[39:40], v[45:46], v[33:34]
	s_delay_alu instid0(VALU_DEP_4) | instskip(NEXT) | instid1(VALU_DEP_2)
	v_div_fixup_f64 v[37:38], v[37:38], v[53:54], v[41:42]
	v_mul_f64 v[41:42], v[39:40], v[39:40]
	s_delay_alu instid0(VALU_DEP_2) | instskip(NEXT) | instid1(VALU_DEP_2)
	v_mul_f64 v[43:44], v[37:38], v[37:38]
	v_fma_f64 v[47:48], v[41:42], s[30:31], s[28:29]
	v_mul_f64 v[51:52], v[39:40], v[41:42]
	s_delay_alu instid0(VALU_DEP_3) | instskip(NEXT) | instid1(VALU_DEP_3)
	v_fma_f64 v[49:50], v[43:44], s[50:51], s[48:49]
	v_fma_f64 v[47:48], v[41:42], v[47:48], s[36:37]
	s_delay_alu instid0(VALU_DEP_2) | instskip(NEXT) | instid1(VALU_DEP_2)
	v_fma_f64 v[49:50], v[43:44], v[49:50], s[52:53]
	v_fma_f64 v[47:48], v[41:42], v[47:48], s[38:39]
	s_delay_alu instid0(VALU_DEP_2) | instskip(NEXT) | instid1(VALU_DEP_2)
	;; [unrolled: 3-line block ×4, first 2 shown]
	v_fma_f64 v[49:50], v[43:44], v[49:50], s[58:59]
	v_fma_f64 v[41:42], v[41:42], v[47:48], s[100:101]
	s_delay_alu instid0(VALU_DEP_2) | instskip(SKIP_2) | instid1(VALU_DEP_4)
	v_fma_f64 v[47:48], v[43:44], v[49:50], s[60:61]
	v_ldexp_f64 v[49:50], v[39:40], 1
	v_add_f64 v[39:40], v[39:40], -v[45:46]
	v_mul_f64 v[41:42], v[51:52], v[41:42]
	v_cvt_f64_i32_e32 v[51:52], v18
	v_ashrrev_i32_e32 v18, 31, v10
	v_fma_f64 v[47:48], v[43:44], v[47:48], s[62:63]
	v_add_f64 v[33:34], v[33:34], -v[39:40]
	v_add_f64 v[45:46], v[49:50], v[41:42]
	v_mul_f64 v[53:54], v[51:52], s[44:45]
	s_delay_alu instid0(VALU_DEP_4) | instskip(NEXT) | instid1(VALU_DEP_4)
	v_fma_f64 v[47:48], v[43:44], v[47:48], s[64:65]
	v_ldexp_f64 v[33:34], v[33:34], 1
	s_delay_alu instid0(VALU_DEP_4) | instskip(NEXT) | instid1(VALU_DEP_4)
	v_add_f64 v[39:40], v[45:46], -v[49:50]
	v_fma_f64 v[49:50], v[51:52], s[44:45], -v[53:54]
	s_delay_alu instid0(VALU_DEP_4) | instskip(NEXT) | instid1(VALU_DEP_3)
	v_fma_f64 v[47:48], v[43:44], v[47:48], s[66:67]
	v_add_f64 v[39:40], v[41:42], -v[39:40]
	s_delay_alu instid0(VALU_DEP_2) | instskip(NEXT) | instid1(VALU_DEP_4)
	v_fma_f64 v[41:42], v[43:44], v[47:48], s[68:69]
	v_fma_f64 v[47:48], v[51:52], s[46:47], v[49:50]
	s_delay_alu instid0(VALU_DEP_3) | instskip(NEXT) | instid1(VALU_DEP_3)
	v_add_f64 v[33:34], v[33:34], v[39:40]
	v_fma_f64 v[39:40], v[43:44], v[41:42], s[70:71]
	s_delay_alu instid0(VALU_DEP_3) | instskip(NEXT) | instid1(VALU_DEP_3)
	v_add_f64 v[41:42], v[53:54], v[47:48]
	v_add_f64 v[49:50], v[45:46], v[33:34]
	s_delay_alu instid0(VALU_DEP_3) | instskip(NEXT) | instid1(VALU_DEP_3)
	v_fma_f64 v[39:40], v[43:44], v[39:40], s[72:73]
	v_add_f64 v[53:54], v[41:42], -v[53:54]
	s_delay_alu instid0(VALU_DEP_3) | instskip(SKIP_1) | instid1(VALU_DEP_4)
	v_add_f64 v[51:52], v[41:42], v[49:50]
	v_add_f64 v[45:46], v[49:50], -v[45:46]
	v_fma_f64 v[39:40], v[43:44], v[39:40], s[74:75]
	s_delay_alu instid0(VALU_DEP_4) | instskip(NEXT) | instid1(VALU_DEP_4)
	v_add_f64 v[47:48], v[47:48], -v[53:54]
	v_add_f64 v[55:56], v[51:52], -v[41:42]
	s_delay_alu instid0(VALU_DEP_4) | instskip(NEXT) | instid1(VALU_DEP_4)
	v_add_f64 v[33:34], v[33:34], -v[45:46]
	v_fma_f64 v[39:40], v[43:44], v[39:40], s[76:77]
	s_delay_alu instid0(VALU_DEP_3) | instskip(SKIP_1) | instid1(VALU_DEP_4)
	v_add_f64 v[57:58], v[51:52], -v[55:56]
	v_add_f64 v[45:46], v[49:50], -v[55:56]
	v_add_f64 v[49:50], v[47:48], v[33:34]
	s_delay_alu instid0(VALU_DEP_4) | instskip(NEXT) | instid1(VALU_DEP_4)
	v_fma_f64 v[39:40], v[43:44], v[39:40], s[78:79]
	v_add_f64 v[41:42], v[41:42], -v[57:58]
	s_delay_alu instid0(VALU_DEP_2) | instskip(NEXT) | instid1(VALU_DEP_2)
	v_fma_f64 v[39:40], v[43:44], v[39:40], s[80:81]
	v_add_f64 v[41:42], v[45:46], v[41:42]
	v_add_f64 v[45:46], v[49:50], -v[47:48]
	s_delay_alu instid0(VALU_DEP_3) | instskip(NEXT) | instid1(VALU_DEP_3)
	v_fma_f64 v[39:40], v[43:44], v[39:40], s[82:83]
	v_add_f64 v[41:42], v[49:50], v[41:42]
	s_delay_alu instid0(VALU_DEP_3) | instskip(SKIP_1) | instid1(VALU_DEP_4)
	v_add_f64 v[49:50], v[49:50], -v[45:46]
	v_add_f64 v[33:34], v[33:34], -v[45:46]
	v_fma_f64 v[39:40], v[43:44], v[39:40], s[84:85]
	s_delay_alu instid0(VALU_DEP_4) | instskip(NEXT) | instid1(VALU_DEP_4)
	v_add_f64 v[53:54], v[51:52], v[41:42]
	v_add_f64 v[45:46], v[47:48], -v[49:50]
	s_delay_alu instid0(VALU_DEP_3) | instskip(NEXT) | instid1(VALU_DEP_3)
	v_fma_f64 v[39:40], v[43:44], v[39:40], s[86:87]
	v_add_f64 v[47:48], v[53:54], -v[51:52]
	s_delay_alu instid0(VALU_DEP_3) | instskip(NEXT) | instid1(VALU_DEP_3)
	v_add_f64 v[33:34], v[33:34], v[45:46]
	v_mul_f64 v[39:40], v[43:44], v[39:40]
	s_delay_alu instid0(VALU_DEP_3) | instskip(NEXT) | instid1(VALU_DEP_2)
	v_add_f64 v[41:42], v[41:42], -v[47:48]
	v_fma_f64 v[37:38], v[37:38], v[39:40], v[37:38]
	s_delay_alu instid0(VALU_DEP_2) | instskip(NEXT) | instid1(VALU_DEP_2)
	v_add_f64 v[33:34], v[33:34], v[41:42]
	v_add_f64 v[39:40], -v[37:38], s[88:89]
	s_delay_alu instid0(VALU_DEP_2) | instskip(SKIP_1) | instid1(VALU_DEP_1)
	v_add_f64 v[33:34], v[53:54], v[33:34]
	v_and_b32_e32 v36, 0x7fffffff, v36
	v_cmp_eq_f64_e32 vcc_lo, 0x7ff00000, v[35:36]
	s_delay_alu instid0(VALU_DEP_4) | instskip(SKIP_2) | instid1(VALU_DEP_2)
	v_cndmask_b32_e64 v36, v38, v40, s6
	v_cndmask_b32_e64 v35, v37, v39, s6
	v_cmp_eq_f64_e64 s6, 0, v[11:12]
	v_add_f64 v[37:38], -v[35:36], s[16:17]
	s_and_b32 vcc_lo, s7, vcc_lo
	v_cmp_class_f64_e64 s7, v[11:12], 0x204
	v_dual_cndmask_b32 v33, v33, v5 :: v_dual_cndmask_b32 v34, v34, v15
	v_and_b32_e32 v5, 0x54442d18, v18
	v_cmp_gt_i32_e32 vcc_lo, 0, v10
	v_and_b32_e32 v10, 0x400921fb, v18
	s_delay_alu instid0(VALU_DEP_4) | instskip(SKIP_3) | instid1(VALU_DEP_3)
	v_add_f64 v[33:34], v[33:34], 1.0
	v_cndmask_b32_e32 v35, v35, v37, vcc_lo
	v_cndmask_b32_e32 v15, 0x54442d18, v59, vcc_lo
	;; [unrolled: 1-line block ×3, first 2 shown]
	v_cndmask_b32_e64 v35, v35, v5, s6
	v_cndmask_b32_e32 v18, v36, v38, vcc_lo
	v_cmp_ngt_f64_e32 vcc_lo, 0, v[6:7]
	s_delay_alu instid0(VALU_DEP_4) | instskip(NEXT) | instid1(VALU_DEP_3)
	v_bfi_b32 v9, 0x7fffffff, v9, v12
	v_cndmask_b32_e64 v5, v18, v10, s6
	v_cmp_nge_f64_e64 s6, 0, v[6:7]
	v_cndmask_b32_e64 v34, v34, 0x7ff00000, s10
	v_cndmask_b32_e64 v10, v33, 0, s10
	s_delay_alu instid0(VALU_DEP_2) | instskip(SKIP_2) | instid1(VALU_DEP_3)
	v_cndmask_b32_e32 v18, 0x7ff80000, v34, vcc_lo
	s_and_b32 vcc_lo, s7, s8
	v_dual_cndmask_b32 v33, v35, v15 :: v_dual_cndmask_b32 v34, v5, v9
	v_cndmask_b32_e64 v5, 0, v10, s6
	v_cmp_neq_f64_e64 s6, 0, v[6:7]
	s_delay_alu instid0(VALU_DEP_1)
	v_cndmask_b32_e64 v6, 0xfff00000, v18, s6
.LBB186_107:                            ;   in Loop: Header=BB186_4 Depth=1
	s_or_b32 exec_lo, exec_lo, s9
.LBB186_108:                            ;   in Loop: Header=BB186_4 Depth=1
	s_and_not1_saveexec_b32 s6, s91
	s_cbranch_execz .LBB186_114
; %bb.109:                              ;   in Loop: Header=BB186_4 Depth=1
	v_cmp_ngt_f64_e64 s7, 0x20000000, |v[9:10]|
	v_cmp_ngt_f64_e64 s8, 0x20000000, |v[11:12]|
                                        ; implicit-def: $vgpr6_vgpr7
	s_delay_alu instid0(VALU_DEP_1) | instskip(NEXT) | instid1(SALU_CYCLE_1)
	s_or_b32 s7, s8, s7
	s_and_saveexec_b32 s8, s7
	s_delay_alu instid0(SALU_CYCLE_1)
	s_xor_b32 s7, exec_lo, s8
; %bb.110:                              ;   in Loop: Header=BB186_4 Depth=1
	v_mul_f64 v[5:6], v[9:10], v[9:10]
	s_delay_alu instid0(VALU_DEP_1)
	v_fma_f64 v[6:7], v[11:12], v[11:12], v[5:6]
; %bb.111:                              ;   in Loop: Header=BB186_4 Depth=1
	s_and_not1_saveexec_b32 s7, s7
; %bb.112:                              ;   in Loop: Header=BB186_4 Depth=1
	v_mul_f64 v[5:6], v[9:10], 4.0
	v_mul_f64 v[9:10], v[11:12], 4.0
	s_delay_alu instid0(VALU_DEP_2) | instskip(NEXT) | instid1(VALU_DEP_1)
	v_mul_f64 v[5:6], v[5:6], v[5:6]
	v_fma_f64 v[5:6], v[9:10], v[9:10], v[5:6]
	s_delay_alu instid0(VALU_DEP_1)
	v_ldexp_f64 v[6:7], v[5:6], -4
; %bb.113:                              ;   in Loop: Header=BB186_4 Depth=1
	s_or_b32 exec_lo, exec_lo, s7
	s_delay_alu instid0(VALU_DEP_1) | instskip(SKIP_2) | instid1(VALU_DEP_2)
	v_frexp_mant_f64_e32 v[9:10], v[6:7]
	s_mov_b32 s101, s27
	v_frexp_exp_i32_f64_e32 v5, v[6:7]
	v_cmp_gt_f64_e32 vcc_lo, s[26:27], v[9:10]
	v_cndmask_b32_e64 v18, 0x3ff00000, 2.0, vcc_lo
	s_delay_alu instid0(VALU_DEP_3) | instskip(SKIP_1) | instid1(VALU_DEP_3)
	v_subrev_co_ci_u32_e32 v5, vcc_lo, 0, v5, vcc_lo
	v_cmp_class_f64_e64 vcc_lo, v[6:7], 0x204
	v_mul_f64 v[9:10], v[9:10], v[17:18]
	s_delay_alu instid0(VALU_DEP_1) | instskip(SKIP_1) | instid1(VALU_DEP_2)
	v_add_f64 v[33:34], v[9:10], 1.0
	v_add_f64 v[39:40], v[9:10], -1.0
	v_rcp_f64_e32 v[35:36], v[33:34]
	v_add_f64 v[41:42], v[33:34], -1.0
	s_delay_alu instid0(VALU_DEP_1) | instskip(SKIP_2) | instid1(VALU_DEP_1)
	v_add_f64 v[9:10], v[9:10], -v[41:42]
	s_waitcnt_depctr 0xfff
	v_fma_f64 v[37:38], -v[33:34], v[35:36], 1.0
	v_fma_f64 v[35:36], v[37:38], v[35:36], v[35:36]
	s_delay_alu instid0(VALU_DEP_1) | instskip(NEXT) | instid1(VALU_DEP_1)
	v_fma_f64 v[37:38], -v[33:34], v[35:36], 1.0
	v_fma_f64 v[35:36], v[37:38], v[35:36], v[35:36]
	s_delay_alu instid0(VALU_DEP_1) | instskip(NEXT) | instid1(VALU_DEP_1)
	v_mul_f64 v[37:38], v[39:40], v[35:36]
	v_mul_f64 v[43:44], v[33:34], v[37:38]
	s_delay_alu instid0(VALU_DEP_1) | instskip(NEXT) | instid1(VALU_DEP_1)
	v_fma_f64 v[33:34], v[37:38], v[33:34], -v[43:44]
	v_fma_f64 v[9:10], v[37:38], v[9:10], v[33:34]
	s_delay_alu instid0(VALU_DEP_1) | instskip(NEXT) | instid1(VALU_DEP_1)
	v_add_f64 v[33:34], v[43:44], v[9:10]
	v_add_f64 v[41:42], v[39:40], -v[33:34]
	v_add_f64 v[43:44], v[33:34], -v[43:44]
	s_delay_alu instid0(VALU_DEP_2) | instskip(NEXT) | instid1(VALU_DEP_2)
	v_add_f64 v[39:40], v[39:40], -v[41:42]
	v_add_f64 v[9:10], v[43:44], -v[9:10]
	s_delay_alu instid0(VALU_DEP_2) | instskip(NEXT) | instid1(VALU_DEP_1)
	v_add_f64 v[33:34], v[39:40], -v[33:34]
	v_add_f64 v[9:10], v[9:10], v[33:34]
	s_delay_alu instid0(VALU_DEP_1) | instskip(NEXT) | instid1(VALU_DEP_1)
	v_add_f64 v[9:10], v[41:42], v[9:10]
	v_mul_f64 v[9:10], v[35:36], v[9:10]
	s_delay_alu instid0(VALU_DEP_1) | instskip(NEXT) | instid1(VALU_DEP_1)
	v_add_f64 v[33:34], v[37:38], v[9:10]
	v_mul_f64 v[35:36], v[33:34], v[33:34]
	s_delay_alu instid0(VALU_DEP_1) | instskip(SKIP_1) | instid1(VALU_DEP_2)
	v_fma_f64 v[39:40], v[35:36], s[30:31], s[28:29]
	v_mul_f64 v[41:42], v[33:34], v[35:36]
	v_fma_f64 v[39:40], v[35:36], v[39:40], s[36:37]
	s_delay_alu instid0(VALU_DEP_1) | instskip(NEXT) | instid1(VALU_DEP_1)
	v_fma_f64 v[39:40], v[35:36], v[39:40], s[38:39]
	v_fma_f64 v[39:40], v[35:36], v[39:40], s[40:41]
	s_delay_alu instid0(VALU_DEP_1) | instskip(NEXT) | instid1(VALU_DEP_1)
	v_fma_f64 v[39:40], v[35:36], v[39:40], s[42:43]
	v_fma_f64 v[35:36], v[35:36], v[39:40], s[100:101]
	v_ldexp_f64 v[39:40], v[33:34], 1
	v_add_f64 v[33:34], v[33:34], -v[37:38]
	s_delay_alu instid0(VALU_DEP_3) | instskip(SKIP_1) | instid1(VALU_DEP_3)
	v_mul_f64 v[35:36], v[41:42], v[35:36]
	v_cvt_f64_i32_e32 v[41:42], v5
	v_add_f64 v[9:10], v[9:10], -v[33:34]
	s_delay_alu instid0(VALU_DEP_3) | instskip(NEXT) | instid1(VALU_DEP_3)
	v_add_f64 v[37:38], v[39:40], v[35:36]
	v_mul_f64 v[43:44], v[41:42], s[44:45]
	s_delay_alu instid0(VALU_DEP_3) | instskip(NEXT) | instid1(VALU_DEP_3)
	v_ldexp_f64 v[9:10], v[9:10], 1
	v_add_f64 v[33:34], v[37:38], -v[39:40]
	s_delay_alu instid0(VALU_DEP_3) | instskip(NEXT) | instid1(VALU_DEP_2)
	v_fma_f64 v[39:40], v[41:42], s[44:45], -v[43:44]
	v_add_f64 v[33:34], v[35:36], -v[33:34]
	s_delay_alu instid0(VALU_DEP_2) | instskip(NEXT) | instid1(VALU_DEP_2)
	v_fma_f64 v[35:36], v[41:42], s[46:47], v[39:40]
	v_add_f64 v[9:10], v[9:10], v[33:34]
	s_delay_alu instid0(VALU_DEP_2) | instskip(NEXT) | instid1(VALU_DEP_2)
	v_add_f64 v[33:34], v[43:44], v[35:36]
	v_add_f64 v[39:40], v[37:38], v[9:10]
	s_delay_alu instid0(VALU_DEP_2) | instskip(NEXT) | instid1(VALU_DEP_2)
	v_add_f64 v[43:44], v[33:34], -v[43:44]
	v_add_f64 v[41:42], v[33:34], v[39:40]
	v_add_f64 v[37:38], v[39:40], -v[37:38]
	s_delay_alu instid0(VALU_DEP_3) | instskip(NEXT) | instid1(VALU_DEP_3)
	v_add_f64 v[35:36], v[35:36], -v[43:44]
	v_add_f64 v[45:46], v[41:42], -v[33:34]
	s_delay_alu instid0(VALU_DEP_3) | instskip(NEXT) | instid1(VALU_DEP_2)
	v_add_f64 v[9:10], v[9:10], -v[37:38]
	v_add_f64 v[47:48], v[41:42], -v[45:46]
	;; [unrolled: 1-line block ×3, first 2 shown]
	s_delay_alu instid0(VALU_DEP_3) | instskip(NEXT) | instid1(VALU_DEP_3)
	v_add_f64 v[39:40], v[35:36], v[9:10]
	v_add_f64 v[33:34], v[33:34], -v[47:48]
	s_delay_alu instid0(VALU_DEP_1) | instskip(NEXT) | instid1(VALU_DEP_3)
	v_add_f64 v[33:34], v[37:38], v[33:34]
	v_add_f64 v[37:38], v[39:40], -v[35:36]
	s_delay_alu instid0(VALU_DEP_2) | instskip(NEXT) | instid1(VALU_DEP_2)
	v_add_f64 v[33:34], v[39:40], v[33:34]
	v_add_f64 v[39:40], v[39:40], -v[37:38]
	v_add_f64 v[9:10], v[9:10], -v[37:38]
	s_delay_alu instid0(VALU_DEP_3) | instskip(NEXT) | instid1(VALU_DEP_3)
	v_add_f64 v[43:44], v[41:42], v[33:34]
	v_add_f64 v[35:36], v[35:36], -v[39:40]
	s_delay_alu instid0(VALU_DEP_2) | instskip(NEXT) | instid1(VALU_DEP_2)
	v_add_f64 v[37:38], v[43:44], -v[41:42]
	v_add_f64 v[9:10], v[9:10], v[35:36]
	s_delay_alu instid0(VALU_DEP_2) | instskip(NEXT) | instid1(VALU_DEP_1)
	v_add_f64 v[33:34], v[33:34], -v[37:38]
	v_add_f64 v[9:10], v[9:10], v[33:34]
	s_delay_alu instid0(VALU_DEP_1) | instskip(NEXT) | instid1(VALU_DEP_1)
	v_add_f64 v[9:10], v[43:44], v[9:10]
	v_cndmask_b32_e32 v5, v9, v6, vcc_lo
	s_delay_alu instid0(VALU_DEP_2) | instskip(SKIP_1) | instid1(VALU_DEP_2)
	v_cndmask_b32_e32 v9, v10, v7, vcc_lo
	v_cmp_ngt_f64_e32 vcc_lo, 0, v[6:7]
	v_cndmask_b32_e32 v9, 0x7ff80000, v9, vcc_lo
	v_cmp_nge_f64_e32 vcc_lo, 0, v[6:7]
	v_mov_b32_e32 v33, 0
	v_dual_mov_b32 v34, 0x7ff80000 :: v_dual_cndmask_b32 v5, 0, v5
	v_cmp_neq_f64_e32 vcc_lo, 0, v[6:7]
	v_cndmask_b32_e32 v6, 0xfff00000, v9, vcc_lo
.LBB186_114:                            ;   in Loop: Header=BB186_4 Depth=1
	s_or_b32 exec_lo, exec_lo, s6
                                        ; implicit-def: $vgpr9_vgpr10
                                        ; implicit-def: $vgpr35_vgpr36
	s_delay_alu instid0(SALU_CYCLE_1)
	s_mov_b32 s6, exec_lo
	v_cmpx_o_f64_e32 v[1:2], v[3:4]
	s_xor_b32 s91, exec_lo, s6
	s_cbranch_execnz .LBB186_120
; %bb.115:                              ;   in Loop: Header=BB186_4 Depth=1
	s_and_not1_saveexec_b32 s6, s91
	s_cbranch_execnz .LBB186_147
.LBB186_116:                            ;   in Loop: Header=BB186_4 Depth=1
	s_or_b32 exec_lo, exec_lo, s6
	s_and_saveexec_b32 s6, s5
	s_delay_alu instid0(SALU_CYCLE_1)
	s_xor_b32 s6, exec_lo, s6
	s_cbranch_execnz .LBB186_152
.LBB186_117:                            ;   in Loop: Header=BB186_4 Depth=1
	s_or_b32 exec_lo, exec_lo, s6
	s_and_saveexec_b32 s5, s4
	s_cbranch_execnz .LBB186_153
.LBB186_118:                            ;   in Loop: Header=BB186_4 Depth=1
	s_or_b32 exec_lo, exec_lo, s5
	s_and_saveexec_b32 s4, s3
	s_cbranch_execnz .LBB186_154
.LBB186_119:                            ;   in Loop: Header=BB186_4 Depth=1
	s_or_b32 exec_lo, exec_lo, s4
	s_and_saveexec_b32 s3, s2
	s_cbranch_execz .LBB186_3
	s_branch .LBB186_155
.LBB186_120:                            ;   in Loop: Header=BB186_4 Depth=1
	v_cmp_lt_f64_e64 s6, |v[1:2]|, |v[3:4]|
	v_and_b32_e32 v7, 0x7fffffff, v2
	v_and_b32_e32 v11, 0x7fffffff, v4
	v_mov_b32_e32 v15, v3
                                        ; implicit-def: $vgpr9_vgpr10
                                        ; implicit-def: $vgpr35_vgpr36
	s_mov_b32 s7, exec_lo
	s_delay_alu instid0(VALU_DEP_2) | instskip(NEXT) | instid1(VALU_DEP_2)
	v_cndmask_b32_e64 v40, v11, v7, s6
	v_cndmask_b32_e64 v39, v15, v1, s6
	s_delay_alu instid0(VALU_DEP_1)
	v_cmpx_nlt_f64_e32 s[20:21], v[39:40]
	s_xor_b32 s22, exec_lo, s7
	s_cbranch_execz .LBB186_144
; %bb.121:                              ;   in Loop: Header=BB186_4 Depth=1
	v_cndmask_b32_e64 v42, v7, v11, s6
	v_cndmask_b32_e64 v41, v1, v15, s6
                                        ; implicit-def: $vgpr9_vgpr10
                                        ; implicit-def: $vgpr35_vgpr36
	s_mov_b32 s7, exec_lo
	s_delay_alu instid0(VALU_DEP_1)
	v_cmpx_neq_f64_e32 1.0, v[41:42]
	s_xor_b32 s23, exec_lo, s7
	s_cbranch_execz .LBB186_137
; %bb.122:                              ;   in Loop: Header=BB186_4 Depth=1
	v_max_f64 v[9:10], v[39:40], v[39:40]
	v_max_f64 v[35:36], v[41:42], v[41:42]
	s_mov_b32 s8, 0xc57e649a
	s_mov_b32 s9, 0x4a511b0e
	s_delay_alu instid0(VALU_DEP_1) | instskip(SKIP_1) | instid1(VALU_DEP_2)
	v_min_f64 v[37:38], v[35:36], v[9:10]
	v_max_f64 v[9:10], v[35:36], v[9:10]
                                        ; implicit-def: $vgpr35_vgpr36
	v_cmp_ngt_f64_e32 vcc_lo, s[14:15], v[37:38]
	s_delay_alu instid0(VALU_DEP_2) | instskip(NEXT) | instid1(VALU_DEP_1)
	v_cmp_nlt_f64_e64 s7, s[8:9], v[9:10]
                                        ; implicit-def: $vgpr9_vgpr10
	s_and_b32 s7, s7, vcc_lo
	s_delay_alu instid0(SALU_CYCLE_1) | instskip(NEXT) | instid1(SALU_CYCLE_1)
	s_and_saveexec_b32 s8, s7
	s_xor_b32 s24, exec_lo, s8
	s_cbranch_execz .LBB186_134
; %bb.123:                              ;   in Loop: Header=BB186_4 Depth=1
                                        ; implicit-def: $vgpr9_vgpr10
                                        ; implicit-def: $vgpr35_vgpr36
	s_mov_b32 s7, exec_lo
	v_cmpx_le_f64_e32 1.0, v[41:42]
	s_xor_b32 s8, exec_lo, s7
	s_cbranch_execz .LBB186_125
; %bb.124:                              ;   in Loop: Header=BB186_4 Depth=1
	v_add_f64 v[9:10], v[41:42], -1.0
	v_add_f64 v[35:36], v[41:42], 1.0
	s_mov_b32 s101, s27
	s_mov_b32 s16, s88
	v_cmp_gt_i32_e64 s7, 0, v2
	v_cmp_class_f64_e64 s10, v[1:2], 0x204
	v_cmp_class_f64_e64 s9, v[3:4], 0x204
	s_delay_alu instid0(VALU_DEP_3) | instskip(SKIP_1) | instid1(VALU_DEP_1)
	v_cndmask_b32_e64 v15, 0x54442d18, v59, s7
	v_mul_f64 v[9:10], v[9:10], v[35:36]
	v_fma_f64 v[10:11], v[39:40], v[39:40], v[9:10]
	s_delay_alu instid0(VALU_DEP_1) | instskip(NEXT) | instid1(VALU_DEP_1)
	v_add_f64 v[35:36], v[10:11], 1.0
	v_frexp_mant_f64_e32 v[37:38], v[35:36]
	v_frexp_exp_i32_f64_e32 v7, v[35:36]
	v_add_f64 v[39:40], v[35:36], -1.0
	s_delay_alu instid0(VALU_DEP_3) | instskip(NEXT) | instid1(VALU_DEP_2)
	v_cmp_gt_f64_e32 vcc_lo, s[26:27], v[37:38]
	v_add_f64 v[37:38], v[39:40], -v[35:36]
	v_add_f64 v[39:40], v[10:11], -v[39:40]
	v_subrev_co_ci_u32_e32 v7, vcc_lo, 0, v7, vcc_lo
	s_delay_alu instid0(VALU_DEP_3) | instskip(NEXT) | instid1(VALU_DEP_2)
	v_add_f64 v[37:38], v[37:38], 1.0
	v_sub_nc_u32_e32 v9, 0, v7
	s_delay_alu instid0(VALU_DEP_1) | instskip(NEXT) | instid1(VALU_DEP_3)
	v_ldexp_f64 v[35:36], v[35:36], v9
	v_add_f64 v[37:38], v[39:40], v[37:38]
	s_delay_alu instid0(VALU_DEP_2) | instskip(SKIP_1) | instid1(VALU_DEP_3)
	v_add_f64 v[41:42], v[35:36], 1.0
	v_add_f64 v[47:48], v[35:36], -1.0
	v_ldexp_f64 v[37:38], v[37:38], v9
	s_delay_alu instid0(VALU_DEP_3) | instskip(NEXT) | instid1(VALU_DEP_3)
	v_add_f64 v[39:40], v[41:42], -1.0
	v_add_f64 v[49:50], v[47:48], 1.0
	s_delay_alu instid0(VALU_DEP_2) | instskip(NEXT) | instid1(VALU_DEP_2)
	v_add_f64 v[39:40], v[35:36], -v[39:40]
	v_add_f64 v[35:36], v[35:36], -v[49:50]
	s_delay_alu instid0(VALU_DEP_2) | instskip(NEXT) | instid1(VALU_DEP_2)
	v_add_f64 v[39:40], v[37:38], v[39:40]
	v_add_f64 v[35:36], v[37:38], v[35:36]
	s_delay_alu instid0(VALU_DEP_2) | instskip(NEXT) | instid1(VALU_DEP_2)
	v_add_f64 v[43:44], v[41:42], v[39:40]
	v_add_f64 v[49:50], v[47:48], v[35:36]
	s_delay_alu instid0(VALU_DEP_2) | instskip(SKIP_1) | instid1(VALU_DEP_2)
	v_rcp_f64_e32 v[45:46], v[43:44]
	v_add_f64 v[41:42], v[43:44], -v[41:42]
	v_add_f64 v[47:48], v[49:50], -v[47:48]
	s_delay_alu instid0(VALU_DEP_2) | instskip(SKIP_3) | instid1(VALU_DEP_2)
	v_add_f64 v[39:40], v[39:40], -v[41:42]
	s_waitcnt_depctr 0xfff
	v_fma_f64 v[51:52], -v[43:44], v[45:46], 1.0
	v_add_f64 v[35:36], v[35:36], -v[47:48]
	v_fma_f64 v[45:46], v[51:52], v[45:46], v[45:46]
	s_delay_alu instid0(VALU_DEP_1) | instskip(NEXT) | instid1(VALU_DEP_1)
	v_fma_f64 v[37:38], -v[43:44], v[45:46], 1.0
	v_fma_f64 v[37:38], v[37:38], v[45:46], v[45:46]
	s_delay_alu instid0(VALU_DEP_1) | instskip(NEXT) | instid1(VALU_DEP_1)
	v_mul_f64 v[45:46], v[49:50], v[37:38]
	v_mul_f64 v[51:52], v[43:44], v[45:46]
	s_delay_alu instid0(VALU_DEP_1) | instskip(NEXT) | instid1(VALU_DEP_1)
	v_fma_f64 v[41:42], v[45:46], v[43:44], -v[51:52]
	v_fma_f64 v[41:42], v[45:46], v[39:40], v[41:42]
	s_delay_alu instid0(VALU_DEP_1) | instskip(NEXT) | instid1(VALU_DEP_1)
	v_add_f64 v[53:54], v[51:52], v[41:42]
	v_add_f64 v[55:56], v[49:50], -v[53:54]
	v_add_f64 v[47:48], v[53:54], -v[51:52]
	v_max_f64 v[51:52], |v[3:4]|, |v[3:4]|
	s_delay_alu instid0(VALU_DEP_3) | instskip(NEXT) | instid1(VALU_DEP_3)
	v_add_f64 v[49:50], v[49:50], -v[55:56]
	v_add_f64 v[41:42], v[47:48], -v[41:42]
	s_delay_alu instid0(VALU_DEP_2) | instskip(SKIP_2) | instid1(VALU_DEP_1)
	v_add_f64 v[49:50], v[49:50], -v[53:54]
	v_max_f64 v[53:54], |v[1:2]|, |v[1:2]|
	v_cndmask_b32_e64 v1, 0x3fe921fb, v60, s7
	v_bfi_b32 v1, 0x7fffffff, v1, v4
	s_delay_alu instid0(VALU_DEP_4) | instskip(NEXT) | instid1(VALU_DEP_4)
	v_add_f64 v[35:36], v[35:36], v[49:50]
	v_max_f64 v[57:58], v[53:54], v[51:52]
	v_min_f64 v[51:52], v[53:54], v[51:52]
	s_delay_alu instid0(VALU_DEP_3) | instskip(NEXT) | instid1(VALU_DEP_1)
	v_add_f64 v[35:36], v[41:42], v[35:36]
	v_add_f64 v[41:42], v[55:56], v[35:36]
	s_delay_alu instid0(VALU_DEP_1) | instskip(SKIP_1) | instid1(VALU_DEP_2)
	v_mul_f64 v[47:48], v[37:38], v[41:42]
	v_add_f64 v[55:56], v[55:56], -v[41:42]
	v_mul_f64 v[49:50], v[43:44], v[47:48]
	s_delay_alu instid0(VALU_DEP_2) | instskip(NEXT) | instid1(VALU_DEP_2)
	v_add_f64 v[35:36], v[35:36], v[55:56]
	v_fma_f64 v[43:44], v[47:48], v[43:44], -v[49:50]
	s_delay_alu instid0(VALU_DEP_1) | instskip(SKIP_1) | instid1(VALU_DEP_2)
	v_fma_f64 v[39:40], v[47:48], v[39:40], v[43:44]
	v_div_scale_f64 v[43:44], null, v[57:58], v[57:58], v[51:52]
	v_add_f64 v[53:54], v[49:50], v[39:40]
	s_delay_alu instid0(VALU_DEP_2) | instskip(NEXT) | instid1(VALU_DEP_1)
	v_rcp_f64_e32 v[61:62], v[43:44]
	v_add_f64 v[63:64], v[41:42], -v[53:54]
	v_add_f64 v[49:50], v[53:54], -v[49:50]
	s_waitcnt_depctr 0xfff
	v_fma_f64 v[65:66], -v[43:44], v[61:62], 1.0
	v_add_f64 v[41:42], v[41:42], -v[63:64]
	v_add_f64 v[39:40], v[49:50], -v[39:40]
	s_delay_alu instid0(VALU_DEP_3) | instskip(NEXT) | instid1(VALU_DEP_3)
	v_fma_f64 v[61:62], v[61:62], v[65:66], v[61:62]
	v_add_f64 v[41:42], v[41:42], -v[53:54]
	s_delay_alu instid0(VALU_DEP_2) | instskip(NEXT) | instid1(VALU_DEP_2)
	v_fma_f64 v[53:54], -v[43:44], v[61:62], 1.0
	v_add_f64 v[35:36], v[35:36], v[41:42]
	v_div_scale_f64 v[41:42], vcc_lo, v[51:52], v[57:58], v[51:52]
	s_delay_alu instid0(VALU_DEP_3) | instskip(SKIP_1) | instid1(VALU_DEP_4)
	v_fma_f64 v[49:50], v[61:62], v[53:54], v[61:62]
	v_add_f64 v[53:54], v[45:46], v[47:48]
	v_add_f64 v[35:36], v[39:40], v[35:36]
	s_delay_alu instid0(VALU_DEP_3) | instskip(NEXT) | instid1(VALU_DEP_3)
	v_mul_f64 v[39:40], v[41:42], v[49:50]
	v_add_f64 v[45:46], v[53:54], -v[45:46]
	s_delay_alu instid0(VALU_DEP_3) | instskip(NEXT) | instid1(VALU_DEP_3)
	v_add_f64 v[35:36], v[63:64], v[35:36]
	v_fma_f64 v[41:42], -v[43:44], v[39:40], v[41:42]
	s_delay_alu instid0(VALU_DEP_3) | instskip(NEXT) | instid1(VALU_DEP_3)
	v_add_f64 v[43:44], v[47:48], -v[45:46]
	v_mul_f64 v[35:36], v[37:38], v[35:36]
	s_delay_alu instid0(VALU_DEP_3) | instskip(SKIP_1) | instid1(VALU_DEP_3)
	v_div_fmas_f64 v[37:38], v[41:42], v[49:50], v[39:40]
	v_cmp_eq_f64_e32 vcc_lo, 0x7ff00000, v[10:11]
	v_add_f64 v[35:36], v[43:44], v[35:36]
	s_delay_alu instid0(VALU_DEP_3) | instskip(NEXT) | instid1(VALU_DEP_2)
	v_div_fixup_f64 v[37:38], v[37:38], v[57:58], v[51:52]
	v_add_f64 v[39:40], v[53:54], v[35:36]
	s_delay_alu instid0(VALU_DEP_2) | instskip(NEXT) | instid1(VALU_DEP_2)
	v_mul_f64 v[41:42], v[37:38], v[37:38]
	v_mul_f64 v[43:44], v[39:40], v[39:40]
	s_delay_alu instid0(VALU_DEP_2) | instskip(NEXT) | instid1(VALU_DEP_2)
	v_fma_f64 v[45:46], v[41:42], s[50:51], s[48:49]
	v_fma_f64 v[47:48], v[43:44], s[30:31], s[28:29]
	v_mul_f64 v[49:50], v[39:40], v[43:44]
	s_delay_alu instid0(VALU_DEP_3) | instskip(NEXT) | instid1(VALU_DEP_3)
	v_fma_f64 v[45:46], v[41:42], v[45:46], s[52:53]
	v_fma_f64 v[47:48], v[43:44], v[47:48], s[36:37]
	s_delay_alu instid0(VALU_DEP_2) | instskip(NEXT) | instid1(VALU_DEP_2)
	v_fma_f64 v[45:46], v[41:42], v[45:46], s[54:55]
	v_fma_f64 v[47:48], v[43:44], v[47:48], s[38:39]
	s_delay_alu instid0(VALU_DEP_2) | instskip(NEXT) | instid1(VALU_DEP_2)
	;; [unrolled: 3-line block ×4, first 2 shown]
	v_fma_f64 v[45:46], v[41:42], v[45:46], s[60:61]
	v_fma_f64 v[43:44], v[43:44], v[47:48], s[100:101]
	v_ldexp_f64 v[47:48], v[39:40], 1
	v_add_f64 v[39:40], v[39:40], -v[53:54]
	s_delay_alu instid0(VALU_DEP_4) | instskip(NEXT) | instid1(VALU_DEP_4)
	v_fma_f64 v[45:46], v[41:42], v[45:46], s[62:63]
	v_mul_f64 v[43:44], v[49:50], v[43:44]
	v_cvt_f64_i32_e32 v[49:50], v7
	s_delay_alu instid0(VALU_DEP_4) | instskip(NEXT) | instid1(VALU_DEP_4)
	v_add_f64 v[35:36], v[35:36], -v[39:40]
	v_fma_f64 v[45:46], v[41:42], v[45:46], s[64:65]
	v_ashrrev_i32_e32 v7, 31, v2
	s_delay_alu instid0(VALU_DEP_1) | instskip(SKIP_4) | instid1(VALU_DEP_4)
	v_and_b32_e32 v2, 0x400921fb, v7
	v_add_f64 v[51:52], v[47:48], v[43:44]
	v_mul_f64 v[53:54], v[49:50], s[44:45]
	v_ldexp_f64 v[35:36], v[35:36], 1
	v_fma_f64 v[45:46], v[41:42], v[45:46], s[66:67]
	v_add_f64 v[39:40], v[51:52], -v[47:48]
	s_delay_alu instid0(VALU_DEP_4) | instskip(NEXT) | instid1(VALU_DEP_3)
	v_fma_f64 v[47:48], v[49:50], s[44:45], -v[53:54]
	v_fma_f64 v[45:46], v[41:42], v[45:46], s[68:69]
	s_delay_alu instid0(VALU_DEP_3) | instskip(NEXT) | instid1(VALU_DEP_2)
	v_add_f64 v[39:40], v[43:44], -v[39:40]
	v_fma_f64 v[43:44], v[41:42], v[45:46], s[70:71]
	s_delay_alu instid0(VALU_DEP_4) | instskip(NEXT) | instid1(VALU_DEP_3)
	v_fma_f64 v[45:46], v[49:50], s[46:47], v[47:48]
	v_add_f64 v[35:36], v[35:36], v[39:40]
	s_delay_alu instid0(VALU_DEP_3) | instskip(NEXT) | instid1(VALU_DEP_3)
	v_fma_f64 v[39:40], v[41:42], v[43:44], s[72:73]
	v_add_f64 v[43:44], v[53:54], v[45:46]
	s_delay_alu instid0(VALU_DEP_3) | instskip(NEXT) | instid1(VALU_DEP_3)
	v_add_f64 v[47:48], v[51:52], v[35:36]
	v_fma_f64 v[39:40], v[41:42], v[39:40], s[74:75]
	s_delay_alu instid0(VALU_DEP_3) | instskip(NEXT) | instid1(VALU_DEP_3)
	v_add_f64 v[53:54], v[43:44], -v[53:54]
	v_add_f64 v[49:50], v[43:44], v[47:48]
	v_add_f64 v[51:52], v[47:48], -v[51:52]
	s_delay_alu instid0(VALU_DEP_4) | instskip(NEXT) | instid1(VALU_DEP_4)
	v_fma_f64 v[39:40], v[41:42], v[39:40], s[76:77]
	v_add_f64 v[45:46], v[45:46], -v[53:54]
	s_delay_alu instid0(VALU_DEP_4) | instskip(NEXT) | instid1(VALU_DEP_4)
	v_add_f64 v[55:56], v[49:50], -v[43:44]
	v_add_f64 v[35:36], v[35:36], -v[51:52]
	s_delay_alu instid0(VALU_DEP_4) | instskip(NEXT) | instid1(VALU_DEP_3)
	v_fma_f64 v[39:40], v[41:42], v[39:40], s[78:79]
	v_add_f64 v[57:58], v[49:50], -v[55:56]
	v_add_f64 v[47:48], v[47:48], -v[55:56]
	s_delay_alu instid0(VALU_DEP_4) | instskip(NEXT) | instid1(VALU_DEP_4)
	v_add_f64 v[51:52], v[45:46], v[35:36]
	v_fma_f64 v[39:40], v[41:42], v[39:40], s[80:81]
	s_delay_alu instid0(VALU_DEP_4) | instskip(NEXT) | instid1(VALU_DEP_2)
	v_add_f64 v[43:44], v[43:44], -v[57:58]
	v_fma_f64 v[39:40], v[41:42], v[39:40], s[82:83]
	s_delay_alu instid0(VALU_DEP_2) | instskip(SKIP_1) | instid1(VALU_DEP_3)
	v_add_f64 v[43:44], v[47:48], v[43:44]
	v_add_f64 v[47:48], v[51:52], -v[45:46]
	v_fma_f64 v[39:40], v[41:42], v[39:40], s[84:85]
	s_delay_alu instid0(VALU_DEP_3) | instskip(NEXT) | instid1(VALU_DEP_3)
	v_add_f64 v[43:44], v[51:52], v[43:44]
	v_add_f64 v[51:52], v[51:52], -v[47:48]
	v_add_f64 v[35:36], v[35:36], -v[47:48]
	s_delay_alu instid0(VALU_DEP_4) | instskip(NEXT) | instid1(VALU_DEP_4)
	v_fma_f64 v[39:40], v[41:42], v[39:40], s[86:87]
	v_add_f64 v[53:54], v[49:50], v[43:44]
	s_delay_alu instid0(VALU_DEP_2) | instskip(SKIP_1) | instid1(VALU_DEP_3)
	v_mul_f64 v[39:40], v[41:42], v[39:40]
	v_add_f64 v[41:42], v[45:46], -v[51:52]
	v_add_f64 v[45:46], v[53:54], -v[49:50]
	s_delay_alu instid0(VALU_DEP_3) | instskip(NEXT) | instid1(VALU_DEP_3)
	v_fma_f64 v[37:38], v[37:38], v[39:40], v[37:38]
	v_add_f64 v[35:36], v[35:36], v[41:42]
	s_delay_alu instid0(VALU_DEP_3) | instskip(NEXT) | instid1(VALU_DEP_3)
	v_add_f64 v[39:40], v[43:44], -v[45:46]
	v_add_f64 v[41:42], -v[37:38], s[88:89]
	s_delay_alu instid0(VALU_DEP_2) | instskip(NEXT) | instid1(VALU_DEP_2)
	v_add_f64 v[35:36], v[35:36], v[39:40]
	v_cndmask_b32_e64 v38, v38, v42, s6
	s_delay_alu instid0(VALU_DEP_3) | instskip(NEXT) | instid1(VALU_DEP_1)
	v_cndmask_b32_e64 v37, v37, v41, s6
                                        ; implicit-def: $vgpr41_vgpr42
	v_add_f64 v[39:40], -v[37:38], s[16:17]
	s_delay_alu instid0(VALU_DEP_4) | instskip(NEXT) | instid1(VALU_DEP_2)
	v_add_f64 v[35:36], v[53:54], v[35:36]
	v_cndmask_b32_e64 v18, v37, v39, s7
	s_delay_alu instid0(VALU_DEP_2)
	v_dual_cndmask_b32 v36, v36, v11 :: v_dual_cndmask_b32 v35, v35, v10
	v_cmp_eq_f64_e32 vcc_lo, 0, v[3:4]
	v_and_b32_e32 v9, 0x54442d18, v7
	v_cndmask_b32_e64 v7, v38, v40, s7
	v_cmp_nge_f64_e64 s7, -1.0, v[10:11]
	v_mul_f64 v[35:36], v[35:36], 0.5
                                        ; implicit-def: $vgpr39_vgpr40
	s_delay_alu instid0(VALU_DEP_3) | instskip(SKIP_2) | instid1(VALU_DEP_4)
	v_cndmask_b32_e32 v2, v7, v2, vcc_lo
	v_cndmask_b32_e32 v18, v18, v9, vcc_lo
	v_cmp_ngt_f64_e32 vcc_lo, -1.0, v[10:11]
	v_cndmask_b32_e64 v9, 0, v35, s7
	v_cmp_neq_f64_e64 s7, -1.0, v[10:11]
	v_cndmask_b32_e32 v7, 0x7ff80000, v36, vcc_lo
	s_and_b32 vcc_lo, s9, s10
	v_cndmask_b32_e32 v36, v2, v1, vcc_lo
	v_cndmask_b32_e32 v35, v18, v15, vcc_lo
	s_delay_alu instid0(VALU_DEP_3)
	v_cndmask_b32_e64 v10, 0xfff00000, v7, s7
.LBB186_125:                            ;   in Loop: Header=BB186_4 Depth=1
	s_and_not1_saveexec_b32 s25, s8
	s_cbranch_execz .LBB186_133
; %bb.126:                              ;   in Loop: Header=BB186_4 Depth=1
	v_mul_f64 v[9:10], v[39:40], v[39:40]
	s_mov_b32 s8, 0x66666666
	s_mov_b32 s9, 0x3fe66666
                                        ; implicit-def: $vgpr35_vgpr36
	s_mov_b32 s7, exec_lo
	s_delay_alu instid0(VALU_DEP_1) | instskip(NEXT) | instid1(VALU_DEP_1)
	v_fma_f64 v[37:38], v[41:42], v[41:42], v[9:10]
                                        ; implicit-def: $vgpr9_vgpr10
	v_cmpx_ge_f64_e32 s[8:9], v[37:38]
	s_xor_b32 s9, exec_lo, s7
	s_cbranch_execz .LBB186_128
; %bb.127:                              ;   in Loop: Header=BB186_4 Depth=1
	v_frexp_mant_f64_e32 v[9:10], v[37:38]
	v_max_f64 v[45:46], |v[1:2]|, |v[1:2]|
	s_mov_b32 s101, s27
	v_frexp_exp_i32_f64_e32 v7, v[37:38]
	s_mov_b32 s16, s88
	v_cmp_class_f64_e64 s10, v[3:4], 0x204
	v_cmp_class_f64_e64 s11, v[1:2], 0x204
	v_cmp_neq_f64_e64 s8, 0, v[37:38]
	v_cmp_gt_f64_e64 s7, s[26:27], v[9:10]
	s_delay_alu instid0(VALU_DEP_1) | instskip(NEXT) | instid1(VALU_DEP_1)
	v_cndmask_b32_e64 v18, 0x3ff00000, 2.0, s7
	v_mul_f64 v[9:10], v[9:10], v[17:18]
	s_delay_alu instid0(VALU_DEP_1) | instskip(SKIP_1) | instid1(VALU_DEP_2)
	v_add_f64 v[35:36], v[9:10], 1.0
	v_add_f64 v[43:44], v[9:10], -1.0
	v_rcp_f64_e32 v[39:40], v[35:36]
	s_waitcnt_depctr 0xfff
	v_fma_f64 v[41:42], -v[35:36], v[39:40], 1.0
	s_delay_alu instid0(VALU_DEP_1) | instskip(NEXT) | instid1(VALU_DEP_1)
	v_fma_f64 v[39:40], v[41:42], v[39:40], v[39:40]
	v_fma_f64 v[41:42], -v[35:36], v[39:40], 1.0
	s_delay_alu instid0(VALU_DEP_1) | instskip(SKIP_1) | instid1(VALU_DEP_2)
	v_fma_f64 v[39:40], v[41:42], v[39:40], v[39:40]
	v_max_f64 v[41:42], |v[3:4]|, |v[3:4]|
	v_mul_f64 v[47:48], v[43:44], v[39:40]
	s_delay_alu instid0(VALU_DEP_2) | instskip(SKIP_2) | instid1(VALU_DEP_4)
	v_max_f64 v[49:50], v[45:46], v[41:42]
	v_min_f64 v[41:42], v[45:46], v[41:42]
	v_add_f64 v[45:46], v[35:36], -1.0
	v_mul_f64 v[51:52], v[35:36], v[47:48]
	s_delay_alu instid0(VALU_DEP_3) | instskip(NEXT) | instid1(VALU_DEP_3)
	v_div_scale_f64 v[53:54], null, v[49:50], v[49:50], v[41:42]
	v_add_f64 v[9:10], v[9:10], -v[45:46]
	v_div_scale_f64 v[61:62], vcc_lo, v[41:42], v[49:50], v[41:42]
	s_delay_alu instid0(VALU_DEP_4) | instskip(NEXT) | instid1(VALU_DEP_4)
	v_fma_f64 v[35:36], v[47:48], v[35:36], -v[51:52]
	v_rcp_f64_e32 v[45:46], v[53:54]
	s_delay_alu instid0(VALU_DEP_1) | instskip(SKIP_3) | instid1(VALU_DEP_2)
	v_fma_f64 v[9:10], v[47:48], v[9:10], v[35:36]
	s_waitcnt_depctr 0xfff
	v_fma_f64 v[35:36], -v[53:54], v[45:46], 1.0
	v_add_f64 v[55:56], v[51:52], v[9:10]
	v_fma_f64 v[35:36], v[45:46], v[35:36], v[45:46]
	s_delay_alu instid0(VALU_DEP_2) | instskip(SKIP_1) | instid1(VALU_DEP_3)
	v_add_f64 v[45:46], v[43:44], -v[55:56]
	v_add_f64 v[51:52], v[55:56], -v[51:52]
	v_fma_f64 v[57:58], -v[53:54], v[35:36], 1.0
	s_delay_alu instid0(VALU_DEP_3) | instskip(NEXT) | instid1(VALU_DEP_3)
	v_add_f64 v[43:44], v[43:44], -v[45:46]
	v_add_f64 v[9:10], v[51:52], -v[9:10]
	s_delay_alu instid0(VALU_DEP_3) | instskip(NEXT) | instid1(VALU_DEP_3)
	v_fma_f64 v[35:36], v[35:36], v[57:58], v[35:36]
	v_add_f64 v[43:44], v[43:44], -v[55:56]
	s_delay_alu instid0(VALU_DEP_2) | instskip(NEXT) | instid1(VALU_DEP_2)
	v_mul_f64 v[51:52], v[61:62], v[35:36]
	v_add_f64 v[9:10], v[9:10], v[43:44]
	s_delay_alu instid0(VALU_DEP_2) | instskip(NEXT) | instid1(VALU_DEP_2)
	v_fma_f64 v[43:44], -v[53:54], v[51:52], v[61:62]
	v_add_f64 v[9:10], v[45:46], v[9:10]
	s_delay_alu instid0(VALU_DEP_2)
	v_div_fmas_f64 v[35:36], v[43:44], v[35:36], v[51:52]
	v_subrev_co_ci_u32_e64 v7, vcc_lo, 0, v7, s7
	v_cmp_eq_f64_e64 s7, 0, v[3:4]
	v_cmp_gt_i32_e32 vcc_lo, 0, v2
	v_cndmask_b32_e32 v11, 0x54442d18, v59, vcc_lo
	v_mul_f64 v[9:10], v[39:40], v[9:10]
	v_div_fixup_f64 v[35:36], v[35:36], v[49:50], v[41:42]
	s_delay_alu instid0(VALU_DEP_2) | instskip(NEXT) | instid1(VALU_DEP_2)
	v_add_f64 v[39:40], v[47:48], v[9:10]
	v_mul_f64 v[41:42], v[35:36], v[35:36]
	s_delay_alu instid0(VALU_DEP_2) | instskip(NEXT) | instid1(VALU_DEP_2)
	v_mul_f64 v[43:44], v[39:40], v[39:40]
	v_fma_f64 v[45:46], v[41:42], s[50:51], s[48:49]
	s_delay_alu instid0(VALU_DEP_2) | instskip(SKIP_1) | instid1(VALU_DEP_3)
	v_fma_f64 v[49:50], v[43:44], s[30:31], s[28:29]
	v_mul_f64 v[51:52], v[39:40], v[43:44]
	v_fma_f64 v[45:46], v[41:42], v[45:46], s[52:53]
	s_delay_alu instid0(VALU_DEP_3) | instskip(NEXT) | instid1(VALU_DEP_2)
	v_fma_f64 v[49:50], v[43:44], v[49:50], s[36:37]
	v_fma_f64 v[45:46], v[41:42], v[45:46], s[54:55]
	s_delay_alu instid0(VALU_DEP_2) | instskip(NEXT) | instid1(VALU_DEP_2)
	v_fma_f64 v[49:50], v[43:44], v[49:50], s[38:39]
	v_fma_f64 v[45:46], v[41:42], v[45:46], s[56:57]
	s_delay_alu instid0(VALU_DEP_2) | instskip(NEXT) | instid1(VALU_DEP_2)
	;; [unrolled: 3-line block ×3, first 2 shown]
	v_fma_f64 v[49:50], v[43:44], v[49:50], s[42:43]
	v_fma_f64 v[45:46], v[41:42], v[45:46], s[60:61]
	s_delay_alu instid0(VALU_DEP_2) | instskip(SKIP_2) | instid1(VALU_DEP_4)
	v_fma_f64 v[43:44], v[43:44], v[49:50], s[100:101]
	v_ldexp_f64 v[49:50], v[39:40], 1
	v_add_f64 v[39:40], v[39:40], -v[47:48]
	v_fma_f64 v[45:46], v[41:42], v[45:46], s[62:63]
	s_delay_alu instid0(VALU_DEP_4) | instskip(SKIP_1) | instid1(VALU_DEP_4)
	v_mul_f64 v[43:44], v[51:52], v[43:44]
	v_cvt_f64_i32_e32 v[51:52], v7
	v_add_f64 v[9:10], v[9:10], -v[39:40]
	v_ashrrev_i32_e32 v7, 31, v2
	v_fma_f64 v[45:46], v[41:42], v[45:46], s[64:65]
	v_add_f64 v[47:48], v[49:50], v[43:44]
	v_mul_f64 v[53:54], v[51:52], s[44:45]
	v_ldexp_f64 v[9:10], v[9:10], 1
	s_delay_alu instid0(VALU_DEP_4) | instskip(NEXT) | instid1(VALU_DEP_4)
	v_fma_f64 v[45:46], v[41:42], v[45:46], s[66:67]
	v_add_f64 v[39:40], v[47:48], -v[49:50]
	s_delay_alu instid0(VALU_DEP_4) | instskip(NEXT) | instid1(VALU_DEP_3)
	v_fma_f64 v[49:50], v[51:52], s[44:45], -v[53:54]
	v_fma_f64 v[45:46], v[41:42], v[45:46], s[68:69]
	s_delay_alu instid0(VALU_DEP_3) | instskip(NEXT) | instid1(VALU_DEP_2)
	v_add_f64 v[39:40], v[43:44], -v[39:40]
	v_fma_f64 v[43:44], v[41:42], v[45:46], s[70:71]
	s_delay_alu instid0(VALU_DEP_4) | instskip(NEXT) | instid1(VALU_DEP_3)
	v_fma_f64 v[45:46], v[51:52], s[46:47], v[49:50]
	v_add_f64 v[9:10], v[9:10], v[39:40]
	s_delay_alu instid0(VALU_DEP_3) | instskip(NEXT) | instid1(VALU_DEP_3)
	v_fma_f64 v[39:40], v[41:42], v[43:44], s[72:73]
	v_add_f64 v[43:44], v[53:54], v[45:46]
	s_delay_alu instid0(VALU_DEP_3) | instskip(NEXT) | instid1(VALU_DEP_3)
	v_add_f64 v[49:50], v[47:48], v[9:10]
	v_fma_f64 v[39:40], v[41:42], v[39:40], s[74:75]
	s_delay_alu instid0(VALU_DEP_3) | instskip(NEXT) | instid1(VALU_DEP_3)
	v_add_f64 v[53:54], v[43:44], -v[53:54]
	v_add_f64 v[51:52], v[43:44], v[49:50]
	v_add_f64 v[47:48], v[49:50], -v[47:48]
	s_delay_alu instid0(VALU_DEP_4) | instskip(NEXT) | instid1(VALU_DEP_4)
	v_fma_f64 v[39:40], v[41:42], v[39:40], s[76:77]
	v_add_f64 v[45:46], v[45:46], -v[53:54]
	s_delay_alu instid0(VALU_DEP_4) | instskip(NEXT) | instid1(VALU_DEP_4)
	v_add_f64 v[55:56], v[51:52], -v[43:44]
	v_add_f64 v[9:10], v[9:10], -v[47:48]
	s_delay_alu instid0(VALU_DEP_4) | instskip(NEXT) | instid1(VALU_DEP_3)
	v_fma_f64 v[39:40], v[41:42], v[39:40], s[78:79]
	v_add_f64 v[57:58], v[51:52], -v[55:56]
	v_add_f64 v[47:48], v[49:50], -v[55:56]
	s_delay_alu instid0(VALU_DEP_4) | instskip(NEXT) | instid1(VALU_DEP_4)
	v_add_f64 v[49:50], v[45:46], v[9:10]
	v_fma_f64 v[39:40], v[41:42], v[39:40], s[80:81]
	s_delay_alu instid0(VALU_DEP_4) | instskip(NEXT) | instid1(VALU_DEP_2)
	v_add_f64 v[43:44], v[43:44], -v[57:58]
	v_fma_f64 v[39:40], v[41:42], v[39:40], s[82:83]
	s_delay_alu instid0(VALU_DEP_2) | instskip(SKIP_1) | instid1(VALU_DEP_3)
	v_add_f64 v[43:44], v[47:48], v[43:44]
	v_add_f64 v[47:48], v[49:50], -v[45:46]
	v_fma_f64 v[39:40], v[41:42], v[39:40], s[84:85]
	s_delay_alu instid0(VALU_DEP_3) | instskip(NEXT) | instid1(VALU_DEP_3)
	v_add_f64 v[43:44], v[49:50], v[43:44]
	v_add_f64 v[49:50], v[49:50], -v[47:48]
	v_add_f64 v[9:10], v[9:10], -v[47:48]
	s_delay_alu instid0(VALU_DEP_4) | instskip(NEXT) | instid1(VALU_DEP_4)
	v_fma_f64 v[39:40], v[41:42], v[39:40], s[86:87]
	v_add_f64 v[53:54], v[51:52], v[43:44]
	s_delay_alu instid0(VALU_DEP_2) | instskip(SKIP_1) | instid1(VALU_DEP_3)
	v_mul_f64 v[39:40], v[41:42], v[39:40]
	v_add_f64 v[41:42], v[45:46], -v[49:50]
	v_add_f64 v[45:46], v[53:54], -v[51:52]
	s_delay_alu instid0(VALU_DEP_3) | instskip(NEXT) | instid1(VALU_DEP_3)
	v_fma_f64 v[35:36], v[35:36], v[39:40], v[35:36]
	v_add_f64 v[9:10], v[9:10], v[41:42]
	s_delay_alu instid0(VALU_DEP_3) | instskip(NEXT) | instid1(VALU_DEP_3)
	v_add_f64 v[39:40], v[43:44], -v[45:46]
	v_add_f64 v[41:42], -v[35:36], s[88:89]
	s_delay_alu instid0(VALU_DEP_2) | instskip(NEXT) | instid1(VALU_DEP_2)
	v_add_f64 v[9:10], v[9:10], v[39:40]
	v_cndmask_b32_e64 v36, v36, v42, s6
	s_delay_alu instid0(VALU_DEP_3) | instskip(NEXT) | instid1(VALU_DEP_1)
	v_cndmask_b32_e64 v35, v35, v41, s6
                                        ; implicit-def: $vgpr41_vgpr42
	v_add_f64 v[39:40], -v[35:36], s[16:17]
	v_and_b32_e32 v15, 0x54442d18, v7
	v_and_b32_e32 v7, 0x400921fb, v7
	v_add_f64 v[9:10], v[53:54], v[9:10]
	s_delay_alu instid0(VALU_DEP_4) | instskip(NEXT) | instid1(VALU_DEP_2)
	v_cndmask_b32_e32 v18, v35, v39, vcc_lo
	v_mul_f64 v[1:2], v[9:10], 0.5
	v_cndmask_b32_e32 v10, v36, v40, vcc_lo
	v_cndmask_b32_e32 v9, 0x3fe921fb, v60, vcc_lo
	s_delay_alu instid0(VALU_DEP_4) | instskip(SKIP_1) | instid1(VALU_DEP_3)
	v_cndmask_b32_e64 v15, v18, v15, s7
	s_and_b32 vcc_lo, s10, s11
                                        ; implicit-def: $vgpr39_vgpr40
	v_cndmask_b32_e64 v7, v10, v7, s7
	s_delay_alu instid0(VALU_DEP_3) | instskip(NEXT) | instid1(VALU_DEP_3)
	v_bfi_b32 v9, 0x7fffffff, v9, v4
	v_cndmask_b32_e32 v35, v15, v11, vcc_lo
	s_delay_alu instid0(VALU_DEP_2)
	v_cndmask_b32_e32 v36, v7, v9, vcc_lo
	v_cndmask_b32_e64 v10, 0xfff00000, v2, s8
	v_cndmask_b32_e64 v9, 0, v1, s8
.LBB186_128:                            ;   in Loop: Header=BB186_4 Depth=1
	s_and_not1_saveexec_b32 s92, s9
	s_cbranch_execz .LBB186_132
; %bb.129:                              ;   in Loop: Header=BB186_4 Depth=1
	v_dual_mov_b32 v35, v17 :: v_dual_and_b32 v18, 0x7ffffff8, v42
	v_and_b32_e32 v36, 0x7ffffff8, v40
	s_mov_b32 s93, 0
	s_delay_alu instid0(VALU_DEP_2) | instskip(SKIP_1) | instid1(VALU_DEP_3)
	v_add_f64 v[9:10], v[41:42], -v[17:18]
	v_mov_b32_e32 v41, v17
	v_add_f64 v[37:38], v[39:40], -v[35:36]
	v_mov_b32_e32 v43, v17
	v_add_f64 v[45:46], v[17:18], v[17:18]
	v_add_f64 v[53:54], v[35:36], v[35:36]
	v_mul_f64 v[39:40], v[35:36], v[35:36]
	v_and_b32_e32 v42, -8, v10
	v_and_b32_e32 v44, -8, v38
	s_delay_alu instid0(VALU_DEP_2) | instskip(SKIP_1) | instid1(VALU_DEP_3)
	v_add_f64 v[55:56], v[9:10], -v[41:42]
	v_add_f64 v[61:62], v[41:42], v[41:42]
	v_add_f64 v[57:58], v[37:38], -v[43:44]
	v_add_f64 v[63:64], v[43:44], v[43:44]
	v_mul_f64 v[9:10], v[17:18], v[17:18]
	v_mul_f64 v[51:52], v[45:46], v[41:42]
	;; [unrolled: 1-line block ×11, first 2 shown]
.LBB186_130:                            ;   Parent Loop BB186_4 Depth=1
                                        ; =>  This Inner Loop Header: Depth=2
	v_cmp_nlt_f64_e32 vcc_lo, v[9:10], v[39:40]
	v_dual_cndmask_b32 v58, v10, v40 :: v_dual_cndmask_b32 v57, v9, v39
	v_dual_cndmask_b32 v10, v40, v10 :: v_dual_cndmask_b32 v9, v39, v9
	s_delay_alu instid0(VALU_DEP_2) | instskip(NEXT) | instid1(VALU_DEP_1)
	v_cmp_nlt_f64_e64 s7, v[57:58], v[51:52]
	v_cndmask_b32_e64 v62, v58, v52, s7
	v_cndmask_b32_e64 v61, v57, v51, s7
	;; [unrolled: 1-line block ×4, first 2 shown]
	s_and_b32 s7, vcc_lo, s7
	s_delay_alu instid0(VALU_DEP_3) | instskip(NEXT) | instid1(VALU_DEP_1)
	v_cmp_nlt_f64_e64 s8, v[61:62], v[37:38]
	v_cndmask_b32_e64 v58, v62, v38, s8
	v_cndmask_b32_e64 v57, v61, v37, s8
	;; [unrolled: 1-line block ×4, first 2 shown]
	s_delay_alu instid0(VALU_DEP_3) | instskip(NEXT) | instid1(VALU_DEP_1)
	v_cmp_nlt_f64_e64 s9, v[57:58], v[49:50]
	v_cndmask_b32_e64 v62, v58, v50, s9
	v_cndmask_b32_e64 v61, v57, v49, s9
	v_cndmask_b32_e64 v38, v50, v58, s9
	v_cndmask_b32_e64 v37, v49, v57, s9
	s_and_b32 s8, s8, s9
	s_delay_alu instid0(VALU_DEP_3) | instskip(NEXT) | instid1(VALU_DEP_1)
	v_cmp_nlt_f64_e64 s10, v[61:62], v[35:36]
	v_cndmask_b32_e64 v58, v62, v36, s10
	v_cndmask_b32_e64 v57, v61, v35, s10
	;; [unrolled: 1-line block ×4, first 2 shown]
	s_delay_alu instid0(VALU_DEP_3) | instskip(NEXT) | instid1(VALU_DEP_1)
	v_cmp_nlt_f64_e64 s11, v[57:58], v[47:48]
	v_cndmask_b32_e64 v62, v58, v48, s11
	v_cndmask_b32_e64 v61, v57, v47, s11
	v_cndmask_b32_e64 v36, v48, v58, s11
	v_cndmask_b32_e64 v35, v47, v57, s11
	s_and_b32 s9, s10, s11
	s_delay_alu instid0(VALU_DEP_3) | instskip(NEXT) | instid1(VALU_DEP_1)
	v_cmp_nlt_f64_e64 s12, v[61:62], v[45:46]
	v_cndmask_b32_e64 v58, v62, v46, s12
	v_cndmask_b32_e64 v57, v61, v45, s12
	v_cndmask_b32_e64 v48, v46, v62, s12
	v_cndmask_b32_e64 v47, v45, v61, s12
	s_and_b32 s9, s9, s12
	;; [unrolled: 7-line block ×4, first 2 shown]
	s_delay_alu instid0(VALU_DEP_3) | instskip(NEXT) | instid1(VALU_DEP_1)
	v_cmp_nlt_f64_e64 s15, v[57:58], v[53:54]
	v_cndmask_b32_e64 v62, v58, v54, s15
	v_cndmask_b32_e64 v61, v57, v53, s15
	s_and_b32 s9, s9, s15
	v_cndmask_b32_e64 v42, v54, v58, s15
	v_cndmask_b32_e64 v41, v53, v57, s15
	s_delay_alu instid0(VALU_DEP_3) | instskip(NEXT) | instid1(VALU_DEP_1)
	v_cmp_nlt_f64_e64 s16, v[61:62], v[55:56]
	v_cndmask_b32_e64 v58, v62, v56, s16
	v_cndmask_b32_e64 v57, v61, v55, s16
	s_and_b32 s9, s9, s16
	v_cndmask_b32_e64 v54, v56, v62, s16
	s_and_b32 s8, s9, s8
	;; [unrolled: 2-line block ×3, first 2 shown]
	v_dual_mov_b32 v55, v57 :: v_dual_mov_b32 v56, v58
	s_and_b32 s7, exec_lo, s7
	s_delay_alu instid0(SALU_CYCLE_1) | instskip(NEXT) | instid1(SALU_CYCLE_1)
	s_or_b32 s93, s7, s93
	s_and_not1_b32 exec_lo, exec_lo, s93
	s_cbranch_execnz .LBB186_130
; %bb.131:                              ;   in Loop: Header=BB186_4 Depth=1
	s_or_b32 exec_lo, exec_lo, s93
	v_add_f64 v[9:10], v[9:10], -1.0
	s_mov_b32 s101, s27
	s_mov_b32 s16, s88
	v_cmp_gt_i32_e64 s7, 0, v2
	v_cmp_class_f64_e64 s9, v[1:2], 0x204
	v_cmp_class_f64_e64 s8, v[3:4], 0x204
	s_mov_b32 s14, 0x4ad4b81f
	s_mov_b32 s15, 0x358dee7a
	v_cndmask_b32_e64 v15, 0x54442d18, v59, s7
	v_add_f64 v[9:10], v[9:10], v[39:40]
	s_delay_alu instid0(VALU_DEP_1) | instskip(NEXT) | instid1(VALU_DEP_1)
	v_add_f64 v[9:10], v[9:10], v[51:52]
	v_add_f64 v[9:10], v[9:10], v[37:38]
	s_delay_alu instid0(VALU_DEP_1) | instskip(NEXT) | instid1(VALU_DEP_1)
	v_add_f64 v[9:10], v[9:10], v[49:50]
	;; [unrolled: 3-line block ×5, first 2 shown]
	v_add_f64 v[10:11], v[57:58], v[9:10]
	s_delay_alu instid0(VALU_DEP_1) | instskip(NEXT) | instid1(VALU_DEP_1)
	v_add_f64 v[35:36], v[10:11], 1.0
	v_frexp_mant_f64_e32 v[37:38], v[35:36]
	v_frexp_exp_i32_f64_e32 v7, v[35:36]
	v_add_f64 v[39:40], v[35:36], -1.0
	s_delay_alu instid0(VALU_DEP_3) | instskip(NEXT) | instid1(VALU_DEP_2)
	v_cmp_gt_f64_e32 vcc_lo, s[26:27], v[37:38]
	v_add_f64 v[37:38], v[39:40], -v[35:36]
	v_add_f64 v[39:40], v[10:11], -v[39:40]
	v_subrev_co_ci_u32_e32 v7, vcc_lo, 0, v7, vcc_lo
	s_delay_alu instid0(VALU_DEP_3) | instskip(NEXT) | instid1(VALU_DEP_2)
	v_add_f64 v[37:38], v[37:38], 1.0
	v_sub_nc_u32_e32 v9, 0, v7
	s_delay_alu instid0(VALU_DEP_1) | instskip(NEXT) | instid1(VALU_DEP_3)
	v_ldexp_f64 v[35:36], v[35:36], v9
	v_add_f64 v[37:38], v[39:40], v[37:38]
	s_delay_alu instid0(VALU_DEP_2) | instskip(SKIP_1) | instid1(VALU_DEP_3)
	v_add_f64 v[41:42], v[35:36], 1.0
	v_add_f64 v[47:48], v[35:36], -1.0
	v_ldexp_f64 v[37:38], v[37:38], v9
	s_delay_alu instid0(VALU_DEP_3) | instskip(NEXT) | instid1(VALU_DEP_3)
	v_add_f64 v[39:40], v[41:42], -1.0
	v_add_f64 v[49:50], v[47:48], 1.0
	s_delay_alu instid0(VALU_DEP_2) | instskip(NEXT) | instid1(VALU_DEP_2)
	v_add_f64 v[39:40], v[35:36], -v[39:40]
	v_add_f64 v[35:36], v[35:36], -v[49:50]
	s_delay_alu instid0(VALU_DEP_2) | instskip(NEXT) | instid1(VALU_DEP_2)
	v_add_f64 v[39:40], v[37:38], v[39:40]
	v_add_f64 v[35:36], v[37:38], v[35:36]
	s_delay_alu instid0(VALU_DEP_2) | instskip(NEXT) | instid1(VALU_DEP_2)
	v_add_f64 v[43:44], v[41:42], v[39:40]
	v_add_f64 v[49:50], v[47:48], v[35:36]
	s_delay_alu instid0(VALU_DEP_2) | instskip(SKIP_1) | instid1(VALU_DEP_2)
	v_rcp_f64_e32 v[45:46], v[43:44]
	v_add_f64 v[41:42], v[43:44], -v[41:42]
	v_add_f64 v[47:48], v[49:50], -v[47:48]
	s_delay_alu instid0(VALU_DEP_2) | instskip(SKIP_3) | instid1(VALU_DEP_2)
	v_add_f64 v[39:40], v[39:40], -v[41:42]
	s_waitcnt_depctr 0xfff
	v_fma_f64 v[51:52], -v[43:44], v[45:46], 1.0
	v_add_f64 v[35:36], v[35:36], -v[47:48]
	v_fma_f64 v[45:46], v[51:52], v[45:46], v[45:46]
	s_delay_alu instid0(VALU_DEP_1) | instskip(NEXT) | instid1(VALU_DEP_1)
	v_fma_f64 v[37:38], -v[43:44], v[45:46], 1.0
	v_fma_f64 v[37:38], v[37:38], v[45:46], v[45:46]
	s_delay_alu instid0(VALU_DEP_1) | instskip(NEXT) | instid1(VALU_DEP_1)
	v_mul_f64 v[45:46], v[49:50], v[37:38]
	v_mul_f64 v[51:52], v[43:44], v[45:46]
	s_delay_alu instid0(VALU_DEP_1) | instskip(NEXT) | instid1(VALU_DEP_1)
	v_fma_f64 v[41:42], v[45:46], v[43:44], -v[51:52]
	v_fma_f64 v[41:42], v[45:46], v[39:40], v[41:42]
	s_delay_alu instid0(VALU_DEP_1) | instskip(NEXT) | instid1(VALU_DEP_1)
	v_add_f64 v[53:54], v[51:52], v[41:42]
	v_add_f64 v[55:56], v[49:50], -v[53:54]
	v_add_f64 v[47:48], v[53:54], -v[51:52]
	v_max_f64 v[51:52], |v[3:4]|, |v[3:4]|
	s_delay_alu instid0(VALU_DEP_3) | instskip(NEXT) | instid1(VALU_DEP_3)
	v_add_f64 v[49:50], v[49:50], -v[55:56]
	v_add_f64 v[41:42], v[47:48], -v[41:42]
	s_delay_alu instid0(VALU_DEP_2) | instskip(SKIP_2) | instid1(VALU_DEP_1)
	v_add_f64 v[49:50], v[49:50], -v[53:54]
	v_max_f64 v[53:54], |v[1:2]|, |v[1:2]|
	v_cndmask_b32_e64 v1, 0x3fe921fb, v60, s7
	v_bfi_b32 v1, 0x7fffffff, v1, v4
	s_delay_alu instid0(VALU_DEP_4) | instskip(NEXT) | instid1(VALU_DEP_4)
	v_add_f64 v[35:36], v[35:36], v[49:50]
	v_max_f64 v[57:58], v[53:54], v[51:52]
	v_min_f64 v[51:52], v[53:54], v[51:52]
	s_delay_alu instid0(VALU_DEP_3) | instskip(NEXT) | instid1(VALU_DEP_1)
	v_add_f64 v[35:36], v[41:42], v[35:36]
	v_add_f64 v[41:42], v[55:56], v[35:36]
	s_delay_alu instid0(VALU_DEP_1) | instskip(SKIP_1) | instid1(VALU_DEP_2)
	v_mul_f64 v[47:48], v[37:38], v[41:42]
	v_add_f64 v[55:56], v[55:56], -v[41:42]
	v_mul_f64 v[49:50], v[43:44], v[47:48]
	s_delay_alu instid0(VALU_DEP_2) | instskip(NEXT) | instid1(VALU_DEP_2)
	v_add_f64 v[35:36], v[35:36], v[55:56]
	v_fma_f64 v[43:44], v[47:48], v[43:44], -v[49:50]
	s_delay_alu instid0(VALU_DEP_1) | instskip(SKIP_1) | instid1(VALU_DEP_2)
	v_fma_f64 v[39:40], v[47:48], v[39:40], v[43:44]
	v_div_scale_f64 v[43:44], null, v[57:58], v[57:58], v[51:52]
	v_add_f64 v[53:54], v[49:50], v[39:40]
	s_delay_alu instid0(VALU_DEP_2) | instskip(NEXT) | instid1(VALU_DEP_1)
	v_rcp_f64_e32 v[61:62], v[43:44]
	v_add_f64 v[63:64], v[41:42], -v[53:54]
	v_add_f64 v[49:50], v[53:54], -v[49:50]
	s_waitcnt_depctr 0xfff
	v_fma_f64 v[65:66], -v[43:44], v[61:62], 1.0
	v_add_f64 v[41:42], v[41:42], -v[63:64]
	v_add_f64 v[39:40], v[49:50], -v[39:40]
	s_delay_alu instid0(VALU_DEP_3) | instskip(NEXT) | instid1(VALU_DEP_3)
	v_fma_f64 v[61:62], v[61:62], v[65:66], v[61:62]
	v_add_f64 v[41:42], v[41:42], -v[53:54]
	s_delay_alu instid0(VALU_DEP_2) | instskip(NEXT) | instid1(VALU_DEP_2)
	v_fma_f64 v[53:54], -v[43:44], v[61:62], 1.0
	v_add_f64 v[35:36], v[35:36], v[41:42]
	v_div_scale_f64 v[41:42], vcc_lo, v[51:52], v[57:58], v[51:52]
	s_delay_alu instid0(VALU_DEP_3) | instskip(SKIP_1) | instid1(VALU_DEP_4)
	v_fma_f64 v[49:50], v[61:62], v[53:54], v[61:62]
	v_add_f64 v[53:54], v[45:46], v[47:48]
	v_add_f64 v[35:36], v[39:40], v[35:36]
	s_delay_alu instid0(VALU_DEP_3) | instskip(NEXT) | instid1(VALU_DEP_3)
	v_mul_f64 v[39:40], v[41:42], v[49:50]
	v_add_f64 v[45:46], v[53:54], -v[45:46]
	s_delay_alu instid0(VALU_DEP_3) | instskip(NEXT) | instid1(VALU_DEP_3)
	v_add_f64 v[35:36], v[63:64], v[35:36]
	v_fma_f64 v[41:42], -v[43:44], v[39:40], v[41:42]
	s_delay_alu instid0(VALU_DEP_3) | instskip(NEXT) | instid1(VALU_DEP_3)
	v_add_f64 v[43:44], v[47:48], -v[45:46]
	v_mul_f64 v[35:36], v[37:38], v[35:36]
	s_delay_alu instid0(VALU_DEP_3) | instskip(SKIP_1) | instid1(VALU_DEP_3)
	v_div_fmas_f64 v[37:38], v[41:42], v[49:50], v[39:40]
	v_cmp_eq_f64_e32 vcc_lo, 0x7ff00000, v[10:11]
	v_add_f64 v[35:36], v[43:44], v[35:36]
	s_delay_alu instid0(VALU_DEP_3) | instskip(NEXT) | instid1(VALU_DEP_2)
	v_div_fixup_f64 v[37:38], v[37:38], v[57:58], v[51:52]
	v_add_f64 v[39:40], v[53:54], v[35:36]
	s_delay_alu instid0(VALU_DEP_2) | instskip(NEXT) | instid1(VALU_DEP_2)
	v_mul_f64 v[41:42], v[37:38], v[37:38]
	v_mul_f64 v[43:44], v[39:40], v[39:40]
	s_delay_alu instid0(VALU_DEP_2) | instskip(NEXT) | instid1(VALU_DEP_2)
	v_fma_f64 v[45:46], v[41:42], s[50:51], s[48:49]
	v_fma_f64 v[47:48], v[43:44], s[30:31], s[28:29]
	v_mul_f64 v[49:50], v[39:40], v[43:44]
	s_delay_alu instid0(VALU_DEP_3) | instskip(NEXT) | instid1(VALU_DEP_3)
	v_fma_f64 v[45:46], v[41:42], v[45:46], s[52:53]
	v_fma_f64 v[47:48], v[43:44], v[47:48], s[36:37]
	s_delay_alu instid0(VALU_DEP_2) | instskip(NEXT) | instid1(VALU_DEP_2)
	v_fma_f64 v[45:46], v[41:42], v[45:46], s[54:55]
	v_fma_f64 v[47:48], v[43:44], v[47:48], s[38:39]
	s_delay_alu instid0(VALU_DEP_2) | instskip(NEXT) | instid1(VALU_DEP_2)
	;; [unrolled: 3-line block ×4, first 2 shown]
	v_fma_f64 v[45:46], v[41:42], v[45:46], s[60:61]
	v_fma_f64 v[43:44], v[43:44], v[47:48], s[100:101]
	v_ldexp_f64 v[47:48], v[39:40], 1
	v_add_f64 v[39:40], v[39:40], -v[53:54]
	s_delay_alu instid0(VALU_DEP_4) | instskip(NEXT) | instid1(VALU_DEP_4)
	v_fma_f64 v[45:46], v[41:42], v[45:46], s[62:63]
	v_mul_f64 v[43:44], v[49:50], v[43:44]
	v_cvt_f64_i32_e32 v[49:50], v7
	s_delay_alu instid0(VALU_DEP_4) | instskip(NEXT) | instid1(VALU_DEP_4)
	v_add_f64 v[35:36], v[35:36], -v[39:40]
	v_fma_f64 v[45:46], v[41:42], v[45:46], s[64:65]
	v_ashrrev_i32_e32 v7, 31, v2
	s_delay_alu instid0(VALU_DEP_1) | instskip(SKIP_4) | instid1(VALU_DEP_4)
	v_and_b32_e32 v2, 0x400921fb, v7
	v_add_f64 v[51:52], v[47:48], v[43:44]
	v_mul_f64 v[53:54], v[49:50], s[44:45]
	v_ldexp_f64 v[35:36], v[35:36], 1
	v_fma_f64 v[45:46], v[41:42], v[45:46], s[66:67]
	v_add_f64 v[39:40], v[51:52], -v[47:48]
	s_delay_alu instid0(VALU_DEP_4) | instskip(NEXT) | instid1(VALU_DEP_3)
	v_fma_f64 v[47:48], v[49:50], s[44:45], -v[53:54]
	v_fma_f64 v[45:46], v[41:42], v[45:46], s[68:69]
	s_delay_alu instid0(VALU_DEP_3) | instskip(NEXT) | instid1(VALU_DEP_2)
	v_add_f64 v[39:40], v[43:44], -v[39:40]
	v_fma_f64 v[43:44], v[41:42], v[45:46], s[70:71]
	s_delay_alu instid0(VALU_DEP_4) | instskip(NEXT) | instid1(VALU_DEP_3)
	v_fma_f64 v[45:46], v[49:50], s[46:47], v[47:48]
	v_add_f64 v[35:36], v[35:36], v[39:40]
	s_delay_alu instid0(VALU_DEP_3) | instskip(NEXT) | instid1(VALU_DEP_3)
	v_fma_f64 v[39:40], v[41:42], v[43:44], s[72:73]
	v_add_f64 v[43:44], v[53:54], v[45:46]
	s_delay_alu instid0(VALU_DEP_3) | instskip(NEXT) | instid1(VALU_DEP_3)
	v_add_f64 v[47:48], v[51:52], v[35:36]
	v_fma_f64 v[39:40], v[41:42], v[39:40], s[74:75]
	s_delay_alu instid0(VALU_DEP_3) | instskip(NEXT) | instid1(VALU_DEP_3)
	v_add_f64 v[53:54], v[43:44], -v[53:54]
	v_add_f64 v[49:50], v[43:44], v[47:48]
	v_add_f64 v[51:52], v[47:48], -v[51:52]
	s_delay_alu instid0(VALU_DEP_4) | instskip(NEXT) | instid1(VALU_DEP_4)
	v_fma_f64 v[39:40], v[41:42], v[39:40], s[76:77]
	v_add_f64 v[45:46], v[45:46], -v[53:54]
	s_delay_alu instid0(VALU_DEP_4) | instskip(NEXT) | instid1(VALU_DEP_4)
	v_add_f64 v[55:56], v[49:50], -v[43:44]
	v_add_f64 v[35:36], v[35:36], -v[51:52]
	s_delay_alu instid0(VALU_DEP_4) | instskip(NEXT) | instid1(VALU_DEP_3)
	v_fma_f64 v[39:40], v[41:42], v[39:40], s[78:79]
	v_add_f64 v[57:58], v[49:50], -v[55:56]
	v_add_f64 v[47:48], v[47:48], -v[55:56]
	s_delay_alu instid0(VALU_DEP_4) | instskip(NEXT) | instid1(VALU_DEP_4)
	v_add_f64 v[51:52], v[45:46], v[35:36]
	v_fma_f64 v[39:40], v[41:42], v[39:40], s[80:81]
	s_delay_alu instid0(VALU_DEP_4) | instskip(NEXT) | instid1(VALU_DEP_2)
	v_add_f64 v[43:44], v[43:44], -v[57:58]
	v_fma_f64 v[39:40], v[41:42], v[39:40], s[82:83]
	s_delay_alu instid0(VALU_DEP_2) | instskip(SKIP_1) | instid1(VALU_DEP_3)
	v_add_f64 v[43:44], v[47:48], v[43:44]
	v_add_f64 v[47:48], v[51:52], -v[45:46]
	v_fma_f64 v[39:40], v[41:42], v[39:40], s[84:85]
	s_delay_alu instid0(VALU_DEP_3) | instskip(NEXT) | instid1(VALU_DEP_3)
	v_add_f64 v[43:44], v[51:52], v[43:44]
	v_add_f64 v[51:52], v[51:52], -v[47:48]
	v_add_f64 v[35:36], v[35:36], -v[47:48]
	s_delay_alu instid0(VALU_DEP_4) | instskip(NEXT) | instid1(VALU_DEP_4)
	v_fma_f64 v[39:40], v[41:42], v[39:40], s[86:87]
	v_add_f64 v[53:54], v[49:50], v[43:44]
	s_delay_alu instid0(VALU_DEP_2) | instskip(SKIP_1) | instid1(VALU_DEP_3)
	v_mul_f64 v[39:40], v[41:42], v[39:40]
	v_add_f64 v[41:42], v[45:46], -v[51:52]
	v_add_f64 v[45:46], v[53:54], -v[49:50]
	s_delay_alu instid0(VALU_DEP_3) | instskip(NEXT) | instid1(VALU_DEP_3)
	v_fma_f64 v[37:38], v[37:38], v[39:40], v[37:38]
	v_add_f64 v[35:36], v[35:36], v[41:42]
	s_delay_alu instid0(VALU_DEP_3) | instskip(NEXT) | instid1(VALU_DEP_3)
	v_add_f64 v[39:40], v[43:44], -v[45:46]
	v_add_f64 v[41:42], -v[37:38], s[88:89]
	s_delay_alu instid0(VALU_DEP_2) | instskip(NEXT) | instid1(VALU_DEP_2)
	v_add_f64 v[35:36], v[35:36], v[39:40]
	v_cndmask_b32_e64 v38, v38, v42, s6
	s_delay_alu instid0(VALU_DEP_3) | instskip(NEXT) | instid1(VALU_DEP_1)
	v_cndmask_b32_e64 v37, v37, v41, s6
	v_add_f64 v[39:40], -v[37:38], s[16:17]
	s_delay_alu instid0(VALU_DEP_4) | instskip(NEXT) | instid1(VALU_DEP_2)
	v_add_f64 v[35:36], v[53:54], v[35:36]
	v_cndmask_b32_e64 v18, v37, v39, s7
	s_delay_alu instid0(VALU_DEP_2)
	v_dual_cndmask_b32 v36, v36, v11 :: v_dual_cndmask_b32 v35, v35, v10
	v_cmp_eq_f64_e32 vcc_lo, 0, v[3:4]
	v_and_b32_e32 v9, 0x54442d18, v7
	v_cndmask_b32_e64 v7, v38, v40, s7
	v_cmp_nge_f64_e64 s7, -1.0, v[10:11]
	v_mul_f64 v[35:36], v[35:36], 0.5
	s_delay_alu instid0(VALU_DEP_3) | instskip(SKIP_2) | instid1(VALU_DEP_4)
	v_cndmask_b32_e32 v2, v7, v2, vcc_lo
	v_cndmask_b32_e32 v18, v18, v9, vcc_lo
	v_cmp_ngt_f64_e32 vcc_lo, -1.0, v[10:11]
	v_cndmask_b32_e64 v9, 0, v35, s7
	v_cmp_neq_f64_e64 s7, -1.0, v[10:11]
	v_cndmask_b32_e32 v7, 0x7ff80000, v36, vcc_lo
	s_and_b32 vcc_lo, s8, s9
	v_cndmask_b32_e32 v36, v2, v1, vcc_lo
	v_cndmask_b32_e32 v35, v18, v15, vcc_lo
	s_delay_alu instid0(VALU_DEP_3)
	v_cndmask_b32_e64 v10, 0xfff00000, v7, s7
.LBB186_132:                            ;   in Loop: Header=BB186_4 Depth=1
	s_or_b32 exec_lo, exec_lo, s92
.LBB186_133:                            ;   in Loop: Header=BB186_4 Depth=1
	s_delay_alu instid0(SALU_CYCLE_1)
	s_or_b32 exec_lo, exec_lo, s25
.LBB186_134:                            ;   in Loop: Header=BB186_4 Depth=1
	s_and_not1_saveexec_b32 s9, s24
	s_cbranch_execz .LBB186_136
; %bb.135:                              ;   in Loop: Header=BB186_4 Depth=1
	v_max_f64 v[9:10], |v[3:4]|, |v[3:4]|
	v_max_f64 v[35:36], |v[1:2]|, |v[1:2]|
	v_cmp_class_f64_e64 s10, v[1:2], 0x204
	v_cmp_class_f64_e64 s11, v[3:4], 0x204
	s_mov_b32 s101, s27
	s_mov_b32 s16, s88
	v_cmp_eq_f64_e64 s8, 0, v[3:4]
	s_delay_alu instid0(VALU_DEP_4) | instskip(SKIP_1) | instid1(VALU_DEP_4)
	v_max_f64 v[37:38], v[35:36], v[9:10]
	v_min_f64 v[9:10], v[35:36], v[9:10]
	s_or_b32 s12, s11, s10
	s_delay_alu instid0(VALU_DEP_2) | instskip(NEXT) | instid1(VALU_DEP_1)
	v_frexp_exp_i32_f64_e32 v7, v[37:38]
	v_sub_nc_u32_e32 v11, 0, v7
	s_delay_alu instid0(VALU_DEP_1) | instskip(SKIP_1) | instid1(VALU_DEP_2)
	v_ldexp_f64 v[39:40], |v[3:4]|, v11
	v_ldexp_f64 v[41:42], |v[1:2]|, v11
	v_mul_f64 v[39:40], v[39:40], v[39:40]
	s_delay_alu instid0(VALU_DEP_1) | instskip(NEXT) | instid1(VALU_DEP_1)
	v_fma_f64 v[39:40], v[41:42], v[41:42], v[39:40]
	v_rsq_f64_e32 v[41:42], v[39:40]
	v_cmp_eq_f64_e32 vcc_lo, 0, v[39:40]
	s_waitcnt_depctr 0xfff
	v_mul_f64 v[43:44], v[39:40], v[41:42]
	v_mul_f64 v[41:42], v[41:42], 0.5
	s_delay_alu instid0(VALU_DEP_1) | instskip(NEXT) | instid1(VALU_DEP_1)
	v_fma_f64 v[45:46], -v[41:42], v[43:44], 0.5
	v_fma_f64 v[43:44], v[43:44], v[45:46], v[43:44]
	v_fma_f64 v[41:42], v[41:42], v[45:46], v[41:42]
	s_delay_alu instid0(VALU_DEP_2) | instskip(NEXT) | instid1(VALU_DEP_1)
	v_fma_f64 v[45:46], -v[43:44], v[43:44], v[39:40]
	v_fma_f64 v[41:42], v[45:46], v[41:42], v[43:44]
	s_delay_alu instid0(VALU_DEP_1) | instskip(SKIP_1) | instid1(VALU_DEP_2)
	v_dual_cndmask_b32 v40, v42, v40 :: v_dual_cndmask_b32 v39, v41, v39
	v_div_scale_f64 v[63:64], vcc_lo, v[9:10], v[37:38], v[9:10]
	v_ldexp_f64 v[39:40], v[39:40], v7
	s_delay_alu instid0(VALU_DEP_1) | instskip(NEXT) | instid1(VALU_DEP_2)
	v_cndmask_b32_e64 v42, v40, 0x7ff00000, s12
	v_cndmask_b32_e64 v41, v39, 0, s12
	s_delay_alu instid0(VALU_DEP_1) | instskip(SKIP_1) | instid1(VALU_DEP_2)
	v_frexp_mant_f64_e32 v[43:44], v[41:42]
	v_frexp_exp_i32_f64_e32 v1, v[41:42]
	v_cmp_gt_f64_e64 s7, s[26:27], v[43:44]
	s_delay_alu instid0(VALU_DEP_1) | instskip(NEXT) | instid1(VALU_DEP_1)
	v_cndmask_b32_e64 v18, 0x3ff00000, 2.0, s7
	v_mul_f64 v[43:44], v[43:44], v[17:18]
	s_delay_alu instid0(VALU_DEP_1) | instskip(SKIP_1) | instid1(VALU_DEP_2)
	v_add_f64 v[45:46], v[43:44], 1.0
	v_add_f64 v[51:52], v[43:44], -1.0
	v_rcp_f64_e32 v[47:48], v[45:46]
	v_add_f64 v[53:54], v[45:46], -1.0
	s_delay_alu instid0(VALU_DEP_1) | instskip(SKIP_2) | instid1(VALU_DEP_1)
	v_add_f64 v[43:44], v[43:44], -v[53:54]
	s_waitcnt_depctr 0xfff
	v_fma_f64 v[49:50], -v[45:46], v[47:48], 1.0
	v_fma_f64 v[47:48], v[49:50], v[47:48], v[47:48]
	s_delay_alu instid0(VALU_DEP_1) | instskip(NEXT) | instid1(VALU_DEP_1)
	v_fma_f64 v[49:50], -v[45:46], v[47:48], 1.0
	v_fma_f64 v[47:48], v[49:50], v[47:48], v[47:48]
	v_div_scale_f64 v[49:50], null, v[37:38], v[37:38], v[9:10]
	s_delay_alu instid0(VALU_DEP_2) | instskip(NEXT) | instid1(VALU_DEP_2)
	v_mul_f64 v[35:36], v[51:52], v[47:48]
	v_rcp_f64_e32 v[57:58], v[49:50]
	s_delay_alu instid0(VALU_DEP_1) | instskip(SKIP_3) | instid1(VALU_DEP_1)
	v_mul_f64 v[55:56], v[45:46], v[35:36]
	s_waitcnt_depctr 0xfff
	v_fma_f64 v[53:54], -v[49:50], v[57:58], 1.0
	v_fma_f64 v[45:46], v[35:36], v[45:46], -v[55:56]
	v_fma_f64 v[43:44], v[35:36], v[43:44], v[45:46]
	s_delay_alu instid0(VALU_DEP_3) | instskip(NEXT) | instid1(VALU_DEP_2)
	v_fma_f64 v[45:46], v[57:58], v[53:54], v[57:58]
	v_add_f64 v[53:54], v[55:56], v[43:44]
	s_delay_alu instid0(VALU_DEP_2) | instskip(NEXT) | instid1(VALU_DEP_2)
	v_fma_f64 v[57:58], -v[49:50], v[45:46], 1.0
	v_add_f64 v[61:62], v[51:52], -v[53:54]
	s_delay_alu instid0(VALU_DEP_2) | instskip(SKIP_1) | instid1(VALU_DEP_3)
	v_fma_f64 v[45:46], v[45:46], v[57:58], v[45:46]
	v_add_f64 v[55:56], v[53:54], -v[55:56]
	v_add_f64 v[51:52], v[51:52], -v[61:62]
	s_delay_alu instid0(VALU_DEP_3) | instskip(NEXT) | instid1(VALU_DEP_3)
	v_mul_f64 v[57:58], v[63:64], v[45:46]
	v_add_f64 v[43:44], v[55:56], -v[43:44]
	s_delay_alu instid0(VALU_DEP_3) | instskip(NEXT) | instid1(VALU_DEP_3)
	v_add_f64 v[51:52], v[51:52], -v[53:54]
	v_fma_f64 v[49:50], -v[49:50], v[57:58], v[63:64]
	s_delay_alu instid0(VALU_DEP_2) | instskip(NEXT) | instid1(VALU_DEP_2)
	v_add_f64 v[43:44], v[43:44], v[51:52]
	v_div_fmas_f64 v[45:46], v[49:50], v[45:46], v[57:58]
	v_subrev_co_ci_u32_e64 v1, vcc_lo, 0, v1, s7
	v_cmp_class_f64_e64 s7, v[39:40], 0x204
	v_cmp_gt_i32_e32 vcc_lo, 0, v2
	v_cndmask_b32_e32 v11, 0x3fe921fb, v60, vcc_lo
	s_delay_alu instid0(VALU_DEP_1) | instskip(SKIP_2) | instid1(VALU_DEP_2)
	v_bfi_b32 v11, 0x7fffffff, v11, v4
	v_add_f64 v[43:44], v[61:62], v[43:44]
	v_div_fixup_f64 v[9:10], v[45:46], v[37:38], v[9:10]
	v_mul_f64 v[37:38], v[47:48], v[43:44]
	s_delay_alu instid0(VALU_DEP_2) | instskip(NEXT) | instid1(VALU_DEP_2)
	v_mul_f64 v[43:44], v[9:10], v[9:10]
	v_add_f64 v[45:46], v[35:36], v[37:38]
	s_delay_alu instid0(VALU_DEP_2) | instskip(NEXT) | instid1(VALU_DEP_2)
	v_fma_f64 v[47:48], v[43:44], s[50:51], s[48:49]
	v_mul_f64 v[49:50], v[45:46], v[45:46]
	s_delay_alu instid0(VALU_DEP_2) | instskip(SKIP_1) | instid1(VALU_DEP_3)
	v_fma_f64 v[47:48], v[43:44], v[47:48], s[52:53]
	v_add_f64 v[35:36], v[45:46], -v[35:36]
	v_fma_f64 v[51:52], v[49:50], s[30:31], s[28:29]
	s_delay_alu instid0(VALU_DEP_3) | instskip(SKIP_1) | instid1(VALU_DEP_4)
	v_fma_f64 v[47:48], v[43:44], v[47:48], s[54:55]
	v_mul_f64 v[53:54], v[45:46], v[49:50]
	v_add_f64 v[35:36], v[37:38], -v[35:36]
	s_delay_alu instid0(VALU_DEP_4) | instskip(NEXT) | instid1(VALU_DEP_4)
	v_fma_f64 v[51:52], v[49:50], v[51:52], s[36:37]
	v_fma_f64 v[47:48], v[43:44], v[47:48], s[56:57]
	s_delay_alu instid0(VALU_DEP_3) | instskip(NEXT) | instid1(VALU_DEP_3)
	v_ldexp_f64 v[35:36], v[35:36], 1
	v_fma_f64 v[51:52], v[49:50], v[51:52], s[38:39]
	s_delay_alu instid0(VALU_DEP_3) | instskip(NEXT) | instid1(VALU_DEP_2)
	v_fma_f64 v[47:48], v[43:44], v[47:48], s[58:59]
	v_fma_f64 v[51:52], v[49:50], v[51:52], s[40:41]
	s_delay_alu instid0(VALU_DEP_2) | instskip(NEXT) | instid1(VALU_DEP_2)
	v_fma_f64 v[47:48], v[43:44], v[47:48], s[60:61]
	v_fma_f64 v[51:52], v[49:50], v[51:52], s[42:43]
	s_delay_alu instid0(VALU_DEP_2) | instskip(NEXT) | instid1(VALU_DEP_2)
	v_fma_f64 v[47:48], v[43:44], v[47:48], s[62:63]
	v_fma_f64 v[49:50], v[49:50], v[51:52], s[100:101]
	s_delay_alu instid0(VALU_DEP_2) | instskip(SKIP_1) | instid1(VALU_DEP_3)
	v_fma_f64 v[47:48], v[43:44], v[47:48], s[64:65]
	v_ldexp_f64 v[51:52], v[45:46], 1
	v_mul_f64 v[49:50], v[53:54], v[49:50]
	s_delay_alu instid0(VALU_DEP_3) | instskip(SKIP_2) | instid1(VALU_DEP_1)
	v_fma_f64 v[47:48], v[43:44], v[47:48], s[66:67]
	v_cvt_f64_i32_e32 v[53:54], v1
	v_ashrrev_i32_e32 v1, 31, v2
	v_dual_cndmask_b32 v2, 0x54442d18, v59 :: v_dual_and_b32 v7, 0x54442d18, v1
	v_and_b32_e32 v1, 0x400921fb, v1
	v_add_f64 v[45:46], v[51:52], v[49:50]
	v_fma_f64 v[47:48], v[43:44], v[47:48], s[68:69]
	v_mul_f64 v[55:56], v[53:54], s[44:45]
	s_delay_alu instid0(VALU_DEP_3) | instskip(NEXT) | instid1(VALU_DEP_3)
	v_add_f64 v[37:38], v[45:46], -v[51:52]
	v_fma_f64 v[47:48], v[43:44], v[47:48], s[70:71]
	s_delay_alu instid0(VALU_DEP_3) | instskip(NEXT) | instid1(VALU_DEP_3)
	v_fma_f64 v[51:52], v[53:54], s[44:45], -v[55:56]
	v_add_f64 v[37:38], v[49:50], -v[37:38]
	s_delay_alu instid0(VALU_DEP_3) | instskip(NEXT) | instid1(VALU_DEP_3)
	v_fma_f64 v[47:48], v[43:44], v[47:48], s[72:73]
	v_fma_f64 v[49:50], v[53:54], s[46:47], v[51:52]
	s_delay_alu instid0(VALU_DEP_3) | instskip(NEXT) | instid1(VALU_DEP_3)
	v_add_f64 v[35:36], v[35:36], v[37:38]
	v_fma_f64 v[37:38], v[43:44], v[47:48], s[74:75]
	s_delay_alu instid0(VALU_DEP_3) | instskip(NEXT) | instid1(VALU_DEP_3)
	v_add_f64 v[47:48], v[55:56], v[49:50]
	v_add_f64 v[51:52], v[45:46], v[35:36]
	s_delay_alu instid0(VALU_DEP_3) | instskip(NEXT) | instid1(VALU_DEP_3)
	v_fma_f64 v[37:38], v[43:44], v[37:38], s[76:77]
	v_add_f64 v[55:56], v[47:48], -v[55:56]
	s_delay_alu instid0(VALU_DEP_3) | instskip(NEXT) | instid1(VALU_DEP_3)
	v_add_f64 v[53:54], v[47:48], v[51:52]
	v_fma_f64 v[37:38], v[43:44], v[37:38], s[78:79]
	v_add_f64 v[45:46], v[51:52], -v[45:46]
	s_delay_alu instid0(VALU_DEP_4) | instskip(NEXT) | instid1(VALU_DEP_4)
	v_add_f64 v[49:50], v[49:50], -v[55:56]
	v_add_f64 v[57:58], v[53:54], -v[47:48]
	s_delay_alu instid0(VALU_DEP_4) | instskip(NEXT) | instid1(VALU_DEP_4)
	v_fma_f64 v[37:38], v[43:44], v[37:38], s[80:81]
	v_add_f64 v[35:36], v[35:36], -v[45:46]
	s_delay_alu instid0(VALU_DEP_3) | instskip(NEXT) | instid1(VALU_DEP_3)
	v_add_f64 v[61:62], v[53:54], -v[57:58]
	v_fma_f64 v[37:38], v[43:44], v[37:38], s[82:83]
	v_add_f64 v[45:46], v[51:52], -v[57:58]
	s_delay_alu instid0(VALU_DEP_4) | instskip(NEXT) | instid1(VALU_DEP_4)
	v_add_f64 v[51:52], v[49:50], v[35:36]
	v_add_f64 v[47:48], v[47:48], -v[61:62]
	s_delay_alu instid0(VALU_DEP_4) | instskip(NEXT) | instid1(VALU_DEP_2)
	v_fma_f64 v[37:38], v[43:44], v[37:38], s[84:85]
	v_add_f64 v[45:46], v[45:46], v[47:48]
	s_delay_alu instid0(VALU_DEP_2) | instskip(SKIP_1) | instid1(VALU_DEP_3)
	v_fma_f64 v[37:38], v[43:44], v[37:38], s[86:87]
	v_add_f64 v[47:48], v[51:52], -v[49:50]
	v_add_f64 v[45:46], v[51:52], v[45:46]
	s_delay_alu instid0(VALU_DEP_3) | instskip(NEXT) | instid1(VALU_DEP_3)
	v_mul_f64 v[37:38], v[43:44], v[37:38]
	v_add_f64 v[43:44], v[51:52], -v[47:48]
	v_add_f64 v[35:36], v[35:36], -v[47:48]
	s_delay_alu instid0(VALU_DEP_4) | instskip(NEXT) | instid1(VALU_DEP_4)
	v_add_f64 v[51:52], v[53:54], v[45:46]
	v_fma_f64 v[9:10], v[9:10], v[37:38], v[9:10]
	s_delay_alu instid0(VALU_DEP_4) | instskip(NEXT) | instid1(VALU_DEP_3)
	v_add_f64 v[37:38], v[49:50], -v[43:44]
	v_add_f64 v[43:44], v[51:52], -v[53:54]
	s_delay_alu instid0(VALU_DEP_3) | instskip(NEXT) | instid1(VALU_DEP_3)
	v_add_f64 v[47:48], -v[9:10], s[88:89]
	v_add_f64 v[35:36], v[35:36], v[37:38]
	s_delay_alu instid0(VALU_DEP_3) | instskip(NEXT) | instid1(VALU_DEP_3)
	v_add_f64 v[37:38], v[45:46], -v[43:44]
	v_cndmask_b32_e64 v10, v10, v48, s6
	s_delay_alu instid0(VALU_DEP_4) | instskip(NEXT) | instid1(VALU_DEP_3)
	v_cndmask_b32_e64 v9, v9, v47, s6
	v_add_f64 v[35:36], v[35:36], v[37:38]
	s_delay_alu instid0(VALU_DEP_2) | instskip(NEXT) | instid1(VALU_DEP_2)
	v_add_f64 v[37:38], -v[9:10], s[16:17]
	v_add_f64 v[35:36], v[51:52], v[35:36]
	s_delay_alu instid0(VALU_DEP_2) | instskip(SKIP_1) | instid1(VALU_DEP_2)
	v_dual_cndmask_b32 v9, v9, v37 :: v_dual_cndmask_b32 v10, v10, v38
	v_cmp_ngt_f64_e32 vcc_lo, 0, v[41:42]
	v_cndmask_b32_e64 v7, v9, v7, s8
	s_delay_alu instid0(VALU_DEP_3) | instskip(SKIP_3) | instid1(VALU_DEP_3)
	v_cndmask_b32_e64 v1, v10, v1, s8
	v_cndmask_b32_e64 v15, v36, v40, s7
	;; [unrolled: 1-line block ×3, first 2 shown]
	v_cmp_nge_f64_e64 s7, 0, v[41:42]
	v_cndmask_b32_e64 v15, v15, 0x7ff00000, s12
	s_delay_alu instid0(VALU_DEP_3) | instskip(NEXT) | instid1(VALU_DEP_2)
	v_cndmask_b32_e64 v9, v18, 0, s12
	v_cndmask_b32_e32 v10, 0x7ff80000, v15, vcc_lo
	s_and_b32 vcc_lo, s11, s10
	v_dual_cndmask_b32 v36, v1, v11 :: v_dual_cndmask_b32 v35, v7, v2
	s_delay_alu instid0(VALU_DEP_3) | instskip(SKIP_1) | instid1(VALU_DEP_1)
	v_cndmask_b32_e64 v9, 0, v9, s7
	v_cmp_neq_f64_e64 s7, 0, v[41:42]
	v_cndmask_b32_e64 v10, 0xfff00000, v10, s7
.LBB186_136:                            ;   in Loop: Header=BB186_4 Depth=1
	s_or_b32 exec_lo, exec_lo, s9
                                        ; implicit-def: $vgpr39_vgpr40
.LBB186_137:                            ;   in Loop: Header=BB186_4 Depth=1
	s_and_not1_saveexec_b32 s9, s23
	s_cbranch_execz .LBB186_143
; %bb.138:                              ;   in Loop: Header=BB186_4 Depth=1
	s_mov_b32 s10, 0x6a3f9475
	s_mov_b32 s11, 0x20ca2fe7
                                        ; implicit-def: $vgpr9_vgpr10
                                        ; implicit-def: $vgpr35_vgpr36
	s_mov_b32 s7, exec_lo
	v_cmpx_ngt_f64_e32 s[10:11], v[39:40]
	s_xor_b32 s10, exec_lo, s7
	s_cbranch_execz .LBB186_140
; %bb.139:                              ;   in Loop: Header=BB186_4 Depth=1
	v_mul_f64 v[9:10], v[39:40], v[39:40]
	s_mov_b32 s101, s27
	s_mov_b32 s16, s88
	v_cmp_eq_f64_e64 s8, 0, v[3:4]
	v_cmp_class_f64_e64 s11, v[3:4], 0x204
	v_cmp_class_f64_e64 s12, v[1:2], 0x204
	v_cmp_gt_i32_e64 s7, 0, v2
	v_add_f64 v[35:36], v[9:10], 1.0
	s_delay_alu instid0(VALU_DEP_1) | instskip(SKIP_2) | instid1(VALU_DEP_3)
	v_frexp_mant_f64_e32 v[37:38], v[35:36]
	v_frexp_exp_i32_f64_e32 v7, v[35:36]
	v_add_f64 v[39:40], v[35:36], -1.0
	v_cmp_gt_f64_e32 vcc_lo, s[26:27], v[37:38]
	s_delay_alu instid0(VALU_DEP_2) | instskip(SKIP_2) | instid1(VALU_DEP_3)
	v_add_f64 v[37:38], v[39:40], -v[35:36]
	v_add_f64 v[39:40], v[9:10], -v[39:40]
	v_subrev_co_ci_u32_e32 v7, vcc_lo, 0, v7, vcc_lo
	v_add_f64 v[37:38], v[37:38], 1.0
	s_delay_alu instid0(VALU_DEP_2) | instskip(NEXT) | instid1(VALU_DEP_1)
	v_sub_nc_u32_e32 v11, 0, v7
	v_ldexp_f64 v[35:36], v[35:36], v11
	s_delay_alu instid0(VALU_DEP_3) | instskip(NEXT) | instid1(VALU_DEP_2)
	v_add_f64 v[37:38], v[39:40], v[37:38]
	v_add_f64 v[41:42], v[35:36], 1.0
	v_add_f64 v[47:48], v[35:36], -1.0
	s_delay_alu instid0(VALU_DEP_3) | instskip(SKIP_1) | instid1(VALU_DEP_4)
	v_ldexp_f64 v[37:38], v[37:38], v11
	v_cndmask_b32_e64 v11, 0x54442d18, v59, s7
	v_add_f64 v[39:40], v[41:42], -1.0
	s_delay_alu instid0(VALU_DEP_4) | instskip(NEXT) | instid1(VALU_DEP_2)
	v_add_f64 v[49:50], v[47:48], 1.0
	v_add_f64 v[39:40], v[35:36], -v[39:40]
	s_delay_alu instid0(VALU_DEP_2) | instskip(NEXT) | instid1(VALU_DEP_2)
	v_add_f64 v[35:36], v[35:36], -v[49:50]
	v_add_f64 v[39:40], v[37:38], v[39:40]
	s_delay_alu instid0(VALU_DEP_2) | instskip(NEXT) | instid1(VALU_DEP_2)
	v_add_f64 v[35:36], v[37:38], v[35:36]
	v_add_f64 v[43:44], v[41:42], v[39:40]
	s_delay_alu instid0(VALU_DEP_2) | instskip(NEXT) | instid1(VALU_DEP_2)
	v_add_f64 v[49:50], v[47:48], v[35:36]
	v_rcp_f64_e32 v[45:46], v[43:44]
	v_add_f64 v[41:42], v[41:42], -v[43:44]
	s_delay_alu instid0(VALU_DEP_2) | instskip(NEXT) | instid1(VALU_DEP_2)
	v_add_f64 v[47:48], v[47:48], -v[49:50]
	v_add_f64 v[39:40], v[39:40], v[41:42]
	s_waitcnt_depctr 0xfff
	v_fma_f64 v[51:52], -v[43:44], v[45:46], 1.0
	v_add_f64 v[35:36], v[35:36], v[47:48]
	s_delay_alu instid0(VALU_DEP_2) | instskip(NEXT) | instid1(VALU_DEP_1)
	v_fma_f64 v[45:46], v[51:52], v[45:46], v[45:46]
	v_fma_f64 v[37:38], -v[43:44], v[45:46], 1.0
	s_delay_alu instid0(VALU_DEP_1) | instskip(NEXT) | instid1(VALU_DEP_1)
	v_fma_f64 v[37:38], v[37:38], v[45:46], v[45:46]
	v_mul_f64 v[45:46], v[49:50], v[37:38]
	s_delay_alu instid0(VALU_DEP_1) | instskip(NEXT) | instid1(VALU_DEP_1)
	v_mul_f64 v[51:52], v[43:44], v[45:46]
	v_fma_f64 v[41:42], v[45:46], v[43:44], -v[51:52]
	s_delay_alu instid0(VALU_DEP_1) | instskip(NEXT) | instid1(VALU_DEP_1)
	v_fma_f64 v[41:42], v[45:46], v[39:40], v[41:42]
	v_add_f64 v[53:54], v[51:52], v[41:42]
	s_delay_alu instid0(VALU_DEP_1) | instskip(SKIP_2) | instid1(VALU_DEP_3)
	v_add_f64 v[55:56], v[49:50], -v[53:54]
	v_add_f64 v[47:48], v[53:54], -v[51:52]
	v_max_f64 v[51:52], |v[3:4]|, |v[3:4]|
	v_add_f64 v[49:50], v[49:50], -v[55:56]
	s_delay_alu instid0(VALU_DEP_3) | instskip(NEXT) | instid1(VALU_DEP_2)
	v_add_f64 v[41:42], v[47:48], -v[41:42]
	v_add_f64 v[49:50], v[49:50], -v[53:54]
	v_max_f64 v[53:54], |v[1:2]|, |v[1:2]|
	s_delay_alu instid0(VALU_DEP_2) | instskip(NEXT) | instid1(VALU_DEP_2)
	v_add_f64 v[35:36], v[35:36], v[49:50]
	v_max_f64 v[57:58], v[53:54], v[51:52]
	v_min_f64 v[51:52], v[53:54], v[51:52]
	s_delay_alu instid0(VALU_DEP_3) | instskip(NEXT) | instid1(VALU_DEP_1)
	v_add_f64 v[35:36], v[41:42], v[35:36]
	v_add_f64 v[41:42], v[55:56], v[35:36]
	s_delay_alu instid0(VALU_DEP_1) | instskip(SKIP_1) | instid1(VALU_DEP_2)
	v_mul_f64 v[47:48], v[37:38], v[41:42]
	v_add_f64 v[55:56], v[55:56], -v[41:42]
	v_mul_f64 v[49:50], v[43:44], v[47:48]
	s_delay_alu instid0(VALU_DEP_2) | instskip(NEXT) | instid1(VALU_DEP_2)
	v_add_f64 v[35:36], v[35:36], v[55:56]
	v_fma_f64 v[43:44], v[47:48], v[43:44], -v[49:50]
	s_delay_alu instid0(VALU_DEP_1) | instskip(SKIP_1) | instid1(VALU_DEP_2)
	v_fma_f64 v[39:40], v[47:48], v[39:40], v[43:44]
	v_div_scale_f64 v[43:44], null, v[57:58], v[57:58], v[51:52]
	v_add_f64 v[53:54], v[49:50], v[39:40]
	s_delay_alu instid0(VALU_DEP_2) | instskip(NEXT) | instid1(VALU_DEP_1)
	v_rcp_f64_e32 v[61:62], v[43:44]
	v_add_f64 v[63:64], v[41:42], -v[53:54]
	v_add_f64 v[49:50], v[53:54], -v[49:50]
	s_waitcnt_depctr 0xfff
	v_fma_f64 v[65:66], -v[43:44], v[61:62], 1.0
	v_add_f64 v[41:42], v[41:42], -v[63:64]
	v_add_f64 v[39:40], v[49:50], -v[39:40]
	s_delay_alu instid0(VALU_DEP_3) | instskip(NEXT) | instid1(VALU_DEP_3)
	v_fma_f64 v[61:62], v[61:62], v[65:66], v[61:62]
	v_add_f64 v[41:42], v[41:42], -v[53:54]
	s_delay_alu instid0(VALU_DEP_2) | instskip(NEXT) | instid1(VALU_DEP_2)
	v_fma_f64 v[53:54], -v[43:44], v[61:62], 1.0
	v_add_f64 v[35:36], v[35:36], v[41:42]
	v_div_scale_f64 v[41:42], vcc_lo, v[51:52], v[57:58], v[51:52]
	s_delay_alu instid0(VALU_DEP_3) | instskip(SKIP_1) | instid1(VALU_DEP_4)
	v_fma_f64 v[49:50], v[61:62], v[53:54], v[61:62]
	v_add_f64 v[53:54], v[45:46], v[47:48]
	v_add_f64 v[35:36], v[39:40], v[35:36]
	s_delay_alu instid0(VALU_DEP_3) | instskip(NEXT) | instid1(VALU_DEP_3)
	v_mul_f64 v[39:40], v[41:42], v[49:50]
	v_add_f64 v[45:46], v[53:54], -v[45:46]
	s_delay_alu instid0(VALU_DEP_3) | instskip(NEXT) | instid1(VALU_DEP_3)
	v_add_f64 v[35:36], v[63:64], v[35:36]
	v_fma_f64 v[41:42], -v[43:44], v[39:40], v[41:42]
	s_delay_alu instid0(VALU_DEP_3) | instskip(NEXT) | instid1(VALU_DEP_3)
	v_add_f64 v[43:44], v[47:48], -v[45:46]
	v_mul_f64 v[35:36], v[37:38], v[35:36]
	s_delay_alu instid0(VALU_DEP_3) | instskip(SKIP_1) | instid1(VALU_DEP_3)
	v_div_fmas_f64 v[37:38], v[41:42], v[49:50], v[39:40]
	v_cmp_eq_f64_e32 vcc_lo, 0x7ff00000, v[9:10]
	v_add_f64 v[35:36], v[43:44], v[35:36]
	s_delay_alu instid0(VALU_DEP_3) | instskip(NEXT) | instid1(VALU_DEP_2)
	v_div_fixup_f64 v[37:38], v[37:38], v[57:58], v[51:52]
	v_add_f64 v[39:40], v[53:54], v[35:36]
	s_delay_alu instid0(VALU_DEP_2) | instskip(NEXT) | instid1(VALU_DEP_2)
	v_mul_f64 v[41:42], v[37:38], v[37:38]
	v_mul_f64 v[43:44], v[39:40], v[39:40]
	s_delay_alu instid0(VALU_DEP_2) | instskip(NEXT) | instid1(VALU_DEP_2)
	v_fma_f64 v[45:46], v[41:42], s[50:51], s[48:49]
	v_fma_f64 v[47:48], v[43:44], s[30:31], s[28:29]
	v_mul_f64 v[49:50], v[39:40], v[43:44]
	s_delay_alu instid0(VALU_DEP_3) | instskip(NEXT) | instid1(VALU_DEP_3)
	v_fma_f64 v[45:46], v[41:42], v[45:46], s[52:53]
	v_fma_f64 v[47:48], v[43:44], v[47:48], s[36:37]
	s_delay_alu instid0(VALU_DEP_2) | instskip(NEXT) | instid1(VALU_DEP_2)
	v_fma_f64 v[45:46], v[41:42], v[45:46], s[54:55]
	v_fma_f64 v[47:48], v[43:44], v[47:48], s[38:39]
	s_delay_alu instid0(VALU_DEP_2) | instskip(NEXT) | instid1(VALU_DEP_2)
	;; [unrolled: 3-line block ×4, first 2 shown]
	v_fma_f64 v[45:46], v[41:42], v[45:46], s[60:61]
	v_fma_f64 v[43:44], v[43:44], v[47:48], s[100:101]
	v_ldexp_f64 v[47:48], v[39:40], 1
	v_add_f64 v[39:40], v[39:40], -v[53:54]
	s_delay_alu instid0(VALU_DEP_4) | instskip(NEXT) | instid1(VALU_DEP_4)
	v_fma_f64 v[45:46], v[41:42], v[45:46], s[62:63]
	v_mul_f64 v[43:44], v[49:50], v[43:44]
	v_cvt_f64_i32_e32 v[49:50], v7
	s_delay_alu instid0(VALU_DEP_4) | instskip(NEXT) | instid1(VALU_DEP_4)
	v_add_f64 v[35:36], v[35:36], -v[39:40]
	v_fma_f64 v[45:46], v[41:42], v[45:46], s[64:65]
	v_ashrrev_i32_e32 v7, 31, v2
	v_add_f64 v[51:52], v[47:48], v[43:44]
	v_mul_f64 v[53:54], v[49:50], s[44:45]
	v_ldexp_f64 v[35:36], v[35:36], 1
	v_fma_f64 v[45:46], v[41:42], v[45:46], s[66:67]
	s_delay_alu instid0(VALU_DEP_4) | instskip(NEXT) | instid1(VALU_DEP_4)
	v_add_f64 v[39:40], v[51:52], -v[47:48]
	v_fma_f64 v[47:48], v[49:50], s[44:45], -v[53:54]
	s_delay_alu instid0(VALU_DEP_3) | instskip(NEXT) | instid1(VALU_DEP_3)
	v_fma_f64 v[45:46], v[41:42], v[45:46], s[68:69]
	v_add_f64 v[39:40], v[43:44], -v[39:40]
	s_delay_alu instid0(VALU_DEP_2) | instskip(NEXT) | instid1(VALU_DEP_4)
	v_fma_f64 v[43:44], v[41:42], v[45:46], s[70:71]
	v_fma_f64 v[45:46], v[49:50], s[46:47], v[47:48]
	s_delay_alu instid0(VALU_DEP_3) | instskip(NEXT) | instid1(VALU_DEP_3)
	v_add_f64 v[35:36], v[35:36], v[39:40]
	v_fma_f64 v[39:40], v[41:42], v[43:44], s[72:73]
	s_delay_alu instid0(VALU_DEP_3) | instskip(NEXT) | instid1(VALU_DEP_3)
	v_add_f64 v[43:44], v[53:54], v[45:46]
	v_add_f64 v[47:48], v[51:52], v[35:36]
	s_delay_alu instid0(VALU_DEP_3) | instskip(NEXT) | instid1(VALU_DEP_3)
	v_fma_f64 v[39:40], v[41:42], v[39:40], s[74:75]
	v_add_f64 v[53:54], v[43:44], -v[53:54]
	s_delay_alu instid0(VALU_DEP_3) | instskip(SKIP_1) | instid1(VALU_DEP_4)
	v_add_f64 v[49:50], v[43:44], v[47:48]
	v_add_f64 v[51:52], v[47:48], -v[51:52]
	v_fma_f64 v[39:40], v[41:42], v[39:40], s[76:77]
	s_delay_alu instid0(VALU_DEP_4) | instskip(NEXT) | instid1(VALU_DEP_4)
	v_add_f64 v[45:46], v[45:46], -v[53:54]
	v_add_f64 v[55:56], v[49:50], -v[43:44]
	s_delay_alu instid0(VALU_DEP_4) | instskip(NEXT) | instid1(VALU_DEP_4)
	v_add_f64 v[35:36], v[35:36], -v[51:52]
	v_fma_f64 v[39:40], v[41:42], v[39:40], s[78:79]
	s_delay_alu instid0(VALU_DEP_3) | instskip(SKIP_1) | instid1(VALU_DEP_4)
	v_add_f64 v[57:58], v[49:50], -v[55:56]
	v_add_f64 v[47:48], v[47:48], -v[55:56]
	v_add_f64 v[51:52], v[45:46], v[35:36]
	s_delay_alu instid0(VALU_DEP_4) | instskip(NEXT) | instid1(VALU_DEP_4)
	v_fma_f64 v[39:40], v[41:42], v[39:40], s[80:81]
	v_add_f64 v[43:44], v[43:44], -v[57:58]
	s_delay_alu instid0(VALU_DEP_2) | instskip(NEXT) | instid1(VALU_DEP_2)
	v_fma_f64 v[39:40], v[41:42], v[39:40], s[82:83]
	v_add_f64 v[43:44], v[47:48], v[43:44]
	v_add_f64 v[47:48], v[51:52], -v[45:46]
	s_delay_alu instid0(VALU_DEP_3) | instskip(NEXT) | instid1(VALU_DEP_3)
	v_fma_f64 v[39:40], v[41:42], v[39:40], s[84:85]
	v_add_f64 v[43:44], v[51:52], v[43:44]
	s_delay_alu instid0(VALU_DEP_3) | instskip(SKIP_1) | instid1(VALU_DEP_4)
	v_add_f64 v[51:52], v[51:52], -v[47:48]
	v_add_f64 v[35:36], v[35:36], -v[47:48]
	v_fma_f64 v[39:40], v[41:42], v[39:40], s[86:87]
	s_delay_alu instid0(VALU_DEP_4) | instskip(NEXT) | instid1(VALU_DEP_2)
	v_add_f64 v[53:54], v[49:50], v[43:44]
	v_mul_f64 v[39:40], v[41:42], v[39:40]
	v_add_f64 v[41:42], v[45:46], -v[51:52]
	s_delay_alu instid0(VALU_DEP_3) | instskip(NEXT) | instid1(VALU_DEP_3)
	v_add_f64 v[45:46], v[53:54], -v[49:50]
	v_fma_f64 v[37:38], v[37:38], v[39:40], v[37:38]
	s_delay_alu instid0(VALU_DEP_3) | instskip(NEXT) | instid1(VALU_DEP_3)
	v_add_f64 v[35:36], v[35:36], v[41:42]
	v_add_f64 v[39:40], v[43:44], -v[45:46]
	s_delay_alu instid0(VALU_DEP_3) | instskip(NEXT) | instid1(VALU_DEP_2)
	v_add_f64 v[41:42], -v[37:38], s[88:89]
	v_add_f64 v[35:36], v[35:36], v[39:40]
	s_delay_alu instid0(VALU_DEP_2) | instskip(NEXT) | instid1(VALU_DEP_3)
	v_cndmask_b32_e64 v38, v38, v42, s6
	v_cndmask_b32_e64 v37, v37, v41, s6
	s_delay_alu instid0(VALU_DEP_1) | instskip(NEXT) | instid1(VALU_DEP_4)
	v_add_f64 v[39:40], -v[37:38], s[16:17]
	v_add_f64 v[35:36], v[53:54], v[35:36]
	v_and_b32_e32 v15, 0x54442d18, v7
	s_delay_alu instid0(VALU_DEP_3) | instskip(NEXT) | instid1(VALU_DEP_3)
	v_cndmask_b32_e64 v18, v37, v39, s7
	v_dual_cndmask_b32 v2, v36, v10 :: v_dual_cndmask_b32 v1, v35, v9
	s_delay_alu instid0(VALU_DEP_2) | instskip(SKIP_1) | instid1(VALU_DEP_2)
	v_cndmask_b32_e64 v15, v18, v15, s8
	s_and_b32 vcc_lo, s11, s12
	v_mul_f64 v[9:10], v[1:2], 0.5
	v_and_b32_e32 v2, 0x400921fb, v7
	v_cndmask_b32_e64 v1, 0x3fe921fb, v60, s7
	v_cndmask_b32_e64 v7, v38, v40, s7
                                        ; implicit-def: $vgpr39_vgpr40
	v_cndmask_b32_e32 v35, v15, v11, vcc_lo
	s_delay_alu instid0(VALU_DEP_3) | instskip(NEXT) | instid1(VALU_DEP_3)
	v_bfi_b32 v1, 0x7fffffff, v1, v4
	v_cndmask_b32_e64 v2, v7, v2, s8
	s_delay_alu instid0(VALU_DEP_1)
	v_cndmask_b32_e32 v36, v2, v1, vcc_lo
.LBB186_140:                            ;   in Loop: Header=BB186_4 Depth=1
	s_and_not1_saveexec_b32 s8, s10
	s_cbranch_execz .LBB186_142
; %bb.141:                              ;   in Loop: Header=BB186_4 Depth=1
	v_max_f64 v[9:10], |v[3:4]|, |v[3:4]|
	v_max_f64 v[35:36], |v[1:2]|, |v[1:2]|
	s_mov_b32 s16, s88
	v_cmp_eq_f64_e64 s7, 0, v[3:4]
	v_cmp_class_f64_e64 s10, v[3:4], 0x204
	v_cmp_class_f64_e64 s11, v[1:2], 0x204
	v_ashrrev_i32_e32 v7, 31, v2
	v_max_f64 v[37:38], v[35:36], v[9:10]
	v_min_f64 v[9:10], v[35:36], v[9:10]
	s_delay_alu instid0(VALU_DEP_1) | instskip(SKIP_1) | instid1(VALU_DEP_2)
	v_div_scale_f64 v[35:36], null, v[37:38], v[37:38], v[9:10]
	v_div_scale_f64 v[45:46], vcc_lo, v[9:10], v[37:38], v[9:10]
	v_rcp_f64_e32 v[41:42], v[35:36]
	s_waitcnt_depctr 0xfff
	v_fma_f64 v[43:44], -v[35:36], v[41:42], 1.0
	s_delay_alu instid0(VALU_DEP_1) | instskip(NEXT) | instid1(VALU_DEP_1)
	v_fma_f64 v[41:42], v[41:42], v[43:44], v[41:42]
	v_fma_f64 v[43:44], -v[35:36], v[41:42], 1.0
	s_delay_alu instid0(VALU_DEP_1) | instskip(NEXT) | instid1(VALU_DEP_1)
	v_fma_f64 v[41:42], v[41:42], v[43:44], v[41:42]
	v_mul_f64 v[43:44], v[45:46], v[41:42]
	s_delay_alu instid0(VALU_DEP_1) | instskip(NEXT) | instid1(VALU_DEP_1)
	v_fma_f64 v[35:36], -v[35:36], v[43:44], v[45:46]
	v_div_fmas_f64 v[35:36], v[35:36], v[41:42], v[43:44]
	v_cmp_gt_i32_e32 vcc_lo, 0, v2
	v_and_b32_e32 v2, 0x400921fb, v7
	v_cndmask_b32_e32 v1, 0x3fe921fb, v60, vcc_lo
	v_cndmask_b32_e32 v15, 0x54442d18, v59, vcc_lo
	s_delay_alu instid0(VALU_DEP_2) | instskip(SKIP_1) | instid1(VALU_DEP_1)
	v_bfi_b32 v1, 0x7fffffff, v1, v4
	v_div_fixup_f64 v[9:10], v[35:36], v[37:38], v[9:10]
	v_mul_f64 v[35:36], v[9:10], v[9:10]
	s_delay_alu instid0(VALU_DEP_1) | instskip(NEXT) | instid1(VALU_DEP_1)
	v_fma_f64 v[37:38], v[35:36], s[50:51], s[48:49]
	v_fma_f64 v[37:38], v[35:36], v[37:38], s[52:53]
	s_delay_alu instid0(VALU_DEP_1) | instskip(NEXT) | instid1(VALU_DEP_1)
	v_fma_f64 v[37:38], v[35:36], v[37:38], s[54:55]
	v_fma_f64 v[37:38], v[35:36], v[37:38], s[56:57]
	;; [unrolled: 3-line block ×9, first 2 shown]
	s_delay_alu instid0(VALU_DEP_1) | instskip(NEXT) | instid1(VALU_DEP_1)
	v_fma_f64 v[37:38], v[35:36], v[37:38], s[86:87]
	v_mul_f64 v[35:36], v[35:36], v[37:38]
	v_mul_f64 v[37:38], v[39:40], 0.5
	s_delay_alu instid0(VALU_DEP_2) | instskip(NEXT) | instid1(VALU_DEP_1)
	v_fma_f64 v[9:10], v[9:10], v[35:36], v[9:10]
	v_add_f64 v[35:36], -v[9:10], s[88:89]
	s_delay_alu instid0(VALU_DEP_1) | instskip(NEXT) | instid1(VALU_DEP_2)
	v_cndmask_b32_e64 v11, v10, v36, s6
	v_cndmask_b32_e64 v10, v9, v35, s6
	s_delay_alu instid0(VALU_DEP_1) | instskip(NEXT) | instid1(VALU_DEP_1)
	v_add_f64 v[35:36], -v[10:11], s[16:17]
	v_dual_cndmask_b32 v7, v11, v36 :: v_dual_and_b32 v18, 0x54442d18, v7
	s_delay_alu instid0(VALU_DEP_2) | instskip(SKIP_2) | instid1(VALU_DEP_3)
	v_cndmask_b32_e32 v35, v10, v35, vcc_lo
	v_mul_f64 v[9:10], v[39:40], v[37:38]
	s_and_b32 vcc_lo, s10, s11
	v_cndmask_b32_e64 v2, v7, v2, s7
	s_delay_alu instid0(VALU_DEP_3) | instskip(NEXT) | instid1(VALU_DEP_1)
	v_cndmask_b32_e64 v11, v35, v18, s7
	v_dual_cndmask_b32 v36, v2, v1 :: v_dual_cndmask_b32 v35, v11, v15
.LBB186_142:                            ;   in Loop: Header=BB186_4 Depth=1
	s_or_b32 exec_lo, exec_lo, s8
.LBB186_143:                            ;   in Loop: Header=BB186_4 Depth=1
	s_delay_alu instid0(SALU_CYCLE_1)
	s_or_b32 exec_lo, exec_lo, s9
.LBB186_144:                            ;   in Loop: Header=BB186_4 Depth=1
	s_and_not1_saveexec_b32 s9, s22
	s_cbranch_execz .LBB186_146
; %bb.145:                              ;   in Loop: Header=BB186_4 Depth=1
	v_div_scale_f64 v[9:10], null, s[94:95], s[94:95], v[1:2]
	v_div_scale_f64 v[35:36], null, s[94:95], s[94:95], v[3:4]
	v_div_scale_f64 v[45:46], vcc_lo, v[1:2], s[94:95], v[1:2]
	v_max_f64 v[49:50], |v[1:2]|, |v[1:2]|
	s_mov_b32 s101, s27
	s_mov_b32 s16, s88
	s_delay_alu instid0(VALU_DEP_4) | instskip(NEXT) | instid1(VALU_DEP_3)
	v_rcp_f64_e32 v[37:38], v[9:10]
	v_rcp_f64_e32 v[39:40], v[35:36]
	s_waitcnt_depctr 0xfff
	v_fma_f64 v[41:42], -v[9:10], v[37:38], 1.0
	v_fma_f64 v[43:44], -v[35:36], v[39:40], 1.0
	s_delay_alu instid0(VALU_DEP_2) | instskip(NEXT) | instid1(VALU_DEP_2)
	v_fma_f64 v[37:38], v[37:38], v[41:42], v[37:38]
	v_fma_f64 v[39:40], v[39:40], v[43:44], v[39:40]
	s_delay_alu instid0(VALU_DEP_2) | instskip(NEXT) | instid1(VALU_DEP_2)
	v_fma_f64 v[41:42], -v[9:10], v[37:38], 1.0
	v_fma_f64 v[43:44], -v[35:36], v[39:40], 1.0
	s_delay_alu instid0(VALU_DEP_2) | instskip(SKIP_1) | instid1(VALU_DEP_3)
	v_fma_f64 v[37:38], v[37:38], v[41:42], v[37:38]
	v_div_scale_f64 v[41:42], s7, v[3:4], s[94:95], v[3:4]
	v_fma_f64 v[39:40], v[39:40], v[43:44], v[39:40]
	s_delay_alu instid0(VALU_DEP_3) | instskip(NEXT) | instid1(VALU_DEP_2)
	v_mul_f64 v[43:44], v[45:46], v[37:38]
	v_mul_f64 v[47:48], v[41:42], v[39:40]
	s_delay_alu instid0(VALU_DEP_2) | instskip(NEXT) | instid1(VALU_DEP_2)
	v_fma_f64 v[9:10], -v[9:10], v[43:44], v[45:46]
	v_fma_f64 v[35:36], -v[35:36], v[47:48], v[41:42]
	s_delay_alu instid0(VALU_DEP_2) | instskip(SKIP_1) | instid1(VALU_DEP_2)
	v_div_fmas_f64 v[9:10], v[9:10], v[37:38], v[43:44]
	s_mov_b32 vcc_lo, s7
	v_div_fmas_f64 v[35:36], v[35:36], v[39:40], v[47:48]
	s_delay_alu instid0(VALU_DEP_2) | instskip(NEXT) | instid1(VALU_DEP_2)
	v_div_fixup_f64 v[9:10], v[9:10], s[94:95], v[1:2]
	v_div_fixup_f64 v[35:36], v[35:36], s[94:95], v[3:4]
	s_delay_alu instid0(VALU_DEP_2) | instskip(NEXT) | instid1(VALU_DEP_2)
	v_cmp_class_f64_e64 s8, v[9:10], 0x204
	v_max_f64 v[37:38], |v[9:10]|, |v[35:36]|
	v_cmp_o_f64_e64 s7, v[9:10], v[35:36]
	v_cmp_class_f64_e64 s10, v[35:36], 0x204
	s_delay_alu instid0(VALU_DEP_3) | instskip(NEXT) | instid1(VALU_DEP_2)
	v_frexp_exp_i32_f64_e32 v7, v[37:38]
	s_or_b32 s10, s10, s8
	s_delay_alu instid0(VALU_DEP_1) | instskip(NEXT) | instid1(VALU_DEP_1)
	v_sub_nc_u32_e32 v11, 0, v7
	v_ldexp_f64 v[37:38], |v[35:36]|, v11
	v_ldexp_f64 v[39:40], |v[9:10]|, v11
	s_delay_alu instid0(VALU_DEP_2) | instskip(NEXT) | instid1(VALU_DEP_1)
	v_mul_f64 v[37:38], v[37:38], v[37:38]
	v_fma_f64 v[37:38], v[39:40], v[39:40], v[37:38]
	s_delay_alu instid0(VALU_DEP_1) | instskip(SKIP_4) | instid1(VALU_DEP_1)
	v_rsq_f64_e32 v[39:40], v[37:38]
	v_cmp_eq_f64_e32 vcc_lo, 0, v[37:38]
	s_waitcnt_depctr 0xfff
	v_mul_f64 v[41:42], v[37:38], v[39:40]
	v_mul_f64 v[39:40], v[39:40], 0.5
	v_fma_f64 v[43:44], -v[39:40], v[41:42], 0.5
	s_delay_alu instid0(VALU_DEP_1) | instskip(SKIP_1) | instid1(VALU_DEP_2)
	v_fma_f64 v[41:42], v[41:42], v[43:44], v[41:42]
	v_fma_f64 v[39:40], v[39:40], v[43:44], v[39:40]
	v_fma_f64 v[43:44], -v[41:42], v[41:42], v[37:38]
	s_delay_alu instid0(VALU_DEP_1) | instskip(NEXT) | instid1(VALU_DEP_1)
	v_fma_f64 v[39:40], v[43:44], v[39:40], v[41:42]
	v_dual_cndmask_b32 v38, v40, v38 :: v_dual_cndmask_b32 v37, v39, v37
	s_delay_alu instid0(VALU_DEP_1) | instskip(NEXT) | instid1(VALU_DEP_1)
	v_ldexp_f64 v[37:38], v[37:38], v7
	v_cndmask_b32_e64 v7, 0, v37, s7
	s_delay_alu instid0(VALU_DEP_2) | instskip(NEXT) | instid1(VALU_DEP_2)
	v_cndmask_b32_e64 v9, 0x7ff80000, v38, s7
	v_cndmask_b32_e64 v10, v7, 0, s10
	s_delay_alu instid0(VALU_DEP_2) | instskip(NEXT) | instid1(VALU_DEP_1)
	v_cndmask_b32_e64 v11, v9, 0x7ff00000, s10
	v_frexp_mant_f64_e32 v[35:36], v[10:11]
	v_frexp_exp_i32_f64_e32 v15, v[10:11]
	s_delay_alu instid0(VALU_DEP_2) | instskip(NEXT) | instid1(VALU_DEP_1)
	v_cmp_gt_f64_e64 s8, s[26:27], v[35:36]
	v_cndmask_b32_e64 v18, 0x3ff00000, 2.0, s8
	s_delay_alu instid0(VALU_DEP_1) | instskip(NEXT) | instid1(VALU_DEP_1)
	v_mul_f64 v[35:36], v[35:36], v[17:18]
	v_add_f64 v[39:40], v[35:36], 1.0
	v_add_f64 v[45:46], v[35:36], -1.0
	s_delay_alu instid0(VALU_DEP_2) | instskip(SKIP_1) | instid1(VALU_DEP_1)
	v_rcp_f64_e32 v[41:42], v[39:40]
	v_add_f64 v[51:52], v[39:40], -1.0
	v_add_f64 v[35:36], v[35:36], -v[51:52]
	s_waitcnt_depctr 0xfff
	v_fma_f64 v[43:44], -v[39:40], v[41:42], 1.0
	s_delay_alu instid0(VALU_DEP_1) | instskip(NEXT) | instid1(VALU_DEP_1)
	v_fma_f64 v[41:42], v[43:44], v[41:42], v[41:42]
	v_fma_f64 v[43:44], -v[39:40], v[41:42], 1.0
	s_delay_alu instid0(VALU_DEP_1) | instskip(SKIP_1) | instid1(VALU_DEP_2)
	v_fma_f64 v[41:42], v[43:44], v[41:42], v[41:42]
	v_max_f64 v[43:44], |v[3:4]|, |v[3:4]|
	v_mul_f64 v[47:48], v[45:46], v[41:42]
	s_delay_alu instid0(VALU_DEP_2) | instskip(SKIP_1) | instid1(VALU_DEP_3)
	v_max_f64 v[55:56], v[49:50], v[43:44]
	v_min_f64 v[43:44], v[49:50], v[43:44]
	v_mul_f64 v[53:54], v[39:40], v[47:48]
	s_delay_alu instid0(VALU_DEP_2) | instskip(NEXT) | instid1(VALU_DEP_2)
	v_div_scale_f64 v[49:50], null, v[55:56], v[55:56], v[43:44]
	v_fma_f64 v[39:40], v[47:48], v[39:40], -v[53:54]
	s_delay_alu instid0(VALU_DEP_1) | instskip(NEXT) | instid1(VALU_DEP_3)
	v_fma_f64 v[35:36], v[47:48], v[35:36], v[39:40]
	v_rcp_f64_e32 v[39:40], v[49:50]
	s_delay_alu instid0(VALU_DEP_1) | instskip(SKIP_4) | instid1(VALU_DEP_3)
	v_add_f64 v[51:52], v[53:54], v[35:36]
	s_waitcnt_depctr 0xfff
	v_fma_f64 v[57:58], -v[49:50], v[39:40], 1.0
	v_add_f64 v[61:62], v[45:46], -v[51:52]
	v_add_f64 v[53:54], v[51:52], -v[53:54]
	v_fma_f64 v[39:40], v[39:40], v[57:58], v[39:40]
	s_delay_alu instid0(VALU_DEP_3) | instskip(NEXT) | instid1(VALU_DEP_3)
	v_add_f64 v[45:46], v[45:46], -v[61:62]
	v_add_f64 v[35:36], v[53:54], -v[35:36]
	s_delay_alu instid0(VALU_DEP_3) | instskip(NEXT) | instid1(VALU_DEP_3)
	v_fma_f64 v[57:58], -v[49:50], v[39:40], 1.0
	v_add_f64 v[45:46], v[45:46], -v[51:52]
	v_div_scale_f64 v[51:52], vcc_lo, v[43:44], v[55:56], v[43:44]
	s_delay_alu instid0(VALU_DEP_3) | instskip(NEXT) | instid1(VALU_DEP_3)
	v_fma_f64 v[39:40], v[39:40], v[57:58], v[39:40]
	v_add_f64 v[35:36], v[35:36], v[45:46]
	s_delay_alu instid0(VALU_DEP_2) | instskip(NEXT) | instid1(VALU_DEP_2)
	v_mul_f64 v[45:46], v[51:52], v[39:40]
	v_add_f64 v[35:36], v[61:62], v[35:36]
	s_delay_alu instid0(VALU_DEP_2) | instskip(NEXT) | instid1(VALU_DEP_2)
	v_fma_f64 v[49:50], -v[49:50], v[45:46], v[51:52]
	v_mul_f64 v[35:36], v[41:42], v[35:36]
	s_delay_alu instid0(VALU_DEP_2) | instskip(SKIP_2) | instid1(VALU_DEP_4)
	v_div_fmas_f64 v[39:40], v[49:50], v[39:40], v[45:46]
	v_subrev_co_ci_u32_e64 v15, vcc_lo, 0, v15, s8
	v_cmp_class_f64_e64 s8, v[1:2], 0x204
	v_add_f64 v[41:42], v[47:48], v[35:36]
	s_delay_alu instid0(VALU_DEP_4) | instskip(NEXT) | instid1(VALU_DEP_2)
	v_div_fixup_f64 v[39:40], v[39:40], v[55:56], v[43:44]
	v_mul_f64 v[43:44], v[41:42], v[41:42]
	s_delay_alu instid0(VALU_DEP_2) | instskip(NEXT) | instid1(VALU_DEP_2)
	v_mul_f64 v[45:46], v[39:40], v[39:40]
	v_fma_f64 v[49:50], v[43:44], s[30:31], s[28:29]
	v_mul_f64 v[53:54], v[41:42], v[43:44]
	s_delay_alu instid0(VALU_DEP_3) | instskip(NEXT) | instid1(VALU_DEP_3)
	v_fma_f64 v[51:52], v[45:46], s[50:51], s[48:49]
	v_fma_f64 v[49:50], v[43:44], v[49:50], s[36:37]
	s_delay_alu instid0(VALU_DEP_2) | instskip(NEXT) | instid1(VALU_DEP_2)
	v_fma_f64 v[51:52], v[45:46], v[51:52], s[52:53]
	v_fma_f64 v[49:50], v[43:44], v[49:50], s[38:39]
	s_delay_alu instid0(VALU_DEP_2) | instskip(NEXT) | instid1(VALU_DEP_2)
	;; [unrolled: 3-line block ×4, first 2 shown]
	v_fma_f64 v[51:52], v[45:46], v[51:52], s[58:59]
	v_fma_f64 v[43:44], v[43:44], v[49:50], s[100:101]
	s_delay_alu instid0(VALU_DEP_2) | instskip(SKIP_2) | instid1(VALU_DEP_4)
	v_fma_f64 v[49:50], v[45:46], v[51:52], s[60:61]
	v_ldexp_f64 v[51:52], v[41:42], 1
	v_add_f64 v[41:42], v[41:42], -v[47:48]
	v_mul_f64 v[43:44], v[53:54], v[43:44]
	v_cvt_f64_i32_e32 v[53:54], v15
	v_ashrrev_i32_e32 v15, 31, v2
	v_fma_f64 v[49:50], v[45:46], v[49:50], s[62:63]
	v_add_f64 v[35:36], v[35:36], -v[41:42]
	v_add_f64 v[47:48], v[51:52], v[43:44]
	v_mul_f64 v[55:56], v[53:54], s[44:45]
	s_delay_alu instid0(VALU_DEP_4) | instskip(NEXT) | instid1(VALU_DEP_4)
	v_fma_f64 v[49:50], v[45:46], v[49:50], s[64:65]
	v_ldexp_f64 v[35:36], v[35:36], 1
	s_delay_alu instid0(VALU_DEP_4) | instskip(NEXT) | instid1(VALU_DEP_4)
	v_add_f64 v[41:42], v[47:48], -v[51:52]
	v_fma_f64 v[51:52], v[53:54], s[44:45], -v[55:56]
	s_delay_alu instid0(VALU_DEP_4) | instskip(NEXT) | instid1(VALU_DEP_3)
	v_fma_f64 v[49:50], v[45:46], v[49:50], s[66:67]
	v_add_f64 v[41:42], v[43:44], -v[41:42]
	s_delay_alu instid0(VALU_DEP_2) | instskip(NEXT) | instid1(VALU_DEP_4)
	v_fma_f64 v[43:44], v[45:46], v[49:50], s[68:69]
	v_fma_f64 v[49:50], v[53:54], s[46:47], v[51:52]
	s_delay_alu instid0(VALU_DEP_3) | instskip(NEXT) | instid1(VALU_DEP_3)
	v_add_f64 v[35:36], v[35:36], v[41:42]
	v_fma_f64 v[41:42], v[45:46], v[43:44], s[70:71]
	s_delay_alu instid0(VALU_DEP_3) | instskip(NEXT) | instid1(VALU_DEP_3)
	v_add_f64 v[43:44], v[55:56], v[49:50]
	v_add_f64 v[51:52], v[47:48], v[35:36]
	s_delay_alu instid0(VALU_DEP_3) | instskip(NEXT) | instid1(VALU_DEP_3)
	v_fma_f64 v[41:42], v[45:46], v[41:42], s[72:73]
	v_add_f64 v[55:56], v[43:44], -v[55:56]
	s_delay_alu instid0(VALU_DEP_3) | instskip(SKIP_1) | instid1(VALU_DEP_4)
	v_add_f64 v[53:54], v[43:44], v[51:52]
	v_add_f64 v[47:48], v[51:52], -v[47:48]
	v_fma_f64 v[41:42], v[45:46], v[41:42], s[74:75]
	s_delay_alu instid0(VALU_DEP_4) | instskip(NEXT) | instid1(VALU_DEP_4)
	v_add_f64 v[49:50], v[49:50], -v[55:56]
	v_add_f64 v[57:58], v[53:54], -v[43:44]
	s_delay_alu instid0(VALU_DEP_4) | instskip(NEXT) | instid1(VALU_DEP_4)
	v_add_f64 v[35:36], v[35:36], -v[47:48]
	v_fma_f64 v[41:42], v[45:46], v[41:42], s[76:77]
	s_delay_alu instid0(VALU_DEP_3) | instskip(SKIP_1) | instid1(VALU_DEP_4)
	v_add_f64 v[61:62], v[53:54], -v[57:58]
	v_add_f64 v[47:48], v[51:52], -v[57:58]
	v_add_f64 v[51:52], v[49:50], v[35:36]
	s_delay_alu instid0(VALU_DEP_4) | instskip(NEXT) | instid1(VALU_DEP_4)
	v_fma_f64 v[41:42], v[45:46], v[41:42], s[78:79]
	v_add_f64 v[43:44], v[43:44], -v[61:62]
	s_delay_alu instid0(VALU_DEP_2) | instskip(NEXT) | instid1(VALU_DEP_2)
	v_fma_f64 v[41:42], v[45:46], v[41:42], s[80:81]
	v_add_f64 v[43:44], v[47:48], v[43:44]
	v_add_f64 v[47:48], v[51:52], -v[49:50]
	s_delay_alu instid0(VALU_DEP_3) | instskip(NEXT) | instid1(VALU_DEP_3)
	v_fma_f64 v[41:42], v[45:46], v[41:42], s[82:83]
	v_add_f64 v[43:44], v[51:52], v[43:44]
	s_delay_alu instid0(VALU_DEP_3) | instskip(SKIP_1) | instid1(VALU_DEP_4)
	v_add_f64 v[51:52], v[51:52], -v[47:48]
	v_add_f64 v[35:36], v[35:36], -v[47:48]
	v_fma_f64 v[41:42], v[45:46], v[41:42], s[84:85]
	s_delay_alu instid0(VALU_DEP_4) | instskip(NEXT) | instid1(VALU_DEP_4)
	v_add_f64 v[55:56], v[53:54], v[43:44]
	v_add_f64 v[47:48], v[49:50], -v[51:52]
	s_delay_alu instid0(VALU_DEP_3) | instskip(NEXT) | instid1(VALU_DEP_3)
	v_fma_f64 v[41:42], v[45:46], v[41:42], s[86:87]
	v_add_f64 v[49:50], v[55:56], -v[53:54]
	s_delay_alu instid0(VALU_DEP_3) | instskip(NEXT) | instid1(VALU_DEP_3)
	v_add_f64 v[35:36], v[35:36], v[47:48]
	v_mul_f64 v[41:42], v[45:46], v[41:42]
	s_delay_alu instid0(VALU_DEP_3) | instskip(NEXT) | instid1(VALU_DEP_2)
	v_add_f64 v[43:44], v[43:44], -v[49:50]
	v_fma_f64 v[39:40], v[39:40], v[41:42], v[39:40]
	s_delay_alu instid0(VALU_DEP_2) | instskip(NEXT) | instid1(VALU_DEP_2)
	v_add_f64 v[35:36], v[35:36], v[43:44]
	v_add_f64 v[41:42], -v[39:40], s[88:89]
	s_delay_alu instid0(VALU_DEP_2) | instskip(SKIP_1) | instid1(VALU_DEP_1)
	v_add_f64 v[35:36], v[55:56], v[35:36]
	v_and_b32_e32 v38, 0x7fffffff, v38
	v_cmp_eq_f64_e32 vcc_lo, 0x7ff00000, v[37:38]
	s_delay_alu instid0(VALU_DEP_4) | instskip(SKIP_2) | instid1(VALU_DEP_2)
	v_cndmask_b32_e64 v38, v40, v42, s6
	v_cndmask_b32_e64 v37, v39, v41, s6
	v_cmp_eq_f64_e64 s6, 0, v[3:4]
	v_add_f64 v[39:40], -v[37:38], s[16:17]
	s_and_b32 vcc_lo, s7, vcc_lo
	v_cmp_class_f64_e64 s7, v[3:4], 0x204
	v_dual_cndmask_b32 v35, v35, v7 :: v_dual_cndmask_b32 v36, v36, v9
	v_and_b32_e32 v9, 0x54442d18, v15
	v_cmp_gt_i32_e32 vcc_lo, 0, v2
	v_and_b32_e32 v2, 0x400921fb, v15
	s_delay_alu instid0(VALU_DEP_4) | instskip(SKIP_4) | instid1(VALU_DEP_4)
	v_add_f64 v[35:36], v[35:36], 1.0
	v_dual_cndmask_b32 v18, v37, v39 :: v_dual_cndmask_b32 v15, v38, v40
	v_cndmask_b32_e32 v7, 0x54442d18, v59, vcc_lo
	v_cndmask_b32_e32 v1, 0x3fe921fb, v60, vcc_lo
	v_cmp_ngt_f64_e32 vcc_lo, 0, v[10:11]
	v_cndmask_b32_e64 v18, v18, v9, s6
	v_cndmask_b32_e64 v2, v15, v2, s6
	v_cmp_nge_f64_e64 s6, 0, v[10:11]
	v_bfi_b32 v1, 0x7fffffff, v1, v4
	v_cndmask_b32_e64 v9, v35, 0, s10
	v_cndmask_b32_e64 v36, v36, 0x7ff00000, s10
	s_delay_alu instid0(VALU_DEP_1) | instskip(SKIP_1) | instid1(VALU_DEP_3)
	v_cndmask_b32_e32 v15, 0x7ff80000, v36, vcc_lo
	s_and_b32 vcc_lo, s7, s8
	v_cndmask_b32_e64 v9, 0, v9, s6
	v_cmp_neq_f64_e64 s6, 0, v[10:11]
	v_cndmask_b32_e32 v36, v2, v1, vcc_lo
	v_cndmask_b32_e32 v35, v18, v7, vcc_lo
	s_delay_alu instid0(VALU_DEP_3)
	v_cndmask_b32_e64 v10, 0xfff00000, v15, s6
.LBB186_146:                            ;   in Loop: Header=BB186_4 Depth=1
	s_or_b32 exec_lo, exec_lo, s9
	s_and_not1_saveexec_b32 s6, s91
	s_cbranch_execz .LBB186_116
.LBB186_147:                            ;   in Loop: Header=BB186_4 Depth=1
	v_cmp_ngt_f64_e64 s7, 0x20000000, |v[1:2]|
	v_cmp_ngt_f64_e64 s8, 0x20000000, |v[3:4]|
                                        ; implicit-def: $vgpr10_vgpr11
	s_delay_alu instid0(VALU_DEP_1) | instskip(NEXT) | instid1(SALU_CYCLE_1)
	s_or_b32 s7, s8, s7
	s_and_saveexec_b32 s8, s7
	s_delay_alu instid0(SALU_CYCLE_1)
	s_xor_b32 s7, exec_lo, s8
; %bb.148:                              ;   in Loop: Header=BB186_4 Depth=1
	v_mul_f64 v[1:2], v[1:2], v[1:2]
	s_delay_alu instid0(VALU_DEP_1)
	v_fma_f64 v[10:11], v[3:4], v[3:4], v[1:2]
; %bb.149:                              ;   in Loop: Header=BB186_4 Depth=1
	s_and_not1_saveexec_b32 s7, s7
; %bb.150:                              ;   in Loop: Header=BB186_4 Depth=1
	v_mul_f64 v[1:2], v[1:2], 4.0
	v_mul_f64 v[9:10], v[3:4], 4.0
	s_delay_alu instid0(VALU_DEP_2) | instskip(NEXT) | instid1(VALU_DEP_1)
	v_mul_f64 v[1:2], v[1:2], v[1:2]
	v_fma_f64 v[1:2], v[9:10], v[9:10], v[1:2]
	s_delay_alu instid0(VALU_DEP_1)
	v_ldexp_f64 v[10:11], v[1:2], -4
; %bb.151:                              ;   in Loop: Header=BB186_4 Depth=1
	s_or_b32 exec_lo, exec_lo, s7
	s_delay_alu instid0(VALU_DEP_1) | instskip(SKIP_2) | instid1(VALU_DEP_2)
	v_frexp_mant_f64_e32 v[1:2], v[10:11]
	s_mov_b32 s101, s27
	v_frexp_exp_i32_f64_e32 v3, v[10:11]
	v_cmp_gt_f64_e32 vcc_lo, s[26:27], v[1:2]
	v_cndmask_b32_e64 v18, 0x3ff00000, 2.0, vcc_lo
	s_delay_alu instid0(VALU_DEP_3) | instskip(SKIP_1) | instid1(VALU_DEP_3)
	v_subrev_co_ci_u32_e32 v3, vcc_lo, 0, v3, vcc_lo
	v_cmp_class_f64_e64 vcc_lo, v[10:11], 0x204
	v_mul_f64 v[1:2], v[1:2], v[17:18]
	s_delay_alu instid0(VALU_DEP_1) | instskip(SKIP_1) | instid1(VALU_DEP_2)
	v_add_f64 v[35:36], v[1:2], 1.0
	v_add_f64 v[41:42], v[1:2], -1.0
	v_rcp_f64_e32 v[37:38], v[35:36]
	v_add_f64 v[43:44], v[35:36], -1.0
	s_delay_alu instid0(VALU_DEP_1) | instskip(SKIP_2) | instid1(VALU_DEP_1)
	v_add_f64 v[1:2], v[1:2], -v[43:44]
	s_waitcnt_depctr 0xfff
	v_fma_f64 v[39:40], -v[35:36], v[37:38], 1.0
	v_fma_f64 v[37:38], v[39:40], v[37:38], v[37:38]
	s_delay_alu instid0(VALU_DEP_1) | instskip(NEXT) | instid1(VALU_DEP_1)
	v_fma_f64 v[39:40], -v[35:36], v[37:38], 1.0
	v_fma_f64 v[37:38], v[39:40], v[37:38], v[37:38]
	s_delay_alu instid0(VALU_DEP_1) | instskip(NEXT) | instid1(VALU_DEP_1)
	v_mul_f64 v[39:40], v[41:42], v[37:38]
	v_mul_f64 v[45:46], v[35:36], v[39:40]
	s_delay_alu instid0(VALU_DEP_1) | instskip(NEXT) | instid1(VALU_DEP_1)
	v_fma_f64 v[35:36], v[39:40], v[35:36], -v[45:46]
	v_fma_f64 v[1:2], v[39:40], v[1:2], v[35:36]
	s_delay_alu instid0(VALU_DEP_1) | instskip(NEXT) | instid1(VALU_DEP_1)
	v_add_f64 v[35:36], v[45:46], v[1:2]
	v_add_f64 v[43:44], v[41:42], -v[35:36]
	v_add_f64 v[45:46], v[35:36], -v[45:46]
	s_delay_alu instid0(VALU_DEP_2) | instskip(NEXT) | instid1(VALU_DEP_2)
	v_add_f64 v[41:42], v[41:42], -v[43:44]
	v_add_f64 v[1:2], v[45:46], -v[1:2]
	s_delay_alu instid0(VALU_DEP_2) | instskip(NEXT) | instid1(VALU_DEP_1)
	v_add_f64 v[35:36], v[41:42], -v[35:36]
	v_add_f64 v[1:2], v[1:2], v[35:36]
	s_delay_alu instid0(VALU_DEP_1) | instskip(NEXT) | instid1(VALU_DEP_1)
	v_add_f64 v[1:2], v[43:44], v[1:2]
	v_mul_f64 v[1:2], v[37:38], v[1:2]
	s_delay_alu instid0(VALU_DEP_1) | instskip(NEXT) | instid1(VALU_DEP_1)
	v_add_f64 v[35:36], v[39:40], v[1:2]
	v_mul_f64 v[37:38], v[35:36], v[35:36]
	s_delay_alu instid0(VALU_DEP_1) | instskip(SKIP_1) | instid1(VALU_DEP_2)
	v_fma_f64 v[41:42], v[37:38], s[30:31], s[28:29]
	v_mul_f64 v[43:44], v[35:36], v[37:38]
	v_fma_f64 v[41:42], v[37:38], v[41:42], s[36:37]
	s_delay_alu instid0(VALU_DEP_1) | instskip(NEXT) | instid1(VALU_DEP_1)
	v_fma_f64 v[41:42], v[37:38], v[41:42], s[38:39]
	v_fma_f64 v[41:42], v[37:38], v[41:42], s[40:41]
	s_delay_alu instid0(VALU_DEP_1) | instskip(NEXT) | instid1(VALU_DEP_1)
	v_fma_f64 v[41:42], v[37:38], v[41:42], s[42:43]
	v_fma_f64 v[37:38], v[37:38], v[41:42], s[100:101]
	v_ldexp_f64 v[41:42], v[35:36], 1
	v_add_f64 v[35:36], v[35:36], -v[39:40]
	s_delay_alu instid0(VALU_DEP_3) | instskip(SKIP_1) | instid1(VALU_DEP_3)
	v_mul_f64 v[37:38], v[43:44], v[37:38]
	v_cvt_f64_i32_e32 v[43:44], v3
	v_add_f64 v[1:2], v[1:2], -v[35:36]
	s_delay_alu instid0(VALU_DEP_3) | instskip(NEXT) | instid1(VALU_DEP_3)
	v_add_f64 v[39:40], v[41:42], v[37:38]
	v_mul_f64 v[45:46], v[43:44], s[44:45]
	s_delay_alu instid0(VALU_DEP_3) | instskip(NEXT) | instid1(VALU_DEP_3)
	v_ldexp_f64 v[1:2], v[1:2], 1
	v_add_f64 v[35:36], v[39:40], -v[41:42]
	s_delay_alu instid0(VALU_DEP_3) | instskip(NEXT) | instid1(VALU_DEP_2)
	v_fma_f64 v[41:42], v[43:44], s[44:45], -v[45:46]
	v_add_f64 v[35:36], v[37:38], -v[35:36]
	s_delay_alu instid0(VALU_DEP_2) | instskip(NEXT) | instid1(VALU_DEP_2)
	v_fma_f64 v[37:38], v[43:44], s[46:47], v[41:42]
	v_add_f64 v[1:2], v[1:2], v[35:36]
	s_delay_alu instid0(VALU_DEP_2) | instskip(NEXT) | instid1(VALU_DEP_2)
	v_add_f64 v[35:36], v[45:46], v[37:38]
	v_add_f64 v[41:42], v[39:40], v[1:2]
	s_delay_alu instid0(VALU_DEP_2) | instskip(NEXT) | instid1(VALU_DEP_2)
	v_add_f64 v[45:46], v[35:36], -v[45:46]
	v_add_f64 v[43:44], v[35:36], v[41:42]
	v_add_f64 v[39:40], v[41:42], -v[39:40]
	s_delay_alu instid0(VALU_DEP_3) | instskip(NEXT) | instid1(VALU_DEP_3)
	v_add_f64 v[37:38], v[37:38], -v[45:46]
	v_add_f64 v[47:48], v[43:44], -v[35:36]
	s_delay_alu instid0(VALU_DEP_3) | instskip(NEXT) | instid1(VALU_DEP_2)
	v_add_f64 v[1:2], v[1:2], -v[39:40]
	v_add_f64 v[49:50], v[43:44], -v[47:48]
	;; [unrolled: 1-line block ×3, first 2 shown]
	s_delay_alu instid0(VALU_DEP_3) | instskip(NEXT) | instid1(VALU_DEP_3)
	v_add_f64 v[41:42], v[37:38], v[1:2]
	v_add_f64 v[35:36], v[35:36], -v[49:50]
	s_delay_alu instid0(VALU_DEP_1) | instskip(NEXT) | instid1(VALU_DEP_3)
	v_add_f64 v[35:36], v[39:40], v[35:36]
	v_add_f64 v[39:40], v[41:42], -v[37:38]
	s_delay_alu instid0(VALU_DEP_2) | instskip(NEXT) | instid1(VALU_DEP_2)
	v_add_f64 v[35:36], v[41:42], v[35:36]
	v_add_f64 v[41:42], v[41:42], -v[39:40]
	v_add_f64 v[1:2], v[1:2], -v[39:40]
	s_delay_alu instid0(VALU_DEP_3) | instskip(NEXT) | instid1(VALU_DEP_3)
	v_add_f64 v[45:46], v[43:44], v[35:36]
	v_add_f64 v[37:38], v[37:38], -v[41:42]
	s_delay_alu instid0(VALU_DEP_2) | instskip(NEXT) | instid1(VALU_DEP_2)
	v_add_f64 v[39:40], v[45:46], -v[43:44]
	v_add_f64 v[1:2], v[1:2], v[37:38]
	s_delay_alu instid0(VALU_DEP_2) | instskip(NEXT) | instid1(VALU_DEP_1)
	v_add_f64 v[35:36], v[35:36], -v[39:40]
	v_add_f64 v[1:2], v[1:2], v[35:36]
	v_mov_b32_e32 v35, 0
	v_mov_b32_e32 v36, 0x7ff80000
	s_delay_alu instid0(VALU_DEP_3) | instskip(NEXT) | instid1(VALU_DEP_1)
	v_add_f64 v[1:2], v[45:46], v[1:2]
	v_dual_cndmask_b32 v1, v1, v10 :: v_dual_cndmask_b32 v2, v2, v11
	v_cmp_ngt_f64_e32 vcc_lo, 0, v[10:11]
	s_delay_alu instid0(VALU_DEP_2) | instskip(SKIP_1) | instid1(VALU_DEP_4)
	v_cndmask_b32_e32 v2, 0x7ff80000, v2, vcc_lo
	v_cmp_nge_f64_e32 vcc_lo, 0, v[10:11]
	v_cndmask_b32_e32 v9, 0, v1, vcc_lo
	v_cmp_neq_f64_e32 vcc_lo, 0, v[10:11]
	s_delay_alu instid0(VALU_DEP_4) | instskip(SKIP_2) | instid1(SALU_CYCLE_1)
	v_cndmask_b32_e32 v10, 0xfff00000, v2, vcc_lo
	s_or_b32 exec_lo, exec_lo, s6
	s_and_saveexec_b32 s6, s5
	s_xor_b32 s6, exec_lo, s6
	s_cbranch_execz .LBB186_117
.LBB186_152:                            ;   in Loop: Header=BB186_4 Depth=1
	v_bfi_b32 v30, 0x7fffffff, v30, v16
	v_div_scale_f64 v[1:2], null, s[96:97], s[96:97], v[27:28]
	v_div_scale_f64 v[45:46], vcc_lo, v[27:28], s[96:97], v[27:28]
	s_delay_alu instid0(VALU_DEP_3) | instskip(NEXT) | instid1(VALU_DEP_3)
	v_div_scale_f64 v[15:16], null, s[96:97], s[96:97], v[29:30]
	v_rcp_f64_e32 v[37:38], v[1:2]
	s_delay_alu instid0(VALU_DEP_1) | instskip(SKIP_3) | instid1(VALU_DEP_2)
	v_rcp_f64_e32 v[39:40], v[15:16]
	s_waitcnt_depctr 0xfff
	v_fma_f64 v[41:42], -v[1:2], v[37:38], 1.0
	v_fma_f64 v[43:44], -v[15:16], v[39:40], 1.0
	v_fma_f64 v[37:38], v[37:38], v[41:42], v[37:38]
	s_delay_alu instid0(VALU_DEP_2) | instskip(NEXT) | instid1(VALU_DEP_2)
	v_fma_f64 v[39:40], v[39:40], v[43:44], v[39:40]
	v_fma_f64 v[41:42], -v[1:2], v[37:38], 1.0
	s_delay_alu instid0(VALU_DEP_2) | instskip(NEXT) | instid1(VALU_DEP_2)
	v_fma_f64 v[43:44], -v[15:16], v[39:40], 1.0
	v_fma_f64 v[37:38], v[37:38], v[41:42], v[37:38]
	v_div_scale_f64 v[41:42], s5, v[29:30], s[96:97], v[29:30]
	s_delay_alu instid0(VALU_DEP_3) | instskip(NEXT) | instid1(VALU_DEP_3)
	v_fma_f64 v[39:40], v[39:40], v[43:44], v[39:40]
	v_mul_f64 v[43:44], v[45:46], v[37:38]
	s_delay_alu instid0(VALU_DEP_2) | instskip(NEXT) | instid1(VALU_DEP_2)
	v_mul_f64 v[47:48], v[41:42], v[39:40]
	v_fma_f64 v[1:2], -v[1:2], v[43:44], v[45:46]
	s_delay_alu instid0(VALU_DEP_2) | instskip(NEXT) | instid1(VALU_DEP_2)
	v_fma_f64 v[15:16], -v[15:16], v[47:48], v[41:42]
	v_div_fmas_f64 v[1:2], v[1:2], v[37:38], v[43:44]
	s_mov_b32 vcc_lo, s5
	s_delay_alu instid0(VALU_DEP_2) | instskip(NEXT) | instid1(VALU_DEP_2)
	v_div_fmas_f64 v[15:16], v[15:16], v[39:40], v[47:48]
	v_div_fixup_f64 v[27:28], v[1:2], s[96:97], v[27:28]
	v_add_co_u32 v1, vcc_lo, s33, v25
	v_add_co_ci_u32_e32 v2, vcc_lo, s102, v26, vcc_lo
	s_delay_alu instid0(VALU_DEP_4)
	v_div_fixup_f64 v[29:30], v[15:16], s[96:97], v[29:30]
	global_store_b128 v[1:2], v[27:30], off
	s_or_b32 exec_lo, exec_lo, s6
	s_and_saveexec_b32 s5, s4
	s_cbranch_execz .LBB186_118
.LBB186_153:                            ;   in Loop: Header=BB186_4 Depth=1
	v_bfi_b32 v32, 0x7fffffff, v32, v8
	v_div_scale_f64 v[1:2], null, s[96:97], s[96:97], v[13:14]
	v_div_scale_f64 v[37:38], vcc_lo, v[13:14], s[96:97], v[13:14]
	s_delay_alu instid0(VALU_DEP_3) | instskip(NEXT) | instid1(VALU_DEP_3)
	v_div_scale_f64 v[7:8], null, s[96:97], s[96:97], v[31:32]
	v_rcp_f64_e32 v[15:16], v[1:2]
	s_delay_alu instid0(VALU_DEP_1) | instskip(SKIP_3) | instid1(VALU_DEP_2)
	v_rcp_f64_e32 v[25:26], v[7:8]
	s_waitcnt_depctr 0xfff
	v_fma_f64 v[27:28], -v[1:2], v[15:16], 1.0
	v_fma_f64 v[29:30], -v[7:8], v[25:26], 1.0
	v_fma_f64 v[15:16], v[15:16], v[27:28], v[15:16]
	s_delay_alu instid0(VALU_DEP_2) | instskip(NEXT) | instid1(VALU_DEP_2)
	v_fma_f64 v[25:26], v[25:26], v[29:30], v[25:26]
	v_fma_f64 v[27:28], -v[1:2], v[15:16], 1.0
	s_delay_alu instid0(VALU_DEP_2) | instskip(NEXT) | instid1(VALU_DEP_2)
	v_fma_f64 v[29:30], -v[7:8], v[25:26], 1.0
	v_fma_f64 v[15:16], v[15:16], v[27:28], v[15:16]
	v_div_scale_f64 v[27:28], s4, v[31:32], s[96:97], v[31:32]
	s_delay_alu instid0(VALU_DEP_3) | instskip(NEXT) | instid1(VALU_DEP_3)
	v_fma_f64 v[25:26], v[25:26], v[29:30], v[25:26]
	v_mul_f64 v[29:30], v[37:38], v[15:16]
	s_delay_alu instid0(VALU_DEP_2) | instskip(NEXT) | instid1(VALU_DEP_2)
	v_mul_f64 v[39:40], v[27:28], v[25:26]
	v_fma_f64 v[1:2], -v[1:2], v[29:30], v[37:38]
	s_delay_alu instid0(VALU_DEP_2) | instskip(NEXT) | instid1(VALU_DEP_2)
	v_fma_f64 v[7:8], -v[7:8], v[39:40], v[27:28]
	v_div_fmas_f64 v[1:2], v[1:2], v[15:16], v[29:30]
	s_mov_b32 vcc_lo, s4
	s_delay_alu instid0(VALU_DEP_2) | instskip(NEXT) | instid1(VALU_DEP_2)
	v_div_fmas_f64 v[7:8], v[7:8], v[25:26], v[39:40]
	v_div_fixup_f64 v[13:14], v[1:2], s[96:97], v[13:14]
	v_add_co_u32 v1, vcc_lo, s33, v23
	v_add_co_ci_u32_e32 v2, vcc_lo, s102, v24, vcc_lo
	s_delay_alu instid0(VALU_DEP_4)
	v_div_fixup_f64 v[15:16], v[7:8], s[96:97], v[31:32]
	global_store_b128 v[1:2], v[13:16], off
	s_or_b32 exec_lo, exec_lo, s5
	s_and_saveexec_b32 s4, s3
	s_cbranch_execz .LBB186_119
.LBB186_154:                            ;   in Loop: Header=BB186_4 Depth=1
	v_bfi_b32 v34, 0x7fffffff, v34, v12
	s_delay_alu instid0(VALU_DEP_3) | instskip(SKIP_1) | instid1(VALU_DEP_3)
	v_div_scale_f64 v[1:2], null, s[96:97], s[96:97], v[5:6]
	v_div_scale_f64 v[25:26], vcc_lo, v[5:6], s[96:97], v[5:6]
	v_div_scale_f64 v[7:8], null, s[96:97], s[96:97], v[33:34]
	s_delay_alu instid0(VALU_DEP_3) | instskip(NEXT) | instid1(VALU_DEP_1)
	v_rcp_f64_e32 v[11:12], v[1:2]
	v_rcp_f64_e32 v[13:14], v[7:8]
	s_waitcnt_depctr 0xfff
	v_fma_f64 v[15:16], -v[1:2], v[11:12], 1.0
	v_fma_f64 v[23:24], -v[7:8], v[13:14], 1.0
	s_delay_alu instid0(VALU_DEP_2) | instskip(NEXT) | instid1(VALU_DEP_2)
	v_fma_f64 v[11:12], v[11:12], v[15:16], v[11:12]
	v_fma_f64 v[13:14], v[13:14], v[23:24], v[13:14]
	s_delay_alu instid0(VALU_DEP_2) | instskip(NEXT) | instid1(VALU_DEP_2)
	v_fma_f64 v[15:16], -v[1:2], v[11:12], 1.0
	v_fma_f64 v[23:24], -v[7:8], v[13:14], 1.0
	s_delay_alu instid0(VALU_DEP_2) | instskip(SKIP_1) | instid1(VALU_DEP_3)
	v_fma_f64 v[11:12], v[11:12], v[15:16], v[11:12]
	v_div_scale_f64 v[15:16], s3, v[33:34], s[96:97], v[33:34]
	v_fma_f64 v[13:14], v[13:14], v[23:24], v[13:14]
	s_delay_alu instid0(VALU_DEP_3) | instskip(NEXT) | instid1(VALU_DEP_2)
	v_mul_f64 v[23:24], v[25:26], v[11:12]
	v_mul_f64 v[27:28], v[15:16], v[13:14]
	s_delay_alu instid0(VALU_DEP_2) | instskip(NEXT) | instid1(VALU_DEP_2)
	v_fma_f64 v[1:2], -v[1:2], v[23:24], v[25:26]
	v_fma_f64 v[7:8], -v[7:8], v[27:28], v[15:16]
	s_delay_alu instid0(VALU_DEP_2) | instskip(SKIP_1) | instid1(VALU_DEP_2)
	v_div_fmas_f64 v[1:2], v[1:2], v[11:12], v[23:24]
	s_mov_b32 vcc_lo, s3
	v_div_fmas_f64 v[7:8], v[7:8], v[13:14], v[27:28]
	s_delay_alu instid0(VALU_DEP_2) | instskip(SKIP_2) | instid1(VALU_DEP_4)
	v_div_fixup_f64 v[5:6], v[1:2], s[96:97], v[5:6]
	v_add_co_u32 v1, vcc_lo, s33, v21
	v_add_co_ci_u32_e32 v2, vcc_lo, s102, v22, vcc_lo
	v_div_fixup_f64 v[7:8], v[7:8], s[96:97], v[33:34]
	global_store_b128 v[1:2], v[5:8], off
	s_or_b32 exec_lo, exec_lo, s4
	s_and_saveexec_b32 s3, s2
	s_cbranch_execz .LBB186_3
.LBB186_155:                            ;   in Loop: Header=BB186_4 Depth=1
	v_bfi_b32 v36, 0x7fffffff, v36, v4
	s_delay_alu instid0(VALU_DEP_2) | instskip(SKIP_1) | instid1(VALU_DEP_3)
	v_div_scale_f64 v[1:2], null, s[96:97], s[96:97], v[9:10]
	v_div_scale_f64 v[15:16], vcc_lo, v[9:10], s[96:97], v[9:10]
	v_div_scale_f64 v[3:4], null, s[96:97], s[96:97], v[35:36]
	s_delay_alu instid0(VALU_DEP_3) | instskip(NEXT) | instid1(VALU_DEP_1)
	v_rcp_f64_e32 v[5:6], v[1:2]
	v_rcp_f64_e32 v[7:8], v[3:4]
	s_waitcnt_depctr 0xfff
	v_fma_f64 v[11:12], -v[1:2], v[5:6], 1.0
	v_fma_f64 v[13:14], -v[3:4], v[7:8], 1.0
	s_delay_alu instid0(VALU_DEP_2) | instskip(NEXT) | instid1(VALU_DEP_2)
	v_fma_f64 v[5:6], v[5:6], v[11:12], v[5:6]
	v_fma_f64 v[7:8], v[7:8], v[13:14], v[7:8]
	s_delay_alu instid0(VALU_DEP_2) | instskip(NEXT) | instid1(VALU_DEP_2)
	v_fma_f64 v[11:12], -v[1:2], v[5:6], 1.0
	v_fma_f64 v[13:14], -v[3:4], v[7:8], 1.0
	s_delay_alu instid0(VALU_DEP_2) | instskip(SKIP_1) | instid1(VALU_DEP_3)
	v_fma_f64 v[5:6], v[5:6], v[11:12], v[5:6]
	v_div_scale_f64 v[11:12], s2, v[35:36], s[96:97], v[35:36]
	v_fma_f64 v[7:8], v[7:8], v[13:14], v[7:8]
	s_delay_alu instid0(VALU_DEP_3) | instskip(NEXT) | instid1(VALU_DEP_2)
	v_mul_f64 v[13:14], v[15:16], v[5:6]
	v_mul_f64 v[21:22], v[11:12], v[7:8]
	s_delay_alu instid0(VALU_DEP_2) | instskip(NEXT) | instid1(VALU_DEP_2)
	v_fma_f64 v[1:2], -v[1:2], v[13:14], v[15:16]
	v_fma_f64 v[3:4], -v[3:4], v[21:22], v[11:12]
	s_delay_alu instid0(VALU_DEP_2) | instskip(SKIP_1) | instid1(VALU_DEP_2)
	v_div_fmas_f64 v[1:2], v[1:2], v[5:6], v[13:14]
	s_mov_b32 vcc_lo, s2
	v_div_fmas_f64 v[3:4], v[3:4], v[7:8], v[21:22]
	v_add_co_u32 v5, vcc_lo, s33, v19
	v_add_co_ci_u32_e32 v6, vcc_lo, s102, v20, vcc_lo
	s_delay_alu instid0(VALU_DEP_4) | instskip(NEXT) | instid1(VALU_DEP_4)
	v_div_fixup_f64 v[1:2], v[1:2], s[96:97], v[9:10]
	v_div_fixup_f64 v[3:4], v[3:4], s[96:97], v[35:36]
	global_store_b128 v[5:6], v[1:4], off
	s_branch .LBB186_3
.LBB186_156:
	s_cbranch_execz .LBB186_158
	s_branch .LBB186_297
.LBB186_157:
.LBB186_158:
	v_dual_mov_b32 v18, 0 :: v_dual_lshlrev_b32 v1, 2, v0
	s_mov_b32 s92, 0
	s_mov_b32 s2, exec_lo
	s_delay_alu instid0(VALU_DEP_1) | instskip(NEXT) | instid1(VALU_DEP_1)
	v_mov_b32_e32 v2, v18
	v_cmpx_gt_i64_e64 s[18:19], v[1:2]
	s_cbranch_execz .LBB186_297
; %bb.159:
	s_load_b32 s0, s[0:1], 0xd3c
	v_dual_mov_b32 v1, v18 :: v_dual_mov_b32 v54, 0x7f3321d2
	v_mov_b32_e32 v55, 0x4002d97c
	s_mov_b32 s12, 0x85ebc8a0
	s_mov_b32 s14, 0x4ad4b81f
	;; [unrolled: 1-line block ×74, first 2 shown]
	s_waitcnt lgkmcnt(0)
	s_and_b32 s93, s0, 0xffff
	s_mov_b32 s90, 0x55555780
	s_mov_b32 s11, 0x400921fb
	s_branch .LBB186_162
.LBB186_160:                            ;   in Loop: Header=BB186_162 Depth=1
	s_or_b32 exec_lo, exec_lo, s1
	s_delay_alu instid0(VALU_DEP_1) | instskip(SKIP_2) | instid1(VALU_DEP_2)
	v_frexp_mant_f64_e32 v[2:3], v[15:16]
	s_mov_b32 s91, s21
	v_frexp_exp_i32_f64_e32 v4, v[15:16]
	v_cmp_gt_f64_e32 vcc_lo, s[20:21], v[2:3]
	v_cndmask_b32_e64 v19, 0x3ff00000, 2.0, vcc_lo
	s_delay_alu instid0(VALU_DEP_3) | instskip(SKIP_1) | instid1(VALU_DEP_3)
	v_subrev_co_ci_u32_e32 v4, vcc_lo, 0, v4, vcc_lo
	v_cmp_class_f64_e64 vcc_lo, v[15:16], 0x204
	v_mul_f64 v[2:3], v[2:3], v[18:19]
	s_delay_alu instid0(VALU_DEP_1) | instskip(SKIP_1) | instid1(VALU_DEP_2)
	v_add_f64 v[30:31], v[2:3], 1.0
	v_add_f64 v[36:37], v[2:3], -1.0
	v_rcp_f64_e32 v[32:33], v[30:31]
	v_add_f64 v[38:39], v[30:31], -1.0
	s_delay_alu instid0(VALU_DEP_1) | instskip(SKIP_2) | instid1(VALU_DEP_1)
	v_add_f64 v[2:3], v[2:3], -v[38:39]
	s_waitcnt_depctr 0xfff
	v_fma_f64 v[34:35], -v[30:31], v[32:33], 1.0
	v_fma_f64 v[32:33], v[34:35], v[32:33], v[32:33]
	s_delay_alu instid0(VALU_DEP_1) | instskip(NEXT) | instid1(VALU_DEP_1)
	v_fma_f64 v[34:35], -v[30:31], v[32:33], 1.0
	v_fma_f64 v[32:33], v[34:35], v[32:33], v[32:33]
	s_delay_alu instid0(VALU_DEP_1) | instskip(NEXT) | instid1(VALU_DEP_1)
	v_mul_f64 v[34:35], v[36:37], v[32:33]
	v_mul_f64 v[40:41], v[30:31], v[34:35]
	s_delay_alu instid0(VALU_DEP_1) | instskip(NEXT) | instid1(VALU_DEP_1)
	v_fma_f64 v[30:31], v[34:35], v[30:31], -v[40:41]
	v_fma_f64 v[2:3], v[34:35], v[2:3], v[30:31]
	s_delay_alu instid0(VALU_DEP_1) | instskip(NEXT) | instid1(VALU_DEP_1)
	v_add_f64 v[30:31], v[40:41], v[2:3]
	v_add_f64 v[38:39], v[36:37], -v[30:31]
	v_add_f64 v[40:41], v[30:31], -v[40:41]
	s_delay_alu instid0(VALU_DEP_2) | instskip(NEXT) | instid1(VALU_DEP_2)
	v_add_f64 v[36:37], v[36:37], -v[38:39]
	v_add_f64 v[2:3], v[40:41], -v[2:3]
	s_delay_alu instid0(VALU_DEP_2) | instskip(NEXT) | instid1(VALU_DEP_1)
	v_add_f64 v[30:31], v[36:37], -v[30:31]
	v_add_f64 v[2:3], v[2:3], v[30:31]
	s_delay_alu instid0(VALU_DEP_1) | instskip(NEXT) | instid1(VALU_DEP_1)
	v_add_f64 v[2:3], v[38:39], v[2:3]
	v_mul_f64 v[2:3], v[32:33], v[2:3]
	s_delay_alu instid0(VALU_DEP_1) | instskip(NEXT) | instid1(VALU_DEP_1)
	v_add_f64 v[30:31], v[34:35], v[2:3]
	v_mul_f64 v[32:33], v[30:31], v[30:31]
	s_delay_alu instid0(VALU_DEP_1) | instskip(SKIP_1) | instid1(VALU_DEP_2)
	v_fma_f64 v[36:37], v[32:33], s[24:25], s[22:23]
	v_mul_f64 v[38:39], v[30:31], v[32:33]
	v_fma_f64 v[36:37], v[32:33], v[36:37], s[26:27]
	s_delay_alu instid0(VALU_DEP_1) | instskip(NEXT) | instid1(VALU_DEP_1)
	v_fma_f64 v[36:37], v[32:33], v[36:37], s[28:29]
	v_fma_f64 v[36:37], v[32:33], v[36:37], s[30:31]
	s_delay_alu instid0(VALU_DEP_1) | instskip(NEXT) | instid1(VALU_DEP_1)
	v_fma_f64 v[36:37], v[32:33], v[36:37], s[34:35]
	v_fma_f64 v[32:33], v[32:33], v[36:37], s[90:91]
	v_ldexp_f64 v[36:37], v[30:31], 1
	v_add_f64 v[30:31], v[30:31], -v[34:35]
	s_delay_alu instid0(VALU_DEP_3) | instskip(SKIP_1) | instid1(VALU_DEP_3)
	v_mul_f64 v[32:33], v[38:39], v[32:33]
	v_cvt_f64_i32_e32 v[38:39], v4
	v_add_f64 v[2:3], v[2:3], -v[30:31]
	s_delay_alu instid0(VALU_DEP_3) | instskip(NEXT) | instid1(VALU_DEP_3)
	v_add_f64 v[34:35], v[36:37], v[32:33]
	v_mul_f64 v[40:41], v[38:39], s[36:37]
	s_delay_alu instid0(VALU_DEP_3) | instskip(NEXT) | instid1(VALU_DEP_3)
	v_ldexp_f64 v[2:3], v[2:3], 1
	v_add_f64 v[30:31], v[34:35], -v[36:37]
	s_delay_alu instid0(VALU_DEP_3) | instskip(NEXT) | instid1(VALU_DEP_2)
	v_fma_f64 v[36:37], v[38:39], s[36:37], -v[40:41]
	v_add_f64 v[30:31], v[32:33], -v[30:31]
	s_delay_alu instid0(VALU_DEP_2) | instskip(NEXT) | instid1(VALU_DEP_2)
	v_fma_f64 v[32:33], v[38:39], s[38:39], v[36:37]
	v_add_f64 v[2:3], v[2:3], v[30:31]
	s_delay_alu instid0(VALU_DEP_2) | instskip(NEXT) | instid1(VALU_DEP_2)
	v_add_f64 v[30:31], v[40:41], v[32:33]
	v_add_f64 v[36:37], v[34:35], v[2:3]
	s_delay_alu instid0(VALU_DEP_2) | instskip(NEXT) | instid1(VALU_DEP_2)
	v_add_f64 v[40:41], v[30:31], -v[40:41]
	v_add_f64 v[38:39], v[30:31], v[36:37]
	v_add_f64 v[34:35], v[36:37], -v[34:35]
	s_delay_alu instid0(VALU_DEP_3) | instskip(NEXT) | instid1(VALU_DEP_3)
	v_add_f64 v[32:33], v[32:33], -v[40:41]
	v_add_f64 v[42:43], v[38:39], -v[30:31]
	s_delay_alu instid0(VALU_DEP_3) | instskip(NEXT) | instid1(VALU_DEP_2)
	v_add_f64 v[2:3], v[2:3], -v[34:35]
	v_add_f64 v[44:45], v[38:39], -v[42:43]
	;; [unrolled: 1-line block ×3, first 2 shown]
	s_delay_alu instid0(VALU_DEP_3) | instskip(NEXT) | instid1(VALU_DEP_3)
	v_add_f64 v[36:37], v[32:33], v[2:3]
	v_add_f64 v[30:31], v[30:31], -v[44:45]
	s_delay_alu instid0(VALU_DEP_1) | instskip(NEXT) | instid1(VALU_DEP_3)
	v_add_f64 v[30:31], v[34:35], v[30:31]
	v_add_f64 v[34:35], v[36:37], -v[32:33]
	s_delay_alu instid0(VALU_DEP_2) | instskip(NEXT) | instid1(VALU_DEP_2)
	v_add_f64 v[30:31], v[36:37], v[30:31]
	v_add_f64 v[36:37], v[36:37], -v[34:35]
	v_add_f64 v[2:3], v[2:3], -v[34:35]
	s_delay_alu instid0(VALU_DEP_3) | instskip(NEXT) | instid1(VALU_DEP_3)
	v_add_f64 v[40:41], v[38:39], v[30:31]
	v_add_f64 v[32:33], v[32:33], -v[36:37]
	s_delay_alu instid0(VALU_DEP_2) | instskip(NEXT) | instid1(VALU_DEP_2)
	v_add_f64 v[34:35], v[40:41], -v[38:39]
	v_add_f64 v[2:3], v[2:3], v[32:33]
	s_delay_alu instid0(VALU_DEP_2) | instskip(NEXT) | instid1(VALU_DEP_1)
	v_add_f64 v[30:31], v[30:31], -v[34:35]
	v_add_f64 v[2:3], v[2:3], v[30:31]
	v_mov_b32_e32 v30, 0
	v_mov_b32_e32 v31, 0x7ff80000
	s_delay_alu instid0(VALU_DEP_3) | instskip(NEXT) | instid1(VALU_DEP_1)
	v_add_f64 v[2:3], v[40:41], v[2:3]
	v_dual_cndmask_b32 v2, v2, v15 :: v_dual_cndmask_b32 v3, v3, v16
	v_cmp_ngt_f64_e32 vcc_lo, 0, v[15:16]
	s_delay_alu instid0(VALU_DEP_2) | instskip(SKIP_1) | instid1(VALU_DEP_4)
	v_cndmask_b32_e32 v3, 0x7ff80000, v3, vcc_lo
	v_cmp_nge_f64_e32 vcc_lo, 0, v[15:16]
	v_cndmask_b32_e32 v14, 0, v2, vcc_lo
	v_cmp_neq_f64_e32 vcc_lo, 0, v[15:16]
	s_delay_alu instid0(VALU_DEP_4)
	v_cndmask_b32_e32 v15, 0xfff00000, v3, vcc_lo
.LBB186_161:                            ;   in Loop: Header=BB186_162 Depth=1
	s_or_b32 exec_lo, exec_lo, s0
	v_bfi_b32 v29, 0x7fffffff, v29, v17
	s_delay_alu instid0(VALU_DEP_3) | instskip(SKIP_2) | instid1(VALU_DEP_4)
	v_div_scale_f64 v[2:3], null, s[88:89], s[88:89], v[10:11]
	v_bfi_b32 v27, 0x7fffffff, v27, v13
	v_div_scale_f64 v[12:13], null, s[88:89], s[88:89], v[6:7]
	v_div_scale_f64 v[16:17], null, s[88:89], s[88:89], v[28:29]
	v_bfi_b32 v25, 0x7fffffff, v25, v9
	s_delay_alu instid0(VALU_DEP_4) | instskip(SKIP_2) | instid1(VALU_DEP_4)
	v_div_scale_f64 v[32:33], null, s[88:89], s[88:89], v[26:27]
	v_div_scale_f64 v[8:9], null, s[88:89], s[88:89], v[22:23]
	v_bfi_b32 v31, 0x7fffffff, v31, v5
	v_div_scale_f64 v[34:35], null, s[88:89], s[88:89], v[24:25]
	v_div_scale_f64 v[4:5], null, s[88:89], s[88:89], v[14:15]
	s_delay_alu instid0(VALU_DEP_3)
	v_div_scale_f64 v[36:37], null, s[88:89], s[88:89], v[30:31]
	v_div_scale_f64 v[72:73], vcc_lo, v[10:11], s[88:89], v[10:11]
	v_rcp_f64_e32 v[38:39], v[2:3]
	v_rcp_f64_e32 v[42:43], v[12:13]
	;; [unrolled: 1-line block ×5, first 2 shown]
	s_delay_alu instid0(VALU_DEP_4) | instskip(NEXT) | instid1(VALU_DEP_3)
	v_rcp_f64_e32 v[48:49], v[34:35]
	v_rcp_f64_e32 v[50:51], v[4:5]
	s_delay_alu instid0(VALU_DEP_2)
	v_rcp_f64_e32 v[52:53], v[36:37]
	v_fma_f64 v[56:57], -v[2:3], v[38:39], 1.0
	v_fma_f64 v[60:61], -v[12:13], v[42:43], 1.0
	;; [unrolled: 1-line block ×5, first 2 shown]
	s_delay_alu instid0(TRANS32_DEP_3) | instskip(NEXT) | instid1(TRANS32_DEP_2)
	v_fma_f64 v[66:67], -v[34:35], v[48:49], 1.0
	v_fma_f64 v[68:69], -v[4:5], v[50:51], 1.0
	s_delay_alu instid0(TRANS32_DEP_1)
	v_fma_f64 v[70:71], -v[36:37], v[52:53], 1.0
	v_fma_f64 v[38:39], v[38:39], v[56:57], v[38:39]
	v_fma_f64 v[42:43], v[42:43], v[60:61], v[42:43]
	;; [unrolled: 1-line block ×8, first 2 shown]
	v_fma_f64 v[56:57], -v[2:3], v[38:39], 1.0
	v_fma_f64 v[60:61], -v[12:13], v[42:43], 1.0
	;; [unrolled: 1-line block ×8, first 2 shown]
	v_fma_f64 v[38:39], v[38:39], v[56:57], v[38:39]
	v_div_scale_f64 v[56:57], s0, v[28:29], s[88:89], v[28:29]
	v_fma_f64 v[42:43], v[42:43], v[60:61], v[42:43]
	v_div_scale_f64 v[60:61], s2, v[26:27], s[88:89], v[26:27]
	;; [unrolled: 2-line block ×7, first 2 shown]
	v_fma_f64 v[52:53], v[52:53], v[70:71], v[52:53]
	v_mul_f64 v[70:71], v[72:73], v[38:39]
	v_mul_f64 v[74:75], v[56:57], v[40:41]
	;; [unrolled: 1-line block ×8, first 2 shown]
	v_fma_f64 v[2:3], -v[2:3], v[70:71], v[72:73]
	v_fma_f64 v[16:17], -v[16:17], v[74:75], v[56:57]
	;; [unrolled: 1-line block ×8, first 2 shown]
	v_div_fmas_f64 v[2:3], v[2:3], v[38:39], v[70:71]
	s_mov_b32 vcc_lo, s0
	v_div_fmas_f64 v[16:17], v[16:17], v[40:41], v[74:75]
	s_mov_b32 vcc_lo, s1
	;; [unrolled: 2-line block ×7, first 2 shown]
	v_div_fmas_f64 v[36:37], v[36:37], v[52:53], v[86:87]
	v_add_co_u32 v0, vcc_lo, v0, s93
	v_add_co_ci_u32_e32 v1, vcc_lo, 0, v1, vcc_lo
	v_div_fixup_f64 v[2:3], v[2:3], s[88:89], v[10:11]
	v_div_fixup_f64 v[4:5], v[16:17], s[88:89], v[28:29]
	v_div_fixup_f64 v[6:7], v[12:13], s[88:89], v[6:7]
	v_div_fixup_f64 v[10:11], v[8:9], s[88:89], v[22:23]
	v_div_fixup_f64 v[8:9], v[32:33], s[88:89], v[26:27]
	v_lshlrev_b64 v[22:23], 2, v[0:1]
	v_div_fixup_f64 v[12:13], v[34:35], s[88:89], v[24:25]
	s_clause 0x1
	global_store_b128 v[20:21], v[10:13], off
	global_store_b128 v[20:21], v[6:9], off offset:16
	v_div_fixup_f64 v[14:15], v[38:39], s[88:89], v[14:15]
	v_div_fixup_f64 v[16:17], v[36:37], s[88:89], v[30:31]
	v_cmp_le_i64_e32 vcc_lo, s[18:19], v[22:23]
	v_cmp_lt_u64_e64 s0, 0xffff, v[22:23]
	s_clause 0x1
	global_store_b128 v[20:21], v[2:5], off offset:32
	global_store_b128 v[20:21], v[14:17], off offset:48
	s_or_b32 s0, vcc_lo, s0
	s_delay_alu instid0(SALU_CYCLE_1) | instskip(NEXT) | instid1(SALU_CYCLE_1)
	s_and_b32 s0, exec_lo, s0
	s_or_b32 s92, s0, s92
	s_delay_alu instid0(SALU_CYCLE_1)
	s_and_not1_b32 exec_lo, exec_lo, s92
	s_cbranch_execz .LBB186_297
.LBB186_162:                            ; =>This Loop Header: Depth=1
                                        ;     Child Loop BB186_173 Depth 2
                                        ;     Child Loop BB186_207 Depth 2
                                        ;     Child Loop BB186_241 Depth 2
                                        ;     Child Loop BB186_275 Depth 2
	v_lshlrev_b64 v[2:3], 6, v[0:1]
                                        ; implicit-def: $vgpr22_vgpr23
                                        ; implicit-def: $vgpr24_vgpr25
	s_mov_b32 s0, exec_lo
	s_delay_alu instid0(VALU_DEP_1) | instskip(NEXT) | instid1(VALU_DEP_2)
	v_add_co_u32 v20, vcc_lo, s33, v2
	v_add_co_ci_u32_e32 v21, vcc_lo, s102, v3, vcc_lo
	s_clause 0x3
	global_load_b128 v[6:9], v[20:21], off
	global_load_b128 v[10:13], v[20:21], off offset:16
	global_load_b128 v[2:5], v[20:21], off offset:48
	;; [unrolled: 1-line block ×3, first 2 shown]
	s_waitcnt vmcnt(3)
	v_cmpx_o_f64_e32 v[6:7], v[8:9]
	s_xor_b32 s94, exec_lo, s0
	s_cbranch_execz .LBB186_190
; %bb.163:                              ;   in Loop: Header=BB186_162 Depth=1
	v_cmp_lt_f64_e64 s0, |v[6:7]|, |v[8:9]|
	v_and_b32_e32 v19, 0x7fffffff, v7
	v_dual_mov_b32 v27, v8 :: v_dual_and_b32 v26, 0x7fffffff, v9
                                        ; implicit-def: $vgpr22_vgpr23
                                        ; implicit-def: $vgpr24_vgpr25
	s_mov_b32 s1, exec_lo
	s_delay_alu instid0(VALU_DEP_1) | instskip(NEXT) | instid1(VALU_DEP_2)
	v_cndmask_b32_e64 v29, v26, v19, s0
	v_cndmask_b32_e64 v28, v27, v6, s0
	s_delay_alu instid0(VALU_DEP_1)
	v_cmpx_nlt_f64_e32 s[12:13], v[28:29]
	s_xor_b32 s95, exec_lo, s1
	s_cbranch_execz .LBB186_187
; %bb.164:                              ;   in Loop: Header=BB186_162 Depth=1
	v_cndmask_b32_e64 v31, v19, v26, s0
	v_cndmask_b32_e64 v30, v6, v27, s0
                                        ; implicit-def: $vgpr22_vgpr23
                                        ; implicit-def: $vgpr24_vgpr25
	s_mov_b32 s1, exec_lo
	s_delay_alu instid0(VALU_DEP_1)
	v_cmpx_neq_f64_e32 1.0, v[30:31]
	s_xor_b32 s96, exec_lo, s1
	s_cbranch_execz .LBB186_180
; %bb.165:                              ;   in Loop: Header=BB186_162 Depth=1
	v_max_f64 v[22:23], v[28:29], v[28:29]
	v_max_f64 v[24:25], v[30:31], v[30:31]
	s_delay_alu instid0(VALU_DEP_1) | instskip(SKIP_1) | instid1(VALU_DEP_2)
	v_min_f64 v[26:27], v[24:25], v[22:23]
	v_max_f64 v[22:23], v[24:25], v[22:23]
                                        ; implicit-def: $vgpr24_vgpr25
	v_cmp_ngt_f64_e32 vcc_lo, s[14:15], v[26:27]
	s_delay_alu instid0(VALU_DEP_2) | instskip(NEXT) | instid1(VALU_DEP_1)
	v_cmp_nlt_f64_e64 s1, s[16:17], v[22:23]
                                        ; implicit-def: $vgpr22_vgpr23
	s_and_b32 s1, s1, vcc_lo
	s_delay_alu instid0(SALU_CYCLE_1) | instskip(NEXT) | instid1(SALU_CYCLE_1)
	s_and_saveexec_b32 s2, s1
	s_xor_b32 s97, exec_lo, s2
	s_cbranch_execz .LBB186_177
; %bb.166:                              ;   in Loop: Header=BB186_162 Depth=1
                                        ; implicit-def: $vgpr22_vgpr23
                                        ; implicit-def: $vgpr24_vgpr25
	s_mov_b32 s1, exec_lo
	v_cmpx_le_f64_e32 1.0, v[30:31]
	s_xor_b32 s2, exec_lo, s1
	s_cbranch_execz .LBB186_168
; %bb.167:                              ;   in Loop: Header=BB186_162 Depth=1
	v_add_f64 v[22:23], v[30:31], -1.0
	v_add_f64 v[24:25], v[30:31], 1.0
	s_mov_b32 s91, s21
	s_mov_b32 s10, s80
	v_cmp_gt_i32_e64 s1, 0, v7
	v_cmp_class_f64_e64 s4, v[6:7], 0x204
	v_cmp_class_f64_e64 s3, v[8:9], 0x204
	s_delay_alu instid0(VALU_DEP_4) | instskip(NEXT) | instid1(VALU_DEP_1)
	v_mul_f64 v[22:23], v[22:23], v[24:25]
	v_fma_f64 v[23:24], v[28:29], v[28:29], v[22:23]
	s_delay_alu instid0(VALU_DEP_1) | instskip(NEXT) | instid1(VALU_DEP_1)
	v_add_f64 v[25:26], v[23:24], 1.0
	v_frexp_mant_f64_e32 v[27:28], v[25:26]
	v_frexp_exp_i32_f64_e32 v19, v[25:26]
	v_add_f64 v[29:30], v[25:26], -1.0
	s_delay_alu instid0(VALU_DEP_3) | instskip(NEXT) | instid1(VALU_DEP_2)
	v_cmp_gt_f64_e32 vcc_lo, s[20:21], v[27:28]
	v_add_f64 v[27:28], v[29:30], -v[25:26]
	v_add_f64 v[29:30], v[23:24], -v[29:30]
	v_subrev_co_ci_u32_e32 v19, vcc_lo, 0, v19, vcc_lo
	s_delay_alu instid0(VALU_DEP_3) | instskip(NEXT) | instid1(VALU_DEP_2)
	v_add_f64 v[27:28], v[27:28], 1.0
	v_sub_nc_u32_e32 v22, 0, v19
	s_delay_alu instid0(VALU_DEP_1) | instskip(NEXT) | instid1(VALU_DEP_3)
	v_ldexp_f64 v[25:26], v[25:26], v22
	v_add_f64 v[27:28], v[29:30], v[27:28]
	s_delay_alu instid0(VALU_DEP_2) | instskip(SKIP_1) | instid1(VALU_DEP_3)
	v_add_f64 v[31:32], v[25:26], 1.0
	v_add_f64 v[37:38], v[25:26], -1.0
	v_ldexp_f64 v[27:28], v[27:28], v22
	s_delay_alu instid0(VALU_DEP_3) | instskip(NEXT) | instid1(VALU_DEP_3)
	v_add_f64 v[29:30], v[31:32], -1.0
	v_add_f64 v[39:40], v[37:38], 1.0
	s_delay_alu instid0(VALU_DEP_2) | instskip(NEXT) | instid1(VALU_DEP_2)
	v_add_f64 v[29:30], v[25:26], -v[29:30]
	v_add_f64 v[25:26], v[25:26], -v[39:40]
	s_delay_alu instid0(VALU_DEP_2) | instskip(NEXT) | instid1(VALU_DEP_2)
	v_add_f64 v[29:30], v[27:28], v[29:30]
	v_add_f64 v[25:26], v[27:28], v[25:26]
	s_delay_alu instid0(VALU_DEP_2) | instskip(NEXT) | instid1(VALU_DEP_2)
	v_add_f64 v[33:34], v[31:32], v[29:30]
	v_add_f64 v[39:40], v[37:38], v[25:26]
	s_delay_alu instid0(VALU_DEP_2) | instskip(SKIP_1) | instid1(VALU_DEP_2)
	v_rcp_f64_e32 v[35:36], v[33:34]
	v_add_f64 v[31:32], v[33:34], -v[31:32]
	v_add_f64 v[37:38], v[39:40], -v[37:38]
	s_delay_alu instid0(VALU_DEP_2) | instskip(SKIP_3) | instid1(VALU_DEP_2)
	v_add_f64 v[29:30], v[29:30], -v[31:32]
	s_waitcnt_depctr 0xfff
	v_fma_f64 v[41:42], -v[33:34], v[35:36], 1.0
	v_add_f64 v[25:26], v[25:26], -v[37:38]
	v_fma_f64 v[35:36], v[41:42], v[35:36], v[35:36]
	s_delay_alu instid0(VALU_DEP_1) | instskip(NEXT) | instid1(VALU_DEP_1)
	v_fma_f64 v[27:28], -v[33:34], v[35:36], 1.0
	v_fma_f64 v[27:28], v[27:28], v[35:36], v[35:36]
	s_delay_alu instid0(VALU_DEP_1) | instskip(NEXT) | instid1(VALU_DEP_1)
	v_mul_f64 v[35:36], v[39:40], v[27:28]
	v_mul_f64 v[41:42], v[33:34], v[35:36]
	s_delay_alu instid0(VALU_DEP_1) | instskip(NEXT) | instid1(VALU_DEP_1)
	v_fma_f64 v[31:32], v[35:36], v[33:34], -v[41:42]
	v_fma_f64 v[31:32], v[35:36], v[29:30], v[31:32]
	s_delay_alu instid0(VALU_DEP_1) | instskip(NEXT) | instid1(VALU_DEP_1)
	v_add_f64 v[43:44], v[41:42], v[31:32]
	v_add_f64 v[45:46], v[39:40], -v[43:44]
	v_add_f64 v[37:38], v[43:44], -v[41:42]
	v_max_f64 v[41:42], |v[8:9]|, |v[8:9]|
	s_delay_alu instid0(VALU_DEP_3) | instskip(NEXT) | instid1(VALU_DEP_3)
	v_add_f64 v[39:40], v[39:40], -v[45:46]
	v_add_f64 v[31:32], v[37:38], -v[31:32]
	s_delay_alu instid0(VALU_DEP_2) | instskip(SKIP_2) | instid1(VALU_DEP_1)
	v_add_f64 v[39:40], v[39:40], -v[43:44]
	v_max_f64 v[43:44], |v[6:7]|, |v[6:7]|
	v_cndmask_b32_e64 v6, 0x3fe921fb, v55, s1
	v_bfi_b32 v6, 0x7fffffff, v6, v9
	s_delay_alu instid0(VALU_DEP_4) | instskip(NEXT) | instid1(VALU_DEP_4)
	v_add_f64 v[25:26], v[25:26], v[39:40]
	v_max_f64 v[47:48], v[43:44], v[41:42]
	v_min_f64 v[41:42], v[43:44], v[41:42]
	s_delay_alu instid0(VALU_DEP_3) | instskip(NEXT) | instid1(VALU_DEP_1)
	v_add_f64 v[25:26], v[31:32], v[25:26]
	v_add_f64 v[31:32], v[45:46], v[25:26]
	s_delay_alu instid0(VALU_DEP_1) | instskip(SKIP_1) | instid1(VALU_DEP_2)
	v_mul_f64 v[37:38], v[27:28], v[31:32]
	v_add_f64 v[45:46], v[45:46], -v[31:32]
	v_mul_f64 v[39:40], v[33:34], v[37:38]
	s_delay_alu instid0(VALU_DEP_2) | instskip(NEXT) | instid1(VALU_DEP_2)
	v_add_f64 v[25:26], v[25:26], v[45:46]
	v_fma_f64 v[33:34], v[37:38], v[33:34], -v[39:40]
	s_delay_alu instid0(VALU_DEP_1) | instskip(SKIP_1) | instid1(VALU_DEP_2)
	v_fma_f64 v[29:30], v[37:38], v[29:30], v[33:34]
	v_div_scale_f64 v[33:34], null, v[47:48], v[47:48], v[41:42]
	v_add_f64 v[43:44], v[39:40], v[29:30]
	s_delay_alu instid0(VALU_DEP_2) | instskip(NEXT) | instid1(VALU_DEP_1)
	v_rcp_f64_e32 v[49:50], v[33:34]
	v_add_f64 v[51:52], v[31:32], -v[43:44]
	v_add_f64 v[39:40], v[43:44], -v[39:40]
	s_waitcnt_depctr 0xfff
	v_fma_f64 v[56:57], -v[33:34], v[49:50], 1.0
	v_add_f64 v[31:32], v[31:32], -v[51:52]
	v_add_f64 v[29:30], v[39:40], -v[29:30]
	s_delay_alu instid0(VALU_DEP_3) | instskip(NEXT) | instid1(VALU_DEP_3)
	v_fma_f64 v[49:50], v[49:50], v[56:57], v[49:50]
	v_add_f64 v[31:32], v[31:32], -v[43:44]
	s_delay_alu instid0(VALU_DEP_2) | instskip(NEXT) | instid1(VALU_DEP_2)
	v_fma_f64 v[43:44], -v[33:34], v[49:50], 1.0
	v_add_f64 v[25:26], v[25:26], v[31:32]
	v_div_scale_f64 v[31:32], vcc_lo, v[41:42], v[47:48], v[41:42]
	s_delay_alu instid0(VALU_DEP_3) | instskip(SKIP_1) | instid1(VALU_DEP_4)
	v_fma_f64 v[39:40], v[49:50], v[43:44], v[49:50]
	v_add_f64 v[43:44], v[35:36], v[37:38]
	v_add_f64 v[25:26], v[29:30], v[25:26]
	s_delay_alu instid0(VALU_DEP_3) | instskip(NEXT) | instid1(VALU_DEP_3)
	v_mul_f64 v[29:30], v[31:32], v[39:40]
	v_add_f64 v[35:36], v[43:44], -v[35:36]
	s_delay_alu instid0(VALU_DEP_3) | instskip(NEXT) | instid1(VALU_DEP_3)
	v_add_f64 v[25:26], v[51:52], v[25:26]
	v_fma_f64 v[31:32], -v[33:34], v[29:30], v[31:32]
	s_delay_alu instid0(VALU_DEP_3) | instskip(NEXT) | instid1(VALU_DEP_3)
	v_add_f64 v[33:34], v[37:38], -v[35:36]
	v_mul_f64 v[25:26], v[27:28], v[25:26]
	s_delay_alu instid0(VALU_DEP_3) | instskip(SKIP_1) | instid1(VALU_DEP_3)
	v_div_fmas_f64 v[27:28], v[31:32], v[39:40], v[29:30]
	v_cmp_eq_f64_e32 vcc_lo, 0x7ff00000, v[23:24]
	v_add_f64 v[25:26], v[33:34], v[25:26]
	s_delay_alu instid0(VALU_DEP_3) | instskip(NEXT) | instid1(VALU_DEP_2)
	v_div_fixup_f64 v[27:28], v[27:28], v[47:48], v[41:42]
	v_add_f64 v[29:30], v[43:44], v[25:26]
	s_delay_alu instid0(VALU_DEP_2) | instskip(NEXT) | instid1(VALU_DEP_2)
	v_mul_f64 v[31:32], v[27:28], v[27:28]
	v_mul_f64 v[33:34], v[29:30], v[29:30]
	s_delay_alu instid0(VALU_DEP_2) | instskip(NEXT) | instid1(VALU_DEP_2)
	v_fma_f64 v[35:36], v[31:32], s[42:43], s[40:41]
	v_fma_f64 v[37:38], v[33:34], s[24:25], s[22:23]
	v_mul_f64 v[39:40], v[29:30], v[33:34]
	s_delay_alu instid0(VALU_DEP_3) | instskip(NEXT) | instid1(VALU_DEP_3)
	v_fma_f64 v[35:36], v[31:32], v[35:36], s[44:45]
	v_fma_f64 v[37:38], v[33:34], v[37:38], s[26:27]
	s_delay_alu instid0(VALU_DEP_2) | instskip(NEXT) | instid1(VALU_DEP_2)
	v_fma_f64 v[35:36], v[31:32], v[35:36], s[46:47]
	v_fma_f64 v[37:38], v[33:34], v[37:38], s[28:29]
	s_delay_alu instid0(VALU_DEP_2) | instskip(NEXT) | instid1(VALU_DEP_2)
	;; [unrolled: 3-line block ×4, first 2 shown]
	v_fma_f64 v[35:36], v[31:32], v[35:36], s[52:53]
	v_fma_f64 v[33:34], v[33:34], v[37:38], s[90:91]
	v_ldexp_f64 v[37:38], v[29:30], 1
	v_add_f64 v[29:30], v[29:30], -v[43:44]
	s_delay_alu instid0(VALU_DEP_4) | instskip(NEXT) | instid1(VALU_DEP_4)
	v_fma_f64 v[35:36], v[31:32], v[35:36], s[54:55]
	v_mul_f64 v[33:34], v[39:40], v[33:34]
	v_cvt_f64_i32_e32 v[39:40], v19
	s_delay_alu instid0(VALU_DEP_4) | instskip(NEXT) | instid1(VALU_DEP_4)
	v_add_f64 v[25:26], v[25:26], -v[29:30]
	v_fma_f64 v[35:36], v[31:32], v[35:36], s[56:57]
	v_ashrrev_i32_e32 v19, 31, v7
	s_delay_alu instid0(VALU_DEP_1) | instskip(SKIP_4) | instid1(VALU_DEP_4)
	v_and_b32_e32 v22, 0x54442d18, v19
	v_add_f64 v[41:42], v[37:38], v[33:34]
	v_mul_f64 v[43:44], v[39:40], s[36:37]
	v_ldexp_f64 v[25:26], v[25:26], 1
	v_fma_f64 v[35:36], v[31:32], v[35:36], s[58:59]
	v_add_f64 v[29:30], v[41:42], -v[37:38]
	s_delay_alu instid0(VALU_DEP_4) | instskip(NEXT) | instid1(VALU_DEP_3)
	v_fma_f64 v[37:38], v[39:40], s[36:37], -v[43:44]
	v_fma_f64 v[35:36], v[31:32], v[35:36], s[60:61]
	s_delay_alu instid0(VALU_DEP_3) | instskip(NEXT) | instid1(VALU_DEP_2)
	v_add_f64 v[29:30], v[33:34], -v[29:30]
	v_fma_f64 v[33:34], v[31:32], v[35:36], s[62:63]
	s_delay_alu instid0(VALU_DEP_4) | instskip(NEXT) | instid1(VALU_DEP_3)
	v_fma_f64 v[35:36], v[39:40], s[38:39], v[37:38]
	v_add_f64 v[25:26], v[25:26], v[29:30]
	s_delay_alu instid0(VALU_DEP_3) | instskip(NEXT) | instid1(VALU_DEP_3)
	v_fma_f64 v[29:30], v[31:32], v[33:34], s[64:65]
	v_add_f64 v[33:34], v[43:44], v[35:36]
	s_delay_alu instid0(VALU_DEP_3) | instskip(NEXT) | instid1(VALU_DEP_3)
	v_add_f64 v[37:38], v[41:42], v[25:26]
	v_fma_f64 v[29:30], v[31:32], v[29:30], s[66:67]
	s_delay_alu instid0(VALU_DEP_3) | instskip(NEXT) | instid1(VALU_DEP_3)
	v_add_f64 v[43:44], v[33:34], -v[43:44]
	v_add_f64 v[39:40], v[33:34], v[37:38]
	v_add_f64 v[41:42], v[37:38], -v[41:42]
	s_delay_alu instid0(VALU_DEP_4) | instskip(NEXT) | instid1(VALU_DEP_4)
	v_fma_f64 v[29:30], v[31:32], v[29:30], s[68:69]
	v_add_f64 v[35:36], v[35:36], -v[43:44]
	s_delay_alu instid0(VALU_DEP_4) | instskip(NEXT) | instid1(VALU_DEP_4)
	v_add_f64 v[45:46], v[39:40], -v[33:34]
	v_add_f64 v[25:26], v[25:26], -v[41:42]
	s_delay_alu instid0(VALU_DEP_4) | instskip(NEXT) | instid1(VALU_DEP_3)
	v_fma_f64 v[29:30], v[31:32], v[29:30], s[70:71]
	v_add_f64 v[47:48], v[39:40], -v[45:46]
	v_add_f64 v[37:38], v[37:38], -v[45:46]
	s_delay_alu instid0(VALU_DEP_4) | instskip(NEXT) | instid1(VALU_DEP_4)
	v_add_f64 v[41:42], v[35:36], v[25:26]
	v_fma_f64 v[29:30], v[31:32], v[29:30], s[72:73]
	s_delay_alu instid0(VALU_DEP_4) | instskip(NEXT) | instid1(VALU_DEP_2)
	v_add_f64 v[33:34], v[33:34], -v[47:48]
	v_fma_f64 v[29:30], v[31:32], v[29:30], s[74:75]
	s_delay_alu instid0(VALU_DEP_2) | instskip(SKIP_1) | instid1(VALU_DEP_3)
	v_add_f64 v[33:34], v[37:38], v[33:34]
	v_add_f64 v[37:38], v[41:42], -v[35:36]
	v_fma_f64 v[29:30], v[31:32], v[29:30], s[76:77]
	s_delay_alu instid0(VALU_DEP_3) | instskip(NEXT) | instid1(VALU_DEP_3)
	v_add_f64 v[33:34], v[41:42], v[33:34]
	v_add_f64 v[41:42], v[41:42], -v[37:38]
	v_add_f64 v[25:26], v[25:26], -v[37:38]
	s_delay_alu instid0(VALU_DEP_4) | instskip(NEXT) | instid1(VALU_DEP_4)
	v_fma_f64 v[29:30], v[31:32], v[29:30], s[78:79]
	v_add_f64 v[43:44], v[39:40], v[33:34]
	s_delay_alu instid0(VALU_DEP_2) | instskip(SKIP_1) | instid1(VALU_DEP_3)
	v_mul_f64 v[29:30], v[31:32], v[29:30]
	v_add_f64 v[31:32], v[35:36], -v[41:42]
	v_add_f64 v[35:36], v[43:44], -v[39:40]
	s_delay_alu instid0(VALU_DEP_3) | instskip(NEXT) | instid1(VALU_DEP_3)
	v_fma_f64 v[27:28], v[27:28], v[29:30], v[27:28]
	v_add_f64 v[25:26], v[25:26], v[31:32]
	s_delay_alu instid0(VALU_DEP_3) | instskip(NEXT) | instid1(VALU_DEP_3)
	v_add_f64 v[29:30], v[33:34], -v[35:36]
	v_add_f64 v[31:32], -v[27:28], s[80:81]
	s_delay_alu instid0(VALU_DEP_2) | instskip(NEXT) | instid1(VALU_DEP_2)
	v_add_f64 v[25:26], v[25:26], v[29:30]
	v_cndmask_b32_e64 v28, v28, v32, s0
	s_delay_alu instid0(VALU_DEP_3) | instskip(SKIP_1) | instid1(VALU_DEP_2)
	v_cndmask_b32_e64 v27, v27, v31, s0
	v_cndmask_b32_e64 v31, 0x54442d18, v54, s1
	v_add_f64 v[29:30], -v[27:28], s[10:11]
	v_add_f64 v[25:26], v[43:44], v[25:26]
	s_delay_alu instid0(VALU_DEP_2) | instskip(NEXT) | instid1(VALU_DEP_2)
	v_cndmask_b32_e64 v29, v27, v29, s1
	v_dual_cndmask_b32 v26, v26, v24 :: v_dual_cndmask_b32 v25, v25, v23
	v_cmp_eq_f64_e32 vcc_lo, 0, v[8:9]
	v_and_b32_e32 v7, 0x400921fb, v19
	v_cndmask_b32_e64 v19, v28, v30, s1
	v_cmp_nge_f64_e64 s1, -1.0, v[23:24]
	v_mul_f64 v[26:27], v[25:26], 0.5
	s_delay_alu instid0(VALU_DEP_3) | instskip(SKIP_1) | instid1(VALU_DEP_3)
	v_dual_cndmask_b32 v28, v29, v22 :: v_dual_cndmask_b32 v7, v19, v7
	v_cmp_ngt_f64_e32 vcc_lo, -1.0, v[23:24]
	v_cndmask_b32_e64 v22, 0, v26, s1
	v_cmp_neq_f64_e64 s1, -1.0, v[23:24]
	v_cndmask_b32_e32 v19, 0x7ff80000, v27, vcc_lo
	s_and_b32 vcc_lo, s4, s3
	v_dual_cndmask_b32 v25, v7, v6 :: v_dual_cndmask_b32 v24, v28, v31
	s_delay_alu instid0(VALU_DEP_2)
	v_cndmask_b32_e64 v23, 0xfff00000, v19, s1
                                        ; implicit-def: $vgpr28_vgpr29
                                        ; implicit-def: $vgpr30_vgpr31
.LBB186_168:                            ;   in Loop: Header=BB186_162 Depth=1
	s_and_not1_saveexec_b32 s98, s2
	s_cbranch_execz .LBB186_176
; %bb.169:                              ;   in Loop: Header=BB186_162 Depth=1
	v_mul_f64 v[22:23], v[28:29], v[28:29]
                                        ; implicit-def: $vgpr24_vgpr25
	s_mov_b32 s1, exec_lo
	s_delay_alu instid0(VALU_DEP_1) | instskip(NEXT) | instid1(VALU_DEP_1)
	v_fma_f64 v[26:27], v[30:31], v[30:31], v[22:23]
                                        ; implicit-def: $vgpr22_vgpr23
	v_cmpx_ge_f64_e32 s[82:83], v[26:27]
	s_xor_b32 s3, exec_lo, s1
	s_cbranch_execz .LBB186_171
; %bb.170:                              ;   in Loop: Header=BB186_162 Depth=1
	v_frexp_mant_f64_e32 v[22:23], v[26:27]
	v_max_f64 v[34:35], |v[6:7]|, |v[6:7]|
	s_mov_b32 s91, s21
	s_mov_b32 s10, s80
	v_cmp_class_f64_e64 s4, v[8:9], 0x204
	v_cmp_class_f64_e64 s5, v[6:7], 0x204
	v_cmp_neq_f64_e64 s2, 0, v[26:27]
	v_cmp_gt_f64_e64 s1, s[20:21], v[22:23]
	s_delay_alu instid0(VALU_DEP_1) | instskip(NEXT) | instid1(VALU_DEP_1)
	v_cndmask_b32_e64 v19, 0x3ff00000, 2.0, s1
	v_mul_f64 v[22:23], v[22:23], v[18:19]
	v_frexp_exp_i32_f64_e32 v19, v[26:27]
	s_delay_alu instid0(VALU_DEP_2) | instskip(SKIP_1) | instid1(VALU_DEP_2)
	v_add_f64 v[24:25], v[22:23], 1.0
	v_add_f64 v[32:33], v[22:23], -1.0
	v_rcp_f64_e32 v[28:29], v[24:25]
	s_waitcnt_depctr 0xfff
	v_fma_f64 v[30:31], -v[24:25], v[28:29], 1.0
	s_delay_alu instid0(VALU_DEP_1) | instskip(NEXT) | instid1(VALU_DEP_1)
	v_fma_f64 v[28:29], v[30:31], v[28:29], v[28:29]
	v_fma_f64 v[30:31], -v[24:25], v[28:29], 1.0
	s_delay_alu instid0(VALU_DEP_1) | instskip(SKIP_1) | instid1(VALU_DEP_2)
	v_fma_f64 v[28:29], v[30:31], v[28:29], v[28:29]
	v_max_f64 v[30:31], |v[8:9]|, |v[8:9]|
	v_mul_f64 v[36:37], v[32:33], v[28:29]
	s_delay_alu instid0(VALU_DEP_2) | instskip(SKIP_2) | instid1(VALU_DEP_4)
	v_max_f64 v[38:39], v[34:35], v[30:31]
	v_min_f64 v[30:31], v[34:35], v[30:31]
	v_add_f64 v[34:35], v[24:25], -1.0
	v_mul_f64 v[40:41], v[24:25], v[36:37]
	s_delay_alu instid0(VALU_DEP_3) | instskip(NEXT) | instid1(VALU_DEP_3)
	v_div_scale_f64 v[42:43], null, v[38:39], v[38:39], v[30:31]
	v_add_f64 v[22:23], v[22:23], -v[34:35]
	v_div_scale_f64 v[48:49], vcc_lo, v[30:31], v[38:39], v[30:31]
	s_delay_alu instid0(VALU_DEP_4) | instskip(NEXT) | instid1(VALU_DEP_4)
	v_fma_f64 v[24:25], v[36:37], v[24:25], -v[40:41]
	v_rcp_f64_e32 v[34:35], v[42:43]
	s_delay_alu instid0(VALU_DEP_1) | instskip(SKIP_3) | instid1(VALU_DEP_2)
	v_fma_f64 v[22:23], v[36:37], v[22:23], v[24:25]
	s_waitcnt_depctr 0xfff
	v_fma_f64 v[24:25], -v[42:43], v[34:35], 1.0
	v_add_f64 v[44:45], v[40:41], v[22:23]
	v_fma_f64 v[24:25], v[34:35], v[24:25], v[34:35]
	s_delay_alu instid0(VALU_DEP_2) | instskip(SKIP_1) | instid1(VALU_DEP_3)
	v_add_f64 v[34:35], v[32:33], -v[44:45]
	v_add_f64 v[40:41], v[44:45], -v[40:41]
	v_fma_f64 v[46:47], -v[42:43], v[24:25], 1.0
	s_delay_alu instid0(VALU_DEP_3) | instskip(NEXT) | instid1(VALU_DEP_3)
	v_add_f64 v[32:33], v[32:33], -v[34:35]
	v_add_f64 v[22:23], v[40:41], -v[22:23]
	s_delay_alu instid0(VALU_DEP_3) | instskip(NEXT) | instid1(VALU_DEP_3)
	v_fma_f64 v[24:25], v[24:25], v[46:47], v[24:25]
	v_add_f64 v[32:33], v[32:33], -v[44:45]
	s_delay_alu instid0(VALU_DEP_2) | instskip(NEXT) | instid1(VALU_DEP_2)
	v_mul_f64 v[40:41], v[48:49], v[24:25]
	v_add_f64 v[22:23], v[22:23], v[32:33]
	s_delay_alu instid0(VALU_DEP_2) | instskip(NEXT) | instid1(VALU_DEP_2)
	v_fma_f64 v[32:33], -v[42:43], v[40:41], v[48:49]
	v_add_f64 v[22:23], v[34:35], v[22:23]
	s_delay_alu instid0(VALU_DEP_2)
	v_div_fmas_f64 v[24:25], v[32:33], v[24:25], v[40:41]
	v_subrev_co_ci_u32_e64 v19, vcc_lo, 0, v19, s1
	v_cmp_eq_f64_e64 s1, 0, v[8:9]
	v_cmp_gt_i32_e32 vcc_lo, 0, v7
	v_mul_f64 v[22:23], v[28:29], v[22:23]
	v_div_fixup_f64 v[24:25], v[24:25], v[38:39], v[30:31]
	s_delay_alu instid0(VALU_DEP_2) | instskip(NEXT) | instid1(VALU_DEP_2)
	v_add_f64 v[28:29], v[36:37], v[22:23]
	v_mul_f64 v[30:31], v[24:25], v[24:25]
	s_delay_alu instid0(VALU_DEP_2) | instskip(NEXT) | instid1(VALU_DEP_2)
	v_mul_f64 v[32:33], v[28:29], v[28:29]
	v_fma_f64 v[34:35], v[30:31], s[42:43], s[40:41]
	s_delay_alu instid0(VALU_DEP_2) | instskip(SKIP_1) | instid1(VALU_DEP_3)
	v_fma_f64 v[38:39], v[32:33], s[24:25], s[22:23]
	v_mul_f64 v[40:41], v[28:29], v[32:33]
	v_fma_f64 v[34:35], v[30:31], v[34:35], s[44:45]
	s_delay_alu instid0(VALU_DEP_3) | instskip(NEXT) | instid1(VALU_DEP_2)
	v_fma_f64 v[38:39], v[32:33], v[38:39], s[26:27]
	v_fma_f64 v[34:35], v[30:31], v[34:35], s[46:47]
	s_delay_alu instid0(VALU_DEP_2) | instskip(NEXT) | instid1(VALU_DEP_2)
	v_fma_f64 v[38:39], v[32:33], v[38:39], s[28:29]
	v_fma_f64 v[34:35], v[30:31], v[34:35], s[48:49]
	s_delay_alu instid0(VALU_DEP_2) | instskip(NEXT) | instid1(VALU_DEP_2)
	;; [unrolled: 3-line block ×3, first 2 shown]
	v_fma_f64 v[38:39], v[32:33], v[38:39], s[34:35]
	v_fma_f64 v[34:35], v[30:31], v[34:35], s[52:53]
	s_delay_alu instid0(VALU_DEP_2) | instskip(SKIP_2) | instid1(VALU_DEP_4)
	v_fma_f64 v[32:33], v[32:33], v[38:39], s[90:91]
	v_ldexp_f64 v[38:39], v[28:29], 1
	v_add_f64 v[28:29], v[28:29], -v[36:37]
	v_fma_f64 v[34:35], v[30:31], v[34:35], s[54:55]
	s_delay_alu instid0(VALU_DEP_4) | instskip(SKIP_1) | instid1(VALU_DEP_4)
	v_mul_f64 v[32:33], v[40:41], v[32:33]
	v_cvt_f64_i32_e32 v[40:41], v19
	v_add_f64 v[22:23], v[22:23], -v[28:29]
	v_ashrrev_i32_e32 v19, 31, v7
	v_fma_f64 v[34:35], v[30:31], v[34:35], s[56:57]
	v_add_f64 v[36:37], v[38:39], v[32:33]
	v_mul_f64 v[42:43], v[40:41], s[36:37]
	v_ldexp_f64 v[22:23], v[22:23], 1
	s_delay_alu instid0(VALU_DEP_4) | instskip(NEXT) | instid1(VALU_DEP_4)
	v_fma_f64 v[34:35], v[30:31], v[34:35], s[58:59]
	v_add_f64 v[28:29], v[36:37], -v[38:39]
	s_delay_alu instid0(VALU_DEP_4) | instskip(NEXT) | instid1(VALU_DEP_3)
	v_fma_f64 v[38:39], v[40:41], s[36:37], -v[42:43]
	v_fma_f64 v[34:35], v[30:31], v[34:35], s[60:61]
	s_delay_alu instid0(VALU_DEP_3) | instskip(NEXT) | instid1(VALU_DEP_2)
	v_add_f64 v[28:29], v[32:33], -v[28:29]
	v_fma_f64 v[32:33], v[30:31], v[34:35], s[62:63]
	s_delay_alu instid0(VALU_DEP_4) | instskip(NEXT) | instid1(VALU_DEP_3)
	v_fma_f64 v[34:35], v[40:41], s[38:39], v[38:39]
	v_add_f64 v[22:23], v[22:23], v[28:29]
	s_delay_alu instid0(VALU_DEP_3) | instskip(NEXT) | instid1(VALU_DEP_3)
	v_fma_f64 v[28:29], v[30:31], v[32:33], s[64:65]
	v_add_f64 v[32:33], v[42:43], v[34:35]
	s_delay_alu instid0(VALU_DEP_3) | instskip(NEXT) | instid1(VALU_DEP_3)
	v_add_f64 v[38:39], v[36:37], v[22:23]
	v_fma_f64 v[28:29], v[30:31], v[28:29], s[66:67]
	s_delay_alu instid0(VALU_DEP_3) | instskip(NEXT) | instid1(VALU_DEP_3)
	v_add_f64 v[42:43], v[32:33], -v[42:43]
	v_add_f64 v[40:41], v[32:33], v[38:39]
	v_add_f64 v[36:37], v[38:39], -v[36:37]
	s_delay_alu instid0(VALU_DEP_4) | instskip(NEXT) | instid1(VALU_DEP_4)
	v_fma_f64 v[28:29], v[30:31], v[28:29], s[68:69]
	v_add_f64 v[34:35], v[34:35], -v[42:43]
	s_delay_alu instid0(VALU_DEP_4) | instskip(NEXT) | instid1(VALU_DEP_4)
	v_add_f64 v[44:45], v[40:41], -v[32:33]
	v_add_f64 v[22:23], v[22:23], -v[36:37]
	s_delay_alu instid0(VALU_DEP_4) | instskip(NEXT) | instid1(VALU_DEP_3)
	v_fma_f64 v[28:29], v[30:31], v[28:29], s[70:71]
	v_add_f64 v[46:47], v[40:41], -v[44:45]
	v_add_f64 v[36:37], v[38:39], -v[44:45]
	s_delay_alu instid0(VALU_DEP_4) | instskip(NEXT) | instid1(VALU_DEP_4)
	v_add_f64 v[38:39], v[34:35], v[22:23]
	v_fma_f64 v[28:29], v[30:31], v[28:29], s[72:73]
	s_delay_alu instid0(VALU_DEP_4) | instskip(NEXT) | instid1(VALU_DEP_2)
	v_add_f64 v[32:33], v[32:33], -v[46:47]
	v_fma_f64 v[28:29], v[30:31], v[28:29], s[74:75]
	s_delay_alu instid0(VALU_DEP_2) | instskip(SKIP_1) | instid1(VALU_DEP_3)
	v_add_f64 v[32:33], v[36:37], v[32:33]
	v_add_f64 v[36:37], v[38:39], -v[34:35]
	v_fma_f64 v[28:29], v[30:31], v[28:29], s[76:77]
	s_delay_alu instid0(VALU_DEP_3) | instskip(NEXT) | instid1(VALU_DEP_3)
	v_add_f64 v[32:33], v[38:39], v[32:33]
	v_add_f64 v[38:39], v[38:39], -v[36:37]
	v_add_f64 v[22:23], v[22:23], -v[36:37]
	s_delay_alu instid0(VALU_DEP_4) | instskip(NEXT) | instid1(VALU_DEP_4)
	v_fma_f64 v[28:29], v[30:31], v[28:29], s[78:79]
	v_add_f64 v[42:43], v[40:41], v[32:33]
	s_delay_alu instid0(VALU_DEP_2) | instskip(SKIP_1) | instid1(VALU_DEP_3)
	v_mul_f64 v[28:29], v[30:31], v[28:29]
	v_add_f64 v[30:31], v[34:35], -v[38:39]
	v_add_f64 v[34:35], v[42:43], -v[40:41]
	s_delay_alu instid0(VALU_DEP_3) | instskip(NEXT) | instid1(VALU_DEP_3)
	v_fma_f64 v[24:25], v[24:25], v[28:29], v[24:25]
	v_add_f64 v[22:23], v[22:23], v[30:31]
	s_delay_alu instid0(VALU_DEP_3) | instskip(NEXT) | instid1(VALU_DEP_3)
	v_add_f64 v[28:29], v[32:33], -v[34:35]
	v_add_f64 v[30:31], -v[24:25], s[80:81]
	s_delay_alu instid0(VALU_DEP_2) | instskip(NEXT) | instid1(VALU_DEP_2)
	v_add_f64 v[22:23], v[22:23], v[28:29]
	v_cndmask_b32_e64 v25, v25, v31, s0
	s_delay_alu instid0(VALU_DEP_3) | instskip(SKIP_2) | instid1(VALU_DEP_3)
	v_cndmask_b32_e64 v24, v24, v30, s0
	v_dual_cndmask_b32 v30, 0x54442d18, v54 :: v_dual_and_b32 v31, 0x54442d18, v19
	v_and_b32_e32 v19, 0x400921fb, v19
	v_add_f64 v[28:29], -v[24:25], s[10:11]
	v_add_f64 v[22:23], v[42:43], v[22:23]
	s_delay_alu instid0(VALU_DEP_2) | instskip(NEXT) | instid1(VALU_DEP_1)
	v_cndmask_b32_e32 v24, v24, v28, vcc_lo
	v_cndmask_b32_e64 v24, v24, v31, s1
	s_delay_alu instid0(VALU_DEP_3) | instskip(SKIP_4) | instid1(VALU_DEP_3)
	v_mul_f64 v[6:7], v[22:23], 0.5
	v_cndmask_b32_e32 v22, 0x3fe921fb, v55, vcc_lo
	v_cndmask_b32_e32 v23, v25, v29, vcc_lo
	s_and_b32 vcc_lo, s5, s4
                                        ; implicit-def: $vgpr28_vgpr29
	v_cndmask_b32_e32 v24, v24, v30, vcc_lo
	v_bfi_b32 v22, 0x7fffffff, v22, v9
	s_delay_alu instid0(VALU_DEP_3) | instskip(NEXT) | instid1(VALU_DEP_1)
	v_cndmask_b32_e64 v19, v23, v19, s1
                                        ; implicit-def: $vgpr30_vgpr31
	v_cndmask_b32_e32 v25, v19, v22, vcc_lo
	v_cndmask_b32_e64 v23, 0xfff00000, v7, s2
	v_cndmask_b32_e64 v22, 0, v6, s2
.LBB186_171:                            ;   in Loop: Header=BB186_162 Depth=1
	s_and_not1_saveexec_b32 s99, s3
	s_cbranch_execz .LBB186_175
; %bb.172:                              ;   in Loop: Header=BB186_162 Depth=1
	v_dual_mov_b32 v24, v18 :: v_dual_and_b32 v19, 0x7ffffff8, v31
	v_and_b32_e32 v25, 0x7ffffff8, v29
	s_mov_b32 s91, 0
	s_delay_alu instid0(VALU_DEP_2) | instskip(SKIP_1) | instid1(VALU_DEP_3)
	v_add_f64 v[22:23], v[30:31], -v[18:19]
	v_mov_b32_e32 v30, v18
	v_add_f64 v[26:27], v[28:29], -v[24:25]
	v_mov_b32_e32 v32, v18
	v_add_f64 v[34:35], v[18:19], v[18:19]
	v_add_f64 v[42:43], v[24:25], v[24:25]
	v_mul_f64 v[28:29], v[24:25], v[24:25]
	v_and_b32_e32 v31, -8, v23
	v_and_b32_e32 v33, -8, v27
	s_delay_alu instid0(VALU_DEP_2) | instskip(SKIP_1) | instid1(VALU_DEP_3)
	v_add_f64 v[44:45], v[22:23], -v[30:31]
	v_add_f64 v[48:49], v[30:31], v[30:31]
	v_add_f64 v[46:47], v[26:27], -v[32:33]
	v_add_f64 v[50:51], v[32:33], v[32:33]
	v_mul_f64 v[22:23], v[18:19], v[18:19]
	v_mul_f64 v[40:41], v[34:35], v[30:31]
	;; [unrolled: 1-line block ×11, first 2 shown]
.LBB186_173:                            ;   Parent Loop BB186_162 Depth=1
                                        ; =>  This Inner Loop Header: Depth=2
	v_cmp_nlt_f64_e32 vcc_lo, v[22:23], v[28:29]
	v_dual_cndmask_b32 v47, v23, v29 :: v_dual_cndmask_b32 v46, v22, v28
	v_dual_cndmask_b32 v23, v29, v23 :: v_dual_cndmask_b32 v22, v28, v22
	s_delay_alu instid0(VALU_DEP_2) | instskip(NEXT) | instid1(VALU_DEP_1)
	v_cmp_nlt_f64_e64 s1, v[46:47], v[40:41]
	v_cndmask_b32_e64 v49, v47, v41, s1
	v_cndmask_b32_e64 v48, v46, v40, s1
	;; [unrolled: 1-line block ×4, first 2 shown]
	s_and_b32 s1, vcc_lo, s1
	s_delay_alu instid0(VALU_DEP_3) | instskip(NEXT) | instid1(VALU_DEP_1)
	v_cmp_nlt_f64_e64 s2, v[48:49], v[26:27]
	v_cndmask_b32_e64 v51, v49, v27, s2
	v_cndmask_b32_e64 v50, v48, v26, s2
	;; [unrolled: 1-line block ×4, first 2 shown]
	s_delay_alu instid0(VALU_DEP_3) | instskip(NEXT) | instid1(VALU_DEP_1)
	v_cmp_nlt_f64_e64 s3, v[50:51], v[38:39]
	v_cndmask_b32_e64 v53, v51, v39, s3
	v_cndmask_b32_e64 v52, v50, v38, s3
	;; [unrolled: 1-line block ×4, first 2 shown]
	s_and_b32 s2, s2, s3
	s_delay_alu instid0(VALU_DEP_3) | instskip(NEXT) | instid1(VALU_DEP_1)
	v_cmp_nlt_f64_e64 s4, v[52:53], v[24:25]
	v_cndmask_b32_e64 v57, v53, v25, s4
	v_cndmask_b32_e64 v56, v52, v24, s4
	;; [unrolled: 1-line block ×4, first 2 shown]
	s_delay_alu instid0(VALU_DEP_3) | instskip(NEXT) | instid1(VALU_DEP_1)
	v_cmp_nlt_f64_e64 s5, v[56:57], v[36:37]
	v_cndmask_b32_e64 v59, v57, v37, s5
	v_cndmask_b32_e64 v58, v56, v36, s5
	s_and_b32 s3, s4, s5
	v_cndmask_b32_e64 v25, v37, v57, s5
	v_cndmask_b32_e64 v24, v36, v56, s5
	s_delay_alu instid0(VALU_DEP_3) | instskip(NEXT) | instid1(VALU_DEP_1)
	v_cmp_nlt_f64_e64 s6, v[58:59], v[34:35]
	v_cndmask_b32_e64 v61, v59, v35, s6
	v_cndmask_b32_e64 v60, v58, v34, s6
	s_and_b32 s3, s3, s6
	v_cndmask_b32_e64 v37, v35, v59, s6
	v_cndmask_b32_e64 v36, v34, v58, s6
	;; [unrolled: 7-line block ×5, first 2 shown]
	s_delay_alu instid0(VALU_DEP_3) | instskip(NEXT) | instid1(VALU_DEP_1)
	v_cmp_nlt_f64_e64 s10, v[66:67], v[44:45]
	v_cndmask_b32_e64 v47, v67, v45, s10
	v_cndmask_b32_e64 v46, v66, v44, s10
	s_and_b32 s3, s3, s10
	v_cndmask_b32_e64 v43, v45, v67, s10
	s_and_b32 s2, s3, s2
	;; [unrolled: 2-line block ×3, first 2 shown]
	v_dual_mov_b32 v44, v46 :: v_dual_mov_b32 v45, v47
	s_and_b32 s1, exec_lo, s1
	s_delay_alu instid0(SALU_CYCLE_1) | instskip(NEXT) | instid1(SALU_CYCLE_1)
	s_or_b32 s91, s1, s91
	s_and_not1_b32 exec_lo, exec_lo, s91
	s_cbranch_execnz .LBB186_173
; %bb.174:                              ;   in Loop: Header=BB186_162 Depth=1
	s_or_b32 exec_lo, exec_lo, s91
	v_add_f64 v[22:23], v[22:23], -1.0
	s_mov_b32 s91, s21
	s_mov_b32 s10, s80
	v_cmp_gt_i32_e64 s1, 0, v7
	v_cmp_class_f64_e64 s3, v[6:7], 0x204
	v_cmp_class_f64_e64 s2, v[8:9], 0x204
	s_delay_alu instid0(VALU_DEP_4) | instskip(NEXT) | instid1(VALU_DEP_1)
	v_add_f64 v[22:23], v[22:23], v[28:29]
	v_add_f64 v[22:23], v[22:23], v[40:41]
	s_delay_alu instid0(VALU_DEP_1) | instskip(NEXT) | instid1(VALU_DEP_1)
	v_add_f64 v[22:23], v[22:23], v[26:27]
	v_add_f64 v[22:23], v[22:23], v[38:39]
	s_delay_alu instid0(VALU_DEP_1) | instskip(NEXT) | instid1(VALU_DEP_1)
	;; [unrolled: 3-line block ×5, first 2 shown]
	v_add_f64 v[23:24], v[46:47], v[22:23]
	v_add_f64 v[25:26], v[23:24], 1.0
	s_delay_alu instid0(VALU_DEP_1) | instskip(SKIP_2) | instid1(VALU_DEP_3)
	v_frexp_mant_f64_e32 v[27:28], v[25:26]
	v_frexp_exp_i32_f64_e32 v19, v[25:26]
	v_add_f64 v[29:30], v[25:26], -1.0
	v_cmp_gt_f64_e32 vcc_lo, s[20:21], v[27:28]
	s_delay_alu instid0(VALU_DEP_2) | instskip(SKIP_2) | instid1(VALU_DEP_3)
	v_add_f64 v[27:28], v[29:30], -v[25:26]
	v_add_f64 v[29:30], v[23:24], -v[29:30]
	v_subrev_co_ci_u32_e32 v19, vcc_lo, 0, v19, vcc_lo
	v_add_f64 v[27:28], v[27:28], 1.0
	s_delay_alu instid0(VALU_DEP_2) | instskip(NEXT) | instid1(VALU_DEP_1)
	v_sub_nc_u32_e32 v22, 0, v19
	v_ldexp_f64 v[25:26], v[25:26], v22
	s_delay_alu instid0(VALU_DEP_3) | instskip(NEXT) | instid1(VALU_DEP_2)
	v_add_f64 v[27:28], v[29:30], v[27:28]
	v_add_f64 v[31:32], v[25:26], 1.0
	v_add_f64 v[37:38], v[25:26], -1.0
	s_delay_alu instid0(VALU_DEP_3) | instskip(NEXT) | instid1(VALU_DEP_3)
	v_ldexp_f64 v[27:28], v[27:28], v22
	v_add_f64 v[29:30], v[31:32], -1.0
	s_delay_alu instid0(VALU_DEP_3) | instskip(NEXT) | instid1(VALU_DEP_2)
	v_add_f64 v[39:40], v[37:38], 1.0
	v_add_f64 v[29:30], v[25:26], -v[29:30]
	s_delay_alu instid0(VALU_DEP_2) | instskip(NEXT) | instid1(VALU_DEP_2)
	v_add_f64 v[25:26], v[25:26], -v[39:40]
	v_add_f64 v[29:30], v[27:28], v[29:30]
	s_delay_alu instid0(VALU_DEP_2) | instskip(NEXT) | instid1(VALU_DEP_2)
	v_add_f64 v[25:26], v[27:28], v[25:26]
	v_add_f64 v[33:34], v[31:32], v[29:30]
	s_delay_alu instid0(VALU_DEP_2) | instskip(NEXT) | instid1(VALU_DEP_2)
	v_add_f64 v[39:40], v[37:38], v[25:26]
	v_rcp_f64_e32 v[35:36], v[33:34]
	v_add_f64 v[31:32], v[33:34], -v[31:32]
	s_delay_alu instid0(VALU_DEP_2) | instskip(NEXT) | instid1(VALU_DEP_2)
	v_add_f64 v[37:38], v[39:40], -v[37:38]
	v_add_f64 v[29:30], v[29:30], -v[31:32]
	s_waitcnt_depctr 0xfff
	v_fma_f64 v[41:42], -v[33:34], v[35:36], 1.0
	v_add_f64 v[25:26], v[25:26], -v[37:38]
	s_delay_alu instid0(VALU_DEP_2) | instskip(NEXT) | instid1(VALU_DEP_1)
	v_fma_f64 v[35:36], v[41:42], v[35:36], v[35:36]
	v_fma_f64 v[27:28], -v[33:34], v[35:36], 1.0
	s_delay_alu instid0(VALU_DEP_1) | instskip(NEXT) | instid1(VALU_DEP_1)
	v_fma_f64 v[27:28], v[27:28], v[35:36], v[35:36]
	v_mul_f64 v[35:36], v[39:40], v[27:28]
	s_delay_alu instid0(VALU_DEP_1) | instskip(NEXT) | instid1(VALU_DEP_1)
	v_mul_f64 v[41:42], v[33:34], v[35:36]
	v_fma_f64 v[31:32], v[35:36], v[33:34], -v[41:42]
	s_delay_alu instid0(VALU_DEP_1) | instskip(NEXT) | instid1(VALU_DEP_1)
	v_fma_f64 v[31:32], v[35:36], v[29:30], v[31:32]
	v_add_f64 v[43:44], v[41:42], v[31:32]
	s_delay_alu instid0(VALU_DEP_1) | instskip(SKIP_2) | instid1(VALU_DEP_3)
	v_add_f64 v[45:46], v[39:40], -v[43:44]
	v_add_f64 v[37:38], v[43:44], -v[41:42]
	v_max_f64 v[41:42], |v[8:9]|, |v[8:9]|
	v_add_f64 v[39:40], v[39:40], -v[45:46]
	s_delay_alu instid0(VALU_DEP_3) | instskip(NEXT) | instid1(VALU_DEP_2)
	v_add_f64 v[31:32], v[37:38], -v[31:32]
	v_add_f64 v[39:40], v[39:40], -v[43:44]
	v_max_f64 v[43:44], |v[6:7]|, |v[6:7]|
	v_cndmask_b32_e64 v6, 0x3fe921fb, v55, s1
	s_delay_alu instid0(VALU_DEP_1) | instskip(NEXT) | instid1(VALU_DEP_4)
	v_bfi_b32 v6, 0x7fffffff, v6, v9
	v_add_f64 v[25:26], v[25:26], v[39:40]
	s_delay_alu instid0(VALU_DEP_4) | instskip(SKIP_1) | instid1(VALU_DEP_3)
	v_max_f64 v[47:48], v[43:44], v[41:42]
	v_min_f64 v[41:42], v[43:44], v[41:42]
	v_add_f64 v[25:26], v[31:32], v[25:26]
	s_delay_alu instid0(VALU_DEP_1) | instskip(NEXT) | instid1(VALU_DEP_1)
	v_add_f64 v[31:32], v[45:46], v[25:26]
	v_mul_f64 v[37:38], v[27:28], v[31:32]
	v_add_f64 v[45:46], v[45:46], -v[31:32]
	s_delay_alu instid0(VALU_DEP_2) | instskip(NEXT) | instid1(VALU_DEP_2)
	v_mul_f64 v[39:40], v[33:34], v[37:38]
	v_add_f64 v[25:26], v[25:26], v[45:46]
	s_delay_alu instid0(VALU_DEP_2) | instskip(NEXT) | instid1(VALU_DEP_1)
	v_fma_f64 v[33:34], v[37:38], v[33:34], -v[39:40]
	v_fma_f64 v[29:30], v[37:38], v[29:30], v[33:34]
	v_div_scale_f64 v[33:34], null, v[47:48], v[47:48], v[41:42]
	s_delay_alu instid0(VALU_DEP_2) | instskip(NEXT) | instid1(VALU_DEP_2)
	v_add_f64 v[43:44], v[39:40], v[29:30]
	v_rcp_f64_e32 v[49:50], v[33:34]
	s_delay_alu instid0(VALU_DEP_1)
	v_add_f64 v[51:52], v[31:32], -v[43:44]
	v_add_f64 v[39:40], v[43:44], -v[39:40]
	s_waitcnt_depctr 0xfff
	v_fma_f64 v[56:57], -v[33:34], v[49:50], 1.0
	v_add_f64 v[31:32], v[31:32], -v[51:52]
	v_add_f64 v[29:30], v[39:40], -v[29:30]
	s_delay_alu instid0(VALU_DEP_3) | instskip(NEXT) | instid1(VALU_DEP_3)
	v_fma_f64 v[49:50], v[49:50], v[56:57], v[49:50]
	v_add_f64 v[31:32], v[31:32], -v[43:44]
	s_delay_alu instid0(VALU_DEP_2) | instskip(NEXT) | instid1(VALU_DEP_2)
	v_fma_f64 v[43:44], -v[33:34], v[49:50], 1.0
	v_add_f64 v[25:26], v[25:26], v[31:32]
	v_div_scale_f64 v[31:32], vcc_lo, v[41:42], v[47:48], v[41:42]
	s_delay_alu instid0(VALU_DEP_3) | instskip(SKIP_1) | instid1(VALU_DEP_4)
	v_fma_f64 v[39:40], v[49:50], v[43:44], v[49:50]
	v_add_f64 v[43:44], v[35:36], v[37:38]
	v_add_f64 v[25:26], v[29:30], v[25:26]
	s_delay_alu instid0(VALU_DEP_3) | instskip(NEXT) | instid1(VALU_DEP_3)
	v_mul_f64 v[29:30], v[31:32], v[39:40]
	v_add_f64 v[35:36], v[43:44], -v[35:36]
	s_delay_alu instid0(VALU_DEP_3) | instskip(NEXT) | instid1(VALU_DEP_3)
	v_add_f64 v[25:26], v[51:52], v[25:26]
	v_fma_f64 v[31:32], -v[33:34], v[29:30], v[31:32]
	s_delay_alu instid0(VALU_DEP_3) | instskip(NEXT) | instid1(VALU_DEP_3)
	v_add_f64 v[33:34], v[37:38], -v[35:36]
	v_mul_f64 v[25:26], v[27:28], v[25:26]
	s_delay_alu instid0(VALU_DEP_3) | instskip(SKIP_1) | instid1(VALU_DEP_3)
	v_div_fmas_f64 v[27:28], v[31:32], v[39:40], v[29:30]
	v_cmp_eq_f64_e32 vcc_lo, 0x7ff00000, v[23:24]
	v_add_f64 v[25:26], v[33:34], v[25:26]
	s_delay_alu instid0(VALU_DEP_3) | instskip(NEXT) | instid1(VALU_DEP_2)
	v_div_fixup_f64 v[27:28], v[27:28], v[47:48], v[41:42]
	v_add_f64 v[29:30], v[43:44], v[25:26]
	s_delay_alu instid0(VALU_DEP_2) | instskip(NEXT) | instid1(VALU_DEP_2)
	v_mul_f64 v[31:32], v[27:28], v[27:28]
	v_mul_f64 v[33:34], v[29:30], v[29:30]
	s_delay_alu instid0(VALU_DEP_2) | instskip(NEXT) | instid1(VALU_DEP_2)
	v_fma_f64 v[35:36], v[31:32], s[42:43], s[40:41]
	v_fma_f64 v[37:38], v[33:34], s[24:25], s[22:23]
	v_mul_f64 v[39:40], v[29:30], v[33:34]
	s_delay_alu instid0(VALU_DEP_3) | instskip(NEXT) | instid1(VALU_DEP_3)
	v_fma_f64 v[35:36], v[31:32], v[35:36], s[44:45]
	v_fma_f64 v[37:38], v[33:34], v[37:38], s[26:27]
	s_delay_alu instid0(VALU_DEP_2) | instskip(NEXT) | instid1(VALU_DEP_2)
	v_fma_f64 v[35:36], v[31:32], v[35:36], s[46:47]
	v_fma_f64 v[37:38], v[33:34], v[37:38], s[28:29]
	s_delay_alu instid0(VALU_DEP_2) | instskip(NEXT) | instid1(VALU_DEP_2)
	;; [unrolled: 3-line block ×4, first 2 shown]
	v_fma_f64 v[35:36], v[31:32], v[35:36], s[52:53]
	v_fma_f64 v[33:34], v[33:34], v[37:38], s[90:91]
	v_ldexp_f64 v[37:38], v[29:30], 1
	v_add_f64 v[29:30], v[29:30], -v[43:44]
	s_delay_alu instid0(VALU_DEP_4) | instskip(NEXT) | instid1(VALU_DEP_4)
	v_fma_f64 v[35:36], v[31:32], v[35:36], s[54:55]
	v_mul_f64 v[33:34], v[39:40], v[33:34]
	v_cvt_f64_i32_e32 v[39:40], v19
	s_delay_alu instid0(VALU_DEP_4) | instskip(NEXT) | instid1(VALU_DEP_4)
	v_add_f64 v[25:26], v[25:26], -v[29:30]
	v_fma_f64 v[35:36], v[31:32], v[35:36], s[56:57]
	v_ashrrev_i32_e32 v19, 31, v7
	s_delay_alu instid0(VALU_DEP_1) | instskip(SKIP_4) | instid1(VALU_DEP_4)
	v_and_b32_e32 v22, 0x54442d18, v19
	v_add_f64 v[41:42], v[37:38], v[33:34]
	v_mul_f64 v[43:44], v[39:40], s[36:37]
	v_ldexp_f64 v[25:26], v[25:26], 1
	v_fma_f64 v[35:36], v[31:32], v[35:36], s[58:59]
	v_add_f64 v[29:30], v[41:42], -v[37:38]
	s_delay_alu instid0(VALU_DEP_4) | instskip(NEXT) | instid1(VALU_DEP_3)
	v_fma_f64 v[37:38], v[39:40], s[36:37], -v[43:44]
	v_fma_f64 v[35:36], v[31:32], v[35:36], s[60:61]
	s_delay_alu instid0(VALU_DEP_3) | instskip(NEXT) | instid1(VALU_DEP_2)
	v_add_f64 v[29:30], v[33:34], -v[29:30]
	v_fma_f64 v[33:34], v[31:32], v[35:36], s[62:63]
	s_delay_alu instid0(VALU_DEP_4) | instskip(NEXT) | instid1(VALU_DEP_3)
	v_fma_f64 v[35:36], v[39:40], s[38:39], v[37:38]
	v_add_f64 v[25:26], v[25:26], v[29:30]
	s_delay_alu instid0(VALU_DEP_3) | instskip(NEXT) | instid1(VALU_DEP_3)
	v_fma_f64 v[29:30], v[31:32], v[33:34], s[64:65]
	v_add_f64 v[33:34], v[43:44], v[35:36]
	s_delay_alu instid0(VALU_DEP_3) | instskip(NEXT) | instid1(VALU_DEP_3)
	v_add_f64 v[37:38], v[41:42], v[25:26]
	v_fma_f64 v[29:30], v[31:32], v[29:30], s[66:67]
	s_delay_alu instid0(VALU_DEP_3) | instskip(NEXT) | instid1(VALU_DEP_3)
	v_add_f64 v[43:44], v[33:34], -v[43:44]
	v_add_f64 v[39:40], v[33:34], v[37:38]
	v_add_f64 v[41:42], v[37:38], -v[41:42]
	s_delay_alu instid0(VALU_DEP_4) | instskip(NEXT) | instid1(VALU_DEP_4)
	v_fma_f64 v[29:30], v[31:32], v[29:30], s[68:69]
	v_add_f64 v[35:36], v[35:36], -v[43:44]
	s_delay_alu instid0(VALU_DEP_4) | instskip(NEXT) | instid1(VALU_DEP_4)
	v_add_f64 v[45:46], v[39:40], -v[33:34]
	v_add_f64 v[25:26], v[25:26], -v[41:42]
	s_delay_alu instid0(VALU_DEP_4) | instskip(NEXT) | instid1(VALU_DEP_3)
	v_fma_f64 v[29:30], v[31:32], v[29:30], s[70:71]
	v_add_f64 v[47:48], v[39:40], -v[45:46]
	v_add_f64 v[37:38], v[37:38], -v[45:46]
	s_delay_alu instid0(VALU_DEP_4) | instskip(NEXT) | instid1(VALU_DEP_4)
	v_add_f64 v[41:42], v[35:36], v[25:26]
	v_fma_f64 v[29:30], v[31:32], v[29:30], s[72:73]
	s_delay_alu instid0(VALU_DEP_4) | instskip(NEXT) | instid1(VALU_DEP_2)
	v_add_f64 v[33:34], v[33:34], -v[47:48]
	v_fma_f64 v[29:30], v[31:32], v[29:30], s[74:75]
	s_delay_alu instid0(VALU_DEP_2) | instskip(SKIP_1) | instid1(VALU_DEP_3)
	v_add_f64 v[33:34], v[37:38], v[33:34]
	v_add_f64 v[37:38], v[41:42], -v[35:36]
	v_fma_f64 v[29:30], v[31:32], v[29:30], s[76:77]
	s_delay_alu instid0(VALU_DEP_3) | instskip(NEXT) | instid1(VALU_DEP_3)
	v_add_f64 v[33:34], v[41:42], v[33:34]
	v_add_f64 v[41:42], v[41:42], -v[37:38]
	v_add_f64 v[25:26], v[25:26], -v[37:38]
	s_delay_alu instid0(VALU_DEP_4) | instskip(NEXT) | instid1(VALU_DEP_4)
	v_fma_f64 v[29:30], v[31:32], v[29:30], s[78:79]
	v_add_f64 v[43:44], v[39:40], v[33:34]
	s_delay_alu instid0(VALU_DEP_2) | instskip(SKIP_1) | instid1(VALU_DEP_3)
	v_mul_f64 v[29:30], v[31:32], v[29:30]
	v_add_f64 v[31:32], v[35:36], -v[41:42]
	v_add_f64 v[35:36], v[43:44], -v[39:40]
	s_delay_alu instid0(VALU_DEP_3) | instskip(NEXT) | instid1(VALU_DEP_3)
	v_fma_f64 v[27:28], v[27:28], v[29:30], v[27:28]
	v_add_f64 v[25:26], v[25:26], v[31:32]
	s_delay_alu instid0(VALU_DEP_3) | instskip(NEXT) | instid1(VALU_DEP_3)
	v_add_f64 v[29:30], v[33:34], -v[35:36]
	v_add_f64 v[31:32], -v[27:28], s[80:81]
	s_delay_alu instid0(VALU_DEP_2) | instskip(NEXT) | instid1(VALU_DEP_2)
	v_add_f64 v[25:26], v[25:26], v[29:30]
	v_cndmask_b32_e64 v28, v28, v32, s0
	s_delay_alu instid0(VALU_DEP_3) | instskip(SKIP_1) | instid1(VALU_DEP_2)
	v_cndmask_b32_e64 v27, v27, v31, s0
	v_cndmask_b32_e64 v31, 0x54442d18, v54, s1
	v_add_f64 v[29:30], -v[27:28], s[10:11]
	v_add_f64 v[25:26], v[43:44], v[25:26]
	s_delay_alu instid0(VALU_DEP_2) | instskip(NEXT) | instid1(VALU_DEP_2)
	v_cndmask_b32_e64 v29, v27, v29, s1
	v_dual_cndmask_b32 v26, v26, v24 :: v_dual_cndmask_b32 v25, v25, v23
	v_cmp_eq_f64_e32 vcc_lo, 0, v[8:9]
	v_and_b32_e32 v7, 0x400921fb, v19
	v_cndmask_b32_e64 v19, v28, v30, s1
	v_cmp_nge_f64_e64 s1, -1.0, v[23:24]
	v_mul_f64 v[26:27], v[25:26], 0.5
	s_delay_alu instid0(VALU_DEP_3) | instskip(SKIP_1) | instid1(VALU_DEP_3)
	v_dual_cndmask_b32 v28, v29, v22 :: v_dual_cndmask_b32 v7, v19, v7
	v_cmp_ngt_f64_e32 vcc_lo, -1.0, v[23:24]
	v_cndmask_b32_e64 v22, 0, v26, s1
	v_cmp_neq_f64_e64 s1, -1.0, v[23:24]
	v_cndmask_b32_e32 v19, 0x7ff80000, v27, vcc_lo
	s_and_b32 vcc_lo, s3, s2
	v_dual_cndmask_b32 v25, v7, v6 :: v_dual_cndmask_b32 v24, v28, v31
	s_delay_alu instid0(VALU_DEP_2)
	v_cndmask_b32_e64 v23, 0xfff00000, v19, s1
.LBB186_175:                            ;   in Loop: Header=BB186_162 Depth=1
	s_or_b32 exec_lo, exec_lo, s99
.LBB186_176:                            ;   in Loop: Header=BB186_162 Depth=1
	s_delay_alu instid0(SALU_CYCLE_1)
	s_or_b32 exec_lo, exec_lo, s98
.LBB186_177:                            ;   in Loop: Header=BB186_162 Depth=1
	s_and_not1_saveexec_b32 s3, s97
	s_cbranch_execz .LBB186_179
; %bb.178:                              ;   in Loop: Header=BB186_162 Depth=1
	v_max_f64 v[22:23], |v[8:9]|, |v[8:9]|
	v_max_f64 v[24:25], |v[6:7]|, |v[6:7]|
	v_cmp_class_f64_e64 s4, v[6:7], 0x204
	v_cmp_class_f64_e64 s5, v[8:9], 0x204
	s_mov_b32 s91, s21
	s_mov_b32 s10, s80
	v_cmp_eq_f64_e64 s2, 0, v[8:9]
	s_delay_alu instid0(VALU_DEP_4) | instskip(SKIP_1) | instid1(VALU_DEP_4)
	v_max_f64 v[26:27], v[24:25], v[22:23]
	v_min_f64 v[22:23], v[24:25], v[22:23]
	s_or_b32 s6, s4, s5
	s_delay_alu instid0(VALU_DEP_2) | instskip(NEXT) | instid1(VALU_DEP_1)
	v_frexp_exp_i32_f64_e32 v19, v[26:27]
	v_sub_nc_u32_e32 v30, 0, v19
	s_delay_alu instid0(VALU_DEP_1) | instskip(SKIP_1) | instid1(VALU_DEP_2)
	v_ldexp_f64 v[28:29], |v[8:9]|, v30
	v_ldexp_f64 v[30:31], |v[6:7]|, v30
	v_mul_f64 v[28:29], v[28:29], v[28:29]
	s_delay_alu instid0(VALU_DEP_1) | instskip(NEXT) | instid1(VALU_DEP_1)
	v_fma_f64 v[28:29], v[30:31], v[30:31], v[28:29]
	v_rsq_f64_e32 v[30:31], v[28:29]
	v_cmp_eq_f64_e32 vcc_lo, 0, v[28:29]
	s_waitcnt_depctr 0xfff
	v_mul_f64 v[32:33], v[28:29], v[30:31]
	v_mul_f64 v[30:31], v[30:31], 0.5
	s_delay_alu instid0(VALU_DEP_1) | instskip(NEXT) | instid1(VALU_DEP_1)
	v_fma_f64 v[34:35], -v[30:31], v[32:33], 0.5
	v_fma_f64 v[32:33], v[32:33], v[34:35], v[32:33]
	v_fma_f64 v[30:31], v[30:31], v[34:35], v[30:31]
	s_delay_alu instid0(VALU_DEP_2) | instskip(NEXT) | instid1(VALU_DEP_1)
	v_fma_f64 v[34:35], -v[32:33], v[32:33], v[28:29]
	v_fma_f64 v[30:31], v[34:35], v[30:31], v[32:33]
	s_delay_alu instid0(VALU_DEP_1) | instskip(SKIP_1) | instid1(VALU_DEP_2)
	v_dual_cndmask_b32 v29, v31, v29 :: v_dual_cndmask_b32 v28, v30, v28
	v_div_scale_f64 v[50:51], vcc_lo, v[22:23], v[26:27], v[22:23]
	v_ldexp_f64 v[28:29], v[28:29], v19
	s_delay_alu instid0(VALU_DEP_1) | instskip(NEXT) | instid1(VALU_DEP_2)
	v_cndmask_b32_e64 v31, v29, 0x7ff00000, s6
	v_cndmask_b32_e64 v30, v28, 0, s6
	s_delay_alu instid0(VALU_DEP_1) | instskip(SKIP_1) | instid1(VALU_DEP_2)
	v_frexp_mant_f64_e32 v[32:33], v[30:31]
	v_frexp_exp_i32_f64_e32 v6, v[30:31]
	v_cmp_gt_f64_e64 s1, s[20:21], v[32:33]
	s_delay_alu instid0(VALU_DEP_1) | instskip(NEXT) | instid1(VALU_DEP_1)
	v_cndmask_b32_e64 v19, 0x3ff00000, 2.0, s1
	v_mul_f64 v[32:33], v[32:33], v[18:19]
	s_delay_alu instid0(VALU_DEP_1) | instskip(SKIP_1) | instid1(VALU_DEP_2)
	v_add_f64 v[34:35], v[32:33], 1.0
	v_add_f64 v[40:41], v[32:33], -1.0
	v_rcp_f64_e32 v[36:37], v[34:35]
	v_add_f64 v[42:43], v[34:35], -1.0
	s_delay_alu instid0(VALU_DEP_1) | instskip(SKIP_2) | instid1(VALU_DEP_1)
	v_add_f64 v[32:33], v[32:33], -v[42:43]
	s_waitcnt_depctr 0xfff
	v_fma_f64 v[38:39], -v[34:35], v[36:37], 1.0
	v_fma_f64 v[36:37], v[38:39], v[36:37], v[36:37]
	s_delay_alu instid0(VALU_DEP_1) | instskip(NEXT) | instid1(VALU_DEP_1)
	v_fma_f64 v[38:39], -v[34:35], v[36:37], 1.0
	v_fma_f64 v[36:37], v[38:39], v[36:37], v[36:37]
	v_div_scale_f64 v[38:39], null, v[26:27], v[26:27], v[22:23]
	s_delay_alu instid0(VALU_DEP_2) | instskip(NEXT) | instid1(VALU_DEP_2)
	v_mul_f64 v[24:25], v[40:41], v[36:37]
	v_rcp_f64_e32 v[46:47], v[38:39]
	s_delay_alu instid0(VALU_DEP_1) | instskip(SKIP_3) | instid1(VALU_DEP_1)
	v_mul_f64 v[44:45], v[34:35], v[24:25]
	s_waitcnt_depctr 0xfff
	v_fma_f64 v[42:43], -v[38:39], v[46:47], 1.0
	v_fma_f64 v[34:35], v[24:25], v[34:35], -v[44:45]
	v_fma_f64 v[32:33], v[24:25], v[32:33], v[34:35]
	s_delay_alu instid0(VALU_DEP_3) | instskip(NEXT) | instid1(VALU_DEP_2)
	v_fma_f64 v[34:35], v[46:47], v[42:43], v[46:47]
	v_add_f64 v[42:43], v[44:45], v[32:33]
	s_delay_alu instid0(VALU_DEP_2) | instskip(NEXT) | instid1(VALU_DEP_2)
	v_fma_f64 v[46:47], -v[38:39], v[34:35], 1.0
	v_add_f64 v[48:49], v[40:41], -v[42:43]
	s_delay_alu instid0(VALU_DEP_2) | instskip(SKIP_1) | instid1(VALU_DEP_3)
	v_fma_f64 v[34:35], v[34:35], v[46:47], v[34:35]
	v_add_f64 v[44:45], v[42:43], -v[44:45]
	v_add_f64 v[40:41], v[40:41], -v[48:49]
	s_delay_alu instid0(VALU_DEP_3) | instskip(NEXT) | instid1(VALU_DEP_3)
	v_mul_f64 v[46:47], v[50:51], v[34:35]
	v_add_f64 v[32:33], v[44:45], -v[32:33]
	s_delay_alu instid0(VALU_DEP_3) | instskip(NEXT) | instid1(VALU_DEP_3)
	v_add_f64 v[40:41], v[40:41], -v[42:43]
	v_fma_f64 v[38:39], -v[38:39], v[46:47], v[50:51]
	s_delay_alu instid0(VALU_DEP_2) | instskip(NEXT) | instid1(VALU_DEP_2)
	v_add_f64 v[32:33], v[32:33], v[40:41]
	v_div_fmas_f64 v[34:35], v[38:39], v[34:35], v[46:47]
	v_subrev_co_ci_u32_e64 v6, vcc_lo, 0, v6, s1
	v_cmp_class_f64_e64 s1, v[28:29], 0x204
	v_cmp_gt_i32_e32 vcc_lo, 0, v7
	v_add_f64 v[32:33], v[48:49], v[32:33]
	v_div_fixup_f64 v[22:23], v[34:35], v[26:27], v[22:23]
	s_delay_alu instid0(VALU_DEP_2) | instskip(NEXT) | instid1(VALU_DEP_2)
	v_mul_f64 v[26:27], v[36:37], v[32:33]
	v_mul_f64 v[32:33], v[22:23], v[22:23]
	s_delay_alu instid0(VALU_DEP_2) | instskip(NEXT) | instid1(VALU_DEP_2)
	v_add_f64 v[34:35], v[24:25], v[26:27]
	v_fma_f64 v[36:37], v[32:33], s[42:43], s[40:41]
	s_delay_alu instid0(VALU_DEP_2) | instskip(NEXT) | instid1(VALU_DEP_2)
	v_mul_f64 v[38:39], v[34:35], v[34:35]
	v_fma_f64 v[36:37], v[32:33], v[36:37], s[44:45]
	v_add_f64 v[24:25], v[34:35], -v[24:25]
	s_delay_alu instid0(VALU_DEP_3) | instskip(NEXT) | instid1(VALU_DEP_3)
	v_fma_f64 v[40:41], v[38:39], s[24:25], s[22:23]
	v_fma_f64 v[36:37], v[32:33], v[36:37], s[46:47]
	v_mul_f64 v[42:43], v[34:35], v[38:39]
	s_delay_alu instid0(VALU_DEP_4) | instskip(NEXT) | instid1(VALU_DEP_4)
	v_add_f64 v[24:25], v[26:27], -v[24:25]
	v_fma_f64 v[40:41], v[38:39], v[40:41], s[26:27]
	s_delay_alu instid0(VALU_DEP_4) | instskip(NEXT) | instid1(VALU_DEP_3)
	v_fma_f64 v[36:37], v[32:33], v[36:37], s[48:49]
	v_ldexp_f64 v[24:25], v[24:25], 1
	s_delay_alu instid0(VALU_DEP_3) | instskip(NEXT) | instid1(VALU_DEP_3)
	v_fma_f64 v[40:41], v[38:39], v[40:41], s[28:29]
	v_fma_f64 v[36:37], v[32:33], v[36:37], s[50:51]
	s_delay_alu instid0(VALU_DEP_2) | instskip(NEXT) | instid1(VALU_DEP_2)
	v_fma_f64 v[40:41], v[38:39], v[40:41], s[30:31]
	v_fma_f64 v[36:37], v[32:33], v[36:37], s[52:53]
	s_delay_alu instid0(VALU_DEP_2) | instskip(NEXT) | instid1(VALU_DEP_2)
	;; [unrolled: 3-line block ×3, first 2 shown]
	v_fma_f64 v[38:39], v[38:39], v[40:41], s[90:91]
	v_fma_f64 v[36:37], v[32:33], v[36:37], s[56:57]
	v_ldexp_f64 v[40:41], v[34:35], 1
	s_delay_alu instid0(VALU_DEP_3) | instskip(NEXT) | instid1(VALU_DEP_3)
	v_mul_f64 v[38:39], v[42:43], v[38:39]
	v_fma_f64 v[36:37], v[32:33], v[36:37], s[58:59]
	v_cvt_f64_i32_e32 v[42:43], v6
	v_ashrrev_i32_e32 v6, 31, v7
	v_cndmask_b32_e32 v7, 0x54442d18, v54, vcc_lo
	s_delay_alu instid0(VALU_DEP_2) | instskip(SKIP_4) | instid1(VALU_DEP_3)
	v_and_b32_e32 v19, 0x54442d18, v6
	v_and_b32_e32 v6, 0x400921fb, v6
	v_add_f64 v[34:35], v[40:41], v[38:39]
	v_fma_f64 v[36:37], v[32:33], v[36:37], s[60:61]
	v_mul_f64 v[44:45], v[42:43], s[36:37]
	v_add_f64 v[26:27], v[34:35], -v[40:41]
	s_delay_alu instid0(VALU_DEP_3) | instskip(NEXT) | instid1(VALU_DEP_3)
	v_fma_f64 v[36:37], v[32:33], v[36:37], s[62:63]
	v_fma_f64 v[40:41], v[42:43], s[36:37], -v[44:45]
	s_delay_alu instid0(VALU_DEP_3) | instskip(NEXT) | instid1(VALU_DEP_3)
	v_add_f64 v[26:27], v[38:39], -v[26:27]
	v_fma_f64 v[36:37], v[32:33], v[36:37], s[64:65]
	s_delay_alu instid0(VALU_DEP_3) | instskip(NEXT) | instid1(VALU_DEP_3)
	v_fma_f64 v[38:39], v[42:43], s[38:39], v[40:41]
	v_add_f64 v[24:25], v[24:25], v[26:27]
	s_delay_alu instid0(VALU_DEP_3) | instskip(NEXT) | instid1(VALU_DEP_3)
	v_fma_f64 v[26:27], v[32:33], v[36:37], s[66:67]
	v_add_f64 v[36:37], v[44:45], v[38:39]
	s_delay_alu instid0(VALU_DEP_3) | instskip(NEXT) | instid1(VALU_DEP_3)
	v_add_f64 v[40:41], v[34:35], v[24:25]
	v_fma_f64 v[26:27], v[32:33], v[26:27], s[68:69]
	s_delay_alu instid0(VALU_DEP_3) | instskip(NEXT) | instid1(VALU_DEP_3)
	v_add_f64 v[44:45], v[36:37], -v[44:45]
	v_add_f64 v[42:43], v[36:37], v[40:41]
	s_delay_alu instid0(VALU_DEP_3) | instskip(SKIP_1) | instid1(VALU_DEP_4)
	v_fma_f64 v[26:27], v[32:33], v[26:27], s[70:71]
	v_add_f64 v[34:35], v[40:41], -v[34:35]
	v_add_f64 v[38:39], v[38:39], -v[44:45]
	s_delay_alu instid0(VALU_DEP_4) | instskip(NEXT) | instid1(VALU_DEP_4)
	v_add_f64 v[46:47], v[42:43], -v[36:37]
	v_fma_f64 v[26:27], v[32:33], v[26:27], s[72:73]
	s_delay_alu instid0(VALU_DEP_4) | instskip(NEXT) | instid1(VALU_DEP_3)
	v_add_f64 v[24:25], v[24:25], -v[34:35]
	v_add_f64 v[48:49], v[42:43], -v[46:47]
	s_delay_alu instid0(VALU_DEP_3) | instskip(SKIP_1) | instid1(VALU_DEP_4)
	v_fma_f64 v[26:27], v[32:33], v[26:27], s[74:75]
	v_add_f64 v[34:35], v[40:41], -v[46:47]
	v_add_f64 v[40:41], v[38:39], v[24:25]
	s_delay_alu instid0(VALU_DEP_4) | instskip(NEXT) | instid1(VALU_DEP_4)
	v_add_f64 v[36:37], v[36:37], -v[48:49]
	v_fma_f64 v[26:27], v[32:33], v[26:27], s[76:77]
	s_delay_alu instid0(VALU_DEP_2) | instskip(NEXT) | instid1(VALU_DEP_2)
	v_add_f64 v[34:35], v[34:35], v[36:37]
	v_fma_f64 v[26:27], v[32:33], v[26:27], s[78:79]
	v_add_f64 v[36:37], v[40:41], -v[38:39]
	s_delay_alu instid0(VALU_DEP_3) | instskip(NEXT) | instid1(VALU_DEP_3)
	v_add_f64 v[34:35], v[40:41], v[34:35]
	v_mul_f64 v[26:27], v[32:33], v[26:27]
	s_delay_alu instid0(VALU_DEP_3) | instskip(SKIP_1) | instid1(VALU_DEP_4)
	v_add_f64 v[32:33], v[40:41], -v[36:37]
	v_add_f64 v[24:25], v[24:25], -v[36:37]
	v_add_f64 v[40:41], v[42:43], v[34:35]
	s_delay_alu instid0(VALU_DEP_4) | instskip(NEXT) | instid1(VALU_DEP_4)
	v_fma_f64 v[22:23], v[22:23], v[26:27], v[22:23]
	v_add_f64 v[26:27], v[38:39], -v[32:33]
	s_delay_alu instid0(VALU_DEP_3) | instskip(NEXT) | instid1(VALU_DEP_3)
	v_add_f64 v[32:33], v[40:41], -v[42:43]
	v_add_f64 v[36:37], -v[22:23], s[80:81]
	s_delay_alu instid0(VALU_DEP_3) | instskip(NEXT) | instid1(VALU_DEP_3)
	v_add_f64 v[24:25], v[24:25], v[26:27]
	v_add_f64 v[26:27], v[34:35], -v[32:33]
	s_delay_alu instid0(VALU_DEP_3) | instskip(NEXT) | instid1(VALU_DEP_4)
	v_cndmask_b32_e64 v23, v23, v37, s0
	v_cndmask_b32_e64 v22, v22, v36, s0
	s_delay_alu instid0(VALU_DEP_3) | instskip(NEXT) | instid1(VALU_DEP_2)
	v_add_f64 v[24:25], v[24:25], v[26:27]
	v_add_f64 v[26:27], -v[22:23], s[10:11]
	s_delay_alu instid0(VALU_DEP_2) | instskip(NEXT) | instid1(VALU_DEP_2)
	v_add_f64 v[24:25], v[40:41], v[24:25]
	v_dual_cndmask_b32 v22, v22, v26 :: v_dual_cndmask_b32 v23, v23, v27
	v_cndmask_b32_e32 v26, 0x3fe921fb, v55, vcc_lo
	v_cmp_ngt_f64_e32 vcc_lo, 0, v[30:31]
	s_delay_alu instid0(VALU_DEP_3) | instskip(NEXT) | instid1(VALU_DEP_4)
	v_cndmask_b32_e64 v19, v22, v19, s2
	v_cndmask_b32_e64 v6, v23, v6, s2
	s_delay_alu instid0(VALU_DEP_4) | instskip(SKIP_3) | instid1(VALU_DEP_3)
	v_bfi_b32 v26, 0x7fffffff, v26, v9
	v_cndmask_b32_e64 v25, v25, v29, s1
	v_cndmask_b32_e64 v24, v24, v28, s1
	v_cmp_nge_f64_e64 s1, 0, v[30:31]
	v_cndmask_b32_e64 v25, v25, 0x7ff00000, s6
	s_delay_alu instid0(VALU_DEP_3) | instskip(NEXT) | instid1(VALU_DEP_2)
	v_cndmask_b32_e64 v22, v24, 0, s6
	v_cndmask_b32_e32 v23, 0x7ff80000, v25, vcc_lo
	s_and_b32 vcc_lo, s4, s5
	v_dual_cndmask_b32 v25, v6, v26 :: v_dual_cndmask_b32 v24, v19, v7
	s_delay_alu instid0(VALU_DEP_3) | instskip(SKIP_1) | instid1(VALU_DEP_1)
	v_cndmask_b32_e64 v22, 0, v22, s1
	v_cmp_neq_f64_e64 s1, 0, v[30:31]
	v_cndmask_b32_e64 v23, 0xfff00000, v23, s1
.LBB186_179:                            ;   in Loop: Header=BB186_162 Depth=1
	s_or_b32 exec_lo, exec_lo, s3
                                        ; implicit-def: $vgpr28_vgpr29
.LBB186_180:                            ;   in Loop: Header=BB186_162 Depth=1
	s_and_not1_saveexec_b32 s3, s96
	s_cbranch_execz .LBB186_186
; %bb.181:                              ;   in Loop: Header=BB186_162 Depth=1
                                        ; implicit-def: $vgpr22_vgpr23
                                        ; implicit-def: $vgpr24_vgpr25
	s_mov_b32 s1, exec_lo
	v_cmpx_ngt_f64_e32 s[84:85], v[28:29]
	s_xor_b32 s4, exec_lo, s1
	s_cbranch_execz .LBB186_183
; %bb.182:                              ;   in Loop: Header=BB186_162 Depth=1
	v_mul_f64 v[22:23], v[28:29], v[28:29]
	s_mov_b32 s91, s21
	s_mov_b32 s10, s80
	v_cmp_eq_f64_e64 s2, 0, v[8:9]
	v_cmp_class_f64_e64 s5, v[8:9], 0x204
	v_cmp_class_f64_e64 s6, v[6:7], 0x204
	v_cmp_gt_i32_e64 s1, 0, v7
	v_add_f64 v[24:25], v[22:23], 1.0
	s_delay_alu instid0(VALU_DEP_1) | instskip(SKIP_2) | instid1(VALU_DEP_3)
	v_frexp_mant_f64_e32 v[26:27], v[24:25]
	v_frexp_exp_i32_f64_e32 v19, v[24:25]
	v_add_f64 v[28:29], v[24:25], -1.0
	v_cmp_gt_f64_e32 vcc_lo, s[20:21], v[26:27]
	s_delay_alu instid0(VALU_DEP_2) | instskip(SKIP_2) | instid1(VALU_DEP_3)
	v_add_f64 v[26:27], v[28:29], -v[24:25]
	v_add_f64 v[28:29], v[22:23], -v[28:29]
	v_subrev_co_ci_u32_e32 v19, vcc_lo, 0, v19, vcc_lo
	v_add_f64 v[26:27], v[26:27], 1.0
	s_delay_alu instid0(VALU_DEP_2) | instskip(NEXT) | instid1(VALU_DEP_1)
	v_sub_nc_u32_e32 v32, 0, v19
	v_ldexp_f64 v[24:25], v[24:25], v32
	s_delay_alu instid0(VALU_DEP_3) | instskip(NEXT) | instid1(VALU_DEP_2)
	v_add_f64 v[26:27], v[28:29], v[26:27]
	v_add_f64 v[30:31], v[24:25], 1.0
	v_add_f64 v[36:37], v[24:25], -1.0
	s_delay_alu instid0(VALU_DEP_3) | instskip(NEXT) | instid1(VALU_DEP_3)
	v_ldexp_f64 v[26:27], v[26:27], v32
	v_add_f64 v[28:29], v[30:31], -1.0
	s_delay_alu instid0(VALU_DEP_3) | instskip(NEXT) | instid1(VALU_DEP_2)
	v_add_f64 v[38:39], v[36:37], 1.0
	v_add_f64 v[28:29], v[24:25], -v[28:29]
	s_delay_alu instid0(VALU_DEP_2) | instskip(NEXT) | instid1(VALU_DEP_2)
	v_add_f64 v[24:25], v[24:25], -v[38:39]
	v_add_f64 v[28:29], v[26:27], v[28:29]
	s_delay_alu instid0(VALU_DEP_2) | instskip(NEXT) | instid1(VALU_DEP_2)
	v_add_f64 v[24:25], v[26:27], v[24:25]
	v_add_f64 v[32:33], v[30:31], v[28:29]
	s_delay_alu instid0(VALU_DEP_2) | instskip(NEXT) | instid1(VALU_DEP_2)
	v_add_f64 v[38:39], v[36:37], v[24:25]
	v_rcp_f64_e32 v[34:35], v[32:33]
	v_add_f64 v[30:31], v[30:31], -v[32:33]
	s_delay_alu instid0(VALU_DEP_2) | instskip(NEXT) | instid1(VALU_DEP_2)
	v_add_f64 v[36:37], v[36:37], -v[38:39]
	v_add_f64 v[28:29], v[28:29], v[30:31]
	s_waitcnt_depctr 0xfff
	v_fma_f64 v[40:41], -v[32:33], v[34:35], 1.0
	v_add_f64 v[24:25], v[24:25], v[36:37]
	s_delay_alu instid0(VALU_DEP_2) | instskip(NEXT) | instid1(VALU_DEP_1)
	v_fma_f64 v[34:35], v[40:41], v[34:35], v[34:35]
	v_fma_f64 v[26:27], -v[32:33], v[34:35], 1.0
	s_delay_alu instid0(VALU_DEP_1) | instskip(NEXT) | instid1(VALU_DEP_1)
	v_fma_f64 v[26:27], v[26:27], v[34:35], v[34:35]
	v_mul_f64 v[34:35], v[38:39], v[26:27]
	s_delay_alu instid0(VALU_DEP_1) | instskip(NEXT) | instid1(VALU_DEP_1)
	v_mul_f64 v[40:41], v[32:33], v[34:35]
	v_fma_f64 v[30:31], v[34:35], v[32:33], -v[40:41]
	s_delay_alu instid0(VALU_DEP_1) | instskip(NEXT) | instid1(VALU_DEP_1)
	v_fma_f64 v[30:31], v[34:35], v[28:29], v[30:31]
	v_add_f64 v[42:43], v[40:41], v[30:31]
	s_delay_alu instid0(VALU_DEP_1) | instskip(SKIP_2) | instid1(VALU_DEP_3)
	v_add_f64 v[44:45], v[38:39], -v[42:43]
	v_add_f64 v[36:37], v[42:43], -v[40:41]
	v_max_f64 v[40:41], |v[8:9]|, |v[8:9]|
	v_add_f64 v[38:39], v[38:39], -v[44:45]
	s_delay_alu instid0(VALU_DEP_3) | instskip(NEXT) | instid1(VALU_DEP_2)
	v_add_f64 v[30:31], v[36:37], -v[30:31]
	v_add_f64 v[38:39], v[38:39], -v[42:43]
	v_max_f64 v[42:43], |v[6:7]|, |v[6:7]|
	s_delay_alu instid0(VALU_DEP_2) | instskip(NEXT) | instid1(VALU_DEP_2)
	v_add_f64 v[24:25], v[24:25], v[38:39]
	v_max_f64 v[46:47], v[42:43], v[40:41]
	v_min_f64 v[40:41], v[42:43], v[40:41]
	s_delay_alu instid0(VALU_DEP_3) | instskip(NEXT) | instid1(VALU_DEP_1)
	v_add_f64 v[24:25], v[30:31], v[24:25]
	v_add_f64 v[30:31], v[44:45], v[24:25]
	s_delay_alu instid0(VALU_DEP_1) | instskip(SKIP_1) | instid1(VALU_DEP_2)
	v_mul_f64 v[36:37], v[26:27], v[30:31]
	v_add_f64 v[44:45], v[44:45], -v[30:31]
	v_mul_f64 v[38:39], v[32:33], v[36:37]
	s_delay_alu instid0(VALU_DEP_2) | instskip(NEXT) | instid1(VALU_DEP_2)
	v_add_f64 v[24:25], v[24:25], v[44:45]
	v_fma_f64 v[32:33], v[36:37], v[32:33], -v[38:39]
	s_delay_alu instid0(VALU_DEP_1) | instskip(SKIP_1) | instid1(VALU_DEP_2)
	v_fma_f64 v[28:29], v[36:37], v[28:29], v[32:33]
	v_div_scale_f64 v[32:33], null, v[46:47], v[46:47], v[40:41]
	v_add_f64 v[42:43], v[38:39], v[28:29]
	s_delay_alu instid0(VALU_DEP_2) | instskip(NEXT) | instid1(VALU_DEP_1)
	v_rcp_f64_e32 v[48:49], v[32:33]
	v_add_f64 v[50:51], v[30:31], -v[42:43]
	v_add_f64 v[38:39], v[42:43], -v[38:39]
	s_waitcnt_depctr 0xfff
	v_fma_f64 v[52:53], -v[32:33], v[48:49], 1.0
	v_add_f64 v[30:31], v[30:31], -v[50:51]
	v_add_f64 v[28:29], v[38:39], -v[28:29]
	s_delay_alu instid0(VALU_DEP_3) | instskip(NEXT) | instid1(VALU_DEP_3)
	v_fma_f64 v[48:49], v[48:49], v[52:53], v[48:49]
	v_add_f64 v[30:31], v[30:31], -v[42:43]
	s_delay_alu instid0(VALU_DEP_2) | instskip(NEXT) | instid1(VALU_DEP_2)
	v_fma_f64 v[42:43], -v[32:33], v[48:49], 1.0
	v_add_f64 v[24:25], v[24:25], v[30:31]
	v_div_scale_f64 v[30:31], vcc_lo, v[40:41], v[46:47], v[40:41]
	s_delay_alu instid0(VALU_DEP_3) | instskip(SKIP_1) | instid1(VALU_DEP_4)
	v_fma_f64 v[38:39], v[48:49], v[42:43], v[48:49]
	v_add_f64 v[42:43], v[34:35], v[36:37]
	v_add_f64 v[24:25], v[28:29], v[24:25]
	s_delay_alu instid0(VALU_DEP_3) | instskip(NEXT) | instid1(VALU_DEP_3)
	v_mul_f64 v[28:29], v[30:31], v[38:39]
	v_add_f64 v[34:35], v[42:43], -v[34:35]
	s_delay_alu instid0(VALU_DEP_3) | instskip(NEXT) | instid1(VALU_DEP_3)
	v_add_f64 v[24:25], v[50:51], v[24:25]
	v_fma_f64 v[30:31], -v[32:33], v[28:29], v[30:31]
	s_delay_alu instid0(VALU_DEP_3) | instskip(NEXT) | instid1(VALU_DEP_3)
	v_add_f64 v[32:33], v[36:37], -v[34:35]
	v_mul_f64 v[24:25], v[26:27], v[24:25]
	s_delay_alu instid0(VALU_DEP_3) | instskip(SKIP_1) | instid1(VALU_DEP_3)
	v_div_fmas_f64 v[26:27], v[30:31], v[38:39], v[28:29]
	v_cmp_eq_f64_e32 vcc_lo, 0x7ff00000, v[22:23]
	v_add_f64 v[24:25], v[32:33], v[24:25]
	s_delay_alu instid0(VALU_DEP_3) | instskip(NEXT) | instid1(VALU_DEP_2)
	v_div_fixup_f64 v[26:27], v[26:27], v[46:47], v[40:41]
	v_add_f64 v[28:29], v[42:43], v[24:25]
	s_delay_alu instid0(VALU_DEP_2) | instskip(NEXT) | instid1(VALU_DEP_2)
	v_mul_f64 v[30:31], v[26:27], v[26:27]
	v_mul_f64 v[32:33], v[28:29], v[28:29]
	s_delay_alu instid0(VALU_DEP_2) | instskip(NEXT) | instid1(VALU_DEP_2)
	v_fma_f64 v[34:35], v[30:31], s[42:43], s[40:41]
	v_fma_f64 v[36:37], v[32:33], s[24:25], s[22:23]
	v_mul_f64 v[38:39], v[28:29], v[32:33]
	s_delay_alu instid0(VALU_DEP_3) | instskip(NEXT) | instid1(VALU_DEP_3)
	v_fma_f64 v[34:35], v[30:31], v[34:35], s[44:45]
	v_fma_f64 v[36:37], v[32:33], v[36:37], s[26:27]
	s_delay_alu instid0(VALU_DEP_2) | instskip(NEXT) | instid1(VALU_DEP_2)
	v_fma_f64 v[34:35], v[30:31], v[34:35], s[46:47]
	v_fma_f64 v[36:37], v[32:33], v[36:37], s[28:29]
	s_delay_alu instid0(VALU_DEP_2) | instskip(NEXT) | instid1(VALU_DEP_2)
	;; [unrolled: 3-line block ×4, first 2 shown]
	v_fma_f64 v[34:35], v[30:31], v[34:35], s[52:53]
	v_fma_f64 v[32:33], v[32:33], v[36:37], s[90:91]
	v_ldexp_f64 v[36:37], v[28:29], 1
	v_add_f64 v[28:29], v[28:29], -v[42:43]
	s_delay_alu instid0(VALU_DEP_4) | instskip(NEXT) | instid1(VALU_DEP_4)
	v_fma_f64 v[34:35], v[30:31], v[34:35], s[54:55]
	v_mul_f64 v[32:33], v[38:39], v[32:33]
	v_cvt_f64_i32_e32 v[38:39], v19
	s_delay_alu instid0(VALU_DEP_4) | instskip(NEXT) | instid1(VALU_DEP_4)
	v_add_f64 v[24:25], v[24:25], -v[28:29]
	v_fma_f64 v[34:35], v[30:31], v[34:35], s[56:57]
	v_ashrrev_i32_e32 v19, 31, v7
	v_add_f64 v[40:41], v[36:37], v[32:33]
	v_mul_f64 v[42:43], v[38:39], s[36:37]
	v_ldexp_f64 v[24:25], v[24:25], 1
	v_fma_f64 v[34:35], v[30:31], v[34:35], s[58:59]
	s_delay_alu instid0(VALU_DEP_4) | instskip(NEXT) | instid1(VALU_DEP_4)
	v_add_f64 v[28:29], v[40:41], -v[36:37]
	v_fma_f64 v[36:37], v[38:39], s[36:37], -v[42:43]
	s_delay_alu instid0(VALU_DEP_3) | instskip(NEXT) | instid1(VALU_DEP_3)
	v_fma_f64 v[34:35], v[30:31], v[34:35], s[60:61]
	v_add_f64 v[28:29], v[32:33], -v[28:29]
	s_delay_alu instid0(VALU_DEP_2) | instskip(NEXT) | instid1(VALU_DEP_4)
	v_fma_f64 v[32:33], v[30:31], v[34:35], s[62:63]
	v_fma_f64 v[34:35], v[38:39], s[38:39], v[36:37]
	s_delay_alu instid0(VALU_DEP_3) | instskip(NEXT) | instid1(VALU_DEP_3)
	v_add_f64 v[24:25], v[24:25], v[28:29]
	v_fma_f64 v[28:29], v[30:31], v[32:33], s[64:65]
	s_delay_alu instid0(VALU_DEP_3) | instskip(NEXT) | instid1(VALU_DEP_3)
	v_add_f64 v[32:33], v[42:43], v[34:35]
	v_add_f64 v[36:37], v[40:41], v[24:25]
	s_delay_alu instid0(VALU_DEP_3) | instskip(NEXT) | instid1(VALU_DEP_3)
	v_fma_f64 v[28:29], v[30:31], v[28:29], s[66:67]
	v_add_f64 v[42:43], v[32:33], -v[42:43]
	s_delay_alu instid0(VALU_DEP_3) | instskip(SKIP_1) | instid1(VALU_DEP_4)
	v_add_f64 v[38:39], v[32:33], v[36:37]
	v_add_f64 v[40:41], v[36:37], -v[40:41]
	v_fma_f64 v[28:29], v[30:31], v[28:29], s[68:69]
	s_delay_alu instid0(VALU_DEP_4) | instskip(NEXT) | instid1(VALU_DEP_4)
	v_add_f64 v[34:35], v[34:35], -v[42:43]
	v_add_f64 v[44:45], v[38:39], -v[32:33]
	s_delay_alu instid0(VALU_DEP_4) | instskip(NEXT) | instid1(VALU_DEP_4)
	v_add_f64 v[24:25], v[24:25], -v[40:41]
	v_fma_f64 v[28:29], v[30:31], v[28:29], s[70:71]
	s_delay_alu instid0(VALU_DEP_3) | instskip(SKIP_1) | instid1(VALU_DEP_4)
	v_add_f64 v[46:47], v[38:39], -v[44:45]
	v_add_f64 v[36:37], v[36:37], -v[44:45]
	v_add_f64 v[40:41], v[34:35], v[24:25]
	s_delay_alu instid0(VALU_DEP_4) | instskip(NEXT) | instid1(VALU_DEP_4)
	v_fma_f64 v[28:29], v[30:31], v[28:29], s[72:73]
	v_add_f64 v[32:33], v[32:33], -v[46:47]
	s_delay_alu instid0(VALU_DEP_2) | instskip(NEXT) | instid1(VALU_DEP_2)
	v_fma_f64 v[28:29], v[30:31], v[28:29], s[74:75]
	v_add_f64 v[32:33], v[36:37], v[32:33]
	v_add_f64 v[36:37], v[40:41], -v[34:35]
	s_delay_alu instid0(VALU_DEP_3) | instskip(NEXT) | instid1(VALU_DEP_3)
	v_fma_f64 v[28:29], v[30:31], v[28:29], s[76:77]
	v_add_f64 v[32:33], v[40:41], v[32:33]
	s_delay_alu instid0(VALU_DEP_3) | instskip(SKIP_1) | instid1(VALU_DEP_4)
	v_add_f64 v[40:41], v[40:41], -v[36:37]
	v_add_f64 v[24:25], v[24:25], -v[36:37]
	v_fma_f64 v[28:29], v[30:31], v[28:29], s[78:79]
	s_delay_alu instid0(VALU_DEP_4) | instskip(NEXT) | instid1(VALU_DEP_2)
	v_add_f64 v[42:43], v[38:39], v[32:33]
	v_mul_f64 v[28:29], v[30:31], v[28:29]
	v_add_f64 v[30:31], v[34:35], -v[40:41]
	s_delay_alu instid0(VALU_DEP_3) | instskip(NEXT) | instid1(VALU_DEP_3)
	v_add_f64 v[34:35], v[42:43], -v[38:39]
	v_fma_f64 v[26:27], v[26:27], v[28:29], v[26:27]
	s_delay_alu instid0(VALU_DEP_3) | instskip(NEXT) | instid1(VALU_DEP_3)
	v_add_f64 v[24:25], v[24:25], v[30:31]
	v_add_f64 v[28:29], v[32:33], -v[34:35]
	s_delay_alu instid0(VALU_DEP_3) | instskip(NEXT) | instid1(VALU_DEP_2)
	v_add_f64 v[30:31], -v[26:27], s[80:81]
	v_add_f64 v[24:25], v[24:25], v[28:29]
	s_delay_alu instid0(VALU_DEP_2) | instskip(NEXT) | instid1(VALU_DEP_3)
	v_cndmask_b32_e64 v27, v27, v31, s0
	v_cndmask_b32_e64 v26, v26, v30, s0
	;; [unrolled: 1-line block ×3, first 2 shown]
	s_delay_alu instid0(VALU_DEP_2) | instskip(SKIP_2) | instid1(VALU_DEP_3)
	v_add_f64 v[28:29], -v[26:27], s[10:11]
	v_add_f64 v[24:25], v[42:43], v[24:25]
	v_and_b32_e32 v31, 0x54442d18, v19
	v_cndmask_b32_e64 v26, v26, v28, s1
	s_delay_alu instid0(VALU_DEP_3) | instskip(NEXT) | instid1(VALU_DEP_2)
	v_cndmask_b32_e32 v6, v24, v22, vcc_lo
	v_cndmask_b32_e64 v24, v26, v31, s2
	v_cndmask_b32_e32 v7, v25, v23, vcc_lo
	s_and_b32 vcc_lo, s6, s5
	s_delay_alu instid0(VALU_DEP_2) | instskip(NEXT) | instid1(VALU_DEP_2)
	v_cndmask_b32_e32 v24, v24, v30, vcc_lo
	v_mul_f64 v[22:23], v[6:7], 0.5
	v_cndmask_b32_e64 v6, 0x3fe921fb, v55, s1
	v_and_b32_e32 v7, 0x400921fb, v19
	v_cndmask_b32_e64 v19, v27, v29, s1
                                        ; implicit-def: $vgpr28_vgpr29
	s_delay_alu instid0(VALU_DEP_3) | instskip(NEXT) | instid1(VALU_DEP_2)
	v_bfi_b32 v6, 0x7fffffff, v6, v9
	v_cndmask_b32_e64 v7, v19, v7, s2
	s_delay_alu instid0(VALU_DEP_1)
	v_cndmask_b32_e32 v25, v7, v6, vcc_lo
.LBB186_183:                            ;   in Loop: Header=BB186_162 Depth=1
	s_and_not1_saveexec_b32 s2, s4
	s_cbranch_execz .LBB186_185
; %bb.184:                              ;   in Loop: Header=BB186_162 Depth=1
	v_max_f64 v[22:23], |v[8:9]|, |v[8:9]|
	v_max_f64 v[24:25], |v[6:7]|, |v[6:7]|
	s_mov_b32 s10, s80
	v_cmp_eq_f64_e64 s1, 0, v[8:9]
	v_cmp_class_f64_e64 s4, v[8:9], 0x204
	v_cmp_class_f64_e64 s5, v[6:7], 0x204
	v_ashrrev_i32_e32 v19, 31, v7
	v_max_f64 v[26:27], v[24:25], v[22:23]
	v_min_f64 v[22:23], v[24:25], v[22:23]
	s_delay_alu instid0(VALU_DEP_1) | instskip(SKIP_1) | instid1(VALU_DEP_2)
	v_div_scale_f64 v[24:25], null, v[26:27], v[26:27], v[22:23]
	v_div_scale_f64 v[34:35], vcc_lo, v[22:23], v[26:27], v[22:23]
	v_rcp_f64_e32 v[30:31], v[24:25]
	s_waitcnt_depctr 0xfff
	v_fma_f64 v[32:33], -v[24:25], v[30:31], 1.0
	s_delay_alu instid0(VALU_DEP_1) | instskip(NEXT) | instid1(VALU_DEP_1)
	v_fma_f64 v[30:31], v[30:31], v[32:33], v[30:31]
	v_fma_f64 v[32:33], -v[24:25], v[30:31], 1.0
	s_delay_alu instid0(VALU_DEP_1) | instskip(NEXT) | instid1(VALU_DEP_1)
	v_fma_f64 v[30:31], v[30:31], v[32:33], v[30:31]
	v_mul_f64 v[32:33], v[34:35], v[30:31]
	s_delay_alu instid0(VALU_DEP_1) | instskip(NEXT) | instid1(VALU_DEP_1)
	v_fma_f64 v[24:25], -v[24:25], v[32:33], v[34:35]
	v_div_fmas_f64 v[24:25], v[24:25], v[30:31], v[32:33]
	v_cmp_gt_i32_e32 vcc_lo, 0, v7
	v_and_b32_e32 v31, 0x54442d18, v19
	v_and_b32_e32 v7, 0x400921fb, v19
	v_cndmask_b32_e32 v30, 0x54442d18, v54, vcc_lo
	v_cndmask_b32_e32 v6, 0x3fe921fb, v55, vcc_lo
	s_delay_alu instid0(VALU_DEP_1) | instskip(SKIP_1) | instid1(VALU_DEP_1)
	v_bfi_b32 v6, 0x7fffffff, v6, v9
	v_div_fixup_f64 v[22:23], v[24:25], v[26:27], v[22:23]
	v_mul_f64 v[24:25], v[22:23], v[22:23]
	s_delay_alu instid0(VALU_DEP_1) | instskip(NEXT) | instid1(VALU_DEP_1)
	v_fma_f64 v[26:27], v[24:25], s[42:43], s[40:41]
	v_fma_f64 v[26:27], v[24:25], v[26:27], s[44:45]
	s_delay_alu instid0(VALU_DEP_1) | instskip(NEXT) | instid1(VALU_DEP_1)
	v_fma_f64 v[26:27], v[24:25], v[26:27], s[46:47]
	v_fma_f64 v[26:27], v[24:25], v[26:27], s[48:49]
	;; [unrolled: 3-line block ×9, first 2 shown]
	s_delay_alu instid0(VALU_DEP_1) | instskip(NEXT) | instid1(VALU_DEP_1)
	v_fma_f64 v[26:27], v[24:25], v[26:27], s[78:79]
	v_mul_f64 v[24:25], v[24:25], v[26:27]
	s_delay_alu instid0(VALU_DEP_1) | instskip(NEXT) | instid1(VALU_DEP_1)
	v_fma_f64 v[22:23], v[22:23], v[24:25], v[22:23]
	v_add_f64 v[24:25], -v[22:23], s[80:81]
	s_delay_alu instid0(VALU_DEP_1) | instskip(NEXT) | instid1(VALU_DEP_2)
	v_cndmask_b32_e64 v25, v23, v25, s0
	v_cndmask_b32_e64 v24, v22, v24, s0
	v_mul_f64 v[22:23], v[28:29], 0.5
	s_delay_alu instid0(VALU_DEP_2) | instskip(NEXT) | instid1(VALU_DEP_2)
	v_add_f64 v[26:27], -v[24:25], s[10:11]
	v_mul_f64 v[22:23], v[28:29], v[22:23]
	s_delay_alu instid0(VALU_DEP_2) | instskip(NEXT) | instid1(VALU_DEP_1)
	v_cndmask_b32_e32 v24, v24, v26, vcc_lo
	v_cndmask_b32_e64 v24, v24, v31, s1
	s_delay_alu instid0(VALU_DEP_4) | instskip(SKIP_1) | instid1(VALU_DEP_2)
	v_cndmask_b32_e32 v19, v25, v27, vcc_lo
	s_and_b32 vcc_lo, s5, s4
	v_cndmask_b32_e32 v24, v24, v30, vcc_lo
	s_delay_alu instid0(VALU_DEP_2) | instskip(NEXT) | instid1(VALU_DEP_1)
	v_cndmask_b32_e64 v7, v19, v7, s1
	v_cndmask_b32_e32 v25, v7, v6, vcc_lo
.LBB186_185:                            ;   in Loop: Header=BB186_162 Depth=1
	s_or_b32 exec_lo, exec_lo, s2
.LBB186_186:                            ;   in Loop: Header=BB186_162 Depth=1
	s_delay_alu instid0(SALU_CYCLE_1)
	s_or_b32 exec_lo, exec_lo, s3
.LBB186_187:                            ;   in Loop: Header=BB186_162 Depth=1
	s_and_not1_saveexec_b32 s3, s95
	s_cbranch_execz .LBB186_189
; %bb.188:                              ;   in Loop: Header=BB186_162 Depth=1
	v_div_scale_f64 v[22:23], null, s[86:87], s[86:87], v[6:7]
	v_div_scale_f64 v[24:25], null, s[86:87], s[86:87], v[8:9]
	v_div_scale_f64 v[34:35], vcc_lo, v[6:7], s[86:87], v[6:7]
	v_max_f64 v[40:41], |v[6:7]|, |v[6:7]|
	s_mov_b32 s91, s21
	s_mov_b32 s10, s80
	s_delay_alu instid0(VALU_DEP_4) | instskip(NEXT) | instid1(VALU_DEP_3)
	v_rcp_f64_e32 v[26:27], v[22:23]
	v_rcp_f64_e32 v[28:29], v[24:25]
	s_waitcnt_depctr 0xfff
	v_fma_f64 v[30:31], -v[22:23], v[26:27], 1.0
	v_fma_f64 v[32:33], -v[24:25], v[28:29], 1.0
	s_delay_alu instid0(VALU_DEP_2) | instskip(NEXT) | instid1(VALU_DEP_2)
	v_fma_f64 v[26:27], v[26:27], v[30:31], v[26:27]
	v_fma_f64 v[28:29], v[28:29], v[32:33], v[28:29]
	s_delay_alu instid0(VALU_DEP_2) | instskip(NEXT) | instid1(VALU_DEP_2)
	v_fma_f64 v[30:31], -v[22:23], v[26:27], 1.0
	v_fma_f64 v[32:33], -v[24:25], v[28:29], 1.0
	s_delay_alu instid0(VALU_DEP_2) | instskip(SKIP_1) | instid1(VALU_DEP_3)
	v_fma_f64 v[26:27], v[26:27], v[30:31], v[26:27]
	v_div_scale_f64 v[30:31], s1, v[8:9], s[86:87], v[8:9]
	v_fma_f64 v[28:29], v[28:29], v[32:33], v[28:29]
	s_delay_alu instid0(VALU_DEP_3) | instskip(NEXT) | instid1(VALU_DEP_2)
	v_mul_f64 v[32:33], v[34:35], v[26:27]
	v_mul_f64 v[36:37], v[30:31], v[28:29]
	s_delay_alu instid0(VALU_DEP_2) | instskip(NEXT) | instid1(VALU_DEP_2)
	v_fma_f64 v[22:23], -v[22:23], v[32:33], v[34:35]
	v_fma_f64 v[24:25], -v[24:25], v[36:37], v[30:31]
	s_delay_alu instid0(VALU_DEP_2) | instskip(SKIP_1) | instid1(VALU_DEP_2)
	v_div_fmas_f64 v[22:23], v[22:23], v[26:27], v[32:33]
	s_mov_b32 vcc_lo, s1
	v_div_fmas_f64 v[24:25], v[24:25], v[28:29], v[36:37]
	s_delay_alu instid0(VALU_DEP_2) | instskip(NEXT) | instid1(VALU_DEP_2)
	v_div_fixup_f64 v[22:23], v[22:23], s[86:87], v[6:7]
	v_div_fixup_f64 v[24:25], v[24:25], s[86:87], v[8:9]
	s_delay_alu instid0(VALU_DEP_2) | instskip(NEXT) | instid1(VALU_DEP_2)
	v_cmp_class_f64_e64 s2, v[22:23], 0x204
	v_max_f64 v[26:27], |v[22:23]|, |v[24:25]|
	v_cmp_o_f64_e64 s1, v[22:23], v[24:25]
	v_cmp_class_f64_e64 s4, v[24:25], 0x204
	s_delay_alu instid0(VALU_DEP_3) | instskip(NEXT) | instid1(VALU_DEP_2)
	v_frexp_exp_i32_f64_e32 v19, v[26:27]
	s_or_b32 s4, s2, s4
	s_delay_alu instid0(VALU_DEP_1) | instskip(NEXT) | instid1(VALU_DEP_1)
	v_sub_nc_u32_e32 v28, 0, v19
	v_ldexp_f64 v[26:27], |v[24:25]|, v28
	v_ldexp_f64 v[28:29], |v[22:23]|, v28
	s_delay_alu instid0(VALU_DEP_2) | instskip(NEXT) | instid1(VALU_DEP_1)
	v_mul_f64 v[26:27], v[26:27], v[26:27]
	v_fma_f64 v[26:27], v[28:29], v[28:29], v[26:27]
	s_delay_alu instid0(VALU_DEP_1) | instskip(SKIP_4) | instid1(VALU_DEP_1)
	v_rsq_f64_e32 v[28:29], v[26:27]
	v_cmp_eq_f64_e32 vcc_lo, 0, v[26:27]
	s_waitcnt_depctr 0xfff
	v_mul_f64 v[30:31], v[26:27], v[28:29]
	v_mul_f64 v[28:29], v[28:29], 0.5
	v_fma_f64 v[32:33], -v[28:29], v[30:31], 0.5
	s_delay_alu instid0(VALU_DEP_1) | instskip(SKIP_1) | instid1(VALU_DEP_2)
	v_fma_f64 v[30:31], v[30:31], v[32:33], v[30:31]
	v_fma_f64 v[28:29], v[28:29], v[32:33], v[28:29]
	v_fma_f64 v[32:33], -v[30:31], v[30:31], v[26:27]
	s_delay_alu instid0(VALU_DEP_1) | instskip(NEXT) | instid1(VALU_DEP_1)
	v_fma_f64 v[28:29], v[32:33], v[28:29], v[30:31]
	v_dual_cndmask_b32 v27, v29, v27 :: v_dual_cndmask_b32 v26, v28, v26
	s_delay_alu instid0(VALU_DEP_1) | instskip(NEXT) | instid1(VALU_DEP_1)
	v_ldexp_f64 v[26:27], v[26:27], v19
	v_cndmask_b32_e64 v22, 0, v26, s1
	s_delay_alu instid0(VALU_DEP_2) | instskip(SKIP_1) | instid1(VALU_DEP_3)
	v_cndmask_b32_e64 v52, 0x7ff80000, v27, s1
	v_and_b32_e32 v27, 0x7fffffff, v27
	v_cndmask_b32_e64 v23, v22, 0, s4
	s_delay_alu instid0(VALU_DEP_3) | instskip(NEXT) | instid1(VALU_DEP_1)
	v_cndmask_b32_e64 v24, v52, 0x7ff00000, s4
	v_frexp_mant_f64_e32 v[28:29], v[23:24]
	s_delay_alu instid0(VALU_DEP_1) | instskip(NEXT) | instid1(VALU_DEP_1)
	v_cmp_gt_f64_e64 s2, s[20:21], v[28:29]
	v_cndmask_b32_e64 v19, 0x3ff00000, 2.0, s2
	s_delay_alu instid0(VALU_DEP_1) | instskip(SKIP_1) | instid1(VALU_DEP_2)
	v_mul_f64 v[28:29], v[28:29], v[18:19]
	v_frexp_exp_i32_f64_e32 v19, v[23:24]
	v_add_f64 v[30:31], v[28:29], 1.0
	v_add_f64 v[36:37], v[28:29], -1.0
	s_delay_alu instid0(VALU_DEP_2) | instskip(SKIP_1) | instid1(VALU_DEP_1)
	v_rcp_f64_e32 v[32:33], v[30:31]
	v_add_f64 v[42:43], v[30:31], -1.0
	v_add_f64 v[28:29], v[28:29], -v[42:43]
	s_waitcnt_depctr 0xfff
	v_fma_f64 v[34:35], -v[30:31], v[32:33], 1.0
	s_delay_alu instid0(VALU_DEP_1) | instskip(NEXT) | instid1(VALU_DEP_1)
	v_fma_f64 v[32:33], v[34:35], v[32:33], v[32:33]
	v_fma_f64 v[34:35], -v[30:31], v[32:33], 1.0
	s_delay_alu instid0(VALU_DEP_1) | instskip(SKIP_1) | instid1(VALU_DEP_2)
	v_fma_f64 v[32:33], v[34:35], v[32:33], v[32:33]
	v_max_f64 v[34:35], |v[8:9]|, |v[8:9]|
	v_mul_f64 v[38:39], v[36:37], v[32:33]
	s_delay_alu instid0(VALU_DEP_2) | instskip(SKIP_1) | instid1(VALU_DEP_3)
	v_max_f64 v[46:47], v[40:41], v[34:35]
	v_min_f64 v[34:35], v[40:41], v[34:35]
	v_mul_f64 v[44:45], v[30:31], v[38:39]
	s_delay_alu instid0(VALU_DEP_2) | instskip(NEXT) | instid1(VALU_DEP_2)
	v_div_scale_f64 v[40:41], null, v[46:47], v[46:47], v[34:35]
	v_fma_f64 v[30:31], v[38:39], v[30:31], -v[44:45]
	s_delay_alu instid0(VALU_DEP_1) | instskip(NEXT) | instid1(VALU_DEP_3)
	v_fma_f64 v[28:29], v[38:39], v[28:29], v[30:31]
	v_rcp_f64_e32 v[30:31], v[40:41]
	s_delay_alu instid0(VALU_DEP_1) | instskip(SKIP_4) | instid1(VALU_DEP_3)
	v_add_f64 v[42:43], v[44:45], v[28:29]
	s_waitcnt_depctr 0xfff
	v_fma_f64 v[48:49], -v[40:41], v[30:31], 1.0
	v_add_f64 v[50:51], v[36:37], -v[42:43]
	v_add_f64 v[44:45], v[42:43], -v[44:45]
	v_fma_f64 v[30:31], v[30:31], v[48:49], v[30:31]
	s_delay_alu instid0(VALU_DEP_3) | instskip(NEXT) | instid1(VALU_DEP_3)
	v_add_f64 v[36:37], v[36:37], -v[50:51]
	v_add_f64 v[28:29], v[44:45], -v[28:29]
	s_delay_alu instid0(VALU_DEP_3) | instskip(NEXT) | instid1(VALU_DEP_3)
	v_fma_f64 v[48:49], -v[40:41], v[30:31], 1.0
	v_add_f64 v[36:37], v[36:37], -v[42:43]
	v_div_scale_f64 v[42:43], vcc_lo, v[34:35], v[46:47], v[34:35]
	s_delay_alu instid0(VALU_DEP_3) | instskip(NEXT) | instid1(VALU_DEP_3)
	v_fma_f64 v[30:31], v[30:31], v[48:49], v[30:31]
	v_add_f64 v[28:29], v[28:29], v[36:37]
	s_delay_alu instid0(VALU_DEP_2) | instskip(NEXT) | instid1(VALU_DEP_2)
	v_mul_f64 v[36:37], v[42:43], v[30:31]
	v_add_f64 v[28:29], v[50:51], v[28:29]
	s_delay_alu instid0(VALU_DEP_2) | instskip(NEXT) | instid1(VALU_DEP_2)
	v_fma_f64 v[40:41], -v[40:41], v[36:37], v[42:43]
	v_mul_f64 v[28:29], v[32:33], v[28:29]
	s_delay_alu instid0(VALU_DEP_2)
	v_div_fmas_f64 v[30:31], v[40:41], v[30:31], v[36:37]
	v_subrev_co_ci_u32_e64 v19, vcc_lo, 0, v19, s2
	v_cmp_eq_f64_e32 vcc_lo, 0x7ff00000, v[26:27]
	v_cmp_class_f64_e64 s2, v[6:7], 0x204
	v_add_f64 v[32:33], v[38:39], v[28:29]
	v_div_fixup_f64 v[30:31], v[30:31], v[46:47], v[34:35]
	s_and_b32 vcc_lo, s1, vcc_lo
	v_cmp_class_f64_e64 s1, v[8:9], 0x204
	s_delay_alu instid0(VALU_DEP_3) | instskip(NEXT) | instid1(VALU_DEP_3)
	v_mul_f64 v[34:35], v[32:33], v[32:33]
	v_mul_f64 v[36:37], v[30:31], v[30:31]
	s_delay_alu instid0(VALU_DEP_2) | instskip(SKIP_1) | instid1(VALU_DEP_3)
	v_fma_f64 v[40:41], v[34:35], s[24:25], s[22:23]
	v_mul_f64 v[44:45], v[32:33], v[34:35]
	v_fma_f64 v[42:43], v[36:37], s[42:43], s[40:41]
	s_delay_alu instid0(VALU_DEP_3) | instskip(NEXT) | instid1(VALU_DEP_2)
	v_fma_f64 v[40:41], v[34:35], v[40:41], s[26:27]
	v_fma_f64 v[42:43], v[36:37], v[42:43], s[44:45]
	s_delay_alu instid0(VALU_DEP_2) | instskip(NEXT) | instid1(VALU_DEP_2)
	v_fma_f64 v[40:41], v[34:35], v[40:41], s[28:29]
	v_fma_f64 v[42:43], v[36:37], v[42:43], s[46:47]
	s_delay_alu instid0(VALU_DEP_2) | instskip(NEXT) | instid1(VALU_DEP_2)
	v_fma_f64 v[40:41], v[34:35], v[40:41], s[30:31]
	v_fma_f64 v[42:43], v[36:37], v[42:43], s[48:49]
	s_delay_alu instid0(VALU_DEP_2) | instskip(NEXT) | instid1(VALU_DEP_2)
	v_fma_f64 v[40:41], v[34:35], v[40:41], s[34:35]
	v_fma_f64 v[42:43], v[36:37], v[42:43], s[50:51]
	s_delay_alu instid0(VALU_DEP_2) | instskip(NEXT) | instid1(VALU_DEP_2)
	v_fma_f64 v[34:35], v[34:35], v[40:41], s[90:91]
	v_fma_f64 v[40:41], v[36:37], v[42:43], s[52:53]
	v_ldexp_f64 v[42:43], v[32:33], 1
	v_add_f64 v[32:33], v[32:33], -v[38:39]
	s_delay_alu instid0(VALU_DEP_4)
	v_mul_f64 v[34:35], v[44:45], v[34:35]
	v_cvt_f64_i32_e32 v[44:45], v19
	v_ashrrev_i32_e32 v19, 31, v7
	v_fma_f64 v[40:41], v[36:37], v[40:41], s[54:55]
	v_add_f64 v[28:29], v[28:29], -v[32:33]
	v_add_f64 v[38:39], v[42:43], v[34:35]
	v_mul_f64 v[46:47], v[44:45], s[36:37]
	s_delay_alu instid0(VALU_DEP_4) | instskip(NEXT) | instid1(VALU_DEP_4)
	v_fma_f64 v[40:41], v[36:37], v[40:41], s[56:57]
	v_ldexp_f64 v[28:29], v[28:29], 1
	s_delay_alu instid0(VALU_DEP_4) | instskip(NEXT) | instid1(VALU_DEP_4)
	v_add_f64 v[32:33], v[38:39], -v[42:43]
	v_fma_f64 v[42:43], v[44:45], s[36:37], -v[46:47]
	s_delay_alu instid0(VALU_DEP_4) | instskip(NEXT) | instid1(VALU_DEP_3)
	v_fma_f64 v[40:41], v[36:37], v[40:41], s[58:59]
	v_add_f64 v[32:33], v[34:35], -v[32:33]
	s_delay_alu instid0(VALU_DEP_2) | instskip(NEXT) | instid1(VALU_DEP_4)
	v_fma_f64 v[34:35], v[36:37], v[40:41], s[60:61]
	v_fma_f64 v[40:41], v[44:45], s[38:39], v[42:43]
	s_delay_alu instid0(VALU_DEP_3) | instskip(NEXT) | instid1(VALU_DEP_3)
	v_add_f64 v[28:29], v[28:29], v[32:33]
	v_fma_f64 v[32:33], v[36:37], v[34:35], s[62:63]
	s_delay_alu instid0(VALU_DEP_3) | instskip(NEXT) | instid1(VALU_DEP_3)
	v_add_f64 v[34:35], v[46:47], v[40:41]
	v_add_f64 v[42:43], v[38:39], v[28:29]
	s_delay_alu instid0(VALU_DEP_3) | instskip(NEXT) | instid1(VALU_DEP_3)
	v_fma_f64 v[32:33], v[36:37], v[32:33], s[64:65]
	v_add_f64 v[46:47], v[34:35], -v[46:47]
	s_delay_alu instid0(VALU_DEP_3) | instskip(SKIP_1) | instid1(VALU_DEP_4)
	v_add_f64 v[44:45], v[34:35], v[42:43]
	v_add_f64 v[38:39], v[42:43], -v[38:39]
	v_fma_f64 v[32:33], v[36:37], v[32:33], s[66:67]
	s_delay_alu instid0(VALU_DEP_4) | instskip(NEXT) | instid1(VALU_DEP_4)
	v_add_f64 v[40:41], v[40:41], -v[46:47]
	v_add_f64 v[48:49], v[44:45], -v[34:35]
	s_delay_alu instid0(VALU_DEP_4) | instskip(NEXT) | instid1(VALU_DEP_4)
	v_add_f64 v[28:29], v[28:29], -v[38:39]
	v_fma_f64 v[32:33], v[36:37], v[32:33], s[68:69]
	s_delay_alu instid0(VALU_DEP_3) | instskip(SKIP_1) | instid1(VALU_DEP_4)
	v_add_f64 v[50:51], v[44:45], -v[48:49]
	v_add_f64 v[38:39], v[42:43], -v[48:49]
	v_add_f64 v[42:43], v[40:41], v[28:29]
	s_delay_alu instid0(VALU_DEP_4) | instskip(NEXT) | instid1(VALU_DEP_4)
	v_fma_f64 v[32:33], v[36:37], v[32:33], s[70:71]
	v_add_f64 v[34:35], v[34:35], -v[50:51]
	s_delay_alu instid0(VALU_DEP_2) | instskip(NEXT) | instid1(VALU_DEP_2)
	v_fma_f64 v[32:33], v[36:37], v[32:33], s[72:73]
	v_add_f64 v[34:35], v[38:39], v[34:35]
	v_add_f64 v[38:39], v[42:43], -v[40:41]
	s_delay_alu instid0(VALU_DEP_3) | instskip(NEXT) | instid1(VALU_DEP_3)
	v_fma_f64 v[32:33], v[36:37], v[32:33], s[74:75]
	v_add_f64 v[34:35], v[42:43], v[34:35]
	s_delay_alu instid0(VALU_DEP_3) | instskip(SKIP_1) | instid1(VALU_DEP_4)
	v_add_f64 v[42:43], v[42:43], -v[38:39]
	v_add_f64 v[28:29], v[28:29], -v[38:39]
	v_fma_f64 v[32:33], v[36:37], v[32:33], s[76:77]
	s_delay_alu instid0(VALU_DEP_4) | instskip(NEXT) | instid1(VALU_DEP_4)
	v_add_f64 v[46:47], v[44:45], v[34:35]
	v_add_f64 v[38:39], v[40:41], -v[42:43]
	s_delay_alu instid0(VALU_DEP_3) | instskip(NEXT) | instid1(VALU_DEP_3)
	v_fma_f64 v[32:33], v[36:37], v[32:33], s[78:79]
	v_add_f64 v[40:41], v[46:47], -v[44:45]
	s_delay_alu instid0(VALU_DEP_3) | instskip(NEXT) | instid1(VALU_DEP_3)
	v_add_f64 v[28:29], v[28:29], v[38:39]
	v_mul_f64 v[32:33], v[36:37], v[32:33]
	s_delay_alu instid0(VALU_DEP_3) | instskip(NEXT) | instid1(VALU_DEP_2)
	v_add_f64 v[34:35], v[34:35], -v[40:41]
	v_fma_f64 v[30:31], v[30:31], v[32:33], v[30:31]
	s_delay_alu instid0(VALU_DEP_2) | instskip(NEXT) | instid1(VALU_DEP_2)
	v_add_f64 v[28:29], v[28:29], v[34:35]
	v_add_f64 v[32:33], -v[30:31], s[80:81]
	s_delay_alu instid0(VALU_DEP_2) | instskip(NEXT) | instid1(VALU_DEP_2)
	v_add_f64 v[25:26], v[46:47], v[28:29]
	v_cndmask_b32_e64 v28, v31, v33, s0
	s_delay_alu instid0(VALU_DEP_3) | instskip(SKIP_1) | instid1(VALU_DEP_2)
	v_cndmask_b32_e64 v27, v30, v32, s0
	v_cmp_eq_f64_e64 s0, 0, v[8:9]
	v_add_f64 v[29:30], -v[27:28], s[10:11]
	v_dual_cndmask_b32 v26, v26, v52 :: v_dual_cndmask_b32 v25, v25, v22
	v_and_b32_e32 v22, 0x54442d18, v19
	v_cmp_gt_i32_e32 vcc_lo, 0, v7
	v_and_b32_e32 v7, 0x400921fb, v19
	s_delay_alu instid0(VALU_DEP_4) | instskip(SKIP_3) | instid1(VALU_DEP_2)
	v_add_f64 v[25:26], v[25:26], 1.0
	v_cndmask_b32_e32 v31, 0x54442d18, v54, vcc_lo
	v_cndmask_b32_e32 v27, v27, v29, vcc_lo
	;; [unrolled: 1-line block ×3, first 2 shown]
	v_cndmask_b32_e64 v27, v27, v22, s0
	v_cndmask_b32_e32 v19, v28, v30, vcc_lo
	v_cmp_ngt_f64_e32 vcc_lo, 0, v[23:24]
	s_delay_alu instid0(VALU_DEP_4) | instskip(NEXT) | instid1(VALU_DEP_3)
	v_bfi_b32 v6, 0x7fffffff, v6, v9
	v_cndmask_b32_e64 v7, v19, v7, s0
	v_cmp_nge_f64_e64 s0, 0, v[23:24]
	v_cndmask_b32_e64 v19, v25, 0, s4
	v_cndmask_b32_e64 v26, v26, 0x7ff00000, s4
	s_delay_alu instid0(VALU_DEP_1)
	v_cndmask_b32_e32 v26, 0x7ff80000, v26, vcc_lo
	s_and_b32 vcc_lo, s2, s1
	v_cndmask_b32_e32 v25, v7, v6, vcc_lo
	v_cndmask_b32_e64 v22, 0, v19, s0
	v_cmp_neq_f64_e64 s0, 0, v[23:24]
	v_cndmask_b32_e32 v24, v27, v31, vcc_lo
	s_delay_alu instid0(VALU_DEP_2)
	v_cndmask_b32_e64 v23, 0xfff00000, v26, s0
.LBB186_189:                            ;   in Loop: Header=BB186_162 Depth=1
	s_or_b32 exec_lo, exec_lo, s3
.LBB186_190:                            ;   in Loop: Header=BB186_162 Depth=1
	s_and_not1_saveexec_b32 s0, s94
	s_cbranch_execz .LBB186_196
; %bb.191:                              ;   in Loop: Header=BB186_162 Depth=1
	v_cmp_ngt_f64_e64 s1, 0x20000000, |v[6:7]|
	v_cmp_ngt_f64_e64 s2, 0x20000000, |v[8:9]|
                                        ; implicit-def: $vgpr26_vgpr27
	s_delay_alu instid0(VALU_DEP_1) | instskip(NEXT) | instid1(SALU_CYCLE_1)
	s_or_b32 s1, s1, s2
	s_and_saveexec_b32 s2, s1
	s_delay_alu instid0(SALU_CYCLE_1)
	s_xor_b32 s1, exec_lo, s2
; %bb.192:                              ;   in Loop: Header=BB186_162 Depth=1
	v_mul_f64 v[22:23], v[8:9], v[8:9]
	s_delay_alu instid0(VALU_DEP_1)
	v_fma_f64 v[26:27], v[6:7], v[6:7], v[22:23]
; %bb.193:                              ;   in Loop: Header=BB186_162 Depth=1
	s_and_not1_saveexec_b32 s1, s1
; %bb.194:                              ;   in Loop: Header=BB186_162 Depth=1
	v_mul_f64 v[22:23], v[8:9], 4.0
	v_mul_f64 v[6:7], v[6:7], 4.0
	s_delay_alu instid0(VALU_DEP_2) | instskip(NEXT) | instid1(VALU_DEP_1)
	v_mul_f64 v[22:23], v[22:23], v[22:23]
	v_fma_f64 v[6:7], v[6:7], v[6:7], v[22:23]
	s_delay_alu instid0(VALU_DEP_1)
	v_ldexp_f64 v[26:27], v[6:7], -4
; %bb.195:                              ;   in Loop: Header=BB186_162 Depth=1
	s_or_b32 exec_lo, exec_lo, s1
	s_delay_alu instid0(VALU_DEP_1) | instskip(SKIP_2) | instid1(VALU_DEP_2)
	v_frexp_mant_f64_e32 v[6:7], v[26:27]
	s_mov_b32 s91, s21
	v_frexp_exp_i32_f64_e32 v8, v[26:27]
	v_cmp_gt_f64_e32 vcc_lo, s[20:21], v[6:7]
	v_cndmask_b32_e64 v19, 0x3ff00000, 2.0, vcc_lo
	s_delay_alu instid0(VALU_DEP_3) | instskip(SKIP_1) | instid1(VALU_DEP_3)
	v_subrev_co_ci_u32_e32 v8, vcc_lo, 0, v8, vcc_lo
	v_cmp_class_f64_e64 vcc_lo, v[26:27], 0x204
	v_mul_f64 v[6:7], v[6:7], v[18:19]
	s_delay_alu instid0(VALU_DEP_1) | instskip(SKIP_1) | instid1(VALU_DEP_2)
	v_add_f64 v[22:23], v[6:7], 1.0
	v_add_f64 v[30:31], v[6:7], -1.0
	v_rcp_f64_e32 v[24:25], v[22:23]
	v_add_f64 v[32:33], v[22:23], -1.0
	s_delay_alu instid0(VALU_DEP_1) | instskip(SKIP_2) | instid1(VALU_DEP_1)
	v_add_f64 v[6:7], v[6:7], -v[32:33]
	s_waitcnt_depctr 0xfff
	v_fma_f64 v[28:29], -v[22:23], v[24:25], 1.0
	v_fma_f64 v[24:25], v[28:29], v[24:25], v[24:25]
	s_delay_alu instid0(VALU_DEP_1) | instskip(NEXT) | instid1(VALU_DEP_1)
	v_fma_f64 v[28:29], -v[22:23], v[24:25], 1.0
	v_fma_f64 v[24:25], v[28:29], v[24:25], v[24:25]
	s_delay_alu instid0(VALU_DEP_1) | instskip(NEXT) | instid1(VALU_DEP_1)
	v_mul_f64 v[28:29], v[30:31], v[24:25]
	v_mul_f64 v[34:35], v[22:23], v[28:29]
	s_delay_alu instid0(VALU_DEP_1) | instskip(NEXT) | instid1(VALU_DEP_1)
	v_fma_f64 v[22:23], v[28:29], v[22:23], -v[34:35]
	v_fma_f64 v[6:7], v[28:29], v[6:7], v[22:23]
	s_delay_alu instid0(VALU_DEP_1) | instskip(NEXT) | instid1(VALU_DEP_1)
	v_add_f64 v[22:23], v[34:35], v[6:7]
	v_add_f64 v[32:33], v[30:31], -v[22:23]
	v_add_f64 v[34:35], v[22:23], -v[34:35]
	s_delay_alu instid0(VALU_DEP_2) | instskip(NEXT) | instid1(VALU_DEP_2)
	v_add_f64 v[30:31], v[30:31], -v[32:33]
	v_add_f64 v[6:7], v[34:35], -v[6:7]
	s_delay_alu instid0(VALU_DEP_2) | instskip(NEXT) | instid1(VALU_DEP_1)
	v_add_f64 v[22:23], v[30:31], -v[22:23]
	v_add_f64 v[6:7], v[6:7], v[22:23]
	s_delay_alu instid0(VALU_DEP_1) | instskip(NEXT) | instid1(VALU_DEP_1)
	v_add_f64 v[6:7], v[32:33], v[6:7]
	v_mul_f64 v[6:7], v[24:25], v[6:7]
	s_delay_alu instid0(VALU_DEP_1) | instskip(NEXT) | instid1(VALU_DEP_1)
	v_add_f64 v[22:23], v[28:29], v[6:7]
	v_mul_f64 v[24:25], v[22:23], v[22:23]
	s_delay_alu instid0(VALU_DEP_1) | instskip(SKIP_1) | instid1(VALU_DEP_2)
	v_fma_f64 v[30:31], v[24:25], s[24:25], s[22:23]
	v_mul_f64 v[32:33], v[22:23], v[24:25]
	v_fma_f64 v[30:31], v[24:25], v[30:31], s[26:27]
	s_delay_alu instid0(VALU_DEP_1) | instskip(NEXT) | instid1(VALU_DEP_1)
	v_fma_f64 v[30:31], v[24:25], v[30:31], s[28:29]
	v_fma_f64 v[30:31], v[24:25], v[30:31], s[30:31]
	s_delay_alu instid0(VALU_DEP_1) | instskip(NEXT) | instid1(VALU_DEP_1)
	v_fma_f64 v[30:31], v[24:25], v[30:31], s[34:35]
	v_fma_f64 v[24:25], v[24:25], v[30:31], s[90:91]
	v_ldexp_f64 v[30:31], v[22:23], 1
	v_add_f64 v[22:23], v[22:23], -v[28:29]
	s_delay_alu instid0(VALU_DEP_3) | instskip(SKIP_1) | instid1(VALU_DEP_3)
	v_mul_f64 v[24:25], v[32:33], v[24:25]
	v_cvt_f64_i32_e32 v[32:33], v8
	v_add_f64 v[6:7], v[6:7], -v[22:23]
	s_delay_alu instid0(VALU_DEP_3) | instskip(NEXT) | instid1(VALU_DEP_3)
	v_add_f64 v[28:29], v[30:31], v[24:25]
	v_mul_f64 v[34:35], v[32:33], s[36:37]
	s_delay_alu instid0(VALU_DEP_3) | instskip(NEXT) | instid1(VALU_DEP_3)
	v_ldexp_f64 v[6:7], v[6:7], 1
	v_add_f64 v[22:23], v[28:29], -v[30:31]
	s_delay_alu instid0(VALU_DEP_3) | instskip(NEXT) | instid1(VALU_DEP_2)
	v_fma_f64 v[30:31], v[32:33], s[36:37], -v[34:35]
	v_add_f64 v[22:23], v[24:25], -v[22:23]
	s_delay_alu instid0(VALU_DEP_2) | instskip(NEXT) | instid1(VALU_DEP_2)
	v_fma_f64 v[24:25], v[32:33], s[38:39], v[30:31]
	v_add_f64 v[6:7], v[6:7], v[22:23]
	s_delay_alu instid0(VALU_DEP_2) | instskip(NEXT) | instid1(VALU_DEP_2)
	v_add_f64 v[22:23], v[34:35], v[24:25]
	v_add_f64 v[30:31], v[28:29], v[6:7]
	s_delay_alu instid0(VALU_DEP_2) | instskip(NEXT) | instid1(VALU_DEP_2)
	v_add_f64 v[34:35], v[22:23], -v[34:35]
	v_add_f64 v[32:33], v[22:23], v[30:31]
	v_add_f64 v[28:29], v[30:31], -v[28:29]
	s_delay_alu instid0(VALU_DEP_3) | instskip(NEXT) | instid1(VALU_DEP_3)
	v_add_f64 v[24:25], v[24:25], -v[34:35]
	v_add_f64 v[36:37], v[32:33], -v[22:23]
	s_delay_alu instid0(VALU_DEP_3) | instskip(NEXT) | instid1(VALU_DEP_2)
	v_add_f64 v[6:7], v[6:7], -v[28:29]
	v_add_f64 v[38:39], v[32:33], -v[36:37]
	;; [unrolled: 1-line block ×3, first 2 shown]
	s_delay_alu instid0(VALU_DEP_3) | instskip(NEXT) | instid1(VALU_DEP_3)
	v_add_f64 v[30:31], v[24:25], v[6:7]
	v_add_f64 v[22:23], v[22:23], -v[38:39]
	s_delay_alu instid0(VALU_DEP_1) | instskip(NEXT) | instid1(VALU_DEP_3)
	v_add_f64 v[22:23], v[28:29], v[22:23]
	v_add_f64 v[28:29], v[30:31], -v[24:25]
	s_delay_alu instid0(VALU_DEP_2) | instskip(NEXT) | instid1(VALU_DEP_2)
	v_add_f64 v[22:23], v[30:31], v[22:23]
	v_add_f64 v[30:31], v[30:31], -v[28:29]
	v_add_f64 v[6:7], v[6:7], -v[28:29]
	s_delay_alu instid0(VALU_DEP_3) | instskip(NEXT) | instid1(VALU_DEP_3)
	v_add_f64 v[34:35], v[32:33], v[22:23]
	v_add_f64 v[24:25], v[24:25], -v[30:31]
	s_delay_alu instid0(VALU_DEP_2) | instskip(NEXT) | instid1(VALU_DEP_2)
	v_add_f64 v[28:29], v[34:35], -v[32:33]
	v_add_f64 v[6:7], v[6:7], v[24:25]
	v_mov_b32_e32 v24, 0
	v_mov_b32_e32 v25, 0x7ff80000
	s_delay_alu instid0(VALU_DEP_4) | instskip(NEXT) | instid1(VALU_DEP_1)
	v_add_f64 v[22:23], v[22:23], -v[28:29]
	v_add_f64 v[6:7], v[6:7], v[22:23]
	s_delay_alu instid0(VALU_DEP_1) | instskip(NEXT) | instid1(VALU_DEP_1)
	v_add_f64 v[6:7], v[34:35], v[6:7]
	v_dual_cndmask_b32 v6, v6, v26 :: v_dual_cndmask_b32 v7, v7, v27
	v_cmp_ngt_f64_e32 vcc_lo, 0, v[26:27]
	s_delay_alu instid0(VALU_DEP_2) | instskip(SKIP_1) | instid1(VALU_DEP_4)
	v_cndmask_b32_e32 v7, 0x7ff80000, v7, vcc_lo
	v_cmp_nge_f64_e32 vcc_lo, 0, v[26:27]
	v_cndmask_b32_e32 v22, 0, v6, vcc_lo
	v_cmp_neq_f64_e32 vcc_lo, 0, v[26:27]
	s_delay_alu instid0(VALU_DEP_4)
	v_cndmask_b32_e32 v23, 0xfff00000, v7, vcc_lo
.LBB186_196:                            ;   in Loop: Header=BB186_162 Depth=1
	s_or_b32 exec_lo, exec_lo, s0
                                        ; implicit-def: $vgpr6_vgpr7
                                        ; implicit-def: $vgpr26_vgpr27
	s_delay_alu instid0(SALU_CYCLE_1)
	s_mov_b32 s0, exec_lo
	s_waitcnt vmcnt(2)
	v_cmpx_o_f64_e32 v[10:11], v[12:13]
	s_xor_b32 s94, exec_lo, s0
	s_cbranch_execz .LBB186_224
; %bb.197:                              ;   in Loop: Header=BB186_162 Depth=1
	v_cmp_lt_f64_e64 s0, |v[10:11]|, |v[12:13]|
	v_and_b32_e32 v8, 0x7fffffff, v11
	v_dual_mov_b32 v28, v12 :: v_dual_and_b32 v19, 0x7fffffff, v13
                                        ; implicit-def: $vgpr6_vgpr7
                                        ; implicit-def: $vgpr26_vgpr27
	s_mov_b32 s1, exec_lo
	s_delay_alu instid0(VALU_DEP_1) | instskip(NEXT) | instid1(VALU_DEP_2)
	v_cndmask_b32_e64 v31, v19, v8, s0
	v_cndmask_b32_e64 v30, v28, v10, s0
	s_delay_alu instid0(VALU_DEP_1)
	v_cmpx_nlt_f64_e32 s[12:13], v[30:31]
	s_xor_b32 s95, exec_lo, s1
	s_cbranch_execz .LBB186_221
; %bb.198:                              ;   in Loop: Header=BB186_162 Depth=1
	v_cndmask_b32_e64 v33, v8, v19, s0
	v_cndmask_b32_e64 v32, v10, v28, s0
                                        ; implicit-def: $vgpr6_vgpr7
                                        ; implicit-def: $vgpr26_vgpr27
	s_mov_b32 s1, exec_lo
	s_delay_alu instid0(VALU_DEP_1)
	v_cmpx_neq_f64_e32 1.0, v[32:33]
	s_xor_b32 s96, exec_lo, s1
	s_cbranch_execz .LBB186_214
; %bb.199:                              ;   in Loop: Header=BB186_162 Depth=1
	v_max_f64 v[6:7], v[30:31], v[30:31]
	v_max_f64 v[26:27], v[32:33], v[32:33]
	s_delay_alu instid0(VALU_DEP_1) | instskip(SKIP_1) | instid1(VALU_DEP_2)
	v_min_f64 v[28:29], v[26:27], v[6:7]
	v_max_f64 v[6:7], v[26:27], v[6:7]
                                        ; implicit-def: $vgpr26_vgpr27
	v_cmp_ngt_f64_e32 vcc_lo, s[14:15], v[28:29]
	s_delay_alu instid0(VALU_DEP_2) | instskip(NEXT) | instid1(VALU_DEP_1)
	v_cmp_nlt_f64_e64 s1, s[16:17], v[6:7]
                                        ; implicit-def: $vgpr6_vgpr7
	s_and_b32 s1, s1, vcc_lo
	s_delay_alu instid0(SALU_CYCLE_1) | instskip(NEXT) | instid1(SALU_CYCLE_1)
	s_and_saveexec_b32 s2, s1
	s_xor_b32 s97, exec_lo, s2
	s_cbranch_execz .LBB186_211
; %bb.200:                              ;   in Loop: Header=BB186_162 Depth=1
                                        ; implicit-def: $vgpr6_vgpr7
                                        ; implicit-def: $vgpr26_vgpr27
	s_mov_b32 s1, exec_lo
	v_cmpx_le_f64_e32 1.0, v[32:33]
	s_xor_b32 s2, exec_lo, s1
	s_cbranch_execz .LBB186_202
; %bb.201:                              ;   in Loop: Header=BB186_162 Depth=1
	v_add_f64 v[6:7], v[32:33], -1.0
	v_add_f64 v[26:27], v[32:33], 1.0
	s_mov_b32 s91, s21
	s_mov_b32 s10, s80
	v_cmp_gt_i32_e64 s1, 0, v11
	v_cmp_class_f64_e64 s4, v[10:11], 0x204
	v_cmp_class_f64_e64 s3, v[12:13], 0x204
	s_delay_alu instid0(VALU_DEP_4) | instskip(NEXT) | instid1(VALU_DEP_1)
	v_mul_f64 v[6:7], v[6:7], v[26:27]
	v_fma_f64 v[7:8], v[30:31], v[30:31], v[6:7]
	s_delay_alu instid0(VALU_DEP_1) | instskip(NEXT) | instid1(VALU_DEP_1)
	v_add_f64 v[26:27], v[7:8], 1.0
	v_frexp_mant_f64_e32 v[28:29], v[26:27]
	v_frexp_exp_i32_f64_e32 v6, v[26:27]
	v_add_f64 v[30:31], v[26:27], -1.0
	s_delay_alu instid0(VALU_DEP_3) | instskip(NEXT) | instid1(VALU_DEP_2)
	v_cmp_gt_f64_e32 vcc_lo, s[20:21], v[28:29]
	v_add_f64 v[28:29], v[30:31], -v[26:27]
	v_add_f64 v[30:31], v[7:8], -v[30:31]
	v_subrev_co_ci_u32_e32 v6, vcc_lo, 0, v6, vcc_lo
	s_delay_alu instid0(VALU_DEP_3) | instskip(NEXT) | instid1(VALU_DEP_2)
	v_add_f64 v[28:29], v[28:29], 1.0
	v_sub_nc_u32_e32 v19, 0, v6
	s_delay_alu instid0(VALU_DEP_1) | instskip(NEXT) | instid1(VALU_DEP_3)
	v_ldexp_f64 v[26:27], v[26:27], v19
	v_add_f64 v[28:29], v[30:31], v[28:29]
	s_delay_alu instid0(VALU_DEP_2) | instskip(SKIP_1) | instid1(VALU_DEP_3)
	v_add_f64 v[32:33], v[26:27], 1.0
	v_add_f64 v[38:39], v[26:27], -1.0
	v_ldexp_f64 v[28:29], v[28:29], v19
	v_cndmask_b32_e64 v19, 0x54442d18, v54, s1
	s_delay_alu instid0(VALU_DEP_4) | instskip(NEXT) | instid1(VALU_DEP_4)
	v_add_f64 v[30:31], v[32:33], -1.0
	v_add_f64 v[40:41], v[38:39], 1.0
	s_delay_alu instid0(VALU_DEP_2) | instskip(NEXT) | instid1(VALU_DEP_2)
	v_add_f64 v[30:31], v[26:27], -v[30:31]
	v_add_f64 v[26:27], v[26:27], -v[40:41]
	s_delay_alu instid0(VALU_DEP_2) | instskip(NEXT) | instid1(VALU_DEP_2)
	v_add_f64 v[30:31], v[28:29], v[30:31]
	v_add_f64 v[26:27], v[28:29], v[26:27]
	s_delay_alu instid0(VALU_DEP_2) | instskip(NEXT) | instid1(VALU_DEP_2)
	v_add_f64 v[34:35], v[32:33], v[30:31]
	v_add_f64 v[40:41], v[38:39], v[26:27]
	s_delay_alu instid0(VALU_DEP_2) | instskip(SKIP_1) | instid1(VALU_DEP_2)
	v_rcp_f64_e32 v[36:37], v[34:35]
	v_add_f64 v[32:33], v[34:35], -v[32:33]
	v_add_f64 v[38:39], v[40:41], -v[38:39]
	s_delay_alu instid0(VALU_DEP_2) | instskip(SKIP_3) | instid1(VALU_DEP_2)
	v_add_f64 v[30:31], v[30:31], -v[32:33]
	s_waitcnt_depctr 0xfff
	v_fma_f64 v[42:43], -v[34:35], v[36:37], 1.0
	v_add_f64 v[26:27], v[26:27], -v[38:39]
	v_fma_f64 v[36:37], v[42:43], v[36:37], v[36:37]
	s_delay_alu instid0(VALU_DEP_1) | instskip(NEXT) | instid1(VALU_DEP_1)
	v_fma_f64 v[28:29], -v[34:35], v[36:37], 1.0
	v_fma_f64 v[28:29], v[28:29], v[36:37], v[36:37]
	s_delay_alu instid0(VALU_DEP_1) | instskip(NEXT) | instid1(VALU_DEP_1)
	v_mul_f64 v[36:37], v[40:41], v[28:29]
	v_mul_f64 v[42:43], v[34:35], v[36:37]
	s_delay_alu instid0(VALU_DEP_1) | instskip(NEXT) | instid1(VALU_DEP_1)
	v_fma_f64 v[32:33], v[36:37], v[34:35], -v[42:43]
	v_fma_f64 v[32:33], v[36:37], v[30:31], v[32:33]
	s_delay_alu instid0(VALU_DEP_1) | instskip(NEXT) | instid1(VALU_DEP_1)
	v_add_f64 v[44:45], v[42:43], v[32:33]
	v_add_f64 v[46:47], v[40:41], -v[44:45]
	v_add_f64 v[38:39], v[44:45], -v[42:43]
	v_max_f64 v[42:43], |v[12:13]|, |v[12:13]|
	s_delay_alu instid0(VALU_DEP_3) | instskip(NEXT) | instid1(VALU_DEP_3)
	v_add_f64 v[40:41], v[40:41], -v[46:47]
	v_add_f64 v[32:33], v[38:39], -v[32:33]
	s_delay_alu instid0(VALU_DEP_2) | instskip(SKIP_2) | instid1(VALU_DEP_1)
	v_add_f64 v[40:41], v[40:41], -v[44:45]
	v_max_f64 v[44:45], |v[10:11]|, |v[10:11]|
	v_cndmask_b32_e64 v10, 0x3fe921fb, v55, s1
	v_bfi_b32 v10, 0x7fffffff, v10, v13
	s_delay_alu instid0(VALU_DEP_4) | instskip(NEXT) | instid1(VALU_DEP_4)
	v_add_f64 v[26:27], v[26:27], v[40:41]
	v_max_f64 v[48:49], v[44:45], v[42:43]
	v_min_f64 v[42:43], v[44:45], v[42:43]
	s_delay_alu instid0(VALU_DEP_3) | instskip(NEXT) | instid1(VALU_DEP_1)
	v_add_f64 v[26:27], v[32:33], v[26:27]
	v_add_f64 v[32:33], v[46:47], v[26:27]
	s_delay_alu instid0(VALU_DEP_1) | instskip(SKIP_1) | instid1(VALU_DEP_2)
	v_mul_f64 v[38:39], v[28:29], v[32:33]
	v_add_f64 v[46:47], v[46:47], -v[32:33]
	v_mul_f64 v[40:41], v[34:35], v[38:39]
	s_delay_alu instid0(VALU_DEP_2) | instskip(NEXT) | instid1(VALU_DEP_2)
	v_add_f64 v[26:27], v[26:27], v[46:47]
	v_fma_f64 v[34:35], v[38:39], v[34:35], -v[40:41]
	s_delay_alu instid0(VALU_DEP_1) | instskip(SKIP_1) | instid1(VALU_DEP_2)
	v_fma_f64 v[30:31], v[38:39], v[30:31], v[34:35]
	v_div_scale_f64 v[34:35], null, v[48:49], v[48:49], v[42:43]
	v_add_f64 v[44:45], v[40:41], v[30:31]
	s_delay_alu instid0(VALU_DEP_2) | instskip(NEXT) | instid1(VALU_DEP_1)
	v_rcp_f64_e32 v[50:51], v[34:35]
	v_add_f64 v[52:53], v[32:33], -v[44:45]
	v_add_f64 v[40:41], v[44:45], -v[40:41]
	s_waitcnt_depctr 0xfff
	v_fma_f64 v[56:57], -v[34:35], v[50:51], 1.0
	v_add_f64 v[32:33], v[32:33], -v[52:53]
	v_add_f64 v[30:31], v[40:41], -v[30:31]
	s_delay_alu instid0(VALU_DEP_3) | instskip(NEXT) | instid1(VALU_DEP_3)
	v_fma_f64 v[50:51], v[50:51], v[56:57], v[50:51]
	v_add_f64 v[32:33], v[32:33], -v[44:45]
	s_delay_alu instid0(VALU_DEP_2) | instskip(NEXT) | instid1(VALU_DEP_2)
	v_fma_f64 v[44:45], -v[34:35], v[50:51], 1.0
	v_add_f64 v[26:27], v[26:27], v[32:33]
	v_div_scale_f64 v[32:33], vcc_lo, v[42:43], v[48:49], v[42:43]
	s_delay_alu instid0(VALU_DEP_3) | instskip(SKIP_1) | instid1(VALU_DEP_4)
	v_fma_f64 v[40:41], v[50:51], v[44:45], v[50:51]
	v_add_f64 v[44:45], v[36:37], v[38:39]
	v_add_f64 v[26:27], v[30:31], v[26:27]
	s_delay_alu instid0(VALU_DEP_3) | instskip(NEXT) | instid1(VALU_DEP_3)
	v_mul_f64 v[30:31], v[32:33], v[40:41]
	v_add_f64 v[36:37], v[44:45], -v[36:37]
	s_delay_alu instid0(VALU_DEP_3) | instskip(NEXT) | instid1(VALU_DEP_3)
	v_add_f64 v[26:27], v[52:53], v[26:27]
	v_fma_f64 v[32:33], -v[34:35], v[30:31], v[32:33]
	s_delay_alu instid0(VALU_DEP_3) | instskip(NEXT) | instid1(VALU_DEP_3)
	v_add_f64 v[34:35], v[38:39], -v[36:37]
	v_mul_f64 v[26:27], v[28:29], v[26:27]
	s_delay_alu instid0(VALU_DEP_3) | instskip(SKIP_1) | instid1(VALU_DEP_3)
	v_div_fmas_f64 v[28:29], v[32:33], v[40:41], v[30:31]
	v_cmp_eq_f64_e32 vcc_lo, 0x7ff00000, v[7:8]
	v_add_f64 v[26:27], v[34:35], v[26:27]
	s_delay_alu instid0(VALU_DEP_3) | instskip(NEXT) | instid1(VALU_DEP_2)
	v_div_fixup_f64 v[28:29], v[28:29], v[48:49], v[42:43]
	v_add_f64 v[30:31], v[44:45], v[26:27]
	s_delay_alu instid0(VALU_DEP_2) | instskip(NEXT) | instid1(VALU_DEP_2)
	v_mul_f64 v[32:33], v[28:29], v[28:29]
	v_mul_f64 v[34:35], v[30:31], v[30:31]
	s_delay_alu instid0(VALU_DEP_2) | instskip(NEXT) | instid1(VALU_DEP_2)
	v_fma_f64 v[36:37], v[32:33], s[42:43], s[40:41]
	v_fma_f64 v[38:39], v[34:35], s[24:25], s[22:23]
	v_mul_f64 v[40:41], v[30:31], v[34:35]
	s_delay_alu instid0(VALU_DEP_3) | instskip(NEXT) | instid1(VALU_DEP_3)
	v_fma_f64 v[36:37], v[32:33], v[36:37], s[44:45]
	v_fma_f64 v[38:39], v[34:35], v[38:39], s[26:27]
	s_delay_alu instid0(VALU_DEP_2) | instskip(NEXT) | instid1(VALU_DEP_2)
	v_fma_f64 v[36:37], v[32:33], v[36:37], s[46:47]
	v_fma_f64 v[38:39], v[34:35], v[38:39], s[28:29]
	s_delay_alu instid0(VALU_DEP_2) | instskip(NEXT) | instid1(VALU_DEP_2)
	;; [unrolled: 3-line block ×4, first 2 shown]
	v_fma_f64 v[36:37], v[32:33], v[36:37], s[52:53]
	v_fma_f64 v[34:35], v[34:35], v[38:39], s[90:91]
	v_ldexp_f64 v[38:39], v[30:31], 1
	v_add_f64 v[30:31], v[30:31], -v[44:45]
	s_delay_alu instid0(VALU_DEP_4) | instskip(NEXT) | instid1(VALU_DEP_4)
	v_fma_f64 v[36:37], v[32:33], v[36:37], s[54:55]
	v_mul_f64 v[34:35], v[40:41], v[34:35]
	v_cvt_f64_i32_e32 v[40:41], v6
	s_delay_alu instid0(VALU_DEP_4) | instskip(NEXT) | instid1(VALU_DEP_4)
	v_add_f64 v[26:27], v[26:27], -v[30:31]
	v_fma_f64 v[36:37], v[32:33], v[36:37], s[56:57]
	v_ashrrev_i32_e32 v6, 31, v11
	v_add_f64 v[42:43], v[38:39], v[34:35]
	v_mul_f64 v[44:45], v[40:41], s[36:37]
	v_ldexp_f64 v[26:27], v[26:27], 1
	v_fma_f64 v[36:37], v[32:33], v[36:37], s[58:59]
	s_delay_alu instid0(VALU_DEP_4) | instskip(NEXT) | instid1(VALU_DEP_4)
	v_add_f64 v[30:31], v[42:43], -v[38:39]
	v_fma_f64 v[38:39], v[40:41], s[36:37], -v[44:45]
	s_delay_alu instid0(VALU_DEP_3) | instskip(NEXT) | instid1(VALU_DEP_3)
	v_fma_f64 v[36:37], v[32:33], v[36:37], s[60:61]
	v_add_f64 v[30:31], v[34:35], -v[30:31]
	s_delay_alu instid0(VALU_DEP_2) | instskip(NEXT) | instid1(VALU_DEP_4)
	v_fma_f64 v[34:35], v[32:33], v[36:37], s[62:63]
	v_fma_f64 v[36:37], v[40:41], s[38:39], v[38:39]
	s_delay_alu instid0(VALU_DEP_3) | instskip(NEXT) | instid1(VALU_DEP_3)
	v_add_f64 v[26:27], v[26:27], v[30:31]
	v_fma_f64 v[30:31], v[32:33], v[34:35], s[64:65]
	s_delay_alu instid0(VALU_DEP_3) | instskip(NEXT) | instid1(VALU_DEP_3)
	v_add_f64 v[34:35], v[44:45], v[36:37]
	v_add_f64 v[38:39], v[42:43], v[26:27]
	s_delay_alu instid0(VALU_DEP_3) | instskip(NEXT) | instid1(VALU_DEP_3)
	v_fma_f64 v[30:31], v[32:33], v[30:31], s[66:67]
	v_add_f64 v[44:45], v[34:35], -v[44:45]
	s_delay_alu instid0(VALU_DEP_3) | instskip(SKIP_1) | instid1(VALU_DEP_4)
	v_add_f64 v[40:41], v[34:35], v[38:39]
	v_add_f64 v[42:43], v[38:39], -v[42:43]
	v_fma_f64 v[30:31], v[32:33], v[30:31], s[68:69]
	s_delay_alu instid0(VALU_DEP_4) | instskip(NEXT) | instid1(VALU_DEP_4)
	v_add_f64 v[36:37], v[36:37], -v[44:45]
	v_add_f64 v[46:47], v[40:41], -v[34:35]
	s_delay_alu instid0(VALU_DEP_4) | instskip(NEXT) | instid1(VALU_DEP_4)
	v_add_f64 v[26:27], v[26:27], -v[42:43]
	v_fma_f64 v[30:31], v[32:33], v[30:31], s[70:71]
	s_delay_alu instid0(VALU_DEP_3) | instskip(SKIP_1) | instid1(VALU_DEP_4)
	v_add_f64 v[48:49], v[40:41], -v[46:47]
	v_add_f64 v[38:39], v[38:39], -v[46:47]
	v_add_f64 v[42:43], v[36:37], v[26:27]
	s_delay_alu instid0(VALU_DEP_4) | instskip(NEXT) | instid1(VALU_DEP_4)
	v_fma_f64 v[30:31], v[32:33], v[30:31], s[72:73]
	v_add_f64 v[34:35], v[34:35], -v[48:49]
	s_delay_alu instid0(VALU_DEP_2) | instskip(NEXT) | instid1(VALU_DEP_2)
	v_fma_f64 v[30:31], v[32:33], v[30:31], s[74:75]
	v_add_f64 v[34:35], v[38:39], v[34:35]
	v_add_f64 v[38:39], v[42:43], -v[36:37]
	s_delay_alu instid0(VALU_DEP_3) | instskip(NEXT) | instid1(VALU_DEP_3)
	v_fma_f64 v[30:31], v[32:33], v[30:31], s[76:77]
	v_add_f64 v[34:35], v[42:43], v[34:35]
	s_delay_alu instid0(VALU_DEP_3) | instskip(SKIP_1) | instid1(VALU_DEP_4)
	v_add_f64 v[42:43], v[42:43], -v[38:39]
	v_add_f64 v[26:27], v[26:27], -v[38:39]
	v_fma_f64 v[30:31], v[32:33], v[30:31], s[78:79]
	s_delay_alu instid0(VALU_DEP_4) | instskip(NEXT) | instid1(VALU_DEP_2)
	v_add_f64 v[44:45], v[40:41], v[34:35]
	v_mul_f64 v[30:31], v[32:33], v[30:31]
	v_add_f64 v[32:33], v[36:37], -v[42:43]
	s_delay_alu instid0(VALU_DEP_3) | instskip(NEXT) | instid1(VALU_DEP_3)
	v_add_f64 v[36:37], v[44:45], -v[40:41]
	v_fma_f64 v[28:29], v[28:29], v[30:31], v[28:29]
	s_delay_alu instid0(VALU_DEP_3) | instskip(NEXT) | instid1(VALU_DEP_3)
	v_add_f64 v[26:27], v[26:27], v[32:33]
	v_add_f64 v[30:31], v[34:35], -v[36:37]
	s_delay_alu instid0(VALU_DEP_3) | instskip(NEXT) | instid1(VALU_DEP_2)
	v_add_f64 v[32:33], -v[28:29], s[80:81]
	v_add_f64 v[26:27], v[26:27], v[30:31]
	s_delay_alu instid0(VALU_DEP_2) | instskip(NEXT) | instid1(VALU_DEP_3)
	v_cndmask_b32_e64 v29, v29, v33, s0
	v_cndmask_b32_e64 v28, v28, v32, s0
	s_delay_alu instid0(VALU_DEP_1) | instskip(NEXT) | instid1(VALU_DEP_4)
	v_add_f64 v[30:31], -v[28:29], s[10:11]
	v_add_f64 v[26:27], v[44:45], v[26:27]
	v_and_b32_e32 v32, 0x54442d18, v6
	v_and_b32_e32 v6, 0x400921fb, v6
	s_delay_alu instid0(VALU_DEP_4) | instskip(SKIP_4) | instid1(VALU_DEP_2)
	v_cndmask_b32_e64 v28, v28, v30, s1
	v_cndmask_b32_e64 v11, v29, v31, s1
	v_cmp_nge_f64_e64 s1, -1.0, v[7:8]
                                        ; implicit-def: $vgpr30_vgpr31
	v_dual_cndmask_b32 v27, v27, v8 :: v_dual_cndmask_b32 v26, v26, v7
	v_cmp_eq_f64_e32 vcc_lo, 0, v[12:13]
	v_mul_f64 v[26:27], v[26:27], 0.5
	v_cndmask_b32_e32 v6, v11, v6, vcc_lo
	v_cndmask_b32_e32 v28, v28, v32, vcc_lo
	v_cmp_ngt_f64_e32 vcc_lo, -1.0, v[7:8]
                                        ; implicit-def: $vgpr32_vgpr33
	s_delay_alu instid0(VALU_DEP_4)
	v_cndmask_b32_e32 v11, 0x7ff80000, v27, vcc_lo
	s_and_b32 vcc_lo, s4, s3
	v_cndmask_b32_e32 v27, v6, v10, vcc_lo
	v_cndmask_b32_e64 v6, 0, v26, s1
	v_cmp_neq_f64_e64 s1, -1.0, v[7:8]
	v_cndmask_b32_e32 v26, v28, v19, vcc_lo
	s_delay_alu instid0(VALU_DEP_2)
	v_cndmask_b32_e64 v7, 0xfff00000, v11, s1
.LBB186_202:                            ;   in Loop: Header=BB186_162 Depth=1
	s_and_not1_saveexec_b32 s98, s2
	s_cbranch_execz .LBB186_210
; %bb.203:                              ;   in Loop: Header=BB186_162 Depth=1
	v_mul_f64 v[6:7], v[30:31], v[30:31]
                                        ; implicit-def: $vgpr26_vgpr27
	s_mov_b32 s1, exec_lo
	s_delay_alu instid0(VALU_DEP_1) | instskip(NEXT) | instid1(VALU_DEP_1)
	v_fma_f64 v[28:29], v[32:33], v[32:33], v[6:7]
                                        ; implicit-def: $vgpr6_vgpr7
	v_cmpx_ge_f64_e32 s[82:83], v[28:29]
	s_xor_b32 s3, exec_lo, s1
	s_cbranch_execz .LBB186_205
; %bb.204:                              ;   in Loop: Header=BB186_162 Depth=1
	v_frexp_mant_f64_e32 v[6:7], v[28:29]
	v_max_f64 v[36:37], |v[10:11]|, |v[10:11]|
	s_mov_b32 s91, s21
	v_frexp_exp_i32_f64_e32 v8, v[28:29]
	s_mov_b32 s10, s80
	v_cmp_class_f64_e64 s4, v[12:13], 0x204
	v_cmp_class_f64_e64 s5, v[10:11], 0x204
	v_cmp_neq_f64_e64 s2, 0, v[28:29]
	v_cmp_gt_f64_e64 s1, s[20:21], v[6:7]
	s_delay_alu instid0(VALU_DEP_1) | instskip(NEXT) | instid1(VALU_DEP_1)
	v_cndmask_b32_e64 v19, 0x3ff00000, 2.0, s1
	v_mul_f64 v[6:7], v[6:7], v[18:19]
	s_delay_alu instid0(VALU_DEP_1) | instskip(SKIP_1) | instid1(VALU_DEP_2)
	v_add_f64 v[26:27], v[6:7], 1.0
	v_add_f64 v[34:35], v[6:7], -1.0
	v_rcp_f64_e32 v[30:31], v[26:27]
	s_waitcnt_depctr 0xfff
	v_fma_f64 v[32:33], -v[26:27], v[30:31], 1.0
	s_delay_alu instid0(VALU_DEP_1) | instskip(NEXT) | instid1(VALU_DEP_1)
	v_fma_f64 v[30:31], v[32:33], v[30:31], v[30:31]
	v_fma_f64 v[32:33], -v[26:27], v[30:31], 1.0
	s_delay_alu instid0(VALU_DEP_1) | instskip(SKIP_1) | instid1(VALU_DEP_2)
	v_fma_f64 v[30:31], v[32:33], v[30:31], v[30:31]
	v_max_f64 v[32:33], |v[12:13]|, |v[12:13]|
	v_mul_f64 v[38:39], v[34:35], v[30:31]
	s_delay_alu instid0(VALU_DEP_2) | instskip(SKIP_2) | instid1(VALU_DEP_4)
	v_max_f64 v[40:41], v[36:37], v[32:33]
	v_min_f64 v[32:33], v[36:37], v[32:33]
	v_add_f64 v[36:37], v[26:27], -1.0
	v_mul_f64 v[42:43], v[26:27], v[38:39]
	s_delay_alu instid0(VALU_DEP_3) | instskip(NEXT) | instid1(VALU_DEP_3)
	v_div_scale_f64 v[44:45], null, v[40:41], v[40:41], v[32:33]
	v_add_f64 v[6:7], v[6:7], -v[36:37]
	v_div_scale_f64 v[50:51], vcc_lo, v[32:33], v[40:41], v[32:33]
	s_delay_alu instid0(VALU_DEP_4) | instskip(NEXT) | instid1(VALU_DEP_4)
	v_fma_f64 v[26:27], v[38:39], v[26:27], -v[42:43]
	v_rcp_f64_e32 v[36:37], v[44:45]
	s_delay_alu instid0(VALU_DEP_1) | instskip(SKIP_3) | instid1(VALU_DEP_2)
	v_fma_f64 v[6:7], v[38:39], v[6:7], v[26:27]
	s_waitcnt_depctr 0xfff
	v_fma_f64 v[26:27], -v[44:45], v[36:37], 1.0
	v_add_f64 v[46:47], v[42:43], v[6:7]
	v_fma_f64 v[26:27], v[36:37], v[26:27], v[36:37]
	s_delay_alu instid0(VALU_DEP_2) | instskip(SKIP_1) | instid1(VALU_DEP_3)
	v_add_f64 v[36:37], v[34:35], -v[46:47]
	v_add_f64 v[42:43], v[46:47], -v[42:43]
	v_fma_f64 v[48:49], -v[44:45], v[26:27], 1.0
	s_delay_alu instid0(VALU_DEP_3) | instskip(NEXT) | instid1(VALU_DEP_3)
	v_add_f64 v[34:35], v[34:35], -v[36:37]
	v_add_f64 v[6:7], v[42:43], -v[6:7]
	s_delay_alu instid0(VALU_DEP_3) | instskip(NEXT) | instid1(VALU_DEP_3)
	v_fma_f64 v[26:27], v[26:27], v[48:49], v[26:27]
	v_add_f64 v[34:35], v[34:35], -v[46:47]
	s_delay_alu instid0(VALU_DEP_2) | instskip(NEXT) | instid1(VALU_DEP_2)
	v_mul_f64 v[42:43], v[50:51], v[26:27]
	v_add_f64 v[6:7], v[6:7], v[34:35]
	s_delay_alu instid0(VALU_DEP_2) | instskip(NEXT) | instid1(VALU_DEP_2)
	v_fma_f64 v[34:35], -v[44:45], v[42:43], v[50:51]
	v_add_f64 v[6:7], v[36:37], v[6:7]
	s_delay_alu instid0(VALU_DEP_2) | instskip(SKIP_4) | instid1(VALU_DEP_1)
	v_div_fmas_f64 v[26:27], v[34:35], v[26:27], v[42:43]
	v_subrev_co_ci_u32_e64 v8, vcc_lo, 0, v8, s1
	v_cmp_eq_f64_e64 s1, 0, v[12:13]
	v_cmp_gt_i32_e32 vcc_lo, 0, v11
	v_cndmask_b32_e32 v10, 0x3fe921fb, v55, vcc_lo
	v_bfi_b32 v10, 0x7fffffff, v10, v13
	v_mul_f64 v[6:7], v[30:31], v[6:7]
	v_div_fixup_f64 v[26:27], v[26:27], v[40:41], v[32:33]
	s_delay_alu instid0(VALU_DEP_2) | instskip(NEXT) | instid1(VALU_DEP_2)
	v_add_f64 v[30:31], v[38:39], v[6:7]
	v_mul_f64 v[32:33], v[26:27], v[26:27]
	s_delay_alu instid0(VALU_DEP_2) | instskip(NEXT) | instid1(VALU_DEP_2)
	v_mul_f64 v[34:35], v[30:31], v[30:31]
	v_fma_f64 v[36:37], v[32:33], s[42:43], s[40:41]
	s_delay_alu instid0(VALU_DEP_2) | instskip(SKIP_1) | instid1(VALU_DEP_3)
	v_fma_f64 v[40:41], v[34:35], s[24:25], s[22:23]
	v_mul_f64 v[42:43], v[30:31], v[34:35]
	v_fma_f64 v[36:37], v[32:33], v[36:37], s[44:45]
	s_delay_alu instid0(VALU_DEP_3) | instskip(NEXT) | instid1(VALU_DEP_2)
	v_fma_f64 v[40:41], v[34:35], v[40:41], s[26:27]
	v_fma_f64 v[36:37], v[32:33], v[36:37], s[46:47]
	s_delay_alu instid0(VALU_DEP_2) | instskip(NEXT) | instid1(VALU_DEP_2)
	v_fma_f64 v[40:41], v[34:35], v[40:41], s[28:29]
	v_fma_f64 v[36:37], v[32:33], v[36:37], s[48:49]
	s_delay_alu instid0(VALU_DEP_2) | instskip(NEXT) | instid1(VALU_DEP_2)
	;; [unrolled: 3-line block ×3, first 2 shown]
	v_fma_f64 v[40:41], v[34:35], v[40:41], s[34:35]
	v_fma_f64 v[36:37], v[32:33], v[36:37], s[52:53]
	s_delay_alu instid0(VALU_DEP_2) | instskip(SKIP_2) | instid1(VALU_DEP_4)
	v_fma_f64 v[34:35], v[34:35], v[40:41], s[90:91]
	v_ldexp_f64 v[40:41], v[30:31], 1
	v_add_f64 v[30:31], v[30:31], -v[38:39]
	v_fma_f64 v[36:37], v[32:33], v[36:37], s[54:55]
	s_delay_alu instid0(VALU_DEP_4) | instskip(SKIP_1) | instid1(VALU_DEP_4)
	v_mul_f64 v[34:35], v[42:43], v[34:35]
	v_cvt_f64_i32_e32 v[42:43], v8
	v_add_f64 v[6:7], v[6:7], -v[30:31]
	v_ashrrev_i32_e32 v8, 31, v11
	v_fma_f64 v[36:37], v[32:33], v[36:37], s[56:57]
	v_cndmask_b32_e32 v19, 0x54442d18, v54, vcc_lo
	v_add_f64 v[38:39], v[40:41], v[34:35]
	v_mul_f64 v[44:45], v[42:43], s[36:37]
	v_ldexp_f64 v[6:7], v[6:7], 1
	v_fma_f64 v[36:37], v[32:33], v[36:37], s[58:59]
	s_delay_alu instid0(VALU_DEP_4) | instskip(NEXT) | instid1(VALU_DEP_4)
	v_add_f64 v[30:31], v[38:39], -v[40:41]
	v_fma_f64 v[40:41], v[42:43], s[36:37], -v[44:45]
	s_delay_alu instid0(VALU_DEP_3) | instskip(NEXT) | instid1(VALU_DEP_3)
	v_fma_f64 v[36:37], v[32:33], v[36:37], s[60:61]
	v_add_f64 v[30:31], v[34:35], -v[30:31]
	s_delay_alu instid0(VALU_DEP_2) | instskip(NEXT) | instid1(VALU_DEP_4)
	v_fma_f64 v[34:35], v[32:33], v[36:37], s[62:63]
	v_fma_f64 v[36:37], v[42:43], s[38:39], v[40:41]
	s_delay_alu instid0(VALU_DEP_3) | instskip(NEXT) | instid1(VALU_DEP_3)
	v_add_f64 v[6:7], v[6:7], v[30:31]
	v_fma_f64 v[30:31], v[32:33], v[34:35], s[64:65]
	s_delay_alu instid0(VALU_DEP_3) | instskip(NEXT) | instid1(VALU_DEP_3)
	v_add_f64 v[34:35], v[44:45], v[36:37]
	v_add_f64 v[40:41], v[38:39], v[6:7]
	s_delay_alu instid0(VALU_DEP_3) | instskip(NEXT) | instid1(VALU_DEP_3)
	v_fma_f64 v[30:31], v[32:33], v[30:31], s[66:67]
	v_add_f64 v[44:45], v[34:35], -v[44:45]
	s_delay_alu instid0(VALU_DEP_3) | instskip(SKIP_1) | instid1(VALU_DEP_4)
	v_add_f64 v[42:43], v[34:35], v[40:41]
	v_add_f64 v[38:39], v[40:41], -v[38:39]
	v_fma_f64 v[30:31], v[32:33], v[30:31], s[68:69]
	s_delay_alu instid0(VALU_DEP_4) | instskip(NEXT) | instid1(VALU_DEP_4)
	v_add_f64 v[36:37], v[36:37], -v[44:45]
	v_add_f64 v[46:47], v[42:43], -v[34:35]
	s_delay_alu instid0(VALU_DEP_4) | instskip(NEXT) | instid1(VALU_DEP_4)
	v_add_f64 v[6:7], v[6:7], -v[38:39]
	v_fma_f64 v[30:31], v[32:33], v[30:31], s[70:71]
	s_delay_alu instid0(VALU_DEP_3) | instskip(SKIP_1) | instid1(VALU_DEP_4)
	v_add_f64 v[48:49], v[42:43], -v[46:47]
	v_add_f64 v[38:39], v[40:41], -v[46:47]
	v_add_f64 v[40:41], v[36:37], v[6:7]
	s_delay_alu instid0(VALU_DEP_4) | instskip(NEXT) | instid1(VALU_DEP_4)
	v_fma_f64 v[30:31], v[32:33], v[30:31], s[72:73]
	v_add_f64 v[34:35], v[34:35], -v[48:49]
	s_delay_alu instid0(VALU_DEP_2) | instskip(NEXT) | instid1(VALU_DEP_2)
	v_fma_f64 v[30:31], v[32:33], v[30:31], s[74:75]
	v_add_f64 v[34:35], v[38:39], v[34:35]
	v_add_f64 v[38:39], v[40:41], -v[36:37]
	s_delay_alu instid0(VALU_DEP_3) | instskip(NEXT) | instid1(VALU_DEP_3)
	v_fma_f64 v[30:31], v[32:33], v[30:31], s[76:77]
	v_add_f64 v[34:35], v[40:41], v[34:35]
	s_delay_alu instid0(VALU_DEP_3) | instskip(SKIP_1) | instid1(VALU_DEP_4)
	v_add_f64 v[40:41], v[40:41], -v[38:39]
	v_add_f64 v[6:7], v[6:7], -v[38:39]
	v_fma_f64 v[30:31], v[32:33], v[30:31], s[78:79]
	s_delay_alu instid0(VALU_DEP_4) | instskip(NEXT) | instid1(VALU_DEP_2)
	v_add_f64 v[44:45], v[42:43], v[34:35]
	v_mul_f64 v[30:31], v[32:33], v[30:31]
	v_add_f64 v[32:33], v[36:37], -v[40:41]
	s_delay_alu instid0(VALU_DEP_3) | instskip(NEXT) | instid1(VALU_DEP_3)
	v_add_f64 v[36:37], v[44:45], -v[42:43]
	v_fma_f64 v[26:27], v[26:27], v[30:31], v[26:27]
	s_delay_alu instid0(VALU_DEP_3) | instskip(NEXT) | instid1(VALU_DEP_3)
	v_add_f64 v[6:7], v[6:7], v[32:33]
	v_add_f64 v[30:31], v[34:35], -v[36:37]
	s_delay_alu instid0(VALU_DEP_3) | instskip(NEXT) | instid1(VALU_DEP_2)
	v_add_f64 v[32:33], -v[26:27], s[80:81]
	v_add_f64 v[6:7], v[6:7], v[30:31]
	s_delay_alu instid0(VALU_DEP_2) | instskip(NEXT) | instid1(VALU_DEP_3)
	v_cndmask_b32_e64 v27, v27, v33, s0
	v_cndmask_b32_e64 v26, v26, v32, s0
	v_and_b32_e32 v32, 0x54442d18, v8
	v_and_b32_e32 v8, 0x400921fb, v8
	s_delay_alu instid0(VALU_DEP_3) | instskip(SKIP_1) | instid1(VALU_DEP_2)
	v_add_f64 v[30:31], -v[26:27], s[10:11]
	v_add_f64 v[6:7], v[44:45], v[6:7]
	v_dual_cndmask_b32 v26, v26, v30 :: v_dual_cndmask_b32 v11, v27, v31
	s_and_b32 vcc_lo, s5, s4
                                        ; implicit-def: $vgpr30_vgpr31
	s_delay_alu instid0(VALU_DEP_1) | instskip(NEXT) | instid1(VALU_DEP_2)
	v_cndmask_b32_e64 v26, v26, v32, s1
	v_cndmask_b32_e64 v8, v11, v8, s1
                                        ; implicit-def: $vgpr32_vgpr33
	s_delay_alu instid0(VALU_DEP_1) | instskip(SKIP_1) | instid1(VALU_DEP_1)
	v_dual_cndmask_b32 v26, v26, v19 :: v_dual_cndmask_b32 v27, v8, v10
	v_mul_f64 v[6:7], v[6:7], 0.5
	v_cndmask_b32_e64 v7, 0xfff00000, v7, s2
	s_delay_alu instid0(VALU_DEP_2)
	v_cndmask_b32_e64 v6, 0, v6, s2
.LBB186_205:                            ;   in Loop: Header=BB186_162 Depth=1
	s_and_not1_saveexec_b32 s99, s3
	s_cbranch_execz .LBB186_209
; %bb.206:                              ;   in Loop: Header=BB186_162 Depth=1
	v_dual_mov_b32 v26, v18 :: v_dual_and_b32 v19, 0x7ffffff8, v33
	v_and_b32_e32 v27, 0x7ffffff8, v31
	s_mov_b32 s91, 0
	s_delay_alu instid0(VALU_DEP_2) | instskip(SKIP_1) | instid1(VALU_DEP_3)
	v_add_f64 v[6:7], v[32:33], -v[18:19]
	v_mov_b32_e32 v32, v18
	v_add_f64 v[28:29], v[30:31], -v[26:27]
	v_mov_b32_e32 v34, v18
	v_add_f64 v[36:37], v[18:19], v[18:19]
	v_add_f64 v[44:45], v[26:27], v[26:27]
	v_mul_f64 v[30:31], v[26:27], v[26:27]
	v_and_b32_e32 v33, -8, v7
	v_and_b32_e32 v35, -8, v29
	s_delay_alu instid0(VALU_DEP_2) | instskip(SKIP_1) | instid1(VALU_DEP_3)
	v_add_f64 v[46:47], v[6:7], -v[32:33]
	v_add_f64 v[50:51], v[32:33], v[32:33]
	v_add_f64 v[48:49], v[28:29], -v[34:35]
	v_add_f64 v[52:53], v[34:35], v[34:35]
	v_mul_f64 v[6:7], v[18:19], v[18:19]
	v_mul_f64 v[42:43], v[36:37], v[32:33]
	;; [unrolled: 1-line block ×11, first 2 shown]
.LBB186_207:                            ;   Parent Loop BB186_162 Depth=1
                                        ; =>  This Inner Loop Header: Depth=2
	v_cmp_nlt_f64_e32 vcc_lo, v[6:7], v[30:31]
	v_dual_cndmask_b32 v49, v7, v31 :: v_dual_cndmask_b32 v48, v6, v30
	v_dual_cndmask_b32 v7, v31, v7 :: v_dual_cndmask_b32 v6, v30, v6
	s_delay_alu instid0(VALU_DEP_2) | instskip(NEXT) | instid1(VALU_DEP_1)
	v_cmp_nlt_f64_e64 s1, v[48:49], v[42:43]
	v_cndmask_b32_e64 v51, v49, v43, s1
	v_cndmask_b32_e64 v50, v48, v42, s1
	;; [unrolled: 1-line block ×4, first 2 shown]
	s_and_b32 s1, vcc_lo, s1
	s_delay_alu instid0(VALU_DEP_3) | instskip(NEXT) | instid1(VALU_DEP_1)
	v_cmp_nlt_f64_e64 s2, v[50:51], v[28:29]
	v_cndmask_b32_e64 v53, v51, v29, s2
	v_cndmask_b32_e64 v52, v50, v28, s2
	;; [unrolled: 1-line block ×4, first 2 shown]
	s_delay_alu instid0(VALU_DEP_3) | instskip(NEXT) | instid1(VALU_DEP_1)
	v_cmp_nlt_f64_e64 s3, v[52:53], v[40:41]
	v_cndmask_b32_e64 v57, v53, v41, s3
	v_cndmask_b32_e64 v56, v52, v40, s3
	;; [unrolled: 1-line block ×4, first 2 shown]
	s_and_b32 s2, s2, s3
	s_delay_alu instid0(VALU_DEP_3) | instskip(NEXT) | instid1(VALU_DEP_1)
	v_cmp_nlt_f64_e64 s4, v[56:57], v[26:27]
	v_cndmask_b32_e64 v59, v57, v27, s4
	v_cndmask_b32_e64 v58, v56, v26, s4
	;; [unrolled: 1-line block ×4, first 2 shown]
	s_delay_alu instid0(VALU_DEP_3) | instskip(NEXT) | instid1(VALU_DEP_1)
	v_cmp_nlt_f64_e64 s5, v[58:59], v[38:39]
	v_cndmask_b32_e64 v61, v59, v39, s5
	v_cndmask_b32_e64 v60, v58, v38, s5
	s_and_b32 s3, s4, s5
	v_cndmask_b32_e64 v27, v39, v59, s5
	v_cndmask_b32_e64 v26, v38, v58, s5
	s_delay_alu instid0(VALU_DEP_3) | instskip(NEXT) | instid1(VALU_DEP_1)
	v_cmp_nlt_f64_e64 s6, v[60:61], v[36:37]
	v_cndmask_b32_e64 v63, v61, v37, s6
	v_cndmask_b32_e64 v62, v60, v36, s6
	s_and_b32 s3, s3, s6
	v_cndmask_b32_e64 v39, v37, v61, s6
	v_cndmask_b32_e64 v38, v36, v60, s6
	;; [unrolled: 7-line block ×5, first 2 shown]
	s_delay_alu instid0(VALU_DEP_3) | instskip(NEXT) | instid1(VALU_DEP_1)
	v_cmp_nlt_f64_e64 s10, v[68:69], v[46:47]
	v_cndmask_b32_e64 v49, v69, v47, s10
	v_cndmask_b32_e64 v48, v68, v46, s10
	s_and_b32 s3, s3, s10
	v_cndmask_b32_e64 v45, v47, v69, s10
	s_and_b32 s2, s3, s2
	;; [unrolled: 2-line block ×3, first 2 shown]
	v_dual_mov_b32 v46, v48 :: v_dual_mov_b32 v47, v49
	s_and_b32 s1, exec_lo, s1
	s_delay_alu instid0(SALU_CYCLE_1) | instskip(NEXT) | instid1(SALU_CYCLE_1)
	s_or_b32 s91, s1, s91
	s_and_not1_b32 exec_lo, exec_lo, s91
	s_cbranch_execnz .LBB186_207
; %bb.208:                              ;   in Loop: Header=BB186_162 Depth=1
	s_or_b32 exec_lo, exec_lo, s91
	v_add_f64 v[6:7], v[6:7], -1.0
	s_mov_b32 s91, s21
	s_mov_b32 s10, s80
	v_cmp_gt_i32_e64 s1, 0, v11
	v_cmp_class_f64_e64 s3, v[10:11], 0x204
	v_cmp_class_f64_e64 s2, v[12:13], 0x204
	s_delay_alu instid0(VALU_DEP_4) | instskip(NEXT) | instid1(VALU_DEP_1)
	v_add_f64 v[6:7], v[6:7], v[30:31]
	v_add_f64 v[6:7], v[6:7], v[42:43]
	s_delay_alu instid0(VALU_DEP_1) | instskip(NEXT) | instid1(VALU_DEP_1)
	v_add_f64 v[6:7], v[6:7], v[28:29]
	v_add_f64 v[6:7], v[6:7], v[40:41]
	s_delay_alu instid0(VALU_DEP_1) | instskip(NEXT) | instid1(VALU_DEP_1)
	;; [unrolled: 3-line block ×5, first 2 shown]
	v_add_f64 v[7:8], v[48:49], v[6:7]
	v_add_f64 v[26:27], v[7:8], 1.0
	s_delay_alu instid0(VALU_DEP_1) | instskip(SKIP_2) | instid1(VALU_DEP_3)
	v_frexp_mant_f64_e32 v[28:29], v[26:27]
	v_frexp_exp_i32_f64_e32 v6, v[26:27]
	v_add_f64 v[30:31], v[26:27], -1.0
	v_cmp_gt_f64_e32 vcc_lo, s[20:21], v[28:29]
	s_delay_alu instid0(VALU_DEP_2) | instskip(SKIP_2) | instid1(VALU_DEP_3)
	v_add_f64 v[28:29], v[30:31], -v[26:27]
	v_add_f64 v[30:31], v[7:8], -v[30:31]
	v_subrev_co_ci_u32_e32 v6, vcc_lo, 0, v6, vcc_lo
	v_add_f64 v[28:29], v[28:29], 1.0
	s_delay_alu instid0(VALU_DEP_2) | instskip(NEXT) | instid1(VALU_DEP_1)
	v_sub_nc_u32_e32 v19, 0, v6
	v_ldexp_f64 v[26:27], v[26:27], v19
	s_delay_alu instid0(VALU_DEP_3) | instskip(NEXT) | instid1(VALU_DEP_2)
	v_add_f64 v[28:29], v[30:31], v[28:29]
	v_add_f64 v[32:33], v[26:27], 1.0
	v_add_f64 v[38:39], v[26:27], -1.0
	s_delay_alu instid0(VALU_DEP_3) | instskip(SKIP_1) | instid1(VALU_DEP_4)
	v_ldexp_f64 v[28:29], v[28:29], v19
	v_cndmask_b32_e64 v19, 0x54442d18, v54, s1
	v_add_f64 v[30:31], v[32:33], -1.0
	s_delay_alu instid0(VALU_DEP_4) | instskip(NEXT) | instid1(VALU_DEP_2)
	v_add_f64 v[40:41], v[38:39], 1.0
	v_add_f64 v[30:31], v[26:27], -v[30:31]
	s_delay_alu instid0(VALU_DEP_2) | instskip(NEXT) | instid1(VALU_DEP_2)
	v_add_f64 v[26:27], v[26:27], -v[40:41]
	v_add_f64 v[30:31], v[28:29], v[30:31]
	s_delay_alu instid0(VALU_DEP_2) | instskip(NEXT) | instid1(VALU_DEP_2)
	v_add_f64 v[26:27], v[28:29], v[26:27]
	v_add_f64 v[34:35], v[32:33], v[30:31]
	s_delay_alu instid0(VALU_DEP_2) | instskip(NEXT) | instid1(VALU_DEP_2)
	v_add_f64 v[40:41], v[38:39], v[26:27]
	v_rcp_f64_e32 v[36:37], v[34:35]
	v_add_f64 v[32:33], v[34:35], -v[32:33]
	s_delay_alu instid0(VALU_DEP_2) | instskip(NEXT) | instid1(VALU_DEP_2)
	v_add_f64 v[38:39], v[40:41], -v[38:39]
	v_add_f64 v[30:31], v[30:31], -v[32:33]
	s_waitcnt_depctr 0xfff
	v_fma_f64 v[42:43], -v[34:35], v[36:37], 1.0
	v_add_f64 v[26:27], v[26:27], -v[38:39]
	s_delay_alu instid0(VALU_DEP_2) | instskip(NEXT) | instid1(VALU_DEP_1)
	v_fma_f64 v[36:37], v[42:43], v[36:37], v[36:37]
	v_fma_f64 v[28:29], -v[34:35], v[36:37], 1.0
	s_delay_alu instid0(VALU_DEP_1) | instskip(NEXT) | instid1(VALU_DEP_1)
	v_fma_f64 v[28:29], v[28:29], v[36:37], v[36:37]
	v_mul_f64 v[36:37], v[40:41], v[28:29]
	s_delay_alu instid0(VALU_DEP_1) | instskip(NEXT) | instid1(VALU_DEP_1)
	v_mul_f64 v[42:43], v[34:35], v[36:37]
	v_fma_f64 v[32:33], v[36:37], v[34:35], -v[42:43]
	s_delay_alu instid0(VALU_DEP_1) | instskip(NEXT) | instid1(VALU_DEP_1)
	v_fma_f64 v[32:33], v[36:37], v[30:31], v[32:33]
	v_add_f64 v[44:45], v[42:43], v[32:33]
	s_delay_alu instid0(VALU_DEP_1) | instskip(SKIP_2) | instid1(VALU_DEP_3)
	v_add_f64 v[46:47], v[40:41], -v[44:45]
	v_add_f64 v[38:39], v[44:45], -v[42:43]
	v_max_f64 v[42:43], |v[12:13]|, |v[12:13]|
	v_add_f64 v[40:41], v[40:41], -v[46:47]
	s_delay_alu instid0(VALU_DEP_3) | instskip(NEXT) | instid1(VALU_DEP_2)
	v_add_f64 v[32:33], v[38:39], -v[32:33]
	v_add_f64 v[40:41], v[40:41], -v[44:45]
	v_max_f64 v[44:45], |v[10:11]|, |v[10:11]|
	v_cndmask_b32_e64 v10, 0x3fe921fb, v55, s1
	s_delay_alu instid0(VALU_DEP_1) | instskip(NEXT) | instid1(VALU_DEP_4)
	v_bfi_b32 v10, 0x7fffffff, v10, v13
	v_add_f64 v[26:27], v[26:27], v[40:41]
	s_delay_alu instid0(VALU_DEP_4) | instskip(SKIP_1) | instid1(VALU_DEP_3)
	v_max_f64 v[48:49], v[44:45], v[42:43]
	v_min_f64 v[42:43], v[44:45], v[42:43]
	v_add_f64 v[26:27], v[32:33], v[26:27]
	s_delay_alu instid0(VALU_DEP_1) | instskip(NEXT) | instid1(VALU_DEP_1)
	v_add_f64 v[32:33], v[46:47], v[26:27]
	v_mul_f64 v[38:39], v[28:29], v[32:33]
	v_add_f64 v[46:47], v[46:47], -v[32:33]
	s_delay_alu instid0(VALU_DEP_2) | instskip(NEXT) | instid1(VALU_DEP_2)
	v_mul_f64 v[40:41], v[34:35], v[38:39]
	v_add_f64 v[26:27], v[26:27], v[46:47]
	s_delay_alu instid0(VALU_DEP_2) | instskip(NEXT) | instid1(VALU_DEP_1)
	v_fma_f64 v[34:35], v[38:39], v[34:35], -v[40:41]
	v_fma_f64 v[30:31], v[38:39], v[30:31], v[34:35]
	v_div_scale_f64 v[34:35], null, v[48:49], v[48:49], v[42:43]
	s_delay_alu instid0(VALU_DEP_2) | instskip(NEXT) | instid1(VALU_DEP_2)
	v_add_f64 v[44:45], v[40:41], v[30:31]
	v_rcp_f64_e32 v[50:51], v[34:35]
	s_delay_alu instid0(VALU_DEP_1)
	v_add_f64 v[52:53], v[32:33], -v[44:45]
	v_add_f64 v[40:41], v[44:45], -v[40:41]
	s_waitcnt_depctr 0xfff
	v_fma_f64 v[56:57], -v[34:35], v[50:51], 1.0
	v_add_f64 v[32:33], v[32:33], -v[52:53]
	v_add_f64 v[30:31], v[40:41], -v[30:31]
	s_delay_alu instid0(VALU_DEP_3) | instskip(NEXT) | instid1(VALU_DEP_3)
	v_fma_f64 v[50:51], v[50:51], v[56:57], v[50:51]
	v_add_f64 v[32:33], v[32:33], -v[44:45]
	s_delay_alu instid0(VALU_DEP_2) | instskip(NEXT) | instid1(VALU_DEP_2)
	v_fma_f64 v[44:45], -v[34:35], v[50:51], 1.0
	v_add_f64 v[26:27], v[26:27], v[32:33]
	v_div_scale_f64 v[32:33], vcc_lo, v[42:43], v[48:49], v[42:43]
	s_delay_alu instid0(VALU_DEP_3) | instskip(SKIP_1) | instid1(VALU_DEP_4)
	v_fma_f64 v[40:41], v[50:51], v[44:45], v[50:51]
	v_add_f64 v[44:45], v[36:37], v[38:39]
	v_add_f64 v[26:27], v[30:31], v[26:27]
	s_delay_alu instid0(VALU_DEP_3) | instskip(NEXT) | instid1(VALU_DEP_3)
	v_mul_f64 v[30:31], v[32:33], v[40:41]
	v_add_f64 v[36:37], v[44:45], -v[36:37]
	s_delay_alu instid0(VALU_DEP_3) | instskip(NEXT) | instid1(VALU_DEP_3)
	v_add_f64 v[26:27], v[52:53], v[26:27]
	v_fma_f64 v[32:33], -v[34:35], v[30:31], v[32:33]
	s_delay_alu instid0(VALU_DEP_3) | instskip(NEXT) | instid1(VALU_DEP_3)
	v_add_f64 v[34:35], v[38:39], -v[36:37]
	v_mul_f64 v[26:27], v[28:29], v[26:27]
	s_delay_alu instid0(VALU_DEP_3) | instskip(SKIP_1) | instid1(VALU_DEP_3)
	v_div_fmas_f64 v[28:29], v[32:33], v[40:41], v[30:31]
	v_cmp_eq_f64_e32 vcc_lo, 0x7ff00000, v[7:8]
	v_add_f64 v[26:27], v[34:35], v[26:27]
	s_delay_alu instid0(VALU_DEP_3) | instskip(NEXT) | instid1(VALU_DEP_2)
	v_div_fixup_f64 v[28:29], v[28:29], v[48:49], v[42:43]
	v_add_f64 v[30:31], v[44:45], v[26:27]
	s_delay_alu instid0(VALU_DEP_2) | instskip(NEXT) | instid1(VALU_DEP_2)
	v_mul_f64 v[32:33], v[28:29], v[28:29]
	v_mul_f64 v[34:35], v[30:31], v[30:31]
	s_delay_alu instid0(VALU_DEP_2) | instskip(NEXT) | instid1(VALU_DEP_2)
	v_fma_f64 v[36:37], v[32:33], s[42:43], s[40:41]
	v_fma_f64 v[38:39], v[34:35], s[24:25], s[22:23]
	v_mul_f64 v[40:41], v[30:31], v[34:35]
	s_delay_alu instid0(VALU_DEP_3) | instskip(NEXT) | instid1(VALU_DEP_3)
	v_fma_f64 v[36:37], v[32:33], v[36:37], s[44:45]
	v_fma_f64 v[38:39], v[34:35], v[38:39], s[26:27]
	s_delay_alu instid0(VALU_DEP_2) | instskip(NEXT) | instid1(VALU_DEP_2)
	v_fma_f64 v[36:37], v[32:33], v[36:37], s[46:47]
	v_fma_f64 v[38:39], v[34:35], v[38:39], s[28:29]
	s_delay_alu instid0(VALU_DEP_2) | instskip(NEXT) | instid1(VALU_DEP_2)
	;; [unrolled: 3-line block ×4, first 2 shown]
	v_fma_f64 v[36:37], v[32:33], v[36:37], s[52:53]
	v_fma_f64 v[34:35], v[34:35], v[38:39], s[90:91]
	v_ldexp_f64 v[38:39], v[30:31], 1
	v_add_f64 v[30:31], v[30:31], -v[44:45]
	s_delay_alu instid0(VALU_DEP_4) | instskip(NEXT) | instid1(VALU_DEP_4)
	v_fma_f64 v[36:37], v[32:33], v[36:37], s[54:55]
	v_mul_f64 v[34:35], v[40:41], v[34:35]
	v_cvt_f64_i32_e32 v[40:41], v6
	s_delay_alu instid0(VALU_DEP_4) | instskip(NEXT) | instid1(VALU_DEP_4)
	v_add_f64 v[26:27], v[26:27], -v[30:31]
	v_fma_f64 v[36:37], v[32:33], v[36:37], s[56:57]
	v_ashrrev_i32_e32 v6, 31, v11
	v_add_f64 v[42:43], v[38:39], v[34:35]
	v_mul_f64 v[44:45], v[40:41], s[36:37]
	v_ldexp_f64 v[26:27], v[26:27], 1
	v_fma_f64 v[36:37], v[32:33], v[36:37], s[58:59]
	s_delay_alu instid0(VALU_DEP_4) | instskip(NEXT) | instid1(VALU_DEP_4)
	v_add_f64 v[30:31], v[42:43], -v[38:39]
	v_fma_f64 v[38:39], v[40:41], s[36:37], -v[44:45]
	s_delay_alu instid0(VALU_DEP_3) | instskip(NEXT) | instid1(VALU_DEP_3)
	v_fma_f64 v[36:37], v[32:33], v[36:37], s[60:61]
	v_add_f64 v[30:31], v[34:35], -v[30:31]
	s_delay_alu instid0(VALU_DEP_2) | instskip(NEXT) | instid1(VALU_DEP_4)
	v_fma_f64 v[34:35], v[32:33], v[36:37], s[62:63]
	v_fma_f64 v[36:37], v[40:41], s[38:39], v[38:39]
	s_delay_alu instid0(VALU_DEP_3) | instskip(NEXT) | instid1(VALU_DEP_3)
	v_add_f64 v[26:27], v[26:27], v[30:31]
	v_fma_f64 v[30:31], v[32:33], v[34:35], s[64:65]
	s_delay_alu instid0(VALU_DEP_3) | instskip(NEXT) | instid1(VALU_DEP_3)
	v_add_f64 v[34:35], v[44:45], v[36:37]
	v_add_f64 v[38:39], v[42:43], v[26:27]
	s_delay_alu instid0(VALU_DEP_3) | instskip(NEXT) | instid1(VALU_DEP_3)
	v_fma_f64 v[30:31], v[32:33], v[30:31], s[66:67]
	v_add_f64 v[44:45], v[34:35], -v[44:45]
	s_delay_alu instid0(VALU_DEP_3) | instskip(SKIP_1) | instid1(VALU_DEP_4)
	v_add_f64 v[40:41], v[34:35], v[38:39]
	v_add_f64 v[42:43], v[38:39], -v[42:43]
	v_fma_f64 v[30:31], v[32:33], v[30:31], s[68:69]
	s_delay_alu instid0(VALU_DEP_4) | instskip(NEXT) | instid1(VALU_DEP_4)
	v_add_f64 v[36:37], v[36:37], -v[44:45]
	v_add_f64 v[46:47], v[40:41], -v[34:35]
	s_delay_alu instid0(VALU_DEP_4) | instskip(NEXT) | instid1(VALU_DEP_4)
	v_add_f64 v[26:27], v[26:27], -v[42:43]
	v_fma_f64 v[30:31], v[32:33], v[30:31], s[70:71]
	s_delay_alu instid0(VALU_DEP_3) | instskip(SKIP_1) | instid1(VALU_DEP_4)
	v_add_f64 v[48:49], v[40:41], -v[46:47]
	v_add_f64 v[38:39], v[38:39], -v[46:47]
	v_add_f64 v[42:43], v[36:37], v[26:27]
	s_delay_alu instid0(VALU_DEP_4) | instskip(NEXT) | instid1(VALU_DEP_4)
	v_fma_f64 v[30:31], v[32:33], v[30:31], s[72:73]
	v_add_f64 v[34:35], v[34:35], -v[48:49]
	s_delay_alu instid0(VALU_DEP_2) | instskip(NEXT) | instid1(VALU_DEP_2)
	v_fma_f64 v[30:31], v[32:33], v[30:31], s[74:75]
	v_add_f64 v[34:35], v[38:39], v[34:35]
	v_add_f64 v[38:39], v[42:43], -v[36:37]
	s_delay_alu instid0(VALU_DEP_3) | instskip(NEXT) | instid1(VALU_DEP_3)
	v_fma_f64 v[30:31], v[32:33], v[30:31], s[76:77]
	v_add_f64 v[34:35], v[42:43], v[34:35]
	s_delay_alu instid0(VALU_DEP_3) | instskip(SKIP_1) | instid1(VALU_DEP_4)
	v_add_f64 v[42:43], v[42:43], -v[38:39]
	v_add_f64 v[26:27], v[26:27], -v[38:39]
	v_fma_f64 v[30:31], v[32:33], v[30:31], s[78:79]
	s_delay_alu instid0(VALU_DEP_4) | instskip(NEXT) | instid1(VALU_DEP_2)
	v_add_f64 v[44:45], v[40:41], v[34:35]
	v_mul_f64 v[30:31], v[32:33], v[30:31]
	v_add_f64 v[32:33], v[36:37], -v[42:43]
	s_delay_alu instid0(VALU_DEP_3) | instskip(NEXT) | instid1(VALU_DEP_3)
	v_add_f64 v[36:37], v[44:45], -v[40:41]
	v_fma_f64 v[28:29], v[28:29], v[30:31], v[28:29]
	s_delay_alu instid0(VALU_DEP_3) | instskip(NEXT) | instid1(VALU_DEP_3)
	v_add_f64 v[26:27], v[26:27], v[32:33]
	v_add_f64 v[30:31], v[34:35], -v[36:37]
	s_delay_alu instid0(VALU_DEP_3) | instskip(NEXT) | instid1(VALU_DEP_2)
	v_add_f64 v[32:33], -v[28:29], s[80:81]
	v_add_f64 v[26:27], v[26:27], v[30:31]
	s_delay_alu instid0(VALU_DEP_2) | instskip(NEXT) | instid1(VALU_DEP_3)
	v_cndmask_b32_e64 v29, v29, v33, s0
	v_cndmask_b32_e64 v28, v28, v32, s0
	s_delay_alu instid0(VALU_DEP_1) | instskip(NEXT) | instid1(VALU_DEP_4)
	v_add_f64 v[30:31], -v[28:29], s[10:11]
	v_add_f64 v[26:27], v[44:45], v[26:27]
	v_and_b32_e32 v32, 0x54442d18, v6
	v_and_b32_e32 v6, 0x400921fb, v6
	s_delay_alu instid0(VALU_DEP_4) | instskip(SKIP_4) | instid1(VALU_DEP_2)
	v_cndmask_b32_e64 v28, v28, v30, s1
	v_cndmask_b32_e64 v11, v29, v31, s1
	v_cmp_nge_f64_e64 s1, -1.0, v[7:8]
	v_dual_cndmask_b32 v27, v27, v8 :: v_dual_cndmask_b32 v26, v26, v7
	v_cmp_eq_f64_e32 vcc_lo, 0, v[12:13]
	v_mul_f64 v[26:27], v[26:27], 0.5
	v_cndmask_b32_e32 v6, v11, v6, vcc_lo
	v_cndmask_b32_e32 v28, v28, v32, vcc_lo
	v_cmp_ngt_f64_e32 vcc_lo, -1.0, v[7:8]
	s_delay_alu instid0(VALU_DEP_4)
	v_cndmask_b32_e32 v11, 0x7ff80000, v27, vcc_lo
	s_and_b32 vcc_lo, s3, s2
	v_cndmask_b32_e32 v27, v6, v10, vcc_lo
	v_cndmask_b32_e64 v6, 0, v26, s1
	v_cmp_neq_f64_e64 s1, -1.0, v[7:8]
	v_cndmask_b32_e32 v26, v28, v19, vcc_lo
	s_delay_alu instid0(VALU_DEP_2)
	v_cndmask_b32_e64 v7, 0xfff00000, v11, s1
.LBB186_209:                            ;   in Loop: Header=BB186_162 Depth=1
	s_or_b32 exec_lo, exec_lo, s99
.LBB186_210:                            ;   in Loop: Header=BB186_162 Depth=1
	s_delay_alu instid0(SALU_CYCLE_1)
	s_or_b32 exec_lo, exec_lo, s98
.LBB186_211:                            ;   in Loop: Header=BB186_162 Depth=1
	s_and_not1_saveexec_b32 s3, s97
	s_cbranch_execz .LBB186_213
; %bb.212:                              ;   in Loop: Header=BB186_162 Depth=1
	v_max_f64 v[6:7], |v[12:13]|, |v[12:13]|
	v_max_f64 v[26:27], |v[10:11]|, |v[10:11]|
	v_cmp_class_f64_e64 s4, v[10:11], 0x204
	v_cmp_class_f64_e64 s5, v[12:13], 0x204
	s_mov_b32 s91, s21
	s_mov_b32 s10, s80
	v_cmp_eq_f64_e64 s2, 0, v[12:13]
	s_delay_alu instid0(VALU_DEP_4) | instskip(SKIP_1) | instid1(VALU_DEP_4)
	v_max_f64 v[28:29], v[26:27], v[6:7]
	v_min_f64 v[6:7], v[26:27], v[6:7]
	s_or_b32 s6, s4, s5
	s_delay_alu instid0(VALU_DEP_2) | instskip(NEXT) | instid1(VALU_DEP_1)
	v_frexp_exp_i32_f64_e32 v8, v[28:29]
	v_sub_nc_u32_e32 v19, 0, v8
	s_delay_alu instid0(VALU_DEP_1) | instskip(SKIP_1) | instid1(VALU_DEP_2)
	v_ldexp_f64 v[30:31], |v[12:13]|, v19
	v_ldexp_f64 v[32:33], |v[10:11]|, v19
	v_mul_f64 v[30:31], v[30:31], v[30:31]
	s_delay_alu instid0(VALU_DEP_1) | instskip(NEXT) | instid1(VALU_DEP_1)
	v_fma_f64 v[30:31], v[32:33], v[32:33], v[30:31]
	v_rsq_f64_e32 v[32:33], v[30:31]
	v_cmp_eq_f64_e32 vcc_lo, 0, v[30:31]
	s_waitcnt_depctr 0xfff
	v_mul_f64 v[34:35], v[30:31], v[32:33]
	v_mul_f64 v[32:33], v[32:33], 0.5
	s_delay_alu instid0(VALU_DEP_1) | instskip(NEXT) | instid1(VALU_DEP_1)
	v_fma_f64 v[36:37], -v[32:33], v[34:35], 0.5
	v_fma_f64 v[34:35], v[34:35], v[36:37], v[34:35]
	v_fma_f64 v[32:33], v[32:33], v[36:37], v[32:33]
	s_delay_alu instid0(VALU_DEP_2) | instskip(NEXT) | instid1(VALU_DEP_1)
	v_fma_f64 v[36:37], -v[34:35], v[34:35], v[30:31]
	v_fma_f64 v[32:33], v[36:37], v[32:33], v[34:35]
	s_delay_alu instid0(VALU_DEP_1) | instskip(SKIP_1) | instid1(VALU_DEP_2)
	v_dual_cndmask_b32 v31, v33, v31 :: v_dual_cndmask_b32 v30, v32, v30
	v_div_scale_f64 v[52:53], vcc_lo, v[6:7], v[28:29], v[6:7]
	v_ldexp_f64 v[30:31], v[30:31], v8
	s_delay_alu instid0(VALU_DEP_1) | instskip(NEXT) | instid1(VALU_DEP_2)
	v_cndmask_b32_e64 v33, v31, 0x7ff00000, s6
	v_cndmask_b32_e64 v32, v30, 0, s6
	s_delay_alu instid0(VALU_DEP_1) | instskip(SKIP_1) | instid1(VALU_DEP_2)
	v_frexp_mant_f64_e32 v[34:35], v[32:33]
	v_frexp_exp_i32_f64_e32 v8, v[32:33]
	v_cmp_gt_f64_e64 s1, s[20:21], v[34:35]
	s_delay_alu instid0(VALU_DEP_1) | instskip(NEXT) | instid1(VALU_DEP_1)
	v_cndmask_b32_e64 v19, 0x3ff00000, 2.0, s1
	v_mul_f64 v[34:35], v[34:35], v[18:19]
	s_delay_alu instid0(VALU_DEP_1) | instskip(SKIP_1) | instid1(VALU_DEP_2)
	v_add_f64 v[36:37], v[34:35], 1.0
	v_add_f64 v[42:43], v[34:35], -1.0
	v_rcp_f64_e32 v[38:39], v[36:37]
	v_add_f64 v[44:45], v[36:37], -1.0
	s_delay_alu instid0(VALU_DEP_1) | instskip(SKIP_2) | instid1(VALU_DEP_1)
	v_add_f64 v[34:35], v[34:35], -v[44:45]
	s_waitcnt_depctr 0xfff
	v_fma_f64 v[40:41], -v[36:37], v[38:39], 1.0
	v_fma_f64 v[38:39], v[40:41], v[38:39], v[38:39]
	s_delay_alu instid0(VALU_DEP_1) | instskip(NEXT) | instid1(VALU_DEP_1)
	v_fma_f64 v[40:41], -v[36:37], v[38:39], 1.0
	v_fma_f64 v[38:39], v[40:41], v[38:39], v[38:39]
	v_div_scale_f64 v[40:41], null, v[28:29], v[28:29], v[6:7]
	s_delay_alu instid0(VALU_DEP_2) | instskip(NEXT) | instid1(VALU_DEP_2)
	v_mul_f64 v[26:27], v[42:43], v[38:39]
	v_rcp_f64_e32 v[48:49], v[40:41]
	s_delay_alu instid0(VALU_DEP_1) | instskip(SKIP_3) | instid1(VALU_DEP_1)
	v_mul_f64 v[46:47], v[36:37], v[26:27]
	s_waitcnt_depctr 0xfff
	v_fma_f64 v[44:45], -v[40:41], v[48:49], 1.0
	v_fma_f64 v[36:37], v[26:27], v[36:37], -v[46:47]
	v_fma_f64 v[34:35], v[26:27], v[34:35], v[36:37]
	s_delay_alu instid0(VALU_DEP_3) | instskip(NEXT) | instid1(VALU_DEP_2)
	v_fma_f64 v[36:37], v[48:49], v[44:45], v[48:49]
	v_add_f64 v[44:45], v[46:47], v[34:35]
	s_delay_alu instid0(VALU_DEP_2) | instskip(NEXT) | instid1(VALU_DEP_2)
	v_fma_f64 v[48:49], -v[40:41], v[36:37], 1.0
	v_add_f64 v[50:51], v[42:43], -v[44:45]
	s_delay_alu instid0(VALU_DEP_2) | instskip(SKIP_1) | instid1(VALU_DEP_3)
	v_fma_f64 v[36:37], v[36:37], v[48:49], v[36:37]
	v_add_f64 v[46:47], v[44:45], -v[46:47]
	v_add_f64 v[42:43], v[42:43], -v[50:51]
	s_delay_alu instid0(VALU_DEP_3) | instskip(NEXT) | instid1(VALU_DEP_3)
	v_mul_f64 v[48:49], v[52:53], v[36:37]
	v_add_f64 v[34:35], v[46:47], -v[34:35]
	s_delay_alu instid0(VALU_DEP_3) | instskip(NEXT) | instid1(VALU_DEP_3)
	v_add_f64 v[42:43], v[42:43], -v[44:45]
	v_fma_f64 v[40:41], -v[40:41], v[48:49], v[52:53]
	s_delay_alu instid0(VALU_DEP_2) | instskip(NEXT) | instid1(VALU_DEP_2)
	v_add_f64 v[34:35], v[34:35], v[42:43]
	v_div_fmas_f64 v[36:37], v[40:41], v[36:37], v[48:49]
	v_subrev_co_ci_u32_e64 v8, vcc_lo, 0, v8, s1
	v_cmp_class_f64_e64 s1, v[30:31], 0x204
	v_cmp_gt_i32_e32 vcc_lo, 0, v11
	v_cndmask_b32_e32 v19, 0x3fe921fb, v55, vcc_lo
	s_delay_alu instid0(VALU_DEP_1) | instskip(SKIP_2) | instid1(VALU_DEP_2)
	v_bfi_b32 v19, 0x7fffffff, v19, v13
	v_add_f64 v[34:35], v[50:51], v[34:35]
	v_div_fixup_f64 v[6:7], v[36:37], v[28:29], v[6:7]
	v_mul_f64 v[28:29], v[38:39], v[34:35]
	s_delay_alu instid0(VALU_DEP_2) | instskip(NEXT) | instid1(VALU_DEP_2)
	v_mul_f64 v[34:35], v[6:7], v[6:7]
	v_add_f64 v[36:37], v[26:27], v[28:29]
	s_delay_alu instid0(VALU_DEP_2) | instskip(NEXT) | instid1(VALU_DEP_2)
	v_fma_f64 v[38:39], v[34:35], s[42:43], s[40:41]
	v_mul_f64 v[40:41], v[36:37], v[36:37]
	s_delay_alu instid0(VALU_DEP_2) | instskip(SKIP_1) | instid1(VALU_DEP_3)
	v_fma_f64 v[38:39], v[34:35], v[38:39], s[44:45]
	v_add_f64 v[26:27], v[36:37], -v[26:27]
	v_fma_f64 v[42:43], v[40:41], s[24:25], s[22:23]
	s_delay_alu instid0(VALU_DEP_3) | instskip(SKIP_1) | instid1(VALU_DEP_4)
	v_fma_f64 v[38:39], v[34:35], v[38:39], s[46:47]
	v_mul_f64 v[44:45], v[36:37], v[40:41]
	v_add_f64 v[26:27], v[28:29], -v[26:27]
	s_delay_alu instid0(VALU_DEP_4) | instskip(NEXT) | instid1(VALU_DEP_4)
	v_fma_f64 v[42:43], v[40:41], v[42:43], s[26:27]
	v_fma_f64 v[38:39], v[34:35], v[38:39], s[48:49]
	s_delay_alu instid0(VALU_DEP_3) | instskip(NEXT) | instid1(VALU_DEP_3)
	v_ldexp_f64 v[26:27], v[26:27], 1
	v_fma_f64 v[42:43], v[40:41], v[42:43], s[28:29]
	s_delay_alu instid0(VALU_DEP_3) | instskip(NEXT) | instid1(VALU_DEP_2)
	v_fma_f64 v[38:39], v[34:35], v[38:39], s[50:51]
	v_fma_f64 v[42:43], v[40:41], v[42:43], s[30:31]
	s_delay_alu instid0(VALU_DEP_2) | instskip(NEXT) | instid1(VALU_DEP_2)
	v_fma_f64 v[38:39], v[34:35], v[38:39], s[52:53]
	v_fma_f64 v[42:43], v[40:41], v[42:43], s[34:35]
	s_delay_alu instid0(VALU_DEP_2) | instskip(NEXT) | instid1(VALU_DEP_2)
	v_fma_f64 v[38:39], v[34:35], v[38:39], s[54:55]
	v_fma_f64 v[40:41], v[40:41], v[42:43], s[90:91]
	s_delay_alu instid0(VALU_DEP_2) | instskip(SKIP_1) | instid1(VALU_DEP_3)
	v_fma_f64 v[38:39], v[34:35], v[38:39], s[56:57]
	v_ldexp_f64 v[42:43], v[36:37], 1
	v_mul_f64 v[40:41], v[44:45], v[40:41]
	s_delay_alu instid0(VALU_DEP_3) | instskip(SKIP_2) | instid1(VALU_DEP_1)
	v_fma_f64 v[38:39], v[34:35], v[38:39], s[58:59]
	v_cvt_f64_i32_e32 v[44:45], v8
	v_ashrrev_i32_e32 v8, 31, v11
	v_dual_cndmask_b32 v10, 0x54442d18, v54 :: v_dual_and_b32 v11, 0x54442d18, v8
	v_and_b32_e32 v8, 0x400921fb, v8
	v_add_f64 v[36:37], v[42:43], v[40:41]
	v_fma_f64 v[38:39], v[34:35], v[38:39], s[60:61]
	v_mul_f64 v[46:47], v[44:45], s[36:37]
	s_delay_alu instid0(VALU_DEP_3) | instskip(NEXT) | instid1(VALU_DEP_3)
	v_add_f64 v[28:29], v[36:37], -v[42:43]
	v_fma_f64 v[38:39], v[34:35], v[38:39], s[62:63]
	s_delay_alu instid0(VALU_DEP_3) | instskip(NEXT) | instid1(VALU_DEP_3)
	v_fma_f64 v[42:43], v[44:45], s[36:37], -v[46:47]
	v_add_f64 v[28:29], v[40:41], -v[28:29]
	s_delay_alu instid0(VALU_DEP_3) | instskip(NEXT) | instid1(VALU_DEP_3)
	v_fma_f64 v[38:39], v[34:35], v[38:39], s[64:65]
	v_fma_f64 v[40:41], v[44:45], s[38:39], v[42:43]
	s_delay_alu instid0(VALU_DEP_3) | instskip(NEXT) | instid1(VALU_DEP_3)
	v_add_f64 v[26:27], v[26:27], v[28:29]
	v_fma_f64 v[28:29], v[34:35], v[38:39], s[66:67]
	s_delay_alu instid0(VALU_DEP_3) | instskip(NEXT) | instid1(VALU_DEP_3)
	v_add_f64 v[38:39], v[46:47], v[40:41]
	v_add_f64 v[42:43], v[36:37], v[26:27]
	s_delay_alu instid0(VALU_DEP_3) | instskip(NEXT) | instid1(VALU_DEP_3)
	v_fma_f64 v[28:29], v[34:35], v[28:29], s[68:69]
	v_add_f64 v[46:47], v[38:39], -v[46:47]
	s_delay_alu instid0(VALU_DEP_3) | instskip(NEXT) | instid1(VALU_DEP_3)
	v_add_f64 v[44:45], v[38:39], v[42:43]
	v_fma_f64 v[28:29], v[34:35], v[28:29], s[70:71]
	v_add_f64 v[36:37], v[42:43], -v[36:37]
	s_delay_alu instid0(VALU_DEP_4) | instskip(NEXT) | instid1(VALU_DEP_4)
	v_add_f64 v[40:41], v[40:41], -v[46:47]
	v_add_f64 v[48:49], v[44:45], -v[38:39]
	s_delay_alu instid0(VALU_DEP_4) | instskip(NEXT) | instid1(VALU_DEP_4)
	v_fma_f64 v[28:29], v[34:35], v[28:29], s[72:73]
	v_add_f64 v[26:27], v[26:27], -v[36:37]
	s_delay_alu instid0(VALU_DEP_3) | instskip(NEXT) | instid1(VALU_DEP_3)
	v_add_f64 v[50:51], v[44:45], -v[48:49]
	v_fma_f64 v[28:29], v[34:35], v[28:29], s[74:75]
	v_add_f64 v[36:37], v[42:43], -v[48:49]
	s_delay_alu instid0(VALU_DEP_4) | instskip(NEXT) | instid1(VALU_DEP_4)
	v_add_f64 v[42:43], v[40:41], v[26:27]
	v_add_f64 v[38:39], v[38:39], -v[50:51]
	s_delay_alu instid0(VALU_DEP_4) | instskip(NEXT) | instid1(VALU_DEP_2)
	v_fma_f64 v[28:29], v[34:35], v[28:29], s[76:77]
	v_add_f64 v[36:37], v[36:37], v[38:39]
	s_delay_alu instid0(VALU_DEP_2) | instskip(SKIP_1) | instid1(VALU_DEP_3)
	v_fma_f64 v[28:29], v[34:35], v[28:29], s[78:79]
	v_add_f64 v[38:39], v[42:43], -v[40:41]
	v_add_f64 v[36:37], v[42:43], v[36:37]
	s_delay_alu instid0(VALU_DEP_3) | instskip(NEXT) | instid1(VALU_DEP_3)
	v_mul_f64 v[28:29], v[34:35], v[28:29]
	v_add_f64 v[34:35], v[42:43], -v[38:39]
	v_add_f64 v[26:27], v[26:27], -v[38:39]
	s_delay_alu instid0(VALU_DEP_4) | instskip(NEXT) | instid1(VALU_DEP_4)
	v_add_f64 v[42:43], v[44:45], v[36:37]
	v_fma_f64 v[6:7], v[6:7], v[28:29], v[6:7]
	s_delay_alu instid0(VALU_DEP_4) | instskip(NEXT) | instid1(VALU_DEP_3)
	v_add_f64 v[28:29], v[40:41], -v[34:35]
	v_add_f64 v[34:35], v[42:43], -v[44:45]
	s_delay_alu instid0(VALU_DEP_3) | instskip(NEXT) | instid1(VALU_DEP_3)
	v_add_f64 v[38:39], -v[6:7], s[80:81]
	v_add_f64 v[26:27], v[26:27], v[28:29]
	s_delay_alu instid0(VALU_DEP_3) | instskip(NEXT) | instid1(VALU_DEP_3)
	v_add_f64 v[28:29], v[36:37], -v[34:35]
	v_cndmask_b32_e64 v7, v7, v39, s0
	s_delay_alu instid0(VALU_DEP_4) | instskip(NEXT) | instid1(VALU_DEP_3)
	v_cndmask_b32_e64 v6, v6, v38, s0
	v_add_f64 v[26:27], v[26:27], v[28:29]
	s_delay_alu instid0(VALU_DEP_2) | instskip(NEXT) | instid1(VALU_DEP_2)
	v_add_f64 v[28:29], -v[6:7], s[10:11]
	v_add_f64 v[26:27], v[42:43], v[26:27]
	s_delay_alu instid0(VALU_DEP_2) | instskip(SKIP_1) | instid1(VALU_DEP_2)
	v_dual_cndmask_b32 v6, v6, v28 :: v_dual_cndmask_b32 v7, v7, v29
	v_cmp_ngt_f64_e32 vcc_lo, 0, v[32:33]
	v_cndmask_b32_e64 v11, v6, v11, s2
	s_delay_alu instid0(VALU_DEP_3) | instskip(SKIP_3) | instid1(VALU_DEP_3)
	v_cndmask_b32_e64 v6, v7, v8, s2
	v_cndmask_b32_e64 v27, v27, v31, s1
	;; [unrolled: 1-line block ×3, first 2 shown]
	v_cmp_nge_f64_e64 s1, 0, v[32:33]
	v_cndmask_b32_e64 v27, v27, 0x7ff00000, s6
	s_delay_alu instid0(VALU_DEP_3) | instskip(NEXT) | instid1(VALU_DEP_2)
	v_cndmask_b32_e64 v7, v26, 0, s6
	v_cndmask_b32_e32 v8, 0x7ff80000, v27, vcc_lo
	s_and_b32 vcc_lo, s4, s5
	v_dual_cndmask_b32 v27, v6, v19 :: v_dual_cndmask_b32 v26, v11, v10
	s_delay_alu instid0(VALU_DEP_3) | instskip(SKIP_1) | instid1(VALU_DEP_1)
	v_cndmask_b32_e64 v6, 0, v7, s1
	v_cmp_neq_f64_e64 s1, 0, v[32:33]
	v_cndmask_b32_e64 v7, 0xfff00000, v8, s1
.LBB186_213:                            ;   in Loop: Header=BB186_162 Depth=1
	s_or_b32 exec_lo, exec_lo, s3
                                        ; implicit-def: $vgpr30_vgpr31
.LBB186_214:                            ;   in Loop: Header=BB186_162 Depth=1
	s_and_not1_saveexec_b32 s3, s96
	s_cbranch_execz .LBB186_220
; %bb.215:                              ;   in Loop: Header=BB186_162 Depth=1
                                        ; implicit-def: $vgpr6_vgpr7
                                        ; implicit-def: $vgpr26_vgpr27
	s_mov_b32 s1, exec_lo
	v_cmpx_ngt_f64_e32 s[84:85], v[30:31]
	s_xor_b32 s4, exec_lo, s1
	s_cbranch_execz .LBB186_217
; %bb.216:                              ;   in Loop: Header=BB186_162 Depth=1
	v_mul_f64 v[6:7], v[30:31], v[30:31]
	s_mov_b32 s91, s21
	s_mov_b32 s10, s80
	v_cmp_eq_f64_e64 s2, 0, v[12:13]
	v_cmp_class_f64_e64 s5, v[12:13], 0x204
	v_cmp_class_f64_e64 s6, v[10:11], 0x204
	v_cmp_gt_i32_e64 s1, 0, v11
	v_add_f64 v[26:27], v[6:7], 1.0
	s_delay_alu instid0(VALU_DEP_1) | instskip(SKIP_2) | instid1(VALU_DEP_3)
	v_frexp_mant_f64_e32 v[28:29], v[26:27]
	v_frexp_exp_i32_f64_e32 v8, v[26:27]
	v_add_f64 v[30:31], v[26:27], -1.0
	v_cmp_gt_f64_e32 vcc_lo, s[20:21], v[28:29]
	s_delay_alu instid0(VALU_DEP_2) | instskip(SKIP_2) | instid1(VALU_DEP_3)
	v_add_f64 v[28:29], v[30:31], -v[26:27]
	v_add_f64 v[30:31], v[6:7], -v[30:31]
	v_subrev_co_ci_u32_e32 v8, vcc_lo, 0, v8, vcc_lo
	v_add_f64 v[28:29], v[28:29], 1.0
	s_delay_alu instid0(VALU_DEP_2) | instskip(NEXT) | instid1(VALU_DEP_1)
	v_sub_nc_u32_e32 v19, 0, v8
	v_ldexp_f64 v[26:27], v[26:27], v19
	s_delay_alu instid0(VALU_DEP_3) | instskip(NEXT) | instid1(VALU_DEP_2)
	v_add_f64 v[28:29], v[30:31], v[28:29]
	v_add_f64 v[32:33], v[26:27], 1.0
	v_add_f64 v[38:39], v[26:27], -1.0
	s_delay_alu instid0(VALU_DEP_3) | instskip(SKIP_1) | instid1(VALU_DEP_4)
	v_ldexp_f64 v[28:29], v[28:29], v19
	v_cndmask_b32_e64 v19, 0x54442d18, v54, s1
	v_add_f64 v[30:31], v[32:33], -1.0
	s_delay_alu instid0(VALU_DEP_4) | instskip(NEXT) | instid1(VALU_DEP_2)
	v_add_f64 v[40:41], v[38:39], 1.0
	v_add_f64 v[30:31], v[26:27], -v[30:31]
	s_delay_alu instid0(VALU_DEP_2) | instskip(NEXT) | instid1(VALU_DEP_2)
	v_add_f64 v[26:27], v[26:27], -v[40:41]
	v_add_f64 v[30:31], v[28:29], v[30:31]
	s_delay_alu instid0(VALU_DEP_2) | instskip(NEXT) | instid1(VALU_DEP_2)
	v_add_f64 v[26:27], v[28:29], v[26:27]
	v_add_f64 v[34:35], v[32:33], v[30:31]
	s_delay_alu instid0(VALU_DEP_2) | instskip(NEXT) | instid1(VALU_DEP_2)
	v_add_f64 v[40:41], v[38:39], v[26:27]
	v_rcp_f64_e32 v[36:37], v[34:35]
	v_add_f64 v[32:33], v[32:33], -v[34:35]
	s_delay_alu instid0(VALU_DEP_2) | instskip(NEXT) | instid1(VALU_DEP_2)
	v_add_f64 v[38:39], v[38:39], -v[40:41]
	v_add_f64 v[30:31], v[30:31], v[32:33]
	s_waitcnt_depctr 0xfff
	v_fma_f64 v[42:43], -v[34:35], v[36:37], 1.0
	v_add_f64 v[26:27], v[26:27], v[38:39]
	s_delay_alu instid0(VALU_DEP_2) | instskip(NEXT) | instid1(VALU_DEP_1)
	v_fma_f64 v[36:37], v[42:43], v[36:37], v[36:37]
	v_fma_f64 v[28:29], -v[34:35], v[36:37], 1.0
	s_delay_alu instid0(VALU_DEP_1) | instskip(NEXT) | instid1(VALU_DEP_1)
	v_fma_f64 v[28:29], v[28:29], v[36:37], v[36:37]
	v_mul_f64 v[36:37], v[40:41], v[28:29]
	s_delay_alu instid0(VALU_DEP_1) | instskip(NEXT) | instid1(VALU_DEP_1)
	v_mul_f64 v[42:43], v[34:35], v[36:37]
	v_fma_f64 v[32:33], v[36:37], v[34:35], -v[42:43]
	s_delay_alu instid0(VALU_DEP_1) | instskip(NEXT) | instid1(VALU_DEP_1)
	v_fma_f64 v[32:33], v[36:37], v[30:31], v[32:33]
	v_add_f64 v[44:45], v[42:43], v[32:33]
	s_delay_alu instid0(VALU_DEP_1) | instskip(SKIP_2) | instid1(VALU_DEP_3)
	v_add_f64 v[46:47], v[40:41], -v[44:45]
	v_add_f64 v[38:39], v[44:45], -v[42:43]
	v_max_f64 v[42:43], |v[12:13]|, |v[12:13]|
	v_add_f64 v[40:41], v[40:41], -v[46:47]
	s_delay_alu instid0(VALU_DEP_3) | instskip(NEXT) | instid1(VALU_DEP_2)
	v_add_f64 v[32:33], v[38:39], -v[32:33]
	v_add_f64 v[40:41], v[40:41], -v[44:45]
	v_max_f64 v[44:45], |v[10:11]|, |v[10:11]|
	v_cndmask_b32_e64 v10, 0x3fe921fb, v55, s1
	s_delay_alu instid0(VALU_DEP_1) | instskip(NEXT) | instid1(VALU_DEP_4)
	v_bfi_b32 v10, 0x7fffffff, v10, v13
	v_add_f64 v[26:27], v[26:27], v[40:41]
	s_delay_alu instid0(VALU_DEP_4) | instskip(SKIP_1) | instid1(VALU_DEP_3)
	v_max_f64 v[48:49], v[44:45], v[42:43]
	v_min_f64 v[42:43], v[44:45], v[42:43]
	v_add_f64 v[26:27], v[32:33], v[26:27]
	s_delay_alu instid0(VALU_DEP_1) | instskip(NEXT) | instid1(VALU_DEP_1)
	v_add_f64 v[32:33], v[46:47], v[26:27]
	v_mul_f64 v[38:39], v[28:29], v[32:33]
	v_add_f64 v[46:47], v[46:47], -v[32:33]
	s_delay_alu instid0(VALU_DEP_2) | instskip(NEXT) | instid1(VALU_DEP_2)
	v_mul_f64 v[40:41], v[34:35], v[38:39]
	v_add_f64 v[26:27], v[26:27], v[46:47]
	s_delay_alu instid0(VALU_DEP_2) | instskip(NEXT) | instid1(VALU_DEP_1)
	v_fma_f64 v[34:35], v[38:39], v[34:35], -v[40:41]
	v_fma_f64 v[30:31], v[38:39], v[30:31], v[34:35]
	v_div_scale_f64 v[34:35], null, v[48:49], v[48:49], v[42:43]
	s_delay_alu instid0(VALU_DEP_2) | instskip(NEXT) | instid1(VALU_DEP_2)
	v_add_f64 v[44:45], v[40:41], v[30:31]
	v_rcp_f64_e32 v[50:51], v[34:35]
	s_delay_alu instid0(VALU_DEP_1)
	v_add_f64 v[52:53], v[32:33], -v[44:45]
	v_add_f64 v[40:41], v[44:45], -v[40:41]
	s_waitcnt_depctr 0xfff
	v_fma_f64 v[56:57], -v[34:35], v[50:51], 1.0
	v_add_f64 v[32:33], v[32:33], -v[52:53]
	v_add_f64 v[30:31], v[40:41], -v[30:31]
	s_delay_alu instid0(VALU_DEP_3) | instskip(NEXT) | instid1(VALU_DEP_3)
	v_fma_f64 v[50:51], v[50:51], v[56:57], v[50:51]
	v_add_f64 v[32:33], v[32:33], -v[44:45]
	s_delay_alu instid0(VALU_DEP_2) | instskip(NEXT) | instid1(VALU_DEP_2)
	v_fma_f64 v[44:45], -v[34:35], v[50:51], 1.0
	v_add_f64 v[26:27], v[26:27], v[32:33]
	v_div_scale_f64 v[32:33], vcc_lo, v[42:43], v[48:49], v[42:43]
	s_delay_alu instid0(VALU_DEP_3) | instskip(SKIP_1) | instid1(VALU_DEP_4)
	v_fma_f64 v[40:41], v[50:51], v[44:45], v[50:51]
	v_add_f64 v[44:45], v[36:37], v[38:39]
	v_add_f64 v[26:27], v[30:31], v[26:27]
	s_delay_alu instid0(VALU_DEP_3) | instskip(NEXT) | instid1(VALU_DEP_3)
	v_mul_f64 v[30:31], v[32:33], v[40:41]
	v_add_f64 v[36:37], v[44:45], -v[36:37]
	s_delay_alu instid0(VALU_DEP_3) | instskip(NEXT) | instid1(VALU_DEP_3)
	v_add_f64 v[26:27], v[52:53], v[26:27]
	v_fma_f64 v[32:33], -v[34:35], v[30:31], v[32:33]
	s_delay_alu instid0(VALU_DEP_3) | instskip(NEXT) | instid1(VALU_DEP_3)
	v_add_f64 v[34:35], v[38:39], -v[36:37]
	v_mul_f64 v[26:27], v[28:29], v[26:27]
	s_delay_alu instid0(VALU_DEP_3) | instskip(SKIP_1) | instid1(VALU_DEP_3)
	v_div_fmas_f64 v[28:29], v[32:33], v[40:41], v[30:31]
	v_cmp_eq_f64_e32 vcc_lo, 0x7ff00000, v[6:7]
	v_add_f64 v[26:27], v[34:35], v[26:27]
	s_delay_alu instid0(VALU_DEP_3) | instskip(NEXT) | instid1(VALU_DEP_2)
	v_div_fixup_f64 v[28:29], v[28:29], v[48:49], v[42:43]
	v_add_f64 v[30:31], v[44:45], v[26:27]
	s_delay_alu instid0(VALU_DEP_2) | instskip(NEXT) | instid1(VALU_DEP_2)
	v_mul_f64 v[32:33], v[28:29], v[28:29]
	v_mul_f64 v[34:35], v[30:31], v[30:31]
	s_delay_alu instid0(VALU_DEP_2) | instskip(NEXT) | instid1(VALU_DEP_2)
	v_fma_f64 v[36:37], v[32:33], s[42:43], s[40:41]
	v_fma_f64 v[38:39], v[34:35], s[24:25], s[22:23]
	v_mul_f64 v[40:41], v[30:31], v[34:35]
	s_delay_alu instid0(VALU_DEP_3) | instskip(NEXT) | instid1(VALU_DEP_3)
	v_fma_f64 v[36:37], v[32:33], v[36:37], s[44:45]
	v_fma_f64 v[38:39], v[34:35], v[38:39], s[26:27]
	s_delay_alu instid0(VALU_DEP_2) | instskip(NEXT) | instid1(VALU_DEP_2)
	v_fma_f64 v[36:37], v[32:33], v[36:37], s[46:47]
	v_fma_f64 v[38:39], v[34:35], v[38:39], s[28:29]
	s_delay_alu instid0(VALU_DEP_2) | instskip(NEXT) | instid1(VALU_DEP_2)
	;; [unrolled: 3-line block ×4, first 2 shown]
	v_fma_f64 v[36:37], v[32:33], v[36:37], s[52:53]
	v_fma_f64 v[34:35], v[34:35], v[38:39], s[90:91]
	v_ldexp_f64 v[38:39], v[30:31], 1
	v_add_f64 v[30:31], v[30:31], -v[44:45]
	s_delay_alu instid0(VALU_DEP_4) | instskip(NEXT) | instid1(VALU_DEP_4)
	v_fma_f64 v[36:37], v[32:33], v[36:37], s[54:55]
	v_mul_f64 v[34:35], v[40:41], v[34:35]
	v_cvt_f64_i32_e32 v[40:41], v8
	s_delay_alu instid0(VALU_DEP_4) | instskip(NEXT) | instid1(VALU_DEP_4)
	v_add_f64 v[26:27], v[26:27], -v[30:31]
	v_fma_f64 v[36:37], v[32:33], v[36:37], s[56:57]
	v_ashrrev_i32_e32 v8, 31, v11
	v_add_f64 v[42:43], v[38:39], v[34:35]
	v_mul_f64 v[44:45], v[40:41], s[36:37]
	v_ldexp_f64 v[26:27], v[26:27], 1
	v_fma_f64 v[36:37], v[32:33], v[36:37], s[58:59]
	s_delay_alu instid0(VALU_DEP_4) | instskip(NEXT) | instid1(VALU_DEP_4)
	v_add_f64 v[30:31], v[42:43], -v[38:39]
	v_fma_f64 v[38:39], v[40:41], s[36:37], -v[44:45]
	s_delay_alu instid0(VALU_DEP_3) | instskip(NEXT) | instid1(VALU_DEP_3)
	v_fma_f64 v[36:37], v[32:33], v[36:37], s[60:61]
	v_add_f64 v[30:31], v[34:35], -v[30:31]
	s_delay_alu instid0(VALU_DEP_2) | instskip(NEXT) | instid1(VALU_DEP_4)
	v_fma_f64 v[34:35], v[32:33], v[36:37], s[62:63]
	v_fma_f64 v[36:37], v[40:41], s[38:39], v[38:39]
	s_delay_alu instid0(VALU_DEP_3) | instskip(NEXT) | instid1(VALU_DEP_3)
	v_add_f64 v[26:27], v[26:27], v[30:31]
	v_fma_f64 v[30:31], v[32:33], v[34:35], s[64:65]
	s_delay_alu instid0(VALU_DEP_3) | instskip(NEXT) | instid1(VALU_DEP_3)
	v_add_f64 v[34:35], v[44:45], v[36:37]
	v_add_f64 v[38:39], v[42:43], v[26:27]
	s_delay_alu instid0(VALU_DEP_3) | instskip(NEXT) | instid1(VALU_DEP_3)
	v_fma_f64 v[30:31], v[32:33], v[30:31], s[66:67]
	v_add_f64 v[44:45], v[34:35], -v[44:45]
	s_delay_alu instid0(VALU_DEP_3) | instskip(SKIP_1) | instid1(VALU_DEP_4)
	v_add_f64 v[40:41], v[34:35], v[38:39]
	v_add_f64 v[42:43], v[38:39], -v[42:43]
	v_fma_f64 v[30:31], v[32:33], v[30:31], s[68:69]
	s_delay_alu instid0(VALU_DEP_4) | instskip(NEXT) | instid1(VALU_DEP_4)
	v_add_f64 v[36:37], v[36:37], -v[44:45]
	v_add_f64 v[46:47], v[40:41], -v[34:35]
	s_delay_alu instid0(VALU_DEP_4) | instskip(NEXT) | instid1(VALU_DEP_4)
	v_add_f64 v[26:27], v[26:27], -v[42:43]
	v_fma_f64 v[30:31], v[32:33], v[30:31], s[70:71]
	s_delay_alu instid0(VALU_DEP_3) | instskip(SKIP_1) | instid1(VALU_DEP_4)
	v_add_f64 v[48:49], v[40:41], -v[46:47]
	v_add_f64 v[38:39], v[38:39], -v[46:47]
	v_add_f64 v[42:43], v[36:37], v[26:27]
	s_delay_alu instid0(VALU_DEP_4) | instskip(NEXT) | instid1(VALU_DEP_4)
	v_fma_f64 v[30:31], v[32:33], v[30:31], s[72:73]
	v_add_f64 v[34:35], v[34:35], -v[48:49]
	s_delay_alu instid0(VALU_DEP_2) | instskip(NEXT) | instid1(VALU_DEP_2)
	v_fma_f64 v[30:31], v[32:33], v[30:31], s[74:75]
	v_add_f64 v[34:35], v[38:39], v[34:35]
	v_add_f64 v[38:39], v[42:43], -v[36:37]
	s_delay_alu instid0(VALU_DEP_3) | instskip(NEXT) | instid1(VALU_DEP_3)
	v_fma_f64 v[30:31], v[32:33], v[30:31], s[76:77]
	v_add_f64 v[34:35], v[42:43], v[34:35]
	s_delay_alu instid0(VALU_DEP_3) | instskip(SKIP_1) | instid1(VALU_DEP_4)
	v_add_f64 v[42:43], v[42:43], -v[38:39]
	v_add_f64 v[26:27], v[26:27], -v[38:39]
	v_fma_f64 v[30:31], v[32:33], v[30:31], s[78:79]
	s_delay_alu instid0(VALU_DEP_4) | instskip(NEXT) | instid1(VALU_DEP_2)
	v_add_f64 v[44:45], v[40:41], v[34:35]
	v_mul_f64 v[30:31], v[32:33], v[30:31]
	v_add_f64 v[32:33], v[36:37], -v[42:43]
	s_delay_alu instid0(VALU_DEP_3) | instskip(NEXT) | instid1(VALU_DEP_3)
	v_add_f64 v[36:37], v[44:45], -v[40:41]
	v_fma_f64 v[28:29], v[28:29], v[30:31], v[28:29]
	s_delay_alu instid0(VALU_DEP_3) | instskip(NEXT) | instid1(VALU_DEP_3)
	v_add_f64 v[26:27], v[26:27], v[32:33]
	v_add_f64 v[30:31], v[34:35], -v[36:37]
	s_delay_alu instid0(VALU_DEP_3) | instskip(NEXT) | instid1(VALU_DEP_2)
	v_add_f64 v[32:33], -v[28:29], s[80:81]
	v_add_f64 v[26:27], v[26:27], v[30:31]
	s_delay_alu instid0(VALU_DEP_2) | instskip(NEXT) | instid1(VALU_DEP_3)
	v_cndmask_b32_e64 v29, v29, v33, s0
	v_cndmask_b32_e64 v28, v28, v32, s0
	s_delay_alu instid0(VALU_DEP_1) | instskip(NEXT) | instid1(VALU_DEP_4)
	v_add_f64 v[30:31], -v[28:29], s[10:11]
	v_add_f64 v[26:27], v[44:45], v[26:27]
	v_and_b32_e32 v32, 0x54442d18, v8
	v_and_b32_e32 v8, 0x400921fb, v8
	s_delay_alu instid0(VALU_DEP_4) | instskip(SKIP_1) | instid1(VALU_DEP_1)
	v_cndmask_b32_e64 v28, v28, v30, s1
	v_cndmask_b32_e64 v11, v29, v31, s1
                                        ; implicit-def: $vgpr30_vgpr31
	v_cndmask_b32_e64 v8, v11, v8, s2
	v_dual_cndmask_b32 v7, v27, v7 :: v_dual_cndmask_b32 v6, v26, v6
	s_delay_alu instid0(VALU_DEP_4) | instskip(SKIP_1) | instid1(VALU_DEP_3)
	v_cndmask_b32_e64 v26, v28, v32, s2
	s_and_b32 vcc_lo, s6, s5
	v_cndmask_b32_e32 v27, v8, v10, vcc_lo
	s_delay_alu instid0(VALU_DEP_3) | instskip(NEXT) | instid1(VALU_DEP_3)
	v_mul_f64 v[6:7], v[6:7], 0.5
	v_cndmask_b32_e32 v26, v26, v19, vcc_lo
.LBB186_217:                            ;   in Loop: Header=BB186_162 Depth=1
	s_and_not1_saveexec_b32 s2, s4
	s_cbranch_execz .LBB186_219
; %bb.218:                              ;   in Loop: Header=BB186_162 Depth=1
	v_max_f64 v[6:7], |v[12:13]|, |v[12:13]|
	v_max_f64 v[26:27], |v[10:11]|, |v[10:11]|
	s_mov_b32 s10, s80
	v_cmp_eq_f64_e64 s1, 0, v[12:13]
	v_cmp_class_f64_e64 s4, v[12:13], 0x204
	v_cmp_class_f64_e64 s5, v[10:11], 0x204
	v_ashrrev_i32_e32 v19, 31, v11
	v_max_f64 v[28:29], v[26:27], v[6:7]
	v_min_f64 v[6:7], v[26:27], v[6:7]
	s_delay_alu instid0(VALU_DEP_1) | instskip(SKIP_1) | instid1(VALU_DEP_2)
	v_div_scale_f64 v[26:27], null, v[28:29], v[28:29], v[6:7]
	v_div_scale_f64 v[36:37], vcc_lo, v[6:7], v[28:29], v[6:7]
	v_rcp_f64_e32 v[32:33], v[26:27]
	s_waitcnt_depctr 0xfff
	v_fma_f64 v[34:35], -v[26:27], v[32:33], 1.0
	s_delay_alu instid0(VALU_DEP_1) | instskip(NEXT) | instid1(VALU_DEP_1)
	v_fma_f64 v[32:33], v[32:33], v[34:35], v[32:33]
	v_fma_f64 v[34:35], -v[26:27], v[32:33], 1.0
	s_delay_alu instid0(VALU_DEP_1) | instskip(NEXT) | instid1(VALU_DEP_1)
	v_fma_f64 v[32:33], v[32:33], v[34:35], v[32:33]
	v_mul_f64 v[34:35], v[36:37], v[32:33]
	s_delay_alu instid0(VALU_DEP_1) | instskip(NEXT) | instid1(VALU_DEP_1)
	v_fma_f64 v[26:27], -v[26:27], v[34:35], v[36:37]
	v_div_fmas_f64 v[26:27], v[26:27], v[32:33], v[34:35]
	v_cmp_gt_i32_e32 vcc_lo, 0, v11
	v_and_b32_e32 v33, 0x54442d18, v19
	v_and_b32_e32 v11, 0x400921fb, v19
	v_cndmask_b32_e32 v32, 0x54442d18, v54, vcc_lo
	v_cndmask_b32_e32 v10, 0x3fe921fb, v55, vcc_lo
	s_delay_alu instid0(VALU_DEP_1) | instskip(SKIP_1) | instid1(VALU_DEP_1)
	v_bfi_b32 v10, 0x7fffffff, v10, v13
	v_div_fixup_f64 v[6:7], v[26:27], v[28:29], v[6:7]
	v_mul_f64 v[26:27], v[6:7], v[6:7]
	s_delay_alu instid0(VALU_DEP_1) | instskip(NEXT) | instid1(VALU_DEP_1)
	v_fma_f64 v[28:29], v[26:27], s[42:43], s[40:41]
	v_fma_f64 v[28:29], v[26:27], v[28:29], s[44:45]
	s_delay_alu instid0(VALU_DEP_1) | instskip(NEXT) | instid1(VALU_DEP_1)
	v_fma_f64 v[28:29], v[26:27], v[28:29], s[46:47]
	v_fma_f64 v[28:29], v[26:27], v[28:29], s[48:49]
	;; [unrolled: 3-line block ×9, first 2 shown]
	s_delay_alu instid0(VALU_DEP_1) | instskip(NEXT) | instid1(VALU_DEP_1)
	v_fma_f64 v[28:29], v[26:27], v[28:29], s[78:79]
	v_mul_f64 v[26:27], v[26:27], v[28:29]
	v_mul_f64 v[28:29], v[30:31], 0.5
	s_delay_alu instid0(VALU_DEP_2) | instskip(NEXT) | instid1(VALU_DEP_1)
	v_fma_f64 v[6:7], v[6:7], v[26:27], v[6:7]
	v_add_f64 v[26:27], -v[6:7], s[80:81]
	s_delay_alu instid0(VALU_DEP_1) | instskip(NEXT) | instid1(VALU_DEP_2)
	v_cndmask_b32_e64 v8, v7, v27, s0
	v_cndmask_b32_e64 v7, v6, v26, s0
	s_delay_alu instid0(VALU_DEP_1) | instskip(NEXT) | instid1(VALU_DEP_1)
	v_add_f64 v[26:27], -v[7:8], s[10:11]
	v_cndmask_b32_e32 v26, v7, v26, vcc_lo
	v_mul_f64 v[6:7], v[30:31], v[28:29]
	s_delay_alu instid0(VALU_DEP_3) | instskip(SKIP_1) | instid1(VALU_DEP_3)
	v_cndmask_b32_e32 v8, v8, v27, vcc_lo
	s_and_b32 vcc_lo, s5, s4
	v_cndmask_b32_e64 v19, v26, v33, s1
	s_delay_alu instid0(VALU_DEP_2) | instskip(NEXT) | instid1(VALU_DEP_1)
	v_cndmask_b32_e64 v8, v8, v11, s1
	v_dual_cndmask_b32 v26, v19, v32 :: v_dual_cndmask_b32 v27, v8, v10
.LBB186_219:                            ;   in Loop: Header=BB186_162 Depth=1
	s_or_b32 exec_lo, exec_lo, s2
.LBB186_220:                            ;   in Loop: Header=BB186_162 Depth=1
	s_delay_alu instid0(SALU_CYCLE_1)
	s_or_b32 exec_lo, exec_lo, s3
.LBB186_221:                            ;   in Loop: Header=BB186_162 Depth=1
	s_and_not1_saveexec_b32 s3, s95
	s_cbranch_execz .LBB186_223
; %bb.222:                              ;   in Loop: Header=BB186_162 Depth=1
	v_div_scale_f64 v[6:7], null, s[86:87], s[86:87], v[10:11]
	v_div_scale_f64 v[26:27], null, s[86:87], s[86:87], v[12:13]
	v_div_scale_f64 v[36:37], vcc_lo, v[10:11], s[86:87], v[10:11]
	v_max_f64 v[40:41], |v[10:11]|, |v[10:11]|
	s_mov_b32 s91, s21
	s_mov_b32 s10, s80
	s_delay_alu instid0(VALU_DEP_4) | instskip(NEXT) | instid1(VALU_DEP_3)
	v_rcp_f64_e32 v[28:29], v[6:7]
	v_rcp_f64_e32 v[30:31], v[26:27]
	s_waitcnt_depctr 0xfff
	v_fma_f64 v[32:33], -v[6:7], v[28:29], 1.0
	v_fma_f64 v[34:35], -v[26:27], v[30:31], 1.0
	s_delay_alu instid0(VALU_DEP_2) | instskip(NEXT) | instid1(VALU_DEP_2)
	v_fma_f64 v[28:29], v[28:29], v[32:33], v[28:29]
	v_fma_f64 v[30:31], v[30:31], v[34:35], v[30:31]
	s_delay_alu instid0(VALU_DEP_2) | instskip(NEXT) | instid1(VALU_DEP_2)
	v_fma_f64 v[32:33], -v[6:7], v[28:29], 1.0
	v_fma_f64 v[34:35], -v[26:27], v[30:31], 1.0
	s_delay_alu instid0(VALU_DEP_2) | instskip(SKIP_1) | instid1(VALU_DEP_3)
	v_fma_f64 v[28:29], v[28:29], v[32:33], v[28:29]
	v_div_scale_f64 v[32:33], s1, v[12:13], s[86:87], v[12:13]
	v_fma_f64 v[30:31], v[30:31], v[34:35], v[30:31]
	s_delay_alu instid0(VALU_DEP_3) | instskip(NEXT) | instid1(VALU_DEP_2)
	v_mul_f64 v[34:35], v[36:37], v[28:29]
	v_mul_f64 v[38:39], v[32:33], v[30:31]
	s_delay_alu instid0(VALU_DEP_2) | instskip(NEXT) | instid1(VALU_DEP_2)
	v_fma_f64 v[6:7], -v[6:7], v[34:35], v[36:37]
	v_fma_f64 v[26:27], -v[26:27], v[38:39], v[32:33]
	s_delay_alu instid0(VALU_DEP_2) | instskip(SKIP_1) | instid1(VALU_DEP_2)
	v_div_fmas_f64 v[6:7], v[6:7], v[28:29], v[34:35]
	s_mov_b32 vcc_lo, s1
	v_div_fmas_f64 v[26:27], v[26:27], v[30:31], v[38:39]
	s_delay_alu instid0(VALU_DEP_2) | instskip(NEXT) | instid1(VALU_DEP_2)
	v_div_fixup_f64 v[6:7], v[6:7], s[86:87], v[10:11]
	v_div_fixup_f64 v[26:27], v[26:27], s[86:87], v[12:13]
	s_delay_alu instid0(VALU_DEP_2) | instskip(NEXT) | instid1(VALU_DEP_2)
	v_cmp_class_f64_e64 s2, v[6:7], 0x204
	v_max_f64 v[28:29], |v[6:7]|, |v[26:27]|
	v_cmp_o_f64_e64 s1, v[6:7], v[26:27]
	v_cmp_class_f64_e64 s4, v[26:27], 0x204
	s_delay_alu instid0(VALU_DEP_3) | instskip(NEXT) | instid1(VALU_DEP_2)
	v_frexp_exp_i32_f64_e32 v8, v[28:29]
	s_or_b32 s4, s2, s4
	s_delay_alu instid0(VALU_DEP_1) | instskip(NEXT) | instid1(VALU_DEP_1)
	v_sub_nc_u32_e32 v19, 0, v8
	v_ldexp_f64 v[28:29], |v[26:27]|, v19
	v_ldexp_f64 v[30:31], |v[6:7]|, v19
	s_delay_alu instid0(VALU_DEP_2) | instskip(NEXT) | instid1(VALU_DEP_1)
	v_mul_f64 v[28:29], v[28:29], v[28:29]
	v_fma_f64 v[28:29], v[30:31], v[30:31], v[28:29]
	s_delay_alu instid0(VALU_DEP_1) | instskip(SKIP_4) | instid1(VALU_DEP_1)
	v_rsq_f64_e32 v[30:31], v[28:29]
	v_cmp_eq_f64_e32 vcc_lo, 0, v[28:29]
	s_waitcnt_depctr 0xfff
	v_mul_f64 v[32:33], v[28:29], v[30:31]
	v_mul_f64 v[30:31], v[30:31], 0.5
	v_fma_f64 v[34:35], -v[30:31], v[32:33], 0.5
	s_delay_alu instid0(VALU_DEP_1) | instskip(SKIP_1) | instid1(VALU_DEP_2)
	v_fma_f64 v[32:33], v[32:33], v[34:35], v[32:33]
	v_fma_f64 v[30:31], v[30:31], v[34:35], v[30:31]
	v_fma_f64 v[34:35], -v[32:33], v[32:33], v[28:29]
	s_delay_alu instid0(VALU_DEP_1) | instskip(NEXT) | instid1(VALU_DEP_1)
	v_fma_f64 v[30:31], v[34:35], v[30:31], v[32:33]
	v_dual_cndmask_b32 v29, v31, v29 :: v_dual_cndmask_b32 v28, v30, v28
	s_delay_alu instid0(VALU_DEP_1) | instskip(NEXT) | instid1(VALU_DEP_1)
	v_ldexp_f64 v[28:29], v[28:29], v8
	v_cndmask_b32_e64 v6, 0, v28, s1
	s_delay_alu instid0(VALU_DEP_2) | instskip(NEXT) | instid1(VALU_DEP_2)
	v_cndmask_b32_e64 v52, 0x7ff80000, v29, s1
	v_cndmask_b32_e64 v7, v6, 0, s4
	s_delay_alu instid0(VALU_DEP_2) | instskip(NEXT) | instid1(VALU_DEP_1)
	v_cndmask_b32_e64 v8, v52, 0x7ff00000, s4
	v_frexp_mant_f64_e32 v[26:27], v[7:8]
	s_delay_alu instid0(VALU_DEP_1) | instskip(NEXT) | instid1(VALU_DEP_1)
	v_cmp_gt_f64_e64 s2, s[20:21], v[26:27]
	v_cndmask_b32_e64 v19, 0x3ff00000, 2.0, s2
	s_delay_alu instid0(VALU_DEP_1) | instskip(SKIP_1) | instid1(VALU_DEP_2)
	v_mul_f64 v[26:27], v[26:27], v[18:19]
	v_frexp_exp_i32_f64_e32 v19, v[7:8]
	v_add_f64 v[30:31], v[26:27], 1.0
	v_add_f64 v[36:37], v[26:27], -1.0
	s_delay_alu instid0(VALU_DEP_2) | instskip(SKIP_1) | instid1(VALU_DEP_1)
	v_rcp_f64_e32 v[32:33], v[30:31]
	v_add_f64 v[42:43], v[30:31], -1.0
	v_add_f64 v[26:27], v[26:27], -v[42:43]
	s_waitcnt_depctr 0xfff
	v_fma_f64 v[34:35], -v[30:31], v[32:33], 1.0
	s_delay_alu instid0(VALU_DEP_1) | instskip(NEXT) | instid1(VALU_DEP_1)
	v_fma_f64 v[32:33], v[34:35], v[32:33], v[32:33]
	v_fma_f64 v[34:35], -v[30:31], v[32:33], 1.0
	s_delay_alu instid0(VALU_DEP_1) | instskip(SKIP_1) | instid1(VALU_DEP_2)
	v_fma_f64 v[32:33], v[34:35], v[32:33], v[32:33]
	v_max_f64 v[34:35], |v[12:13]|, |v[12:13]|
	v_mul_f64 v[38:39], v[36:37], v[32:33]
	s_delay_alu instid0(VALU_DEP_2) | instskip(SKIP_1) | instid1(VALU_DEP_3)
	v_max_f64 v[46:47], v[40:41], v[34:35]
	v_min_f64 v[34:35], v[40:41], v[34:35]
	v_mul_f64 v[44:45], v[30:31], v[38:39]
	s_delay_alu instid0(VALU_DEP_2) | instskip(NEXT) | instid1(VALU_DEP_2)
	v_div_scale_f64 v[40:41], null, v[46:47], v[46:47], v[34:35]
	v_fma_f64 v[30:31], v[38:39], v[30:31], -v[44:45]
	s_delay_alu instid0(VALU_DEP_1) | instskip(NEXT) | instid1(VALU_DEP_3)
	v_fma_f64 v[26:27], v[38:39], v[26:27], v[30:31]
	v_rcp_f64_e32 v[30:31], v[40:41]
	s_delay_alu instid0(VALU_DEP_1) | instskip(SKIP_4) | instid1(VALU_DEP_3)
	v_add_f64 v[42:43], v[44:45], v[26:27]
	s_waitcnt_depctr 0xfff
	v_fma_f64 v[48:49], -v[40:41], v[30:31], 1.0
	v_add_f64 v[50:51], v[36:37], -v[42:43]
	v_add_f64 v[44:45], v[42:43], -v[44:45]
	v_fma_f64 v[30:31], v[30:31], v[48:49], v[30:31]
	s_delay_alu instid0(VALU_DEP_3) | instskip(NEXT) | instid1(VALU_DEP_3)
	v_add_f64 v[36:37], v[36:37], -v[50:51]
	v_add_f64 v[26:27], v[44:45], -v[26:27]
	s_delay_alu instid0(VALU_DEP_3) | instskip(NEXT) | instid1(VALU_DEP_3)
	v_fma_f64 v[48:49], -v[40:41], v[30:31], 1.0
	v_add_f64 v[36:37], v[36:37], -v[42:43]
	v_div_scale_f64 v[42:43], vcc_lo, v[34:35], v[46:47], v[34:35]
	s_delay_alu instid0(VALU_DEP_3) | instskip(NEXT) | instid1(VALU_DEP_3)
	v_fma_f64 v[30:31], v[30:31], v[48:49], v[30:31]
	v_add_f64 v[26:27], v[26:27], v[36:37]
	s_delay_alu instid0(VALU_DEP_2) | instskip(NEXT) | instid1(VALU_DEP_2)
	v_mul_f64 v[36:37], v[42:43], v[30:31]
	v_add_f64 v[26:27], v[50:51], v[26:27]
	s_delay_alu instid0(VALU_DEP_2) | instskip(NEXT) | instid1(VALU_DEP_2)
	v_fma_f64 v[40:41], -v[40:41], v[36:37], v[42:43]
	v_mul_f64 v[26:27], v[32:33], v[26:27]
	s_delay_alu instid0(VALU_DEP_2) | instskip(SKIP_2) | instid1(VALU_DEP_4)
	v_div_fmas_f64 v[30:31], v[40:41], v[30:31], v[36:37]
	v_subrev_co_ci_u32_e64 v19, vcc_lo, 0, v19, s2
	v_cmp_class_f64_e64 s2, v[10:11], 0x204
	v_add_f64 v[32:33], v[38:39], v[26:27]
	s_delay_alu instid0(VALU_DEP_4) | instskip(NEXT) | instid1(VALU_DEP_2)
	v_div_fixup_f64 v[30:31], v[30:31], v[46:47], v[34:35]
	v_mul_f64 v[34:35], v[32:33], v[32:33]
	s_delay_alu instid0(VALU_DEP_2) | instskip(NEXT) | instid1(VALU_DEP_2)
	v_mul_f64 v[36:37], v[30:31], v[30:31]
	v_fma_f64 v[40:41], v[34:35], s[24:25], s[22:23]
	v_mul_f64 v[44:45], v[32:33], v[34:35]
	s_delay_alu instid0(VALU_DEP_3) | instskip(NEXT) | instid1(VALU_DEP_3)
	v_fma_f64 v[42:43], v[36:37], s[42:43], s[40:41]
	v_fma_f64 v[40:41], v[34:35], v[40:41], s[26:27]
	s_delay_alu instid0(VALU_DEP_2) | instskip(NEXT) | instid1(VALU_DEP_2)
	v_fma_f64 v[42:43], v[36:37], v[42:43], s[44:45]
	v_fma_f64 v[40:41], v[34:35], v[40:41], s[28:29]
	s_delay_alu instid0(VALU_DEP_2) | instskip(NEXT) | instid1(VALU_DEP_2)
	;; [unrolled: 3-line block ×4, first 2 shown]
	v_fma_f64 v[42:43], v[36:37], v[42:43], s[50:51]
	v_fma_f64 v[34:35], v[34:35], v[40:41], s[90:91]
	s_delay_alu instid0(VALU_DEP_2) | instskip(SKIP_2) | instid1(VALU_DEP_4)
	v_fma_f64 v[40:41], v[36:37], v[42:43], s[52:53]
	v_ldexp_f64 v[42:43], v[32:33], 1
	v_add_f64 v[32:33], v[32:33], -v[38:39]
	v_mul_f64 v[34:35], v[44:45], v[34:35]
	v_cvt_f64_i32_e32 v[44:45], v19
	v_ashrrev_i32_e32 v19, 31, v11
	v_fma_f64 v[40:41], v[36:37], v[40:41], s[54:55]
	v_add_f64 v[26:27], v[26:27], -v[32:33]
	v_add_f64 v[38:39], v[42:43], v[34:35]
	v_mul_f64 v[46:47], v[44:45], s[36:37]
	s_delay_alu instid0(VALU_DEP_4) | instskip(NEXT) | instid1(VALU_DEP_4)
	v_fma_f64 v[40:41], v[36:37], v[40:41], s[56:57]
	v_ldexp_f64 v[26:27], v[26:27], 1
	s_delay_alu instid0(VALU_DEP_4) | instskip(NEXT) | instid1(VALU_DEP_4)
	v_add_f64 v[32:33], v[38:39], -v[42:43]
	v_fma_f64 v[42:43], v[44:45], s[36:37], -v[46:47]
	s_delay_alu instid0(VALU_DEP_4) | instskip(NEXT) | instid1(VALU_DEP_3)
	v_fma_f64 v[40:41], v[36:37], v[40:41], s[58:59]
	v_add_f64 v[32:33], v[34:35], -v[32:33]
	s_delay_alu instid0(VALU_DEP_2) | instskip(NEXT) | instid1(VALU_DEP_4)
	v_fma_f64 v[34:35], v[36:37], v[40:41], s[60:61]
	v_fma_f64 v[40:41], v[44:45], s[38:39], v[42:43]
	s_delay_alu instid0(VALU_DEP_3) | instskip(NEXT) | instid1(VALU_DEP_3)
	v_add_f64 v[26:27], v[26:27], v[32:33]
	v_fma_f64 v[32:33], v[36:37], v[34:35], s[62:63]
	s_delay_alu instid0(VALU_DEP_3) | instskip(NEXT) | instid1(VALU_DEP_3)
	v_add_f64 v[34:35], v[46:47], v[40:41]
	v_add_f64 v[42:43], v[38:39], v[26:27]
	s_delay_alu instid0(VALU_DEP_3) | instskip(NEXT) | instid1(VALU_DEP_3)
	v_fma_f64 v[32:33], v[36:37], v[32:33], s[64:65]
	v_add_f64 v[46:47], v[34:35], -v[46:47]
	s_delay_alu instid0(VALU_DEP_3) | instskip(SKIP_1) | instid1(VALU_DEP_4)
	v_add_f64 v[44:45], v[34:35], v[42:43]
	v_add_f64 v[38:39], v[42:43], -v[38:39]
	v_fma_f64 v[32:33], v[36:37], v[32:33], s[66:67]
	s_delay_alu instid0(VALU_DEP_4) | instskip(NEXT) | instid1(VALU_DEP_4)
	v_add_f64 v[40:41], v[40:41], -v[46:47]
	v_add_f64 v[48:49], v[44:45], -v[34:35]
	s_delay_alu instid0(VALU_DEP_4) | instskip(NEXT) | instid1(VALU_DEP_4)
	v_add_f64 v[26:27], v[26:27], -v[38:39]
	v_fma_f64 v[32:33], v[36:37], v[32:33], s[68:69]
	s_delay_alu instid0(VALU_DEP_3) | instskip(SKIP_1) | instid1(VALU_DEP_4)
	v_add_f64 v[50:51], v[44:45], -v[48:49]
	v_add_f64 v[38:39], v[42:43], -v[48:49]
	v_add_f64 v[42:43], v[40:41], v[26:27]
	s_delay_alu instid0(VALU_DEP_4) | instskip(NEXT) | instid1(VALU_DEP_4)
	v_fma_f64 v[32:33], v[36:37], v[32:33], s[70:71]
	v_add_f64 v[34:35], v[34:35], -v[50:51]
	s_delay_alu instid0(VALU_DEP_2) | instskip(NEXT) | instid1(VALU_DEP_2)
	v_fma_f64 v[32:33], v[36:37], v[32:33], s[72:73]
	v_add_f64 v[34:35], v[38:39], v[34:35]
	v_add_f64 v[38:39], v[42:43], -v[40:41]
	s_delay_alu instid0(VALU_DEP_3) | instskip(NEXT) | instid1(VALU_DEP_3)
	v_fma_f64 v[32:33], v[36:37], v[32:33], s[74:75]
	v_add_f64 v[34:35], v[42:43], v[34:35]
	s_delay_alu instid0(VALU_DEP_3) | instskip(SKIP_1) | instid1(VALU_DEP_4)
	v_add_f64 v[42:43], v[42:43], -v[38:39]
	v_add_f64 v[26:27], v[26:27], -v[38:39]
	v_fma_f64 v[32:33], v[36:37], v[32:33], s[76:77]
	s_delay_alu instid0(VALU_DEP_4) | instskip(NEXT) | instid1(VALU_DEP_4)
	v_add_f64 v[46:47], v[44:45], v[34:35]
	v_add_f64 v[38:39], v[40:41], -v[42:43]
	s_delay_alu instid0(VALU_DEP_3) | instskip(NEXT) | instid1(VALU_DEP_3)
	v_fma_f64 v[32:33], v[36:37], v[32:33], s[78:79]
	v_add_f64 v[40:41], v[46:47], -v[44:45]
	s_delay_alu instid0(VALU_DEP_3) | instskip(NEXT) | instid1(VALU_DEP_3)
	v_add_f64 v[26:27], v[26:27], v[38:39]
	v_mul_f64 v[32:33], v[36:37], v[32:33]
	s_delay_alu instid0(VALU_DEP_3) | instskip(NEXT) | instid1(VALU_DEP_2)
	v_add_f64 v[34:35], v[34:35], -v[40:41]
	v_fma_f64 v[30:31], v[30:31], v[32:33], v[30:31]
	s_delay_alu instid0(VALU_DEP_2) | instskip(NEXT) | instid1(VALU_DEP_2)
	v_add_f64 v[26:27], v[26:27], v[34:35]
	v_add_f64 v[32:33], -v[30:31], s[80:81]
	s_delay_alu instid0(VALU_DEP_2) | instskip(SKIP_1) | instid1(VALU_DEP_1)
	v_add_f64 v[26:27], v[46:47], v[26:27]
	v_and_b32_e32 v29, 0x7fffffff, v29
	v_cmp_eq_f64_e32 vcc_lo, 0x7ff00000, v[28:29]
	s_delay_alu instid0(VALU_DEP_4) | instskip(SKIP_2) | instid1(VALU_DEP_2)
	v_cndmask_b32_e64 v29, v31, v33, s0
	v_cndmask_b32_e64 v28, v30, v32, s0
	v_cmp_eq_f64_e64 s0, 0, v[12:13]
	v_add_f64 v[30:31], -v[28:29], s[10:11]
	s_and_b32 vcc_lo, s1, vcc_lo
	v_cmp_class_f64_e64 s1, v[12:13], 0x204
	v_dual_cndmask_b32 v26, v26, v6 :: v_dual_cndmask_b32 v27, v27, v52
	v_and_b32_e32 v6, 0x54442d18, v19
	v_cmp_gt_i32_e32 vcc_lo, 0, v11
	v_and_b32_e32 v11, 0x400921fb, v19
	s_delay_alu instid0(VALU_DEP_4) | instskip(SKIP_3) | instid1(VALU_DEP_3)
	v_add_f64 v[26:27], v[26:27], 1.0
	v_cndmask_b32_e32 v28, v28, v30, vcc_lo
	v_cndmask_b32_e32 v32, 0x54442d18, v54, vcc_lo
	;; [unrolled: 1-line block ×3, first 2 shown]
	v_cndmask_b32_e64 v28, v28, v6, s0
	v_cndmask_b32_e32 v19, v29, v31, vcc_lo
	v_cmp_ngt_f64_e32 vcc_lo, 0, v[7:8]
	s_delay_alu instid0(VALU_DEP_4) | instskip(NEXT) | instid1(VALU_DEP_3)
	v_bfi_b32 v10, 0x7fffffff, v10, v13
	v_cndmask_b32_e64 v6, v19, v11, s0
	v_cmp_nge_f64_e64 s0, 0, v[7:8]
	v_cndmask_b32_e64 v27, v27, 0x7ff00000, s4
	v_cndmask_b32_e64 v11, v26, 0, s4
	s_delay_alu instid0(VALU_DEP_2) | instskip(SKIP_2) | instid1(VALU_DEP_3)
	v_cndmask_b32_e32 v19, 0x7ff80000, v27, vcc_lo
	s_and_b32 vcc_lo, s2, s1
	v_dual_cndmask_b32 v26, v28, v32 :: v_dual_cndmask_b32 v27, v6, v10
	v_cndmask_b32_e64 v6, 0, v11, s0
	v_cmp_neq_f64_e64 s0, 0, v[7:8]
	s_delay_alu instid0(VALU_DEP_1)
	v_cndmask_b32_e64 v7, 0xfff00000, v19, s0
.LBB186_223:                            ;   in Loop: Header=BB186_162 Depth=1
	s_or_b32 exec_lo, exec_lo, s3
.LBB186_224:                            ;   in Loop: Header=BB186_162 Depth=1
	s_and_not1_saveexec_b32 s0, s94
	s_cbranch_execz .LBB186_230
; %bb.225:                              ;   in Loop: Header=BB186_162 Depth=1
	v_cmp_ngt_f64_e64 s1, 0x20000000, |v[10:11]|
	v_cmp_ngt_f64_e64 s2, 0x20000000, |v[12:13]|
                                        ; implicit-def: $vgpr7_vgpr8
	s_delay_alu instid0(VALU_DEP_1) | instskip(NEXT) | instid1(SALU_CYCLE_1)
	s_or_b32 s1, s1, s2
	s_and_saveexec_b32 s2, s1
	s_delay_alu instid0(SALU_CYCLE_1)
	s_xor_b32 s1, exec_lo, s2
; %bb.226:                              ;   in Loop: Header=BB186_162 Depth=1
	v_mul_f64 v[6:7], v[12:13], v[12:13]
	s_delay_alu instid0(VALU_DEP_1)
	v_fma_f64 v[7:8], v[10:11], v[10:11], v[6:7]
; %bb.227:                              ;   in Loop: Header=BB186_162 Depth=1
	s_and_not1_saveexec_b32 s1, s1
; %bb.228:                              ;   in Loop: Header=BB186_162 Depth=1
	v_mul_f64 v[6:7], v[12:13], 4.0
	v_mul_f64 v[10:11], v[10:11], 4.0
	s_delay_alu instid0(VALU_DEP_2) | instskip(NEXT) | instid1(VALU_DEP_1)
	v_mul_f64 v[6:7], v[6:7], v[6:7]
	v_fma_f64 v[6:7], v[10:11], v[10:11], v[6:7]
	s_delay_alu instid0(VALU_DEP_1)
	v_ldexp_f64 v[7:8], v[6:7], -4
; %bb.229:                              ;   in Loop: Header=BB186_162 Depth=1
	s_or_b32 exec_lo, exec_lo, s1
	s_delay_alu instid0(VALU_DEP_1) | instskip(SKIP_2) | instid1(VALU_DEP_2)
	v_frexp_mant_f64_e32 v[10:11], v[7:8]
	s_mov_b32 s91, s21
	v_frexp_exp_i32_f64_e32 v6, v[7:8]
	v_cmp_gt_f64_e32 vcc_lo, s[20:21], v[10:11]
	v_cndmask_b32_e64 v19, 0x3ff00000, 2.0, vcc_lo
	s_delay_alu instid0(VALU_DEP_3) | instskip(SKIP_1) | instid1(VALU_DEP_3)
	v_subrev_co_ci_u32_e32 v6, vcc_lo, 0, v6, vcc_lo
	v_cmp_class_f64_e64 vcc_lo, v[7:8], 0x204
	v_mul_f64 v[10:11], v[10:11], v[18:19]
	s_delay_alu instid0(VALU_DEP_1) | instskip(SKIP_1) | instid1(VALU_DEP_2)
	v_add_f64 v[26:27], v[10:11], 1.0
	v_add_f64 v[32:33], v[10:11], -1.0
	v_rcp_f64_e32 v[28:29], v[26:27]
	v_add_f64 v[34:35], v[26:27], -1.0
	s_delay_alu instid0(VALU_DEP_1) | instskip(SKIP_2) | instid1(VALU_DEP_1)
	v_add_f64 v[10:11], v[10:11], -v[34:35]
	s_waitcnt_depctr 0xfff
	v_fma_f64 v[30:31], -v[26:27], v[28:29], 1.0
	v_fma_f64 v[28:29], v[30:31], v[28:29], v[28:29]
	s_delay_alu instid0(VALU_DEP_1) | instskip(NEXT) | instid1(VALU_DEP_1)
	v_fma_f64 v[30:31], -v[26:27], v[28:29], 1.0
	v_fma_f64 v[28:29], v[30:31], v[28:29], v[28:29]
	s_delay_alu instid0(VALU_DEP_1) | instskip(NEXT) | instid1(VALU_DEP_1)
	v_mul_f64 v[30:31], v[32:33], v[28:29]
	v_mul_f64 v[36:37], v[26:27], v[30:31]
	s_delay_alu instid0(VALU_DEP_1) | instskip(NEXT) | instid1(VALU_DEP_1)
	v_fma_f64 v[26:27], v[30:31], v[26:27], -v[36:37]
	v_fma_f64 v[10:11], v[30:31], v[10:11], v[26:27]
	s_delay_alu instid0(VALU_DEP_1) | instskip(NEXT) | instid1(VALU_DEP_1)
	v_add_f64 v[26:27], v[36:37], v[10:11]
	v_add_f64 v[34:35], v[32:33], -v[26:27]
	v_add_f64 v[36:37], v[26:27], -v[36:37]
	s_delay_alu instid0(VALU_DEP_2) | instskip(NEXT) | instid1(VALU_DEP_2)
	v_add_f64 v[32:33], v[32:33], -v[34:35]
	v_add_f64 v[10:11], v[36:37], -v[10:11]
	s_delay_alu instid0(VALU_DEP_2) | instskip(NEXT) | instid1(VALU_DEP_1)
	v_add_f64 v[26:27], v[32:33], -v[26:27]
	v_add_f64 v[10:11], v[10:11], v[26:27]
	s_delay_alu instid0(VALU_DEP_1) | instskip(NEXT) | instid1(VALU_DEP_1)
	v_add_f64 v[10:11], v[34:35], v[10:11]
	v_mul_f64 v[10:11], v[28:29], v[10:11]
	s_delay_alu instid0(VALU_DEP_1) | instskip(NEXT) | instid1(VALU_DEP_1)
	v_add_f64 v[26:27], v[30:31], v[10:11]
	v_mul_f64 v[28:29], v[26:27], v[26:27]
	s_delay_alu instid0(VALU_DEP_1) | instskip(SKIP_1) | instid1(VALU_DEP_2)
	v_fma_f64 v[32:33], v[28:29], s[24:25], s[22:23]
	v_mul_f64 v[34:35], v[26:27], v[28:29]
	v_fma_f64 v[32:33], v[28:29], v[32:33], s[26:27]
	s_delay_alu instid0(VALU_DEP_1) | instskip(NEXT) | instid1(VALU_DEP_1)
	v_fma_f64 v[32:33], v[28:29], v[32:33], s[28:29]
	v_fma_f64 v[32:33], v[28:29], v[32:33], s[30:31]
	s_delay_alu instid0(VALU_DEP_1) | instskip(NEXT) | instid1(VALU_DEP_1)
	v_fma_f64 v[32:33], v[28:29], v[32:33], s[34:35]
	v_fma_f64 v[28:29], v[28:29], v[32:33], s[90:91]
	v_ldexp_f64 v[32:33], v[26:27], 1
	v_add_f64 v[26:27], v[26:27], -v[30:31]
	s_delay_alu instid0(VALU_DEP_3) | instskip(SKIP_1) | instid1(VALU_DEP_3)
	v_mul_f64 v[28:29], v[34:35], v[28:29]
	v_cvt_f64_i32_e32 v[34:35], v6
	v_add_f64 v[10:11], v[10:11], -v[26:27]
	s_delay_alu instid0(VALU_DEP_3) | instskip(NEXT) | instid1(VALU_DEP_3)
	v_add_f64 v[30:31], v[32:33], v[28:29]
	v_mul_f64 v[36:37], v[34:35], s[36:37]
	s_delay_alu instid0(VALU_DEP_3) | instskip(NEXT) | instid1(VALU_DEP_3)
	v_ldexp_f64 v[10:11], v[10:11], 1
	v_add_f64 v[26:27], v[30:31], -v[32:33]
	s_delay_alu instid0(VALU_DEP_3) | instskip(NEXT) | instid1(VALU_DEP_2)
	v_fma_f64 v[32:33], v[34:35], s[36:37], -v[36:37]
	v_add_f64 v[26:27], v[28:29], -v[26:27]
	s_delay_alu instid0(VALU_DEP_2) | instskip(NEXT) | instid1(VALU_DEP_2)
	v_fma_f64 v[28:29], v[34:35], s[38:39], v[32:33]
	v_add_f64 v[10:11], v[10:11], v[26:27]
	s_delay_alu instid0(VALU_DEP_2) | instskip(NEXT) | instid1(VALU_DEP_2)
	v_add_f64 v[26:27], v[36:37], v[28:29]
	v_add_f64 v[32:33], v[30:31], v[10:11]
	s_delay_alu instid0(VALU_DEP_2) | instskip(NEXT) | instid1(VALU_DEP_2)
	v_add_f64 v[36:37], v[26:27], -v[36:37]
	v_add_f64 v[34:35], v[26:27], v[32:33]
	v_add_f64 v[30:31], v[32:33], -v[30:31]
	s_delay_alu instid0(VALU_DEP_3) | instskip(NEXT) | instid1(VALU_DEP_3)
	v_add_f64 v[28:29], v[28:29], -v[36:37]
	v_add_f64 v[38:39], v[34:35], -v[26:27]
	s_delay_alu instid0(VALU_DEP_3) | instskip(NEXT) | instid1(VALU_DEP_2)
	v_add_f64 v[10:11], v[10:11], -v[30:31]
	v_add_f64 v[40:41], v[34:35], -v[38:39]
	;; [unrolled: 1-line block ×3, first 2 shown]
	s_delay_alu instid0(VALU_DEP_3) | instskip(NEXT) | instid1(VALU_DEP_3)
	v_add_f64 v[32:33], v[28:29], v[10:11]
	v_add_f64 v[26:27], v[26:27], -v[40:41]
	s_delay_alu instid0(VALU_DEP_1) | instskip(NEXT) | instid1(VALU_DEP_3)
	v_add_f64 v[26:27], v[30:31], v[26:27]
	v_add_f64 v[30:31], v[32:33], -v[28:29]
	s_delay_alu instid0(VALU_DEP_2) | instskip(NEXT) | instid1(VALU_DEP_2)
	v_add_f64 v[26:27], v[32:33], v[26:27]
	v_add_f64 v[32:33], v[32:33], -v[30:31]
	v_add_f64 v[10:11], v[10:11], -v[30:31]
	s_delay_alu instid0(VALU_DEP_3) | instskip(NEXT) | instid1(VALU_DEP_3)
	v_add_f64 v[36:37], v[34:35], v[26:27]
	v_add_f64 v[28:29], v[28:29], -v[32:33]
	s_delay_alu instid0(VALU_DEP_2) | instskip(NEXT) | instid1(VALU_DEP_2)
	v_add_f64 v[30:31], v[36:37], -v[34:35]
	v_add_f64 v[10:11], v[10:11], v[28:29]
	s_delay_alu instid0(VALU_DEP_2) | instskip(NEXT) | instid1(VALU_DEP_1)
	v_add_f64 v[26:27], v[26:27], -v[30:31]
	v_add_f64 v[10:11], v[10:11], v[26:27]
	s_delay_alu instid0(VALU_DEP_1) | instskip(NEXT) | instid1(VALU_DEP_1)
	v_add_f64 v[10:11], v[36:37], v[10:11]
	v_cndmask_b32_e32 v6, v10, v7, vcc_lo
	s_delay_alu instid0(VALU_DEP_2) | instskip(SKIP_1) | instid1(VALU_DEP_2)
	v_cndmask_b32_e32 v10, v11, v8, vcc_lo
	v_cmp_ngt_f64_e32 vcc_lo, 0, v[7:8]
	v_cndmask_b32_e32 v10, 0x7ff80000, v10, vcc_lo
	v_cmp_nge_f64_e32 vcc_lo, 0, v[7:8]
	v_mov_b32_e32 v26, 0
	v_dual_mov_b32 v27, 0x7ff80000 :: v_dual_cndmask_b32 v6, 0, v6
	v_cmp_neq_f64_e32 vcc_lo, 0, v[7:8]
	v_cndmask_b32_e32 v7, 0xfff00000, v10, vcc_lo
.LBB186_230:                            ;   in Loop: Header=BB186_162 Depth=1
	s_or_b32 exec_lo, exec_lo, s0
                                        ; implicit-def: $vgpr10_vgpr11
                                        ; implicit-def: $vgpr28_vgpr29
	s_delay_alu instid0(SALU_CYCLE_1)
	s_mov_b32 s0, exec_lo
	s_waitcnt vmcnt(0)
	v_cmpx_o_f64_e32 v[14:15], v[16:17]
	s_xor_b32 s94, exec_lo, s0
	s_cbranch_execz .LBB186_258
; %bb.231:                              ;   in Loop: Header=BB186_162 Depth=1
	v_cmp_lt_f64_e64 s0, |v[14:15]|, |v[16:17]|
	v_dual_mov_b32 v19, v16 :: v_dual_and_b32 v8, 0x7fffffff, v15
	v_and_b32_e32 v12, 0x7fffffff, v17
                                        ; implicit-def: $vgpr10_vgpr11
                                        ; implicit-def: $vgpr28_vgpr29
	s_mov_b32 s1, exec_lo
	s_delay_alu instid0(VALU_DEP_1) | instskip(NEXT) | instid1(VALU_DEP_3)
	v_cndmask_b32_e64 v33, v12, v8, s0
	v_cndmask_b32_e64 v32, v19, v14, s0
	s_delay_alu instid0(VALU_DEP_1)
	v_cmpx_nlt_f64_e32 s[12:13], v[32:33]
	s_xor_b32 s95, exec_lo, s1
	s_cbranch_execz .LBB186_255
; %bb.232:                              ;   in Loop: Header=BB186_162 Depth=1
	v_cndmask_b32_e64 v35, v8, v12, s0
	v_cndmask_b32_e64 v34, v14, v19, s0
                                        ; implicit-def: $vgpr10_vgpr11
                                        ; implicit-def: $vgpr28_vgpr29
	s_mov_b32 s1, exec_lo
	s_delay_alu instid0(VALU_DEP_1)
	v_cmpx_neq_f64_e32 1.0, v[34:35]
	s_xor_b32 s96, exec_lo, s1
	s_cbranch_execz .LBB186_248
; %bb.233:                              ;   in Loop: Header=BB186_162 Depth=1
	v_max_f64 v[10:11], v[32:33], v[32:33]
	v_max_f64 v[28:29], v[34:35], v[34:35]
	s_delay_alu instid0(VALU_DEP_1) | instskip(SKIP_1) | instid1(VALU_DEP_2)
	v_min_f64 v[30:31], v[28:29], v[10:11]
	v_max_f64 v[10:11], v[28:29], v[10:11]
                                        ; implicit-def: $vgpr28_vgpr29
	v_cmp_ngt_f64_e32 vcc_lo, s[14:15], v[30:31]
	s_delay_alu instid0(VALU_DEP_2) | instskip(NEXT) | instid1(VALU_DEP_1)
	v_cmp_nlt_f64_e64 s1, s[16:17], v[10:11]
                                        ; implicit-def: $vgpr10_vgpr11
	s_and_b32 s1, s1, vcc_lo
	s_delay_alu instid0(SALU_CYCLE_1) | instskip(NEXT) | instid1(SALU_CYCLE_1)
	s_and_saveexec_b32 s2, s1
	s_xor_b32 s97, exec_lo, s2
	s_cbranch_execz .LBB186_245
; %bb.234:                              ;   in Loop: Header=BB186_162 Depth=1
                                        ; implicit-def: $vgpr10_vgpr11
                                        ; implicit-def: $vgpr28_vgpr29
	s_mov_b32 s1, exec_lo
	v_cmpx_le_f64_e32 1.0, v[34:35]
	s_xor_b32 s2, exec_lo, s1
	s_cbranch_execz .LBB186_236
; %bb.235:                              ;   in Loop: Header=BB186_162 Depth=1
	v_add_f64 v[10:11], v[34:35], -1.0
	v_add_f64 v[28:29], v[34:35], 1.0
	s_mov_b32 s91, s21
	s_mov_b32 s10, s80
	v_cmp_gt_i32_e64 s1, 0, v15
	v_cmp_class_f64_e64 s4, v[14:15], 0x204
	v_cmp_class_f64_e64 s3, v[16:17], 0x204
	s_delay_alu instid0(VALU_DEP_3) | instskip(SKIP_1) | instid1(VALU_DEP_1)
	v_cndmask_b32_e64 v19, 0x54442d18, v54, s1
	v_mul_f64 v[10:11], v[10:11], v[28:29]
	v_fma_f64 v[11:12], v[32:33], v[32:33], v[10:11]
	s_delay_alu instid0(VALU_DEP_1) | instskip(NEXT) | instid1(VALU_DEP_1)
	v_add_f64 v[28:29], v[11:12], 1.0
	v_frexp_mant_f64_e32 v[30:31], v[28:29]
	v_frexp_exp_i32_f64_e32 v8, v[28:29]
	v_add_f64 v[32:33], v[28:29], -1.0
	s_delay_alu instid0(VALU_DEP_3) | instskip(NEXT) | instid1(VALU_DEP_2)
	v_cmp_gt_f64_e32 vcc_lo, s[20:21], v[30:31]
	v_add_f64 v[30:31], v[32:33], -v[28:29]
	v_add_f64 v[32:33], v[11:12], -v[32:33]
	v_subrev_co_ci_u32_e32 v8, vcc_lo, 0, v8, vcc_lo
	s_delay_alu instid0(VALU_DEP_3) | instskip(NEXT) | instid1(VALU_DEP_2)
	v_add_f64 v[30:31], v[30:31], 1.0
	v_sub_nc_u32_e32 v10, 0, v8
	s_delay_alu instid0(VALU_DEP_1) | instskip(NEXT) | instid1(VALU_DEP_3)
	v_ldexp_f64 v[28:29], v[28:29], v10
	v_add_f64 v[30:31], v[32:33], v[30:31]
	s_delay_alu instid0(VALU_DEP_2) | instskip(SKIP_1) | instid1(VALU_DEP_3)
	v_add_f64 v[34:35], v[28:29], 1.0
	v_add_f64 v[40:41], v[28:29], -1.0
	v_ldexp_f64 v[30:31], v[30:31], v10
	s_delay_alu instid0(VALU_DEP_3) | instskip(NEXT) | instid1(VALU_DEP_3)
	v_add_f64 v[32:33], v[34:35], -1.0
	v_add_f64 v[42:43], v[40:41], 1.0
	s_delay_alu instid0(VALU_DEP_2) | instskip(NEXT) | instid1(VALU_DEP_2)
	v_add_f64 v[32:33], v[28:29], -v[32:33]
	v_add_f64 v[28:29], v[28:29], -v[42:43]
	s_delay_alu instid0(VALU_DEP_2) | instskip(NEXT) | instid1(VALU_DEP_2)
	v_add_f64 v[32:33], v[30:31], v[32:33]
	v_add_f64 v[28:29], v[30:31], v[28:29]
	s_delay_alu instid0(VALU_DEP_2) | instskip(NEXT) | instid1(VALU_DEP_2)
	v_add_f64 v[36:37], v[34:35], v[32:33]
	v_add_f64 v[42:43], v[40:41], v[28:29]
	s_delay_alu instid0(VALU_DEP_2) | instskip(SKIP_1) | instid1(VALU_DEP_2)
	v_rcp_f64_e32 v[38:39], v[36:37]
	v_add_f64 v[34:35], v[36:37], -v[34:35]
	v_add_f64 v[40:41], v[42:43], -v[40:41]
	s_delay_alu instid0(VALU_DEP_2) | instskip(SKIP_3) | instid1(VALU_DEP_2)
	v_add_f64 v[32:33], v[32:33], -v[34:35]
	s_waitcnt_depctr 0xfff
	v_fma_f64 v[44:45], -v[36:37], v[38:39], 1.0
	v_add_f64 v[28:29], v[28:29], -v[40:41]
	v_fma_f64 v[38:39], v[44:45], v[38:39], v[38:39]
	s_delay_alu instid0(VALU_DEP_1) | instskip(NEXT) | instid1(VALU_DEP_1)
	v_fma_f64 v[30:31], -v[36:37], v[38:39], 1.0
	v_fma_f64 v[30:31], v[30:31], v[38:39], v[38:39]
	s_delay_alu instid0(VALU_DEP_1) | instskip(NEXT) | instid1(VALU_DEP_1)
	v_mul_f64 v[38:39], v[42:43], v[30:31]
	v_mul_f64 v[44:45], v[36:37], v[38:39]
	s_delay_alu instid0(VALU_DEP_1) | instskip(NEXT) | instid1(VALU_DEP_1)
	v_fma_f64 v[34:35], v[38:39], v[36:37], -v[44:45]
	v_fma_f64 v[34:35], v[38:39], v[32:33], v[34:35]
	s_delay_alu instid0(VALU_DEP_1) | instskip(NEXT) | instid1(VALU_DEP_1)
	v_add_f64 v[46:47], v[44:45], v[34:35]
	v_add_f64 v[48:49], v[42:43], -v[46:47]
	v_add_f64 v[40:41], v[46:47], -v[44:45]
	v_max_f64 v[44:45], |v[16:17]|, |v[16:17]|
	s_delay_alu instid0(VALU_DEP_3) | instskip(NEXT) | instid1(VALU_DEP_3)
	v_add_f64 v[42:43], v[42:43], -v[48:49]
	v_add_f64 v[34:35], v[40:41], -v[34:35]
	s_delay_alu instid0(VALU_DEP_2) | instskip(SKIP_2) | instid1(VALU_DEP_1)
	v_add_f64 v[42:43], v[42:43], -v[46:47]
	v_max_f64 v[46:47], |v[14:15]|, |v[14:15]|
	v_cndmask_b32_e64 v14, 0x3fe921fb, v55, s1
	v_bfi_b32 v14, 0x7fffffff, v14, v17
	s_delay_alu instid0(VALU_DEP_4) | instskip(NEXT) | instid1(VALU_DEP_4)
	v_add_f64 v[28:29], v[28:29], v[42:43]
	v_max_f64 v[50:51], v[46:47], v[44:45]
	v_min_f64 v[44:45], v[46:47], v[44:45]
	s_delay_alu instid0(VALU_DEP_3) | instskip(NEXT) | instid1(VALU_DEP_1)
	v_add_f64 v[28:29], v[34:35], v[28:29]
	v_add_f64 v[34:35], v[48:49], v[28:29]
	s_delay_alu instid0(VALU_DEP_1) | instskip(SKIP_1) | instid1(VALU_DEP_2)
	v_mul_f64 v[40:41], v[30:31], v[34:35]
	v_add_f64 v[48:49], v[48:49], -v[34:35]
	v_mul_f64 v[42:43], v[36:37], v[40:41]
	s_delay_alu instid0(VALU_DEP_2) | instskip(NEXT) | instid1(VALU_DEP_2)
	v_add_f64 v[28:29], v[28:29], v[48:49]
	v_fma_f64 v[36:37], v[40:41], v[36:37], -v[42:43]
	s_delay_alu instid0(VALU_DEP_1) | instskip(SKIP_1) | instid1(VALU_DEP_2)
	v_fma_f64 v[32:33], v[40:41], v[32:33], v[36:37]
	v_div_scale_f64 v[36:37], null, v[50:51], v[50:51], v[44:45]
	v_add_f64 v[46:47], v[42:43], v[32:33]
	s_delay_alu instid0(VALU_DEP_2) | instskip(NEXT) | instid1(VALU_DEP_1)
	v_rcp_f64_e32 v[52:53], v[36:37]
	v_add_f64 v[56:57], v[34:35], -v[46:47]
	v_add_f64 v[42:43], v[46:47], -v[42:43]
	s_waitcnt_depctr 0xfff
	v_fma_f64 v[58:59], -v[36:37], v[52:53], 1.0
	v_add_f64 v[34:35], v[34:35], -v[56:57]
	v_add_f64 v[32:33], v[42:43], -v[32:33]
	s_delay_alu instid0(VALU_DEP_3) | instskip(NEXT) | instid1(VALU_DEP_3)
	v_fma_f64 v[52:53], v[52:53], v[58:59], v[52:53]
	v_add_f64 v[34:35], v[34:35], -v[46:47]
	s_delay_alu instid0(VALU_DEP_2) | instskip(NEXT) | instid1(VALU_DEP_2)
	v_fma_f64 v[46:47], -v[36:37], v[52:53], 1.0
	v_add_f64 v[28:29], v[28:29], v[34:35]
	v_div_scale_f64 v[34:35], vcc_lo, v[44:45], v[50:51], v[44:45]
	s_delay_alu instid0(VALU_DEP_3) | instskip(SKIP_1) | instid1(VALU_DEP_4)
	v_fma_f64 v[42:43], v[52:53], v[46:47], v[52:53]
	v_add_f64 v[46:47], v[38:39], v[40:41]
	v_add_f64 v[28:29], v[32:33], v[28:29]
	s_delay_alu instid0(VALU_DEP_3) | instskip(NEXT) | instid1(VALU_DEP_3)
	v_mul_f64 v[32:33], v[34:35], v[42:43]
	v_add_f64 v[38:39], v[46:47], -v[38:39]
	s_delay_alu instid0(VALU_DEP_3) | instskip(NEXT) | instid1(VALU_DEP_3)
	v_add_f64 v[28:29], v[56:57], v[28:29]
	v_fma_f64 v[34:35], -v[36:37], v[32:33], v[34:35]
	s_delay_alu instid0(VALU_DEP_3) | instskip(NEXT) | instid1(VALU_DEP_3)
	v_add_f64 v[36:37], v[40:41], -v[38:39]
	v_mul_f64 v[28:29], v[30:31], v[28:29]
	s_delay_alu instid0(VALU_DEP_3) | instskip(SKIP_1) | instid1(VALU_DEP_3)
	v_div_fmas_f64 v[30:31], v[34:35], v[42:43], v[32:33]
	v_cmp_eq_f64_e32 vcc_lo, 0x7ff00000, v[11:12]
	v_add_f64 v[28:29], v[36:37], v[28:29]
	s_delay_alu instid0(VALU_DEP_3) | instskip(NEXT) | instid1(VALU_DEP_2)
	v_div_fixup_f64 v[30:31], v[30:31], v[50:51], v[44:45]
	v_add_f64 v[32:33], v[46:47], v[28:29]
	s_delay_alu instid0(VALU_DEP_2) | instskip(NEXT) | instid1(VALU_DEP_2)
	v_mul_f64 v[34:35], v[30:31], v[30:31]
	v_mul_f64 v[36:37], v[32:33], v[32:33]
	s_delay_alu instid0(VALU_DEP_2) | instskip(NEXT) | instid1(VALU_DEP_2)
	v_fma_f64 v[38:39], v[34:35], s[42:43], s[40:41]
	v_fma_f64 v[40:41], v[36:37], s[24:25], s[22:23]
	v_mul_f64 v[42:43], v[32:33], v[36:37]
	s_delay_alu instid0(VALU_DEP_3) | instskip(NEXT) | instid1(VALU_DEP_3)
	v_fma_f64 v[38:39], v[34:35], v[38:39], s[44:45]
	v_fma_f64 v[40:41], v[36:37], v[40:41], s[26:27]
	s_delay_alu instid0(VALU_DEP_2) | instskip(NEXT) | instid1(VALU_DEP_2)
	v_fma_f64 v[38:39], v[34:35], v[38:39], s[46:47]
	v_fma_f64 v[40:41], v[36:37], v[40:41], s[28:29]
	s_delay_alu instid0(VALU_DEP_2) | instskip(NEXT) | instid1(VALU_DEP_2)
	;; [unrolled: 3-line block ×4, first 2 shown]
	v_fma_f64 v[38:39], v[34:35], v[38:39], s[52:53]
	v_fma_f64 v[36:37], v[36:37], v[40:41], s[90:91]
	v_ldexp_f64 v[40:41], v[32:33], 1
	v_add_f64 v[32:33], v[32:33], -v[46:47]
	s_delay_alu instid0(VALU_DEP_4) | instskip(NEXT) | instid1(VALU_DEP_4)
	v_fma_f64 v[38:39], v[34:35], v[38:39], s[54:55]
	v_mul_f64 v[36:37], v[42:43], v[36:37]
	v_cvt_f64_i32_e32 v[42:43], v8
	s_delay_alu instid0(VALU_DEP_4) | instskip(NEXT) | instid1(VALU_DEP_4)
	v_add_f64 v[28:29], v[28:29], -v[32:33]
	v_fma_f64 v[38:39], v[34:35], v[38:39], s[56:57]
	v_ashrrev_i32_e32 v8, 31, v15
	s_delay_alu instid0(VALU_DEP_1)
	v_and_b32_e32 v10, 0x54442d18, v8
	v_and_b32_e32 v8, 0x400921fb, v8
	v_add_f64 v[44:45], v[40:41], v[36:37]
	v_mul_f64 v[46:47], v[42:43], s[36:37]
	v_ldexp_f64 v[28:29], v[28:29], 1
	v_fma_f64 v[38:39], v[34:35], v[38:39], s[58:59]
	s_delay_alu instid0(VALU_DEP_4) | instskip(NEXT) | instid1(VALU_DEP_4)
	v_add_f64 v[32:33], v[44:45], -v[40:41]
	v_fma_f64 v[40:41], v[42:43], s[36:37], -v[46:47]
	s_delay_alu instid0(VALU_DEP_3) | instskip(NEXT) | instid1(VALU_DEP_3)
	v_fma_f64 v[38:39], v[34:35], v[38:39], s[60:61]
	v_add_f64 v[32:33], v[36:37], -v[32:33]
	s_delay_alu instid0(VALU_DEP_2) | instskip(NEXT) | instid1(VALU_DEP_4)
	v_fma_f64 v[36:37], v[34:35], v[38:39], s[62:63]
	v_fma_f64 v[38:39], v[42:43], s[38:39], v[40:41]
	s_delay_alu instid0(VALU_DEP_3) | instskip(NEXT) | instid1(VALU_DEP_3)
	v_add_f64 v[28:29], v[28:29], v[32:33]
	v_fma_f64 v[32:33], v[34:35], v[36:37], s[64:65]
	s_delay_alu instid0(VALU_DEP_3) | instskip(NEXT) | instid1(VALU_DEP_3)
	v_add_f64 v[36:37], v[46:47], v[38:39]
	v_add_f64 v[40:41], v[44:45], v[28:29]
	s_delay_alu instid0(VALU_DEP_3) | instskip(NEXT) | instid1(VALU_DEP_3)
	v_fma_f64 v[32:33], v[34:35], v[32:33], s[66:67]
	v_add_f64 v[46:47], v[36:37], -v[46:47]
	s_delay_alu instid0(VALU_DEP_3) | instskip(SKIP_1) | instid1(VALU_DEP_4)
	v_add_f64 v[42:43], v[36:37], v[40:41]
	v_add_f64 v[44:45], v[40:41], -v[44:45]
	v_fma_f64 v[32:33], v[34:35], v[32:33], s[68:69]
	s_delay_alu instid0(VALU_DEP_4) | instskip(NEXT) | instid1(VALU_DEP_4)
	v_add_f64 v[38:39], v[38:39], -v[46:47]
	v_add_f64 v[48:49], v[42:43], -v[36:37]
	s_delay_alu instid0(VALU_DEP_4) | instskip(NEXT) | instid1(VALU_DEP_4)
	v_add_f64 v[28:29], v[28:29], -v[44:45]
	v_fma_f64 v[32:33], v[34:35], v[32:33], s[70:71]
	s_delay_alu instid0(VALU_DEP_3) | instskip(SKIP_1) | instid1(VALU_DEP_4)
	v_add_f64 v[50:51], v[42:43], -v[48:49]
	v_add_f64 v[40:41], v[40:41], -v[48:49]
	v_add_f64 v[44:45], v[38:39], v[28:29]
	s_delay_alu instid0(VALU_DEP_4) | instskip(NEXT) | instid1(VALU_DEP_4)
	v_fma_f64 v[32:33], v[34:35], v[32:33], s[72:73]
	v_add_f64 v[36:37], v[36:37], -v[50:51]
	s_delay_alu instid0(VALU_DEP_2) | instskip(NEXT) | instid1(VALU_DEP_2)
	v_fma_f64 v[32:33], v[34:35], v[32:33], s[74:75]
	v_add_f64 v[36:37], v[40:41], v[36:37]
	v_add_f64 v[40:41], v[44:45], -v[38:39]
	s_delay_alu instid0(VALU_DEP_3) | instskip(NEXT) | instid1(VALU_DEP_3)
	v_fma_f64 v[32:33], v[34:35], v[32:33], s[76:77]
	v_add_f64 v[36:37], v[44:45], v[36:37]
	s_delay_alu instid0(VALU_DEP_3) | instskip(SKIP_1) | instid1(VALU_DEP_4)
	v_add_f64 v[44:45], v[44:45], -v[40:41]
	v_add_f64 v[28:29], v[28:29], -v[40:41]
	v_fma_f64 v[32:33], v[34:35], v[32:33], s[78:79]
	s_delay_alu instid0(VALU_DEP_4) | instskip(NEXT) | instid1(VALU_DEP_2)
	v_add_f64 v[46:47], v[42:43], v[36:37]
	v_mul_f64 v[32:33], v[34:35], v[32:33]
	v_add_f64 v[34:35], v[38:39], -v[44:45]
	s_delay_alu instid0(VALU_DEP_3) | instskip(NEXT) | instid1(VALU_DEP_3)
	v_add_f64 v[38:39], v[46:47], -v[42:43]
	v_fma_f64 v[30:31], v[30:31], v[32:33], v[30:31]
	s_delay_alu instid0(VALU_DEP_3) | instskip(NEXT) | instid1(VALU_DEP_3)
	v_add_f64 v[28:29], v[28:29], v[34:35]
	v_add_f64 v[32:33], v[36:37], -v[38:39]
	s_delay_alu instid0(VALU_DEP_3) | instskip(NEXT) | instid1(VALU_DEP_2)
	v_add_f64 v[34:35], -v[30:31], s[80:81]
	v_add_f64 v[28:29], v[28:29], v[32:33]
	s_delay_alu instid0(VALU_DEP_2) | instskip(NEXT) | instid1(VALU_DEP_3)
	v_cndmask_b32_e64 v31, v31, v35, s0
	v_cndmask_b32_e64 v30, v30, v34, s0
                                        ; implicit-def: $vgpr34_vgpr35
	s_delay_alu instid0(VALU_DEP_1) | instskip(NEXT) | instid1(VALU_DEP_4)
	v_add_f64 v[32:33], -v[30:31], s[10:11]
	v_add_f64 v[28:29], v[46:47], v[28:29]
	s_delay_alu instid0(VALU_DEP_2) | instskip(NEXT) | instid1(VALU_DEP_3)
	v_cndmask_b32_e64 v30, v30, v32, s1
	v_cndmask_b32_e64 v15, v31, v33, s1
	v_cmp_nge_f64_e64 s1, -1.0, v[11:12]
                                        ; implicit-def: $vgpr32_vgpr33
	s_delay_alu instid0(VALU_DEP_4) | instskip(SKIP_1) | instid1(VALU_DEP_2)
	v_dual_cndmask_b32 v29, v29, v12 :: v_dual_cndmask_b32 v28, v28, v11
	v_cmp_eq_f64_e32 vcc_lo, 0, v[16:17]
	v_mul_f64 v[28:29], v[28:29], 0.5
	v_cndmask_b32_e32 v30, v30, v10, vcc_lo
	v_cndmask_b32_e32 v8, v15, v8, vcc_lo
	v_cmp_ngt_f64_e32 vcc_lo, -1.0, v[11:12]
	s_delay_alu instid0(VALU_DEP_4) | instskip(SKIP_4) | instid1(VALU_DEP_2)
	v_cndmask_b32_e64 v10, 0, v28, s1
	v_cmp_neq_f64_e64 s1, -1.0, v[11:12]
	v_cndmask_b32_e32 v15, 0x7ff80000, v29, vcc_lo
	s_and_b32 vcc_lo, s4, s3
	v_dual_cndmask_b32 v29, v8, v14 :: v_dual_cndmask_b32 v28, v30, v19
	v_cndmask_b32_e64 v11, 0xfff00000, v15, s1
.LBB186_236:                            ;   in Loop: Header=BB186_162 Depth=1
	s_and_not1_saveexec_b32 s98, s2
	s_cbranch_execz .LBB186_244
; %bb.237:                              ;   in Loop: Header=BB186_162 Depth=1
	v_mul_f64 v[10:11], v[32:33], v[32:33]
                                        ; implicit-def: $vgpr28_vgpr29
	s_mov_b32 s1, exec_lo
	s_delay_alu instid0(VALU_DEP_1) | instskip(NEXT) | instid1(VALU_DEP_1)
	v_fma_f64 v[30:31], v[34:35], v[34:35], v[10:11]
                                        ; implicit-def: $vgpr10_vgpr11
	v_cmpx_ge_f64_e32 s[82:83], v[30:31]
	s_xor_b32 s3, exec_lo, s1
	s_cbranch_execz .LBB186_239
; %bb.238:                              ;   in Loop: Header=BB186_162 Depth=1
	v_frexp_mant_f64_e32 v[10:11], v[30:31]
	v_max_f64 v[38:39], |v[14:15]|, |v[14:15]|
	s_mov_b32 s91, s21
	v_frexp_exp_i32_f64_e32 v8, v[30:31]
	s_mov_b32 s10, s80
	v_cmp_class_f64_e64 s4, v[16:17], 0x204
	v_cmp_class_f64_e64 s5, v[14:15], 0x204
	v_cmp_neq_f64_e64 s2, 0, v[30:31]
	v_cmp_gt_f64_e64 s1, s[20:21], v[10:11]
	s_delay_alu instid0(VALU_DEP_1) | instskip(NEXT) | instid1(VALU_DEP_1)
	v_cndmask_b32_e64 v19, 0x3ff00000, 2.0, s1
	v_mul_f64 v[10:11], v[10:11], v[18:19]
	s_delay_alu instid0(VALU_DEP_1) | instskip(SKIP_1) | instid1(VALU_DEP_2)
	v_add_f64 v[28:29], v[10:11], 1.0
	v_add_f64 v[36:37], v[10:11], -1.0
	v_rcp_f64_e32 v[32:33], v[28:29]
	s_waitcnt_depctr 0xfff
	v_fma_f64 v[34:35], -v[28:29], v[32:33], 1.0
	s_delay_alu instid0(VALU_DEP_1) | instskip(NEXT) | instid1(VALU_DEP_1)
	v_fma_f64 v[32:33], v[34:35], v[32:33], v[32:33]
	v_fma_f64 v[34:35], -v[28:29], v[32:33], 1.0
	s_delay_alu instid0(VALU_DEP_1) | instskip(SKIP_1) | instid1(VALU_DEP_2)
	v_fma_f64 v[32:33], v[34:35], v[32:33], v[32:33]
	v_max_f64 v[34:35], |v[16:17]|, |v[16:17]|
	v_mul_f64 v[40:41], v[36:37], v[32:33]
	s_delay_alu instid0(VALU_DEP_2) | instskip(SKIP_2) | instid1(VALU_DEP_4)
	v_max_f64 v[42:43], v[38:39], v[34:35]
	v_min_f64 v[34:35], v[38:39], v[34:35]
	v_add_f64 v[38:39], v[28:29], -1.0
	v_mul_f64 v[44:45], v[28:29], v[40:41]
	s_delay_alu instid0(VALU_DEP_3) | instskip(NEXT) | instid1(VALU_DEP_3)
	v_div_scale_f64 v[46:47], null, v[42:43], v[42:43], v[34:35]
	v_add_f64 v[10:11], v[10:11], -v[38:39]
	v_div_scale_f64 v[52:53], vcc_lo, v[34:35], v[42:43], v[34:35]
	s_delay_alu instid0(VALU_DEP_4) | instskip(NEXT) | instid1(VALU_DEP_4)
	v_fma_f64 v[28:29], v[40:41], v[28:29], -v[44:45]
	v_rcp_f64_e32 v[38:39], v[46:47]
	s_delay_alu instid0(VALU_DEP_1) | instskip(SKIP_3) | instid1(VALU_DEP_2)
	v_fma_f64 v[10:11], v[40:41], v[10:11], v[28:29]
	s_waitcnt_depctr 0xfff
	v_fma_f64 v[28:29], -v[46:47], v[38:39], 1.0
	v_add_f64 v[48:49], v[44:45], v[10:11]
	v_fma_f64 v[28:29], v[38:39], v[28:29], v[38:39]
	s_delay_alu instid0(VALU_DEP_2) | instskip(SKIP_1) | instid1(VALU_DEP_3)
	v_add_f64 v[38:39], v[36:37], -v[48:49]
	v_add_f64 v[44:45], v[48:49], -v[44:45]
	v_fma_f64 v[50:51], -v[46:47], v[28:29], 1.0
	s_delay_alu instid0(VALU_DEP_3) | instskip(NEXT) | instid1(VALU_DEP_3)
	v_add_f64 v[36:37], v[36:37], -v[38:39]
	v_add_f64 v[10:11], v[44:45], -v[10:11]
	s_delay_alu instid0(VALU_DEP_3) | instskip(NEXT) | instid1(VALU_DEP_3)
	v_fma_f64 v[28:29], v[28:29], v[50:51], v[28:29]
	v_add_f64 v[36:37], v[36:37], -v[48:49]
	s_delay_alu instid0(VALU_DEP_2) | instskip(NEXT) | instid1(VALU_DEP_2)
	v_mul_f64 v[44:45], v[52:53], v[28:29]
	v_add_f64 v[10:11], v[10:11], v[36:37]
	s_delay_alu instid0(VALU_DEP_2) | instskip(NEXT) | instid1(VALU_DEP_2)
	v_fma_f64 v[36:37], -v[46:47], v[44:45], v[52:53]
	v_add_f64 v[10:11], v[38:39], v[10:11]
	s_delay_alu instid0(VALU_DEP_2) | instskip(SKIP_4) | instid1(VALU_DEP_1)
	v_div_fmas_f64 v[28:29], v[36:37], v[28:29], v[44:45]
	v_subrev_co_ci_u32_e64 v8, vcc_lo, 0, v8, s1
	v_cmp_eq_f64_e64 s1, 0, v[16:17]
	v_cmp_gt_i32_e32 vcc_lo, 0, v15
	v_cndmask_b32_e32 v14, 0x3fe921fb, v55, vcc_lo
	v_bfi_b32 v14, 0x7fffffff, v14, v17
	v_mul_f64 v[10:11], v[32:33], v[10:11]
	v_div_fixup_f64 v[28:29], v[28:29], v[42:43], v[34:35]
	s_delay_alu instid0(VALU_DEP_2) | instskip(NEXT) | instid1(VALU_DEP_2)
	v_add_f64 v[32:33], v[40:41], v[10:11]
	v_mul_f64 v[34:35], v[28:29], v[28:29]
	s_delay_alu instid0(VALU_DEP_2) | instskip(NEXT) | instid1(VALU_DEP_2)
	v_mul_f64 v[36:37], v[32:33], v[32:33]
	v_fma_f64 v[38:39], v[34:35], s[42:43], s[40:41]
	s_delay_alu instid0(VALU_DEP_2) | instskip(SKIP_1) | instid1(VALU_DEP_3)
	v_fma_f64 v[42:43], v[36:37], s[24:25], s[22:23]
	v_mul_f64 v[44:45], v[32:33], v[36:37]
	v_fma_f64 v[38:39], v[34:35], v[38:39], s[44:45]
	s_delay_alu instid0(VALU_DEP_3) | instskip(NEXT) | instid1(VALU_DEP_2)
	v_fma_f64 v[42:43], v[36:37], v[42:43], s[26:27]
	v_fma_f64 v[38:39], v[34:35], v[38:39], s[46:47]
	s_delay_alu instid0(VALU_DEP_2) | instskip(NEXT) | instid1(VALU_DEP_2)
	v_fma_f64 v[42:43], v[36:37], v[42:43], s[28:29]
	v_fma_f64 v[38:39], v[34:35], v[38:39], s[48:49]
	s_delay_alu instid0(VALU_DEP_2) | instskip(NEXT) | instid1(VALU_DEP_2)
	;; [unrolled: 3-line block ×3, first 2 shown]
	v_fma_f64 v[42:43], v[36:37], v[42:43], s[34:35]
	v_fma_f64 v[38:39], v[34:35], v[38:39], s[52:53]
	s_delay_alu instid0(VALU_DEP_2) | instskip(SKIP_2) | instid1(VALU_DEP_4)
	v_fma_f64 v[36:37], v[36:37], v[42:43], s[90:91]
	v_ldexp_f64 v[42:43], v[32:33], 1
	v_add_f64 v[32:33], v[32:33], -v[40:41]
	v_fma_f64 v[38:39], v[34:35], v[38:39], s[54:55]
	s_delay_alu instid0(VALU_DEP_4) | instskip(SKIP_1) | instid1(VALU_DEP_4)
	v_mul_f64 v[36:37], v[44:45], v[36:37]
	v_cvt_f64_i32_e32 v[44:45], v8
	v_add_f64 v[10:11], v[10:11], -v[32:33]
	v_ashrrev_i32_e32 v8, 31, v15
	v_fma_f64 v[38:39], v[34:35], v[38:39], s[56:57]
	s_delay_alu instid0(VALU_DEP_2)
	v_dual_cndmask_b32 v12, 0x54442d18, v54 :: v_dual_and_b32 v19, 0x54442d18, v8
	v_and_b32_e32 v8, 0x400921fb, v8
	v_add_f64 v[40:41], v[42:43], v[36:37]
	v_mul_f64 v[46:47], v[44:45], s[36:37]
	v_ldexp_f64 v[10:11], v[10:11], 1
	v_fma_f64 v[38:39], v[34:35], v[38:39], s[58:59]
	s_delay_alu instid0(VALU_DEP_4) | instskip(NEXT) | instid1(VALU_DEP_4)
	v_add_f64 v[32:33], v[40:41], -v[42:43]
	v_fma_f64 v[42:43], v[44:45], s[36:37], -v[46:47]
	s_delay_alu instid0(VALU_DEP_3) | instskip(NEXT) | instid1(VALU_DEP_3)
	v_fma_f64 v[38:39], v[34:35], v[38:39], s[60:61]
	v_add_f64 v[32:33], v[36:37], -v[32:33]
	s_delay_alu instid0(VALU_DEP_2) | instskip(NEXT) | instid1(VALU_DEP_4)
	v_fma_f64 v[36:37], v[34:35], v[38:39], s[62:63]
	v_fma_f64 v[38:39], v[44:45], s[38:39], v[42:43]
	s_delay_alu instid0(VALU_DEP_3) | instskip(NEXT) | instid1(VALU_DEP_3)
	v_add_f64 v[10:11], v[10:11], v[32:33]
	v_fma_f64 v[32:33], v[34:35], v[36:37], s[64:65]
	s_delay_alu instid0(VALU_DEP_3) | instskip(NEXT) | instid1(VALU_DEP_3)
	v_add_f64 v[36:37], v[46:47], v[38:39]
	v_add_f64 v[42:43], v[40:41], v[10:11]
	s_delay_alu instid0(VALU_DEP_3) | instskip(NEXT) | instid1(VALU_DEP_3)
	v_fma_f64 v[32:33], v[34:35], v[32:33], s[66:67]
	v_add_f64 v[46:47], v[36:37], -v[46:47]
	s_delay_alu instid0(VALU_DEP_3) | instskip(SKIP_1) | instid1(VALU_DEP_4)
	v_add_f64 v[44:45], v[36:37], v[42:43]
	v_add_f64 v[40:41], v[42:43], -v[40:41]
	v_fma_f64 v[32:33], v[34:35], v[32:33], s[68:69]
	s_delay_alu instid0(VALU_DEP_4) | instskip(NEXT) | instid1(VALU_DEP_4)
	v_add_f64 v[38:39], v[38:39], -v[46:47]
	v_add_f64 v[48:49], v[44:45], -v[36:37]
	s_delay_alu instid0(VALU_DEP_4) | instskip(NEXT) | instid1(VALU_DEP_4)
	v_add_f64 v[10:11], v[10:11], -v[40:41]
	v_fma_f64 v[32:33], v[34:35], v[32:33], s[70:71]
	s_delay_alu instid0(VALU_DEP_3) | instskip(SKIP_1) | instid1(VALU_DEP_4)
	v_add_f64 v[50:51], v[44:45], -v[48:49]
	v_add_f64 v[40:41], v[42:43], -v[48:49]
	v_add_f64 v[42:43], v[38:39], v[10:11]
	s_delay_alu instid0(VALU_DEP_4) | instskip(NEXT) | instid1(VALU_DEP_4)
	v_fma_f64 v[32:33], v[34:35], v[32:33], s[72:73]
	v_add_f64 v[36:37], v[36:37], -v[50:51]
	s_delay_alu instid0(VALU_DEP_2) | instskip(NEXT) | instid1(VALU_DEP_2)
	v_fma_f64 v[32:33], v[34:35], v[32:33], s[74:75]
	v_add_f64 v[36:37], v[40:41], v[36:37]
	v_add_f64 v[40:41], v[42:43], -v[38:39]
	s_delay_alu instid0(VALU_DEP_3) | instskip(NEXT) | instid1(VALU_DEP_3)
	v_fma_f64 v[32:33], v[34:35], v[32:33], s[76:77]
	v_add_f64 v[36:37], v[42:43], v[36:37]
	s_delay_alu instid0(VALU_DEP_3) | instskip(SKIP_1) | instid1(VALU_DEP_4)
	v_add_f64 v[42:43], v[42:43], -v[40:41]
	v_add_f64 v[10:11], v[10:11], -v[40:41]
	v_fma_f64 v[32:33], v[34:35], v[32:33], s[78:79]
	s_delay_alu instid0(VALU_DEP_4) | instskip(NEXT) | instid1(VALU_DEP_2)
	v_add_f64 v[46:47], v[44:45], v[36:37]
	v_mul_f64 v[32:33], v[34:35], v[32:33]
	v_add_f64 v[34:35], v[38:39], -v[42:43]
	s_delay_alu instid0(VALU_DEP_3) | instskip(NEXT) | instid1(VALU_DEP_3)
	v_add_f64 v[38:39], v[46:47], -v[44:45]
	v_fma_f64 v[28:29], v[28:29], v[32:33], v[28:29]
	s_delay_alu instid0(VALU_DEP_3) | instskip(NEXT) | instid1(VALU_DEP_3)
	v_add_f64 v[10:11], v[10:11], v[34:35]
	v_add_f64 v[32:33], v[36:37], -v[38:39]
	s_delay_alu instid0(VALU_DEP_3) | instskip(NEXT) | instid1(VALU_DEP_2)
	v_add_f64 v[34:35], -v[28:29], s[80:81]
	v_add_f64 v[10:11], v[10:11], v[32:33]
	s_delay_alu instid0(VALU_DEP_2) | instskip(NEXT) | instid1(VALU_DEP_3)
	v_cndmask_b32_e64 v29, v29, v35, s0
	v_cndmask_b32_e64 v28, v28, v34, s0
                                        ; implicit-def: $vgpr34_vgpr35
	s_delay_alu instid0(VALU_DEP_1) | instskip(NEXT) | instid1(VALU_DEP_4)
	v_add_f64 v[32:33], -v[28:29], s[10:11]
	v_add_f64 v[10:11], v[46:47], v[10:11]
	s_delay_alu instid0(VALU_DEP_2) | instskip(SKIP_1) | instid1(VALU_DEP_1)
	v_dual_cndmask_b32 v28, v28, v32 :: v_dual_cndmask_b32 v15, v29, v33
	s_and_b32 vcc_lo, s5, s4
                                        ; implicit-def: $vgpr32_vgpr33
	v_cndmask_b32_e64 v19, v28, v19, s1
	s_delay_alu instid0(VALU_DEP_2) | instskip(NEXT) | instid1(VALU_DEP_1)
	v_cndmask_b32_e64 v8, v15, v8, s1
	v_dual_cndmask_b32 v28, v19, v12 :: v_dual_cndmask_b32 v29, v8, v14
	v_mul_f64 v[10:11], v[10:11], 0.5
	s_delay_alu instid0(VALU_DEP_1) | instskip(NEXT) | instid1(VALU_DEP_2)
	v_cndmask_b32_e64 v11, 0xfff00000, v11, s2
	v_cndmask_b32_e64 v10, 0, v10, s2
.LBB186_239:                            ;   in Loop: Header=BB186_162 Depth=1
	s_and_not1_saveexec_b32 s99, s3
	s_cbranch_execz .LBB186_243
; %bb.240:                              ;   in Loop: Header=BB186_162 Depth=1
	v_dual_mov_b32 v28, v18 :: v_dual_and_b32 v19, 0x7ffffff8, v35
	v_and_b32_e32 v29, 0x7ffffff8, v33
	s_mov_b32 s91, 0
	s_delay_alu instid0(VALU_DEP_2) | instskip(SKIP_1) | instid1(VALU_DEP_3)
	v_add_f64 v[10:11], v[34:35], -v[18:19]
	v_mov_b32_e32 v34, v18
	v_add_f64 v[30:31], v[32:33], -v[28:29]
	v_mov_b32_e32 v36, v18
	v_add_f64 v[38:39], v[18:19], v[18:19]
	v_add_f64 v[46:47], v[28:29], v[28:29]
	v_mul_f64 v[32:33], v[28:29], v[28:29]
	v_and_b32_e32 v35, -8, v11
	v_and_b32_e32 v37, -8, v31
	s_delay_alu instid0(VALU_DEP_2) | instskip(SKIP_1) | instid1(VALU_DEP_3)
	v_add_f64 v[48:49], v[10:11], -v[34:35]
	v_add_f64 v[52:53], v[34:35], v[34:35]
	v_add_f64 v[50:51], v[30:31], -v[36:37]
	v_add_f64 v[56:57], v[36:37], v[36:37]
	v_mul_f64 v[10:11], v[18:19], v[18:19]
	v_mul_f64 v[44:45], v[38:39], v[34:35]
	;; [unrolled: 1-line block ×11, first 2 shown]
.LBB186_241:                            ;   Parent Loop BB186_162 Depth=1
                                        ; =>  This Inner Loop Header: Depth=2
	v_cmp_nlt_f64_e32 vcc_lo, v[10:11], v[32:33]
	v_dual_cndmask_b32 v51, v11, v33 :: v_dual_cndmask_b32 v50, v10, v32
	v_dual_cndmask_b32 v11, v33, v11 :: v_dual_cndmask_b32 v10, v32, v10
	s_delay_alu instid0(VALU_DEP_2) | instskip(NEXT) | instid1(VALU_DEP_1)
	v_cmp_nlt_f64_e64 s1, v[50:51], v[44:45]
	v_cndmask_b32_e64 v53, v51, v45, s1
	v_cndmask_b32_e64 v52, v50, v44, s1
	;; [unrolled: 1-line block ×4, first 2 shown]
	s_and_b32 s1, vcc_lo, s1
	s_delay_alu instid0(VALU_DEP_3) | instskip(NEXT) | instid1(VALU_DEP_1)
	v_cmp_nlt_f64_e64 s2, v[52:53], v[30:31]
	v_cndmask_b32_e64 v57, v53, v31, s2
	v_cndmask_b32_e64 v56, v52, v30, s2
	;; [unrolled: 1-line block ×4, first 2 shown]
	s_delay_alu instid0(VALU_DEP_3) | instskip(NEXT) | instid1(VALU_DEP_1)
	v_cmp_nlt_f64_e64 s3, v[56:57], v[42:43]
	v_cndmask_b32_e64 v59, v57, v43, s3
	v_cndmask_b32_e64 v58, v56, v42, s3
	;; [unrolled: 1-line block ×4, first 2 shown]
	s_and_b32 s2, s2, s3
	s_delay_alu instid0(VALU_DEP_3) | instskip(NEXT) | instid1(VALU_DEP_1)
	v_cmp_nlt_f64_e64 s4, v[58:59], v[28:29]
	v_cndmask_b32_e64 v61, v59, v29, s4
	v_cndmask_b32_e64 v60, v58, v28, s4
	;; [unrolled: 1-line block ×4, first 2 shown]
	s_delay_alu instid0(VALU_DEP_3) | instskip(NEXT) | instid1(VALU_DEP_1)
	v_cmp_nlt_f64_e64 s5, v[60:61], v[40:41]
	v_cndmask_b32_e64 v63, v61, v41, s5
	v_cndmask_b32_e64 v62, v60, v40, s5
	s_and_b32 s3, s4, s5
	v_cndmask_b32_e64 v29, v41, v61, s5
	v_cndmask_b32_e64 v28, v40, v60, s5
	s_delay_alu instid0(VALU_DEP_3) | instskip(NEXT) | instid1(VALU_DEP_1)
	v_cmp_nlt_f64_e64 s6, v[62:63], v[38:39]
	v_cndmask_b32_e64 v65, v63, v39, s6
	v_cndmask_b32_e64 v64, v62, v38, s6
	s_and_b32 s3, s3, s6
	v_cndmask_b32_e64 v41, v39, v63, s6
	v_cndmask_b32_e64 v40, v38, v62, s6
	;; [unrolled: 7-line block ×5, first 2 shown]
	s_delay_alu instid0(VALU_DEP_3) | instskip(NEXT) | instid1(VALU_DEP_1)
	v_cmp_nlt_f64_e64 s10, v[70:71], v[48:49]
	v_cndmask_b32_e64 v51, v71, v49, s10
	v_cndmask_b32_e64 v50, v70, v48, s10
	s_and_b32 s3, s3, s10
	v_cndmask_b32_e64 v47, v49, v71, s10
	s_and_b32 s2, s3, s2
	;; [unrolled: 2-line block ×3, first 2 shown]
	v_dual_mov_b32 v48, v50 :: v_dual_mov_b32 v49, v51
	s_and_b32 s1, exec_lo, s1
	s_delay_alu instid0(SALU_CYCLE_1) | instskip(NEXT) | instid1(SALU_CYCLE_1)
	s_or_b32 s91, s1, s91
	s_and_not1_b32 exec_lo, exec_lo, s91
	s_cbranch_execnz .LBB186_241
; %bb.242:                              ;   in Loop: Header=BB186_162 Depth=1
	s_or_b32 exec_lo, exec_lo, s91
	v_add_f64 v[10:11], v[10:11], -1.0
	s_mov_b32 s91, s21
	s_mov_b32 s10, s80
	v_cmp_gt_i32_e64 s1, 0, v15
	v_cmp_class_f64_e64 s3, v[14:15], 0x204
	v_cmp_class_f64_e64 s2, v[16:17], 0x204
	s_delay_alu instid0(VALU_DEP_3) | instskip(SKIP_1) | instid1(VALU_DEP_1)
	v_cndmask_b32_e64 v19, 0x54442d18, v54, s1
	v_add_f64 v[10:11], v[10:11], v[32:33]
	v_add_f64 v[10:11], v[10:11], v[44:45]
	s_delay_alu instid0(VALU_DEP_1) | instskip(NEXT) | instid1(VALU_DEP_1)
	v_add_f64 v[10:11], v[10:11], v[30:31]
	v_add_f64 v[10:11], v[10:11], v[42:43]
	s_delay_alu instid0(VALU_DEP_1) | instskip(NEXT) | instid1(VALU_DEP_1)
	;; [unrolled: 3-line block ×5, first 2 shown]
	v_add_f64 v[11:12], v[50:51], v[10:11]
	v_add_f64 v[28:29], v[11:12], 1.0
	s_delay_alu instid0(VALU_DEP_1) | instskip(SKIP_2) | instid1(VALU_DEP_3)
	v_frexp_mant_f64_e32 v[30:31], v[28:29]
	v_frexp_exp_i32_f64_e32 v8, v[28:29]
	v_add_f64 v[32:33], v[28:29], -1.0
	v_cmp_gt_f64_e32 vcc_lo, s[20:21], v[30:31]
	s_delay_alu instid0(VALU_DEP_2) | instskip(SKIP_2) | instid1(VALU_DEP_3)
	v_add_f64 v[30:31], v[32:33], -v[28:29]
	v_add_f64 v[32:33], v[11:12], -v[32:33]
	v_subrev_co_ci_u32_e32 v8, vcc_lo, 0, v8, vcc_lo
	v_add_f64 v[30:31], v[30:31], 1.0
	s_delay_alu instid0(VALU_DEP_2) | instskip(NEXT) | instid1(VALU_DEP_1)
	v_sub_nc_u32_e32 v10, 0, v8
	v_ldexp_f64 v[28:29], v[28:29], v10
	s_delay_alu instid0(VALU_DEP_3) | instskip(NEXT) | instid1(VALU_DEP_2)
	v_add_f64 v[30:31], v[32:33], v[30:31]
	v_add_f64 v[34:35], v[28:29], 1.0
	v_add_f64 v[40:41], v[28:29], -1.0
	s_delay_alu instid0(VALU_DEP_3) | instskip(NEXT) | instid1(VALU_DEP_3)
	v_ldexp_f64 v[30:31], v[30:31], v10
	v_add_f64 v[32:33], v[34:35], -1.0
	s_delay_alu instid0(VALU_DEP_3) | instskip(NEXT) | instid1(VALU_DEP_2)
	v_add_f64 v[42:43], v[40:41], 1.0
	v_add_f64 v[32:33], v[28:29], -v[32:33]
	s_delay_alu instid0(VALU_DEP_2) | instskip(NEXT) | instid1(VALU_DEP_2)
	v_add_f64 v[28:29], v[28:29], -v[42:43]
	v_add_f64 v[32:33], v[30:31], v[32:33]
	s_delay_alu instid0(VALU_DEP_2) | instskip(NEXT) | instid1(VALU_DEP_2)
	v_add_f64 v[28:29], v[30:31], v[28:29]
	v_add_f64 v[36:37], v[34:35], v[32:33]
	s_delay_alu instid0(VALU_DEP_2) | instskip(NEXT) | instid1(VALU_DEP_2)
	v_add_f64 v[42:43], v[40:41], v[28:29]
	v_rcp_f64_e32 v[38:39], v[36:37]
	v_add_f64 v[34:35], v[36:37], -v[34:35]
	s_delay_alu instid0(VALU_DEP_2) | instskip(NEXT) | instid1(VALU_DEP_2)
	v_add_f64 v[40:41], v[42:43], -v[40:41]
	v_add_f64 v[32:33], v[32:33], -v[34:35]
	s_waitcnt_depctr 0xfff
	v_fma_f64 v[44:45], -v[36:37], v[38:39], 1.0
	v_add_f64 v[28:29], v[28:29], -v[40:41]
	s_delay_alu instid0(VALU_DEP_2) | instskip(NEXT) | instid1(VALU_DEP_1)
	v_fma_f64 v[38:39], v[44:45], v[38:39], v[38:39]
	v_fma_f64 v[30:31], -v[36:37], v[38:39], 1.0
	s_delay_alu instid0(VALU_DEP_1) | instskip(NEXT) | instid1(VALU_DEP_1)
	v_fma_f64 v[30:31], v[30:31], v[38:39], v[38:39]
	v_mul_f64 v[38:39], v[42:43], v[30:31]
	s_delay_alu instid0(VALU_DEP_1) | instskip(NEXT) | instid1(VALU_DEP_1)
	v_mul_f64 v[44:45], v[36:37], v[38:39]
	v_fma_f64 v[34:35], v[38:39], v[36:37], -v[44:45]
	s_delay_alu instid0(VALU_DEP_1) | instskip(NEXT) | instid1(VALU_DEP_1)
	v_fma_f64 v[34:35], v[38:39], v[32:33], v[34:35]
	v_add_f64 v[46:47], v[44:45], v[34:35]
	s_delay_alu instid0(VALU_DEP_1) | instskip(SKIP_2) | instid1(VALU_DEP_3)
	v_add_f64 v[48:49], v[42:43], -v[46:47]
	v_add_f64 v[40:41], v[46:47], -v[44:45]
	v_max_f64 v[44:45], |v[16:17]|, |v[16:17]|
	v_add_f64 v[42:43], v[42:43], -v[48:49]
	s_delay_alu instid0(VALU_DEP_3) | instskip(NEXT) | instid1(VALU_DEP_2)
	v_add_f64 v[34:35], v[40:41], -v[34:35]
	v_add_f64 v[42:43], v[42:43], -v[46:47]
	v_max_f64 v[46:47], |v[14:15]|, |v[14:15]|
	v_cndmask_b32_e64 v14, 0x3fe921fb, v55, s1
	s_delay_alu instid0(VALU_DEP_1) | instskip(NEXT) | instid1(VALU_DEP_4)
	v_bfi_b32 v14, 0x7fffffff, v14, v17
	v_add_f64 v[28:29], v[28:29], v[42:43]
	s_delay_alu instid0(VALU_DEP_4) | instskip(SKIP_1) | instid1(VALU_DEP_3)
	v_max_f64 v[50:51], v[46:47], v[44:45]
	v_min_f64 v[44:45], v[46:47], v[44:45]
	v_add_f64 v[28:29], v[34:35], v[28:29]
	s_delay_alu instid0(VALU_DEP_1) | instskip(NEXT) | instid1(VALU_DEP_1)
	v_add_f64 v[34:35], v[48:49], v[28:29]
	v_mul_f64 v[40:41], v[30:31], v[34:35]
	v_add_f64 v[48:49], v[48:49], -v[34:35]
	s_delay_alu instid0(VALU_DEP_2) | instskip(NEXT) | instid1(VALU_DEP_2)
	v_mul_f64 v[42:43], v[36:37], v[40:41]
	v_add_f64 v[28:29], v[28:29], v[48:49]
	s_delay_alu instid0(VALU_DEP_2) | instskip(NEXT) | instid1(VALU_DEP_1)
	v_fma_f64 v[36:37], v[40:41], v[36:37], -v[42:43]
	v_fma_f64 v[32:33], v[40:41], v[32:33], v[36:37]
	v_div_scale_f64 v[36:37], null, v[50:51], v[50:51], v[44:45]
	s_delay_alu instid0(VALU_DEP_2) | instskip(NEXT) | instid1(VALU_DEP_2)
	v_add_f64 v[46:47], v[42:43], v[32:33]
	v_rcp_f64_e32 v[52:53], v[36:37]
	s_delay_alu instid0(VALU_DEP_1)
	v_add_f64 v[56:57], v[34:35], -v[46:47]
	v_add_f64 v[42:43], v[46:47], -v[42:43]
	s_waitcnt_depctr 0xfff
	v_fma_f64 v[58:59], -v[36:37], v[52:53], 1.0
	v_add_f64 v[34:35], v[34:35], -v[56:57]
	v_add_f64 v[32:33], v[42:43], -v[32:33]
	s_delay_alu instid0(VALU_DEP_3) | instskip(NEXT) | instid1(VALU_DEP_3)
	v_fma_f64 v[52:53], v[52:53], v[58:59], v[52:53]
	v_add_f64 v[34:35], v[34:35], -v[46:47]
	s_delay_alu instid0(VALU_DEP_2) | instskip(NEXT) | instid1(VALU_DEP_2)
	v_fma_f64 v[46:47], -v[36:37], v[52:53], 1.0
	v_add_f64 v[28:29], v[28:29], v[34:35]
	v_div_scale_f64 v[34:35], vcc_lo, v[44:45], v[50:51], v[44:45]
	s_delay_alu instid0(VALU_DEP_3) | instskip(SKIP_1) | instid1(VALU_DEP_4)
	v_fma_f64 v[42:43], v[52:53], v[46:47], v[52:53]
	v_add_f64 v[46:47], v[38:39], v[40:41]
	v_add_f64 v[28:29], v[32:33], v[28:29]
	s_delay_alu instid0(VALU_DEP_3) | instskip(NEXT) | instid1(VALU_DEP_3)
	v_mul_f64 v[32:33], v[34:35], v[42:43]
	v_add_f64 v[38:39], v[46:47], -v[38:39]
	s_delay_alu instid0(VALU_DEP_3) | instskip(NEXT) | instid1(VALU_DEP_3)
	v_add_f64 v[28:29], v[56:57], v[28:29]
	v_fma_f64 v[34:35], -v[36:37], v[32:33], v[34:35]
	s_delay_alu instid0(VALU_DEP_3) | instskip(NEXT) | instid1(VALU_DEP_3)
	v_add_f64 v[36:37], v[40:41], -v[38:39]
	v_mul_f64 v[28:29], v[30:31], v[28:29]
	s_delay_alu instid0(VALU_DEP_3) | instskip(SKIP_1) | instid1(VALU_DEP_3)
	v_div_fmas_f64 v[30:31], v[34:35], v[42:43], v[32:33]
	v_cmp_eq_f64_e32 vcc_lo, 0x7ff00000, v[11:12]
	v_add_f64 v[28:29], v[36:37], v[28:29]
	s_delay_alu instid0(VALU_DEP_3) | instskip(NEXT) | instid1(VALU_DEP_2)
	v_div_fixup_f64 v[30:31], v[30:31], v[50:51], v[44:45]
	v_add_f64 v[32:33], v[46:47], v[28:29]
	s_delay_alu instid0(VALU_DEP_2) | instskip(NEXT) | instid1(VALU_DEP_2)
	v_mul_f64 v[34:35], v[30:31], v[30:31]
	v_mul_f64 v[36:37], v[32:33], v[32:33]
	s_delay_alu instid0(VALU_DEP_2) | instskip(NEXT) | instid1(VALU_DEP_2)
	v_fma_f64 v[38:39], v[34:35], s[42:43], s[40:41]
	v_fma_f64 v[40:41], v[36:37], s[24:25], s[22:23]
	v_mul_f64 v[42:43], v[32:33], v[36:37]
	s_delay_alu instid0(VALU_DEP_3) | instskip(NEXT) | instid1(VALU_DEP_3)
	v_fma_f64 v[38:39], v[34:35], v[38:39], s[44:45]
	v_fma_f64 v[40:41], v[36:37], v[40:41], s[26:27]
	s_delay_alu instid0(VALU_DEP_2) | instskip(NEXT) | instid1(VALU_DEP_2)
	v_fma_f64 v[38:39], v[34:35], v[38:39], s[46:47]
	v_fma_f64 v[40:41], v[36:37], v[40:41], s[28:29]
	s_delay_alu instid0(VALU_DEP_2) | instskip(NEXT) | instid1(VALU_DEP_2)
	;; [unrolled: 3-line block ×4, first 2 shown]
	v_fma_f64 v[38:39], v[34:35], v[38:39], s[52:53]
	v_fma_f64 v[36:37], v[36:37], v[40:41], s[90:91]
	v_ldexp_f64 v[40:41], v[32:33], 1
	v_add_f64 v[32:33], v[32:33], -v[46:47]
	s_delay_alu instid0(VALU_DEP_4) | instskip(NEXT) | instid1(VALU_DEP_4)
	v_fma_f64 v[38:39], v[34:35], v[38:39], s[54:55]
	v_mul_f64 v[36:37], v[42:43], v[36:37]
	v_cvt_f64_i32_e32 v[42:43], v8
	s_delay_alu instid0(VALU_DEP_4) | instskip(NEXT) | instid1(VALU_DEP_4)
	v_add_f64 v[28:29], v[28:29], -v[32:33]
	v_fma_f64 v[38:39], v[34:35], v[38:39], s[56:57]
	v_ashrrev_i32_e32 v8, 31, v15
	s_delay_alu instid0(VALU_DEP_1)
	v_and_b32_e32 v10, 0x54442d18, v8
	v_and_b32_e32 v8, 0x400921fb, v8
	v_add_f64 v[44:45], v[40:41], v[36:37]
	v_mul_f64 v[46:47], v[42:43], s[36:37]
	v_ldexp_f64 v[28:29], v[28:29], 1
	v_fma_f64 v[38:39], v[34:35], v[38:39], s[58:59]
	s_delay_alu instid0(VALU_DEP_4) | instskip(NEXT) | instid1(VALU_DEP_4)
	v_add_f64 v[32:33], v[44:45], -v[40:41]
	v_fma_f64 v[40:41], v[42:43], s[36:37], -v[46:47]
	s_delay_alu instid0(VALU_DEP_3) | instskip(NEXT) | instid1(VALU_DEP_3)
	v_fma_f64 v[38:39], v[34:35], v[38:39], s[60:61]
	v_add_f64 v[32:33], v[36:37], -v[32:33]
	s_delay_alu instid0(VALU_DEP_2) | instskip(NEXT) | instid1(VALU_DEP_4)
	v_fma_f64 v[36:37], v[34:35], v[38:39], s[62:63]
	v_fma_f64 v[38:39], v[42:43], s[38:39], v[40:41]
	s_delay_alu instid0(VALU_DEP_3) | instskip(NEXT) | instid1(VALU_DEP_3)
	v_add_f64 v[28:29], v[28:29], v[32:33]
	v_fma_f64 v[32:33], v[34:35], v[36:37], s[64:65]
	s_delay_alu instid0(VALU_DEP_3) | instskip(NEXT) | instid1(VALU_DEP_3)
	v_add_f64 v[36:37], v[46:47], v[38:39]
	v_add_f64 v[40:41], v[44:45], v[28:29]
	s_delay_alu instid0(VALU_DEP_3) | instskip(NEXT) | instid1(VALU_DEP_3)
	v_fma_f64 v[32:33], v[34:35], v[32:33], s[66:67]
	v_add_f64 v[46:47], v[36:37], -v[46:47]
	s_delay_alu instid0(VALU_DEP_3) | instskip(SKIP_1) | instid1(VALU_DEP_4)
	v_add_f64 v[42:43], v[36:37], v[40:41]
	v_add_f64 v[44:45], v[40:41], -v[44:45]
	v_fma_f64 v[32:33], v[34:35], v[32:33], s[68:69]
	s_delay_alu instid0(VALU_DEP_4) | instskip(NEXT) | instid1(VALU_DEP_4)
	v_add_f64 v[38:39], v[38:39], -v[46:47]
	v_add_f64 v[48:49], v[42:43], -v[36:37]
	s_delay_alu instid0(VALU_DEP_4) | instskip(NEXT) | instid1(VALU_DEP_4)
	v_add_f64 v[28:29], v[28:29], -v[44:45]
	v_fma_f64 v[32:33], v[34:35], v[32:33], s[70:71]
	s_delay_alu instid0(VALU_DEP_3) | instskip(SKIP_1) | instid1(VALU_DEP_4)
	v_add_f64 v[50:51], v[42:43], -v[48:49]
	v_add_f64 v[40:41], v[40:41], -v[48:49]
	v_add_f64 v[44:45], v[38:39], v[28:29]
	s_delay_alu instid0(VALU_DEP_4) | instskip(NEXT) | instid1(VALU_DEP_4)
	v_fma_f64 v[32:33], v[34:35], v[32:33], s[72:73]
	v_add_f64 v[36:37], v[36:37], -v[50:51]
	s_delay_alu instid0(VALU_DEP_2) | instskip(NEXT) | instid1(VALU_DEP_2)
	v_fma_f64 v[32:33], v[34:35], v[32:33], s[74:75]
	v_add_f64 v[36:37], v[40:41], v[36:37]
	v_add_f64 v[40:41], v[44:45], -v[38:39]
	s_delay_alu instid0(VALU_DEP_3) | instskip(NEXT) | instid1(VALU_DEP_3)
	v_fma_f64 v[32:33], v[34:35], v[32:33], s[76:77]
	v_add_f64 v[36:37], v[44:45], v[36:37]
	s_delay_alu instid0(VALU_DEP_3) | instskip(SKIP_1) | instid1(VALU_DEP_4)
	v_add_f64 v[44:45], v[44:45], -v[40:41]
	v_add_f64 v[28:29], v[28:29], -v[40:41]
	v_fma_f64 v[32:33], v[34:35], v[32:33], s[78:79]
	s_delay_alu instid0(VALU_DEP_4) | instskip(NEXT) | instid1(VALU_DEP_2)
	v_add_f64 v[46:47], v[42:43], v[36:37]
	v_mul_f64 v[32:33], v[34:35], v[32:33]
	v_add_f64 v[34:35], v[38:39], -v[44:45]
	s_delay_alu instid0(VALU_DEP_3) | instskip(NEXT) | instid1(VALU_DEP_3)
	v_add_f64 v[38:39], v[46:47], -v[42:43]
	v_fma_f64 v[30:31], v[30:31], v[32:33], v[30:31]
	s_delay_alu instid0(VALU_DEP_3) | instskip(NEXT) | instid1(VALU_DEP_3)
	v_add_f64 v[28:29], v[28:29], v[34:35]
	v_add_f64 v[32:33], v[36:37], -v[38:39]
	s_delay_alu instid0(VALU_DEP_3) | instskip(NEXT) | instid1(VALU_DEP_2)
	v_add_f64 v[34:35], -v[30:31], s[80:81]
	v_add_f64 v[28:29], v[28:29], v[32:33]
	s_delay_alu instid0(VALU_DEP_2) | instskip(NEXT) | instid1(VALU_DEP_3)
	v_cndmask_b32_e64 v31, v31, v35, s0
	v_cndmask_b32_e64 v30, v30, v34, s0
	s_delay_alu instid0(VALU_DEP_1) | instskip(NEXT) | instid1(VALU_DEP_4)
	v_add_f64 v[32:33], -v[30:31], s[10:11]
	v_add_f64 v[28:29], v[46:47], v[28:29]
	s_delay_alu instid0(VALU_DEP_2) | instskip(NEXT) | instid1(VALU_DEP_3)
	v_cndmask_b32_e64 v30, v30, v32, s1
	v_cndmask_b32_e64 v15, v31, v33, s1
	v_cmp_nge_f64_e64 s1, -1.0, v[11:12]
	s_delay_alu instid0(VALU_DEP_4) | instskip(SKIP_1) | instid1(VALU_DEP_2)
	v_dual_cndmask_b32 v29, v29, v12 :: v_dual_cndmask_b32 v28, v28, v11
	v_cmp_eq_f64_e32 vcc_lo, 0, v[16:17]
	v_mul_f64 v[28:29], v[28:29], 0.5
	v_cndmask_b32_e32 v30, v30, v10, vcc_lo
	v_cndmask_b32_e32 v8, v15, v8, vcc_lo
	v_cmp_ngt_f64_e32 vcc_lo, -1.0, v[11:12]
	s_delay_alu instid0(VALU_DEP_4) | instskip(SKIP_4) | instid1(VALU_DEP_2)
	v_cndmask_b32_e64 v10, 0, v28, s1
	v_cmp_neq_f64_e64 s1, -1.0, v[11:12]
	v_cndmask_b32_e32 v15, 0x7ff80000, v29, vcc_lo
	s_and_b32 vcc_lo, s3, s2
	v_dual_cndmask_b32 v29, v8, v14 :: v_dual_cndmask_b32 v28, v30, v19
	v_cndmask_b32_e64 v11, 0xfff00000, v15, s1
.LBB186_243:                            ;   in Loop: Header=BB186_162 Depth=1
	s_or_b32 exec_lo, exec_lo, s99
.LBB186_244:                            ;   in Loop: Header=BB186_162 Depth=1
	s_delay_alu instid0(SALU_CYCLE_1)
	s_or_b32 exec_lo, exec_lo, s98
.LBB186_245:                            ;   in Loop: Header=BB186_162 Depth=1
	s_and_not1_saveexec_b32 s3, s97
	s_cbranch_execz .LBB186_247
; %bb.246:                              ;   in Loop: Header=BB186_162 Depth=1
	v_max_f64 v[10:11], |v[16:17]|, |v[16:17]|
	v_max_f64 v[28:29], |v[14:15]|, |v[14:15]|
	v_cmp_class_f64_e64 s4, v[14:15], 0x204
	v_cmp_class_f64_e64 s5, v[16:17], 0x204
	s_mov_b32 s91, s21
	s_mov_b32 s10, s80
	v_cmp_eq_f64_e64 s2, 0, v[16:17]
	s_delay_alu instid0(VALU_DEP_4) | instskip(SKIP_1) | instid1(VALU_DEP_4)
	v_max_f64 v[30:31], v[28:29], v[10:11]
	v_min_f64 v[10:11], v[28:29], v[10:11]
	s_or_b32 s6, s4, s5
	s_delay_alu instid0(VALU_DEP_2) | instskip(NEXT) | instid1(VALU_DEP_1)
	v_frexp_exp_i32_f64_e32 v8, v[30:31]
	v_sub_nc_u32_e32 v12, 0, v8
	s_delay_alu instid0(VALU_DEP_1) | instskip(SKIP_1) | instid1(VALU_DEP_2)
	v_ldexp_f64 v[32:33], |v[16:17]|, v12
	v_ldexp_f64 v[34:35], |v[14:15]|, v12
	v_mul_f64 v[32:33], v[32:33], v[32:33]
	s_delay_alu instid0(VALU_DEP_1) | instskip(NEXT) | instid1(VALU_DEP_1)
	v_fma_f64 v[32:33], v[34:35], v[34:35], v[32:33]
	v_rsq_f64_e32 v[34:35], v[32:33]
	v_cmp_eq_f64_e32 vcc_lo, 0, v[32:33]
	s_waitcnt_depctr 0xfff
	v_mul_f64 v[36:37], v[32:33], v[34:35]
	v_mul_f64 v[34:35], v[34:35], 0.5
	s_delay_alu instid0(VALU_DEP_1) | instskip(NEXT) | instid1(VALU_DEP_1)
	v_fma_f64 v[38:39], -v[34:35], v[36:37], 0.5
	v_fma_f64 v[36:37], v[36:37], v[38:39], v[36:37]
	v_fma_f64 v[34:35], v[34:35], v[38:39], v[34:35]
	s_delay_alu instid0(VALU_DEP_2) | instskip(NEXT) | instid1(VALU_DEP_1)
	v_fma_f64 v[38:39], -v[36:37], v[36:37], v[32:33]
	v_fma_f64 v[34:35], v[38:39], v[34:35], v[36:37]
	s_delay_alu instid0(VALU_DEP_1) | instskip(SKIP_1) | instid1(VALU_DEP_2)
	v_dual_cndmask_b32 v33, v35, v33 :: v_dual_cndmask_b32 v32, v34, v32
	v_div_scale_f64 v[56:57], vcc_lo, v[10:11], v[30:31], v[10:11]
	v_ldexp_f64 v[32:33], v[32:33], v8
	s_delay_alu instid0(VALU_DEP_1) | instskip(NEXT) | instid1(VALU_DEP_2)
	v_cndmask_b32_e64 v35, v33, 0x7ff00000, s6
	v_cndmask_b32_e64 v34, v32, 0, s6
	s_delay_alu instid0(VALU_DEP_1) | instskip(SKIP_1) | instid1(VALU_DEP_2)
	v_frexp_mant_f64_e32 v[36:37], v[34:35]
	v_frexp_exp_i32_f64_e32 v8, v[34:35]
	v_cmp_gt_f64_e64 s1, s[20:21], v[36:37]
	s_delay_alu instid0(VALU_DEP_1) | instskip(NEXT) | instid1(VALU_DEP_1)
	v_cndmask_b32_e64 v19, 0x3ff00000, 2.0, s1
	v_mul_f64 v[36:37], v[36:37], v[18:19]
	s_delay_alu instid0(VALU_DEP_1) | instskip(SKIP_1) | instid1(VALU_DEP_2)
	v_add_f64 v[38:39], v[36:37], 1.0
	v_add_f64 v[44:45], v[36:37], -1.0
	v_rcp_f64_e32 v[40:41], v[38:39]
	v_add_f64 v[46:47], v[38:39], -1.0
	s_delay_alu instid0(VALU_DEP_1) | instskip(SKIP_2) | instid1(VALU_DEP_1)
	v_add_f64 v[36:37], v[36:37], -v[46:47]
	s_waitcnt_depctr 0xfff
	v_fma_f64 v[42:43], -v[38:39], v[40:41], 1.0
	v_fma_f64 v[40:41], v[42:43], v[40:41], v[40:41]
	s_delay_alu instid0(VALU_DEP_1) | instskip(NEXT) | instid1(VALU_DEP_1)
	v_fma_f64 v[42:43], -v[38:39], v[40:41], 1.0
	v_fma_f64 v[40:41], v[42:43], v[40:41], v[40:41]
	v_div_scale_f64 v[42:43], null, v[30:31], v[30:31], v[10:11]
	s_delay_alu instid0(VALU_DEP_2) | instskip(NEXT) | instid1(VALU_DEP_2)
	v_mul_f64 v[28:29], v[44:45], v[40:41]
	v_rcp_f64_e32 v[50:51], v[42:43]
	s_delay_alu instid0(VALU_DEP_1) | instskip(SKIP_3) | instid1(VALU_DEP_1)
	v_mul_f64 v[48:49], v[38:39], v[28:29]
	s_waitcnt_depctr 0xfff
	v_fma_f64 v[46:47], -v[42:43], v[50:51], 1.0
	v_fma_f64 v[38:39], v[28:29], v[38:39], -v[48:49]
	v_fma_f64 v[36:37], v[28:29], v[36:37], v[38:39]
	s_delay_alu instid0(VALU_DEP_3) | instskip(NEXT) | instid1(VALU_DEP_2)
	v_fma_f64 v[38:39], v[50:51], v[46:47], v[50:51]
	v_add_f64 v[46:47], v[48:49], v[36:37]
	s_delay_alu instid0(VALU_DEP_2) | instskip(NEXT) | instid1(VALU_DEP_2)
	v_fma_f64 v[50:51], -v[42:43], v[38:39], 1.0
	v_add_f64 v[52:53], v[44:45], -v[46:47]
	s_delay_alu instid0(VALU_DEP_2) | instskip(SKIP_1) | instid1(VALU_DEP_3)
	v_fma_f64 v[38:39], v[38:39], v[50:51], v[38:39]
	v_add_f64 v[48:49], v[46:47], -v[48:49]
	v_add_f64 v[44:45], v[44:45], -v[52:53]
	s_delay_alu instid0(VALU_DEP_3) | instskip(NEXT) | instid1(VALU_DEP_3)
	v_mul_f64 v[50:51], v[56:57], v[38:39]
	v_add_f64 v[36:37], v[48:49], -v[36:37]
	s_delay_alu instid0(VALU_DEP_3) | instskip(NEXT) | instid1(VALU_DEP_3)
	v_add_f64 v[44:45], v[44:45], -v[46:47]
	v_fma_f64 v[42:43], -v[42:43], v[50:51], v[56:57]
	s_delay_alu instid0(VALU_DEP_2) | instskip(NEXT) | instid1(VALU_DEP_2)
	v_add_f64 v[36:37], v[36:37], v[44:45]
	v_div_fmas_f64 v[38:39], v[42:43], v[38:39], v[50:51]
	v_subrev_co_ci_u32_e64 v8, vcc_lo, 0, v8, s1
	v_cmp_class_f64_e64 s1, v[32:33], 0x204
	v_cmp_gt_i32_e32 vcc_lo, 0, v15
	v_cndmask_b32_e32 v12, 0x54442d18, v54, vcc_lo
	v_add_f64 v[36:37], v[52:53], v[36:37]
	v_div_fixup_f64 v[10:11], v[38:39], v[30:31], v[10:11]
	s_delay_alu instid0(VALU_DEP_2) | instskip(NEXT) | instid1(VALU_DEP_2)
	v_mul_f64 v[30:31], v[40:41], v[36:37]
	v_mul_f64 v[36:37], v[10:11], v[10:11]
	s_delay_alu instid0(VALU_DEP_2) | instskip(NEXT) | instid1(VALU_DEP_2)
	v_add_f64 v[38:39], v[28:29], v[30:31]
	v_fma_f64 v[40:41], v[36:37], s[42:43], s[40:41]
	s_delay_alu instid0(VALU_DEP_2) | instskip(NEXT) | instid1(VALU_DEP_2)
	v_mul_f64 v[42:43], v[38:39], v[38:39]
	v_fma_f64 v[40:41], v[36:37], v[40:41], s[44:45]
	v_add_f64 v[28:29], v[38:39], -v[28:29]
	s_delay_alu instid0(VALU_DEP_3) | instskip(NEXT) | instid1(VALU_DEP_3)
	v_fma_f64 v[44:45], v[42:43], s[24:25], s[22:23]
	v_fma_f64 v[40:41], v[36:37], v[40:41], s[46:47]
	v_mul_f64 v[46:47], v[38:39], v[42:43]
	s_delay_alu instid0(VALU_DEP_4) | instskip(NEXT) | instid1(VALU_DEP_4)
	v_add_f64 v[28:29], v[30:31], -v[28:29]
	v_fma_f64 v[44:45], v[42:43], v[44:45], s[26:27]
	s_delay_alu instid0(VALU_DEP_4) | instskip(NEXT) | instid1(VALU_DEP_3)
	v_fma_f64 v[40:41], v[36:37], v[40:41], s[48:49]
	v_ldexp_f64 v[28:29], v[28:29], 1
	s_delay_alu instid0(VALU_DEP_3) | instskip(NEXT) | instid1(VALU_DEP_3)
	v_fma_f64 v[44:45], v[42:43], v[44:45], s[28:29]
	v_fma_f64 v[40:41], v[36:37], v[40:41], s[50:51]
	s_delay_alu instid0(VALU_DEP_2) | instskip(NEXT) | instid1(VALU_DEP_2)
	v_fma_f64 v[44:45], v[42:43], v[44:45], s[30:31]
	v_fma_f64 v[40:41], v[36:37], v[40:41], s[52:53]
	s_delay_alu instid0(VALU_DEP_2) | instskip(NEXT) | instid1(VALU_DEP_2)
	;; [unrolled: 3-line block ×3, first 2 shown]
	v_fma_f64 v[42:43], v[42:43], v[44:45], s[90:91]
	v_fma_f64 v[40:41], v[36:37], v[40:41], s[56:57]
	v_ldexp_f64 v[44:45], v[38:39], 1
	s_delay_alu instid0(VALU_DEP_3) | instskip(NEXT) | instid1(VALU_DEP_3)
	v_mul_f64 v[42:43], v[46:47], v[42:43]
	v_fma_f64 v[40:41], v[36:37], v[40:41], s[58:59]
	v_cvt_f64_i32_e32 v[46:47], v8
	v_ashrrev_i32_e32 v8, 31, v15
	v_cndmask_b32_e32 v15, 0x3fe921fb, v55, vcc_lo
	s_delay_alu instid0(VALU_DEP_1) | instskip(SKIP_3) | instid1(VALU_DEP_3)
	v_bfi_b32 v15, 0x7fffffff, v15, v17
	v_add_f64 v[38:39], v[44:45], v[42:43]
	v_fma_f64 v[40:41], v[36:37], v[40:41], s[60:61]
	v_mul_f64 v[48:49], v[46:47], s[36:37]
	v_add_f64 v[30:31], v[38:39], -v[44:45]
	s_delay_alu instid0(VALU_DEP_3) | instskip(NEXT) | instid1(VALU_DEP_3)
	v_fma_f64 v[40:41], v[36:37], v[40:41], s[62:63]
	v_fma_f64 v[44:45], v[46:47], s[36:37], -v[48:49]
	s_delay_alu instid0(VALU_DEP_3) | instskip(NEXT) | instid1(VALU_DEP_3)
	v_add_f64 v[30:31], v[42:43], -v[30:31]
	v_fma_f64 v[40:41], v[36:37], v[40:41], s[64:65]
	s_delay_alu instid0(VALU_DEP_3) | instskip(NEXT) | instid1(VALU_DEP_3)
	v_fma_f64 v[42:43], v[46:47], s[38:39], v[44:45]
	v_add_f64 v[28:29], v[28:29], v[30:31]
	s_delay_alu instid0(VALU_DEP_3) | instskip(NEXT) | instid1(VALU_DEP_3)
	v_fma_f64 v[30:31], v[36:37], v[40:41], s[66:67]
	v_add_f64 v[40:41], v[48:49], v[42:43]
	s_delay_alu instid0(VALU_DEP_3) | instskip(NEXT) | instid1(VALU_DEP_3)
	v_add_f64 v[44:45], v[38:39], v[28:29]
	v_fma_f64 v[30:31], v[36:37], v[30:31], s[68:69]
	s_delay_alu instid0(VALU_DEP_3) | instskip(NEXT) | instid1(VALU_DEP_3)
	v_add_f64 v[48:49], v[40:41], -v[48:49]
	v_add_f64 v[46:47], v[40:41], v[44:45]
	s_delay_alu instid0(VALU_DEP_3) | instskip(SKIP_1) | instid1(VALU_DEP_4)
	v_fma_f64 v[30:31], v[36:37], v[30:31], s[70:71]
	v_add_f64 v[38:39], v[44:45], -v[38:39]
	v_add_f64 v[42:43], v[42:43], -v[48:49]
	s_delay_alu instid0(VALU_DEP_4) | instskip(NEXT) | instid1(VALU_DEP_4)
	v_add_f64 v[50:51], v[46:47], -v[40:41]
	v_fma_f64 v[30:31], v[36:37], v[30:31], s[72:73]
	s_delay_alu instid0(VALU_DEP_4) | instskip(NEXT) | instid1(VALU_DEP_3)
	v_add_f64 v[28:29], v[28:29], -v[38:39]
	v_add_f64 v[52:53], v[46:47], -v[50:51]
	s_delay_alu instid0(VALU_DEP_3) | instskip(SKIP_1) | instid1(VALU_DEP_4)
	v_fma_f64 v[30:31], v[36:37], v[30:31], s[74:75]
	v_add_f64 v[38:39], v[44:45], -v[50:51]
	v_add_f64 v[44:45], v[42:43], v[28:29]
	s_delay_alu instid0(VALU_DEP_4) | instskip(NEXT) | instid1(VALU_DEP_4)
	v_add_f64 v[40:41], v[40:41], -v[52:53]
	v_fma_f64 v[30:31], v[36:37], v[30:31], s[76:77]
	s_delay_alu instid0(VALU_DEP_2) | instskip(NEXT) | instid1(VALU_DEP_2)
	v_add_f64 v[38:39], v[38:39], v[40:41]
	v_fma_f64 v[30:31], v[36:37], v[30:31], s[78:79]
	v_add_f64 v[40:41], v[44:45], -v[42:43]
	s_delay_alu instid0(VALU_DEP_3) | instskip(NEXT) | instid1(VALU_DEP_3)
	v_add_f64 v[38:39], v[44:45], v[38:39]
	v_mul_f64 v[30:31], v[36:37], v[30:31]
	s_delay_alu instid0(VALU_DEP_3) | instskip(SKIP_1) | instid1(VALU_DEP_4)
	v_add_f64 v[36:37], v[44:45], -v[40:41]
	v_add_f64 v[28:29], v[28:29], -v[40:41]
	v_add_f64 v[44:45], v[46:47], v[38:39]
	s_delay_alu instid0(VALU_DEP_4) | instskip(NEXT) | instid1(VALU_DEP_4)
	v_fma_f64 v[10:11], v[10:11], v[30:31], v[10:11]
	v_add_f64 v[30:31], v[42:43], -v[36:37]
	s_delay_alu instid0(VALU_DEP_3) | instskip(NEXT) | instid1(VALU_DEP_3)
	v_add_f64 v[36:37], v[44:45], -v[46:47]
	v_add_f64 v[40:41], -v[10:11], s[80:81]
	s_delay_alu instid0(VALU_DEP_3) | instskip(NEXT) | instid1(VALU_DEP_3)
	v_add_f64 v[28:29], v[28:29], v[30:31]
	v_add_f64 v[30:31], v[38:39], -v[36:37]
	s_delay_alu instid0(VALU_DEP_3) | instskip(NEXT) | instid1(VALU_DEP_4)
	v_cndmask_b32_e64 v11, v11, v41, s0
	v_cndmask_b32_e64 v10, v10, v40, s0
	s_delay_alu instid0(VALU_DEP_3) | instskip(NEXT) | instid1(VALU_DEP_2)
	v_add_f64 v[28:29], v[28:29], v[30:31]
	v_add_f64 v[30:31], -v[10:11], s[10:11]
	v_and_b32_e32 v14, 0x54442d18, v8
	v_and_b32_e32 v8, 0x400921fb, v8
	s_delay_alu instid0(VALU_DEP_4) | instskip(NEXT) | instid1(VALU_DEP_4)
	v_add_f64 v[28:29], v[44:45], v[28:29]
	v_cndmask_b32_e32 v11, v11, v31, vcc_lo
	s_delay_alu instid0(VALU_DEP_1)
	v_cndmask_b32_e64 v8, v11, v8, s2
	v_cndmask_b32_e32 v10, v10, v30, vcc_lo
	v_cmp_ngt_f64_e32 vcc_lo, 0, v[34:35]
	v_cndmask_b32_e64 v19, v29, v33, s1
	v_cndmask_b32_e64 v28, v28, v32, s1
	v_cmp_nge_f64_e64 s1, 0, v[34:35]
	s_delay_alu instid0(VALU_DEP_3) | instskip(NEXT) | instid1(VALU_DEP_1)
	v_cndmask_b32_e64 v19, v19, 0x7ff00000, s6
	v_cndmask_b32_e32 v11, 0x7ff80000, v19, vcc_lo
	s_and_b32 vcc_lo, s4, s5
	v_cndmask_b32_e32 v29, v8, v15, vcc_lo
	v_cndmask_b32_e64 v14, v10, v14, s2
	v_cndmask_b32_e64 v10, v28, 0, s6
	s_delay_alu instid0(VALU_DEP_2) | instskip(NEXT) | instid1(VALU_DEP_2)
	v_cndmask_b32_e32 v28, v14, v12, vcc_lo
	v_cndmask_b32_e64 v10, 0, v10, s1
	v_cmp_neq_f64_e64 s1, 0, v[34:35]
	s_delay_alu instid0(VALU_DEP_1)
	v_cndmask_b32_e64 v11, 0xfff00000, v11, s1
.LBB186_247:                            ;   in Loop: Header=BB186_162 Depth=1
	s_or_b32 exec_lo, exec_lo, s3
                                        ; implicit-def: $vgpr32_vgpr33
.LBB186_248:                            ;   in Loop: Header=BB186_162 Depth=1
	s_and_not1_saveexec_b32 s3, s96
	s_cbranch_execz .LBB186_254
; %bb.249:                              ;   in Loop: Header=BB186_162 Depth=1
                                        ; implicit-def: $vgpr10_vgpr11
                                        ; implicit-def: $vgpr28_vgpr29
	s_mov_b32 s1, exec_lo
	v_cmpx_ngt_f64_e32 s[84:85], v[32:33]
	s_xor_b32 s4, exec_lo, s1
	s_cbranch_execz .LBB186_251
; %bb.250:                              ;   in Loop: Header=BB186_162 Depth=1
	v_mul_f64 v[10:11], v[32:33], v[32:33]
	s_mov_b32 s91, s21
	s_mov_b32 s10, s80
	v_cmp_eq_f64_e64 s2, 0, v[16:17]
	v_cmp_class_f64_e64 s5, v[16:17], 0x204
	v_cmp_class_f64_e64 s6, v[14:15], 0x204
	v_cmp_gt_i32_e64 s1, 0, v15
	v_add_f64 v[28:29], v[10:11], 1.0
	s_delay_alu instid0(VALU_DEP_1) | instskip(SKIP_2) | instid1(VALU_DEP_3)
	v_frexp_mant_f64_e32 v[30:31], v[28:29]
	v_frexp_exp_i32_f64_e32 v8, v[28:29]
	v_add_f64 v[32:33], v[28:29], -1.0
	v_cmp_gt_f64_e32 vcc_lo, s[20:21], v[30:31]
	s_delay_alu instid0(VALU_DEP_2) | instskip(SKIP_2) | instid1(VALU_DEP_3)
	v_add_f64 v[30:31], v[32:33], -v[28:29]
	v_add_f64 v[32:33], v[10:11], -v[32:33]
	v_subrev_co_ci_u32_e32 v8, vcc_lo, 0, v8, vcc_lo
	v_add_f64 v[30:31], v[30:31], 1.0
	s_delay_alu instid0(VALU_DEP_2) | instskip(NEXT) | instid1(VALU_DEP_1)
	v_sub_nc_u32_e32 v12, 0, v8
	v_ldexp_f64 v[28:29], v[28:29], v12
	s_delay_alu instid0(VALU_DEP_3) | instskip(NEXT) | instid1(VALU_DEP_2)
	v_add_f64 v[30:31], v[32:33], v[30:31]
	v_add_f64 v[34:35], v[28:29], 1.0
	v_add_f64 v[40:41], v[28:29], -1.0
	s_delay_alu instid0(VALU_DEP_3) | instskip(SKIP_1) | instid1(VALU_DEP_4)
	v_ldexp_f64 v[30:31], v[30:31], v12
	v_cndmask_b32_e64 v12, 0x54442d18, v54, s1
	v_add_f64 v[32:33], v[34:35], -1.0
	s_delay_alu instid0(VALU_DEP_4) | instskip(NEXT) | instid1(VALU_DEP_2)
	v_add_f64 v[42:43], v[40:41], 1.0
	v_add_f64 v[32:33], v[28:29], -v[32:33]
	s_delay_alu instid0(VALU_DEP_2) | instskip(NEXT) | instid1(VALU_DEP_2)
	v_add_f64 v[28:29], v[28:29], -v[42:43]
	v_add_f64 v[32:33], v[30:31], v[32:33]
	s_delay_alu instid0(VALU_DEP_2) | instskip(NEXT) | instid1(VALU_DEP_2)
	v_add_f64 v[28:29], v[30:31], v[28:29]
	v_add_f64 v[36:37], v[34:35], v[32:33]
	s_delay_alu instid0(VALU_DEP_2) | instskip(NEXT) | instid1(VALU_DEP_2)
	v_add_f64 v[42:43], v[40:41], v[28:29]
	v_rcp_f64_e32 v[38:39], v[36:37]
	v_add_f64 v[34:35], v[34:35], -v[36:37]
	s_delay_alu instid0(VALU_DEP_2) | instskip(NEXT) | instid1(VALU_DEP_2)
	v_add_f64 v[40:41], v[40:41], -v[42:43]
	v_add_f64 v[32:33], v[32:33], v[34:35]
	s_waitcnt_depctr 0xfff
	v_fma_f64 v[44:45], -v[36:37], v[38:39], 1.0
	v_add_f64 v[28:29], v[28:29], v[40:41]
	s_delay_alu instid0(VALU_DEP_2) | instskip(NEXT) | instid1(VALU_DEP_1)
	v_fma_f64 v[38:39], v[44:45], v[38:39], v[38:39]
	v_fma_f64 v[30:31], -v[36:37], v[38:39], 1.0
	s_delay_alu instid0(VALU_DEP_1) | instskip(NEXT) | instid1(VALU_DEP_1)
	v_fma_f64 v[30:31], v[30:31], v[38:39], v[38:39]
	v_mul_f64 v[38:39], v[42:43], v[30:31]
	s_delay_alu instid0(VALU_DEP_1) | instskip(NEXT) | instid1(VALU_DEP_1)
	v_mul_f64 v[44:45], v[36:37], v[38:39]
	v_fma_f64 v[34:35], v[38:39], v[36:37], -v[44:45]
	s_delay_alu instid0(VALU_DEP_1) | instskip(NEXT) | instid1(VALU_DEP_1)
	v_fma_f64 v[34:35], v[38:39], v[32:33], v[34:35]
	v_add_f64 v[46:47], v[44:45], v[34:35]
	s_delay_alu instid0(VALU_DEP_1) | instskip(SKIP_2) | instid1(VALU_DEP_3)
	v_add_f64 v[48:49], v[42:43], -v[46:47]
	v_add_f64 v[40:41], v[46:47], -v[44:45]
	v_max_f64 v[44:45], |v[16:17]|, |v[16:17]|
	v_add_f64 v[42:43], v[42:43], -v[48:49]
	s_delay_alu instid0(VALU_DEP_3) | instskip(NEXT) | instid1(VALU_DEP_2)
	v_add_f64 v[34:35], v[40:41], -v[34:35]
	v_add_f64 v[42:43], v[42:43], -v[46:47]
	v_max_f64 v[46:47], |v[14:15]|, |v[14:15]|
	v_cndmask_b32_e64 v14, 0x3fe921fb, v55, s1
	s_delay_alu instid0(VALU_DEP_1) | instskip(NEXT) | instid1(VALU_DEP_4)
	v_bfi_b32 v14, 0x7fffffff, v14, v17
	v_add_f64 v[28:29], v[28:29], v[42:43]
	s_delay_alu instid0(VALU_DEP_4) | instskip(SKIP_1) | instid1(VALU_DEP_3)
	v_max_f64 v[50:51], v[46:47], v[44:45]
	v_min_f64 v[44:45], v[46:47], v[44:45]
	v_add_f64 v[28:29], v[34:35], v[28:29]
	s_delay_alu instid0(VALU_DEP_1) | instskip(NEXT) | instid1(VALU_DEP_1)
	v_add_f64 v[34:35], v[48:49], v[28:29]
	v_mul_f64 v[40:41], v[30:31], v[34:35]
	v_add_f64 v[48:49], v[48:49], -v[34:35]
	s_delay_alu instid0(VALU_DEP_2) | instskip(NEXT) | instid1(VALU_DEP_2)
	v_mul_f64 v[42:43], v[36:37], v[40:41]
	v_add_f64 v[28:29], v[28:29], v[48:49]
	s_delay_alu instid0(VALU_DEP_2) | instskip(NEXT) | instid1(VALU_DEP_1)
	v_fma_f64 v[36:37], v[40:41], v[36:37], -v[42:43]
	v_fma_f64 v[32:33], v[40:41], v[32:33], v[36:37]
	v_div_scale_f64 v[36:37], null, v[50:51], v[50:51], v[44:45]
	s_delay_alu instid0(VALU_DEP_2) | instskip(NEXT) | instid1(VALU_DEP_2)
	v_add_f64 v[46:47], v[42:43], v[32:33]
	v_rcp_f64_e32 v[52:53], v[36:37]
	s_delay_alu instid0(VALU_DEP_1)
	v_add_f64 v[56:57], v[34:35], -v[46:47]
	v_add_f64 v[42:43], v[46:47], -v[42:43]
	s_waitcnt_depctr 0xfff
	v_fma_f64 v[58:59], -v[36:37], v[52:53], 1.0
	v_add_f64 v[34:35], v[34:35], -v[56:57]
	v_add_f64 v[32:33], v[42:43], -v[32:33]
	s_delay_alu instid0(VALU_DEP_3) | instskip(NEXT) | instid1(VALU_DEP_3)
	v_fma_f64 v[52:53], v[52:53], v[58:59], v[52:53]
	v_add_f64 v[34:35], v[34:35], -v[46:47]
	s_delay_alu instid0(VALU_DEP_2) | instskip(NEXT) | instid1(VALU_DEP_2)
	v_fma_f64 v[46:47], -v[36:37], v[52:53], 1.0
	v_add_f64 v[28:29], v[28:29], v[34:35]
	v_div_scale_f64 v[34:35], vcc_lo, v[44:45], v[50:51], v[44:45]
	s_delay_alu instid0(VALU_DEP_3) | instskip(SKIP_1) | instid1(VALU_DEP_4)
	v_fma_f64 v[42:43], v[52:53], v[46:47], v[52:53]
	v_add_f64 v[46:47], v[38:39], v[40:41]
	v_add_f64 v[28:29], v[32:33], v[28:29]
	s_delay_alu instid0(VALU_DEP_3) | instskip(NEXT) | instid1(VALU_DEP_3)
	v_mul_f64 v[32:33], v[34:35], v[42:43]
	v_add_f64 v[38:39], v[46:47], -v[38:39]
	s_delay_alu instid0(VALU_DEP_3) | instskip(NEXT) | instid1(VALU_DEP_3)
	v_add_f64 v[28:29], v[56:57], v[28:29]
	v_fma_f64 v[34:35], -v[36:37], v[32:33], v[34:35]
	s_delay_alu instid0(VALU_DEP_3) | instskip(NEXT) | instid1(VALU_DEP_3)
	v_add_f64 v[36:37], v[40:41], -v[38:39]
	v_mul_f64 v[28:29], v[30:31], v[28:29]
	s_delay_alu instid0(VALU_DEP_3) | instskip(SKIP_1) | instid1(VALU_DEP_3)
	v_div_fmas_f64 v[30:31], v[34:35], v[42:43], v[32:33]
	v_cmp_eq_f64_e32 vcc_lo, 0x7ff00000, v[10:11]
	v_add_f64 v[28:29], v[36:37], v[28:29]
	s_delay_alu instid0(VALU_DEP_3) | instskip(NEXT) | instid1(VALU_DEP_2)
	v_div_fixup_f64 v[30:31], v[30:31], v[50:51], v[44:45]
	v_add_f64 v[32:33], v[46:47], v[28:29]
	s_delay_alu instid0(VALU_DEP_2) | instskip(NEXT) | instid1(VALU_DEP_2)
	v_mul_f64 v[34:35], v[30:31], v[30:31]
	v_mul_f64 v[36:37], v[32:33], v[32:33]
	s_delay_alu instid0(VALU_DEP_2) | instskip(NEXT) | instid1(VALU_DEP_2)
	v_fma_f64 v[38:39], v[34:35], s[42:43], s[40:41]
	v_fma_f64 v[40:41], v[36:37], s[24:25], s[22:23]
	v_mul_f64 v[42:43], v[32:33], v[36:37]
	s_delay_alu instid0(VALU_DEP_3) | instskip(NEXT) | instid1(VALU_DEP_3)
	v_fma_f64 v[38:39], v[34:35], v[38:39], s[44:45]
	v_fma_f64 v[40:41], v[36:37], v[40:41], s[26:27]
	s_delay_alu instid0(VALU_DEP_2) | instskip(NEXT) | instid1(VALU_DEP_2)
	v_fma_f64 v[38:39], v[34:35], v[38:39], s[46:47]
	v_fma_f64 v[40:41], v[36:37], v[40:41], s[28:29]
	s_delay_alu instid0(VALU_DEP_2) | instskip(NEXT) | instid1(VALU_DEP_2)
	v_fma_f64 v[38:39], v[34:35], v[38:39], s[48:49]
	v_fma_f64 v[40:41], v[36:37], v[40:41], s[30:31]
	s_delay_alu instid0(VALU_DEP_2) | instskip(NEXT) | instid1(VALU_DEP_2)
	v_fma_f64 v[38:39], v[34:35], v[38:39], s[50:51]
	v_fma_f64 v[40:41], v[36:37], v[40:41], s[34:35]
	s_delay_alu instid0(VALU_DEP_2) | instskip(NEXT) | instid1(VALU_DEP_2)
	v_fma_f64 v[38:39], v[34:35], v[38:39], s[52:53]
	v_fma_f64 v[36:37], v[36:37], v[40:41], s[90:91]
	v_ldexp_f64 v[40:41], v[32:33], 1
	v_add_f64 v[32:33], v[32:33], -v[46:47]
	s_delay_alu instid0(VALU_DEP_4) | instskip(NEXT) | instid1(VALU_DEP_4)
	v_fma_f64 v[38:39], v[34:35], v[38:39], s[54:55]
	v_mul_f64 v[36:37], v[42:43], v[36:37]
	v_cvt_f64_i32_e32 v[42:43], v8
	s_delay_alu instid0(VALU_DEP_4) | instskip(NEXT) | instid1(VALU_DEP_4)
	v_add_f64 v[28:29], v[28:29], -v[32:33]
	v_fma_f64 v[38:39], v[34:35], v[38:39], s[56:57]
	v_ashrrev_i32_e32 v8, 31, v15
	v_add_f64 v[44:45], v[40:41], v[36:37]
	v_mul_f64 v[46:47], v[42:43], s[36:37]
	v_ldexp_f64 v[28:29], v[28:29], 1
	v_fma_f64 v[38:39], v[34:35], v[38:39], s[58:59]
	s_delay_alu instid0(VALU_DEP_4) | instskip(NEXT) | instid1(VALU_DEP_4)
	v_add_f64 v[32:33], v[44:45], -v[40:41]
	v_fma_f64 v[40:41], v[42:43], s[36:37], -v[46:47]
	s_delay_alu instid0(VALU_DEP_3) | instskip(NEXT) | instid1(VALU_DEP_3)
	v_fma_f64 v[38:39], v[34:35], v[38:39], s[60:61]
	v_add_f64 v[32:33], v[36:37], -v[32:33]
	s_delay_alu instid0(VALU_DEP_2) | instskip(NEXT) | instid1(VALU_DEP_4)
	v_fma_f64 v[36:37], v[34:35], v[38:39], s[62:63]
	v_fma_f64 v[38:39], v[42:43], s[38:39], v[40:41]
	s_delay_alu instid0(VALU_DEP_3) | instskip(NEXT) | instid1(VALU_DEP_3)
	v_add_f64 v[28:29], v[28:29], v[32:33]
	v_fma_f64 v[32:33], v[34:35], v[36:37], s[64:65]
	s_delay_alu instid0(VALU_DEP_3) | instskip(NEXT) | instid1(VALU_DEP_3)
	v_add_f64 v[36:37], v[46:47], v[38:39]
	v_add_f64 v[40:41], v[44:45], v[28:29]
	s_delay_alu instid0(VALU_DEP_3) | instskip(NEXT) | instid1(VALU_DEP_3)
	v_fma_f64 v[32:33], v[34:35], v[32:33], s[66:67]
	v_add_f64 v[46:47], v[36:37], -v[46:47]
	s_delay_alu instid0(VALU_DEP_3) | instskip(SKIP_1) | instid1(VALU_DEP_4)
	v_add_f64 v[42:43], v[36:37], v[40:41]
	v_add_f64 v[44:45], v[40:41], -v[44:45]
	v_fma_f64 v[32:33], v[34:35], v[32:33], s[68:69]
	s_delay_alu instid0(VALU_DEP_4) | instskip(NEXT) | instid1(VALU_DEP_4)
	v_add_f64 v[38:39], v[38:39], -v[46:47]
	v_add_f64 v[48:49], v[42:43], -v[36:37]
	s_delay_alu instid0(VALU_DEP_4) | instskip(NEXT) | instid1(VALU_DEP_4)
	v_add_f64 v[28:29], v[28:29], -v[44:45]
	v_fma_f64 v[32:33], v[34:35], v[32:33], s[70:71]
	s_delay_alu instid0(VALU_DEP_3) | instskip(SKIP_1) | instid1(VALU_DEP_4)
	v_add_f64 v[50:51], v[42:43], -v[48:49]
	v_add_f64 v[40:41], v[40:41], -v[48:49]
	v_add_f64 v[44:45], v[38:39], v[28:29]
	s_delay_alu instid0(VALU_DEP_4) | instskip(NEXT) | instid1(VALU_DEP_4)
	v_fma_f64 v[32:33], v[34:35], v[32:33], s[72:73]
	v_add_f64 v[36:37], v[36:37], -v[50:51]
	s_delay_alu instid0(VALU_DEP_2) | instskip(NEXT) | instid1(VALU_DEP_2)
	v_fma_f64 v[32:33], v[34:35], v[32:33], s[74:75]
	v_add_f64 v[36:37], v[40:41], v[36:37]
	v_add_f64 v[40:41], v[44:45], -v[38:39]
	s_delay_alu instid0(VALU_DEP_3) | instskip(NEXT) | instid1(VALU_DEP_3)
	v_fma_f64 v[32:33], v[34:35], v[32:33], s[76:77]
	v_add_f64 v[36:37], v[44:45], v[36:37]
	s_delay_alu instid0(VALU_DEP_3) | instskip(SKIP_1) | instid1(VALU_DEP_4)
	v_add_f64 v[44:45], v[44:45], -v[40:41]
	v_add_f64 v[28:29], v[28:29], -v[40:41]
	v_fma_f64 v[32:33], v[34:35], v[32:33], s[78:79]
	s_delay_alu instid0(VALU_DEP_4) | instskip(NEXT) | instid1(VALU_DEP_2)
	v_add_f64 v[46:47], v[42:43], v[36:37]
	v_mul_f64 v[32:33], v[34:35], v[32:33]
	v_add_f64 v[34:35], v[38:39], -v[44:45]
	s_delay_alu instid0(VALU_DEP_3) | instskip(NEXT) | instid1(VALU_DEP_3)
	v_add_f64 v[38:39], v[46:47], -v[42:43]
	v_fma_f64 v[30:31], v[30:31], v[32:33], v[30:31]
	s_delay_alu instid0(VALU_DEP_3) | instskip(NEXT) | instid1(VALU_DEP_3)
	v_add_f64 v[28:29], v[28:29], v[34:35]
	v_add_f64 v[32:33], v[36:37], -v[38:39]
	s_delay_alu instid0(VALU_DEP_3) | instskip(NEXT) | instid1(VALU_DEP_2)
	v_add_f64 v[34:35], -v[30:31], s[80:81]
	v_add_f64 v[28:29], v[28:29], v[32:33]
	s_delay_alu instid0(VALU_DEP_2) | instskip(NEXT) | instid1(VALU_DEP_3)
	v_cndmask_b32_e64 v31, v31, v35, s0
	v_cndmask_b32_e64 v30, v30, v34, s0
	s_delay_alu instid0(VALU_DEP_1) | instskip(NEXT) | instid1(VALU_DEP_4)
	v_add_f64 v[32:33], -v[30:31], s[10:11]
	v_add_f64 v[28:29], v[46:47], v[28:29]
	v_and_b32_e32 v19, 0x54442d18, v8
	v_and_b32_e32 v8, 0x400921fb, v8
	s_delay_alu instid0(VALU_DEP_4) | instskip(SKIP_1) | instid1(VALU_DEP_1)
	v_cndmask_b32_e64 v30, v30, v32, s1
	v_cndmask_b32_e64 v15, v31, v33, s1
                                        ; implicit-def: $vgpr32_vgpr33
	v_cndmask_b32_e64 v8, v15, v8, s2
	v_dual_cndmask_b32 v10, v28, v10 :: v_dual_cndmask_b32 v11, v29, v11
	s_delay_alu instid0(VALU_DEP_4) | instskip(SKIP_1) | instid1(VALU_DEP_3)
	v_cndmask_b32_e64 v19, v30, v19, s2
	s_and_b32 vcc_lo, s6, s5
	v_cndmask_b32_e32 v29, v8, v14, vcc_lo
	s_delay_alu instid0(VALU_DEP_3) | instskip(NEXT) | instid1(VALU_DEP_3)
	v_mul_f64 v[10:11], v[10:11], 0.5
	v_cndmask_b32_e32 v28, v19, v12, vcc_lo
.LBB186_251:                            ;   in Loop: Header=BB186_162 Depth=1
	s_and_not1_saveexec_b32 s2, s4
	s_cbranch_execz .LBB186_253
; %bb.252:                              ;   in Loop: Header=BB186_162 Depth=1
	v_max_f64 v[10:11], |v[16:17]|, |v[16:17]|
	v_max_f64 v[28:29], |v[14:15]|, |v[14:15]|
	s_mov_b32 s10, s80
	v_cmp_eq_f64_e64 s1, 0, v[16:17]
	v_cmp_class_f64_e64 s4, v[16:17], 0x204
	v_cmp_class_f64_e64 s5, v[14:15], 0x204
	v_ashrrev_i32_e32 v8, 31, v15
	v_max_f64 v[30:31], v[28:29], v[10:11]
	v_min_f64 v[10:11], v[28:29], v[10:11]
	s_delay_alu instid0(VALU_DEP_1) | instskip(SKIP_1) | instid1(VALU_DEP_2)
	v_div_scale_f64 v[28:29], null, v[30:31], v[30:31], v[10:11]
	v_div_scale_f64 v[38:39], vcc_lo, v[10:11], v[30:31], v[10:11]
	v_rcp_f64_e32 v[34:35], v[28:29]
	s_waitcnt_depctr 0xfff
	v_fma_f64 v[36:37], -v[28:29], v[34:35], 1.0
	s_delay_alu instid0(VALU_DEP_1) | instskip(NEXT) | instid1(VALU_DEP_1)
	v_fma_f64 v[34:35], v[34:35], v[36:37], v[34:35]
	v_fma_f64 v[36:37], -v[28:29], v[34:35], 1.0
	s_delay_alu instid0(VALU_DEP_1) | instskip(NEXT) | instid1(VALU_DEP_1)
	v_fma_f64 v[34:35], v[34:35], v[36:37], v[34:35]
	v_mul_f64 v[36:37], v[38:39], v[34:35]
	s_delay_alu instid0(VALU_DEP_1) | instskip(NEXT) | instid1(VALU_DEP_1)
	v_fma_f64 v[28:29], -v[28:29], v[36:37], v[38:39]
	v_div_fmas_f64 v[28:29], v[28:29], v[34:35], v[36:37]
	v_cmp_gt_i32_e32 vcc_lo, 0, v15
	v_and_b32_e32 v34, 0x54442d18, v8
	v_and_b32_e32 v8, 0x400921fb, v8
	v_cndmask_b32_e32 v19, 0x54442d18, v54, vcc_lo
	v_cndmask_b32_e32 v14, 0x3fe921fb, v55, vcc_lo
	s_delay_alu instid0(VALU_DEP_1) | instskip(SKIP_1) | instid1(VALU_DEP_1)
	v_bfi_b32 v14, 0x7fffffff, v14, v17
	v_div_fixup_f64 v[10:11], v[28:29], v[30:31], v[10:11]
	v_mul_f64 v[28:29], v[10:11], v[10:11]
	s_delay_alu instid0(VALU_DEP_1) | instskip(NEXT) | instid1(VALU_DEP_1)
	v_fma_f64 v[30:31], v[28:29], s[42:43], s[40:41]
	v_fma_f64 v[30:31], v[28:29], v[30:31], s[44:45]
	s_delay_alu instid0(VALU_DEP_1) | instskip(NEXT) | instid1(VALU_DEP_1)
	v_fma_f64 v[30:31], v[28:29], v[30:31], s[46:47]
	v_fma_f64 v[30:31], v[28:29], v[30:31], s[48:49]
	;; [unrolled: 3-line block ×9, first 2 shown]
	s_delay_alu instid0(VALU_DEP_1) | instskip(NEXT) | instid1(VALU_DEP_1)
	v_fma_f64 v[30:31], v[28:29], v[30:31], s[78:79]
	v_mul_f64 v[28:29], v[28:29], v[30:31]
	v_mul_f64 v[30:31], v[32:33], 0.5
	s_delay_alu instid0(VALU_DEP_2) | instskip(NEXT) | instid1(VALU_DEP_1)
	v_fma_f64 v[10:11], v[10:11], v[28:29], v[10:11]
	v_add_f64 v[28:29], -v[10:11], s[80:81]
	s_delay_alu instid0(VALU_DEP_1) | instskip(NEXT) | instid1(VALU_DEP_2)
	v_cndmask_b32_e64 v12, v11, v29, s0
	v_cndmask_b32_e64 v11, v10, v28, s0
	s_delay_alu instid0(VALU_DEP_1) | instskip(NEXT) | instid1(VALU_DEP_1)
	v_add_f64 v[28:29], -v[11:12], s[10:11]
	v_cndmask_b32_e32 v12, v12, v29, vcc_lo
	s_delay_alu instid0(VALU_DEP_1) | instskip(NEXT) | instid1(VALU_DEP_3)
	v_cndmask_b32_e64 v8, v12, v8, s1
	v_cndmask_b32_e32 v28, v11, v28, vcc_lo
	v_mul_f64 v[10:11], v[32:33], v[30:31]
	s_and_b32 vcc_lo, s5, s4
	s_delay_alu instid0(VALU_DEP_3) | instskip(NEXT) | instid1(VALU_DEP_3)
	v_cndmask_b32_e32 v29, v8, v14, vcc_lo
	v_cndmask_b32_e64 v15, v28, v34, s1
	s_delay_alu instid0(VALU_DEP_1)
	v_cndmask_b32_e32 v28, v15, v19, vcc_lo
.LBB186_253:                            ;   in Loop: Header=BB186_162 Depth=1
	s_or_b32 exec_lo, exec_lo, s2
.LBB186_254:                            ;   in Loop: Header=BB186_162 Depth=1
	s_delay_alu instid0(SALU_CYCLE_1)
	s_or_b32 exec_lo, exec_lo, s3
.LBB186_255:                            ;   in Loop: Header=BB186_162 Depth=1
	s_and_not1_saveexec_b32 s3, s95
	s_cbranch_execz .LBB186_257
; %bb.256:                              ;   in Loop: Header=BB186_162 Depth=1
	v_div_scale_f64 v[10:11], null, s[86:87], s[86:87], v[14:15]
	v_div_scale_f64 v[28:29], null, s[86:87], s[86:87], v[16:17]
	v_div_scale_f64 v[38:39], vcc_lo, v[14:15], s[86:87], v[14:15]
	v_max_f64 v[42:43], |v[14:15]|, |v[14:15]|
	s_mov_b32 s91, s21
	s_mov_b32 s10, s80
	s_delay_alu instid0(VALU_DEP_4) | instskip(NEXT) | instid1(VALU_DEP_3)
	v_rcp_f64_e32 v[30:31], v[10:11]
	v_rcp_f64_e32 v[32:33], v[28:29]
	s_waitcnt_depctr 0xfff
	v_fma_f64 v[34:35], -v[10:11], v[30:31], 1.0
	v_fma_f64 v[36:37], -v[28:29], v[32:33], 1.0
	s_delay_alu instid0(VALU_DEP_2) | instskip(NEXT) | instid1(VALU_DEP_2)
	v_fma_f64 v[30:31], v[30:31], v[34:35], v[30:31]
	v_fma_f64 v[32:33], v[32:33], v[36:37], v[32:33]
	s_delay_alu instid0(VALU_DEP_2) | instskip(NEXT) | instid1(VALU_DEP_2)
	v_fma_f64 v[34:35], -v[10:11], v[30:31], 1.0
	v_fma_f64 v[36:37], -v[28:29], v[32:33], 1.0
	s_delay_alu instid0(VALU_DEP_2) | instskip(SKIP_1) | instid1(VALU_DEP_3)
	v_fma_f64 v[30:31], v[30:31], v[34:35], v[30:31]
	v_div_scale_f64 v[34:35], s1, v[16:17], s[86:87], v[16:17]
	v_fma_f64 v[32:33], v[32:33], v[36:37], v[32:33]
	s_delay_alu instid0(VALU_DEP_3) | instskip(NEXT) | instid1(VALU_DEP_2)
	v_mul_f64 v[36:37], v[38:39], v[30:31]
	v_mul_f64 v[40:41], v[34:35], v[32:33]
	s_delay_alu instid0(VALU_DEP_2) | instskip(NEXT) | instid1(VALU_DEP_2)
	v_fma_f64 v[10:11], -v[10:11], v[36:37], v[38:39]
	v_fma_f64 v[28:29], -v[28:29], v[40:41], v[34:35]
	s_delay_alu instid0(VALU_DEP_2) | instskip(SKIP_1) | instid1(VALU_DEP_2)
	v_div_fmas_f64 v[10:11], v[10:11], v[30:31], v[36:37]
	s_mov_b32 vcc_lo, s1
	v_div_fmas_f64 v[28:29], v[28:29], v[32:33], v[40:41]
	s_delay_alu instid0(VALU_DEP_2) | instskip(NEXT) | instid1(VALU_DEP_2)
	v_div_fixup_f64 v[10:11], v[10:11], s[86:87], v[14:15]
	v_div_fixup_f64 v[28:29], v[28:29], s[86:87], v[16:17]
	s_delay_alu instid0(VALU_DEP_2) | instskip(NEXT) | instid1(VALU_DEP_2)
	v_cmp_class_f64_e64 s2, v[10:11], 0x204
	v_max_f64 v[30:31], |v[10:11]|, |v[28:29]|
	v_cmp_o_f64_e64 s1, v[10:11], v[28:29]
	v_cmp_class_f64_e64 s4, v[28:29], 0x204
	s_delay_alu instid0(VALU_DEP_3) | instskip(NEXT) | instid1(VALU_DEP_2)
	v_frexp_exp_i32_f64_e32 v8, v[30:31]
	s_or_b32 s4, s2, s4
	s_delay_alu instid0(VALU_DEP_1) | instskip(NEXT) | instid1(VALU_DEP_1)
	v_sub_nc_u32_e32 v12, 0, v8
	v_ldexp_f64 v[30:31], |v[28:29]|, v12
	v_ldexp_f64 v[32:33], |v[10:11]|, v12
	s_delay_alu instid0(VALU_DEP_2) | instskip(NEXT) | instid1(VALU_DEP_1)
	v_mul_f64 v[30:31], v[30:31], v[30:31]
	v_fma_f64 v[30:31], v[32:33], v[32:33], v[30:31]
	s_delay_alu instid0(VALU_DEP_1) | instskip(SKIP_4) | instid1(VALU_DEP_1)
	v_rsq_f64_e32 v[32:33], v[30:31]
	v_cmp_eq_f64_e32 vcc_lo, 0, v[30:31]
	s_waitcnt_depctr 0xfff
	v_mul_f64 v[34:35], v[30:31], v[32:33]
	v_mul_f64 v[32:33], v[32:33], 0.5
	v_fma_f64 v[36:37], -v[32:33], v[34:35], 0.5
	s_delay_alu instid0(VALU_DEP_1) | instskip(SKIP_1) | instid1(VALU_DEP_2)
	v_fma_f64 v[34:35], v[34:35], v[36:37], v[34:35]
	v_fma_f64 v[32:33], v[32:33], v[36:37], v[32:33]
	v_fma_f64 v[36:37], -v[34:35], v[34:35], v[30:31]
	s_delay_alu instid0(VALU_DEP_1) | instskip(NEXT) | instid1(VALU_DEP_1)
	v_fma_f64 v[32:33], v[36:37], v[32:33], v[34:35]
	v_dual_cndmask_b32 v31, v33, v31 :: v_dual_cndmask_b32 v30, v32, v30
	s_delay_alu instid0(VALU_DEP_1) | instskip(NEXT) | instid1(VALU_DEP_1)
	v_ldexp_f64 v[30:31], v[30:31], v8
	v_cndmask_b32_e64 v8, 0, v30, s1
	s_delay_alu instid0(VALU_DEP_2) | instskip(NEXT) | instid1(VALU_DEP_2)
	v_cndmask_b32_e64 v10, 0x7ff80000, v31, s1
	v_cndmask_b32_e64 v11, v8, 0, s4
	s_delay_alu instid0(VALU_DEP_2) | instskip(NEXT) | instid1(VALU_DEP_1)
	v_cndmask_b32_e64 v12, v10, 0x7ff00000, s4
	v_frexp_mant_f64_e32 v[28:29], v[11:12]
	s_delay_alu instid0(VALU_DEP_1) | instskip(NEXT) | instid1(VALU_DEP_1)
	v_cmp_gt_f64_e64 s2, s[20:21], v[28:29]
	v_cndmask_b32_e64 v19, 0x3ff00000, 2.0, s2
	s_delay_alu instid0(VALU_DEP_1) | instskip(SKIP_1) | instid1(VALU_DEP_2)
	v_mul_f64 v[28:29], v[28:29], v[18:19]
	v_frexp_exp_i32_f64_e32 v19, v[11:12]
	v_add_f64 v[32:33], v[28:29], 1.0
	v_add_f64 v[38:39], v[28:29], -1.0
	s_delay_alu instid0(VALU_DEP_2) | instskip(SKIP_1) | instid1(VALU_DEP_1)
	v_rcp_f64_e32 v[34:35], v[32:33]
	v_add_f64 v[44:45], v[32:33], -1.0
	v_add_f64 v[28:29], v[28:29], -v[44:45]
	s_waitcnt_depctr 0xfff
	v_fma_f64 v[36:37], -v[32:33], v[34:35], 1.0
	s_delay_alu instid0(VALU_DEP_1) | instskip(NEXT) | instid1(VALU_DEP_1)
	v_fma_f64 v[34:35], v[36:37], v[34:35], v[34:35]
	v_fma_f64 v[36:37], -v[32:33], v[34:35], 1.0
	s_delay_alu instid0(VALU_DEP_1) | instskip(SKIP_1) | instid1(VALU_DEP_2)
	v_fma_f64 v[34:35], v[36:37], v[34:35], v[34:35]
	v_max_f64 v[36:37], |v[16:17]|, |v[16:17]|
	v_mul_f64 v[40:41], v[38:39], v[34:35]
	s_delay_alu instid0(VALU_DEP_2) | instskip(SKIP_1) | instid1(VALU_DEP_3)
	v_max_f64 v[48:49], v[42:43], v[36:37]
	v_min_f64 v[36:37], v[42:43], v[36:37]
	v_mul_f64 v[46:47], v[32:33], v[40:41]
	s_delay_alu instid0(VALU_DEP_2) | instskip(NEXT) | instid1(VALU_DEP_2)
	v_div_scale_f64 v[42:43], null, v[48:49], v[48:49], v[36:37]
	v_fma_f64 v[32:33], v[40:41], v[32:33], -v[46:47]
	s_delay_alu instid0(VALU_DEP_1) | instskip(NEXT) | instid1(VALU_DEP_3)
	v_fma_f64 v[28:29], v[40:41], v[28:29], v[32:33]
	v_rcp_f64_e32 v[32:33], v[42:43]
	s_delay_alu instid0(VALU_DEP_1) | instskip(SKIP_4) | instid1(VALU_DEP_3)
	v_add_f64 v[44:45], v[46:47], v[28:29]
	s_waitcnt_depctr 0xfff
	v_fma_f64 v[50:51], -v[42:43], v[32:33], 1.0
	v_add_f64 v[52:53], v[38:39], -v[44:45]
	v_add_f64 v[46:47], v[44:45], -v[46:47]
	v_fma_f64 v[32:33], v[32:33], v[50:51], v[32:33]
	s_delay_alu instid0(VALU_DEP_3) | instskip(NEXT) | instid1(VALU_DEP_3)
	v_add_f64 v[38:39], v[38:39], -v[52:53]
	v_add_f64 v[28:29], v[46:47], -v[28:29]
	s_delay_alu instid0(VALU_DEP_3) | instskip(NEXT) | instid1(VALU_DEP_3)
	v_fma_f64 v[50:51], -v[42:43], v[32:33], 1.0
	v_add_f64 v[38:39], v[38:39], -v[44:45]
	v_div_scale_f64 v[44:45], vcc_lo, v[36:37], v[48:49], v[36:37]
	s_delay_alu instid0(VALU_DEP_3) | instskip(NEXT) | instid1(VALU_DEP_3)
	v_fma_f64 v[32:33], v[32:33], v[50:51], v[32:33]
	v_add_f64 v[28:29], v[28:29], v[38:39]
	s_delay_alu instid0(VALU_DEP_2) | instskip(NEXT) | instid1(VALU_DEP_2)
	v_mul_f64 v[38:39], v[44:45], v[32:33]
	v_add_f64 v[28:29], v[52:53], v[28:29]
	s_delay_alu instid0(VALU_DEP_2) | instskip(NEXT) | instid1(VALU_DEP_2)
	v_fma_f64 v[42:43], -v[42:43], v[38:39], v[44:45]
	v_mul_f64 v[28:29], v[34:35], v[28:29]
	s_delay_alu instid0(VALU_DEP_2) | instskip(SKIP_2) | instid1(VALU_DEP_4)
	v_div_fmas_f64 v[32:33], v[42:43], v[32:33], v[38:39]
	v_subrev_co_ci_u32_e64 v19, vcc_lo, 0, v19, s2
	v_cmp_class_f64_e64 s2, v[14:15], 0x204
	v_add_f64 v[34:35], v[40:41], v[28:29]
	s_delay_alu instid0(VALU_DEP_4) | instskip(NEXT) | instid1(VALU_DEP_2)
	v_div_fixup_f64 v[32:33], v[32:33], v[48:49], v[36:37]
	v_mul_f64 v[36:37], v[34:35], v[34:35]
	s_delay_alu instid0(VALU_DEP_2) | instskip(NEXT) | instid1(VALU_DEP_2)
	v_mul_f64 v[38:39], v[32:33], v[32:33]
	v_fma_f64 v[42:43], v[36:37], s[24:25], s[22:23]
	v_mul_f64 v[46:47], v[34:35], v[36:37]
	s_delay_alu instid0(VALU_DEP_3) | instskip(NEXT) | instid1(VALU_DEP_3)
	v_fma_f64 v[44:45], v[38:39], s[42:43], s[40:41]
	v_fma_f64 v[42:43], v[36:37], v[42:43], s[26:27]
	s_delay_alu instid0(VALU_DEP_2) | instskip(NEXT) | instid1(VALU_DEP_2)
	v_fma_f64 v[44:45], v[38:39], v[44:45], s[44:45]
	v_fma_f64 v[42:43], v[36:37], v[42:43], s[28:29]
	s_delay_alu instid0(VALU_DEP_2) | instskip(NEXT) | instid1(VALU_DEP_2)
	;; [unrolled: 3-line block ×4, first 2 shown]
	v_fma_f64 v[44:45], v[38:39], v[44:45], s[50:51]
	v_fma_f64 v[36:37], v[36:37], v[42:43], s[90:91]
	s_delay_alu instid0(VALU_DEP_2) | instskip(SKIP_2) | instid1(VALU_DEP_4)
	v_fma_f64 v[42:43], v[38:39], v[44:45], s[52:53]
	v_ldexp_f64 v[44:45], v[34:35], 1
	v_add_f64 v[34:35], v[34:35], -v[40:41]
	v_mul_f64 v[36:37], v[46:47], v[36:37]
	v_cvt_f64_i32_e32 v[46:47], v19
	v_ashrrev_i32_e32 v19, 31, v15
	v_fma_f64 v[42:43], v[38:39], v[42:43], s[54:55]
	v_add_f64 v[28:29], v[28:29], -v[34:35]
	v_add_f64 v[40:41], v[44:45], v[36:37]
	v_mul_f64 v[48:49], v[46:47], s[36:37]
	s_delay_alu instid0(VALU_DEP_4) | instskip(NEXT) | instid1(VALU_DEP_4)
	v_fma_f64 v[42:43], v[38:39], v[42:43], s[56:57]
	v_ldexp_f64 v[28:29], v[28:29], 1
	s_delay_alu instid0(VALU_DEP_4) | instskip(NEXT) | instid1(VALU_DEP_4)
	v_add_f64 v[34:35], v[40:41], -v[44:45]
	v_fma_f64 v[44:45], v[46:47], s[36:37], -v[48:49]
	s_delay_alu instid0(VALU_DEP_4) | instskip(NEXT) | instid1(VALU_DEP_3)
	v_fma_f64 v[42:43], v[38:39], v[42:43], s[58:59]
	v_add_f64 v[34:35], v[36:37], -v[34:35]
	s_delay_alu instid0(VALU_DEP_2) | instskip(NEXT) | instid1(VALU_DEP_4)
	v_fma_f64 v[36:37], v[38:39], v[42:43], s[60:61]
	v_fma_f64 v[42:43], v[46:47], s[38:39], v[44:45]
	s_delay_alu instid0(VALU_DEP_3) | instskip(NEXT) | instid1(VALU_DEP_3)
	v_add_f64 v[28:29], v[28:29], v[34:35]
	v_fma_f64 v[34:35], v[38:39], v[36:37], s[62:63]
	s_delay_alu instid0(VALU_DEP_3) | instskip(NEXT) | instid1(VALU_DEP_3)
	v_add_f64 v[36:37], v[48:49], v[42:43]
	v_add_f64 v[44:45], v[40:41], v[28:29]
	s_delay_alu instid0(VALU_DEP_3) | instskip(NEXT) | instid1(VALU_DEP_3)
	v_fma_f64 v[34:35], v[38:39], v[34:35], s[64:65]
	v_add_f64 v[48:49], v[36:37], -v[48:49]
	s_delay_alu instid0(VALU_DEP_3) | instskip(SKIP_1) | instid1(VALU_DEP_4)
	v_add_f64 v[46:47], v[36:37], v[44:45]
	v_add_f64 v[40:41], v[44:45], -v[40:41]
	v_fma_f64 v[34:35], v[38:39], v[34:35], s[66:67]
	s_delay_alu instid0(VALU_DEP_4) | instskip(NEXT) | instid1(VALU_DEP_4)
	v_add_f64 v[42:43], v[42:43], -v[48:49]
	v_add_f64 v[50:51], v[46:47], -v[36:37]
	s_delay_alu instid0(VALU_DEP_4) | instskip(NEXT) | instid1(VALU_DEP_4)
	v_add_f64 v[28:29], v[28:29], -v[40:41]
	v_fma_f64 v[34:35], v[38:39], v[34:35], s[68:69]
	s_delay_alu instid0(VALU_DEP_3) | instskip(SKIP_1) | instid1(VALU_DEP_4)
	v_add_f64 v[52:53], v[46:47], -v[50:51]
	v_add_f64 v[40:41], v[44:45], -v[50:51]
	v_add_f64 v[44:45], v[42:43], v[28:29]
	s_delay_alu instid0(VALU_DEP_4) | instskip(NEXT) | instid1(VALU_DEP_4)
	v_fma_f64 v[34:35], v[38:39], v[34:35], s[70:71]
	v_add_f64 v[36:37], v[36:37], -v[52:53]
	s_delay_alu instid0(VALU_DEP_2) | instskip(NEXT) | instid1(VALU_DEP_2)
	v_fma_f64 v[34:35], v[38:39], v[34:35], s[72:73]
	v_add_f64 v[36:37], v[40:41], v[36:37]
	v_add_f64 v[40:41], v[44:45], -v[42:43]
	s_delay_alu instid0(VALU_DEP_3) | instskip(NEXT) | instid1(VALU_DEP_3)
	v_fma_f64 v[34:35], v[38:39], v[34:35], s[74:75]
	v_add_f64 v[36:37], v[44:45], v[36:37]
	s_delay_alu instid0(VALU_DEP_3) | instskip(SKIP_1) | instid1(VALU_DEP_4)
	v_add_f64 v[44:45], v[44:45], -v[40:41]
	v_add_f64 v[28:29], v[28:29], -v[40:41]
	v_fma_f64 v[34:35], v[38:39], v[34:35], s[76:77]
	s_delay_alu instid0(VALU_DEP_4) | instskip(NEXT) | instid1(VALU_DEP_4)
	v_add_f64 v[48:49], v[46:47], v[36:37]
	v_add_f64 v[40:41], v[42:43], -v[44:45]
	s_delay_alu instid0(VALU_DEP_3) | instskip(NEXT) | instid1(VALU_DEP_3)
	v_fma_f64 v[34:35], v[38:39], v[34:35], s[78:79]
	v_add_f64 v[42:43], v[48:49], -v[46:47]
	s_delay_alu instid0(VALU_DEP_3) | instskip(NEXT) | instid1(VALU_DEP_3)
	v_add_f64 v[28:29], v[28:29], v[40:41]
	v_mul_f64 v[34:35], v[38:39], v[34:35]
	s_delay_alu instid0(VALU_DEP_3) | instskip(NEXT) | instid1(VALU_DEP_2)
	v_add_f64 v[36:37], v[36:37], -v[42:43]
	v_fma_f64 v[32:33], v[32:33], v[34:35], v[32:33]
	s_delay_alu instid0(VALU_DEP_2) | instskip(NEXT) | instid1(VALU_DEP_2)
	v_add_f64 v[28:29], v[28:29], v[36:37]
	v_add_f64 v[34:35], -v[32:33], s[80:81]
	s_delay_alu instid0(VALU_DEP_2) | instskip(SKIP_1) | instid1(VALU_DEP_1)
	v_add_f64 v[28:29], v[48:49], v[28:29]
	v_and_b32_e32 v31, 0x7fffffff, v31
	v_cmp_eq_f64_e32 vcc_lo, 0x7ff00000, v[30:31]
	s_delay_alu instid0(VALU_DEP_4) | instskip(SKIP_2) | instid1(VALU_DEP_2)
	v_cndmask_b32_e64 v31, v33, v35, s0
	v_cndmask_b32_e64 v30, v32, v34, s0
	v_cmp_eq_f64_e64 s0, 0, v[16:17]
	v_add_f64 v[32:33], -v[30:31], s[10:11]
	s_and_b32 vcc_lo, s1, vcc_lo
	v_cmp_class_f64_e64 s1, v[16:17], 0x204
	v_dual_cndmask_b32 v28, v28, v8 :: v_dual_cndmask_b32 v29, v29, v10
	v_and_b32_e32 v10, 0x54442d18, v19
	v_cmp_gt_i32_e32 vcc_lo, 0, v15
	v_and_b32_e32 v15, 0x400921fb, v19
	s_delay_alu instid0(VALU_DEP_4) | instskip(SKIP_3) | instid1(VALU_DEP_3)
	v_add_f64 v[28:29], v[28:29], 1.0
	v_cndmask_b32_e32 v30, v30, v32, vcc_lo
	v_cndmask_b32_e32 v8, 0x54442d18, v54, vcc_lo
	;; [unrolled: 1-line block ×3, first 2 shown]
	v_cndmask_b32_e64 v30, v30, v10, s0
	v_cndmask_b32_e32 v19, v31, v33, vcc_lo
	v_cmp_ngt_f64_e32 vcc_lo, 0, v[11:12]
	s_delay_alu instid0(VALU_DEP_4) | instskip(NEXT) | instid1(VALU_DEP_3)
	v_bfi_b32 v14, 0x7fffffff, v14, v17
	v_cndmask_b32_e64 v10, v19, v15, s0
	v_cmp_nge_f64_e64 s0, 0, v[11:12]
	v_cndmask_b32_e64 v29, v29, 0x7ff00000, s4
	v_cndmask_b32_e64 v15, v28, 0, s4
	s_delay_alu instid0(VALU_DEP_2)
	v_cndmask_b32_e32 v19, 0x7ff80000, v29, vcc_lo
	s_and_b32 vcc_lo, s2, s1
	v_cndmask_b32_e32 v28, v30, v8, vcc_lo
	v_cndmask_b32_e32 v29, v10, v14, vcc_lo
	v_cndmask_b32_e64 v10, 0, v15, s0
	v_cmp_neq_f64_e64 s0, 0, v[11:12]
	s_delay_alu instid0(VALU_DEP_1)
	v_cndmask_b32_e64 v11, 0xfff00000, v19, s0
.LBB186_257:                            ;   in Loop: Header=BB186_162 Depth=1
	s_or_b32 exec_lo, exec_lo, s3
.LBB186_258:                            ;   in Loop: Header=BB186_162 Depth=1
	s_and_not1_saveexec_b32 s0, s94
	s_cbranch_execz .LBB186_264
; %bb.259:                              ;   in Loop: Header=BB186_162 Depth=1
	v_cmp_ngt_f64_e64 s1, 0x20000000, |v[14:15]|
	v_cmp_ngt_f64_e64 s2, 0x20000000, |v[16:17]|
                                        ; implicit-def: $vgpr11_vgpr12
	s_delay_alu instid0(VALU_DEP_1) | instskip(NEXT) | instid1(SALU_CYCLE_1)
	s_or_b32 s1, s1, s2
	s_and_saveexec_b32 s2, s1
	s_delay_alu instid0(SALU_CYCLE_1)
	s_xor_b32 s1, exec_lo, s2
; %bb.260:                              ;   in Loop: Header=BB186_162 Depth=1
	v_mul_f64 v[10:11], v[16:17], v[16:17]
	s_delay_alu instid0(VALU_DEP_1)
	v_fma_f64 v[11:12], v[14:15], v[14:15], v[10:11]
; %bb.261:                              ;   in Loop: Header=BB186_162 Depth=1
	s_and_not1_saveexec_b32 s1, s1
; %bb.262:                              ;   in Loop: Header=BB186_162 Depth=1
	v_mul_f64 v[10:11], v[16:17], 4.0
	v_mul_f64 v[14:15], v[14:15], 4.0
	s_delay_alu instid0(VALU_DEP_2) | instskip(NEXT) | instid1(VALU_DEP_1)
	v_mul_f64 v[10:11], v[10:11], v[10:11]
	v_fma_f64 v[10:11], v[14:15], v[14:15], v[10:11]
	s_delay_alu instid0(VALU_DEP_1)
	v_ldexp_f64 v[11:12], v[10:11], -4
; %bb.263:                              ;   in Loop: Header=BB186_162 Depth=1
	s_or_b32 exec_lo, exec_lo, s1
	s_delay_alu instid0(VALU_DEP_1) | instskip(SKIP_2) | instid1(VALU_DEP_2)
	v_frexp_mant_f64_e32 v[14:15], v[11:12]
	s_mov_b32 s91, s21
	v_frexp_exp_i32_f64_e32 v8, v[11:12]
	v_cmp_gt_f64_e32 vcc_lo, s[20:21], v[14:15]
	v_cndmask_b32_e64 v19, 0x3ff00000, 2.0, vcc_lo
	s_delay_alu instid0(VALU_DEP_3) | instskip(SKIP_1) | instid1(VALU_DEP_3)
	v_subrev_co_ci_u32_e32 v8, vcc_lo, 0, v8, vcc_lo
	v_cmp_class_f64_e64 vcc_lo, v[11:12], 0x204
	v_mul_f64 v[14:15], v[14:15], v[18:19]
	s_delay_alu instid0(VALU_DEP_1) | instskip(SKIP_1) | instid1(VALU_DEP_2)
	v_add_f64 v[28:29], v[14:15], 1.0
	v_add_f64 v[34:35], v[14:15], -1.0
	v_rcp_f64_e32 v[30:31], v[28:29]
	v_add_f64 v[36:37], v[28:29], -1.0
	s_delay_alu instid0(VALU_DEP_1) | instskip(SKIP_2) | instid1(VALU_DEP_1)
	v_add_f64 v[14:15], v[14:15], -v[36:37]
	s_waitcnt_depctr 0xfff
	v_fma_f64 v[32:33], -v[28:29], v[30:31], 1.0
	v_fma_f64 v[30:31], v[32:33], v[30:31], v[30:31]
	s_delay_alu instid0(VALU_DEP_1) | instskip(NEXT) | instid1(VALU_DEP_1)
	v_fma_f64 v[32:33], -v[28:29], v[30:31], 1.0
	v_fma_f64 v[30:31], v[32:33], v[30:31], v[30:31]
	s_delay_alu instid0(VALU_DEP_1) | instskip(NEXT) | instid1(VALU_DEP_1)
	v_mul_f64 v[32:33], v[34:35], v[30:31]
	v_mul_f64 v[38:39], v[28:29], v[32:33]
	s_delay_alu instid0(VALU_DEP_1) | instskip(NEXT) | instid1(VALU_DEP_1)
	v_fma_f64 v[28:29], v[32:33], v[28:29], -v[38:39]
	v_fma_f64 v[14:15], v[32:33], v[14:15], v[28:29]
	s_delay_alu instid0(VALU_DEP_1) | instskip(NEXT) | instid1(VALU_DEP_1)
	v_add_f64 v[28:29], v[38:39], v[14:15]
	v_add_f64 v[36:37], v[34:35], -v[28:29]
	v_add_f64 v[38:39], v[28:29], -v[38:39]
	s_delay_alu instid0(VALU_DEP_2) | instskip(NEXT) | instid1(VALU_DEP_2)
	v_add_f64 v[34:35], v[34:35], -v[36:37]
	v_add_f64 v[14:15], v[38:39], -v[14:15]
	s_delay_alu instid0(VALU_DEP_2) | instskip(NEXT) | instid1(VALU_DEP_1)
	v_add_f64 v[28:29], v[34:35], -v[28:29]
	v_add_f64 v[14:15], v[14:15], v[28:29]
	s_delay_alu instid0(VALU_DEP_1) | instskip(NEXT) | instid1(VALU_DEP_1)
	v_add_f64 v[14:15], v[36:37], v[14:15]
	v_mul_f64 v[14:15], v[30:31], v[14:15]
	s_delay_alu instid0(VALU_DEP_1) | instskip(NEXT) | instid1(VALU_DEP_1)
	v_add_f64 v[28:29], v[32:33], v[14:15]
	v_mul_f64 v[30:31], v[28:29], v[28:29]
	s_delay_alu instid0(VALU_DEP_1) | instskip(SKIP_1) | instid1(VALU_DEP_2)
	v_fma_f64 v[34:35], v[30:31], s[24:25], s[22:23]
	v_mul_f64 v[36:37], v[28:29], v[30:31]
	v_fma_f64 v[34:35], v[30:31], v[34:35], s[26:27]
	s_delay_alu instid0(VALU_DEP_1) | instskip(NEXT) | instid1(VALU_DEP_1)
	v_fma_f64 v[34:35], v[30:31], v[34:35], s[28:29]
	v_fma_f64 v[34:35], v[30:31], v[34:35], s[30:31]
	s_delay_alu instid0(VALU_DEP_1) | instskip(NEXT) | instid1(VALU_DEP_1)
	v_fma_f64 v[34:35], v[30:31], v[34:35], s[34:35]
	v_fma_f64 v[30:31], v[30:31], v[34:35], s[90:91]
	v_ldexp_f64 v[34:35], v[28:29], 1
	v_add_f64 v[28:29], v[28:29], -v[32:33]
	s_delay_alu instid0(VALU_DEP_3) | instskip(SKIP_1) | instid1(VALU_DEP_3)
	v_mul_f64 v[30:31], v[36:37], v[30:31]
	v_cvt_f64_i32_e32 v[36:37], v8
	v_add_f64 v[14:15], v[14:15], -v[28:29]
	s_delay_alu instid0(VALU_DEP_3) | instskip(NEXT) | instid1(VALU_DEP_3)
	v_add_f64 v[32:33], v[34:35], v[30:31]
	v_mul_f64 v[38:39], v[36:37], s[36:37]
	s_delay_alu instid0(VALU_DEP_3) | instskip(NEXT) | instid1(VALU_DEP_3)
	v_ldexp_f64 v[14:15], v[14:15], 1
	v_add_f64 v[28:29], v[32:33], -v[34:35]
	s_delay_alu instid0(VALU_DEP_3) | instskip(NEXT) | instid1(VALU_DEP_2)
	v_fma_f64 v[34:35], v[36:37], s[36:37], -v[38:39]
	v_add_f64 v[28:29], v[30:31], -v[28:29]
	s_delay_alu instid0(VALU_DEP_2) | instskip(NEXT) | instid1(VALU_DEP_2)
	v_fma_f64 v[30:31], v[36:37], s[38:39], v[34:35]
	v_add_f64 v[14:15], v[14:15], v[28:29]
	s_delay_alu instid0(VALU_DEP_2) | instskip(NEXT) | instid1(VALU_DEP_2)
	v_add_f64 v[28:29], v[38:39], v[30:31]
	v_add_f64 v[34:35], v[32:33], v[14:15]
	s_delay_alu instid0(VALU_DEP_2) | instskip(NEXT) | instid1(VALU_DEP_2)
	v_add_f64 v[38:39], v[28:29], -v[38:39]
	v_add_f64 v[36:37], v[28:29], v[34:35]
	v_add_f64 v[32:33], v[34:35], -v[32:33]
	s_delay_alu instid0(VALU_DEP_3) | instskip(NEXT) | instid1(VALU_DEP_3)
	v_add_f64 v[30:31], v[30:31], -v[38:39]
	v_add_f64 v[40:41], v[36:37], -v[28:29]
	s_delay_alu instid0(VALU_DEP_3) | instskip(NEXT) | instid1(VALU_DEP_2)
	v_add_f64 v[14:15], v[14:15], -v[32:33]
	v_add_f64 v[42:43], v[36:37], -v[40:41]
	;; [unrolled: 1-line block ×3, first 2 shown]
	s_delay_alu instid0(VALU_DEP_3) | instskip(NEXT) | instid1(VALU_DEP_3)
	v_add_f64 v[34:35], v[30:31], v[14:15]
	v_add_f64 v[28:29], v[28:29], -v[42:43]
	s_delay_alu instid0(VALU_DEP_1) | instskip(NEXT) | instid1(VALU_DEP_3)
	v_add_f64 v[28:29], v[32:33], v[28:29]
	v_add_f64 v[32:33], v[34:35], -v[30:31]
	s_delay_alu instid0(VALU_DEP_2) | instskip(NEXT) | instid1(VALU_DEP_2)
	v_add_f64 v[28:29], v[34:35], v[28:29]
	v_add_f64 v[34:35], v[34:35], -v[32:33]
	v_add_f64 v[14:15], v[14:15], -v[32:33]
	s_delay_alu instid0(VALU_DEP_3) | instskip(NEXT) | instid1(VALU_DEP_3)
	v_add_f64 v[38:39], v[36:37], v[28:29]
	v_add_f64 v[30:31], v[30:31], -v[34:35]
	s_delay_alu instid0(VALU_DEP_2) | instskip(NEXT) | instid1(VALU_DEP_2)
	v_add_f64 v[32:33], v[38:39], -v[36:37]
	v_add_f64 v[14:15], v[14:15], v[30:31]
	s_delay_alu instid0(VALU_DEP_2) | instskip(NEXT) | instid1(VALU_DEP_1)
	v_add_f64 v[28:29], v[28:29], -v[32:33]
	v_add_f64 v[14:15], v[14:15], v[28:29]
	s_delay_alu instid0(VALU_DEP_1) | instskip(NEXT) | instid1(VALU_DEP_1)
	v_add_f64 v[14:15], v[38:39], v[14:15]
	v_cndmask_b32_e32 v8, v14, v11, vcc_lo
	s_delay_alu instid0(VALU_DEP_2) | instskip(SKIP_1) | instid1(VALU_DEP_2)
	v_cndmask_b32_e32 v10, v15, v12, vcc_lo
	v_cmp_ngt_f64_e32 vcc_lo, 0, v[11:12]
	v_cndmask_b32_e32 v14, 0x7ff80000, v10, vcc_lo
	v_cmp_nge_f64_e32 vcc_lo, 0, v[11:12]
	v_mov_b32_e32 v28, 0
	v_dual_mov_b32 v29, 0x7ff80000 :: v_dual_cndmask_b32 v10, 0, v8
	v_cmp_neq_f64_e32 vcc_lo, 0, v[11:12]
	v_cndmask_b32_e32 v11, 0xfff00000, v14, vcc_lo
.LBB186_264:                            ;   in Loop: Header=BB186_162 Depth=1
	s_or_b32 exec_lo, exec_lo, s0
                                        ; implicit-def: $vgpr14_vgpr15
                                        ; implicit-def: $vgpr30_vgpr31
	s_delay_alu instid0(SALU_CYCLE_1)
	s_mov_b32 s0, exec_lo
	v_cmpx_o_f64_e32 v[2:3], v[4:5]
	s_xor_b32 s94, exec_lo, s0
	s_cbranch_execz .LBB186_292
; %bb.265:                              ;   in Loop: Header=BB186_162 Depth=1
	v_cmp_lt_f64_e64 s0, |v[2:3]|, |v[4:5]|
	v_and_b32_e32 v8, 0x7fffffff, v3
	v_and_b32_e32 v12, 0x7fffffff, v5
	v_mov_b32_e32 v16, v4
                                        ; implicit-def: $vgpr14_vgpr15
                                        ; implicit-def: $vgpr30_vgpr31
	s_mov_b32 s1, exec_lo
	s_delay_alu instid0(VALU_DEP_2) | instskip(NEXT) | instid1(VALU_DEP_2)
	v_cndmask_b32_e64 v35, v12, v8, s0
	v_cndmask_b32_e64 v34, v16, v2, s0
	s_delay_alu instid0(VALU_DEP_1)
	v_cmpx_nlt_f64_e32 s[12:13], v[34:35]
	s_xor_b32 s95, exec_lo, s1
	s_cbranch_execz .LBB186_289
; %bb.266:                              ;   in Loop: Header=BB186_162 Depth=1
	v_cndmask_b32_e64 v37, v8, v12, s0
	v_cndmask_b32_e64 v36, v2, v16, s0
                                        ; implicit-def: $vgpr14_vgpr15
                                        ; implicit-def: $vgpr30_vgpr31
	s_mov_b32 s1, exec_lo
	s_delay_alu instid0(VALU_DEP_1)
	v_cmpx_neq_f64_e32 1.0, v[36:37]
	s_xor_b32 s96, exec_lo, s1
	s_cbranch_execz .LBB186_282
; %bb.267:                              ;   in Loop: Header=BB186_162 Depth=1
	v_max_f64 v[14:15], v[34:35], v[34:35]
	v_max_f64 v[30:31], v[36:37], v[36:37]
	s_delay_alu instid0(VALU_DEP_1) | instskip(SKIP_1) | instid1(VALU_DEP_2)
	v_min_f64 v[32:33], v[30:31], v[14:15]
	v_max_f64 v[14:15], v[30:31], v[14:15]
                                        ; implicit-def: $vgpr30_vgpr31
	v_cmp_ngt_f64_e32 vcc_lo, s[14:15], v[32:33]
	s_delay_alu instid0(VALU_DEP_2) | instskip(NEXT) | instid1(VALU_DEP_1)
	v_cmp_nlt_f64_e64 s1, s[16:17], v[14:15]
                                        ; implicit-def: $vgpr14_vgpr15
	s_and_b32 s1, s1, vcc_lo
	s_delay_alu instid0(SALU_CYCLE_1) | instskip(NEXT) | instid1(SALU_CYCLE_1)
	s_and_saveexec_b32 s2, s1
	s_xor_b32 s97, exec_lo, s2
	s_cbranch_execz .LBB186_279
; %bb.268:                              ;   in Loop: Header=BB186_162 Depth=1
                                        ; implicit-def: $vgpr14_vgpr15
                                        ; implicit-def: $vgpr30_vgpr31
	s_mov_b32 s1, exec_lo
	v_cmpx_le_f64_e32 1.0, v[36:37]
	s_xor_b32 s2, exec_lo, s1
	s_cbranch_execz .LBB186_270
; %bb.269:                              ;   in Loop: Header=BB186_162 Depth=1
	v_add_f64 v[14:15], v[36:37], -1.0
	v_add_f64 v[30:31], v[36:37], 1.0
	s_mov_b32 s91, s21
	s_mov_b32 s10, s80
	v_cmp_gt_i32_e64 s1, 0, v3
	v_cmp_class_f64_e64 s4, v[2:3], 0x204
	v_cmp_class_f64_e64 s3, v[4:5], 0x204
	s_delay_alu instid0(VALU_DEP_4) | instskip(NEXT) | instid1(VALU_DEP_1)
	v_mul_f64 v[14:15], v[14:15], v[30:31]
	v_fma_f64 v[15:16], v[34:35], v[34:35], v[14:15]
	s_delay_alu instid0(VALU_DEP_1) | instskip(NEXT) | instid1(VALU_DEP_1)
	v_add_f64 v[30:31], v[15:16], 1.0
	v_frexp_mant_f64_e32 v[32:33], v[30:31]
	v_frexp_exp_i32_f64_e32 v8, v[30:31]
	v_add_f64 v[34:35], v[30:31], -1.0
	s_delay_alu instid0(VALU_DEP_3) | instskip(NEXT) | instid1(VALU_DEP_2)
	v_cmp_gt_f64_e32 vcc_lo, s[20:21], v[32:33]
	v_add_f64 v[32:33], v[34:35], -v[30:31]
	v_add_f64 v[34:35], v[15:16], -v[34:35]
	v_subrev_co_ci_u32_e32 v8, vcc_lo, 0, v8, vcc_lo
	s_delay_alu instid0(VALU_DEP_3) | instskip(NEXT) | instid1(VALU_DEP_2)
	v_add_f64 v[32:33], v[32:33], 1.0
	v_sub_nc_u32_e32 v12, 0, v8
	s_delay_alu instid0(VALU_DEP_1) | instskip(NEXT) | instid1(VALU_DEP_3)
	v_ldexp_f64 v[30:31], v[30:31], v12
	v_add_f64 v[32:33], v[34:35], v[32:33]
	s_delay_alu instid0(VALU_DEP_2) | instskip(SKIP_1) | instid1(VALU_DEP_3)
	v_add_f64 v[36:37], v[30:31], 1.0
	v_add_f64 v[42:43], v[30:31], -1.0
	v_ldexp_f64 v[32:33], v[32:33], v12
	v_cndmask_b32_e64 v12, 0x54442d18, v54, s1
	s_delay_alu instid0(VALU_DEP_4) | instskip(NEXT) | instid1(VALU_DEP_4)
	v_add_f64 v[34:35], v[36:37], -1.0
	v_add_f64 v[44:45], v[42:43], 1.0
	s_delay_alu instid0(VALU_DEP_2) | instskip(NEXT) | instid1(VALU_DEP_2)
	v_add_f64 v[34:35], v[30:31], -v[34:35]
	v_add_f64 v[30:31], v[30:31], -v[44:45]
	s_delay_alu instid0(VALU_DEP_2) | instskip(NEXT) | instid1(VALU_DEP_2)
	v_add_f64 v[34:35], v[32:33], v[34:35]
	v_add_f64 v[30:31], v[32:33], v[30:31]
	s_delay_alu instid0(VALU_DEP_2) | instskip(NEXT) | instid1(VALU_DEP_2)
	v_add_f64 v[38:39], v[36:37], v[34:35]
	v_add_f64 v[44:45], v[42:43], v[30:31]
	s_delay_alu instid0(VALU_DEP_2) | instskip(SKIP_1) | instid1(VALU_DEP_2)
	v_rcp_f64_e32 v[40:41], v[38:39]
	v_add_f64 v[36:37], v[38:39], -v[36:37]
	v_add_f64 v[42:43], v[44:45], -v[42:43]
	s_delay_alu instid0(VALU_DEP_2) | instskip(SKIP_3) | instid1(VALU_DEP_2)
	v_add_f64 v[34:35], v[34:35], -v[36:37]
	s_waitcnt_depctr 0xfff
	v_fma_f64 v[46:47], -v[38:39], v[40:41], 1.0
	v_add_f64 v[30:31], v[30:31], -v[42:43]
	v_fma_f64 v[40:41], v[46:47], v[40:41], v[40:41]
	s_delay_alu instid0(VALU_DEP_1) | instskip(NEXT) | instid1(VALU_DEP_1)
	v_fma_f64 v[32:33], -v[38:39], v[40:41], 1.0
	v_fma_f64 v[32:33], v[32:33], v[40:41], v[40:41]
	s_delay_alu instid0(VALU_DEP_1) | instskip(NEXT) | instid1(VALU_DEP_1)
	v_mul_f64 v[40:41], v[44:45], v[32:33]
	v_mul_f64 v[46:47], v[38:39], v[40:41]
	s_delay_alu instid0(VALU_DEP_1) | instskip(NEXT) | instid1(VALU_DEP_1)
	v_fma_f64 v[36:37], v[40:41], v[38:39], -v[46:47]
	v_fma_f64 v[36:37], v[40:41], v[34:35], v[36:37]
	s_delay_alu instid0(VALU_DEP_1) | instskip(NEXT) | instid1(VALU_DEP_1)
	v_add_f64 v[48:49], v[46:47], v[36:37]
	v_add_f64 v[50:51], v[44:45], -v[48:49]
	v_add_f64 v[42:43], v[48:49], -v[46:47]
	v_max_f64 v[46:47], |v[4:5]|, |v[4:5]|
	s_delay_alu instid0(VALU_DEP_3) | instskip(NEXT) | instid1(VALU_DEP_3)
	v_add_f64 v[44:45], v[44:45], -v[50:51]
	v_add_f64 v[36:37], v[42:43], -v[36:37]
	s_delay_alu instid0(VALU_DEP_2) | instskip(SKIP_2) | instid1(VALU_DEP_1)
	v_add_f64 v[44:45], v[44:45], -v[48:49]
	v_max_f64 v[48:49], |v[2:3]|, |v[2:3]|
	v_cndmask_b32_e64 v2, 0x3fe921fb, v55, s1
	v_bfi_b32 v2, 0x7fffffff, v2, v5
	s_delay_alu instid0(VALU_DEP_4) | instskip(NEXT) | instid1(VALU_DEP_4)
	v_add_f64 v[30:31], v[30:31], v[44:45]
	v_max_f64 v[52:53], v[48:49], v[46:47]
	v_min_f64 v[46:47], v[48:49], v[46:47]
	s_delay_alu instid0(VALU_DEP_3) | instskip(NEXT) | instid1(VALU_DEP_1)
	v_add_f64 v[30:31], v[36:37], v[30:31]
	v_add_f64 v[36:37], v[50:51], v[30:31]
	s_delay_alu instid0(VALU_DEP_1) | instskip(SKIP_1) | instid1(VALU_DEP_2)
	v_mul_f64 v[42:43], v[32:33], v[36:37]
	v_add_f64 v[50:51], v[50:51], -v[36:37]
	v_mul_f64 v[44:45], v[38:39], v[42:43]
	s_delay_alu instid0(VALU_DEP_2) | instskip(NEXT) | instid1(VALU_DEP_2)
	v_add_f64 v[30:31], v[30:31], v[50:51]
	v_fma_f64 v[38:39], v[42:43], v[38:39], -v[44:45]
	s_delay_alu instid0(VALU_DEP_1) | instskip(SKIP_1) | instid1(VALU_DEP_2)
	v_fma_f64 v[34:35], v[42:43], v[34:35], v[38:39]
	v_div_scale_f64 v[38:39], null, v[52:53], v[52:53], v[46:47]
	v_add_f64 v[48:49], v[44:45], v[34:35]
	s_delay_alu instid0(VALU_DEP_2) | instskip(NEXT) | instid1(VALU_DEP_1)
	v_rcp_f64_e32 v[56:57], v[38:39]
	v_add_f64 v[58:59], v[36:37], -v[48:49]
	v_add_f64 v[44:45], v[48:49], -v[44:45]
	s_waitcnt_depctr 0xfff
	v_fma_f64 v[60:61], -v[38:39], v[56:57], 1.0
	v_add_f64 v[36:37], v[36:37], -v[58:59]
	v_add_f64 v[34:35], v[44:45], -v[34:35]
	s_delay_alu instid0(VALU_DEP_3) | instskip(NEXT) | instid1(VALU_DEP_3)
	v_fma_f64 v[56:57], v[56:57], v[60:61], v[56:57]
	v_add_f64 v[36:37], v[36:37], -v[48:49]
	s_delay_alu instid0(VALU_DEP_2) | instskip(NEXT) | instid1(VALU_DEP_2)
	v_fma_f64 v[48:49], -v[38:39], v[56:57], 1.0
	v_add_f64 v[30:31], v[30:31], v[36:37]
	v_div_scale_f64 v[36:37], vcc_lo, v[46:47], v[52:53], v[46:47]
	s_delay_alu instid0(VALU_DEP_3) | instskip(SKIP_1) | instid1(VALU_DEP_4)
	v_fma_f64 v[44:45], v[56:57], v[48:49], v[56:57]
	v_add_f64 v[48:49], v[40:41], v[42:43]
	v_add_f64 v[30:31], v[34:35], v[30:31]
	s_delay_alu instid0(VALU_DEP_3) | instskip(NEXT) | instid1(VALU_DEP_3)
	v_mul_f64 v[34:35], v[36:37], v[44:45]
	v_add_f64 v[40:41], v[48:49], -v[40:41]
	s_delay_alu instid0(VALU_DEP_3) | instskip(NEXT) | instid1(VALU_DEP_3)
	v_add_f64 v[30:31], v[58:59], v[30:31]
	v_fma_f64 v[36:37], -v[38:39], v[34:35], v[36:37]
	s_delay_alu instid0(VALU_DEP_3) | instskip(NEXT) | instid1(VALU_DEP_3)
	v_add_f64 v[38:39], v[42:43], -v[40:41]
	v_mul_f64 v[30:31], v[32:33], v[30:31]
	s_delay_alu instid0(VALU_DEP_3) | instskip(SKIP_1) | instid1(VALU_DEP_3)
	v_div_fmas_f64 v[32:33], v[36:37], v[44:45], v[34:35]
	v_cmp_eq_f64_e32 vcc_lo, 0x7ff00000, v[15:16]
	v_add_f64 v[30:31], v[38:39], v[30:31]
	s_delay_alu instid0(VALU_DEP_3) | instskip(NEXT) | instid1(VALU_DEP_2)
	v_div_fixup_f64 v[32:33], v[32:33], v[52:53], v[46:47]
	v_add_f64 v[34:35], v[48:49], v[30:31]
	s_delay_alu instid0(VALU_DEP_2) | instskip(NEXT) | instid1(VALU_DEP_2)
	v_mul_f64 v[36:37], v[32:33], v[32:33]
	v_mul_f64 v[38:39], v[34:35], v[34:35]
	s_delay_alu instid0(VALU_DEP_2) | instskip(NEXT) | instid1(VALU_DEP_2)
	v_fma_f64 v[40:41], v[36:37], s[42:43], s[40:41]
	v_fma_f64 v[42:43], v[38:39], s[24:25], s[22:23]
	v_mul_f64 v[44:45], v[34:35], v[38:39]
	s_delay_alu instid0(VALU_DEP_3) | instskip(NEXT) | instid1(VALU_DEP_3)
	v_fma_f64 v[40:41], v[36:37], v[40:41], s[44:45]
	v_fma_f64 v[42:43], v[38:39], v[42:43], s[26:27]
	s_delay_alu instid0(VALU_DEP_2) | instskip(NEXT) | instid1(VALU_DEP_2)
	v_fma_f64 v[40:41], v[36:37], v[40:41], s[46:47]
	v_fma_f64 v[42:43], v[38:39], v[42:43], s[28:29]
	s_delay_alu instid0(VALU_DEP_2) | instskip(NEXT) | instid1(VALU_DEP_2)
	;; [unrolled: 3-line block ×4, first 2 shown]
	v_fma_f64 v[40:41], v[36:37], v[40:41], s[52:53]
	v_fma_f64 v[38:39], v[38:39], v[42:43], s[90:91]
	v_ldexp_f64 v[42:43], v[34:35], 1
	v_add_f64 v[34:35], v[34:35], -v[48:49]
	s_delay_alu instid0(VALU_DEP_4) | instskip(NEXT) | instid1(VALU_DEP_4)
	v_fma_f64 v[40:41], v[36:37], v[40:41], s[54:55]
	v_mul_f64 v[38:39], v[44:45], v[38:39]
	v_cvt_f64_i32_e32 v[44:45], v8
	s_delay_alu instid0(VALU_DEP_4) | instskip(NEXT) | instid1(VALU_DEP_4)
	v_add_f64 v[30:31], v[30:31], -v[34:35]
	v_fma_f64 v[40:41], v[36:37], v[40:41], s[56:57]
	v_ashrrev_i32_e32 v8, 31, v3
	s_delay_alu instid0(VALU_DEP_1) | instskip(SKIP_4) | instid1(VALU_DEP_4)
	v_and_b32_e32 v3, 0x400921fb, v8
	v_add_f64 v[46:47], v[42:43], v[38:39]
	v_mul_f64 v[48:49], v[44:45], s[36:37]
	v_ldexp_f64 v[30:31], v[30:31], 1
	v_fma_f64 v[40:41], v[36:37], v[40:41], s[58:59]
	v_add_f64 v[34:35], v[46:47], -v[42:43]
	s_delay_alu instid0(VALU_DEP_4) | instskip(NEXT) | instid1(VALU_DEP_3)
	v_fma_f64 v[42:43], v[44:45], s[36:37], -v[48:49]
	v_fma_f64 v[40:41], v[36:37], v[40:41], s[60:61]
	s_delay_alu instid0(VALU_DEP_3) | instskip(NEXT) | instid1(VALU_DEP_2)
	v_add_f64 v[34:35], v[38:39], -v[34:35]
	v_fma_f64 v[38:39], v[36:37], v[40:41], s[62:63]
	s_delay_alu instid0(VALU_DEP_4) | instskip(NEXT) | instid1(VALU_DEP_3)
	v_fma_f64 v[40:41], v[44:45], s[38:39], v[42:43]
	v_add_f64 v[30:31], v[30:31], v[34:35]
	s_delay_alu instid0(VALU_DEP_3) | instskip(NEXT) | instid1(VALU_DEP_3)
	v_fma_f64 v[34:35], v[36:37], v[38:39], s[64:65]
	v_add_f64 v[38:39], v[48:49], v[40:41]
	s_delay_alu instid0(VALU_DEP_3) | instskip(NEXT) | instid1(VALU_DEP_3)
	v_add_f64 v[42:43], v[46:47], v[30:31]
	v_fma_f64 v[34:35], v[36:37], v[34:35], s[66:67]
	s_delay_alu instid0(VALU_DEP_3) | instskip(NEXT) | instid1(VALU_DEP_3)
	v_add_f64 v[48:49], v[38:39], -v[48:49]
	v_add_f64 v[44:45], v[38:39], v[42:43]
	v_add_f64 v[46:47], v[42:43], -v[46:47]
	s_delay_alu instid0(VALU_DEP_4) | instskip(NEXT) | instid1(VALU_DEP_4)
	v_fma_f64 v[34:35], v[36:37], v[34:35], s[68:69]
	v_add_f64 v[40:41], v[40:41], -v[48:49]
	s_delay_alu instid0(VALU_DEP_4) | instskip(NEXT) | instid1(VALU_DEP_4)
	v_add_f64 v[50:51], v[44:45], -v[38:39]
	v_add_f64 v[30:31], v[30:31], -v[46:47]
	s_delay_alu instid0(VALU_DEP_4) | instskip(NEXT) | instid1(VALU_DEP_3)
	v_fma_f64 v[34:35], v[36:37], v[34:35], s[70:71]
	v_add_f64 v[52:53], v[44:45], -v[50:51]
	v_add_f64 v[42:43], v[42:43], -v[50:51]
	s_delay_alu instid0(VALU_DEP_4) | instskip(NEXT) | instid1(VALU_DEP_4)
	v_add_f64 v[46:47], v[40:41], v[30:31]
	v_fma_f64 v[34:35], v[36:37], v[34:35], s[72:73]
	s_delay_alu instid0(VALU_DEP_4) | instskip(NEXT) | instid1(VALU_DEP_2)
	v_add_f64 v[38:39], v[38:39], -v[52:53]
	v_fma_f64 v[34:35], v[36:37], v[34:35], s[74:75]
	s_delay_alu instid0(VALU_DEP_2) | instskip(SKIP_1) | instid1(VALU_DEP_3)
	v_add_f64 v[38:39], v[42:43], v[38:39]
	v_add_f64 v[42:43], v[46:47], -v[40:41]
	v_fma_f64 v[34:35], v[36:37], v[34:35], s[76:77]
	s_delay_alu instid0(VALU_DEP_3) | instskip(NEXT) | instid1(VALU_DEP_3)
	v_add_f64 v[38:39], v[46:47], v[38:39]
	v_add_f64 v[46:47], v[46:47], -v[42:43]
	v_add_f64 v[30:31], v[30:31], -v[42:43]
	s_delay_alu instid0(VALU_DEP_4) | instskip(NEXT) | instid1(VALU_DEP_4)
	v_fma_f64 v[34:35], v[36:37], v[34:35], s[78:79]
	v_add_f64 v[48:49], v[44:45], v[38:39]
	s_delay_alu instid0(VALU_DEP_2) | instskip(SKIP_1) | instid1(VALU_DEP_3)
	v_mul_f64 v[34:35], v[36:37], v[34:35]
	v_add_f64 v[36:37], v[40:41], -v[46:47]
	v_add_f64 v[40:41], v[48:49], -v[44:45]
	s_delay_alu instid0(VALU_DEP_3) | instskip(NEXT) | instid1(VALU_DEP_3)
	v_fma_f64 v[32:33], v[32:33], v[34:35], v[32:33]
	v_add_f64 v[30:31], v[30:31], v[36:37]
	s_delay_alu instid0(VALU_DEP_3) | instskip(NEXT) | instid1(VALU_DEP_3)
	v_add_f64 v[34:35], v[38:39], -v[40:41]
	v_add_f64 v[36:37], -v[32:33], s[80:81]
	s_delay_alu instid0(VALU_DEP_2) | instskip(NEXT) | instid1(VALU_DEP_2)
	v_add_f64 v[30:31], v[30:31], v[34:35]
	v_cndmask_b32_e64 v33, v33, v37, s0
	s_delay_alu instid0(VALU_DEP_3) | instskip(NEXT) | instid1(VALU_DEP_1)
	v_cndmask_b32_e64 v32, v32, v36, s0
                                        ; implicit-def: $vgpr36_vgpr37
	v_add_f64 v[34:35], -v[32:33], s[10:11]
	s_delay_alu instid0(VALU_DEP_4) | instskip(NEXT) | instid1(VALU_DEP_2)
	v_add_f64 v[30:31], v[48:49], v[30:31]
	v_cndmask_b32_e64 v19, v32, v34, s1
	s_delay_alu instid0(VALU_DEP_2)
	v_dual_cndmask_b32 v31, v31, v16 :: v_dual_cndmask_b32 v30, v30, v15
	v_cmp_eq_f64_e32 vcc_lo, 0, v[4:5]
	v_and_b32_e32 v14, 0x54442d18, v8
	v_cndmask_b32_e64 v8, v33, v35, s1
	v_cmp_nge_f64_e64 s1, -1.0, v[15:16]
	v_mul_f64 v[30:31], v[30:31], 0.5
                                        ; implicit-def: $vgpr34_vgpr35
	s_delay_alu instid0(VALU_DEP_3) | instskip(SKIP_2) | instid1(VALU_DEP_4)
	v_cndmask_b32_e32 v3, v8, v3, vcc_lo
	v_cndmask_b32_e32 v19, v19, v14, vcc_lo
	v_cmp_ngt_f64_e32 vcc_lo, -1.0, v[15:16]
	v_cndmask_b32_e64 v14, 0, v30, s1
	v_cmp_neq_f64_e64 s1, -1.0, v[15:16]
	v_cndmask_b32_e32 v8, 0x7ff80000, v31, vcc_lo
	s_and_b32 vcc_lo, s4, s3
	v_cndmask_b32_e32 v31, v3, v2, vcc_lo
	v_cndmask_b32_e32 v30, v19, v12, vcc_lo
	s_delay_alu instid0(VALU_DEP_3)
	v_cndmask_b32_e64 v15, 0xfff00000, v8, s1
.LBB186_270:                            ;   in Loop: Header=BB186_162 Depth=1
	s_and_not1_saveexec_b32 s98, s2
	s_cbranch_execz .LBB186_278
; %bb.271:                              ;   in Loop: Header=BB186_162 Depth=1
	v_mul_f64 v[14:15], v[34:35], v[34:35]
                                        ; implicit-def: $vgpr30_vgpr31
	s_mov_b32 s1, exec_lo
	s_delay_alu instid0(VALU_DEP_1) | instskip(NEXT) | instid1(VALU_DEP_1)
	v_fma_f64 v[32:33], v[36:37], v[36:37], v[14:15]
                                        ; implicit-def: $vgpr14_vgpr15
	v_cmpx_ge_f64_e32 s[82:83], v[32:33]
	s_xor_b32 s3, exec_lo, s1
	s_cbranch_execz .LBB186_273
; %bb.272:                              ;   in Loop: Header=BB186_162 Depth=1
	v_frexp_mant_f64_e32 v[14:15], v[32:33]
	v_max_f64 v[40:41], |v[2:3]|, |v[2:3]|
	s_mov_b32 s91, s21
	v_frexp_exp_i32_f64_e32 v8, v[32:33]
	s_mov_b32 s10, s80
	v_cmp_class_f64_e64 s4, v[4:5], 0x204
	v_cmp_class_f64_e64 s5, v[2:3], 0x204
	v_cmp_neq_f64_e64 s2, 0, v[32:33]
	v_cmp_gt_f64_e64 s1, s[20:21], v[14:15]
	s_delay_alu instid0(VALU_DEP_1) | instskip(NEXT) | instid1(VALU_DEP_1)
	v_cndmask_b32_e64 v19, 0x3ff00000, 2.0, s1
	v_mul_f64 v[14:15], v[14:15], v[18:19]
	s_delay_alu instid0(VALU_DEP_1) | instskip(SKIP_1) | instid1(VALU_DEP_2)
	v_add_f64 v[30:31], v[14:15], 1.0
	v_add_f64 v[38:39], v[14:15], -1.0
	v_rcp_f64_e32 v[34:35], v[30:31]
	s_waitcnt_depctr 0xfff
	v_fma_f64 v[36:37], -v[30:31], v[34:35], 1.0
	s_delay_alu instid0(VALU_DEP_1) | instskip(NEXT) | instid1(VALU_DEP_1)
	v_fma_f64 v[34:35], v[36:37], v[34:35], v[34:35]
	v_fma_f64 v[36:37], -v[30:31], v[34:35], 1.0
	s_delay_alu instid0(VALU_DEP_1) | instskip(SKIP_1) | instid1(VALU_DEP_2)
	v_fma_f64 v[34:35], v[36:37], v[34:35], v[34:35]
	v_max_f64 v[36:37], |v[4:5]|, |v[4:5]|
	v_mul_f64 v[42:43], v[38:39], v[34:35]
	s_delay_alu instid0(VALU_DEP_2) | instskip(SKIP_2) | instid1(VALU_DEP_4)
	v_max_f64 v[44:45], v[40:41], v[36:37]
	v_min_f64 v[36:37], v[40:41], v[36:37]
	v_add_f64 v[40:41], v[30:31], -1.0
	v_mul_f64 v[46:47], v[30:31], v[42:43]
	s_delay_alu instid0(VALU_DEP_3) | instskip(NEXT) | instid1(VALU_DEP_3)
	v_div_scale_f64 v[48:49], null, v[44:45], v[44:45], v[36:37]
	v_add_f64 v[14:15], v[14:15], -v[40:41]
	v_div_scale_f64 v[56:57], vcc_lo, v[36:37], v[44:45], v[36:37]
	s_delay_alu instid0(VALU_DEP_4) | instskip(NEXT) | instid1(VALU_DEP_4)
	v_fma_f64 v[30:31], v[42:43], v[30:31], -v[46:47]
	v_rcp_f64_e32 v[40:41], v[48:49]
	s_delay_alu instid0(VALU_DEP_1) | instskip(SKIP_3) | instid1(VALU_DEP_2)
	v_fma_f64 v[14:15], v[42:43], v[14:15], v[30:31]
	s_waitcnt_depctr 0xfff
	v_fma_f64 v[30:31], -v[48:49], v[40:41], 1.0
	v_add_f64 v[50:51], v[46:47], v[14:15]
	v_fma_f64 v[30:31], v[40:41], v[30:31], v[40:41]
	s_delay_alu instid0(VALU_DEP_2) | instskip(SKIP_1) | instid1(VALU_DEP_3)
	v_add_f64 v[40:41], v[38:39], -v[50:51]
	v_add_f64 v[46:47], v[50:51], -v[46:47]
	v_fma_f64 v[52:53], -v[48:49], v[30:31], 1.0
	s_delay_alu instid0(VALU_DEP_3) | instskip(NEXT) | instid1(VALU_DEP_3)
	v_add_f64 v[38:39], v[38:39], -v[40:41]
	v_add_f64 v[14:15], v[46:47], -v[14:15]
	s_delay_alu instid0(VALU_DEP_3) | instskip(NEXT) | instid1(VALU_DEP_3)
	v_fma_f64 v[30:31], v[30:31], v[52:53], v[30:31]
	v_add_f64 v[38:39], v[38:39], -v[50:51]
	s_delay_alu instid0(VALU_DEP_2) | instskip(NEXT) | instid1(VALU_DEP_2)
	v_mul_f64 v[46:47], v[56:57], v[30:31]
	v_add_f64 v[14:15], v[14:15], v[38:39]
	s_delay_alu instid0(VALU_DEP_2) | instskip(NEXT) | instid1(VALU_DEP_2)
	v_fma_f64 v[38:39], -v[48:49], v[46:47], v[56:57]
	v_add_f64 v[14:15], v[40:41], v[14:15]
	s_delay_alu instid0(VALU_DEP_2)
	v_div_fmas_f64 v[30:31], v[38:39], v[30:31], v[46:47]
	v_subrev_co_ci_u32_e64 v8, vcc_lo, 0, v8, s1
	v_cmp_eq_f64_e64 s1, 0, v[4:5]
	v_cmp_gt_i32_e32 vcc_lo, 0, v3
	v_cndmask_b32_e32 v12, 0x54442d18, v54, vcc_lo
	v_mul_f64 v[14:15], v[34:35], v[14:15]
	v_div_fixup_f64 v[30:31], v[30:31], v[44:45], v[36:37]
	s_delay_alu instid0(VALU_DEP_2) | instskip(NEXT) | instid1(VALU_DEP_2)
	v_add_f64 v[34:35], v[42:43], v[14:15]
	v_mul_f64 v[36:37], v[30:31], v[30:31]
	s_delay_alu instid0(VALU_DEP_2) | instskip(NEXT) | instid1(VALU_DEP_2)
	v_mul_f64 v[38:39], v[34:35], v[34:35]
	v_fma_f64 v[40:41], v[36:37], s[42:43], s[40:41]
	s_delay_alu instid0(VALU_DEP_2) | instskip(SKIP_1) | instid1(VALU_DEP_3)
	v_fma_f64 v[44:45], v[38:39], s[24:25], s[22:23]
	v_mul_f64 v[46:47], v[34:35], v[38:39]
	v_fma_f64 v[40:41], v[36:37], v[40:41], s[44:45]
	s_delay_alu instid0(VALU_DEP_3) | instskip(NEXT) | instid1(VALU_DEP_2)
	v_fma_f64 v[44:45], v[38:39], v[44:45], s[26:27]
	v_fma_f64 v[40:41], v[36:37], v[40:41], s[46:47]
	s_delay_alu instid0(VALU_DEP_2) | instskip(NEXT) | instid1(VALU_DEP_2)
	v_fma_f64 v[44:45], v[38:39], v[44:45], s[28:29]
	v_fma_f64 v[40:41], v[36:37], v[40:41], s[48:49]
	s_delay_alu instid0(VALU_DEP_2) | instskip(NEXT) | instid1(VALU_DEP_2)
	v_fma_f64 v[44:45], v[38:39], v[44:45], s[30:31]
	v_fma_f64 v[40:41], v[36:37], v[40:41], s[50:51]
	s_delay_alu instid0(VALU_DEP_2) | instskip(NEXT) | instid1(VALU_DEP_2)
	v_fma_f64 v[44:45], v[38:39], v[44:45], s[34:35]
	v_fma_f64 v[40:41], v[36:37], v[40:41], s[52:53]
	s_delay_alu instid0(VALU_DEP_2) | instskip(SKIP_2) | instid1(VALU_DEP_4)
	v_fma_f64 v[38:39], v[38:39], v[44:45], s[90:91]
	v_ldexp_f64 v[44:45], v[34:35], 1
	v_add_f64 v[34:35], v[34:35], -v[42:43]
	v_fma_f64 v[40:41], v[36:37], v[40:41], s[54:55]
	s_delay_alu instid0(VALU_DEP_4) | instskip(SKIP_1) | instid1(VALU_DEP_4)
	v_mul_f64 v[38:39], v[46:47], v[38:39]
	v_cvt_f64_i32_e32 v[46:47], v8
	v_add_f64 v[14:15], v[14:15], -v[34:35]
	v_ashrrev_i32_e32 v8, 31, v3
	v_fma_f64 v[40:41], v[36:37], v[40:41], s[56:57]
	v_add_f64 v[42:43], v[44:45], v[38:39]
	v_mul_f64 v[48:49], v[46:47], s[36:37]
	v_ldexp_f64 v[14:15], v[14:15], 1
	s_delay_alu instid0(VALU_DEP_4) | instskip(NEXT) | instid1(VALU_DEP_4)
	v_fma_f64 v[40:41], v[36:37], v[40:41], s[58:59]
	v_add_f64 v[34:35], v[42:43], -v[44:45]
	s_delay_alu instid0(VALU_DEP_4) | instskip(NEXT) | instid1(VALU_DEP_3)
	v_fma_f64 v[44:45], v[46:47], s[36:37], -v[48:49]
	v_fma_f64 v[40:41], v[36:37], v[40:41], s[60:61]
	s_delay_alu instid0(VALU_DEP_3) | instskip(NEXT) | instid1(VALU_DEP_2)
	v_add_f64 v[34:35], v[38:39], -v[34:35]
	v_fma_f64 v[38:39], v[36:37], v[40:41], s[62:63]
	s_delay_alu instid0(VALU_DEP_4) | instskip(NEXT) | instid1(VALU_DEP_3)
	v_fma_f64 v[40:41], v[46:47], s[38:39], v[44:45]
	v_add_f64 v[14:15], v[14:15], v[34:35]
	s_delay_alu instid0(VALU_DEP_3) | instskip(NEXT) | instid1(VALU_DEP_3)
	v_fma_f64 v[34:35], v[36:37], v[38:39], s[64:65]
	v_add_f64 v[38:39], v[48:49], v[40:41]
	s_delay_alu instid0(VALU_DEP_3) | instskip(NEXT) | instid1(VALU_DEP_3)
	v_add_f64 v[44:45], v[42:43], v[14:15]
	v_fma_f64 v[34:35], v[36:37], v[34:35], s[66:67]
	s_delay_alu instid0(VALU_DEP_3) | instskip(NEXT) | instid1(VALU_DEP_3)
	v_add_f64 v[48:49], v[38:39], -v[48:49]
	v_add_f64 v[46:47], v[38:39], v[44:45]
	v_add_f64 v[42:43], v[44:45], -v[42:43]
	s_delay_alu instid0(VALU_DEP_4) | instskip(NEXT) | instid1(VALU_DEP_4)
	v_fma_f64 v[34:35], v[36:37], v[34:35], s[68:69]
	v_add_f64 v[40:41], v[40:41], -v[48:49]
	s_delay_alu instid0(VALU_DEP_4) | instskip(NEXT) | instid1(VALU_DEP_4)
	v_add_f64 v[50:51], v[46:47], -v[38:39]
	v_add_f64 v[14:15], v[14:15], -v[42:43]
	s_delay_alu instid0(VALU_DEP_4) | instskip(NEXT) | instid1(VALU_DEP_3)
	v_fma_f64 v[34:35], v[36:37], v[34:35], s[70:71]
	v_add_f64 v[52:53], v[46:47], -v[50:51]
	v_add_f64 v[42:43], v[44:45], -v[50:51]
	s_delay_alu instid0(VALU_DEP_4) | instskip(NEXT) | instid1(VALU_DEP_4)
	v_add_f64 v[44:45], v[40:41], v[14:15]
	v_fma_f64 v[34:35], v[36:37], v[34:35], s[72:73]
	s_delay_alu instid0(VALU_DEP_4) | instskip(NEXT) | instid1(VALU_DEP_2)
	v_add_f64 v[38:39], v[38:39], -v[52:53]
	v_fma_f64 v[34:35], v[36:37], v[34:35], s[74:75]
	s_delay_alu instid0(VALU_DEP_2) | instskip(SKIP_1) | instid1(VALU_DEP_3)
	v_add_f64 v[38:39], v[42:43], v[38:39]
	v_add_f64 v[42:43], v[44:45], -v[40:41]
	v_fma_f64 v[34:35], v[36:37], v[34:35], s[76:77]
	s_delay_alu instid0(VALU_DEP_3) | instskip(NEXT) | instid1(VALU_DEP_3)
	v_add_f64 v[38:39], v[44:45], v[38:39]
	v_add_f64 v[44:45], v[44:45], -v[42:43]
	v_add_f64 v[14:15], v[14:15], -v[42:43]
	s_delay_alu instid0(VALU_DEP_4) | instskip(NEXT) | instid1(VALU_DEP_4)
	v_fma_f64 v[34:35], v[36:37], v[34:35], s[78:79]
	v_add_f64 v[48:49], v[46:47], v[38:39]
	s_delay_alu instid0(VALU_DEP_2) | instskip(SKIP_1) | instid1(VALU_DEP_3)
	v_mul_f64 v[34:35], v[36:37], v[34:35]
	v_add_f64 v[36:37], v[40:41], -v[44:45]
	v_add_f64 v[40:41], v[48:49], -v[46:47]
	s_delay_alu instid0(VALU_DEP_3) | instskip(NEXT) | instid1(VALU_DEP_3)
	v_fma_f64 v[30:31], v[30:31], v[34:35], v[30:31]
	v_add_f64 v[14:15], v[14:15], v[36:37]
	s_delay_alu instid0(VALU_DEP_3) | instskip(NEXT) | instid1(VALU_DEP_3)
	v_add_f64 v[34:35], v[38:39], -v[40:41]
	v_add_f64 v[36:37], -v[30:31], s[80:81]
	s_delay_alu instid0(VALU_DEP_2) | instskip(NEXT) | instid1(VALU_DEP_2)
	v_add_f64 v[14:15], v[14:15], v[34:35]
	v_cndmask_b32_e64 v31, v31, v37, s0
	s_delay_alu instid0(VALU_DEP_3) | instskip(NEXT) | instid1(VALU_DEP_1)
	v_cndmask_b32_e64 v30, v30, v36, s0
                                        ; implicit-def: $vgpr36_vgpr37
	v_add_f64 v[34:35], -v[30:31], s[10:11]
	v_and_b32_e32 v16, 0x54442d18, v8
	v_and_b32_e32 v8, 0x400921fb, v8
	v_add_f64 v[14:15], v[48:49], v[14:15]
	s_delay_alu instid0(VALU_DEP_4) | instskip(NEXT) | instid1(VALU_DEP_1)
	v_cndmask_b32_e32 v19, v30, v34, vcc_lo
	v_cndmask_b32_e64 v16, v19, v16, s1
	s_delay_alu instid0(VALU_DEP_3) | instskip(SKIP_4) | instid1(VALU_DEP_3)
	v_mul_f64 v[2:3], v[14:15], 0.5
	v_cndmask_b32_e32 v15, v31, v35, vcc_lo
	v_cndmask_b32_e32 v14, 0x3fe921fb, v55, vcc_lo
	s_and_b32 vcc_lo, s5, s4
                                        ; implicit-def: $vgpr34_vgpr35
	v_cndmask_b32_e32 v30, v16, v12, vcc_lo
	v_cndmask_b32_e64 v8, v15, v8, s1
	s_delay_alu instid0(VALU_DEP_3) | instskip(NEXT) | instid1(VALU_DEP_1)
	v_bfi_b32 v14, 0x7fffffff, v14, v5
	v_cndmask_b32_e32 v31, v8, v14, vcc_lo
	v_cndmask_b32_e64 v15, 0xfff00000, v3, s2
	v_cndmask_b32_e64 v14, 0, v2, s2
.LBB186_273:                            ;   in Loop: Header=BB186_162 Depth=1
	s_and_not1_saveexec_b32 s99, s3
	s_cbranch_execz .LBB186_277
; %bb.274:                              ;   in Loop: Header=BB186_162 Depth=1
	v_dual_mov_b32 v30, v18 :: v_dual_and_b32 v19, 0x7ffffff8, v37
	v_and_b32_e32 v31, 0x7ffffff8, v35
	s_mov_b32 s91, 0
	s_delay_alu instid0(VALU_DEP_2) | instskip(SKIP_1) | instid1(VALU_DEP_3)
	v_add_f64 v[14:15], v[36:37], -v[18:19]
	v_mov_b32_e32 v36, v18
	v_add_f64 v[32:33], v[34:35], -v[30:31]
	v_mov_b32_e32 v38, v18
	v_add_f64 v[40:41], v[18:19], v[18:19]
	v_add_f64 v[48:49], v[30:31], v[30:31]
	v_mul_f64 v[34:35], v[30:31], v[30:31]
	v_and_b32_e32 v37, -8, v15
	v_and_b32_e32 v39, -8, v33
	s_delay_alu instid0(VALU_DEP_2) | instskip(SKIP_1) | instid1(VALU_DEP_3)
	v_add_f64 v[50:51], v[14:15], -v[36:37]
	v_add_f64 v[56:57], v[36:37], v[36:37]
	v_add_f64 v[52:53], v[32:33], -v[38:39]
	v_add_f64 v[58:59], v[38:39], v[38:39]
	v_mul_f64 v[14:15], v[18:19], v[18:19]
	v_mul_f64 v[46:47], v[40:41], v[36:37]
	v_mul_f64 v[32:33], v[48:49], v[38:39]
	v_mul_f64 v[44:45], v[36:37], v[36:37]
	v_mul_f64 v[30:31], v[38:39], v[38:39]
	v_mul_f64 v[42:43], v[40:41], v[50:51]
	v_mul_f64 v[38:39], v[56:57], v[50:51]
	v_mul_f64 v[40:41], v[48:49], v[52:53]
	v_mul_f64 v[36:37], v[58:59], v[52:53]
	v_mul_f64 v[48:49], v[50:51], v[50:51]
	v_mul_f64 v[50:51], v[52:53], v[52:53]
.LBB186_275:                            ;   Parent Loop BB186_162 Depth=1
                                        ; =>  This Inner Loop Header: Depth=2
	v_cmp_nlt_f64_e32 vcc_lo, v[14:15], v[34:35]
	v_dual_cndmask_b32 v53, v15, v35 :: v_dual_cndmask_b32 v52, v14, v34
	v_dual_cndmask_b32 v15, v35, v15 :: v_dual_cndmask_b32 v14, v34, v14
	s_delay_alu instid0(VALU_DEP_2) | instskip(NEXT) | instid1(VALU_DEP_1)
	v_cmp_nlt_f64_e64 s1, v[52:53], v[46:47]
	v_cndmask_b32_e64 v57, v53, v47, s1
	v_cndmask_b32_e64 v56, v52, v46, s1
	;; [unrolled: 1-line block ×4, first 2 shown]
	s_and_b32 s1, vcc_lo, s1
	s_delay_alu instid0(VALU_DEP_3) | instskip(NEXT) | instid1(VALU_DEP_1)
	v_cmp_nlt_f64_e64 s2, v[56:57], v[32:33]
	v_cndmask_b32_e64 v59, v57, v33, s2
	v_cndmask_b32_e64 v58, v56, v32, s2
	v_cndmask_b32_e64 v47, v33, v57, s2
	v_cndmask_b32_e64 v46, v32, v56, s2
	s_delay_alu instid0(VALU_DEP_3) | instskip(NEXT) | instid1(VALU_DEP_1)
	v_cmp_nlt_f64_e64 s3, v[58:59], v[44:45]
	v_cndmask_b32_e64 v61, v59, v45, s3
	v_cndmask_b32_e64 v60, v58, v44, s3
	;; [unrolled: 1-line block ×4, first 2 shown]
	s_and_b32 s2, s2, s3
	s_delay_alu instid0(VALU_DEP_3) | instskip(NEXT) | instid1(VALU_DEP_1)
	v_cmp_nlt_f64_e64 s4, v[60:61], v[30:31]
	v_cndmask_b32_e64 v63, v61, v31, s4
	v_cndmask_b32_e64 v62, v60, v30, s4
	;; [unrolled: 1-line block ×4, first 2 shown]
	s_delay_alu instid0(VALU_DEP_3) | instskip(NEXT) | instid1(VALU_DEP_1)
	v_cmp_nlt_f64_e64 s5, v[62:63], v[42:43]
	v_cndmask_b32_e64 v65, v63, v43, s5
	v_cndmask_b32_e64 v64, v62, v42, s5
	s_and_b32 s3, s4, s5
	v_cndmask_b32_e64 v31, v43, v63, s5
	v_cndmask_b32_e64 v30, v42, v62, s5
	s_delay_alu instid0(VALU_DEP_3) | instskip(NEXT) | instid1(VALU_DEP_1)
	v_cmp_nlt_f64_e64 s6, v[64:65], v[40:41]
	v_cndmask_b32_e64 v67, v65, v41, s6
	v_cndmask_b32_e64 v66, v64, v40, s6
	s_and_b32 s3, s3, s6
	v_cndmask_b32_e64 v43, v41, v65, s6
	v_cndmask_b32_e64 v42, v40, v64, s6
	;; [unrolled: 7-line block ×5, first 2 shown]
	s_delay_alu instid0(VALU_DEP_3) | instskip(NEXT) | instid1(VALU_DEP_1)
	v_cmp_nlt_f64_e64 s10, v[72:73], v[50:51]
	v_cndmask_b32_e64 v53, v73, v51, s10
	v_cndmask_b32_e64 v52, v72, v50, s10
	s_and_b32 s3, s3, s10
	v_cndmask_b32_e64 v49, v51, v73, s10
	s_and_b32 s2, s3, s2
	;; [unrolled: 2-line block ×3, first 2 shown]
	v_dual_mov_b32 v50, v52 :: v_dual_mov_b32 v51, v53
	s_and_b32 s1, exec_lo, s1
	s_delay_alu instid0(SALU_CYCLE_1) | instskip(NEXT) | instid1(SALU_CYCLE_1)
	s_or_b32 s91, s1, s91
	s_and_not1_b32 exec_lo, exec_lo, s91
	s_cbranch_execnz .LBB186_275
; %bb.276:                              ;   in Loop: Header=BB186_162 Depth=1
	s_or_b32 exec_lo, exec_lo, s91
	v_add_f64 v[14:15], v[14:15], -1.0
	s_mov_b32 s91, s21
	s_mov_b32 s10, s80
	v_cmp_gt_i32_e64 s1, 0, v3
	v_cmp_class_f64_e64 s3, v[2:3], 0x204
	v_cmp_class_f64_e64 s2, v[4:5], 0x204
	s_delay_alu instid0(VALU_DEP_4) | instskip(NEXT) | instid1(VALU_DEP_1)
	v_add_f64 v[14:15], v[14:15], v[34:35]
	v_add_f64 v[14:15], v[14:15], v[46:47]
	s_delay_alu instid0(VALU_DEP_1) | instskip(NEXT) | instid1(VALU_DEP_1)
	v_add_f64 v[14:15], v[14:15], v[32:33]
	v_add_f64 v[14:15], v[14:15], v[44:45]
	s_delay_alu instid0(VALU_DEP_1) | instskip(NEXT) | instid1(VALU_DEP_1)
	;; [unrolled: 3-line block ×5, first 2 shown]
	v_add_f64 v[15:16], v[52:53], v[14:15]
	v_add_f64 v[30:31], v[15:16], 1.0
	s_delay_alu instid0(VALU_DEP_1) | instskip(SKIP_2) | instid1(VALU_DEP_3)
	v_frexp_mant_f64_e32 v[32:33], v[30:31]
	v_frexp_exp_i32_f64_e32 v8, v[30:31]
	v_add_f64 v[34:35], v[30:31], -1.0
	v_cmp_gt_f64_e32 vcc_lo, s[20:21], v[32:33]
	s_delay_alu instid0(VALU_DEP_2) | instskip(SKIP_2) | instid1(VALU_DEP_3)
	v_add_f64 v[32:33], v[34:35], -v[30:31]
	v_add_f64 v[34:35], v[15:16], -v[34:35]
	v_subrev_co_ci_u32_e32 v8, vcc_lo, 0, v8, vcc_lo
	v_add_f64 v[32:33], v[32:33], 1.0
	s_delay_alu instid0(VALU_DEP_2) | instskip(NEXT) | instid1(VALU_DEP_1)
	v_sub_nc_u32_e32 v12, 0, v8
	v_ldexp_f64 v[30:31], v[30:31], v12
	s_delay_alu instid0(VALU_DEP_3) | instskip(NEXT) | instid1(VALU_DEP_2)
	v_add_f64 v[32:33], v[34:35], v[32:33]
	v_add_f64 v[36:37], v[30:31], 1.0
	v_add_f64 v[42:43], v[30:31], -1.0
	s_delay_alu instid0(VALU_DEP_3) | instskip(SKIP_1) | instid1(VALU_DEP_4)
	v_ldexp_f64 v[32:33], v[32:33], v12
	v_cndmask_b32_e64 v12, 0x54442d18, v54, s1
	v_add_f64 v[34:35], v[36:37], -1.0
	s_delay_alu instid0(VALU_DEP_4) | instskip(NEXT) | instid1(VALU_DEP_2)
	v_add_f64 v[44:45], v[42:43], 1.0
	v_add_f64 v[34:35], v[30:31], -v[34:35]
	s_delay_alu instid0(VALU_DEP_2) | instskip(NEXT) | instid1(VALU_DEP_2)
	v_add_f64 v[30:31], v[30:31], -v[44:45]
	v_add_f64 v[34:35], v[32:33], v[34:35]
	s_delay_alu instid0(VALU_DEP_2) | instskip(NEXT) | instid1(VALU_DEP_2)
	v_add_f64 v[30:31], v[32:33], v[30:31]
	v_add_f64 v[38:39], v[36:37], v[34:35]
	s_delay_alu instid0(VALU_DEP_2) | instskip(NEXT) | instid1(VALU_DEP_2)
	v_add_f64 v[44:45], v[42:43], v[30:31]
	v_rcp_f64_e32 v[40:41], v[38:39]
	v_add_f64 v[36:37], v[38:39], -v[36:37]
	s_delay_alu instid0(VALU_DEP_2) | instskip(NEXT) | instid1(VALU_DEP_2)
	v_add_f64 v[42:43], v[44:45], -v[42:43]
	v_add_f64 v[34:35], v[34:35], -v[36:37]
	s_waitcnt_depctr 0xfff
	v_fma_f64 v[46:47], -v[38:39], v[40:41], 1.0
	v_add_f64 v[30:31], v[30:31], -v[42:43]
	s_delay_alu instid0(VALU_DEP_2) | instskip(NEXT) | instid1(VALU_DEP_1)
	v_fma_f64 v[40:41], v[46:47], v[40:41], v[40:41]
	v_fma_f64 v[32:33], -v[38:39], v[40:41], 1.0
	s_delay_alu instid0(VALU_DEP_1) | instskip(NEXT) | instid1(VALU_DEP_1)
	v_fma_f64 v[32:33], v[32:33], v[40:41], v[40:41]
	v_mul_f64 v[40:41], v[44:45], v[32:33]
	s_delay_alu instid0(VALU_DEP_1) | instskip(NEXT) | instid1(VALU_DEP_1)
	v_mul_f64 v[46:47], v[38:39], v[40:41]
	v_fma_f64 v[36:37], v[40:41], v[38:39], -v[46:47]
	s_delay_alu instid0(VALU_DEP_1) | instskip(NEXT) | instid1(VALU_DEP_1)
	v_fma_f64 v[36:37], v[40:41], v[34:35], v[36:37]
	v_add_f64 v[48:49], v[46:47], v[36:37]
	s_delay_alu instid0(VALU_DEP_1) | instskip(SKIP_2) | instid1(VALU_DEP_3)
	v_add_f64 v[50:51], v[44:45], -v[48:49]
	v_add_f64 v[42:43], v[48:49], -v[46:47]
	v_max_f64 v[46:47], |v[4:5]|, |v[4:5]|
	v_add_f64 v[44:45], v[44:45], -v[50:51]
	s_delay_alu instid0(VALU_DEP_3) | instskip(NEXT) | instid1(VALU_DEP_2)
	v_add_f64 v[36:37], v[42:43], -v[36:37]
	v_add_f64 v[44:45], v[44:45], -v[48:49]
	v_max_f64 v[48:49], |v[2:3]|, |v[2:3]|
	v_cndmask_b32_e64 v2, 0x3fe921fb, v55, s1
	s_delay_alu instid0(VALU_DEP_1) | instskip(NEXT) | instid1(VALU_DEP_4)
	v_bfi_b32 v2, 0x7fffffff, v2, v5
	v_add_f64 v[30:31], v[30:31], v[44:45]
	s_delay_alu instid0(VALU_DEP_4) | instskip(SKIP_1) | instid1(VALU_DEP_3)
	v_max_f64 v[52:53], v[48:49], v[46:47]
	v_min_f64 v[46:47], v[48:49], v[46:47]
	v_add_f64 v[30:31], v[36:37], v[30:31]
	s_delay_alu instid0(VALU_DEP_1) | instskip(NEXT) | instid1(VALU_DEP_1)
	v_add_f64 v[36:37], v[50:51], v[30:31]
	v_mul_f64 v[42:43], v[32:33], v[36:37]
	v_add_f64 v[50:51], v[50:51], -v[36:37]
	s_delay_alu instid0(VALU_DEP_2) | instskip(NEXT) | instid1(VALU_DEP_2)
	v_mul_f64 v[44:45], v[38:39], v[42:43]
	v_add_f64 v[30:31], v[30:31], v[50:51]
	s_delay_alu instid0(VALU_DEP_2) | instskip(NEXT) | instid1(VALU_DEP_1)
	v_fma_f64 v[38:39], v[42:43], v[38:39], -v[44:45]
	v_fma_f64 v[34:35], v[42:43], v[34:35], v[38:39]
	v_div_scale_f64 v[38:39], null, v[52:53], v[52:53], v[46:47]
	s_delay_alu instid0(VALU_DEP_2) | instskip(NEXT) | instid1(VALU_DEP_2)
	v_add_f64 v[48:49], v[44:45], v[34:35]
	v_rcp_f64_e32 v[56:57], v[38:39]
	s_delay_alu instid0(VALU_DEP_1)
	v_add_f64 v[58:59], v[36:37], -v[48:49]
	v_add_f64 v[44:45], v[48:49], -v[44:45]
	s_waitcnt_depctr 0xfff
	v_fma_f64 v[60:61], -v[38:39], v[56:57], 1.0
	v_add_f64 v[36:37], v[36:37], -v[58:59]
	v_add_f64 v[34:35], v[44:45], -v[34:35]
	s_delay_alu instid0(VALU_DEP_3) | instskip(NEXT) | instid1(VALU_DEP_3)
	v_fma_f64 v[56:57], v[56:57], v[60:61], v[56:57]
	v_add_f64 v[36:37], v[36:37], -v[48:49]
	s_delay_alu instid0(VALU_DEP_2) | instskip(NEXT) | instid1(VALU_DEP_2)
	v_fma_f64 v[48:49], -v[38:39], v[56:57], 1.0
	v_add_f64 v[30:31], v[30:31], v[36:37]
	v_div_scale_f64 v[36:37], vcc_lo, v[46:47], v[52:53], v[46:47]
	s_delay_alu instid0(VALU_DEP_3) | instskip(SKIP_1) | instid1(VALU_DEP_4)
	v_fma_f64 v[44:45], v[56:57], v[48:49], v[56:57]
	v_add_f64 v[48:49], v[40:41], v[42:43]
	v_add_f64 v[30:31], v[34:35], v[30:31]
	s_delay_alu instid0(VALU_DEP_3) | instskip(NEXT) | instid1(VALU_DEP_3)
	v_mul_f64 v[34:35], v[36:37], v[44:45]
	v_add_f64 v[40:41], v[48:49], -v[40:41]
	s_delay_alu instid0(VALU_DEP_3) | instskip(NEXT) | instid1(VALU_DEP_3)
	v_add_f64 v[30:31], v[58:59], v[30:31]
	v_fma_f64 v[36:37], -v[38:39], v[34:35], v[36:37]
	s_delay_alu instid0(VALU_DEP_3) | instskip(NEXT) | instid1(VALU_DEP_3)
	v_add_f64 v[38:39], v[42:43], -v[40:41]
	v_mul_f64 v[30:31], v[32:33], v[30:31]
	s_delay_alu instid0(VALU_DEP_3) | instskip(SKIP_1) | instid1(VALU_DEP_3)
	v_div_fmas_f64 v[32:33], v[36:37], v[44:45], v[34:35]
	v_cmp_eq_f64_e32 vcc_lo, 0x7ff00000, v[15:16]
	v_add_f64 v[30:31], v[38:39], v[30:31]
	s_delay_alu instid0(VALU_DEP_3) | instskip(NEXT) | instid1(VALU_DEP_2)
	v_div_fixup_f64 v[32:33], v[32:33], v[52:53], v[46:47]
	v_add_f64 v[34:35], v[48:49], v[30:31]
	s_delay_alu instid0(VALU_DEP_2) | instskip(NEXT) | instid1(VALU_DEP_2)
	v_mul_f64 v[36:37], v[32:33], v[32:33]
	v_mul_f64 v[38:39], v[34:35], v[34:35]
	s_delay_alu instid0(VALU_DEP_2) | instskip(NEXT) | instid1(VALU_DEP_2)
	v_fma_f64 v[40:41], v[36:37], s[42:43], s[40:41]
	v_fma_f64 v[42:43], v[38:39], s[24:25], s[22:23]
	v_mul_f64 v[44:45], v[34:35], v[38:39]
	s_delay_alu instid0(VALU_DEP_3) | instskip(NEXT) | instid1(VALU_DEP_3)
	v_fma_f64 v[40:41], v[36:37], v[40:41], s[44:45]
	v_fma_f64 v[42:43], v[38:39], v[42:43], s[26:27]
	s_delay_alu instid0(VALU_DEP_2) | instskip(NEXT) | instid1(VALU_DEP_2)
	v_fma_f64 v[40:41], v[36:37], v[40:41], s[46:47]
	v_fma_f64 v[42:43], v[38:39], v[42:43], s[28:29]
	s_delay_alu instid0(VALU_DEP_2) | instskip(NEXT) | instid1(VALU_DEP_2)
	v_fma_f64 v[40:41], v[36:37], v[40:41], s[48:49]
	v_fma_f64 v[42:43], v[38:39], v[42:43], s[30:31]
	s_delay_alu instid0(VALU_DEP_2) | instskip(NEXT) | instid1(VALU_DEP_2)
	v_fma_f64 v[40:41], v[36:37], v[40:41], s[50:51]
	v_fma_f64 v[42:43], v[38:39], v[42:43], s[34:35]
	s_delay_alu instid0(VALU_DEP_2) | instskip(NEXT) | instid1(VALU_DEP_2)
	v_fma_f64 v[40:41], v[36:37], v[40:41], s[52:53]
	v_fma_f64 v[38:39], v[38:39], v[42:43], s[90:91]
	v_ldexp_f64 v[42:43], v[34:35], 1
	v_add_f64 v[34:35], v[34:35], -v[48:49]
	s_delay_alu instid0(VALU_DEP_4) | instskip(NEXT) | instid1(VALU_DEP_4)
	v_fma_f64 v[40:41], v[36:37], v[40:41], s[54:55]
	v_mul_f64 v[38:39], v[44:45], v[38:39]
	v_cvt_f64_i32_e32 v[44:45], v8
	s_delay_alu instid0(VALU_DEP_4) | instskip(NEXT) | instid1(VALU_DEP_4)
	v_add_f64 v[30:31], v[30:31], -v[34:35]
	v_fma_f64 v[40:41], v[36:37], v[40:41], s[56:57]
	v_ashrrev_i32_e32 v8, 31, v3
	s_delay_alu instid0(VALU_DEP_1) | instskip(SKIP_4) | instid1(VALU_DEP_4)
	v_and_b32_e32 v3, 0x400921fb, v8
	v_add_f64 v[46:47], v[42:43], v[38:39]
	v_mul_f64 v[48:49], v[44:45], s[36:37]
	v_ldexp_f64 v[30:31], v[30:31], 1
	v_fma_f64 v[40:41], v[36:37], v[40:41], s[58:59]
	v_add_f64 v[34:35], v[46:47], -v[42:43]
	s_delay_alu instid0(VALU_DEP_4) | instskip(NEXT) | instid1(VALU_DEP_3)
	v_fma_f64 v[42:43], v[44:45], s[36:37], -v[48:49]
	v_fma_f64 v[40:41], v[36:37], v[40:41], s[60:61]
	s_delay_alu instid0(VALU_DEP_3) | instskip(NEXT) | instid1(VALU_DEP_2)
	v_add_f64 v[34:35], v[38:39], -v[34:35]
	v_fma_f64 v[38:39], v[36:37], v[40:41], s[62:63]
	s_delay_alu instid0(VALU_DEP_4) | instskip(NEXT) | instid1(VALU_DEP_3)
	v_fma_f64 v[40:41], v[44:45], s[38:39], v[42:43]
	v_add_f64 v[30:31], v[30:31], v[34:35]
	s_delay_alu instid0(VALU_DEP_3) | instskip(NEXT) | instid1(VALU_DEP_3)
	v_fma_f64 v[34:35], v[36:37], v[38:39], s[64:65]
	v_add_f64 v[38:39], v[48:49], v[40:41]
	s_delay_alu instid0(VALU_DEP_3) | instskip(NEXT) | instid1(VALU_DEP_3)
	v_add_f64 v[42:43], v[46:47], v[30:31]
	v_fma_f64 v[34:35], v[36:37], v[34:35], s[66:67]
	s_delay_alu instid0(VALU_DEP_3) | instskip(NEXT) | instid1(VALU_DEP_3)
	v_add_f64 v[48:49], v[38:39], -v[48:49]
	v_add_f64 v[44:45], v[38:39], v[42:43]
	v_add_f64 v[46:47], v[42:43], -v[46:47]
	s_delay_alu instid0(VALU_DEP_4) | instskip(NEXT) | instid1(VALU_DEP_4)
	v_fma_f64 v[34:35], v[36:37], v[34:35], s[68:69]
	v_add_f64 v[40:41], v[40:41], -v[48:49]
	s_delay_alu instid0(VALU_DEP_4) | instskip(NEXT) | instid1(VALU_DEP_4)
	v_add_f64 v[50:51], v[44:45], -v[38:39]
	v_add_f64 v[30:31], v[30:31], -v[46:47]
	s_delay_alu instid0(VALU_DEP_4) | instskip(NEXT) | instid1(VALU_DEP_3)
	v_fma_f64 v[34:35], v[36:37], v[34:35], s[70:71]
	v_add_f64 v[52:53], v[44:45], -v[50:51]
	v_add_f64 v[42:43], v[42:43], -v[50:51]
	s_delay_alu instid0(VALU_DEP_4) | instskip(NEXT) | instid1(VALU_DEP_4)
	v_add_f64 v[46:47], v[40:41], v[30:31]
	v_fma_f64 v[34:35], v[36:37], v[34:35], s[72:73]
	s_delay_alu instid0(VALU_DEP_4) | instskip(NEXT) | instid1(VALU_DEP_2)
	v_add_f64 v[38:39], v[38:39], -v[52:53]
	v_fma_f64 v[34:35], v[36:37], v[34:35], s[74:75]
	s_delay_alu instid0(VALU_DEP_2) | instskip(SKIP_1) | instid1(VALU_DEP_3)
	v_add_f64 v[38:39], v[42:43], v[38:39]
	v_add_f64 v[42:43], v[46:47], -v[40:41]
	v_fma_f64 v[34:35], v[36:37], v[34:35], s[76:77]
	s_delay_alu instid0(VALU_DEP_3) | instskip(NEXT) | instid1(VALU_DEP_3)
	v_add_f64 v[38:39], v[46:47], v[38:39]
	v_add_f64 v[46:47], v[46:47], -v[42:43]
	v_add_f64 v[30:31], v[30:31], -v[42:43]
	s_delay_alu instid0(VALU_DEP_4) | instskip(NEXT) | instid1(VALU_DEP_4)
	v_fma_f64 v[34:35], v[36:37], v[34:35], s[78:79]
	v_add_f64 v[48:49], v[44:45], v[38:39]
	s_delay_alu instid0(VALU_DEP_2) | instskip(SKIP_1) | instid1(VALU_DEP_3)
	v_mul_f64 v[34:35], v[36:37], v[34:35]
	v_add_f64 v[36:37], v[40:41], -v[46:47]
	v_add_f64 v[40:41], v[48:49], -v[44:45]
	s_delay_alu instid0(VALU_DEP_3) | instskip(NEXT) | instid1(VALU_DEP_3)
	v_fma_f64 v[32:33], v[32:33], v[34:35], v[32:33]
	v_add_f64 v[30:31], v[30:31], v[36:37]
	s_delay_alu instid0(VALU_DEP_3) | instskip(NEXT) | instid1(VALU_DEP_3)
	v_add_f64 v[34:35], v[38:39], -v[40:41]
	v_add_f64 v[36:37], -v[32:33], s[80:81]
	s_delay_alu instid0(VALU_DEP_2) | instskip(NEXT) | instid1(VALU_DEP_2)
	v_add_f64 v[30:31], v[30:31], v[34:35]
	v_cndmask_b32_e64 v33, v33, v37, s0
	s_delay_alu instid0(VALU_DEP_3) | instskip(NEXT) | instid1(VALU_DEP_1)
	v_cndmask_b32_e64 v32, v32, v36, s0
	v_add_f64 v[34:35], -v[32:33], s[10:11]
	s_delay_alu instid0(VALU_DEP_4) | instskip(NEXT) | instid1(VALU_DEP_2)
	v_add_f64 v[30:31], v[48:49], v[30:31]
	v_cndmask_b32_e64 v19, v32, v34, s1
	s_delay_alu instid0(VALU_DEP_2)
	v_dual_cndmask_b32 v31, v31, v16 :: v_dual_cndmask_b32 v30, v30, v15
	v_cmp_eq_f64_e32 vcc_lo, 0, v[4:5]
	v_and_b32_e32 v14, 0x54442d18, v8
	v_cndmask_b32_e64 v8, v33, v35, s1
	v_cmp_nge_f64_e64 s1, -1.0, v[15:16]
	v_mul_f64 v[30:31], v[30:31], 0.5
	s_delay_alu instid0(VALU_DEP_3) | instskip(SKIP_2) | instid1(VALU_DEP_4)
	v_cndmask_b32_e32 v3, v8, v3, vcc_lo
	v_cndmask_b32_e32 v19, v19, v14, vcc_lo
	v_cmp_ngt_f64_e32 vcc_lo, -1.0, v[15:16]
	v_cndmask_b32_e64 v14, 0, v30, s1
	v_cmp_neq_f64_e64 s1, -1.0, v[15:16]
	v_cndmask_b32_e32 v8, 0x7ff80000, v31, vcc_lo
	s_and_b32 vcc_lo, s3, s2
	v_cndmask_b32_e32 v31, v3, v2, vcc_lo
	v_cndmask_b32_e32 v30, v19, v12, vcc_lo
	s_delay_alu instid0(VALU_DEP_3)
	v_cndmask_b32_e64 v15, 0xfff00000, v8, s1
.LBB186_277:                            ;   in Loop: Header=BB186_162 Depth=1
	s_or_b32 exec_lo, exec_lo, s99
.LBB186_278:                            ;   in Loop: Header=BB186_162 Depth=1
	s_delay_alu instid0(SALU_CYCLE_1)
	s_or_b32 exec_lo, exec_lo, s98
.LBB186_279:                            ;   in Loop: Header=BB186_162 Depth=1
	s_and_not1_saveexec_b32 s3, s97
	s_cbranch_execz .LBB186_281
; %bb.280:                              ;   in Loop: Header=BB186_162 Depth=1
	v_max_f64 v[14:15], |v[4:5]|, |v[4:5]|
	v_max_f64 v[30:31], |v[2:3]|, |v[2:3]|
	v_cmp_class_f64_e64 s4, v[2:3], 0x204
	v_cmp_class_f64_e64 s5, v[4:5], 0x204
	s_mov_b32 s91, s21
	s_mov_b32 s10, s80
	v_cmp_eq_f64_e64 s2, 0, v[4:5]
	s_delay_alu instid0(VALU_DEP_4) | instskip(SKIP_1) | instid1(VALU_DEP_4)
	v_max_f64 v[32:33], v[30:31], v[14:15]
	v_min_f64 v[14:15], v[30:31], v[14:15]
	s_or_b32 s6, s4, s5
	s_delay_alu instid0(VALU_DEP_2) | instskip(NEXT) | instid1(VALU_DEP_1)
	v_frexp_exp_i32_f64_e32 v8, v[32:33]
	v_sub_nc_u32_e32 v12, 0, v8
	s_delay_alu instid0(VALU_DEP_1) | instskip(SKIP_1) | instid1(VALU_DEP_2)
	v_ldexp_f64 v[34:35], |v[4:5]|, v12
	v_ldexp_f64 v[36:37], |v[2:3]|, v12
	v_mul_f64 v[34:35], v[34:35], v[34:35]
	s_delay_alu instid0(VALU_DEP_1) | instskip(NEXT) | instid1(VALU_DEP_1)
	v_fma_f64 v[34:35], v[36:37], v[36:37], v[34:35]
	v_rsq_f64_e32 v[36:37], v[34:35]
	v_cmp_eq_f64_e32 vcc_lo, 0, v[34:35]
	s_waitcnt_depctr 0xfff
	v_mul_f64 v[38:39], v[34:35], v[36:37]
	v_mul_f64 v[36:37], v[36:37], 0.5
	s_delay_alu instid0(VALU_DEP_1) | instskip(NEXT) | instid1(VALU_DEP_1)
	v_fma_f64 v[40:41], -v[36:37], v[38:39], 0.5
	v_fma_f64 v[38:39], v[38:39], v[40:41], v[38:39]
	v_fma_f64 v[36:37], v[36:37], v[40:41], v[36:37]
	s_delay_alu instid0(VALU_DEP_2) | instskip(NEXT) | instid1(VALU_DEP_1)
	v_fma_f64 v[40:41], -v[38:39], v[38:39], v[34:35]
	v_fma_f64 v[36:37], v[40:41], v[36:37], v[38:39]
	s_delay_alu instid0(VALU_DEP_1) | instskip(SKIP_1) | instid1(VALU_DEP_2)
	v_dual_cndmask_b32 v35, v37, v35 :: v_dual_cndmask_b32 v34, v36, v34
	v_div_scale_f64 v[58:59], vcc_lo, v[14:15], v[32:33], v[14:15]
	v_ldexp_f64 v[34:35], v[34:35], v8
	s_delay_alu instid0(VALU_DEP_1) | instskip(NEXT) | instid1(VALU_DEP_2)
	v_cndmask_b32_e64 v37, v35, 0x7ff00000, s6
	v_cndmask_b32_e64 v36, v34, 0, s6
	s_delay_alu instid0(VALU_DEP_1) | instskip(SKIP_1) | instid1(VALU_DEP_2)
	v_frexp_mant_f64_e32 v[38:39], v[36:37]
	v_frexp_exp_i32_f64_e32 v2, v[36:37]
	v_cmp_gt_f64_e64 s1, s[20:21], v[38:39]
	s_delay_alu instid0(VALU_DEP_1) | instskip(NEXT) | instid1(VALU_DEP_1)
	v_cndmask_b32_e64 v19, 0x3ff00000, 2.0, s1
	v_mul_f64 v[38:39], v[38:39], v[18:19]
	s_delay_alu instid0(VALU_DEP_1) | instskip(SKIP_1) | instid1(VALU_DEP_2)
	v_add_f64 v[40:41], v[38:39], 1.0
	v_add_f64 v[46:47], v[38:39], -1.0
	v_rcp_f64_e32 v[42:43], v[40:41]
	v_add_f64 v[48:49], v[40:41], -1.0
	s_delay_alu instid0(VALU_DEP_1) | instskip(SKIP_2) | instid1(VALU_DEP_1)
	v_add_f64 v[38:39], v[38:39], -v[48:49]
	s_waitcnt_depctr 0xfff
	v_fma_f64 v[44:45], -v[40:41], v[42:43], 1.0
	v_fma_f64 v[42:43], v[44:45], v[42:43], v[42:43]
	s_delay_alu instid0(VALU_DEP_1) | instskip(NEXT) | instid1(VALU_DEP_1)
	v_fma_f64 v[44:45], -v[40:41], v[42:43], 1.0
	v_fma_f64 v[42:43], v[44:45], v[42:43], v[42:43]
	v_div_scale_f64 v[44:45], null, v[32:33], v[32:33], v[14:15]
	s_delay_alu instid0(VALU_DEP_2) | instskip(NEXT) | instid1(VALU_DEP_2)
	v_mul_f64 v[30:31], v[46:47], v[42:43]
	v_rcp_f64_e32 v[52:53], v[44:45]
	s_delay_alu instid0(VALU_DEP_1) | instskip(SKIP_3) | instid1(VALU_DEP_1)
	v_mul_f64 v[50:51], v[40:41], v[30:31]
	s_waitcnt_depctr 0xfff
	v_fma_f64 v[48:49], -v[44:45], v[52:53], 1.0
	v_fma_f64 v[40:41], v[30:31], v[40:41], -v[50:51]
	v_fma_f64 v[38:39], v[30:31], v[38:39], v[40:41]
	s_delay_alu instid0(VALU_DEP_3) | instskip(NEXT) | instid1(VALU_DEP_2)
	v_fma_f64 v[40:41], v[52:53], v[48:49], v[52:53]
	v_add_f64 v[48:49], v[50:51], v[38:39]
	s_delay_alu instid0(VALU_DEP_2) | instskip(NEXT) | instid1(VALU_DEP_2)
	v_fma_f64 v[52:53], -v[44:45], v[40:41], 1.0
	v_add_f64 v[56:57], v[46:47], -v[48:49]
	s_delay_alu instid0(VALU_DEP_2) | instskip(SKIP_1) | instid1(VALU_DEP_3)
	v_fma_f64 v[40:41], v[40:41], v[52:53], v[40:41]
	v_add_f64 v[50:51], v[48:49], -v[50:51]
	v_add_f64 v[46:47], v[46:47], -v[56:57]
	s_delay_alu instid0(VALU_DEP_3) | instskip(NEXT) | instid1(VALU_DEP_3)
	v_mul_f64 v[52:53], v[58:59], v[40:41]
	v_add_f64 v[38:39], v[50:51], -v[38:39]
	s_delay_alu instid0(VALU_DEP_3) | instskip(NEXT) | instid1(VALU_DEP_3)
	v_add_f64 v[46:47], v[46:47], -v[48:49]
	v_fma_f64 v[44:45], -v[44:45], v[52:53], v[58:59]
	s_delay_alu instid0(VALU_DEP_2) | instskip(NEXT) | instid1(VALU_DEP_2)
	v_add_f64 v[38:39], v[38:39], v[46:47]
	v_div_fmas_f64 v[40:41], v[44:45], v[40:41], v[52:53]
	v_subrev_co_ci_u32_e64 v2, vcc_lo, 0, v2, s1
	v_cmp_class_f64_e64 s1, v[34:35], 0x204
	v_cmp_gt_i32_e32 vcc_lo, 0, v3
	v_add_f64 v[38:39], v[56:57], v[38:39]
	v_div_fixup_f64 v[14:15], v[40:41], v[32:33], v[14:15]
	s_delay_alu instid0(VALU_DEP_2) | instskip(NEXT) | instid1(VALU_DEP_2)
	v_mul_f64 v[32:33], v[42:43], v[38:39]
	v_mul_f64 v[38:39], v[14:15], v[14:15]
	s_delay_alu instid0(VALU_DEP_2) | instskip(NEXT) | instid1(VALU_DEP_2)
	v_add_f64 v[40:41], v[30:31], v[32:33]
	v_fma_f64 v[42:43], v[38:39], s[42:43], s[40:41]
	s_delay_alu instid0(VALU_DEP_2) | instskip(NEXT) | instid1(VALU_DEP_2)
	v_mul_f64 v[44:45], v[40:41], v[40:41]
	v_fma_f64 v[42:43], v[38:39], v[42:43], s[44:45]
	v_add_f64 v[30:31], v[40:41], -v[30:31]
	s_delay_alu instid0(VALU_DEP_3) | instskip(NEXT) | instid1(VALU_DEP_3)
	v_fma_f64 v[46:47], v[44:45], s[24:25], s[22:23]
	v_fma_f64 v[42:43], v[38:39], v[42:43], s[46:47]
	v_mul_f64 v[48:49], v[40:41], v[44:45]
	s_delay_alu instid0(VALU_DEP_4) | instskip(NEXT) | instid1(VALU_DEP_4)
	v_add_f64 v[30:31], v[32:33], -v[30:31]
	v_fma_f64 v[46:47], v[44:45], v[46:47], s[26:27]
	s_delay_alu instid0(VALU_DEP_4) | instskip(NEXT) | instid1(VALU_DEP_3)
	v_fma_f64 v[42:43], v[38:39], v[42:43], s[48:49]
	v_ldexp_f64 v[30:31], v[30:31], 1
	s_delay_alu instid0(VALU_DEP_3) | instskip(NEXT) | instid1(VALU_DEP_3)
	v_fma_f64 v[46:47], v[44:45], v[46:47], s[28:29]
	v_fma_f64 v[42:43], v[38:39], v[42:43], s[50:51]
	s_delay_alu instid0(VALU_DEP_2) | instskip(NEXT) | instid1(VALU_DEP_2)
	v_fma_f64 v[46:47], v[44:45], v[46:47], s[30:31]
	v_fma_f64 v[42:43], v[38:39], v[42:43], s[52:53]
	s_delay_alu instid0(VALU_DEP_2) | instskip(NEXT) | instid1(VALU_DEP_2)
	;; [unrolled: 3-line block ×3, first 2 shown]
	v_fma_f64 v[44:45], v[44:45], v[46:47], s[90:91]
	v_fma_f64 v[42:43], v[38:39], v[42:43], s[56:57]
	v_ldexp_f64 v[46:47], v[40:41], 1
	s_delay_alu instid0(VALU_DEP_3) | instskip(NEXT) | instid1(VALU_DEP_3)
	v_mul_f64 v[44:45], v[48:49], v[44:45]
	v_fma_f64 v[42:43], v[38:39], v[42:43], s[58:59]
	v_cvt_f64_i32_e32 v[48:49], v2
	v_ashrrev_i32_e32 v2, 31, v3
	v_cndmask_b32_e32 v3, 0x54442d18, v54, vcc_lo
	v_add_f64 v[40:41], v[46:47], v[44:45]
	v_fma_f64 v[42:43], v[38:39], v[42:43], s[60:61]
	v_mul_f64 v[50:51], v[48:49], s[36:37]
	s_delay_alu instid0(VALU_DEP_3) | instskip(NEXT) | instid1(VALU_DEP_3)
	v_add_f64 v[32:33], v[40:41], -v[46:47]
	v_fma_f64 v[42:43], v[38:39], v[42:43], s[62:63]
	s_delay_alu instid0(VALU_DEP_3) | instskip(NEXT) | instid1(VALU_DEP_3)
	v_fma_f64 v[46:47], v[48:49], s[36:37], -v[50:51]
	v_add_f64 v[32:33], v[44:45], -v[32:33]
	s_delay_alu instid0(VALU_DEP_3) | instskip(NEXT) | instid1(VALU_DEP_3)
	v_fma_f64 v[42:43], v[38:39], v[42:43], s[64:65]
	v_fma_f64 v[44:45], v[48:49], s[38:39], v[46:47]
	s_delay_alu instid0(VALU_DEP_3) | instskip(NEXT) | instid1(VALU_DEP_3)
	v_add_f64 v[30:31], v[30:31], v[32:33]
	v_fma_f64 v[32:33], v[38:39], v[42:43], s[66:67]
	s_delay_alu instid0(VALU_DEP_3) | instskip(NEXT) | instid1(VALU_DEP_3)
	v_add_f64 v[42:43], v[50:51], v[44:45]
	v_add_f64 v[46:47], v[40:41], v[30:31]
	s_delay_alu instid0(VALU_DEP_3) | instskip(NEXT) | instid1(VALU_DEP_3)
	v_fma_f64 v[32:33], v[38:39], v[32:33], s[68:69]
	v_add_f64 v[50:51], v[42:43], -v[50:51]
	s_delay_alu instid0(VALU_DEP_3) | instskip(NEXT) | instid1(VALU_DEP_3)
	v_add_f64 v[48:49], v[42:43], v[46:47]
	v_fma_f64 v[32:33], v[38:39], v[32:33], s[70:71]
	v_add_f64 v[40:41], v[46:47], -v[40:41]
	s_delay_alu instid0(VALU_DEP_4) | instskip(NEXT) | instid1(VALU_DEP_4)
	v_add_f64 v[44:45], v[44:45], -v[50:51]
	v_add_f64 v[52:53], v[48:49], -v[42:43]
	s_delay_alu instid0(VALU_DEP_4) | instskip(NEXT) | instid1(VALU_DEP_4)
	v_fma_f64 v[32:33], v[38:39], v[32:33], s[72:73]
	v_add_f64 v[30:31], v[30:31], -v[40:41]
	s_delay_alu instid0(VALU_DEP_3) | instskip(NEXT) | instid1(VALU_DEP_3)
	v_add_f64 v[56:57], v[48:49], -v[52:53]
	v_fma_f64 v[32:33], v[38:39], v[32:33], s[74:75]
	v_add_f64 v[40:41], v[46:47], -v[52:53]
	s_delay_alu instid0(VALU_DEP_4) | instskip(NEXT) | instid1(VALU_DEP_4)
	v_add_f64 v[46:47], v[44:45], v[30:31]
	v_add_f64 v[42:43], v[42:43], -v[56:57]
	s_delay_alu instid0(VALU_DEP_4) | instskip(NEXT) | instid1(VALU_DEP_2)
	v_fma_f64 v[32:33], v[38:39], v[32:33], s[76:77]
	v_add_f64 v[40:41], v[40:41], v[42:43]
	s_delay_alu instid0(VALU_DEP_2) | instskip(SKIP_1) | instid1(VALU_DEP_3)
	v_fma_f64 v[32:33], v[38:39], v[32:33], s[78:79]
	v_add_f64 v[42:43], v[46:47], -v[44:45]
	v_add_f64 v[40:41], v[46:47], v[40:41]
	s_delay_alu instid0(VALU_DEP_3) | instskip(NEXT) | instid1(VALU_DEP_3)
	v_mul_f64 v[32:33], v[38:39], v[32:33]
	v_add_f64 v[38:39], v[46:47], -v[42:43]
	v_add_f64 v[30:31], v[30:31], -v[42:43]
	s_delay_alu instid0(VALU_DEP_4) | instskip(NEXT) | instid1(VALU_DEP_4)
	v_add_f64 v[46:47], v[48:49], v[40:41]
	v_fma_f64 v[14:15], v[14:15], v[32:33], v[14:15]
	s_delay_alu instid0(VALU_DEP_4) | instskip(NEXT) | instid1(VALU_DEP_3)
	v_add_f64 v[32:33], v[44:45], -v[38:39]
	v_add_f64 v[38:39], v[46:47], -v[48:49]
	s_delay_alu instid0(VALU_DEP_3) | instskip(NEXT) | instid1(VALU_DEP_3)
	v_add_f64 v[42:43], -v[14:15], s[80:81]
	v_add_f64 v[30:31], v[30:31], v[32:33]
	s_delay_alu instid0(VALU_DEP_3) | instskip(NEXT) | instid1(VALU_DEP_3)
	v_add_f64 v[32:33], v[40:41], -v[38:39]
	v_cndmask_b32_e64 v15, v15, v43, s0
	s_delay_alu instid0(VALU_DEP_4) | instskip(NEXT) | instid1(VALU_DEP_3)
	v_cndmask_b32_e64 v14, v14, v42, s0
	v_add_f64 v[30:31], v[30:31], v[32:33]
	s_delay_alu instid0(VALU_DEP_2) | instskip(SKIP_2) | instid1(VALU_DEP_4)
	v_add_f64 v[32:33], -v[14:15], s[10:11]
	v_and_b32_e32 v8, 0x54442d18, v2
	v_and_b32_e32 v2, 0x400921fb, v2
	v_add_f64 v[30:31], v[46:47], v[30:31]
	s_delay_alu instid0(VALU_DEP_4) | instskip(SKIP_2) | instid1(VALU_DEP_3)
	v_dual_cndmask_b32 v15, v15, v33 :: v_dual_cndmask_b32 v12, v14, v32
	v_cndmask_b32_e32 v14, 0x3fe921fb, v55, vcc_lo
	v_cmp_ngt_f64_e32 vcc_lo, 0, v[36:37]
	v_cndmask_b32_e64 v2, v15, v2, s2
	s_delay_alu instid0(VALU_DEP_4) | instskip(NEXT) | instid1(VALU_DEP_4)
	v_cndmask_b32_e64 v8, v12, v8, s2
	v_bfi_b32 v14, 0x7fffffff, v14, v5
	v_cndmask_b32_e64 v16, v31, v35, s1
	v_cndmask_b32_e64 v19, v30, v34, s1
	v_cmp_nge_f64_e64 s1, 0, v[36:37]
	s_delay_alu instid0(VALU_DEP_3) | instskip(NEXT) | instid1(VALU_DEP_3)
	v_cndmask_b32_e64 v16, v16, 0x7ff00000, s6
	v_cndmask_b32_e64 v12, v19, 0, s6
	s_delay_alu instid0(VALU_DEP_2) | instskip(SKIP_2) | instid1(VALU_DEP_3)
	v_cndmask_b32_e32 v15, 0x7ff80000, v16, vcc_lo
	s_and_b32 vcc_lo, s4, s5
	v_dual_cndmask_b32 v31, v2, v14 :: v_dual_cndmask_b32 v30, v8, v3
	v_cndmask_b32_e64 v14, 0, v12, s1
	v_cmp_neq_f64_e64 s1, 0, v[36:37]
	s_delay_alu instid0(VALU_DEP_1)
	v_cndmask_b32_e64 v15, 0xfff00000, v15, s1
.LBB186_281:                            ;   in Loop: Header=BB186_162 Depth=1
	s_or_b32 exec_lo, exec_lo, s3
                                        ; implicit-def: $vgpr34_vgpr35
.LBB186_282:                            ;   in Loop: Header=BB186_162 Depth=1
	s_and_not1_saveexec_b32 s3, s96
	s_cbranch_execz .LBB186_288
; %bb.283:                              ;   in Loop: Header=BB186_162 Depth=1
                                        ; implicit-def: $vgpr14_vgpr15
                                        ; implicit-def: $vgpr30_vgpr31
	s_mov_b32 s1, exec_lo
	v_cmpx_ngt_f64_e32 s[84:85], v[34:35]
	s_xor_b32 s4, exec_lo, s1
	s_cbranch_execz .LBB186_285
; %bb.284:                              ;   in Loop: Header=BB186_162 Depth=1
	v_mul_f64 v[14:15], v[34:35], v[34:35]
	s_mov_b32 s91, s21
	s_mov_b32 s10, s80
	v_cmp_eq_f64_e64 s2, 0, v[4:5]
	v_cmp_class_f64_e64 s5, v[4:5], 0x204
	v_cmp_class_f64_e64 s6, v[2:3], 0x204
	v_cmp_gt_i32_e64 s1, 0, v3
	v_add_f64 v[30:31], v[14:15], 1.0
	s_delay_alu instid0(VALU_DEP_1) | instskip(SKIP_2) | instid1(VALU_DEP_3)
	v_frexp_mant_f64_e32 v[32:33], v[30:31]
	v_frexp_exp_i32_f64_e32 v8, v[30:31]
	v_add_f64 v[34:35], v[30:31], -1.0
	v_cmp_gt_f64_e32 vcc_lo, s[20:21], v[32:33]
	s_delay_alu instid0(VALU_DEP_2) | instskip(SKIP_2) | instid1(VALU_DEP_3)
	v_add_f64 v[32:33], v[34:35], -v[30:31]
	v_add_f64 v[34:35], v[14:15], -v[34:35]
	v_subrev_co_ci_u32_e32 v8, vcc_lo, 0, v8, vcc_lo
	v_add_f64 v[32:33], v[32:33], 1.0
	s_delay_alu instid0(VALU_DEP_2) | instskip(NEXT) | instid1(VALU_DEP_1)
	v_sub_nc_u32_e32 v12, 0, v8
	v_ldexp_f64 v[30:31], v[30:31], v12
	s_delay_alu instid0(VALU_DEP_3) | instskip(NEXT) | instid1(VALU_DEP_2)
	v_add_f64 v[32:33], v[34:35], v[32:33]
	v_add_f64 v[36:37], v[30:31], 1.0
	v_add_f64 v[42:43], v[30:31], -1.0
	s_delay_alu instid0(VALU_DEP_3) | instskip(SKIP_1) | instid1(VALU_DEP_4)
	v_ldexp_f64 v[32:33], v[32:33], v12
	v_cndmask_b32_e64 v12, 0x54442d18, v54, s1
	v_add_f64 v[34:35], v[36:37], -1.0
	s_delay_alu instid0(VALU_DEP_4) | instskip(NEXT) | instid1(VALU_DEP_2)
	v_add_f64 v[44:45], v[42:43], 1.0
	v_add_f64 v[34:35], v[30:31], -v[34:35]
	s_delay_alu instid0(VALU_DEP_2) | instskip(NEXT) | instid1(VALU_DEP_2)
	v_add_f64 v[30:31], v[30:31], -v[44:45]
	v_add_f64 v[34:35], v[32:33], v[34:35]
	s_delay_alu instid0(VALU_DEP_2) | instskip(NEXT) | instid1(VALU_DEP_2)
	v_add_f64 v[30:31], v[32:33], v[30:31]
	v_add_f64 v[38:39], v[36:37], v[34:35]
	s_delay_alu instid0(VALU_DEP_2) | instskip(NEXT) | instid1(VALU_DEP_2)
	v_add_f64 v[44:45], v[42:43], v[30:31]
	v_rcp_f64_e32 v[40:41], v[38:39]
	v_add_f64 v[36:37], v[36:37], -v[38:39]
	s_delay_alu instid0(VALU_DEP_2) | instskip(NEXT) | instid1(VALU_DEP_2)
	v_add_f64 v[42:43], v[42:43], -v[44:45]
	v_add_f64 v[34:35], v[34:35], v[36:37]
	s_waitcnt_depctr 0xfff
	v_fma_f64 v[46:47], -v[38:39], v[40:41], 1.0
	v_add_f64 v[30:31], v[30:31], v[42:43]
	s_delay_alu instid0(VALU_DEP_2) | instskip(NEXT) | instid1(VALU_DEP_1)
	v_fma_f64 v[40:41], v[46:47], v[40:41], v[40:41]
	v_fma_f64 v[32:33], -v[38:39], v[40:41], 1.0
	s_delay_alu instid0(VALU_DEP_1) | instskip(NEXT) | instid1(VALU_DEP_1)
	v_fma_f64 v[32:33], v[32:33], v[40:41], v[40:41]
	v_mul_f64 v[40:41], v[44:45], v[32:33]
	s_delay_alu instid0(VALU_DEP_1) | instskip(NEXT) | instid1(VALU_DEP_1)
	v_mul_f64 v[46:47], v[38:39], v[40:41]
	v_fma_f64 v[36:37], v[40:41], v[38:39], -v[46:47]
	s_delay_alu instid0(VALU_DEP_1) | instskip(NEXT) | instid1(VALU_DEP_1)
	v_fma_f64 v[36:37], v[40:41], v[34:35], v[36:37]
	v_add_f64 v[48:49], v[46:47], v[36:37]
	s_delay_alu instid0(VALU_DEP_1) | instskip(SKIP_2) | instid1(VALU_DEP_3)
	v_add_f64 v[50:51], v[44:45], -v[48:49]
	v_add_f64 v[42:43], v[48:49], -v[46:47]
	v_max_f64 v[46:47], |v[4:5]|, |v[4:5]|
	v_add_f64 v[44:45], v[44:45], -v[50:51]
	s_delay_alu instid0(VALU_DEP_3) | instskip(NEXT) | instid1(VALU_DEP_2)
	v_add_f64 v[36:37], v[42:43], -v[36:37]
	v_add_f64 v[44:45], v[44:45], -v[48:49]
	v_max_f64 v[48:49], |v[2:3]|, |v[2:3]|
	s_delay_alu instid0(VALU_DEP_2) | instskip(NEXT) | instid1(VALU_DEP_2)
	v_add_f64 v[30:31], v[30:31], v[44:45]
	v_max_f64 v[52:53], v[48:49], v[46:47]
	v_min_f64 v[46:47], v[48:49], v[46:47]
	s_delay_alu instid0(VALU_DEP_3) | instskip(NEXT) | instid1(VALU_DEP_1)
	v_add_f64 v[30:31], v[36:37], v[30:31]
	v_add_f64 v[36:37], v[50:51], v[30:31]
	s_delay_alu instid0(VALU_DEP_1) | instskip(SKIP_1) | instid1(VALU_DEP_2)
	v_mul_f64 v[42:43], v[32:33], v[36:37]
	v_add_f64 v[50:51], v[50:51], -v[36:37]
	v_mul_f64 v[44:45], v[38:39], v[42:43]
	s_delay_alu instid0(VALU_DEP_2) | instskip(NEXT) | instid1(VALU_DEP_2)
	v_add_f64 v[30:31], v[30:31], v[50:51]
	v_fma_f64 v[38:39], v[42:43], v[38:39], -v[44:45]
	s_delay_alu instid0(VALU_DEP_1) | instskip(SKIP_1) | instid1(VALU_DEP_2)
	v_fma_f64 v[34:35], v[42:43], v[34:35], v[38:39]
	v_div_scale_f64 v[38:39], null, v[52:53], v[52:53], v[46:47]
	v_add_f64 v[48:49], v[44:45], v[34:35]
	s_delay_alu instid0(VALU_DEP_2) | instskip(NEXT) | instid1(VALU_DEP_1)
	v_rcp_f64_e32 v[56:57], v[38:39]
	v_add_f64 v[58:59], v[36:37], -v[48:49]
	v_add_f64 v[44:45], v[48:49], -v[44:45]
	s_waitcnt_depctr 0xfff
	v_fma_f64 v[60:61], -v[38:39], v[56:57], 1.0
	v_add_f64 v[36:37], v[36:37], -v[58:59]
	v_add_f64 v[34:35], v[44:45], -v[34:35]
	s_delay_alu instid0(VALU_DEP_3) | instskip(NEXT) | instid1(VALU_DEP_3)
	v_fma_f64 v[56:57], v[56:57], v[60:61], v[56:57]
	v_add_f64 v[36:37], v[36:37], -v[48:49]
	s_delay_alu instid0(VALU_DEP_2) | instskip(NEXT) | instid1(VALU_DEP_2)
	v_fma_f64 v[48:49], -v[38:39], v[56:57], 1.0
	v_add_f64 v[30:31], v[30:31], v[36:37]
	v_div_scale_f64 v[36:37], vcc_lo, v[46:47], v[52:53], v[46:47]
	s_delay_alu instid0(VALU_DEP_3) | instskip(SKIP_1) | instid1(VALU_DEP_4)
	v_fma_f64 v[44:45], v[56:57], v[48:49], v[56:57]
	v_add_f64 v[48:49], v[40:41], v[42:43]
	v_add_f64 v[30:31], v[34:35], v[30:31]
	s_delay_alu instid0(VALU_DEP_3) | instskip(NEXT) | instid1(VALU_DEP_3)
	v_mul_f64 v[34:35], v[36:37], v[44:45]
	v_add_f64 v[40:41], v[48:49], -v[40:41]
	s_delay_alu instid0(VALU_DEP_3) | instskip(NEXT) | instid1(VALU_DEP_3)
	v_add_f64 v[30:31], v[58:59], v[30:31]
	v_fma_f64 v[36:37], -v[38:39], v[34:35], v[36:37]
	s_delay_alu instid0(VALU_DEP_3) | instskip(NEXT) | instid1(VALU_DEP_3)
	v_add_f64 v[38:39], v[42:43], -v[40:41]
	v_mul_f64 v[30:31], v[32:33], v[30:31]
	s_delay_alu instid0(VALU_DEP_3) | instskip(SKIP_1) | instid1(VALU_DEP_3)
	v_div_fmas_f64 v[32:33], v[36:37], v[44:45], v[34:35]
	v_cmp_eq_f64_e32 vcc_lo, 0x7ff00000, v[14:15]
	v_add_f64 v[30:31], v[38:39], v[30:31]
	s_delay_alu instid0(VALU_DEP_3) | instskip(NEXT) | instid1(VALU_DEP_2)
	v_div_fixup_f64 v[32:33], v[32:33], v[52:53], v[46:47]
	v_add_f64 v[34:35], v[48:49], v[30:31]
	s_delay_alu instid0(VALU_DEP_2) | instskip(NEXT) | instid1(VALU_DEP_2)
	v_mul_f64 v[36:37], v[32:33], v[32:33]
	v_mul_f64 v[38:39], v[34:35], v[34:35]
	s_delay_alu instid0(VALU_DEP_2) | instskip(NEXT) | instid1(VALU_DEP_2)
	v_fma_f64 v[40:41], v[36:37], s[42:43], s[40:41]
	v_fma_f64 v[42:43], v[38:39], s[24:25], s[22:23]
	v_mul_f64 v[44:45], v[34:35], v[38:39]
	s_delay_alu instid0(VALU_DEP_3) | instskip(NEXT) | instid1(VALU_DEP_3)
	v_fma_f64 v[40:41], v[36:37], v[40:41], s[44:45]
	v_fma_f64 v[42:43], v[38:39], v[42:43], s[26:27]
	s_delay_alu instid0(VALU_DEP_2) | instskip(NEXT) | instid1(VALU_DEP_2)
	v_fma_f64 v[40:41], v[36:37], v[40:41], s[46:47]
	v_fma_f64 v[42:43], v[38:39], v[42:43], s[28:29]
	s_delay_alu instid0(VALU_DEP_2) | instskip(NEXT) | instid1(VALU_DEP_2)
	;; [unrolled: 3-line block ×4, first 2 shown]
	v_fma_f64 v[40:41], v[36:37], v[40:41], s[52:53]
	v_fma_f64 v[38:39], v[38:39], v[42:43], s[90:91]
	v_ldexp_f64 v[42:43], v[34:35], 1
	v_add_f64 v[34:35], v[34:35], -v[48:49]
	s_delay_alu instid0(VALU_DEP_4) | instskip(NEXT) | instid1(VALU_DEP_4)
	v_fma_f64 v[40:41], v[36:37], v[40:41], s[54:55]
	v_mul_f64 v[38:39], v[44:45], v[38:39]
	v_cvt_f64_i32_e32 v[44:45], v8
	s_delay_alu instid0(VALU_DEP_4) | instskip(NEXT) | instid1(VALU_DEP_4)
	v_add_f64 v[30:31], v[30:31], -v[34:35]
	v_fma_f64 v[40:41], v[36:37], v[40:41], s[56:57]
	v_ashrrev_i32_e32 v8, 31, v3
	v_add_f64 v[46:47], v[42:43], v[38:39]
	v_mul_f64 v[48:49], v[44:45], s[36:37]
	v_ldexp_f64 v[30:31], v[30:31], 1
	v_fma_f64 v[40:41], v[36:37], v[40:41], s[58:59]
	s_delay_alu instid0(VALU_DEP_4) | instskip(NEXT) | instid1(VALU_DEP_4)
	v_add_f64 v[34:35], v[46:47], -v[42:43]
	v_fma_f64 v[42:43], v[44:45], s[36:37], -v[48:49]
	s_delay_alu instid0(VALU_DEP_3) | instskip(NEXT) | instid1(VALU_DEP_3)
	v_fma_f64 v[40:41], v[36:37], v[40:41], s[60:61]
	v_add_f64 v[34:35], v[38:39], -v[34:35]
	s_delay_alu instid0(VALU_DEP_2) | instskip(NEXT) | instid1(VALU_DEP_4)
	v_fma_f64 v[38:39], v[36:37], v[40:41], s[62:63]
	v_fma_f64 v[40:41], v[44:45], s[38:39], v[42:43]
	s_delay_alu instid0(VALU_DEP_3) | instskip(NEXT) | instid1(VALU_DEP_3)
	v_add_f64 v[30:31], v[30:31], v[34:35]
	v_fma_f64 v[34:35], v[36:37], v[38:39], s[64:65]
	s_delay_alu instid0(VALU_DEP_3) | instskip(NEXT) | instid1(VALU_DEP_3)
	v_add_f64 v[38:39], v[48:49], v[40:41]
	v_add_f64 v[42:43], v[46:47], v[30:31]
	s_delay_alu instid0(VALU_DEP_3) | instskip(NEXT) | instid1(VALU_DEP_3)
	v_fma_f64 v[34:35], v[36:37], v[34:35], s[66:67]
	v_add_f64 v[48:49], v[38:39], -v[48:49]
	s_delay_alu instid0(VALU_DEP_3) | instskip(SKIP_1) | instid1(VALU_DEP_4)
	v_add_f64 v[44:45], v[38:39], v[42:43]
	v_add_f64 v[46:47], v[42:43], -v[46:47]
	v_fma_f64 v[34:35], v[36:37], v[34:35], s[68:69]
	s_delay_alu instid0(VALU_DEP_4) | instskip(NEXT) | instid1(VALU_DEP_4)
	v_add_f64 v[40:41], v[40:41], -v[48:49]
	v_add_f64 v[50:51], v[44:45], -v[38:39]
	s_delay_alu instid0(VALU_DEP_4) | instskip(NEXT) | instid1(VALU_DEP_4)
	v_add_f64 v[30:31], v[30:31], -v[46:47]
	v_fma_f64 v[34:35], v[36:37], v[34:35], s[70:71]
	s_delay_alu instid0(VALU_DEP_3) | instskip(SKIP_1) | instid1(VALU_DEP_4)
	v_add_f64 v[52:53], v[44:45], -v[50:51]
	v_add_f64 v[42:43], v[42:43], -v[50:51]
	v_add_f64 v[46:47], v[40:41], v[30:31]
	s_delay_alu instid0(VALU_DEP_4) | instskip(NEXT) | instid1(VALU_DEP_4)
	v_fma_f64 v[34:35], v[36:37], v[34:35], s[72:73]
	v_add_f64 v[38:39], v[38:39], -v[52:53]
	s_delay_alu instid0(VALU_DEP_2) | instskip(NEXT) | instid1(VALU_DEP_2)
	v_fma_f64 v[34:35], v[36:37], v[34:35], s[74:75]
	v_add_f64 v[38:39], v[42:43], v[38:39]
	v_add_f64 v[42:43], v[46:47], -v[40:41]
	s_delay_alu instid0(VALU_DEP_3) | instskip(NEXT) | instid1(VALU_DEP_3)
	v_fma_f64 v[34:35], v[36:37], v[34:35], s[76:77]
	v_add_f64 v[38:39], v[46:47], v[38:39]
	s_delay_alu instid0(VALU_DEP_3) | instskip(SKIP_1) | instid1(VALU_DEP_4)
	v_add_f64 v[46:47], v[46:47], -v[42:43]
	v_add_f64 v[30:31], v[30:31], -v[42:43]
	v_fma_f64 v[34:35], v[36:37], v[34:35], s[78:79]
	s_delay_alu instid0(VALU_DEP_4) | instskip(NEXT) | instid1(VALU_DEP_2)
	v_add_f64 v[48:49], v[44:45], v[38:39]
	v_mul_f64 v[34:35], v[36:37], v[34:35]
	v_add_f64 v[36:37], v[40:41], -v[46:47]
	s_delay_alu instid0(VALU_DEP_3) | instskip(NEXT) | instid1(VALU_DEP_3)
	v_add_f64 v[40:41], v[48:49], -v[44:45]
	v_fma_f64 v[32:33], v[32:33], v[34:35], v[32:33]
	s_delay_alu instid0(VALU_DEP_3) | instskip(NEXT) | instid1(VALU_DEP_3)
	v_add_f64 v[30:31], v[30:31], v[36:37]
	v_add_f64 v[34:35], v[38:39], -v[40:41]
	s_delay_alu instid0(VALU_DEP_3) | instskip(NEXT) | instid1(VALU_DEP_2)
	v_add_f64 v[36:37], -v[32:33], s[80:81]
	v_add_f64 v[30:31], v[30:31], v[34:35]
	s_delay_alu instid0(VALU_DEP_2) | instskip(NEXT) | instid1(VALU_DEP_3)
	v_cndmask_b32_e64 v33, v33, v37, s0
	v_cndmask_b32_e64 v32, v32, v36, s0
	s_delay_alu instid0(VALU_DEP_1) | instskip(NEXT) | instid1(VALU_DEP_4)
	v_add_f64 v[34:35], -v[32:33], s[10:11]
	v_add_f64 v[30:31], v[48:49], v[30:31]
	v_and_b32_e32 v16, 0x54442d18, v8
	s_delay_alu instid0(VALU_DEP_3) | instskip(NEXT) | instid1(VALU_DEP_3)
	v_cndmask_b32_e64 v19, v32, v34, s1
	v_dual_cndmask_b32 v3, v31, v15 :: v_dual_cndmask_b32 v2, v30, v14
	s_delay_alu instid0(VALU_DEP_2) | instskip(SKIP_1) | instid1(VALU_DEP_2)
	v_cndmask_b32_e64 v16, v19, v16, s2
	s_and_b32 vcc_lo, s6, s5
	v_mul_f64 v[14:15], v[2:3], 0.5
	v_and_b32_e32 v3, 0x400921fb, v8
	v_cndmask_b32_e64 v2, 0x3fe921fb, v55, s1
	v_cndmask_b32_e64 v8, v33, v35, s1
                                        ; implicit-def: $vgpr34_vgpr35
	v_cndmask_b32_e32 v30, v16, v12, vcc_lo
	s_delay_alu instid0(VALU_DEP_3) | instskip(NEXT) | instid1(VALU_DEP_3)
	v_bfi_b32 v2, 0x7fffffff, v2, v5
	v_cndmask_b32_e64 v3, v8, v3, s2
	s_delay_alu instid0(VALU_DEP_1)
	v_cndmask_b32_e32 v31, v3, v2, vcc_lo
.LBB186_285:                            ;   in Loop: Header=BB186_162 Depth=1
	s_and_not1_saveexec_b32 s2, s4
	s_cbranch_execz .LBB186_287
; %bb.286:                              ;   in Loop: Header=BB186_162 Depth=1
	v_max_f64 v[14:15], |v[4:5]|, |v[4:5]|
	v_max_f64 v[30:31], |v[2:3]|, |v[2:3]|
	s_mov_b32 s10, s80
	v_cmp_eq_f64_e64 s1, 0, v[4:5]
	v_cmp_class_f64_e64 s4, v[4:5], 0x204
	v_cmp_class_f64_e64 s5, v[2:3], 0x204
	v_ashrrev_i32_e32 v8, 31, v3
	s_delay_alu instid0(VALU_DEP_1) | instskip(SKIP_2) | instid1(VALU_DEP_1)
	v_and_b32_e32 v19, 0x54442d18, v8
	v_max_f64 v[32:33], v[30:31], v[14:15]
	v_min_f64 v[14:15], v[30:31], v[14:15]
	v_div_scale_f64 v[30:31], null, v[32:33], v[32:33], v[14:15]
	v_div_scale_f64 v[40:41], vcc_lo, v[14:15], v[32:33], v[14:15]
	s_delay_alu instid0(VALU_DEP_2) | instskip(SKIP_2) | instid1(VALU_DEP_1)
	v_rcp_f64_e32 v[36:37], v[30:31]
	s_waitcnt_depctr 0xfff
	v_fma_f64 v[38:39], -v[30:31], v[36:37], 1.0
	v_fma_f64 v[36:37], v[36:37], v[38:39], v[36:37]
	s_delay_alu instid0(VALU_DEP_1) | instskip(NEXT) | instid1(VALU_DEP_1)
	v_fma_f64 v[38:39], -v[30:31], v[36:37], 1.0
	v_fma_f64 v[36:37], v[36:37], v[38:39], v[36:37]
	s_delay_alu instid0(VALU_DEP_1) | instskip(NEXT) | instid1(VALU_DEP_1)
	v_mul_f64 v[38:39], v[40:41], v[36:37]
	v_fma_f64 v[30:31], -v[30:31], v[38:39], v[40:41]
	s_delay_alu instid0(VALU_DEP_1) | instskip(SKIP_4) | instid1(VALU_DEP_2)
	v_div_fmas_f64 v[30:31], v[30:31], v[36:37], v[38:39]
	v_cmp_gt_i32_e32 vcc_lo, 0, v3
	v_and_b32_e32 v3, 0x400921fb, v8
	v_cndmask_b32_e32 v2, 0x3fe921fb, v55, vcc_lo
	v_cndmask_b32_e32 v12, 0x54442d18, v54, vcc_lo
	v_bfi_b32 v2, 0x7fffffff, v2, v5
	v_div_fixup_f64 v[14:15], v[30:31], v[32:33], v[14:15]
	s_delay_alu instid0(VALU_DEP_1) | instskip(NEXT) | instid1(VALU_DEP_1)
	v_mul_f64 v[30:31], v[14:15], v[14:15]
	v_fma_f64 v[32:33], v[30:31], s[42:43], s[40:41]
	s_delay_alu instid0(VALU_DEP_1) | instskip(NEXT) | instid1(VALU_DEP_1)
	v_fma_f64 v[32:33], v[30:31], v[32:33], s[44:45]
	v_fma_f64 v[32:33], v[30:31], v[32:33], s[46:47]
	s_delay_alu instid0(VALU_DEP_1) | instskip(NEXT) | instid1(VALU_DEP_1)
	v_fma_f64 v[32:33], v[30:31], v[32:33], s[48:49]
	;; [unrolled: 3-line block ×9, first 2 shown]
	v_fma_f64 v[32:33], v[30:31], v[32:33], s[78:79]
	s_delay_alu instid0(VALU_DEP_1) | instskip(SKIP_1) | instid1(VALU_DEP_2)
	v_mul_f64 v[30:31], v[30:31], v[32:33]
	v_mul_f64 v[32:33], v[34:35], 0.5
	v_fma_f64 v[14:15], v[14:15], v[30:31], v[14:15]
	s_delay_alu instid0(VALU_DEP_1) | instskip(NEXT) | instid1(VALU_DEP_1)
	v_add_f64 v[30:31], -v[14:15], s[80:81]
	v_cndmask_b32_e64 v16, v15, v31, s0
	s_delay_alu instid0(VALU_DEP_2) | instskip(NEXT) | instid1(VALU_DEP_1)
	v_cndmask_b32_e64 v15, v14, v30, s0
	v_add_f64 v[30:31], -v[15:16], s[10:11]
	s_delay_alu instid0(VALU_DEP_1) | instskip(SKIP_1) | instid1(VALU_DEP_3)
	v_cndmask_b32_e32 v30, v15, v30, vcc_lo
	v_mul_f64 v[14:15], v[34:35], v[32:33]
	v_cndmask_b32_e32 v8, v16, v31, vcc_lo
	s_and_b32 vcc_lo, s5, s4
	s_delay_alu instid0(VALU_DEP_3) | instskip(NEXT) | instid1(VALU_DEP_2)
	v_cndmask_b32_e64 v16, v30, v19, s1
	v_cndmask_b32_e64 v3, v8, v3, s1
	s_delay_alu instid0(VALU_DEP_1)
	v_dual_cndmask_b32 v30, v16, v12 :: v_dual_cndmask_b32 v31, v3, v2
.LBB186_287:                            ;   in Loop: Header=BB186_162 Depth=1
	s_or_b32 exec_lo, exec_lo, s2
.LBB186_288:                            ;   in Loop: Header=BB186_162 Depth=1
	s_delay_alu instid0(SALU_CYCLE_1)
	s_or_b32 exec_lo, exec_lo, s3
.LBB186_289:                            ;   in Loop: Header=BB186_162 Depth=1
	s_and_not1_saveexec_b32 s3, s95
	s_cbranch_execz .LBB186_291
; %bb.290:                              ;   in Loop: Header=BB186_162 Depth=1
	v_div_scale_f64 v[14:15], null, s[86:87], s[86:87], v[2:3]
	v_div_scale_f64 v[30:31], null, s[86:87], s[86:87], v[4:5]
	v_div_scale_f64 v[40:41], vcc_lo, v[2:3], s[86:87], v[2:3]
	v_max_f64 v[44:45], |v[2:3]|, |v[2:3]|
	s_mov_b32 s91, s21
	s_mov_b32 s10, s80
	s_delay_alu instid0(VALU_DEP_4) | instskip(NEXT) | instid1(VALU_DEP_3)
	v_rcp_f64_e32 v[32:33], v[14:15]
	v_rcp_f64_e32 v[34:35], v[30:31]
	s_waitcnt_depctr 0xfff
	v_fma_f64 v[36:37], -v[14:15], v[32:33], 1.0
	v_fma_f64 v[38:39], -v[30:31], v[34:35], 1.0
	s_delay_alu instid0(VALU_DEP_2) | instskip(NEXT) | instid1(VALU_DEP_2)
	v_fma_f64 v[32:33], v[32:33], v[36:37], v[32:33]
	v_fma_f64 v[34:35], v[34:35], v[38:39], v[34:35]
	s_delay_alu instid0(VALU_DEP_2) | instskip(NEXT) | instid1(VALU_DEP_2)
	v_fma_f64 v[36:37], -v[14:15], v[32:33], 1.0
	v_fma_f64 v[38:39], -v[30:31], v[34:35], 1.0
	s_delay_alu instid0(VALU_DEP_2) | instskip(SKIP_1) | instid1(VALU_DEP_3)
	v_fma_f64 v[32:33], v[32:33], v[36:37], v[32:33]
	v_div_scale_f64 v[36:37], s1, v[4:5], s[86:87], v[4:5]
	v_fma_f64 v[34:35], v[34:35], v[38:39], v[34:35]
	s_delay_alu instid0(VALU_DEP_3) | instskip(NEXT) | instid1(VALU_DEP_2)
	v_mul_f64 v[38:39], v[40:41], v[32:33]
	v_mul_f64 v[42:43], v[36:37], v[34:35]
	s_delay_alu instid0(VALU_DEP_2) | instskip(NEXT) | instid1(VALU_DEP_2)
	v_fma_f64 v[14:15], -v[14:15], v[38:39], v[40:41]
	v_fma_f64 v[30:31], -v[30:31], v[42:43], v[36:37]
	s_delay_alu instid0(VALU_DEP_2) | instskip(SKIP_1) | instid1(VALU_DEP_2)
	v_div_fmas_f64 v[14:15], v[14:15], v[32:33], v[38:39]
	s_mov_b32 vcc_lo, s1
	v_div_fmas_f64 v[30:31], v[30:31], v[34:35], v[42:43]
	s_delay_alu instid0(VALU_DEP_2) | instskip(NEXT) | instid1(VALU_DEP_2)
	v_div_fixup_f64 v[14:15], v[14:15], s[86:87], v[2:3]
	v_div_fixup_f64 v[30:31], v[30:31], s[86:87], v[4:5]
	s_delay_alu instid0(VALU_DEP_2) | instskip(NEXT) | instid1(VALU_DEP_2)
	v_cmp_class_f64_e64 s2, v[14:15], 0x204
	v_max_f64 v[32:33], |v[14:15]|, |v[30:31]|
	v_cmp_o_f64_e64 s1, v[14:15], v[30:31]
	v_cmp_class_f64_e64 s4, v[30:31], 0x204
	s_delay_alu instid0(VALU_DEP_3) | instskip(NEXT) | instid1(VALU_DEP_2)
	v_frexp_exp_i32_f64_e32 v8, v[32:33]
	s_or_b32 s4, s2, s4
	s_delay_alu instid0(VALU_DEP_1) | instskip(NEXT) | instid1(VALU_DEP_1)
	v_sub_nc_u32_e32 v12, 0, v8
	v_ldexp_f64 v[32:33], |v[30:31]|, v12
	v_ldexp_f64 v[34:35], |v[14:15]|, v12
	s_delay_alu instid0(VALU_DEP_2) | instskip(NEXT) | instid1(VALU_DEP_1)
	v_mul_f64 v[32:33], v[32:33], v[32:33]
	v_fma_f64 v[32:33], v[34:35], v[34:35], v[32:33]
	s_delay_alu instid0(VALU_DEP_1) | instskip(SKIP_4) | instid1(VALU_DEP_1)
	v_rsq_f64_e32 v[34:35], v[32:33]
	v_cmp_eq_f64_e32 vcc_lo, 0, v[32:33]
	s_waitcnt_depctr 0xfff
	v_mul_f64 v[36:37], v[32:33], v[34:35]
	v_mul_f64 v[34:35], v[34:35], 0.5
	v_fma_f64 v[38:39], -v[34:35], v[36:37], 0.5
	s_delay_alu instid0(VALU_DEP_1) | instskip(SKIP_1) | instid1(VALU_DEP_2)
	v_fma_f64 v[36:37], v[36:37], v[38:39], v[36:37]
	v_fma_f64 v[34:35], v[34:35], v[38:39], v[34:35]
	v_fma_f64 v[38:39], -v[36:37], v[36:37], v[32:33]
	s_delay_alu instid0(VALU_DEP_1) | instskip(NEXT) | instid1(VALU_DEP_1)
	v_fma_f64 v[34:35], v[38:39], v[34:35], v[36:37]
	v_dual_cndmask_b32 v33, v35, v33 :: v_dual_cndmask_b32 v32, v34, v32
	s_delay_alu instid0(VALU_DEP_1) | instskip(NEXT) | instid1(VALU_DEP_1)
	v_ldexp_f64 v[32:33], v[32:33], v8
	v_cndmask_b32_e64 v8, 0, v32, s1
	s_delay_alu instid0(VALU_DEP_2) | instskip(NEXT) | instid1(VALU_DEP_2)
	v_cndmask_b32_e64 v12, 0x7ff80000, v33, s1
	v_cndmask_b32_e64 v15, v8, 0, s4
	s_delay_alu instid0(VALU_DEP_2) | instskip(NEXT) | instid1(VALU_DEP_1)
	v_cndmask_b32_e64 v16, v12, 0x7ff00000, s4
	v_frexp_mant_f64_e32 v[30:31], v[15:16]
	v_frexp_exp_i32_f64_e32 v14, v[15:16]
	s_delay_alu instid0(VALU_DEP_2) | instskip(NEXT) | instid1(VALU_DEP_1)
	v_cmp_gt_f64_e64 s2, s[20:21], v[30:31]
	v_cndmask_b32_e64 v19, 0x3ff00000, 2.0, s2
	s_delay_alu instid0(VALU_DEP_1) | instskip(NEXT) | instid1(VALU_DEP_1)
	v_mul_f64 v[30:31], v[30:31], v[18:19]
	v_add_f64 v[34:35], v[30:31], 1.0
	v_add_f64 v[40:41], v[30:31], -1.0
	s_delay_alu instid0(VALU_DEP_2) | instskip(SKIP_1) | instid1(VALU_DEP_1)
	v_rcp_f64_e32 v[36:37], v[34:35]
	v_add_f64 v[46:47], v[34:35], -1.0
	v_add_f64 v[30:31], v[30:31], -v[46:47]
	s_waitcnt_depctr 0xfff
	v_fma_f64 v[38:39], -v[34:35], v[36:37], 1.0
	s_delay_alu instid0(VALU_DEP_1) | instskip(NEXT) | instid1(VALU_DEP_1)
	v_fma_f64 v[36:37], v[38:39], v[36:37], v[36:37]
	v_fma_f64 v[38:39], -v[34:35], v[36:37], 1.0
	s_delay_alu instid0(VALU_DEP_1) | instskip(SKIP_1) | instid1(VALU_DEP_2)
	v_fma_f64 v[36:37], v[38:39], v[36:37], v[36:37]
	v_max_f64 v[38:39], |v[4:5]|, |v[4:5]|
	v_mul_f64 v[42:43], v[40:41], v[36:37]
	s_delay_alu instid0(VALU_DEP_2) | instskip(SKIP_1) | instid1(VALU_DEP_3)
	v_max_f64 v[50:51], v[44:45], v[38:39]
	v_min_f64 v[38:39], v[44:45], v[38:39]
	v_mul_f64 v[48:49], v[34:35], v[42:43]
	s_delay_alu instid0(VALU_DEP_2) | instskip(NEXT) | instid1(VALU_DEP_2)
	v_div_scale_f64 v[44:45], null, v[50:51], v[50:51], v[38:39]
	v_fma_f64 v[34:35], v[42:43], v[34:35], -v[48:49]
	s_delay_alu instid0(VALU_DEP_1) | instskip(NEXT) | instid1(VALU_DEP_3)
	v_fma_f64 v[30:31], v[42:43], v[30:31], v[34:35]
	v_rcp_f64_e32 v[34:35], v[44:45]
	s_delay_alu instid0(VALU_DEP_1) | instskip(SKIP_4) | instid1(VALU_DEP_3)
	v_add_f64 v[46:47], v[48:49], v[30:31]
	s_waitcnt_depctr 0xfff
	v_fma_f64 v[52:53], -v[44:45], v[34:35], 1.0
	v_add_f64 v[56:57], v[40:41], -v[46:47]
	v_add_f64 v[48:49], v[46:47], -v[48:49]
	v_fma_f64 v[34:35], v[34:35], v[52:53], v[34:35]
	s_delay_alu instid0(VALU_DEP_3) | instskip(NEXT) | instid1(VALU_DEP_3)
	v_add_f64 v[40:41], v[40:41], -v[56:57]
	v_add_f64 v[30:31], v[48:49], -v[30:31]
	s_delay_alu instid0(VALU_DEP_3) | instskip(NEXT) | instid1(VALU_DEP_3)
	v_fma_f64 v[52:53], -v[44:45], v[34:35], 1.0
	v_add_f64 v[40:41], v[40:41], -v[46:47]
	v_div_scale_f64 v[46:47], vcc_lo, v[38:39], v[50:51], v[38:39]
	s_delay_alu instid0(VALU_DEP_3) | instskip(NEXT) | instid1(VALU_DEP_3)
	v_fma_f64 v[34:35], v[34:35], v[52:53], v[34:35]
	v_add_f64 v[30:31], v[30:31], v[40:41]
	s_delay_alu instid0(VALU_DEP_2) | instskip(NEXT) | instid1(VALU_DEP_2)
	v_mul_f64 v[40:41], v[46:47], v[34:35]
	v_add_f64 v[30:31], v[56:57], v[30:31]
	s_delay_alu instid0(VALU_DEP_2) | instskip(NEXT) | instid1(VALU_DEP_2)
	v_fma_f64 v[44:45], -v[44:45], v[40:41], v[46:47]
	v_mul_f64 v[30:31], v[36:37], v[30:31]
	s_delay_alu instid0(VALU_DEP_2) | instskip(SKIP_2) | instid1(VALU_DEP_4)
	v_div_fmas_f64 v[34:35], v[44:45], v[34:35], v[40:41]
	v_subrev_co_ci_u32_e64 v14, vcc_lo, 0, v14, s2
	v_cmp_class_f64_e64 s2, v[2:3], 0x204
	v_add_f64 v[36:37], v[42:43], v[30:31]
	s_delay_alu instid0(VALU_DEP_4) | instskip(NEXT) | instid1(VALU_DEP_2)
	v_div_fixup_f64 v[34:35], v[34:35], v[50:51], v[38:39]
	v_mul_f64 v[38:39], v[36:37], v[36:37]
	s_delay_alu instid0(VALU_DEP_2) | instskip(NEXT) | instid1(VALU_DEP_2)
	v_mul_f64 v[40:41], v[34:35], v[34:35]
	v_fma_f64 v[44:45], v[38:39], s[24:25], s[22:23]
	v_mul_f64 v[48:49], v[36:37], v[38:39]
	s_delay_alu instid0(VALU_DEP_3) | instskip(NEXT) | instid1(VALU_DEP_3)
	v_fma_f64 v[46:47], v[40:41], s[42:43], s[40:41]
	v_fma_f64 v[44:45], v[38:39], v[44:45], s[26:27]
	s_delay_alu instid0(VALU_DEP_2) | instskip(NEXT) | instid1(VALU_DEP_2)
	v_fma_f64 v[46:47], v[40:41], v[46:47], s[44:45]
	v_fma_f64 v[44:45], v[38:39], v[44:45], s[28:29]
	s_delay_alu instid0(VALU_DEP_2) | instskip(NEXT) | instid1(VALU_DEP_2)
	;; [unrolled: 3-line block ×4, first 2 shown]
	v_fma_f64 v[46:47], v[40:41], v[46:47], s[50:51]
	v_fma_f64 v[38:39], v[38:39], v[44:45], s[90:91]
	s_delay_alu instid0(VALU_DEP_2) | instskip(SKIP_2) | instid1(VALU_DEP_4)
	v_fma_f64 v[44:45], v[40:41], v[46:47], s[52:53]
	v_ldexp_f64 v[46:47], v[36:37], 1
	v_add_f64 v[36:37], v[36:37], -v[42:43]
	v_mul_f64 v[38:39], v[48:49], v[38:39]
	v_cvt_f64_i32_e32 v[48:49], v14
	v_ashrrev_i32_e32 v14, 31, v3
	v_fma_f64 v[44:45], v[40:41], v[44:45], s[54:55]
	v_add_f64 v[30:31], v[30:31], -v[36:37]
	v_add_f64 v[42:43], v[46:47], v[38:39]
	v_mul_f64 v[50:51], v[48:49], s[36:37]
	s_delay_alu instid0(VALU_DEP_4) | instskip(NEXT) | instid1(VALU_DEP_4)
	v_fma_f64 v[44:45], v[40:41], v[44:45], s[56:57]
	v_ldexp_f64 v[30:31], v[30:31], 1
	s_delay_alu instid0(VALU_DEP_4) | instskip(NEXT) | instid1(VALU_DEP_4)
	v_add_f64 v[36:37], v[42:43], -v[46:47]
	v_fma_f64 v[46:47], v[48:49], s[36:37], -v[50:51]
	s_delay_alu instid0(VALU_DEP_4) | instskip(NEXT) | instid1(VALU_DEP_3)
	v_fma_f64 v[44:45], v[40:41], v[44:45], s[58:59]
	v_add_f64 v[36:37], v[38:39], -v[36:37]
	s_delay_alu instid0(VALU_DEP_2) | instskip(NEXT) | instid1(VALU_DEP_4)
	v_fma_f64 v[38:39], v[40:41], v[44:45], s[60:61]
	v_fma_f64 v[44:45], v[48:49], s[38:39], v[46:47]
	s_delay_alu instid0(VALU_DEP_3) | instskip(NEXT) | instid1(VALU_DEP_3)
	v_add_f64 v[30:31], v[30:31], v[36:37]
	v_fma_f64 v[36:37], v[40:41], v[38:39], s[62:63]
	s_delay_alu instid0(VALU_DEP_3) | instskip(NEXT) | instid1(VALU_DEP_3)
	v_add_f64 v[38:39], v[50:51], v[44:45]
	v_add_f64 v[46:47], v[42:43], v[30:31]
	s_delay_alu instid0(VALU_DEP_3) | instskip(NEXT) | instid1(VALU_DEP_3)
	v_fma_f64 v[36:37], v[40:41], v[36:37], s[64:65]
	v_add_f64 v[50:51], v[38:39], -v[50:51]
	s_delay_alu instid0(VALU_DEP_3) | instskip(SKIP_1) | instid1(VALU_DEP_4)
	v_add_f64 v[48:49], v[38:39], v[46:47]
	v_add_f64 v[42:43], v[46:47], -v[42:43]
	v_fma_f64 v[36:37], v[40:41], v[36:37], s[66:67]
	s_delay_alu instid0(VALU_DEP_4) | instskip(NEXT) | instid1(VALU_DEP_4)
	v_add_f64 v[44:45], v[44:45], -v[50:51]
	v_add_f64 v[52:53], v[48:49], -v[38:39]
	s_delay_alu instid0(VALU_DEP_4) | instskip(NEXT) | instid1(VALU_DEP_4)
	v_add_f64 v[30:31], v[30:31], -v[42:43]
	v_fma_f64 v[36:37], v[40:41], v[36:37], s[68:69]
	s_delay_alu instid0(VALU_DEP_3) | instskip(SKIP_1) | instid1(VALU_DEP_4)
	v_add_f64 v[56:57], v[48:49], -v[52:53]
	v_add_f64 v[42:43], v[46:47], -v[52:53]
	v_add_f64 v[46:47], v[44:45], v[30:31]
	s_delay_alu instid0(VALU_DEP_4) | instskip(NEXT) | instid1(VALU_DEP_4)
	v_fma_f64 v[36:37], v[40:41], v[36:37], s[70:71]
	v_add_f64 v[38:39], v[38:39], -v[56:57]
	s_delay_alu instid0(VALU_DEP_2) | instskip(NEXT) | instid1(VALU_DEP_2)
	v_fma_f64 v[36:37], v[40:41], v[36:37], s[72:73]
	v_add_f64 v[38:39], v[42:43], v[38:39]
	v_add_f64 v[42:43], v[46:47], -v[44:45]
	s_delay_alu instid0(VALU_DEP_3) | instskip(NEXT) | instid1(VALU_DEP_3)
	v_fma_f64 v[36:37], v[40:41], v[36:37], s[74:75]
	v_add_f64 v[38:39], v[46:47], v[38:39]
	s_delay_alu instid0(VALU_DEP_3) | instskip(SKIP_1) | instid1(VALU_DEP_4)
	v_add_f64 v[46:47], v[46:47], -v[42:43]
	v_add_f64 v[30:31], v[30:31], -v[42:43]
	v_fma_f64 v[36:37], v[40:41], v[36:37], s[76:77]
	s_delay_alu instid0(VALU_DEP_4) | instskip(NEXT) | instid1(VALU_DEP_4)
	v_add_f64 v[50:51], v[48:49], v[38:39]
	v_add_f64 v[42:43], v[44:45], -v[46:47]
	s_delay_alu instid0(VALU_DEP_3) | instskip(NEXT) | instid1(VALU_DEP_3)
	v_fma_f64 v[36:37], v[40:41], v[36:37], s[78:79]
	v_add_f64 v[44:45], v[50:51], -v[48:49]
	s_delay_alu instid0(VALU_DEP_3) | instskip(NEXT) | instid1(VALU_DEP_3)
	v_add_f64 v[30:31], v[30:31], v[42:43]
	v_mul_f64 v[36:37], v[40:41], v[36:37]
	s_delay_alu instid0(VALU_DEP_3) | instskip(NEXT) | instid1(VALU_DEP_2)
	v_add_f64 v[38:39], v[38:39], -v[44:45]
	v_fma_f64 v[34:35], v[34:35], v[36:37], v[34:35]
	s_delay_alu instid0(VALU_DEP_2) | instskip(NEXT) | instid1(VALU_DEP_2)
	v_add_f64 v[30:31], v[30:31], v[38:39]
	v_add_f64 v[36:37], -v[34:35], s[80:81]
	s_delay_alu instid0(VALU_DEP_2) | instskip(SKIP_1) | instid1(VALU_DEP_1)
	v_add_f64 v[30:31], v[50:51], v[30:31]
	v_and_b32_e32 v33, 0x7fffffff, v33
	v_cmp_eq_f64_e32 vcc_lo, 0x7ff00000, v[32:33]
	s_delay_alu instid0(VALU_DEP_4) | instskip(SKIP_2) | instid1(VALU_DEP_2)
	v_cndmask_b32_e64 v33, v35, v37, s0
	v_cndmask_b32_e64 v32, v34, v36, s0
	v_cmp_eq_f64_e64 s0, 0, v[4:5]
	v_add_f64 v[34:35], -v[32:33], s[10:11]
	s_and_b32 vcc_lo, s1, vcc_lo
	v_cmp_class_f64_e64 s1, v[4:5], 0x204
	v_cndmask_b32_e32 v30, v30, v8, vcc_lo
	v_dual_cndmask_b32 v31, v31, v12 :: v_dual_and_b32 v12, 0x54442d18, v14
	v_cmp_gt_i32_e32 vcc_lo, 0, v3
	s_delay_alu instid0(VALU_DEP_2)
	v_add_f64 v[30:31], v[30:31], 1.0
	v_cndmask_b32_e32 v8, 0x54442d18, v54, vcc_lo
	v_cndmask_b32_e32 v19, v32, v34, vcc_lo
	v_dual_cndmask_b32 v14, v33, v35 :: v_dual_and_b32 v3, 0x400921fb, v14
	v_cndmask_b32_e32 v2, 0x3fe921fb, v55, vcc_lo
	v_cmp_ngt_f64_e32 vcc_lo, 0, v[15:16]
	s_delay_alu instid0(VALU_DEP_4) | instskip(NEXT) | instid1(VALU_DEP_4)
	v_cndmask_b32_e64 v12, v19, v12, s0
	v_cndmask_b32_e64 v3, v14, v3, s0
	v_cmp_nge_f64_e64 s0, 0, v[15:16]
	v_bfi_b32 v2, 0x7fffffff, v2, v5
	v_cndmask_b32_e64 v14, v30, 0, s4
	v_cndmask_b32_e64 v31, v31, 0x7ff00000, s4
	s_delay_alu instid0(VALU_DEP_1)
	v_cndmask_b32_e32 v19, 0x7ff80000, v31, vcc_lo
	s_and_b32 vcc_lo, s2, s1
	v_cndmask_b32_e32 v30, v12, v8, vcc_lo
	v_cndmask_b32_e64 v14, 0, v14, s0
	v_cmp_neq_f64_e64 s0, 0, v[15:16]
	v_cndmask_b32_e32 v31, v3, v2, vcc_lo
	s_delay_alu instid0(VALU_DEP_2)
	v_cndmask_b32_e64 v15, 0xfff00000, v19, s0
.LBB186_291:                            ;   in Loop: Header=BB186_162 Depth=1
	s_or_b32 exec_lo, exec_lo, s3
.LBB186_292:                            ;   in Loop: Header=BB186_162 Depth=1
	s_and_not1_saveexec_b32 s0, s94
	s_cbranch_execz .LBB186_161
; %bb.293:                              ;   in Loop: Header=BB186_162 Depth=1
	v_cmp_ngt_f64_e64 s1, 0x20000000, |v[2:3]|
	v_cmp_ngt_f64_e64 s2, 0x20000000, |v[4:5]|
                                        ; implicit-def: $vgpr15_vgpr16
	s_delay_alu instid0(VALU_DEP_1) | instskip(NEXT) | instid1(SALU_CYCLE_1)
	s_or_b32 s1, s1, s2
	s_and_saveexec_b32 s2, s1
	s_delay_alu instid0(SALU_CYCLE_1)
	s_xor_b32 s1, exec_lo, s2
; %bb.294:                              ;   in Loop: Header=BB186_162 Depth=1
	v_mul_f64 v[14:15], v[4:5], v[4:5]
	s_delay_alu instid0(VALU_DEP_1)
	v_fma_f64 v[15:16], v[2:3], v[2:3], v[14:15]
; %bb.295:                              ;   in Loop: Header=BB186_162 Depth=1
	s_and_not1_saveexec_b32 s1, s1
	s_cbranch_execz .LBB186_160
; %bb.296:                              ;   in Loop: Header=BB186_162 Depth=1
	v_mul_f64 v[14:15], v[4:5], 4.0
	v_mul_f64 v[2:3], v[2:3], 4.0
	s_delay_alu instid0(VALU_DEP_2) | instskip(NEXT) | instid1(VALU_DEP_1)
	v_mul_f64 v[14:15], v[14:15], v[14:15]
	v_fma_f64 v[2:3], v[2:3], v[2:3], v[14:15]
	s_delay_alu instid0(VALU_DEP_1)
	v_ldexp_f64 v[15:16], v[2:3], -4
	s_branch .LBB186_160
.LBB186_297:
	s_nop 0
	s_sendmsg sendmsg(MSG_DEALLOC_VGPRS)
	s_endpgm
	.section	.rodata,"a",@progbits
	.p2align	6, 0x0
	.amdhsa_kernel _ZN2at6native12_GLOBAL__N_125multi_tensor_apply_kernelINS1_18TensorListMetadataILi1EEENS1_14UnaryOpFunctorIN3c107complexIdEELi1ELi1ELi0EEEJNS0_5Log10IS8_EEEEEvT_T0_DpT1_
		.amdhsa_group_segment_fixed_size 0
		.amdhsa_private_segment_fixed_size 0
		.amdhsa_kernarg_size 3632
		.amdhsa_user_sgpr_count 15
		.amdhsa_user_sgpr_dispatch_ptr 0
		.amdhsa_user_sgpr_queue_ptr 0
		.amdhsa_user_sgpr_kernarg_segment_ptr 1
		.amdhsa_user_sgpr_dispatch_id 0
		.amdhsa_user_sgpr_private_segment_size 0
		.amdhsa_wavefront_size32 1
		.amdhsa_uses_dynamic_stack 0
		.amdhsa_enable_private_segment 0
		.amdhsa_system_sgpr_workgroup_id_x 1
		.amdhsa_system_sgpr_workgroup_id_y 0
		.amdhsa_system_sgpr_workgroup_id_z 0
		.amdhsa_system_sgpr_workgroup_info 0
		.amdhsa_system_vgpr_workitem_id 0
		.amdhsa_next_free_vgpr 88
		.amdhsa_next_free_sgpr 105
		.amdhsa_reserve_vcc 1
		.amdhsa_float_round_mode_32 0
		.amdhsa_float_round_mode_16_64 0
		.amdhsa_float_denorm_mode_32 3
		.amdhsa_float_denorm_mode_16_64 3
		.amdhsa_dx10_clamp 1
		.amdhsa_ieee_mode 1
		.amdhsa_fp16_overflow 0
		.amdhsa_workgroup_processor_mode 1
		.amdhsa_memory_ordered 1
		.amdhsa_forward_progress 0
		.amdhsa_shared_vgpr_count 0
		.amdhsa_exception_fp_ieee_invalid_op 0
		.amdhsa_exception_fp_denorm_src 0
		.amdhsa_exception_fp_ieee_div_zero 0
		.amdhsa_exception_fp_ieee_overflow 0
		.amdhsa_exception_fp_ieee_underflow 0
		.amdhsa_exception_fp_ieee_inexact 0
		.amdhsa_exception_int_div_zero 0
	.end_amdhsa_kernel
	.section	.text._ZN2at6native12_GLOBAL__N_125multi_tensor_apply_kernelINS1_18TensorListMetadataILi1EEENS1_14UnaryOpFunctorIN3c107complexIdEELi1ELi1ELi0EEEJNS0_5Log10IS8_EEEEEvT_T0_DpT1_,"axG",@progbits,_ZN2at6native12_GLOBAL__N_125multi_tensor_apply_kernelINS1_18TensorListMetadataILi1EEENS1_14UnaryOpFunctorIN3c107complexIdEELi1ELi1ELi0EEEJNS0_5Log10IS8_EEEEEvT_T0_DpT1_,comdat
.Lfunc_end186:
	.size	_ZN2at6native12_GLOBAL__N_125multi_tensor_apply_kernelINS1_18TensorListMetadataILi1EEENS1_14UnaryOpFunctorIN3c107complexIdEELi1ELi1ELi0EEEJNS0_5Log10IS8_EEEEEvT_T0_DpT1_, .Lfunc_end186-_ZN2at6native12_GLOBAL__N_125multi_tensor_apply_kernelINS1_18TensorListMetadataILi1EEENS1_14UnaryOpFunctorIN3c107complexIdEELi1ELi1ELi0EEEJNS0_5Log10IS8_EEEEEvT_T0_DpT1_
                                        ; -- End function
	.section	.AMDGPU.csdata,"",@progbits
; Kernel info:
; codeLenInByte = 101788
; NumSgprs: 107
; NumVgprs: 88
; ScratchSize: 0
; MemoryBound: 1
; FloatMode: 240
; IeeeMode: 1
; LDSByteSize: 0 bytes/workgroup (compile time only)
; SGPRBlocks: 13
; VGPRBlocks: 10
; NumSGPRsForWavesPerEU: 107
; NumVGPRsForWavesPerEU: 88
; Occupancy: 16
; WaveLimiterHint : 0
; COMPUTE_PGM_RSRC2:SCRATCH_EN: 0
; COMPUTE_PGM_RSRC2:USER_SGPR: 15
; COMPUTE_PGM_RSRC2:TRAP_HANDLER: 0
; COMPUTE_PGM_RSRC2:TGID_X_EN: 1
; COMPUTE_PGM_RSRC2:TGID_Y_EN: 0
; COMPUTE_PGM_RSRC2:TGID_Z_EN: 0
; COMPUTE_PGM_RSRC2:TIDIG_COMP_CNT: 0
	.section	.text._ZN2at6native12_GLOBAL__N_125multi_tensor_apply_kernelINS1_18TensorListMetadataILi1EEENS1_14UnaryOpFunctorIN3c107complexIfEELi1ELi1ELi0EEEJNS0_5Log10IS8_EEEEEvT_T0_DpT1_,"axG",@progbits,_ZN2at6native12_GLOBAL__N_125multi_tensor_apply_kernelINS1_18TensorListMetadataILi1EEENS1_14UnaryOpFunctorIN3c107complexIfEELi1ELi1ELi0EEEJNS0_5Log10IS8_EEEEEvT_T0_DpT1_,comdat
	.globl	_ZN2at6native12_GLOBAL__N_125multi_tensor_apply_kernelINS1_18TensorListMetadataILi1EEENS1_14UnaryOpFunctorIN3c107complexIfEELi1ELi1ELi0EEEJNS0_5Log10IS8_EEEEEvT_T0_DpT1_ ; -- Begin function _ZN2at6native12_GLOBAL__N_125multi_tensor_apply_kernelINS1_18TensorListMetadataILi1EEENS1_14UnaryOpFunctorIN3c107complexIfEELi1ELi1ELi0EEEJNS0_5Log10IS8_EEEEEvT_T0_DpT1_
	.p2align	8
	.type	_ZN2at6native12_GLOBAL__N_125multi_tensor_apply_kernelINS1_18TensorListMetadataILi1EEENS1_14UnaryOpFunctorIN3c107complexIfEELi1ELi1ELi0EEEJNS0_5Log10IS8_EEEEEvT_T0_DpT1_,@function
_ZN2at6native12_GLOBAL__N_125multi_tensor_apply_kernelINS1_18TensorListMetadataILi1EEENS1_14UnaryOpFunctorIN3c107complexIfEELi1ELi1ELi0EEEJNS0_5Log10IS8_EEEEEvT_T0_DpT1_: ; @_ZN2at6native12_GLOBAL__N_125multi_tensor_apply_kernelINS1_18TensorListMetadataILi1EEENS1_14UnaryOpFunctorIN3c107complexIfEELi1ELi1ELi0EEEJNS0_5Log10IS8_EEEEEvT_T0_DpT1_
; %bb.0:
	v_mov_b32_e32 v1, s15
	s_add_u32 s2, s0, s15
	s_mul_hi_u32 s3, s15, 3
	s_mul_i32 s15, s15, 3
	s_addc_u32 s4, s1, 0
	global_load_u8 v1, v1, s[0:1] offset:1760
	s_add_u32 s2, s2, s15
	s_addc_u32 s3, s4, s3
	s_mov_b32 s11, 0
	s_load_b32 s2, s[2:3], 0x820
	s_waitcnt vmcnt(0)
	v_readfirstlane_b32 s5, v1
	s_delay_alu instid0(VALU_DEP_1)
	s_lshl_b32 s3, s5, 3
	s_clause 0x1
	s_load_b64 s[4:5], s[0:1], s3 offset:0x0
	s_load_b64 s[6:7], s[0:1], s3 offset:0x370
	s_waitcnt lgkmcnt(0)
	s_ashr_i32 s3, s2, 31
	s_delay_alu instid0(SALU_CYCLE_1) | instskip(NEXT) | instid1(SALU_CYCLE_1)
	s_lshl_b64 s[8:9], s[2:3], 19
	s_add_u32 s13, s4, s8
	s_addc_u32 s20, s5, s9
	s_lshl_b64 s[2:3], s[2:3], 16
	s_and_b32 s10, s13, 31
	s_sub_u32 s14, s6, s2
	s_subb_u32 s15, s7, s3
	s_and_b32 s2, s6, 3
	s_mov_b32 s3, s11
	s_delay_alu instid0(SALU_CYCLE_1) | instskip(NEXT) | instid1(SALU_CYCLE_1)
	s_or_b64 s[2:3], s[10:11], s[2:3]
	s_cmp_eq_u64 s[2:3], 0
	s_cbranch_scc1 .LBB187_157
; %bb.1:
	v_cmp_lt_i64_e64 s2, s[14:15], 1
	s_delay_alu instid0(VALU_DEP_1)
	s_and_b32 vcc_lo, exec_lo, s2
	s_cbranch_vccnz .LBB187_156
; %bb.2:
	s_load_b32 s2, s[0:1], 0xd3c
	v_cmp_gt_u64_e64 s3, 0x10000, s[14:15]
	v_mov_b32_e32 v17, 0x4016cbe4
	s_mov_b64 s[16:17], 0
	s_mov_b32 s21, 0x3e9b6dac
	s_mov_b32 s26, 0x3b2d2a58
	s_waitcnt lgkmcnt(0)
	s_and_b32 s22, s2, 0xffff
	s_and_b32 s2, s3, exec_lo
	s_cselect_b32 s19, s15, 0
	s_cselect_b32 s18, s14, 0x10000
	s_lshl_b32 s23, s22, 1
	s_mul_i32 s24, s22, 3
	s_lshl_b32 s25, s22, 2
	s_branch .LBB187_4
.LBB187_3:                              ;   in Loop: Header=BB187_4 Depth=1
	s_or_b32 exec_lo, exec_lo, s3
	s_add_u32 s16, s16, s25
	s_addc_u32 s17, s17, 0
	s_delay_alu instid0(SALU_CYCLE_1) | instskip(SKIP_1) | instid1(VALU_DEP_1)
	v_cmp_ge_i64_e64 s2, s[16:17], s[14:15]
	v_cmp_lt_u64_e64 s3, 0xffff, s[16:17]
	s_or_b32 s2, s2, s3
	s_delay_alu instid0(SALU_CYCLE_1)
	s_and_b32 vcc_lo, exec_lo, s2
	s_cbranch_vccnz .LBB187_156
.LBB187_4:                              ; =>This Loop Header: Depth=1
                                        ;     Child Loop BB187_23 Depth 2
                                        ;     Child Loop BB187_57 Depth 2
	;; [unrolled: 1-line block ×4, first 2 shown]
	v_add_co_u32 v1, s2, s16, v0
	s_delay_alu instid0(VALU_DEP_1) | instskip(SKIP_1) | instid1(VALU_DEP_2)
	v_add_co_ci_u32_e64 v2, null, s17, 0, s2
	v_dual_mov_b32 v16, 0 :: v_dual_mov_b32 v15, 0
	v_cmp_gt_u64_e64 s5, s[18:19], v[1:2]
	v_lshlrev_b64 v[11:12], 3, v[1:2]
	s_delay_alu instid0(VALU_DEP_2)
	s_and_saveexec_b32 s2, s5
	s_cbranch_execz .LBB187_6
; %bb.5:                                ;   in Loop: Header=BB187_4 Depth=1
	s_delay_alu instid0(VALU_DEP_1) | instskip(NEXT) | instid1(VALU_DEP_2)
	v_add_co_u32 v3, vcc_lo, s13, v11
	v_add_co_ci_u32_e32 v4, vcc_lo, s20, v12, vcc_lo
	global_load_b64 v[15:16], v[3:4], off
.LBB187_6:                              ;   in Loop: Header=BB187_4 Depth=1
	s_or_b32 exec_lo, exec_lo, s2
	v_add_co_u32 v3, vcc_lo, v1, s22
	v_add_co_ci_u32_e32 v4, vcc_lo, 0, v2, vcc_lo
	v_dual_mov_b32 v6, 0 :: v_dual_mov_b32 v13, 0
	v_mov_b32_e32 v14, 0
	s_delay_alu instid0(VALU_DEP_3) | instskip(SKIP_1) | instid1(VALU_DEP_2)
	v_cmp_gt_u64_e64 s4, s[18:19], v[3:4]
	v_lshlrev_b64 v[9:10], 3, v[3:4]
	s_and_saveexec_b32 s2, s4
	s_cbranch_execz .LBB187_8
; %bb.7:                                ;   in Loop: Header=BB187_4 Depth=1
	s_delay_alu instid0(VALU_DEP_1) | instskip(NEXT) | instid1(VALU_DEP_2)
	v_add_co_u32 v3, vcc_lo, s13, v9
	v_add_co_ci_u32_e32 v4, vcc_lo, s20, v10, vcc_lo
	global_load_b64 v[13:14], v[3:4], off
.LBB187_8:                              ;   in Loop: Header=BB187_4 Depth=1
	s_or_b32 exec_lo, exec_lo, s2
	v_add_co_u32 v3, vcc_lo, v1, s23
	v_add_co_ci_u32_e32 v4, vcc_lo, 0, v2, vcc_lo
	v_mov_b32_e32 v5, 0
	s_delay_alu instid0(VALU_DEP_2) | instskip(SKIP_1) | instid1(VALU_DEP_2)
	v_cmp_gt_u64_e64 s3, s[18:19], v[3:4]
	v_lshlrev_b64 v[3:4], 3, v[3:4]
	s_and_saveexec_b32 s2, s3
	s_cbranch_execz .LBB187_10
; %bb.9:                                ;   in Loop: Header=BB187_4 Depth=1
	s_delay_alu instid0(VALU_DEP_1) | instskip(NEXT) | instid1(VALU_DEP_2)
	v_add_co_u32 v5, vcc_lo, s13, v3
	v_add_co_ci_u32_e32 v6, vcc_lo, s20, v4, vcc_lo
	global_load_b64 v[5:6], v[5:6], off
.LBB187_10:                             ;   in Loop: Header=BB187_4 Depth=1
	s_or_b32 exec_lo, exec_lo, s2
	v_add_co_u32 v1, vcc_lo, v1, s24
	v_add_co_ci_u32_e32 v2, vcc_lo, 0, v2, vcc_lo
	v_dual_mov_b32 v8, 0 :: v_dual_mov_b32 v7, 0
	s_delay_alu instid0(VALU_DEP_2) | instskip(SKIP_1) | instid1(VALU_DEP_2)
	v_cmp_gt_u64_e64 s2, s[18:19], v[1:2]
	v_lshlrev_b64 v[1:2], 3, v[1:2]
	s_and_saveexec_b32 s6, s2
	s_cbranch_execz .LBB187_12
; %bb.11:                               ;   in Loop: Header=BB187_4 Depth=1
	s_delay_alu instid0(VALU_DEP_1) | instskip(NEXT) | instid1(VALU_DEP_2)
	v_add_co_u32 v7, vcc_lo, s13, v1
	v_add_co_ci_u32_e32 v8, vcc_lo, s20, v2, vcc_lo
	global_load_b64 v[7:8], v[7:8], off
.LBB187_12:                             ;   in Loop: Header=BB187_4 Depth=1
	s_or_b32 exec_lo, exec_lo, s6
                                        ; implicit-def: $vgpr18
                                        ; implicit-def: $vgpr19
	s_delay_alu instid0(SALU_CYCLE_1)
	s_mov_b32 s6, exec_lo
	s_waitcnt vmcnt(0)
	v_cmpx_o_f32_e32 v16, v15
	s_xor_b32 s27, exec_lo, s6
	s_cbranch_execz .LBB187_40
; %bb.13:                               ;   in Loop: Header=BB187_4 Depth=1
	v_cmp_lt_f32_e64 s6, |v15|, |v16|
                                        ; implicit-def: $vgpr18
                                        ; implicit-def: $vgpr19
	s_mov_b32 s7, exec_lo
	s_delay_alu instid0(VALU_DEP_1) | instskip(NEXT) | instid1(VALU_DEP_1)
	v_cndmask_b32_e64 v20, |v16|, |v15|, s6
	v_cmpx_nlt_f32_e32 0x77f684df, v20
	s_xor_b32 s28, exec_lo, s7
	s_cbranch_execz .LBB187_37
; %bb.14:                               ;   in Loop: Header=BB187_4 Depth=1
	v_and_b32_e32 v18, 0x7fffffff, v16
                                        ; implicit-def: $vgpr19
	s_mov_b32 s7, exec_lo
	s_delay_alu instid0(VALU_DEP_1) | instskip(NEXT) | instid1(VALU_DEP_1)
	v_cndmask_b32_e64 v21, |v15|, v18, s6
                                        ; implicit-def: $vgpr18
	v_cmpx_neq_f32_e32 1.0, v21
	s_xor_b32 s29, exec_lo, s7
	s_cbranch_execz .LBB187_30
; %bb.15:                               ;   in Loop: Header=BB187_4 Depth=1
	v_dual_max_f32 v18, v20, v20 :: v_dual_max_f32 v19, v21, v21
	s_delay_alu instid0(VALU_DEP_1) | instskip(SKIP_1) | instid1(VALU_DEP_2)
	v_min_f32_e32 v22, v19, v18
	v_max_f32_e32 v18, v19, v18
                                        ; implicit-def: $vgpr19
	v_cmp_ngt_f32_e32 vcc_lo, 0x358637bd, v22
	s_delay_alu instid0(VALU_DEP_2) | instskip(NEXT) | instid1(VALU_DEP_1)
	v_cmp_nlt_f32_e64 s7, 0x49742400, v18
                                        ; implicit-def: $vgpr18
	s_and_b32 s7, s7, vcc_lo
	s_delay_alu instid0(SALU_CYCLE_1) | instskip(NEXT) | instid1(SALU_CYCLE_1)
	s_and_saveexec_b32 s8, s7
	s_xor_b32 s30, exec_lo, s8
	s_cbranch_execz .LBB187_27
; %bb.16:                               ;   in Loop: Header=BB187_4 Depth=1
                                        ; implicit-def: $vgpr18
                                        ; implicit-def: $vgpr19
	s_mov_b32 s7, exec_lo
	v_cmpx_le_f32_e32 1.0, v21
	s_xor_b32 s8, exec_lo, s7
	s_cbranch_execz .LBB187_18
; %bb.17:                               ;   in Loop: Header=BB187_4 Depth=1
	v_add_f32_e32 v18, -1.0, v21
	v_add_f32_e32 v19, 1.0, v21
	v_cmp_class_f32_e64 s9, v15, 0x204
	s_delay_alu instid0(VALU_DEP_2) | instskip(NEXT) | instid1(VALU_DEP_1)
	v_mul_f32_e32 v21, v18, v19
	v_fmac_f32_e32 v21, v20, v20
	s_delay_alu instid0(VALU_DEP_1) | instskip(SKIP_1) | instid1(VALU_DEP_2)
	v_add_f32_e32 v20, 1.0, v21
	v_cmp_neq_f32_e64 s7, -1.0, v21
	v_cvt_f64_f32_e32 v[18:19], v20
	s_delay_alu instid0(VALU_DEP_1) | instskip(SKIP_1) | instid1(VALU_DEP_1)
	v_frexp_exp_i32_f64_e32 v18, v[18:19]
	v_frexp_mant_f32_e32 v19, v20
	v_cmp_gt_f32_e32 vcc_lo, 0x3f2aaaab, v19
	v_add_f32_e32 v19, -1.0, v20
	s_delay_alu instid0(VALU_DEP_1) | instskip(SKIP_3) | instid1(VALU_DEP_2)
	v_sub_f32_e32 v23, v19, v20
	v_sub_f32_e32 v19, v21, v19
	v_subrev_co_ci_u32_e32 v18, vcc_lo, 0, v18, vcc_lo
	v_cmp_eq_f32_e32 vcc_lo, 0x7f800000, v21
	v_sub_nc_u32_e32 v22, 0, v18
	v_cvt_f32_i32_e32 v18, v18
	s_delay_alu instid0(VALU_DEP_2) | instskip(NEXT) | instid1(VALU_DEP_1)
	v_ldexp_f32 v20, v20, v22
	v_dual_add_f32 v24, 1.0, v20 :: v_dual_add_f32 v23, 1.0, v23
	s_delay_alu instid0(VALU_DEP_1) | instskip(NEXT) | instid1(VALU_DEP_2)
	v_add_f32_e32 v19, v19, v23
	v_add_f32_e32 v23, -1.0, v24
	s_delay_alu instid0(VALU_DEP_2) | instskip(NEXT) | instid1(VALU_DEP_2)
	v_ldexp_f32 v19, v19, v22
	v_dual_add_f32 v22, -1.0, v20 :: v_dual_sub_f32 v23, v20, v23
	s_delay_alu instid0(VALU_DEP_1) | instskip(NEXT) | instid1(VALU_DEP_1)
	v_add_f32_e32 v25, 1.0, v22
	v_dual_add_f32 v23, v19, v23 :: v_dual_sub_f32 v20, v20, v25
	s_delay_alu instid0(VALU_DEP_1) | instskip(NEXT) | instid1(VALU_DEP_2)
	v_add_f32_e32 v25, v24, v23
	v_add_f32_e32 v19, v19, v20
	s_delay_alu instid0(VALU_DEP_2) | instskip(SKIP_1) | instid1(VALU_DEP_1)
	v_rcp_f32_e32 v20, v25
	v_sub_f32_e32 v24, v25, v24
	v_dual_add_f32 v26, v22, v19 :: v_dual_sub_f32 v23, v23, v24
	s_delay_alu instid0(VALU_DEP_1) | instskip(SKIP_2) | instid1(VALU_DEP_1)
	v_sub_f32_e32 v22, v26, v22
	s_waitcnt_depctr 0xfff
	v_mul_f32_e32 v27, v26, v20
	v_mul_f32_e32 v28, v25, v27
	s_delay_alu instid0(VALU_DEP_1) | instskip(NEXT) | instid1(VALU_DEP_1)
	v_fma_f32 v24, v27, v25, -v28
	v_fmac_f32_e32 v24, v27, v23
	s_delay_alu instid0(VALU_DEP_1) | instskip(NEXT) | instid1(VALU_DEP_1)
	v_add_f32_e32 v29, v28, v24
	v_sub_f32_e32 v30, v26, v29
	s_delay_alu instid0(VALU_DEP_1) | instskip(NEXT) | instid1(VALU_DEP_1)
	v_sub_f32_e32 v26, v26, v30
	v_dual_sub_f32 v26, v26, v29 :: v_dual_sub_f32 v19, v19, v22
	v_sub_f32_e32 v22, v29, v28
	s_delay_alu instid0(VALU_DEP_1) | instskip(NEXT) | instid1(VALU_DEP_1)
	v_dual_sub_f32 v22, v22, v24 :: v_dual_add_f32 v19, v19, v26
	v_add_f32_e32 v19, v22, v19
	s_delay_alu instid0(VALU_DEP_1) | instskip(NEXT) | instid1(VALU_DEP_1)
	v_add_f32_e32 v22, v30, v19
	v_mul_f32_e32 v24, v20, v22
	s_delay_alu instid0(VALU_DEP_1) | instskip(NEXT) | instid1(VALU_DEP_1)
	v_dual_sub_f32 v29, v30, v22 :: v_dual_mul_f32 v26, v25, v24
	v_fma_f32 v25, v24, v25, -v26
	s_delay_alu instid0(VALU_DEP_1) | instskip(NEXT) | instid1(VALU_DEP_1)
	v_fmac_f32_e32 v25, v24, v23
	v_add_f32_e32 v23, v26, v25
	s_delay_alu instid0(VALU_DEP_1) | instskip(SKIP_1) | instid1(VALU_DEP_2)
	v_sub_f32_e32 v28, v22, v23
	v_sub_f32_e32 v26, v23, v26
	v_dual_sub_f32 v22, v22, v28 :: v_dual_add_f32 v19, v19, v29
	s_delay_alu instid0(VALU_DEP_1) | instskip(NEXT) | instid1(VALU_DEP_1)
	v_sub_f32_e32 v22, v22, v23
	v_add_f32_e32 v19, v19, v22
	s_delay_alu instid0(VALU_DEP_4) | instskip(SKIP_1) | instid1(VALU_DEP_2)
	v_dual_add_f32 v22, v27, v24 :: v_dual_sub_f32 v23, v26, v25
	v_max_f32_e64 v25, |v16|, |v16|
	v_add_f32_e32 v19, v23, v19
	s_delay_alu instid0(VALU_DEP_3) | instskip(NEXT) | instid1(VALU_DEP_2)
	v_sub_f32_e32 v23, v22, v27
	v_dual_add_f32 v19, v28, v19 :: v_dual_mul_f32 v28, 0x3f317218, v18
	s_delay_alu instid0(VALU_DEP_2) | instskip(NEXT) | instid1(VALU_DEP_2)
	v_sub_f32_e32 v23, v24, v23
	v_mul_f32_e32 v19, v20, v19
	s_delay_alu instid0(VALU_DEP_3) | instskip(NEXT) | instid1(VALU_DEP_1)
	v_fma_f32 v29, 0x3f317218, v18, -v28
	v_fmac_f32_e32 v29, 0xb102e308, v18
	s_delay_alu instid0(VALU_DEP_3) | instskip(NEXT) | instid1(VALU_DEP_1)
	v_add_f32_e32 v19, v23, v19
	v_add_f32_e32 v20, v22, v19
	s_delay_alu instid0(VALU_DEP_1) | instskip(NEXT) | instid1(VALU_DEP_1)
	v_mul_f32_e32 v23, v20, v20
	v_fmaak_f32 v24, s21, v23, 0x3ecc95a3
	s_delay_alu instid0(VALU_DEP_1) | instskip(SKIP_2) | instid1(VALU_DEP_3)
	v_dual_mul_f32 v26, v20, v23 :: v_dual_fmaak_f32 v23, v23, v24, 0x3f2aaada
	v_max_f32_e64 v24, |v15|, |v15|
	v_ldexp_f32 v27, v20, 1
	v_dual_sub_f32 v20, v20, v22 :: v_dual_mul_f32 v23, v26, v23
	s_delay_alu instid0(VALU_DEP_3) | instskip(NEXT) | instid1(VALU_DEP_2)
	v_max_f32_e32 v26, v24, v25
	v_dual_min_f32 v24, v24, v25 :: v_dual_sub_f32 v19, v19, v20
	s_delay_alu instid0(VALU_DEP_3) | instskip(NEXT) | instid1(VALU_DEP_3)
	v_add_f32_e32 v22, v27, v23
	v_frexp_mant_f32_e32 v25, v26
	v_frexp_exp_i32_f32_e32 v26, v26
	s_delay_alu instid0(VALU_DEP_4) | instskip(NEXT) | instid1(VALU_DEP_4)
	v_ldexp_f32 v19, v19, 1
	v_sub_f32_e32 v20, v22, v27
	s_delay_alu instid0(VALU_DEP_4) | instskip(SKIP_1) | instid1(VALU_DEP_2)
	v_rcp_f32_e32 v25, v25
	v_frexp_exp_i32_f32_e32 v27, v24
	v_sub_f32_e32 v20, v23, v20
	v_frexp_mant_f32_e32 v23, v24
	s_delay_alu instid0(VALU_DEP_3) | instskip(NEXT) | instid1(VALU_DEP_3)
	v_sub_nc_u32_e32 v24, v27, v26
	v_add_f32_e32 v18, v19, v20
	s_waitcnt_depctr 0xfff
	v_mul_f32_e32 v19, v23, v25
	v_add_f32_e32 v20, v28, v29
	s_delay_alu instid0(VALU_DEP_2) | instskip(NEXT) | instid1(VALU_DEP_1)
	v_ldexp_f32 v19, v19, v24
	v_dual_sub_f32 v28, v20, v28 :: v_dual_mul_f32 v25, v19, v19
	s_delay_alu instid0(VALU_DEP_1) | instskip(SKIP_1) | instid1(VALU_DEP_1)
	v_dual_sub_f32 v28, v29, v28 :: v_dual_fmaak_f32 v27, s26, v25, 0xbc7a590c
	v_add_f32_e32 v23, v22, v18
	v_add_f32_e32 v24, v20, v23
	v_sub_f32_e32 v22, v23, v22
	s_delay_alu instid0(VALU_DEP_2) | instskip(NEXT) | instid1(VALU_DEP_2)
	v_sub_f32_e32 v26, v24, v20
	v_dual_sub_f32 v18, v18, v22 :: v_dual_fmaak_f32 v27, v25, v27, 0x3d29fb3f
	s_delay_alu instid0(VALU_DEP_2) | instskip(NEXT) | instid1(VALU_DEP_2)
	v_sub_f32_e32 v30, v24, v26
	v_dual_sub_f32 v22, v23, v26 :: v_dual_fmaak_f32 v23, v25, v27, 0xbd97d4d7
	s_delay_alu instid0(VALU_DEP_3) | instskip(NEXT) | instid1(VALU_DEP_3)
	v_add_f32_e32 v26, v28, v18
	v_sub_f32_e32 v20, v20, v30
	s_delay_alu instid0(VALU_DEP_1) | instskip(NEXT) | instid1(VALU_DEP_1)
	v_add_f32_e32 v20, v22, v20
	v_add_f32_e32 v20, v26, v20
	v_dual_fmaak_f32 v22, v25, v23, 0x3dd931b2 :: v_dual_sub_f32 v23, v26, v28
	s_delay_alu instid0(VALU_DEP_1) | instskip(NEXT) | instid1(VALU_DEP_2)
	v_dual_add_f32 v27, v24, v20 :: v_dual_fmaak_f32 v22, v25, v22, 0xbe1160e6
	v_sub_f32_e32 v26, v26, v23
	v_sub_f32_e32 v18, v18, v23
	s_delay_alu instid0(VALU_DEP_3) | instskip(NEXT) | instid1(VALU_DEP_4)
	v_sub_f32_e32 v24, v27, v24
	v_fmaak_f32 v22, v25, v22, 0x3e4cb8bf
	s_delay_alu instid0(VALU_DEP_4) | instskip(NEXT) | instid1(VALU_DEP_2)
	v_sub_f32_e32 v23, v28, v26
	v_fmaak_f32 v22, v25, v22, 0xbeaaaa62
	s_delay_alu instid0(VALU_DEP_2) | instskip(NEXT) | instid1(VALU_DEP_2)
	v_add_f32_e32 v18, v18, v23
	v_mul_f32_e32 v22, v25, v22
	s_delay_alu instid0(VALU_DEP_1) | instskip(NEXT) | instid1(VALU_DEP_1)
	v_dual_fmac_f32 v19, v19, v22 :: v_dual_sub_f32 v20, v20, v24
	v_add_f32_e32 v18, v18, v20
	s_delay_alu instid0(VALU_DEP_2) | instskip(NEXT) | instid1(VALU_DEP_2)
	v_sub_f32_e32 v20, 0x3fc90fdb, v19
	v_add_f32_e32 v18, v27, v18
	s_delay_alu instid0(VALU_DEP_2) | instskip(NEXT) | instid1(VALU_DEP_2)
	v_cndmask_b32_e64 v19, v19, v20, s6
	v_cndmask_b32_e32 v18, v18, v21, vcc_lo
	v_cmp_gt_i32_e32 vcc_lo, 0, v15
	s_delay_alu instid0(VALU_DEP_3) | instskip(SKIP_4) | instid1(VALU_DEP_2)
	v_sub_f32_e32 v22, 0x40490fdb, v19
	v_cndmask_b32_e64 v20, 0, 0x40490fdb, vcc_lo
	v_cmp_ngt_f32_e32 vcc_lo, -1.0, v21
	v_cndmask_b32_e32 v18, 0x7fc00000, v18, vcc_lo
	v_cmp_gt_f32_e32 vcc_lo, 0, v15
	v_cndmask_b32_e64 v15, 0xff800000, v18, s7
	v_cndmask_b32_e32 v18, v19, v22, vcc_lo
	v_cndmask_b32_e32 v19, 0x3f490fdb, v17, vcc_lo
	v_cmp_gt_f32_e64 vcc_lo, 0x33800000, |v21|
	v_cmp_class_f32_e64 s7, v16, 0x204
	v_cndmask_b32_e32 v15, v15, v21, vcc_lo
	v_cmp_eq_f32_e32 vcc_lo, 0, v16
                                        ; implicit-def: $vgpr21
	v_cndmask_b32_e32 v20, v18, v20, vcc_lo
	s_delay_alu instid0(VALU_DEP_4) | instskip(NEXT) | instid1(VALU_DEP_3)
	s_and_b32 vcc_lo, s7, s9
	v_mul_f32_e32 v18, 0.5, v15
	s_delay_alu instid0(VALU_DEP_2)
	v_cndmask_b32_e32 v19, v20, v19, vcc_lo
                                        ; implicit-def: $vgpr20
.LBB187_18:                             ;   in Loop: Header=BB187_4 Depth=1
	s_and_not1_saveexec_b32 s31, s8
	s_cbranch_execz .LBB187_26
; %bb.19:                               ;   in Loop: Header=BB187_4 Depth=1
	v_mul_f32_e32 v22, v20, v20
                                        ; implicit-def: $vgpr18
                                        ; implicit-def: $vgpr19
	s_mov_b32 s7, exec_lo
	s_delay_alu instid0(VALU_DEP_1) | instskip(NEXT) | instid1(VALU_DEP_1)
	v_fmac_f32_e32 v22, v21, v21
	v_cmpx_ge_f32_e32 0x3f333333, v22
	s_xor_b32 s8, exec_lo, s7
	s_cbranch_execz .LBB187_21
; %bb.20:                               ;   in Loop: Header=BB187_4 Depth=1
	v_max_f32_e64 v18, |v16|, |v16|
	v_max_f32_e64 v19, |v15|, |v15|
	v_cmp_gt_f32_e32 vcc_lo, 0x800000, v22
	v_cmp_gt_i32_e64 s7, 0, v15
	v_cmp_class_f32_e64 s9, v15, 0x204
	v_cmp_class_f32_e64 s10, v16, 0x204
	v_max_f32_e32 v20, v19, v18
	v_min_f32_e32 v18, v19, v18
	v_cndmask_b32_e64 v23, 0, 0x41b17218, vcc_lo
	s_delay_alu instid0(VALU_DEP_3) | instskip(SKIP_1) | instid1(VALU_DEP_2)
	v_frexp_mant_f32_e32 v21, v20
	v_frexp_exp_i32_f32_e32 v20, v20
	v_rcp_f32_e32 v19, v21
	v_frexp_exp_i32_f32_e32 v21, v18
	v_frexp_mant_f32_e32 v18, v18
	s_delay_alu instid0(VALU_DEP_2) | instskip(SKIP_4) | instid1(VALU_DEP_2)
	v_sub_nc_u32_e32 v20, v21, v20
	v_cndmask_b32_e64 v21, 1.0, 0x4f800000, vcc_lo
	s_waitcnt_depctr 0xfff
	v_mul_f32_e32 v18, v18, v19
	v_mul_f32_e32 v21, v22, v21
	v_ldexp_f32 v18, v18, v20
	s_delay_alu instid0(VALU_DEP_2) | instskip(NEXT) | instid1(VALU_DEP_1)
	v_log_f32_e32 v21, v21
	v_mul_f32_e32 v19, v18, v18
	s_delay_alu instid0(VALU_DEP_1) | instskip(SKIP_3) | instid1(VALU_DEP_1)
	v_fmaak_f32 v20, s26, v19, 0xbc7a590c
	s_waitcnt_depctr 0xfff
	v_cmp_gt_f32_e64 vcc_lo, 0x7f800000, |v21|
	v_fmaak_f32 v20, v19, v20, 0x3d29fb3f
	v_fmaak_f32 v20, v19, v20, 0xbd97d4d7
	s_delay_alu instid0(VALU_DEP_1) | instskip(NEXT) | instid1(VALU_DEP_1)
	v_fmaak_f32 v20, v19, v20, 0x3dd931b2
	v_fmaak_f32 v20, v19, v20, 0xbe1160e6
	s_delay_alu instid0(VALU_DEP_1) | instskip(NEXT) | instid1(VALU_DEP_1)
	;; [unrolled: 3-line block ×3, first 2 shown]
	v_dual_mul_f32 v19, v19, v20 :: v_dual_mul_f32 v20, 0x3f317217, v21
	v_fmac_f32_e32 v18, v18, v19
	s_delay_alu instid0(VALU_DEP_2) | instskip(NEXT) | instid1(VALU_DEP_1)
	v_fma_f32 v19, 0x3f317217, v21, -v20
	v_fmac_f32_e32 v19, 0x3377d1cf, v21
	s_delay_alu instid0(VALU_DEP_1) | instskip(NEXT) | instid1(VALU_DEP_1)
	v_dual_sub_f32 v22, 0x3fc90fdb, v18 :: v_dual_add_f32 v19, v20, v19
	v_cndmask_b32_e64 v18, v18, v22, s6
	v_cndmask_b32_e64 v20, 0, 0x40490fdb, s7
	v_cmp_eq_f32_e64 s7, 0, v16
	s_delay_alu instid0(VALU_DEP_3) | instskip(SKIP_1) | instid1(VALU_DEP_2)
	v_dual_cndmask_b32 v19, v21, v19 :: v_dual_sub_f32 v22, 0x40490fdb, v18
	v_cmp_gt_f32_e32 vcc_lo, 0, v15
                                        ; implicit-def: $vgpr21
	v_dual_sub_f32 v15, v19, v23 :: v_dual_cndmask_b32 v18, v18, v22
	s_delay_alu instid0(VALU_DEP_1) | instskip(SKIP_2) | instid1(VALU_DEP_1)
	v_cndmask_b32_e64 v19, v18, v20, s7
	v_cndmask_b32_e32 v20, 0x3f490fdb, v17, vcc_lo
	s_and_b32 vcc_lo, s10, s9
	v_dual_mul_f32 v18, 0.5, v15 :: v_dual_cndmask_b32 v19, v19, v20
                                        ; implicit-def: $vgpr20
.LBB187_21:                             ;   in Loop: Header=BB187_4 Depth=1
	s_and_not1_saveexec_b32 s33, s8
	s_cbranch_execz .LBB187_25
; %bb.22:                               ;   in Loop: Header=BB187_4 Depth=1
	v_and_b32_e32 v22, 0x7fff0000, v20
	v_and_b32_e32 v19, 0x7fff0000, v21
	s_mov_b32 s34, 0
	s_delay_alu instid0(VALU_DEP_2) | instskip(SKIP_1) | instid1(VALU_DEP_3)
	v_sub_f32_e32 v23, v20, v22
	v_mul_f32_e32 v20, v22, v22
	v_mul_f32_e32 v18, v19, v19
	v_sub_f32_e32 v21, v21, v19
	s_delay_alu instid0(VALU_DEP_1) | instskip(NEXT) | instid1(VALU_DEP_1)
	v_dual_add_f32 v29, v22, v22 :: v_dual_and_b32 v24, 0xffff0000, v21
	v_dual_sub_f32 v22, v21, v24 :: v_dual_and_b32 v25, 0xffff0000, v23
	s_delay_alu instid0(VALU_DEP_1) | instskip(SKIP_2) | instid1(VALU_DEP_3)
	v_dual_add_f32 v26, v19, v19 :: v_dual_mul_f32 v19, v29, v25
	v_dual_sub_f32 v30, v23, v25 :: v_dual_mul_f32 v21, v24, v24
	v_add_f32_e32 v23, v24, v24
	v_dual_mul_f32 v28, v26, v24 :: v_dual_add_f32 v31, v25, v25
	v_dual_mul_f32 v27, v25, v25 :: v_dual_mul_f32 v24, v26, v22
	s_delay_alu instid0(VALU_DEP_4) | instskip(NEXT) | instid1(VALU_DEP_4)
	v_mul_f32_e32 v26, v29, v30
	v_mul_f32_e32 v25, v23, v22
	;; [unrolled: 1-line block ×5, first 2 shown]
.LBB187_23:                             ;   Parent Loop BB187_4 Depth=1
                                        ; =>  This Inner Loop Header: Depth=2
	v_cmp_nlt_f32_e32 vcc_lo, v18, v20
	s_delay_alu instid0(VALU_DEP_2) | instskip(SKIP_1) | instid1(VALU_DEP_2)
	v_dual_mov_b32 v31, v29 :: v_dual_cndmask_b32 v30, v18, v20
	v_cndmask_b32_e32 v18, v20, v18, vcc_lo
	v_cmp_nlt_f32_e64 s7, v30, v28
	s_delay_alu instid0(VALU_DEP_1) | instskip(SKIP_2) | instid1(VALU_DEP_2)
	v_cndmask_b32_e64 v29, v30, v28, s7
	v_cndmask_b32_e64 v20, v28, v30, s7
	s_and_b32 s35, vcc_lo, s7
	v_cmp_nlt_f32_e64 s8, v29, v19
	s_delay_alu instid0(VALU_DEP_1) | instskip(SKIP_1) | instid1(VALU_DEP_2)
	v_cndmask_b32_e64 v32, v29, v19, s8
	v_cndmask_b32_e64 v28, v19, v29, s8
	v_cmp_nlt_f32_e64 s9, v32, v21
	s_delay_alu instid0(VALU_DEP_1) | instskip(SKIP_2) | instid1(VALU_DEP_2)
	v_cndmask_b32_e64 v30, v32, v21, s9
	v_cndmask_b32_e64 v19, v21, v32, s9
	s_and_b32 s36, s8, s9
	v_cmp_nlt_f32_e64 s10, v30, v27
	s_delay_alu instid0(VALU_DEP_1) | instskip(SKIP_1) | instid1(VALU_DEP_2)
	v_cndmask_b32_e64 v33, v30, v27, s10
	v_cndmask_b32_e64 v21, v27, v30, s10
	v_cmp_nlt_f32_e64 s11, v33, v24
	s_delay_alu instid0(VALU_DEP_1) | instskip(SKIP_2) | instid1(VALU_DEP_2)
	v_cndmask_b32_e64 v34, v33, v24, s11
	s_and_b32 s9, s10, s11
	v_cndmask_b32_e64 v27, v24, v33, s11
	v_cmp_nlt_f32_e64 s12, v34, v26
	s_delay_alu instid0(VALU_DEP_1) | instskip(SKIP_2) | instid1(VALU_DEP_2)
	v_cndmask_b32_e64 v35, v34, v26, s12
	s_and_b32 s9, s9, s12
	v_cndmask_b32_e64 v24, v26, v34, s12
	v_cmp_nlt_f32_e32 vcc_lo, v35, v25
	v_cndmask_b32_e32 v36, v35, v25, vcc_lo
	s_and_b32 s10, s9, vcc_lo
	v_cndmask_b32_e32 v26, v25, v35, vcc_lo
	s_delay_alu instid0(VALU_DEP_2) | instskip(NEXT) | instid1(VALU_DEP_1)
	v_cmp_nlt_f32_e64 s7, v36, v23
	v_cndmask_b32_e64 v32, v36, v23, s7
	s_and_b32 s10, s10, s7
	v_cndmask_b32_e64 v25, v23, v36, s7
	s_delay_alu instid0(VALU_DEP_2) | instskip(NEXT) | instid1(VALU_DEP_1)
	v_cmp_nlt_f32_e64 s8, v32, v22
	v_cndmask_b32_e64 v30, v32, v22, s8
	s_and_b32 s10, s10, s8
	v_cndmask_b32_e64 v23, v22, v32, s8
	s_delay_alu instid0(VALU_DEP_2) | instskip(NEXT) | instid1(VALU_DEP_1)
	v_cmp_nlt_f32_e64 s9, v30, v31
	s_and_b32 s10, s10, s9
	v_cndmask_b32_e64 v29, v30, v31, s9
	s_and_b32 s7, s10, s36
	v_cndmask_b32_e64 v22, v31, v30, s9
	s_and_b32 s7, s7, s35
	s_delay_alu instid0(SALU_CYCLE_1) | instskip(NEXT) | instid1(SALU_CYCLE_1)
	s_and_b32 s7, exec_lo, s7
	s_or_b32 s34, s7, s34
	s_delay_alu instid0(SALU_CYCLE_1)
	s_and_not1_b32 exec_lo, exec_lo, s34
	s_cbranch_execnz .LBB187_23
; %bb.24:                               ;   in Loop: Header=BB187_4 Depth=1
	s_or_b32 exec_lo, exec_lo, s34
	v_add_f32_e32 v18, -1.0, v18
	v_cmp_class_f32_e64 s8, v15, 0x204
	s_delay_alu instid0(VALU_DEP_2) | instskip(NEXT) | instid1(VALU_DEP_1)
	v_add_f32_e32 v18, v18, v20
	v_add_f32_e32 v18, v18, v28
	s_delay_alu instid0(VALU_DEP_1) | instskip(NEXT) | instid1(VALU_DEP_1)
	v_add_f32_e32 v18, v18, v19
	v_add_f32_e32 v18, v18, v21
	s_delay_alu instid0(VALU_DEP_1) | instskip(NEXT) | instid1(VALU_DEP_1)
	;; [unrolled: 3-line block ×5, first 2 shown]
	v_add_f32_e32 v20, v29, v18
	v_add_f32_e32 v21, 1.0, v20
	s_delay_alu instid0(VALU_DEP_1) | instskip(NEXT) | instid1(VALU_DEP_1)
	v_cvt_f64_f32_e32 v[18:19], v21
	v_frexp_exp_i32_f64_e32 v18, v[18:19]
	v_frexp_mant_f32_e32 v19, v21
	s_delay_alu instid0(VALU_DEP_1) | instskip(SKIP_1) | instid1(VALU_DEP_1)
	v_cmp_gt_f32_e32 vcc_lo, 0x3f2aaaab, v19
	v_add_f32_e32 v19, -1.0, v21
	v_sub_f32_e32 v23, v19, v21
	v_sub_f32_e32 v19, v20, v19
	s_delay_alu instid0(VALU_DEP_2) | instskip(NEXT) | instid1(VALU_DEP_1)
	v_add_f32_e32 v23, 1.0, v23
	v_add_f32_e32 v19, v19, v23
	v_subrev_co_ci_u32_e32 v18, vcc_lo, 0, v18, vcc_lo
	s_delay_alu instid0(VALU_DEP_1) | instskip(SKIP_1) | instid1(VALU_DEP_2)
	v_sub_nc_u32_e32 v22, 0, v18
	v_cvt_f32_i32_e32 v18, v18
	v_ldexp_f32 v21, v21, v22
	v_ldexp_f32 v19, v19, v22
	s_delay_alu instid0(VALU_DEP_2) | instskip(NEXT) | instid1(VALU_DEP_1)
	v_add_f32_e32 v24, 1.0, v21
	v_add_f32_e32 v23, -1.0, v24
	s_delay_alu instid0(VALU_DEP_1) | instskip(NEXT) | instid1(VALU_DEP_1)
	v_sub_f32_e32 v23, v21, v23
	v_dual_add_f32 v23, v19, v23 :: v_dual_add_f32 v22, -1.0, v21
	s_delay_alu instid0(VALU_DEP_1) | instskip(NEXT) | instid1(VALU_DEP_1)
	v_add_f32_e32 v25, 1.0, v22
	v_sub_f32_e32 v21, v21, v25
	s_delay_alu instid0(VALU_DEP_1) | instskip(NEXT) | instid1(VALU_DEP_1)
	v_add_f32_e32 v19, v19, v21
	v_add_f32_e32 v26, v22, v19
	s_delay_alu instid0(VALU_DEP_1) | instskip(NEXT) | instid1(VALU_DEP_1)
	v_sub_f32_e32 v22, v26, v22
	v_sub_f32_e32 v19, v19, v22
	v_add_f32_e32 v25, v24, v23
	v_cmp_eq_f32_e32 vcc_lo, 0x7f800000, v20
	v_cmp_neq_f32_e64 s7, -1.0, v20
	s_delay_alu instid0(VALU_DEP_3) | instskip(SKIP_1) | instid1(VALU_DEP_1)
	v_rcp_f32_e32 v21, v25
	v_sub_f32_e32 v24, v25, v24
	v_sub_f32_e32 v23, v23, v24
	s_waitcnt_depctr 0xfff
	v_mul_f32_e32 v27, v26, v21
	s_delay_alu instid0(VALU_DEP_1) | instskip(NEXT) | instid1(VALU_DEP_1)
	v_mul_f32_e32 v28, v25, v27
	v_fma_f32 v24, v27, v25, -v28
	s_delay_alu instid0(VALU_DEP_1) | instskip(NEXT) | instid1(VALU_DEP_1)
	v_fmac_f32_e32 v24, v27, v23
	v_add_f32_e32 v29, v28, v24
	s_delay_alu instid0(VALU_DEP_1) | instskip(NEXT) | instid1(VALU_DEP_1)
	v_sub_f32_e32 v30, v26, v29
	v_sub_f32_e32 v26, v26, v30
	s_delay_alu instid0(VALU_DEP_1) | instskip(NEXT) | instid1(VALU_DEP_1)
	v_sub_f32_e32 v26, v26, v29
	v_dual_add_f32 v19, v19, v26 :: v_dual_sub_f32 v22, v29, v28
	s_delay_alu instid0(VALU_DEP_1) | instskip(NEXT) | instid1(VALU_DEP_1)
	v_sub_f32_e32 v22, v22, v24
	v_add_f32_e32 v19, v22, v19
	s_delay_alu instid0(VALU_DEP_1) | instskip(NEXT) | instid1(VALU_DEP_1)
	v_add_f32_e32 v22, v30, v19
	v_mul_f32_e32 v24, v21, v22
	s_delay_alu instid0(VALU_DEP_1) | instskip(NEXT) | instid1(VALU_DEP_1)
	v_mul_f32_e32 v26, v25, v24
	v_fma_f32 v25, v24, v25, -v26
	s_delay_alu instid0(VALU_DEP_1) | instskip(SKIP_1) | instid1(VALU_DEP_2)
	v_fmac_f32_e32 v25, v24, v23
	v_sub_f32_e32 v29, v30, v22
	v_add_f32_e32 v23, v26, v25
	s_delay_alu instid0(VALU_DEP_1) | instskip(NEXT) | instid1(VALU_DEP_1)
	v_dual_add_f32 v19, v19, v29 :: v_dual_sub_f32 v28, v22, v23
	v_sub_f32_e32 v22, v22, v28
	s_delay_alu instid0(VALU_DEP_1) | instskip(NEXT) | instid1(VALU_DEP_1)
	v_sub_f32_e32 v22, v22, v23
	v_add_f32_e32 v19, v19, v22
	v_add_f32_e32 v22, v27, v24
	v_sub_f32_e32 v26, v23, v26
	s_delay_alu instid0(VALU_DEP_1) | instskip(SKIP_1) | instid1(VALU_DEP_2)
	v_sub_f32_e32 v23, v26, v25
	v_max_f32_e64 v25, |v16|, |v16|
	v_add_f32_e32 v19, v23, v19
	s_delay_alu instid0(VALU_DEP_1) | instskip(NEXT) | instid1(VALU_DEP_1)
	v_dual_add_f32 v19, v28, v19 :: v_dual_mul_f32 v28, 0x3f317218, v18
	v_mul_f32_e32 v19, v21, v19
	v_sub_f32_e32 v23, v22, v27
	s_delay_alu instid0(VALU_DEP_3) | instskip(NEXT) | instid1(VALU_DEP_2)
	v_fma_f32 v29, 0x3f317218, v18, -v28
	v_sub_f32_e32 v23, v24, v23
	s_delay_alu instid0(VALU_DEP_2) | instskip(NEXT) | instid1(VALU_DEP_2)
	v_fmac_f32_e32 v29, 0xb102e308, v18
	v_add_f32_e32 v19, v23, v19
	s_delay_alu instid0(VALU_DEP_1) | instskip(NEXT) | instid1(VALU_DEP_1)
	v_add_f32_e32 v21, v22, v19
	v_mul_f32_e32 v23, v21, v21
	s_delay_alu instid0(VALU_DEP_1) | instskip(NEXT) | instid1(VALU_DEP_1)
	v_fmaak_f32 v24, s21, v23, 0x3ecc95a3
	v_dual_mul_f32 v26, v21, v23 :: v_dual_fmaak_f32 v23, v23, v24, 0x3f2aaada
	v_max_f32_e64 v24, |v15|, |v15|
	s_delay_alu instid0(VALU_DEP_1) | instskip(SKIP_3) | instid1(VALU_DEP_4)
	v_dual_mul_f32 v23, v26, v23 :: v_dual_max_f32 v26, v24, v25
	v_min_f32_e32 v24, v24, v25
	v_ldexp_f32 v27, v21, 1
	v_sub_f32_e32 v21, v21, v22
	v_frexp_mant_f32_e32 v25, v26
	v_frexp_exp_i32_f32_e32 v26, v26
	s_delay_alu instid0(VALU_DEP_4) | instskip(NEXT) | instid1(VALU_DEP_4)
	v_add_f32_e32 v22, v27, v23
	v_sub_f32_e32 v19, v19, v21
	s_delay_alu instid0(VALU_DEP_4) | instskip(NEXT) | instid1(VALU_DEP_2)
	v_rcp_f32_e32 v25, v25
	v_sub_f32_e32 v21, v22, v27
	s_delay_alu instid0(VALU_DEP_2) | instskip(SKIP_1) | instid1(VALU_DEP_3)
	v_ldexp_f32 v19, v19, 1
	v_frexp_exp_i32_f32_e32 v27, v24
	v_sub_f32_e32 v21, v23, v21
	v_frexp_mant_f32_e32 v23, v24
	s_delay_alu instid0(VALU_DEP_3) | instskip(NEXT) | instid1(VALU_DEP_3)
	v_sub_nc_u32_e32 v24, v27, v26
	v_add_f32_e32 v18, v19, v21
	v_add_f32_e32 v21, v28, v29
	s_delay_alu instid0(VALU_DEP_1) | instskip(NEXT) | instid1(VALU_DEP_1)
	v_sub_f32_e32 v28, v21, v28
	v_dual_sub_f32 v28, v29, v28 :: v_dual_mul_f32 v19, v23, v25
	s_delay_alu instid0(VALU_DEP_4) | instskip(NEXT) | instid1(VALU_DEP_2)
	v_add_f32_e32 v23, v22, v18
	v_ldexp_f32 v19, v19, v24
	s_delay_alu instid0(VALU_DEP_2) | instskip(NEXT) | instid1(VALU_DEP_1)
	v_add_f32_e32 v24, v21, v23
	v_dual_sub_f32 v26, v24, v21 :: v_dual_mul_f32 v25, v19, v19
	v_sub_f32_e32 v22, v23, v22
	s_delay_alu instid0(VALU_DEP_2) | instskip(NEXT) | instid1(VALU_DEP_2)
	v_dual_sub_f32 v30, v24, v26 :: v_dual_fmaak_f32 v27, s26, v25, 0xbc7a590c
	v_sub_f32_e32 v18, v18, v22
	s_delay_alu instid0(VALU_DEP_2) | instskip(NEXT) | instid1(VALU_DEP_2)
	v_dual_sub_f32 v22, v23, v26 :: v_dual_fmaak_f32 v27, v25, v27, 0x3d29fb3f
	v_add_f32_e32 v26, v28, v18
	s_delay_alu instid0(VALU_DEP_4) | instskip(NEXT) | instid1(VALU_DEP_3)
	v_sub_f32_e32 v21, v21, v30
	v_fmaak_f32 v23, v25, v27, 0xbd97d4d7
	s_delay_alu instid0(VALU_DEP_1) | instskip(NEXT) | instid1(VALU_DEP_4)
	v_dual_add_f32 v21, v22, v21 :: v_dual_fmaak_f32 v22, v25, v23, 0x3dd931b2
	v_sub_f32_e32 v23, v26, v28
	s_delay_alu instid0(VALU_DEP_2) | instskip(NEXT) | instid1(VALU_DEP_1)
	v_dual_add_f32 v21, v26, v21 :: v_dual_fmaak_f32 v22, v25, v22, 0xbe1160e6
	v_dual_sub_f32 v26, v26, v23 :: v_dual_add_f32 v27, v24, v21
	v_sub_f32_e32 v18, v18, v23
	s_delay_alu instid0(VALU_DEP_3) | instskip(NEXT) | instid1(VALU_DEP_3)
	v_fmaak_f32 v22, v25, v22, 0x3e4cb8bf
	v_sub_f32_e32 v23, v28, v26
	s_delay_alu instid0(VALU_DEP_2) | instskip(NEXT) | instid1(VALU_DEP_1)
	v_fmaak_f32 v22, v25, v22, 0xbeaaaa62
	v_mul_f32_e32 v22, v25, v22
	s_delay_alu instid0(VALU_DEP_1) | instskip(SKIP_1) | instid1(VALU_DEP_1)
	v_fmac_f32_e32 v19, v19, v22
	v_sub_f32_e32 v24, v27, v24
	v_dual_add_f32 v18, v18, v23 :: v_dual_sub_f32 v21, v21, v24
	s_delay_alu instid0(VALU_DEP_1) | instskip(NEXT) | instid1(VALU_DEP_1)
	v_add_f32_e32 v18, v18, v21
	v_add_f32_e32 v18, v27, v18
	s_delay_alu instid0(VALU_DEP_1) | instskip(SKIP_1) | instid1(VALU_DEP_2)
	v_dual_cndmask_b32 v18, v18, v20 :: v_dual_sub_f32 v21, 0x3fc90fdb, v19
	v_cmp_gt_i32_e32 vcc_lo, 0, v15
	v_cndmask_b32_e64 v19, v19, v21, s6
	v_cndmask_b32_e64 v21, 0, 0x40490fdb, vcc_lo
	v_cmp_ngt_f32_e32 vcc_lo, -1.0, v20
	s_delay_alu instid0(VALU_DEP_3) | instskip(SKIP_2) | instid1(VALU_DEP_2)
	v_sub_f32_e32 v22, 0x40490fdb, v19
	v_cndmask_b32_e32 v18, 0x7fc00000, v18, vcc_lo
	v_cmp_gt_f32_e32 vcc_lo, 0, v15
	v_cndmask_b32_e64 v15, 0xff800000, v18, s7
	s_delay_alu instid0(VALU_DEP_4)
	v_cndmask_b32_e32 v18, v19, v22, vcc_lo
	v_cndmask_b32_e32 v19, 0x3f490fdb, v17, vcc_lo
	v_cmp_gt_f32_e64 vcc_lo, 0x33800000, |v20|
	v_cmp_class_f32_e64 s7, v16, 0x204
	v_cndmask_b32_e32 v15, v15, v20, vcc_lo
	v_cmp_eq_f32_e32 vcc_lo, 0, v16
	v_cndmask_b32_e32 v20, v18, v21, vcc_lo
	s_delay_alu instid0(VALU_DEP_4) | instskip(NEXT) | instid1(VALU_DEP_3)
	s_and_b32 vcc_lo, s7, s8
	v_mul_f32_e32 v18, 0.5, v15
	s_delay_alu instid0(VALU_DEP_2)
	v_cndmask_b32_e32 v19, v20, v19, vcc_lo
.LBB187_25:                             ;   in Loop: Header=BB187_4 Depth=1
	s_or_b32 exec_lo, exec_lo, s33
.LBB187_26:                             ;   in Loop: Header=BB187_4 Depth=1
	s_delay_alu instid0(SALU_CYCLE_1)
	s_or_b32 exec_lo, exec_lo, s31
.LBB187_27:                             ;   in Loop: Header=BB187_4 Depth=1
	s_and_not1_saveexec_b32 s8, s30
	s_cbranch_execz .LBB187_29
; %bb.28:                               ;   in Loop: Header=BB187_4 Depth=1
	v_max_f32_e64 v20, |v16|, |v16|
	v_max_f32_e64 v21, |v15|, |v15|
	v_cmp_gt_i32_e64 s7, 0, v15
	v_cmp_class_f32_e64 s9, v15, 0x204
	v_cmp_class_f32_e64 s10, v16, 0x204
	s_delay_alu instid0(VALU_DEP_4) | instskip(SKIP_1) | instid1(VALU_DEP_2)
	v_max_f32_e32 v22, v21, v20
	v_min_f32_e32 v20, v21, v20
	v_cvt_f64_f32_e32 v[18:19], v22
	s_delay_alu instid0(VALU_DEP_2) | instskip(SKIP_1) | instid1(VALU_DEP_3)
	v_frexp_exp_i32_f32_e32 v23, v20
	v_frexp_mant_f32_e32 v20, v20
	v_frexp_exp_i32_f64_e32 v18, v[18:19]
	v_frexp_mant_f32_e32 v19, v22
	s_delay_alu instid0(VALU_DEP_1) | instskip(SKIP_4) | instid1(VALU_DEP_2)
	v_rcp_f32_e32 v19, v19
	s_waitcnt_depctr 0xfff
	v_mul_f32_e32 v19, v20, v19
	v_frexp_exp_i32_f32_e32 v21, v22
	v_cmp_neq_f32_e32 vcc_lo, 0x7f800000, v22
	v_sub_nc_u32_e32 v21, v23, v21
	s_delay_alu instid0(VALU_DEP_1) | instskip(NEXT) | instid1(VALU_DEP_1)
	v_ldexp_f32 v19, v19, v21
	v_mul_f32_e32 v23, v19, v19
	v_sub_nc_u32_e32 v24, 0, v18
	s_delay_alu instid0(VALU_DEP_1) | instskip(SKIP_1) | instid1(VALU_DEP_2)
	v_ldexp_f32 v20, |v16|, v24
	v_ldexp_f32 v21, |v15|, v24
	v_mul_f32_e32 v20, v20, v20
	s_delay_alu instid0(VALU_DEP_1) | instskip(NEXT) | instid1(VALU_DEP_1)
	v_dual_fmac_f32 v20, v21, v21 :: v_dual_fmaak_f32 v21, s26, v23, 0xbc7a590c
	v_sqrt_f32_e32 v20, v20
	s_delay_alu instid0(VALU_DEP_1) | instskip(NEXT) | instid1(VALU_DEP_1)
	v_fmaak_f32 v21, v23, v21, 0x3d29fb3f
	v_fmaak_f32 v21, v23, v21, 0xbd97d4d7
	s_waitcnt_depctr 0xfff
	v_ldexp_f32 v18, v20, v18
	v_fmaak_f32 v20, v23, v21, 0x3dd931b2
	s_delay_alu instid0(VALU_DEP_1) | instskip(NEXT) | instid1(VALU_DEP_1)
	v_fmaak_f32 v20, v23, v20, 0xbe1160e6
	v_fmaak_f32 v20, v23, v20, 0x3e4cb8bf
	s_delay_alu instid0(VALU_DEP_1) | instskip(NEXT) | instid1(VALU_DEP_1)
	v_fmaak_f32 v20, v23, v20, 0xbeaaaa62
	v_mul_f32_e32 v20, v23, v20
	s_delay_alu instid0(VALU_DEP_1) | instskip(NEXT) | instid1(VALU_DEP_1)
	v_dual_cndmask_b32 v18, 0x7f800000, v18 :: v_dual_fmac_f32 v19, v19, v20
	v_cmp_gt_f32_e32 vcc_lo, 0x800000, v18
	v_cndmask_b32_e64 v21, 1.0, 0x4f800000, vcc_lo
	s_delay_alu instid0(VALU_DEP_1) | instskip(NEXT) | instid1(VALU_DEP_1)
	v_dual_mul_f32 v18, v18, v21 :: v_dual_sub_f32 v21, 0x3fc90fdb, v19
	v_cndmask_b32_e64 v19, v19, v21, s6
	v_cndmask_b32_e64 v21, 0, 0x40490fdb, s7
	v_cmp_gt_f32_e64 s7, 0, v15
	s_delay_alu instid0(VALU_DEP_3) | instskip(SKIP_1) | instid1(VALU_DEP_1)
	v_sub_f32_e32 v23, 0x40490fdb, v19
	v_log_f32_e32 v18, v18
	v_cndmask_b32_e64 v19, v19, v23, s7
	s_waitcnt_depctr 0xfff
	v_mul_f32_e32 v20, 0x3f317217, v18
	s_delay_alu instid0(VALU_DEP_1) | instskip(NEXT) | instid1(VALU_DEP_1)
	v_fma_f32 v22, 0x3f317217, v18, -v20
	v_fmac_f32_e32 v22, 0x3377d1cf, v18
	s_delay_alu instid0(VALU_DEP_1) | instskip(SKIP_3) | instid1(VALU_DEP_4)
	v_add_f32_e32 v15, v20, v22
	v_cndmask_b32_e64 v22, 0, 0x41b17218, vcc_lo
	v_cmp_gt_f32_e64 vcc_lo, 0x7f800000, |v18|
	v_cndmask_b32_e64 v20, 0x3f490fdb, v17, s7
	v_cndmask_b32_e32 v15, v18, v15, vcc_lo
	v_cmp_eq_f32_e32 vcc_lo, 0, v16
	s_delay_alu instid0(VALU_DEP_2) | instskip(SKIP_2) | instid1(VALU_DEP_1)
	v_sub_f32_e32 v18, v15, v22
	v_cndmask_b32_e32 v19, v19, v21, vcc_lo
	s_and_b32 vcc_lo, s10, s9
	v_cndmask_b32_e32 v19, v19, v20, vcc_lo
.LBB187_29:                             ;   in Loop: Header=BB187_4 Depth=1
	s_or_b32 exec_lo, exec_lo, s8
                                        ; implicit-def: $vgpr20
.LBB187_30:                             ;   in Loop: Header=BB187_4 Depth=1
	s_and_not1_saveexec_b32 s8, s29
	s_cbranch_execz .LBB187_36
; %bb.31:                               ;   in Loop: Header=BB187_4 Depth=1
                                        ; implicit-def: $vgpr18
                                        ; implicit-def: $vgpr19
	s_mov_b32 s7, exec_lo
	v_cmpx_ngt_f32_e32 0x1fec1e4a, v20
	s_xor_b32 s9, exec_lo, s7
	s_cbranch_execz .LBB187_33
; %bb.32:                               ;   in Loop: Header=BB187_4 Depth=1
	v_mul_f32_e32 v20, v20, v20
	v_cmp_class_f32_e64 s10, v15, 0x204
	v_cmp_gt_f32_e64 s7, 0, v15
	v_cmp_class_f32_e64 s12, v16, 0x204
	s_delay_alu instid0(VALU_DEP_4) | instskip(NEXT) | instid1(VALU_DEP_1)
	v_add_f32_e32 v21, 1.0, v20
	v_cvt_f64_f32_e32 v[18:19], v21
	s_delay_alu instid0(VALU_DEP_1) | instskip(SKIP_1) | instid1(VALU_DEP_1)
	v_frexp_exp_i32_f64_e32 v18, v[18:19]
	v_frexp_mant_f32_e32 v19, v21
	v_cmp_gt_f32_e32 vcc_lo, 0x3f2aaaab, v19
	v_add_f32_e32 v19, -1.0, v21
	v_cmp_gt_f32_e64 s11, 0x33800000, |v20|
	s_delay_alu instid0(VALU_DEP_2) | instskip(SKIP_2) | instid1(VALU_DEP_2)
	v_sub_f32_e32 v23, v19, v21
	v_subrev_co_ci_u32_e32 v18, vcc_lo, 0, v18, vcc_lo
	v_cmp_gt_i32_e32 vcc_lo, 0, v15
	v_sub_nc_u32_e32 v22, 0, v18
	v_cvt_f32_i32_e32 v18, v18
	s_delay_alu instid0(VALU_DEP_2) | instskip(SKIP_1) | instid1(VALU_DEP_2)
	v_ldexp_f32 v21, v21, v22
	v_sub_f32_e32 v19, v20, v19
	v_dual_add_f32 v23, 1.0, v23 :: v_dual_add_f32 v24, 1.0, v21
	s_delay_alu instid0(VALU_DEP_1) | instskip(NEXT) | instid1(VALU_DEP_2)
	v_add_f32_e32 v19, v19, v23
	v_add_f32_e32 v23, -1.0, v24
	s_delay_alu instid0(VALU_DEP_2) | instskip(NEXT) | instid1(VALU_DEP_2)
	v_ldexp_f32 v19, v19, v22
	v_dual_add_f32 v22, -1.0, v21 :: v_dual_sub_f32 v23, v21, v23
	s_delay_alu instid0(VALU_DEP_1) | instskip(NEXT) | instid1(VALU_DEP_2)
	v_add_f32_e32 v25, 1.0, v22
	v_add_f32_e32 v23, v19, v23
	s_delay_alu instid0(VALU_DEP_2) | instskip(NEXT) | instid1(VALU_DEP_2)
	v_sub_f32_e32 v21, v21, v25
	v_add_f32_e32 v25, v24, v23
	s_delay_alu instid0(VALU_DEP_2) | instskip(NEXT) | instid1(VALU_DEP_2)
	v_add_f32_e32 v19, v19, v21
	v_rcp_f32_e32 v21, v25
	v_sub_f32_e32 v24, v24, v25
	s_delay_alu instid0(VALU_DEP_1) | instskip(NEXT) | instid1(VALU_DEP_1)
	v_dual_add_f32 v26, v22, v19 :: v_dual_add_f32 v23, v23, v24
	v_sub_f32_e32 v22, v22, v26
	s_waitcnt_depctr 0xfff
	v_mul_f32_e32 v27, v26, v21
	s_delay_alu instid0(VALU_DEP_1) | instskip(NEXT) | instid1(VALU_DEP_1)
	v_dual_add_f32 v19, v19, v22 :: v_dual_mul_f32 v28, v25, v27
	v_fma_f32 v24, v27, v25, -v28
	s_delay_alu instid0(VALU_DEP_1) | instskip(NEXT) | instid1(VALU_DEP_1)
	v_fmac_f32_e32 v24, v27, v23
	v_add_f32_e32 v29, v28, v24
	s_delay_alu instid0(VALU_DEP_1) | instskip(SKIP_1) | instid1(VALU_DEP_2)
	v_sub_f32_e32 v30, v26, v29
	v_sub_f32_e32 v22, v29, v28
	;; [unrolled: 1-line block ×3, first 2 shown]
	s_delay_alu instid0(VALU_DEP_2) | instskip(NEXT) | instid1(VALU_DEP_2)
	v_sub_f32_e32 v22, v22, v24
	v_sub_f32_e32 v26, v26, v29
	s_delay_alu instid0(VALU_DEP_1) | instskip(NEXT) | instid1(VALU_DEP_1)
	v_add_f32_e32 v19, v19, v26
	v_add_f32_e32 v19, v22, v19
	s_delay_alu instid0(VALU_DEP_1) | instskip(NEXT) | instid1(VALU_DEP_1)
	v_add_f32_e32 v22, v30, v19
	v_mul_f32_e32 v24, v21, v22
	s_delay_alu instid0(VALU_DEP_1) | instskip(NEXT) | instid1(VALU_DEP_1)
	v_dual_sub_f32 v29, v30, v22 :: v_dual_mul_f32 v26, v25, v24
	v_fma_f32 v25, v24, v25, -v26
	s_delay_alu instid0(VALU_DEP_1) | instskip(NEXT) | instid1(VALU_DEP_1)
	v_fmac_f32_e32 v25, v24, v23
	v_add_f32_e32 v23, v26, v25
	s_delay_alu instid0(VALU_DEP_1) | instskip(SKIP_1) | instid1(VALU_DEP_2)
	v_sub_f32_e32 v28, v22, v23
	v_sub_f32_e32 v26, v23, v26
	v_dual_sub_f32 v22, v22, v28 :: v_dual_add_f32 v19, v19, v29
	s_delay_alu instid0(VALU_DEP_1) | instskip(NEXT) | instid1(VALU_DEP_1)
	v_sub_f32_e32 v22, v22, v23
	v_add_f32_e32 v19, v19, v22
	s_delay_alu instid0(VALU_DEP_4) | instskip(NEXT) | instid1(VALU_DEP_1)
	v_dual_add_f32 v22, v27, v24 :: v_dual_sub_f32 v23, v26, v25
	v_add_f32_e32 v19, v23, v19
	s_delay_alu instid0(VALU_DEP_2) | instskip(NEXT) | instid1(VALU_DEP_2)
	v_sub_f32_e32 v23, v22, v27
	v_add_f32_e32 v19, v28, v19
	s_delay_alu instid0(VALU_DEP_2) | instskip(SKIP_1) | instid1(VALU_DEP_3)
	v_sub_f32_e32 v23, v24, v23
	v_max_f32_e64 v24, |v15|, |v15|
	v_mul_f32_e32 v19, v21, v19
	v_max_f32_e64 v21, |v16|, |v16|
	s_delay_alu instid0(VALU_DEP_1) | instskip(SKIP_1) | instid1(VALU_DEP_2)
	v_dual_add_f32 v19, v23, v19 :: v_dual_max_f32 v26, v24, v21
	v_min_f32_e32 v21, v24, v21
	v_add_f32_e32 v23, v22, v19
	s_delay_alu instid0(VALU_DEP_3) | instskip(SKIP_1) | instid1(VALU_DEP_3)
	v_frexp_mant_f32_e32 v28, v26
	v_frexp_exp_i32_f32_e32 v24, v26
	v_mul_f32_e32 v25, v23, v23
	v_ldexp_f32 v29, v23, 1
	s_delay_alu instid0(VALU_DEP_2) | instskip(SKIP_1) | instid1(VALU_DEP_2)
	v_dual_sub_f32 v22, v23, v22 :: v_dual_fmaak_f32 v27, s21, v25, 0x3ecc95a3
	v_mul_f32_e32 v26, v23, v25
	v_sub_f32_e32 v19, v19, v22
	s_delay_alu instid0(VALU_DEP_3)
	v_fmaak_f32 v25, v25, v27, 0x3f2aaada
	v_rcp_f32_e32 v27, v28
	v_frexp_exp_i32_f32_e32 v28, v21
	v_frexp_mant_f32_e32 v21, v21
	v_ldexp_f32 v19, v19, 1
	v_dual_mul_f32 v25, v26, v25 :: v_dual_mul_f32 v26, 0x3f317218, v18
	s_delay_alu instid0(VALU_DEP_4) | instskip(NEXT) | instid1(VALU_DEP_2)
	v_sub_nc_u32_e32 v24, v28, v24
	v_add_f32_e32 v23, v29, v25
	s_delay_alu instid0(TRANS32_DEP_1) | instid1(VALU_DEP_1)
	v_dual_mul_f32 v21, v21, v27 :: v_dual_sub_f32 v22, v23, v29
	s_delay_alu instid0(VALU_DEP_1) | instskip(SKIP_1) | instid1(VALU_DEP_3)
	v_ldexp_f32 v21, v21, v24
	v_fma_f32 v24, 0x3f317218, v18, -v26
	v_sub_f32_e32 v22, v25, v22
	s_delay_alu instid0(VALU_DEP_2) | instskip(NEXT) | instid1(VALU_DEP_2)
	v_fmac_f32_e32 v24, 0xb102e308, v18
	v_add_f32_e32 v18, v19, v22
	s_delay_alu instid0(VALU_DEP_1) | instskip(NEXT) | instid1(VALU_DEP_1)
	v_dual_add_f32 v22, v26, v24 :: v_dual_add_f32 v27, v23, v18
	v_sub_f32_e32 v26, v22, v26
	s_delay_alu instid0(VALU_DEP_2) | instskip(NEXT) | instid1(VALU_DEP_2)
	v_add_f32_e32 v28, v22, v27
	v_dual_sub_f32 v23, v27, v23 :: v_dual_sub_f32 v24, v24, v26
	s_delay_alu instid0(VALU_DEP_1) | instskip(NEXT) | instid1(VALU_DEP_1)
	v_dual_sub_f32 v29, v28, v22 :: v_dual_sub_f32 v18, v18, v23
	v_sub_f32_e32 v30, v28, v29
	s_delay_alu instid0(VALU_DEP_2) | instskip(NEXT) | instid1(VALU_DEP_2)
	v_dual_sub_f32 v23, v27, v29 :: v_dual_add_f32 v26, v24, v18
	v_sub_f32_e32 v22, v22, v30
	s_delay_alu instid0(VALU_DEP_1) | instskip(NEXT) | instid1(VALU_DEP_1)
	v_dual_add_f32 v22, v23, v22 :: v_dual_sub_f32 v23, v26, v24
	v_dual_add_f32 v22, v26, v22 :: v_dual_mul_f32 v25, v21, v21
	s_delay_alu instid0(VALU_DEP_1) | instskip(NEXT) | instid1(VALU_DEP_1)
	v_dual_sub_f32 v18, v18, v23 :: v_dual_fmaak_f32 v19, s26, v25, 0xbc7a590c
	v_fmaak_f32 v19, v25, v19, 0x3d29fb3f
	s_delay_alu instid0(VALU_DEP_1) | instskip(NEXT) | instid1(VALU_DEP_1)
	v_fmaak_f32 v19, v25, v19, 0xbd97d4d7
	v_fmaak_f32 v19, v25, v19, 0x3dd931b2
	s_delay_alu instid0(VALU_DEP_1) | instskip(NEXT) | instid1(VALU_DEP_1)
	v_fmaak_f32 v19, v25, v19, 0xbe1160e6
	;; [unrolled: 3-line block ×3, first 2 shown]
	v_mul_f32_e32 v19, v25, v19
	v_dual_sub_f32 v25, v26, v23 :: v_dual_add_f32 v26, v28, v22
	s_delay_alu instid0(VALU_DEP_2) | instskip(NEXT) | instid1(VALU_DEP_2)
	v_fmac_f32_e32 v21, v21, v19
	v_sub_f32_e32 v19, v24, v25
	s_delay_alu instid0(VALU_DEP_2) | instskip(NEXT) | instid1(VALU_DEP_2)
	v_dual_sub_f32 v23, v26, v28 :: v_dual_sub_f32 v24, 0x3fc90fdb, v21
	v_add_f32_e32 v18, v18, v19
	s_delay_alu instid0(VALU_DEP_2) | instskip(SKIP_3) | instid1(VALU_DEP_4)
	v_sub_f32_e32 v19, v22, v23
	v_cndmask_b32_e64 v22, 0, 0x40490fdb, vcc_lo
	v_cmp_eq_f32_e32 vcc_lo, 0x7f800000, v20
	v_cndmask_b32_e64 v21, v21, v24, s6
	v_add_f32_e32 v18, v18, v19
	s_or_b32 vcc_lo, vcc_lo, s11
	s_delay_alu instid0(VALU_DEP_2) | instskip(NEXT) | instid1(VALU_DEP_2)
	v_sub_f32_e32 v19, 0x40490fdb, v21
	v_add_f32_e32 v15, v26, v18
	s_delay_alu instid0(VALU_DEP_2) | instskip(SKIP_1) | instid1(VALU_DEP_3)
	v_cndmask_b32_e64 v18, v21, v19, s7
	v_cndmask_b32_e64 v19, 0x3f490fdb, v17, s7
	v_cndmask_b32_e32 v15, v15, v20, vcc_lo
	v_cmp_eq_f32_e32 vcc_lo, 0, v16
	s_delay_alu instid0(VALU_DEP_4) | instskip(SKIP_1) | instid1(VALU_DEP_3)
	v_cndmask_b32_e32 v20, v18, v22, vcc_lo
	s_and_b32 vcc_lo, s12, s10
	v_mul_f32_e32 v18, 0.5, v15
	s_delay_alu instid0(VALU_DEP_2)
	v_cndmask_b32_e32 v19, v20, v19, vcc_lo
                                        ; implicit-def: $vgpr20
.LBB187_33:                             ;   in Loop: Header=BB187_4 Depth=1
	s_and_not1_saveexec_b32 s9, s9
	s_cbranch_execz .LBB187_35
; %bb.34:                               ;   in Loop: Header=BB187_4 Depth=1
	v_max_f32_e64 v18, |v16|, |v16|
	v_max_f32_e64 v19, |v15|, |v15|
	v_cmp_gt_i32_e32 vcc_lo, 0, v15
	v_cmp_eq_f32_e64 s7, 0, v16
	v_cmp_class_f32_e64 s10, v15, 0x204
	v_cmp_class_f32_e64 s11, v16, 0x204
	v_max_f32_e32 v21, v19, v18
	v_min_f32_e32 v18, v19, v18
	s_delay_alu instid0(VALU_DEP_2) | instskip(NEXT) | instid1(VALU_DEP_1)
	v_frexp_mant_f32_e32 v22, v21
	v_rcp_f32_e32 v19, v22
	s_delay_alu instid0(VALU_DEP_2) | instskip(SKIP_4) | instid1(VALU_DEP_1)
	v_frexp_exp_i32_f32_e32 v22, v18
	v_frexp_mant_f32_e32 v18, v18
	s_waitcnt_depctr 0xfff
	v_mul_f32_e32 v18, v18, v19
	v_frexp_exp_i32_f32_e32 v21, v21
	v_sub_nc_u32_e32 v21, v22, v21
	s_delay_alu instid0(VALU_DEP_1) | instskip(NEXT) | instid1(VALU_DEP_1)
	v_ldexp_f32 v18, v18, v21
	v_mul_f32_e32 v19, v18, v18
	s_delay_alu instid0(VALU_DEP_1) | instskip(NEXT) | instid1(VALU_DEP_1)
	v_fmaak_f32 v21, s26, v19, 0xbc7a590c
	v_fmaak_f32 v21, v19, v21, 0x3d29fb3f
	s_delay_alu instid0(VALU_DEP_1) | instskip(NEXT) | instid1(VALU_DEP_1)
	v_fmaak_f32 v21, v19, v21, 0xbd97d4d7
	v_fmaak_f32 v21, v19, v21, 0x3dd931b2
	;; [unrolled: 3-line block ×3, first 2 shown]
	s_delay_alu instid0(VALU_DEP_1) | instskip(NEXT) | instid1(VALU_DEP_1)
	v_fmaak_f32 v21, v19, v21, 0xbeaaaa62
	v_mul_f32_e32 v19, v19, v21
	v_cndmask_b32_e64 v21, 0, 0x40490fdb, vcc_lo
	v_cmp_gt_f32_e32 vcc_lo, 0, v15
	s_delay_alu instid0(VALU_DEP_3) | instskip(NEXT) | instid1(VALU_DEP_1)
	v_fmac_f32_e32 v18, v18, v19
	v_sub_f32_e32 v19, 0x3fc90fdb, v18
	s_delay_alu instid0(VALU_DEP_1) | instskip(NEXT) | instid1(VALU_DEP_1)
	v_cndmask_b32_e64 v18, v18, v19, s6
	v_sub_f32_e32 v19, 0x40490fdb, v18
	s_delay_alu instid0(VALU_DEP_1) | instskip(NEXT) | instid1(VALU_DEP_1)
	v_dual_cndmask_b32 v18, v18, v19 :: v_dual_mul_f32 v19, 0.5, v20
	v_cndmask_b32_e64 v15, v18, v21, s7
	s_delay_alu instid0(VALU_DEP_2) | instskip(SKIP_1) | instid1(VALU_DEP_1)
	v_dual_mul_f32 v18, v20, v19 :: v_dual_cndmask_b32 v21, 0x3f490fdb, v17
	s_and_b32 vcc_lo, s11, s10
	v_cndmask_b32_e32 v19, v15, v21, vcc_lo
.LBB187_35:                             ;   in Loop: Header=BB187_4 Depth=1
	s_or_b32 exec_lo, exec_lo, s9
.LBB187_36:                             ;   in Loop: Header=BB187_4 Depth=1
	s_delay_alu instid0(SALU_CYCLE_1)
	s_or_b32 exec_lo, exec_lo, s8
.LBB187_37:                             ;   in Loop: Header=BB187_4 Depth=1
	s_and_not1_saveexec_b32 s8, s28
	s_cbranch_execz .LBB187_39
; %bb.38:                               ;   in Loop: Header=BB187_4 Depth=1
	v_div_scale_f32 v18, null, 0x402df854, 0x402df854, v15
	v_div_scale_f32 v19, null, 0x402df854, 0x402df854, v16
	v_div_scale_f32 v24, vcc_lo, v15, 0x402df854, v15
	s_delay_alu instid0(VALU_DEP_3) | instskip(NEXT) | instid1(VALU_DEP_2)
	v_rcp_f32_e32 v20, v18
	v_rcp_f32_e32 v21, v19
	v_cmp_class_f32_e64 s9, v16, 0x204
	s_waitcnt_depctr 0xfff
	v_fma_f32 v22, -v18, v20, 1.0
	v_fma_f32 v23, -v19, v21, 1.0
	s_delay_alu instid0(VALU_DEP_1) | instskip(SKIP_1) | instid1(VALU_DEP_2)
	v_dual_fmac_f32 v20, v22, v20 :: v_dual_fmac_f32 v21, v23, v21
	v_div_scale_f32 v22, s7, v16, 0x402df854, v16
	v_mul_f32_e32 v23, v24, v20
	s_delay_alu instid0(VALU_DEP_1) | instskip(NEXT) | instid1(VALU_DEP_1)
	v_fma_f32 v26, -v18, v23, v24
	v_fmac_f32_e32 v23, v26, v20
	s_delay_alu instid0(VALU_DEP_1) | instskip(NEXT) | instid1(VALU_DEP_1)
	v_fma_f32 v18, -v18, v23, v24
	v_div_fmas_f32 v18, v18, v20, v23
	v_max_f32_e64 v23, |v15|, |v15|
	v_mul_f32_e32 v25, v22, v21
	s_mov_b32 vcc_lo, s7
	v_cmp_class_f32_e64 s7, v15, 0x204
	v_div_fixup_f32 v20, v18, 0x402df854, v15
	s_delay_alu instid0(VALU_DEP_3) | instskip(NEXT) | instid1(VALU_DEP_1)
	v_fma_f32 v27, -v19, v25, v22
	v_fmac_f32_e32 v25, v27, v21
	s_delay_alu instid0(VALU_DEP_1) | instskip(NEXT) | instid1(VALU_DEP_1)
	v_fma_f32 v19, -v19, v25, v22
	v_div_fmas_f32 v19, v19, v21, v25
	s_delay_alu instid0(VALU_DEP_1) | instskip(NEXT) | instid1(VALU_DEP_1)
	v_div_fixup_f32 v21, v19, 0x402df854, v16
	v_max_f32_e64 v22, |v20|, |v21|
	s_delay_alu instid0(VALU_DEP_1) | instskip(SKIP_1) | instid1(VALU_DEP_2)
	v_cvt_f64_f32_e32 v[18:19], v22
	v_cmp_neq_f32_e32 vcc_lo, 0x7f800000, v22
	v_frexp_exp_i32_f64_e32 v18, v[18:19]
	v_max_f32_e64 v19, |v16|, |v16|
	s_delay_alu instid0(VALU_DEP_1) | instskip(SKIP_1) | instid1(VALU_DEP_2)
	v_max_f32_e32 v24, v23, v19
	v_min_f32_e32 v19, v23, v19
	v_frexp_mant_f32_e32 v25, v24
	v_frexp_exp_i32_f32_e32 v24, v24
	s_delay_alu instid0(VALU_DEP_3) | instskip(SKIP_1) | instid1(VALU_DEP_4)
	v_frexp_exp_i32_f32_e32 v26, v19
	v_frexp_mant_f32_e32 v19, v19
	v_rcp_f32_e32 v23, v25
	s_delay_alu instid0(VALU_DEP_2) | instskip(SKIP_1) | instid1(VALU_DEP_1)
	v_sub_nc_u32_e32 v24, v26, v24
	v_sub_nc_u32_e32 v25, 0, v18
	v_ldexp_f32 v21, |v21|, v25
	v_ldexp_f32 v20, |v20|, v25
	s_delay_alu instid0(VALU_DEP_2) | instskip(NEXT) | instid1(VALU_DEP_1)
	v_mul_f32_e32 v21, v21, v21
	v_fmac_f32_e32 v21, v20, v20
	s_delay_alu instid0(VALU_DEP_1) | instskip(SKIP_2) | instid1(VALU_DEP_1)
	v_sqrt_f32_e32 v21, v21
	s_waitcnt_depctr 0xfff
	v_ldexp_f32 v18, v21, v18
	v_cndmask_b32_e32 v18, 0x7f800000, v18, vcc_lo
	s_delay_alu instid0(VALU_DEP_1) | instskip(SKIP_1) | instid1(VALU_DEP_1)
	v_cmp_gt_f32_e32 vcc_lo, 0x800000, v18
	v_cndmask_b32_e64 v22, 1.0, 0x4f800000, vcc_lo
	v_mul_f32_e32 v18, v18, v22
	s_delay_alu instid0(VALU_DEP_1) | instskip(SKIP_1) | instid1(VALU_DEP_1)
	v_log_f32_e32 v18, v18
	v_mul_f32_e32 v19, v19, v23
	v_ldexp_f32 v19, v19, v24
	s_delay_alu instid0(VALU_DEP_1) | instskip(NEXT) | instid1(VALU_DEP_1)
	v_mul_f32_e32 v20, v19, v19
	v_fmaak_f32 v23, s26, v20, 0xbc7a590c
	s_delay_alu instid0(VALU_DEP_1) | instskip(NEXT) | instid1(VALU_DEP_1)
	v_fmaak_f32 v23, v20, v23, 0x3d29fb3f
	v_fmaak_f32 v21, v20, v23, 0xbd97d4d7
	v_cndmask_b32_e64 v23, 0, 0x41b17218, vcc_lo
	s_delay_alu instid0(TRANS32_DEP_1) | instskip(NEXT) | instid1(VALU_DEP_3)
	v_cmp_gt_f32_e64 vcc_lo, 0x7f800000, |v18|
	v_fmaak_f32 v21, v20, v21, 0x3dd931b2
	s_delay_alu instid0(VALU_DEP_1) | instskip(NEXT) | instid1(VALU_DEP_1)
	v_fmaak_f32 v21, v20, v21, 0xbe1160e6
	v_fmaak_f32 v21, v20, v21, 0x3e4cb8bf
	s_delay_alu instid0(VALU_DEP_1) | instskip(NEXT) | instid1(VALU_DEP_1)
	v_fmaak_f32 v21, v20, v21, 0xbeaaaa62
	v_dual_mul_f32 v20, v20, v21 :: v_dual_mul_f32 v21, 0x3f317217, v18
	s_delay_alu instid0(VALU_DEP_1) | instskip(NEXT) | instid1(VALU_DEP_2)
	v_fmac_f32_e32 v19, v19, v20
	v_fma_f32 v20, 0x3f317217, v18, -v21
	s_delay_alu instid0(VALU_DEP_2) | instskip(NEXT) | instid1(VALU_DEP_2)
	v_sub_f32_e32 v22, 0x3fc90fdb, v19
	v_fmac_f32_e32 v20, 0x3377d1cf, v18
	s_delay_alu instid0(VALU_DEP_2) | instskip(SKIP_1) | instid1(VALU_DEP_2)
	v_cndmask_b32_e64 v19, v19, v22, s6
	v_cmp_gt_i32_e64 s6, 0, v15
	v_dual_add_f32 v20, v21, v20 :: v_dual_sub_f32 v21, 0x40490fdb, v19
	s_delay_alu instid0(VALU_DEP_2) | instskip(NEXT) | instid1(VALU_DEP_2)
	v_cndmask_b32_e64 v22, 0, 0x40490fdb, s6
	v_cndmask_b32_e32 v18, v18, v20, vcc_lo
	v_cmp_gt_f32_e64 s6, 0, v15
	v_cmp_eq_f32_e32 vcc_lo, 0, v16
	s_delay_alu instid0(VALU_DEP_3) | instskip(NEXT) | instid1(VALU_DEP_3)
	v_sub_f32_e32 v18, v18, v23
	v_cndmask_b32_e64 v15, v19, v21, s6
	v_cndmask_b32_e64 v19, 0x3f490fdb, v17, s6
	s_delay_alu instid0(VALU_DEP_3) | instskip(NEXT) | instid1(VALU_DEP_3)
	v_add_f32_e32 v18, 1.0, v18
	v_cndmask_b32_e32 v15, v15, v22, vcc_lo
	s_and_b32 vcc_lo, s9, s7
	s_delay_alu instid0(VALU_DEP_1)
	v_cndmask_b32_e32 v19, v15, v19, vcc_lo
.LBB187_39:                             ;   in Loop: Header=BB187_4 Depth=1
	s_or_b32 exec_lo, exec_lo, s8
.LBB187_40:                             ;   in Loop: Header=BB187_4 Depth=1
	s_and_not1_saveexec_b32 s6, s27
	s_cbranch_execz .LBB187_46
; %bb.41:                               ;   in Loop: Header=BB187_4 Depth=1
	v_cmp_ngt_f32_e64 s7, 0x20000000, |v15|
	v_cmp_ngt_f32_e64 s8, 0x20000000, |v16|
                                        ; implicit-def: $vgpr18
	s_delay_alu instid0(VALU_DEP_1) | instskip(NEXT) | instid1(SALU_CYCLE_1)
	s_or_b32 s7, s8, s7
	s_and_saveexec_b32 s8, s7
	s_delay_alu instid0(SALU_CYCLE_1)
	s_xor_b32 s7, exec_lo, s8
; %bb.42:                               ;   in Loop: Header=BB187_4 Depth=1
	v_mul_f32_e32 v18, v15, v15
	s_delay_alu instid0(VALU_DEP_1)
	v_fmac_f32_e32 v18, v16, v16
; %bb.43:                               ;   in Loop: Header=BB187_4 Depth=1
	s_and_not1_saveexec_b32 s7, s7
; %bb.44:                               ;   in Loop: Header=BB187_4 Depth=1
	v_dual_mul_f32 v15, 4.0, v15 :: v_dual_mul_f32 v18, 4.0, v16
	s_delay_alu instid0(VALU_DEP_1) | instskip(NEXT) | instid1(VALU_DEP_1)
	v_mul_f32_e32 v15, v15, v15
	v_fmac_f32_e32 v15, v18, v18
	s_delay_alu instid0(VALU_DEP_1)
	v_mul_f32_e32 v18, 0x3d800000, v15
; %bb.45:                               ;   in Loop: Header=BB187_4 Depth=1
	s_or_b32 exec_lo, exec_lo, s7
	s_delay_alu instid0(VALU_DEP_1) | instskip(SKIP_1) | instid1(VALU_DEP_1)
	v_cmp_gt_f32_e32 vcc_lo, 0x800000, v18
	v_cndmask_b32_e64 v15, 1.0, 0x4f800000, vcc_lo
	v_mul_f32_e32 v15, v18, v15
	s_delay_alu instid0(VALU_DEP_1) | instskip(SKIP_2) | instid1(VALU_DEP_1)
	v_log_f32_e32 v15, v15
	s_waitcnt_depctr 0xfff
	v_mul_f32_e32 v18, 0x3f317217, v15
	v_fma_f32 v19, 0x3f317217, v15, -v18
	s_delay_alu instid0(VALU_DEP_1) | instskip(NEXT) | instid1(VALU_DEP_1)
	v_fmac_f32_e32 v19, 0x3377d1cf, v15
	v_add_f32_e32 v18, v18, v19
	v_cndmask_b32_e64 v19, 0, 0x41b17218, vcc_lo
	v_cmp_gt_f32_e64 vcc_lo, 0x7f800000, |v15|
	s_delay_alu instid0(VALU_DEP_3) | instskip(NEXT) | instid1(VALU_DEP_1)
	v_cndmask_b32_e32 v15, v15, v18, vcc_lo
	v_dual_sub_f32 v18, v15, v19 :: v_dual_mov_b32 v19, 0x7fc00000
.LBB187_46:                             ;   in Loop: Header=BB187_4 Depth=1
	s_or_b32 exec_lo, exec_lo, s6
                                        ; implicit-def: $vgpr15
                                        ; implicit-def: $vgpr20
	s_delay_alu instid0(SALU_CYCLE_1)
	s_mov_b32 s6, exec_lo
	v_cmpx_o_f32_e32 v14, v13
	s_xor_b32 s27, exec_lo, s6
	s_cbranch_execz .LBB187_74
; %bb.47:                               ;   in Loop: Header=BB187_4 Depth=1
	v_cmp_lt_f32_e64 s6, |v13|, |v14|
                                        ; implicit-def: $vgpr15
                                        ; implicit-def: $vgpr20
	s_mov_b32 s7, exec_lo
	s_delay_alu instid0(VALU_DEP_1) | instskip(NEXT) | instid1(VALU_DEP_1)
	v_cndmask_b32_e64 v21, |v14|, |v13|, s6
	v_cmpx_nlt_f32_e32 0x77f684df, v21
	s_xor_b32 s28, exec_lo, s7
	s_cbranch_execz .LBB187_71
; %bb.48:                               ;   in Loop: Header=BB187_4 Depth=1
	v_and_b32_e32 v15, 0x7fffffff, v14
                                        ; implicit-def: $vgpr20
	s_mov_b32 s7, exec_lo
	s_delay_alu instid0(VALU_DEP_1) | instskip(NEXT) | instid1(VALU_DEP_1)
	v_cndmask_b32_e64 v22, |v13|, v15, s6
                                        ; implicit-def: $vgpr15
	v_cmpx_neq_f32_e32 1.0, v22
	s_xor_b32 s29, exec_lo, s7
	s_cbranch_execz .LBB187_64
; %bb.49:                               ;   in Loop: Header=BB187_4 Depth=1
	v_dual_max_f32 v15, v21, v21 :: v_dual_max_f32 v20, v22, v22
	s_delay_alu instid0(VALU_DEP_1) | instskip(SKIP_1) | instid1(VALU_DEP_2)
	v_min_f32_e32 v23, v20, v15
	v_max_f32_e32 v15, v20, v15
                                        ; implicit-def: $vgpr20
	v_cmp_ngt_f32_e32 vcc_lo, 0x358637bd, v23
	s_delay_alu instid0(VALU_DEP_2) | instskip(NEXT) | instid1(VALU_DEP_1)
	v_cmp_nlt_f32_e64 s7, 0x49742400, v15
                                        ; implicit-def: $vgpr15
	s_and_b32 s7, s7, vcc_lo
	s_delay_alu instid0(SALU_CYCLE_1) | instskip(NEXT) | instid1(SALU_CYCLE_1)
	s_and_saveexec_b32 s8, s7
	s_xor_b32 s30, exec_lo, s8
	s_cbranch_execz .LBB187_61
; %bb.50:                               ;   in Loop: Header=BB187_4 Depth=1
                                        ; implicit-def: $vgpr15
                                        ; implicit-def: $vgpr20
	s_mov_b32 s7, exec_lo
	v_cmpx_le_f32_e32 1.0, v22
	s_xor_b32 s8, exec_lo, s7
	s_cbranch_execz .LBB187_52
; %bb.51:                               ;   in Loop: Header=BB187_4 Depth=1
	v_add_f32_e32 v15, -1.0, v22
	v_add_f32_e32 v20, 1.0, v22
	v_cmp_class_f32_e64 s9, v13, 0x204
	s_delay_alu instid0(VALU_DEP_2) | instskip(NEXT) | instid1(VALU_DEP_1)
	v_mul_f32_e32 v15, v15, v20
	v_fmac_f32_e32 v15, v21, v21
	s_delay_alu instid0(VALU_DEP_1) | instskip(SKIP_1) | instid1(VALU_DEP_2)
	v_add_f32_e32 v22, 1.0, v15
	v_cmp_neq_f32_e64 s7, -1.0, v15
	v_cvt_f64_f32_e32 v[20:21], v22
	s_delay_alu instid0(VALU_DEP_1) | instskip(SKIP_1) | instid1(VALU_DEP_1)
	v_frexp_exp_i32_f64_e32 v20, v[20:21]
	v_frexp_mant_f32_e32 v21, v22
	v_cmp_gt_f32_e32 vcc_lo, 0x3f2aaaab, v21
	v_add_f32_e32 v21, -1.0, v22
	s_delay_alu instid0(VALU_DEP_1) | instskip(NEXT) | instid1(VALU_DEP_1)
	v_dual_sub_f32 v24, v21, v22 :: v_dual_sub_f32 v21, v15, v21
	v_add_f32_e32 v24, 1.0, v24
	s_delay_alu instid0(VALU_DEP_1) | instskip(SKIP_2) | instid1(VALU_DEP_2)
	v_add_f32_e32 v21, v21, v24
	v_subrev_co_ci_u32_e32 v20, vcc_lo, 0, v20, vcc_lo
	v_cmp_eq_f32_e32 vcc_lo, 0x7f800000, v15
	v_sub_nc_u32_e32 v23, 0, v20
	v_cvt_f32_i32_e32 v20, v20
	s_delay_alu instid0(VALU_DEP_2) | instskip(SKIP_1) | instid1(VALU_DEP_2)
	v_ldexp_f32 v22, v22, v23
	v_ldexp_f32 v21, v21, v23
	v_add_f32_e32 v25, 1.0, v22
	s_delay_alu instid0(VALU_DEP_1) | instskip(NEXT) | instid1(VALU_DEP_1)
	v_add_f32_e32 v24, -1.0, v25
	v_dual_sub_f32 v24, v22, v24 :: v_dual_add_f32 v23, -1.0, v22
	s_delay_alu instid0(VALU_DEP_1) | instskip(NEXT) | instid1(VALU_DEP_2)
	v_add_f32_e32 v24, v21, v24
	v_add_f32_e32 v26, 1.0, v23
	s_delay_alu instid0(VALU_DEP_1) | instskip(NEXT) | instid1(VALU_DEP_1)
	v_sub_f32_e32 v22, v22, v26
	v_add_f32_e32 v21, v21, v22
	s_delay_alu instid0(VALU_DEP_1) | instskip(NEXT) | instid1(VALU_DEP_1)
	v_dual_add_f32 v27, v23, v21 :: v_dual_add_f32 v26, v25, v24
	v_sub_f32_e32 v23, v27, v23
	s_delay_alu instid0(VALU_DEP_2) | instskip(SKIP_1) | instid1(VALU_DEP_1)
	v_rcp_f32_e32 v22, v26
	v_sub_f32_e32 v25, v26, v25
	v_dual_sub_f32 v24, v24, v25 :: v_dual_sub_f32 v21, v21, v23
	s_waitcnt_depctr 0xfff
	v_mul_f32_e32 v28, v27, v22
	s_delay_alu instid0(VALU_DEP_1) | instskip(NEXT) | instid1(VALU_DEP_1)
	v_mul_f32_e32 v29, v26, v28
	v_fma_f32 v25, v28, v26, -v29
	s_delay_alu instid0(VALU_DEP_1) | instskip(NEXT) | instid1(VALU_DEP_1)
	v_fmac_f32_e32 v25, v28, v24
	v_add_f32_e32 v30, v29, v25
	s_delay_alu instid0(VALU_DEP_1) | instskip(SKIP_1) | instid1(VALU_DEP_2)
	v_sub_f32_e32 v31, v27, v30
	v_sub_f32_e32 v23, v30, v29
	;; [unrolled: 1-line block ×3, first 2 shown]
	s_delay_alu instid0(VALU_DEP_2) | instskip(NEXT) | instid1(VALU_DEP_2)
	v_sub_f32_e32 v23, v23, v25
	v_sub_f32_e32 v27, v27, v30
	s_delay_alu instid0(VALU_DEP_1) | instskip(NEXT) | instid1(VALU_DEP_1)
	v_add_f32_e32 v21, v21, v27
	v_add_f32_e32 v21, v23, v21
	s_delay_alu instid0(VALU_DEP_1) | instskip(NEXT) | instid1(VALU_DEP_1)
	v_add_f32_e32 v23, v31, v21
	v_mul_f32_e32 v25, v22, v23
	s_delay_alu instid0(VALU_DEP_1) | instskip(NEXT) | instid1(VALU_DEP_1)
	v_dual_sub_f32 v30, v31, v23 :: v_dual_mul_f32 v27, v26, v25
	v_add_f32_e32 v21, v21, v30
	s_delay_alu instid0(VALU_DEP_2) | instskip(NEXT) | instid1(VALU_DEP_1)
	v_fma_f32 v26, v25, v26, -v27
	v_fmac_f32_e32 v26, v25, v24
	s_delay_alu instid0(VALU_DEP_1) | instskip(NEXT) | instid1(VALU_DEP_1)
	v_add_f32_e32 v24, v27, v26
	v_sub_f32_e32 v29, v23, v24
	v_sub_f32_e32 v27, v24, v27
	s_delay_alu instid0(VALU_DEP_2) | instskip(NEXT) | instid1(VALU_DEP_1)
	v_sub_f32_e32 v23, v23, v29
	v_sub_f32_e32 v23, v23, v24
	s_delay_alu instid0(VALU_DEP_3) | instskip(SKIP_1) | instid1(VALU_DEP_3)
	v_sub_f32_e32 v24, v27, v26
	v_max_f32_e64 v26, |v14|, |v14|
	v_add_f32_e32 v21, v21, v23
	v_add_f32_e32 v23, v28, v25
	s_delay_alu instid0(VALU_DEP_1) | instskip(NEXT) | instid1(VALU_DEP_1)
	v_dual_add_f32 v21, v24, v21 :: v_dual_sub_f32 v24, v23, v28
	v_add_f32_e32 v21, v29, v21
	s_delay_alu instid0(VALU_DEP_2) | instskip(SKIP_1) | instid1(VALU_DEP_3)
	v_sub_f32_e32 v24, v25, v24
	v_mul_f32_e32 v29, 0x3f317218, v20
	v_mul_f32_e32 v21, v22, v21
	s_delay_alu instid0(VALU_DEP_2) | instskip(NEXT) | instid1(VALU_DEP_1)
	v_fma_f32 v30, 0x3f317218, v20, -v29
	v_dual_add_f32 v21, v24, v21 :: v_dual_fmac_f32 v30, 0xb102e308, v20
	s_delay_alu instid0(VALU_DEP_1) | instskip(NEXT) | instid1(VALU_DEP_1)
	v_add_f32_e32 v22, v23, v21
	v_mul_f32_e32 v24, v22, v22
	v_ldexp_f32 v28, v22, 1
	s_delay_alu instid0(VALU_DEP_2) | instskip(SKIP_2) | instid1(VALU_DEP_3)
	v_fmaak_f32 v25, s21, v24, 0x3ecc95a3
	v_mul_f32_e32 v27, v22, v24
	v_sub_f32_e32 v22, v22, v23
	v_fmaak_f32 v24, v24, v25, 0x3f2aaada
	v_max_f32_e64 v25, |v13|, |v13|
	s_delay_alu instid0(VALU_DEP_2) | instskip(NEXT) | instid1(VALU_DEP_2)
	v_dual_sub_f32 v21, v21, v22 :: v_dual_mul_f32 v24, v27, v24
	v_max_f32_e32 v27, v25, v26
	v_min_f32_e32 v25, v25, v26
	s_delay_alu instid0(VALU_DEP_3) | instskip(NEXT) | instid1(VALU_DEP_4)
	v_ldexp_f32 v21, v21, 1
	v_add_f32_e32 v23, v28, v24
	s_delay_alu instid0(VALU_DEP_4) | instskip(SKIP_1) | instid1(VALU_DEP_3)
	v_frexp_mant_f32_e32 v26, v27
	v_frexp_exp_i32_f32_e32 v27, v27
	v_sub_f32_e32 v22, v23, v28
	s_delay_alu instid0(VALU_DEP_3) | instskip(SKIP_1) | instid1(VALU_DEP_2)
	v_rcp_f32_e32 v26, v26
	v_frexp_exp_i32_f32_e32 v28, v25
	v_sub_f32_e32 v22, v24, v22
	v_frexp_mant_f32_e32 v24, v25
	s_delay_alu instid0(VALU_DEP_3) | instskip(NEXT) | instid1(VALU_DEP_3)
	v_sub_nc_u32_e32 v25, v28, v27
	v_add_f32_e32 v20, v21, v22
	v_add_f32_e32 v22, v29, v30
	s_delay_alu instid0(VALU_DEP_1) | instskip(NEXT) | instid1(VALU_DEP_1)
	v_sub_f32_e32 v29, v22, v29
	v_sub_f32_e32 v29, v30, v29
	s_delay_alu instid0(TRANS32_DEP_1) | instid1(VALU_DEP_4)
	v_dual_mul_f32 v21, v24, v26 :: v_dual_add_f32 v24, v23, v20
	s_delay_alu instid0(VALU_DEP_1) | instskip(NEXT) | instid1(VALU_DEP_2)
	v_ldexp_f32 v21, v21, v25
	v_add_f32_e32 v25, v22, v24
	s_delay_alu instid0(VALU_DEP_2) | instskip(NEXT) | instid1(VALU_DEP_1)
	v_dual_sub_f32 v23, v24, v23 :: v_dual_mul_f32 v26, v21, v21
	v_dual_sub_f32 v27, v25, v22 :: v_dual_sub_f32 v20, v20, v23
	s_delay_alu instid0(VALU_DEP_1) | instskip(SKIP_1) | instid1(VALU_DEP_3)
	v_dual_fmaak_f32 v28, s26, v26, 0xbc7a590c :: v_dual_sub_f32 v31, v25, v27
	v_sub_f32_e32 v23, v24, v27
	v_add_f32_e32 v27, v29, v20
	s_delay_alu instid0(VALU_DEP_3) | instskip(NEXT) | instid1(VALU_DEP_4)
	v_fmaak_f32 v28, v26, v28, 0x3d29fb3f
	v_sub_f32_e32 v22, v22, v31
	s_delay_alu instid0(VALU_DEP_2) | instskip(NEXT) | instid1(VALU_DEP_1)
	v_fmaak_f32 v24, v26, v28, 0xbd97d4d7
	v_dual_add_f32 v22, v23, v22 :: v_dual_fmaak_f32 v23, v26, v24, 0x3dd931b2
	v_sub_f32_e32 v24, v27, v29
	s_delay_alu instid0(VALU_DEP_2) | instskip(NEXT) | instid1(VALU_DEP_1)
	v_dual_add_f32 v22, v27, v22 :: v_dual_fmaak_f32 v23, v26, v23, 0xbe1160e6
	v_dual_sub_f32 v27, v27, v24 :: v_dual_add_f32 v28, v25, v22
	s_delay_alu instid0(VALU_DEP_2) | instskip(NEXT) | instid1(VALU_DEP_2)
	v_dual_sub_f32 v20, v20, v24 :: v_dual_fmaak_f32 v23, v26, v23, 0x3e4cb8bf
	v_dual_sub_f32 v24, v29, v27 :: v_dual_sub_f32 v25, v28, v25
	s_delay_alu instid0(VALU_DEP_1) | instskip(NEXT) | instid1(VALU_DEP_2)
	v_dual_fmaak_f32 v23, v26, v23, 0xbeaaaa62 :: v_dual_add_f32 v20, v20, v24
	v_sub_f32_e32 v22, v22, v25
	s_delay_alu instid0(VALU_DEP_1) | instskip(NEXT) | instid1(VALU_DEP_1)
	v_dual_mul_f32 v23, v26, v23 :: v_dual_add_f32 v20, v20, v22
	v_dual_fmac_f32 v21, v21, v23 :: v_dual_add_f32 v20, v28, v20
	s_delay_alu instid0(VALU_DEP_1) | instskip(NEXT) | instid1(VALU_DEP_2)
	v_sub_f32_e32 v22, 0x3fc90fdb, v21
	v_cndmask_b32_e32 v20, v20, v15, vcc_lo
	v_cmp_gt_i32_e32 vcc_lo, 0, v13
	s_delay_alu instid0(VALU_DEP_3) | instskip(SKIP_2) | instid1(VALU_DEP_3)
	v_cndmask_b32_e64 v21, v21, v22, s6
	v_cndmask_b32_e64 v22, 0, 0x40490fdb, vcc_lo
	v_cmp_ngt_f32_e32 vcc_lo, -1.0, v15
	v_sub_f32_e32 v23, 0x40490fdb, v21
	v_cndmask_b32_e32 v20, 0x7fc00000, v20, vcc_lo
	v_cmp_gt_f32_e32 vcc_lo, 0, v13
	s_delay_alu instid0(VALU_DEP_2) | instskip(NEXT) | instid1(VALU_DEP_4)
	v_cndmask_b32_e64 v13, 0xff800000, v20, s7
	v_cndmask_b32_e32 v20, v21, v23, vcc_lo
	v_cndmask_b32_e32 v21, 0x3f490fdb, v17, vcc_lo
	v_cmp_gt_f32_e64 vcc_lo, 0x33800000, |v15|
	v_cmp_class_f32_e64 s7, v14, 0x204
	v_cndmask_b32_e32 v13, v13, v15, vcc_lo
	v_cmp_eq_f32_e32 vcc_lo, 0, v14
	s_delay_alu instid0(VALU_DEP_2) | instskip(NEXT) | instid1(VALU_DEP_4)
	v_dual_mul_f32 v15, 0.5, v13 :: v_dual_cndmask_b32 v20, v20, v22
	s_and_b32 vcc_lo, s7, s9
                                        ; implicit-def: $vgpr22
	s_delay_alu instid0(VALU_DEP_1)
	v_cndmask_b32_e32 v20, v20, v21, vcc_lo
                                        ; implicit-def: $vgpr21
.LBB187_52:                             ;   in Loop: Header=BB187_4 Depth=1
	s_and_not1_saveexec_b32 s31, s8
	s_cbranch_execz .LBB187_60
; %bb.53:                               ;   in Loop: Header=BB187_4 Depth=1
	v_mul_f32_e32 v23, v21, v21
                                        ; implicit-def: $vgpr15
                                        ; implicit-def: $vgpr20
	s_mov_b32 s7, exec_lo
	s_delay_alu instid0(VALU_DEP_1) | instskip(NEXT) | instid1(VALU_DEP_1)
	v_fmac_f32_e32 v23, v22, v22
	v_cmpx_ge_f32_e32 0x3f333333, v23
	s_xor_b32 s8, exec_lo, s7
	s_cbranch_execz .LBB187_55
; %bb.54:                               ;   in Loop: Header=BB187_4 Depth=1
	v_max_f32_e64 v15, |v14|, |v14|
	v_max_f32_e64 v20, |v13|, |v13|
	v_cmp_gt_f32_e32 vcc_lo, 0x800000, v23
	v_cmp_gt_i32_e64 s7, 0, v13
	v_cmp_class_f32_e64 s9, v13, 0x204
	v_cmp_class_f32_e64 s10, v14, 0x204
	v_max_f32_e32 v21, v20, v15
	v_min_f32_e32 v15, v20, v15
	v_cndmask_b32_e64 v24, 0, 0x41b17218, vcc_lo
	s_delay_alu instid0(VALU_DEP_3) | instskip(SKIP_1) | instid1(VALU_DEP_2)
	v_frexp_mant_f32_e32 v22, v21
	v_frexp_exp_i32_f32_e32 v21, v21
	v_rcp_f32_e32 v20, v22
	v_frexp_exp_i32_f32_e32 v22, v15
	v_frexp_mant_f32_e32 v15, v15
	s_delay_alu instid0(VALU_DEP_2) | instskip(SKIP_4) | instid1(VALU_DEP_2)
	v_sub_nc_u32_e32 v21, v22, v21
	v_cndmask_b32_e64 v22, 1.0, 0x4f800000, vcc_lo
	s_waitcnt_depctr 0xfff
	v_mul_f32_e32 v15, v15, v20
	v_mul_f32_e32 v22, v23, v22
	v_ldexp_f32 v15, v15, v21
	s_delay_alu instid0(VALU_DEP_2) | instskip(NEXT) | instid1(VALU_DEP_1)
	v_log_f32_e32 v22, v22
	v_mul_f32_e32 v20, v15, v15
	s_delay_alu instid0(VALU_DEP_1) | instskip(SKIP_3) | instid1(VALU_DEP_1)
	v_fmaak_f32 v21, s26, v20, 0xbc7a590c
	s_waitcnt_depctr 0xfff
	v_cmp_gt_f32_e64 vcc_lo, 0x7f800000, |v22|
	v_fmaak_f32 v21, v20, v21, 0x3d29fb3f
	v_fmaak_f32 v21, v20, v21, 0xbd97d4d7
	s_delay_alu instid0(VALU_DEP_1) | instskip(NEXT) | instid1(VALU_DEP_1)
	v_fmaak_f32 v21, v20, v21, 0x3dd931b2
	v_fmaak_f32 v21, v20, v21, 0xbe1160e6
	s_delay_alu instid0(VALU_DEP_1) | instskip(NEXT) | instid1(VALU_DEP_1)
	;; [unrolled: 3-line block ×3, first 2 shown]
	v_dual_mul_f32 v20, v20, v21 :: v_dual_mul_f32 v21, 0x3f317217, v22
	v_fmac_f32_e32 v15, v15, v20
	s_delay_alu instid0(VALU_DEP_2) | instskip(NEXT) | instid1(VALU_DEP_1)
	v_fma_f32 v20, 0x3f317217, v22, -v21
	v_fmac_f32_e32 v20, 0x3377d1cf, v22
	s_delay_alu instid0(VALU_DEP_1) | instskip(NEXT) | instid1(VALU_DEP_1)
	v_dual_sub_f32 v23, 0x3fc90fdb, v15 :: v_dual_add_f32 v20, v21, v20
	v_cndmask_b32_e64 v15, v15, v23, s6
	v_cndmask_b32_e64 v21, 0, 0x40490fdb, s7
	v_cmp_eq_f32_e64 s7, 0, v14
	s_delay_alu instid0(VALU_DEP_3) | instskip(SKIP_1) | instid1(VALU_DEP_2)
	v_dual_cndmask_b32 v20, v22, v20 :: v_dual_sub_f32 v23, 0x40490fdb, v15
	v_cmp_gt_f32_e32 vcc_lo, 0, v13
                                        ; implicit-def: $vgpr22
	v_sub_f32_e32 v13, v20, v24
	s_delay_alu instid0(VALU_DEP_3) | instskip(NEXT) | instid1(VALU_DEP_1)
	v_cndmask_b32_e32 v15, v15, v23, vcc_lo
	v_cndmask_b32_e64 v20, v15, v21, s7
	v_cndmask_b32_e32 v21, 0x3f490fdb, v17, vcc_lo
	s_and_b32 vcc_lo, s10, s9
	v_mul_f32_e32 v15, 0.5, v13
	s_delay_alu instid0(VALU_DEP_2)
	v_cndmask_b32_e32 v20, v20, v21, vcc_lo
                                        ; implicit-def: $vgpr21
.LBB187_55:                             ;   in Loop: Header=BB187_4 Depth=1
	s_and_not1_saveexec_b32 s33, s8
	s_cbranch_execz .LBB187_59
; %bb.56:                               ;   in Loop: Header=BB187_4 Depth=1
	v_and_b32_e32 v23, 0x7fff0000, v21
	v_and_b32_e32 v20, 0x7fff0000, v22
	s_mov_b32 s34, 0
	s_delay_alu instid0(VALU_DEP_2) | instskip(SKIP_1) | instid1(VALU_DEP_3)
	v_sub_f32_e32 v24, v21, v23
	v_mul_f32_e32 v21, v23, v23
	v_mul_f32_e32 v15, v20, v20
	v_sub_f32_e32 v22, v22, v20
	s_delay_alu instid0(VALU_DEP_1) | instskip(NEXT) | instid1(VALU_DEP_1)
	v_dual_add_f32 v30, v23, v23 :: v_dual_and_b32 v25, 0xffff0000, v22
	v_dual_sub_f32 v23, v22, v25 :: v_dual_and_b32 v26, 0xffff0000, v24
	s_delay_alu instid0(VALU_DEP_1) | instskip(SKIP_2) | instid1(VALU_DEP_3)
	v_dual_add_f32 v27, v20, v20 :: v_dual_mul_f32 v20, v30, v26
	v_dual_sub_f32 v31, v24, v26 :: v_dual_mul_f32 v22, v25, v25
	v_add_f32_e32 v24, v25, v25
	v_dual_mul_f32 v29, v27, v25 :: v_dual_add_f32 v32, v26, v26
	v_dual_mul_f32 v28, v26, v26 :: v_dual_mul_f32 v25, v27, v23
	s_delay_alu instid0(VALU_DEP_4) | instskip(NEXT) | instid1(VALU_DEP_4)
	v_mul_f32_e32 v27, v30, v31
	v_mul_f32_e32 v26, v24, v23
	;; [unrolled: 1-line block ×5, first 2 shown]
.LBB187_57:                             ;   Parent Loop BB187_4 Depth=1
                                        ; =>  This Inner Loop Header: Depth=2
	v_cmp_nlt_f32_e32 vcc_lo, v15, v21
	s_delay_alu instid0(VALU_DEP_2) | instskip(SKIP_1) | instid1(VALU_DEP_2)
	v_dual_mov_b32 v32, v30 :: v_dual_cndmask_b32 v31, v15, v21
	v_cndmask_b32_e32 v15, v21, v15, vcc_lo
	v_cmp_nlt_f32_e64 s7, v31, v29
	s_delay_alu instid0(VALU_DEP_1) | instskip(SKIP_2) | instid1(VALU_DEP_2)
	v_cndmask_b32_e64 v30, v31, v29, s7
	v_cndmask_b32_e64 v21, v29, v31, s7
	s_and_b32 s35, vcc_lo, s7
	v_cmp_nlt_f32_e64 s8, v30, v20
	s_delay_alu instid0(VALU_DEP_1) | instskip(SKIP_1) | instid1(VALU_DEP_2)
	v_cndmask_b32_e64 v33, v30, v20, s8
	v_cndmask_b32_e64 v29, v20, v30, s8
	v_cmp_nlt_f32_e64 s9, v33, v22
	s_delay_alu instid0(VALU_DEP_1) | instskip(SKIP_2) | instid1(VALU_DEP_2)
	v_cndmask_b32_e64 v31, v33, v22, s9
	v_cndmask_b32_e64 v20, v22, v33, s9
	s_and_b32 s36, s8, s9
	v_cmp_nlt_f32_e64 s10, v31, v28
	s_delay_alu instid0(VALU_DEP_1) | instskip(SKIP_1) | instid1(VALU_DEP_2)
	v_cndmask_b32_e64 v34, v31, v28, s10
	v_cndmask_b32_e64 v22, v28, v31, s10
	v_cmp_nlt_f32_e64 s11, v34, v25
	s_delay_alu instid0(VALU_DEP_1) | instskip(SKIP_2) | instid1(VALU_DEP_2)
	v_cndmask_b32_e64 v35, v34, v25, s11
	s_and_b32 s9, s10, s11
	v_cndmask_b32_e64 v28, v25, v34, s11
	v_cmp_nlt_f32_e64 s12, v35, v27
	s_delay_alu instid0(VALU_DEP_1) | instskip(SKIP_2) | instid1(VALU_DEP_2)
	v_cndmask_b32_e64 v36, v35, v27, s12
	s_and_b32 s9, s9, s12
	v_cndmask_b32_e64 v25, v27, v35, s12
	v_cmp_nlt_f32_e32 vcc_lo, v36, v26
	v_cndmask_b32_e32 v37, v36, v26, vcc_lo
	s_and_b32 s10, s9, vcc_lo
	v_cndmask_b32_e32 v27, v26, v36, vcc_lo
	s_delay_alu instid0(VALU_DEP_2) | instskip(NEXT) | instid1(VALU_DEP_1)
	v_cmp_nlt_f32_e64 s7, v37, v24
	v_cndmask_b32_e64 v33, v37, v24, s7
	s_and_b32 s10, s10, s7
	v_cndmask_b32_e64 v26, v24, v37, s7
	s_delay_alu instid0(VALU_DEP_2) | instskip(NEXT) | instid1(VALU_DEP_1)
	v_cmp_nlt_f32_e64 s8, v33, v23
	v_cndmask_b32_e64 v31, v33, v23, s8
	s_and_b32 s10, s10, s8
	v_cndmask_b32_e64 v24, v23, v33, s8
	s_delay_alu instid0(VALU_DEP_2) | instskip(NEXT) | instid1(VALU_DEP_1)
	v_cmp_nlt_f32_e64 s9, v31, v32
	s_and_b32 s10, s10, s9
	v_cndmask_b32_e64 v30, v31, v32, s9
	s_and_b32 s7, s10, s36
	v_cndmask_b32_e64 v23, v32, v31, s9
	s_and_b32 s7, s7, s35
	s_delay_alu instid0(SALU_CYCLE_1) | instskip(NEXT) | instid1(SALU_CYCLE_1)
	s_and_b32 s7, exec_lo, s7
	s_or_b32 s34, s7, s34
	s_delay_alu instid0(SALU_CYCLE_1)
	s_and_not1_b32 exec_lo, exec_lo, s34
	s_cbranch_execnz .LBB187_57
; %bb.58:                               ;   in Loop: Header=BB187_4 Depth=1
	s_or_b32 exec_lo, exec_lo, s34
	v_add_f32_e32 v15, -1.0, v15
	v_cmp_class_f32_e64 s8, v13, 0x204
	s_delay_alu instid0(VALU_DEP_2) | instskip(NEXT) | instid1(VALU_DEP_1)
	v_add_f32_e32 v15, v15, v21
	v_add_f32_e32 v15, v15, v29
	s_delay_alu instid0(VALU_DEP_1) | instskip(NEXT) | instid1(VALU_DEP_1)
	v_add_f32_e32 v15, v15, v20
	v_add_f32_e32 v15, v15, v22
	s_delay_alu instid0(VALU_DEP_1) | instskip(NEXT) | instid1(VALU_DEP_1)
	;; [unrolled: 3-line block ×5, first 2 shown]
	v_add_f32_e32 v15, v30, v15
	v_add_f32_e32 v22, 1.0, v15
	s_delay_alu instid0(VALU_DEP_1) | instskip(NEXT) | instid1(VALU_DEP_1)
	v_cvt_f64_f32_e32 v[20:21], v22
	v_frexp_exp_i32_f64_e32 v20, v[20:21]
	v_frexp_mant_f32_e32 v21, v22
	s_delay_alu instid0(VALU_DEP_1) | instskip(SKIP_1) | instid1(VALU_DEP_1)
	v_cmp_gt_f32_e32 vcc_lo, 0x3f2aaaab, v21
	v_add_f32_e32 v21, -1.0, v22
	v_dual_sub_f32 v24, v21, v22 :: v_dual_sub_f32 v21, v15, v21
	s_delay_alu instid0(VALU_DEP_1) | instskip(NEXT) | instid1(VALU_DEP_1)
	v_add_f32_e32 v24, 1.0, v24
	v_add_f32_e32 v21, v21, v24
	v_subrev_co_ci_u32_e32 v20, vcc_lo, 0, v20, vcc_lo
	s_delay_alu instid0(VALU_DEP_1) | instskip(SKIP_1) | instid1(VALU_DEP_2)
	v_sub_nc_u32_e32 v23, 0, v20
	v_cvt_f32_i32_e32 v20, v20
	v_ldexp_f32 v22, v22, v23
	v_ldexp_f32 v21, v21, v23
	s_delay_alu instid0(VALU_DEP_2) | instskip(NEXT) | instid1(VALU_DEP_1)
	v_add_f32_e32 v25, 1.0, v22
	v_dual_add_f32 v23, -1.0, v22 :: v_dual_add_f32 v24, -1.0, v25
	s_delay_alu instid0(VALU_DEP_1) | instskip(NEXT) | instid1(VALU_DEP_2)
	v_add_f32_e32 v26, 1.0, v23
	v_sub_f32_e32 v24, v22, v24
	s_delay_alu instid0(VALU_DEP_2) | instskip(NEXT) | instid1(VALU_DEP_2)
	v_sub_f32_e32 v22, v22, v26
	v_add_f32_e32 v24, v21, v24
	s_delay_alu instid0(VALU_DEP_2) | instskip(NEXT) | instid1(VALU_DEP_1)
	v_add_f32_e32 v21, v21, v22
	v_dual_add_f32 v26, v25, v24 :: v_dual_add_f32 v27, v23, v21
	s_delay_alu instid0(VALU_DEP_1) | instskip(SKIP_1) | instid1(VALU_DEP_1)
	v_rcp_f32_e32 v22, v26
	v_sub_f32_e32 v25, v26, v25
	v_dual_sub_f32 v23, v27, v23 :: v_dual_sub_f32 v24, v24, v25
	s_waitcnt_depctr 0xfff
	v_dual_sub_f32 v21, v21, v23 :: v_dual_mul_f32 v28, v27, v22
	v_cmp_eq_f32_e32 vcc_lo, 0x7f800000, v15
	v_cmp_neq_f32_e64 s7, -1.0, v15
	s_delay_alu instid0(VALU_DEP_3) | instskip(NEXT) | instid1(VALU_DEP_1)
	v_mul_f32_e32 v29, v26, v28
	v_fma_f32 v25, v28, v26, -v29
	s_delay_alu instid0(VALU_DEP_1) | instskip(NEXT) | instid1(VALU_DEP_1)
	v_fmac_f32_e32 v25, v28, v24
	v_add_f32_e32 v30, v29, v25
	s_delay_alu instid0(VALU_DEP_1) | instskip(SKIP_1) | instid1(VALU_DEP_2)
	v_sub_f32_e32 v31, v27, v30
	v_sub_f32_e32 v23, v30, v29
	;; [unrolled: 1-line block ×3, first 2 shown]
	s_delay_alu instid0(VALU_DEP_2) | instskip(NEXT) | instid1(VALU_DEP_2)
	v_sub_f32_e32 v23, v23, v25
	v_sub_f32_e32 v27, v27, v30
	s_delay_alu instid0(VALU_DEP_1) | instskip(NEXT) | instid1(VALU_DEP_1)
	v_add_f32_e32 v21, v21, v27
	v_add_f32_e32 v21, v23, v21
	s_delay_alu instid0(VALU_DEP_1) | instskip(NEXT) | instid1(VALU_DEP_1)
	v_add_f32_e32 v23, v31, v21
	v_mul_f32_e32 v25, v22, v23
	s_delay_alu instid0(VALU_DEP_1) | instskip(NEXT) | instid1(VALU_DEP_1)
	v_dual_sub_f32 v30, v31, v23 :: v_dual_mul_f32 v27, v26, v25
	v_add_f32_e32 v21, v21, v30
	s_delay_alu instid0(VALU_DEP_2) | instskip(NEXT) | instid1(VALU_DEP_1)
	v_fma_f32 v26, v25, v26, -v27
	v_fmac_f32_e32 v26, v25, v24
	s_delay_alu instid0(VALU_DEP_1) | instskip(NEXT) | instid1(VALU_DEP_1)
	v_add_f32_e32 v24, v27, v26
	v_sub_f32_e32 v29, v23, v24
	v_sub_f32_e32 v27, v24, v27
	s_delay_alu instid0(VALU_DEP_2) | instskip(NEXT) | instid1(VALU_DEP_1)
	v_sub_f32_e32 v23, v23, v29
	v_sub_f32_e32 v23, v23, v24
	s_delay_alu instid0(VALU_DEP_3) | instskip(SKIP_1) | instid1(VALU_DEP_3)
	v_sub_f32_e32 v24, v27, v26
	v_max_f32_e64 v26, |v14|, |v14|
	v_add_f32_e32 v21, v21, v23
	v_add_f32_e32 v23, v28, v25
	s_delay_alu instid0(VALU_DEP_1) | instskip(NEXT) | instid1(VALU_DEP_1)
	v_dual_add_f32 v21, v24, v21 :: v_dual_sub_f32 v24, v23, v28
	v_add_f32_e32 v21, v29, v21
	s_delay_alu instid0(VALU_DEP_2) | instskip(SKIP_1) | instid1(VALU_DEP_3)
	v_sub_f32_e32 v24, v25, v24
	v_mul_f32_e32 v29, 0x3f317218, v20
	v_mul_f32_e32 v21, v22, v21
	s_delay_alu instid0(VALU_DEP_2) | instskip(NEXT) | instid1(VALU_DEP_1)
	v_fma_f32 v30, 0x3f317218, v20, -v29
	v_dual_add_f32 v21, v24, v21 :: v_dual_fmac_f32 v30, 0xb102e308, v20
	s_delay_alu instid0(VALU_DEP_1) | instskip(NEXT) | instid1(VALU_DEP_1)
	v_add_f32_e32 v22, v23, v21
	v_mul_f32_e32 v24, v22, v22
	v_ldexp_f32 v28, v22, 1
	s_delay_alu instid0(VALU_DEP_2) | instskip(SKIP_2) | instid1(VALU_DEP_3)
	v_fmaak_f32 v25, s21, v24, 0x3ecc95a3
	v_mul_f32_e32 v27, v22, v24
	v_sub_f32_e32 v22, v22, v23
	v_fmaak_f32 v24, v24, v25, 0x3f2aaada
	v_max_f32_e64 v25, |v13|, |v13|
	s_delay_alu instid0(VALU_DEP_2) | instskip(NEXT) | instid1(VALU_DEP_2)
	v_dual_sub_f32 v21, v21, v22 :: v_dual_mul_f32 v24, v27, v24
	v_max_f32_e32 v27, v25, v26
	v_min_f32_e32 v25, v25, v26
	s_delay_alu instid0(VALU_DEP_3) | instskip(NEXT) | instid1(VALU_DEP_4)
	v_ldexp_f32 v21, v21, 1
	v_add_f32_e32 v23, v28, v24
	s_delay_alu instid0(VALU_DEP_4) | instskip(SKIP_1) | instid1(VALU_DEP_3)
	v_frexp_mant_f32_e32 v26, v27
	v_frexp_exp_i32_f32_e32 v27, v27
	v_sub_f32_e32 v22, v23, v28
	s_delay_alu instid0(VALU_DEP_3) | instskip(SKIP_1) | instid1(VALU_DEP_2)
	v_rcp_f32_e32 v26, v26
	v_frexp_exp_i32_f32_e32 v28, v25
	v_sub_f32_e32 v22, v24, v22
	v_frexp_mant_f32_e32 v24, v25
	s_delay_alu instid0(VALU_DEP_3) | instskip(NEXT) | instid1(VALU_DEP_3)
	v_sub_nc_u32_e32 v25, v28, v27
	v_add_f32_e32 v20, v21, v22
	s_waitcnt_depctr 0xfff
	v_mul_f32_e32 v21, v24, v26
	v_add_f32_e32 v22, v29, v30
	v_add_f32_e32 v24, v23, v20
	s_delay_alu instid0(VALU_DEP_3) | instskip(NEXT) | instid1(VALU_DEP_3)
	v_ldexp_f32 v21, v21, v25
	v_sub_f32_e32 v29, v22, v29
	s_delay_alu instid0(VALU_DEP_2) | instskip(SKIP_1) | instid1(VALU_DEP_3)
	v_dual_add_f32 v25, v22, v24 :: v_dual_mul_f32 v26, v21, v21
	v_sub_f32_e32 v23, v24, v23
	v_sub_f32_e32 v29, v30, v29
	s_delay_alu instid0(VALU_DEP_3) | instskip(NEXT) | instid1(VALU_DEP_4)
	v_sub_f32_e32 v27, v25, v22
	v_fmaak_f32 v28, s26, v26, 0xbc7a590c
	s_delay_alu instid0(VALU_DEP_4) | instskip(NEXT) | instid1(VALU_DEP_2)
	v_sub_f32_e32 v20, v20, v23
	v_dual_sub_f32 v31, v25, v27 :: v_dual_fmaak_f32 v28, v26, v28, 0x3d29fb3f
	v_sub_f32_e32 v23, v24, v27
	s_delay_alu instid0(VALU_DEP_2) | instskip(NEXT) | instid1(VALU_DEP_3)
	v_dual_add_f32 v27, v29, v20 :: v_dual_sub_f32 v22, v22, v31
	v_fmaak_f32 v24, v26, v28, 0xbd97d4d7
	s_delay_alu instid0(VALU_DEP_1) | instskip(NEXT) | instid1(VALU_DEP_3)
	v_dual_add_f32 v22, v23, v22 :: v_dual_fmaak_f32 v23, v26, v24, 0x3dd931b2
	v_sub_f32_e32 v24, v27, v29
	s_delay_alu instid0(VALU_DEP_2) | instskip(NEXT) | instid1(VALU_DEP_2)
	v_dual_add_f32 v22, v27, v22 :: v_dual_fmaak_f32 v23, v26, v23, 0xbe1160e6
	v_sub_f32_e32 v27, v27, v24
	v_sub_f32_e32 v20, v20, v24
	s_delay_alu instid0(VALU_DEP_3) | instskip(NEXT) | instid1(VALU_DEP_1)
	v_dual_add_f32 v28, v25, v22 :: v_dual_fmaak_f32 v23, v26, v23, 0x3e4cb8bf
	v_dual_sub_f32 v24, v29, v27 :: v_dual_sub_f32 v25, v28, v25
	s_delay_alu instid0(VALU_DEP_1) | instskip(NEXT) | instid1(VALU_DEP_2)
	v_dual_fmaak_f32 v23, v26, v23, 0xbeaaaa62 :: v_dual_add_f32 v20, v20, v24
	v_sub_f32_e32 v22, v22, v25
	s_delay_alu instid0(VALU_DEP_1) | instskip(NEXT) | instid1(VALU_DEP_1)
	v_dual_mul_f32 v23, v26, v23 :: v_dual_add_f32 v20, v20, v22
	v_dual_fmac_f32 v21, v21, v23 :: v_dual_add_f32 v20, v28, v20
	s_delay_alu instid0(VALU_DEP_1) | instskip(NEXT) | instid1(VALU_DEP_2)
	v_sub_f32_e32 v22, 0x3fc90fdb, v21
	v_cndmask_b32_e32 v20, v20, v15, vcc_lo
	v_cmp_gt_i32_e32 vcc_lo, 0, v13
	s_delay_alu instid0(VALU_DEP_3) | instskip(SKIP_2) | instid1(VALU_DEP_3)
	v_cndmask_b32_e64 v21, v21, v22, s6
	v_cndmask_b32_e64 v22, 0, 0x40490fdb, vcc_lo
	v_cmp_ngt_f32_e32 vcc_lo, -1.0, v15
	v_sub_f32_e32 v23, 0x40490fdb, v21
	v_cndmask_b32_e32 v20, 0x7fc00000, v20, vcc_lo
	v_cmp_gt_f32_e32 vcc_lo, 0, v13
	s_delay_alu instid0(VALU_DEP_2) | instskip(NEXT) | instid1(VALU_DEP_4)
	v_cndmask_b32_e64 v13, 0xff800000, v20, s7
	v_cndmask_b32_e32 v20, v21, v23, vcc_lo
	v_cndmask_b32_e32 v21, 0x3f490fdb, v17, vcc_lo
	v_cmp_gt_f32_e64 vcc_lo, 0x33800000, |v15|
	v_cmp_class_f32_e64 s7, v14, 0x204
	v_cndmask_b32_e32 v13, v13, v15, vcc_lo
	v_cmp_eq_f32_e32 vcc_lo, 0, v14
	s_delay_alu instid0(VALU_DEP_2) | instskip(NEXT) | instid1(VALU_DEP_4)
	v_dual_mul_f32 v15, 0.5, v13 :: v_dual_cndmask_b32 v20, v20, v22
	s_and_b32 vcc_lo, s7, s8
	s_delay_alu instid0(VALU_DEP_1)
	v_cndmask_b32_e32 v20, v20, v21, vcc_lo
.LBB187_59:                             ;   in Loop: Header=BB187_4 Depth=1
	s_or_b32 exec_lo, exec_lo, s33
.LBB187_60:                             ;   in Loop: Header=BB187_4 Depth=1
	s_delay_alu instid0(SALU_CYCLE_1)
	s_or_b32 exec_lo, exec_lo, s31
.LBB187_61:                             ;   in Loop: Header=BB187_4 Depth=1
	s_and_not1_saveexec_b32 s8, s30
	s_cbranch_execz .LBB187_63
; %bb.62:                               ;   in Loop: Header=BB187_4 Depth=1
	v_max_f32_e64 v15, |v14|, |v14|
	v_max_f32_e64 v22, |v13|, |v13|
	v_cmp_gt_i32_e64 s7, 0, v13
	v_cmp_class_f32_e64 s9, v13, 0x204
	v_cmp_class_f32_e64 s10, v14, 0x204
	s_delay_alu instid0(VALU_DEP_4) | instskip(SKIP_1) | instid1(VALU_DEP_2)
	v_max_f32_e32 v23, v22, v15
	v_min_f32_e32 v15, v22, v15
	v_cvt_f64_f32_e32 v[20:21], v23
	v_frexp_exp_i32_f32_e32 v22, v23
	s_delay_alu instid0(VALU_DEP_3) | instskip(SKIP_1) | instid1(VALU_DEP_2)
	v_frexp_exp_i32_f32_e32 v24, v15
	v_frexp_mant_f32_e32 v15, v15
	v_sub_nc_u32_e32 v22, v24, v22
	v_frexp_exp_i32_f64_e32 v20, v[20:21]
	v_frexp_mant_f32_e32 v21, v23
	s_delay_alu instid0(VALU_DEP_1) | instskip(SKIP_2) | instid1(VALU_DEP_1)
	v_rcp_f32_e32 v21, v21
	s_waitcnt_depctr 0xfff
	v_mul_f32_e32 v15, v15, v21
	v_ldexp_f32 v15, v15, v22
	s_delay_alu instid0(VALU_DEP_1) | instskip(SKIP_1) | instid1(VALU_DEP_1)
	v_mul_f32_e32 v24, v15, v15
	v_sub_nc_u32_e32 v25, 0, v20
	v_ldexp_f32 v21, |v14|, v25
	v_ldexp_f32 v22, |v13|, v25
	s_delay_alu instid0(VALU_DEP_2) | instskip(NEXT) | instid1(VALU_DEP_1)
	v_mul_f32_e32 v21, v21, v21
	v_dual_fmac_f32 v21, v22, v22 :: v_dual_fmaak_f32 v22, s26, v24, 0xbc7a590c
	v_cmp_neq_f32_e32 vcc_lo, 0x7f800000, v23
	s_delay_alu instid0(VALU_DEP_2) | instskip(NEXT) | instid1(VALU_DEP_2)
	v_sqrt_f32_e32 v21, v21
	v_fmaak_f32 v22, v24, v22, 0x3d29fb3f
	s_delay_alu instid0(VALU_DEP_1) | instskip(SKIP_3) | instid1(VALU_DEP_2)
	v_fmaak_f32 v22, v24, v22, 0xbd97d4d7
	s_waitcnt_depctr 0xfff
	v_ldexp_f32 v20, v21, v20
	v_fmaak_f32 v21, v24, v22, 0x3dd931b2
	v_cndmask_b32_e32 v20, 0x7f800000, v20, vcc_lo
	s_delay_alu instid0(VALU_DEP_2) | instskip(NEXT) | instid1(VALU_DEP_2)
	v_fmaak_f32 v21, v24, v21, 0xbe1160e6
	v_cmp_gt_f32_e32 vcc_lo, 0x800000, v20
	s_delay_alu instid0(VALU_DEP_2) | instskip(SKIP_1) | instid1(VALU_DEP_2)
	v_fmaak_f32 v21, v24, v21, 0x3e4cb8bf
	v_cndmask_b32_e64 v22, 1.0, 0x4f800000, vcc_lo
	v_fmaak_f32 v21, v24, v21, 0xbeaaaa62
	s_delay_alu instid0(VALU_DEP_1) | instskip(NEXT) | instid1(VALU_DEP_1)
	v_mul_f32_e32 v21, v24, v21
	v_dual_mul_f32 v20, v20, v22 :: v_dual_fmac_f32 v15, v15, v21
	s_delay_alu instid0(VALU_DEP_1) | instskip(NEXT) | instid1(VALU_DEP_1)
	v_log_f32_e32 v20, v20
	v_sub_f32_e32 v22, 0x3fc90fdb, v15
	s_delay_alu instid0(VALU_DEP_1) | instskip(SKIP_4) | instid1(VALU_DEP_3)
	v_cndmask_b32_e64 v15, v15, v22, s6
	s_waitcnt_depctr 0xfff
	v_mul_f32_e32 v21, 0x3f317217, v20
	v_cndmask_b32_e64 v22, 0, 0x40490fdb, s7
	v_cmp_gt_f32_e64 s7, 0, v13
	v_fma_f32 v23, 0x3f317217, v20, -v21
	s_delay_alu instid0(VALU_DEP_1) | instskip(NEXT) | instid1(VALU_DEP_1)
	v_fmac_f32_e32 v23, 0x3377d1cf, v20
	v_add_f32_e32 v13, v21, v23
	v_cndmask_b32_e64 v23, 0, 0x41b17218, vcc_lo
	v_cmp_gt_f32_e64 vcc_lo, 0x7f800000, |v20|
	v_sub_f32_e32 v24, 0x40490fdb, v15
	v_cndmask_b32_e64 v21, 0x3f490fdb, v17, s7
	v_cndmask_b32_e32 v13, v20, v13, vcc_lo
	s_delay_alu instid0(VALU_DEP_3) | instskip(SKIP_1) | instid1(VALU_DEP_2)
	v_cndmask_b32_e64 v15, v15, v24, s7
	v_cmp_eq_f32_e32 vcc_lo, 0, v14
	v_cndmask_b32_e32 v20, v15, v22, vcc_lo
	s_and_b32 vcc_lo, s10, s9
	s_delay_alu instid0(VALU_DEP_1)
	v_dual_sub_f32 v15, v13, v23 :: v_dual_cndmask_b32 v20, v20, v21
.LBB187_63:                             ;   in Loop: Header=BB187_4 Depth=1
	s_or_b32 exec_lo, exec_lo, s8
                                        ; implicit-def: $vgpr21
.LBB187_64:                             ;   in Loop: Header=BB187_4 Depth=1
	s_and_not1_saveexec_b32 s8, s29
	s_cbranch_execz .LBB187_70
; %bb.65:                               ;   in Loop: Header=BB187_4 Depth=1
                                        ; implicit-def: $vgpr15
                                        ; implicit-def: $vgpr20
	s_mov_b32 s7, exec_lo
	v_cmpx_ngt_f32_e32 0x1fec1e4a, v21
	s_xor_b32 s9, exec_lo, s7
	s_cbranch_execz .LBB187_67
; %bb.66:                               ;   in Loop: Header=BB187_4 Depth=1
	v_mul_f32_e32 v15, v21, v21
	v_cmp_class_f32_e64 s10, v13, 0x204
	v_cmp_gt_f32_e64 s7, 0, v13
	v_cmp_class_f32_e64 s12, v14, 0x204
	s_delay_alu instid0(VALU_DEP_4) | instskip(NEXT) | instid1(VALU_DEP_1)
	v_add_f32_e32 v22, 1.0, v15
	v_cvt_f64_f32_e32 v[20:21], v22
	s_delay_alu instid0(VALU_DEP_1) | instskip(SKIP_1) | instid1(VALU_DEP_1)
	v_frexp_exp_i32_f64_e32 v20, v[20:21]
	v_frexp_mant_f32_e32 v21, v22
	v_cmp_gt_f32_e32 vcc_lo, 0x3f2aaaab, v21
	v_add_f32_e32 v21, -1.0, v22
	s_delay_alu instid0(VALU_DEP_1) | instskip(NEXT) | instid1(VALU_DEP_1)
	v_sub_f32_e32 v24, v21, v22
	v_dual_add_f32 v24, 1.0, v24 :: v_dual_sub_f32 v21, v15, v21
	v_cmp_gt_f32_e64 s11, 0x33800000, |v15|
	s_delay_alu instid0(VALU_DEP_2) | instskip(SKIP_2) | instid1(VALU_DEP_2)
	v_add_f32_e32 v21, v21, v24
	v_subrev_co_ci_u32_e32 v20, vcc_lo, 0, v20, vcc_lo
	v_cmp_gt_i32_e32 vcc_lo, 0, v13
	v_sub_nc_u32_e32 v23, 0, v20
	v_cvt_f32_i32_e32 v20, v20
	s_delay_alu instid0(VALU_DEP_2) | instskip(SKIP_1) | instid1(VALU_DEP_2)
	v_ldexp_f32 v22, v22, v23
	v_ldexp_f32 v21, v21, v23
	v_add_f32_e32 v25, 1.0, v22
	s_delay_alu instid0(VALU_DEP_1) | instskip(NEXT) | instid1(VALU_DEP_1)
	v_add_f32_e32 v24, -1.0, v25
	v_dual_sub_f32 v24, v22, v24 :: v_dual_add_f32 v23, -1.0, v22
	s_delay_alu instid0(VALU_DEP_1) | instskip(NEXT) | instid1(VALU_DEP_2)
	v_add_f32_e32 v24, v21, v24
	v_add_f32_e32 v26, 1.0, v23
	s_delay_alu instid0(VALU_DEP_1) | instskip(NEXT) | instid1(VALU_DEP_1)
	v_sub_f32_e32 v22, v22, v26
	v_add_f32_e32 v21, v21, v22
	s_delay_alu instid0(VALU_DEP_1) | instskip(NEXT) | instid1(VALU_DEP_1)
	v_dual_add_f32 v27, v23, v21 :: v_dual_add_f32 v26, v25, v24
	v_rcp_f32_e32 v22, v26
	v_sub_f32_e32 v25, v25, v26
	s_delay_alu instid0(VALU_DEP_1) | instskip(SKIP_2) | instid1(VALU_DEP_1)
	v_dual_add_f32 v24, v24, v25 :: v_dual_sub_f32 v23, v23, v27
	s_waitcnt_depctr 0xfff
	v_dual_mul_f32 v28, v27, v22 :: v_dual_add_f32 v21, v21, v23
	v_mul_f32_e32 v29, v26, v28
	s_delay_alu instid0(VALU_DEP_1) | instskip(NEXT) | instid1(VALU_DEP_1)
	v_fma_f32 v25, v28, v26, -v29
	v_fmac_f32_e32 v25, v28, v24
	s_delay_alu instid0(VALU_DEP_1) | instskip(NEXT) | instid1(VALU_DEP_1)
	v_add_f32_e32 v30, v29, v25
	v_sub_f32_e32 v31, v27, v30
	s_delay_alu instid0(VALU_DEP_1) | instskip(SKIP_1) | instid1(VALU_DEP_2)
	v_sub_f32_e32 v27, v27, v31
	v_sub_f32_e32 v23, v30, v29
	;; [unrolled: 1-line block ×3, first 2 shown]
	s_delay_alu instid0(VALU_DEP_2) | instskip(NEXT) | instid1(VALU_DEP_2)
	v_sub_f32_e32 v23, v23, v25
	v_add_f32_e32 v21, v21, v27
	s_delay_alu instid0(VALU_DEP_1) | instskip(NEXT) | instid1(VALU_DEP_1)
	v_add_f32_e32 v21, v23, v21
	v_add_f32_e32 v23, v31, v21
	s_delay_alu instid0(VALU_DEP_1) | instskip(NEXT) | instid1(VALU_DEP_1)
	v_mul_f32_e32 v25, v22, v23
	v_dual_sub_f32 v30, v31, v23 :: v_dual_mul_f32 v27, v26, v25
	s_delay_alu instid0(VALU_DEP_1) | instskip(NEXT) | instid1(VALU_DEP_2)
	v_add_f32_e32 v21, v21, v30
	v_fma_f32 v26, v25, v26, -v27
	s_delay_alu instid0(VALU_DEP_1) | instskip(NEXT) | instid1(VALU_DEP_1)
	v_fmac_f32_e32 v26, v25, v24
	v_add_f32_e32 v24, v27, v26
	s_delay_alu instid0(VALU_DEP_1) | instskip(SKIP_1) | instid1(VALU_DEP_2)
	v_sub_f32_e32 v29, v23, v24
	v_sub_f32_e32 v27, v24, v27
	;; [unrolled: 1-line block ×3, first 2 shown]
	s_delay_alu instid0(VALU_DEP_1) | instskip(NEXT) | instid1(VALU_DEP_1)
	v_sub_f32_e32 v23, v23, v24
	v_dual_sub_f32 v24, v27, v26 :: v_dual_add_f32 v21, v21, v23
	v_add_f32_e32 v23, v28, v25
	s_delay_alu instid0(VALU_DEP_1) | instskip(NEXT) | instid1(VALU_DEP_1)
	v_dual_add_f32 v21, v24, v21 :: v_dual_sub_f32 v24, v23, v28
	v_add_f32_e32 v21, v29, v21
	s_delay_alu instid0(VALU_DEP_2) | instskip(SKIP_1) | instid1(VALU_DEP_3)
	v_sub_f32_e32 v24, v25, v24
	v_max_f32_e64 v25, |v13|, |v13|
	v_mul_f32_e32 v21, v22, v21
	v_max_f32_e64 v22, |v14|, |v14|
	s_delay_alu instid0(VALU_DEP_2) | instskip(NEXT) | instid1(VALU_DEP_2)
	v_add_f32_e32 v21, v24, v21
	v_max_f32_e32 v27, v25, v22
	v_min_f32_e32 v22, v25, v22
	s_delay_alu instid0(VALU_DEP_3) | instskip(NEXT) | instid1(VALU_DEP_3)
	v_add_f32_e32 v24, v23, v21
	v_frexp_mant_f32_e32 v29, v27
	v_frexp_exp_i32_f32_e32 v25, v27
	s_delay_alu instid0(VALU_DEP_3) | instskip(SKIP_1) | instid1(VALU_DEP_2)
	v_mul_f32_e32 v26, v24, v24
	v_ldexp_f32 v30, v24, 1
	v_dual_sub_f32 v23, v24, v23 :: v_dual_fmaak_f32 v28, s21, v26, 0x3ecc95a3
	v_mul_f32_e32 v27, v24, v26
	s_delay_alu instid0(VALU_DEP_2) | instskip(SKIP_3) | instid1(VALU_DEP_3)
	v_dual_sub_f32 v21, v21, v23 :: v_dual_fmaak_f32 v26, v26, v28, 0x3f2aaada
	v_rcp_f32_e32 v28, v29
	v_frexp_exp_i32_f32_e32 v29, v22
	v_frexp_mant_f32_e32 v22, v22
	v_ldexp_f32 v21, v21, 1
	v_dual_mul_f32 v26, v27, v26 :: v_dual_mul_f32 v27, 0x3f317218, v20
	s_delay_alu instid0(VALU_DEP_4) | instskip(NEXT) | instid1(VALU_DEP_2)
	v_sub_nc_u32_e32 v25, v29, v25
	v_add_f32_e32 v24, v30, v26
	s_delay_alu instid0(TRANS32_DEP_1) | instid1(VALU_DEP_1)
	v_dual_mul_f32 v22, v22, v28 :: v_dual_sub_f32 v23, v24, v30
	s_delay_alu instid0(VALU_DEP_1) | instskip(SKIP_1) | instid1(VALU_DEP_3)
	v_ldexp_f32 v22, v22, v25
	v_fma_f32 v25, 0x3f317218, v20, -v27
	v_sub_f32_e32 v23, v26, v23
	s_delay_alu instid0(VALU_DEP_2) | instskip(NEXT) | instid1(VALU_DEP_1)
	v_dual_mul_f32 v26, v22, v22 :: v_dual_fmac_f32 v25, 0xb102e308, v20
	v_dual_add_f32 v20, v21, v23 :: v_dual_fmaak_f32 v21, s26, v26, 0xbc7a590c
	s_delay_alu instid0(VALU_DEP_1) | instskip(NEXT) | instid1(VALU_DEP_2)
	v_dual_add_f32 v23, v27, v25 :: v_dual_add_f32 v28, v24, v20
	v_fmaak_f32 v21, v26, v21, 0x3d29fb3f
	s_delay_alu instid0(VALU_DEP_2) | instskip(NEXT) | instid1(VALU_DEP_3)
	v_sub_f32_e32 v27, v23, v27
	v_add_f32_e32 v29, v23, v28
	s_delay_alu instid0(VALU_DEP_3) | instskip(NEXT) | instid1(VALU_DEP_3)
	v_dual_fmaak_f32 v21, v26, v21, 0xbd97d4d7 :: v_dual_sub_f32 v24, v28, v24
	v_sub_f32_e32 v25, v25, v27
	s_delay_alu instid0(VALU_DEP_2) | instskip(NEXT) | instid1(VALU_DEP_1)
	v_dual_sub_f32 v30, v29, v23 :: v_dual_fmaak_f32 v21, v26, v21, 0x3dd931b2
	v_dual_sub_f32 v20, v20, v24 :: v_dual_sub_f32 v31, v29, v30
	s_delay_alu instid0(VALU_DEP_2) | instskip(NEXT) | instid1(VALU_DEP_2)
	v_dual_fmaak_f32 v21, v26, v21, 0xbe1160e6 :: v_dual_sub_f32 v24, v28, v30
	v_add_f32_e32 v27, v25, v20
	s_delay_alu instid0(VALU_DEP_3) | instskip(NEXT) | instid1(VALU_DEP_3)
	v_sub_f32_e32 v23, v23, v31
	v_fmaak_f32 v21, v26, v21, 0x3e4cb8bf
	s_delay_alu instid0(VALU_DEP_2) | instskip(NEXT) | instid1(VALU_DEP_2)
	v_add_f32_e32 v23, v24, v23
	v_fmaak_f32 v21, v26, v21, 0xbeaaaa62
	v_sub_f32_e32 v24, v27, v25
	s_delay_alu instid0(VALU_DEP_3) | instskip(NEXT) | instid1(VALU_DEP_2)
	v_add_f32_e32 v23, v27, v23
	v_dual_mul_f32 v21, v26, v21 :: v_dual_sub_f32 v26, v27, v24
	s_delay_alu instid0(VALU_DEP_2) | instskip(NEXT) | instid1(VALU_DEP_2)
	v_dual_sub_f32 v20, v20, v24 :: v_dual_add_f32 v27, v29, v23
	v_dual_fmac_f32 v22, v22, v21 :: v_dual_sub_f32 v21, v25, v26
	s_delay_alu instid0(VALU_DEP_1) | instskip(NEXT) | instid1(VALU_DEP_1)
	v_dual_sub_f32 v24, v27, v29 :: v_dual_sub_f32 v25, 0x3fc90fdb, v22
	v_dual_add_f32 v20, v20, v21 :: v_dual_sub_f32 v21, v23, v24
	s_delay_alu instid0(VALU_DEP_2) | instskip(SKIP_2) | instid1(VALU_DEP_3)
	v_cndmask_b32_e64 v22, v22, v25, s6
	v_cndmask_b32_e64 v23, 0, 0x40490fdb, vcc_lo
	v_cmp_eq_f32_e32 vcc_lo, 0x7f800000, v15
	v_dual_add_f32 v20, v20, v21 :: v_dual_sub_f32 v21, 0x40490fdb, v22
	s_or_b32 vcc_lo, vcc_lo, s11
	s_delay_alu instid0(VALU_DEP_1) | instskip(NEXT) | instid1(VALU_DEP_2)
	v_add_f32_e32 v13, v27, v20
	v_cndmask_b32_e64 v20, v22, v21, s7
	v_cndmask_b32_e64 v21, 0x3f490fdb, v17, s7
	s_delay_alu instid0(VALU_DEP_3) | instskip(SKIP_1) | instid1(VALU_DEP_2)
	v_cndmask_b32_e32 v13, v13, v15, vcc_lo
	v_cmp_eq_f32_e32 vcc_lo, 0, v14
	v_dual_mul_f32 v15, 0.5, v13 :: v_dual_cndmask_b32 v20, v20, v23
	s_and_b32 vcc_lo, s12, s10
	s_delay_alu instid0(VALU_DEP_1)
	v_cndmask_b32_e32 v20, v20, v21, vcc_lo
                                        ; implicit-def: $vgpr21
.LBB187_67:                             ;   in Loop: Header=BB187_4 Depth=1
	s_and_not1_saveexec_b32 s9, s9
	s_cbranch_execz .LBB187_69
; %bb.68:                               ;   in Loop: Header=BB187_4 Depth=1
	v_max_f32_e64 v15, |v14|, |v14|
	v_max_f32_e64 v20, |v13|, |v13|
	v_cmp_gt_i32_e32 vcc_lo, 0, v13
	v_cmp_eq_f32_e64 s7, 0, v14
	v_cmp_class_f32_e64 s10, v13, 0x204
	v_cmp_class_f32_e64 s11, v14, 0x204
	v_max_f32_e32 v22, v20, v15
	v_min_f32_e32 v15, v20, v15
	s_delay_alu instid0(VALU_DEP_2) | instskip(NEXT) | instid1(VALU_DEP_1)
	v_frexp_mant_f32_e32 v23, v22
	v_rcp_f32_e32 v20, v23
	s_delay_alu instid0(VALU_DEP_2) | instskip(SKIP_4) | instid1(VALU_DEP_1)
	v_frexp_exp_i32_f32_e32 v23, v15
	v_frexp_mant_f32_e32 v15, v15
	s_waitcnt_depctr 0xfff
	v_mul_f32_e32 v15, v15, v20
	v_frexp_exp_i32_f32_e32 v22, v22
	v_sub_nc_u32_e32 v22, v23, v22
	s_delay_alu instid0(VALU_DEP_1) | instskip(NEXT) | instid1(VALU_DEP_1)
	v_ldexp_f32 v15, v15, v22
	v_mul_f32_e32 v20, v15, v15
	s_delay_alu instid0(VALU_DEP_1) | instskip(NEXT) | instid1(VALU_DEP_1)
	v_fmaak_f32 v22, s26, v20, 0xbc7a590c
	v_fmaak_f32 v22, v20, v22, 0x3d29fb3f
	s_delay_alu instid0(VALU_DEP_1) | instskip(NEXT) | instid1(VALU_DEP_1)
	v_fmaak_f32 v22, v20, v22, 0xbd97d4d7
	v_fmaak_f32 v22, v20, v22, 0x3dd931b2
	;; [unrolled: 3-line block ×3, first 2 shown]
	s_delay_alu instid0(VALU_DEP_1) | instskip(NEXT) | instid1(VALU_DEP_1)
	v_fmaak_f32 v22, v20, v22, 0xbeaaaa62
	v_mul_f32_e32 v20, v20, v22
	v_cndmask_b32_e64 v22, 0, 0x40490fdb, vcc_lo
	v_cmp_gt_f32_e32 vcc_lo, 0, v13
	s_delay_alu instid0(VALU_DEP_3) | instskip(NEXT) | instid1(VALU_DEP_1)
	v_fmac_f32_e32 v15, v15, v20
	v_sub_f32_e32 v20, 0x3fc90fdb, v15
	s_delay_alu instid0(VALU_DEP_1) | instskip(NEXT) | instid1(VALU_DEP_1)
	v_cndmask_b32_e64 v15, v15, v20, s6
	v_sub_f32_e32 v20, 0x40490fdb, v15
	s_delay_alu instid0(VALU_DEP_1) | instskip(NEXT) | instid1(VALU_DEP_1)
	v_dual_cndmask_b32 v15, v15, v20 :: v_dual_mul_f32 v20, 0.5, v21
	v_cndmask_b32_e64 v13, v15, v22, s7
	s_delay_alu instid0(VALU_DEP_2) | instskip(SKIP_1) | instid1(VALU_DEP_1)
	v_dual_mul_f32 v15, v21, v20 :: v_dual_cndmask_b32 v22, 0x3f490fdb, v17
	s_and_b32 vcc_lo, s11, s10
	v_cndmask_b32_e32 v20, v13, v22, vcc_lo
.LBB187_69:                             ;   in Loop: Header=BB187_4 Depth=1
	s_or_b32 exec_lo, exec_lo, s9
.LBB187_70:                             ;   in Loop: Header=BB187_4 Depth=1
	s_delay_alu instid0(SALU_CYCLE_1)
	s_or_b32 exec_lo, exec_lo, s8
.LBB187_71:                             ;   in Loop: Header=BB187_4 Depth=1
	s_and_not1_saveexec_b32 s8, s28
	s_cbranch_execz .LBB187_73
; %bb.72:                               ;   in Loop: Header=BB187_4 Depth=1
	v_div_scale_f32 v15, null, 0x402df854, 0x402df854, v13
	v_div_scale_f32 v20, null, 0x402df854, 0x402df854, v14
	v_div_scale_f32 v25, vcc_lo, v13, 0x402df854, v13
	s_delay_alu instid0(VALU_DEP_3) | instskip(NEXT) | instid1(VALU_DEP_2)
	v_rcp_f32_e32 v21, v15
	v_rcp_f32_e32 v22, v20
	v_cmp_class_f32_e64 s9, v14, 0x204
	s_waitcnt_depctr 0xfff
	v_fma_f32 v23, -v15, v21, 1.0
	v_fma_f32 v24, -v20, v22, 1.0
	s_delay_alu instid0(VALU_DEP_1) | instskip(SKIP_1) | instid1(VALU_DEP_2)
	v_dual_fmac_f32 v21, v23, v21 :: v_dual_fmac_f32 v22, v24, v22
	v_div_scale_f32 v23, s7, v14, 0x402df854, v14
	v_mul_f32_e32 v24, v25, v21
	s_delay_alu instid0(VALU_DEP_1) | instskip(NEXT) | instid1(VALU_DEP_1)
	v_fma_f32 v27, -v15, v24, v25
	v_fmac_f32_e32 v24, v27, v21
	s_delay_alu instid0(VALU_DEP_1) | instskip(NEXT) | instid1(VALU_DEP_1)
	v_fma_f32 v15, -v15, v24, v25
	v_div_fmas_f32 v15, v15, v21, v24
	v_max_f32_e64 v24, |v13|, |v13|
	v_mul_f32_e32 v26, v23, v22
	s_mov_b32 vcc_lo, s7
	v_cmp_class_f32_e64 s7, v13, 0x204
	v_div_fixup_f32 v15, v15, 0x402df854, v13
	s_delay_alu instid0(VALU_DEP_3) | instskip(NEXT) | instid1(VALU_DEP_1)
	v_fma_f32 v28, -v20, v26, v23
	v_fmac_f32_e32 v26, v28, v22
	s_delay_alu instid0(VALU_DEP_1) | instskip(NEXT) | instid1(VALU_DEP_1)
	v_fma_f32 v20, -v20, v26, v23
	v_div_fmas_f32 v20, v20, v22, v26
	s_delay_alu instid0(VALU_DEP_1) | instskip(NEXT) | instid1(VALU_DEP_1)
	v_div_fixup_f32 v22, v20, 0x402df854, v14
	v_max_f32_e64 v23, |v15|, |v22|
	s_delay_alu instid0(VALU_DEP_1) | instskip(SKIP_1) | instid1(VALU_DEP_2)
	v_cvt_f64_f32_e32 v[20:21], v23
	v_cmp_neq_f32_e32 vcc_lo, 0x7f800000, v23
	v_frexp_exp_i32_f64_e32 v20, v[20:21]
	v_max_f32_e64 v21, |v14|, |v14|
	s_delay_alu instid0(VALU_DEP_1) | instskip(SKIP_1) | instid1(VALU_DEP_2)
	v_max_f32_e32 v25, v24, v21
	v_min_f32_e32 v21, v24, v21
	v_frexp_mant_f32_e32 v26, v25
	v_frexp_exp_i32_f32_e32 v25, v25
	s_delay_alu instid0(VALU_DEP_2) | instskip(SKIP_1) | instid1(VALU_DEP_1)
	v_rcp_f32_e32 v24, v26
	v_sub_nc_u32_e32 v26, 0, v20
	v_ldexp_f32 v22, |v22|, v26
	v_ldexp_f32 v15, |v15|, v26
	s_delay_alu instid0(VALU_DEP_2) | instskip(SKIP_2) | instid1(VALU_DEP_2)
	v_mul_f32_e32 v22, v22, v22
	v_frexp_exp_i32_f32_e32 v27, v21
	v_frexp_mant_f32_e32 v21, v21
	v_sub_nc_u32_e32 v25, v27, v25
	s_delay_alu instid0(TRANS32_DEP_1) | instid1(VALU_DEP_2)
	v_mul_f32_e32 v21, v21, v24
	s_delay_alu instid0(VALU_DEP_1) | instskip(NEXT) | instid1(VALU_DEP_1)
	v_ldexp_f32 v21, v21, v25
	v_dual_fmac_f32 v22, v15, v15 :: v_dual_mul_f32 v15, v21, v21
	s_delay_alu instid0(VALU_DEP_1) | instskip(NEXT) | instid1(VALU_DEP_1)
	v_sqrt_f32_e32 v22, v22
	v_fmaak_f32 v24, s26, v15, 0xbc7a590c
	s_delay_alu instid0(VALU_DEP_1) | instskip(SKIP_2) | instid1(VALU_DEP_1)
	v_fmaak_f32 v24, v15, v24, 0x3d29fb3f
	s_waitcnt_depctr 0xfff
	v_ldexp_f32 v20, v22, v20
	v_cndmask_b32_e32 v20, 0x7f800000, v20, vcc_lo
	s_delay_alu instid0(VALU_DEP_1) | instskip(SKIP_1) | instid1(VALU_DEP_1)
	v_cmp_gt_f32_e32 vcc_lo, 0x800000, v20
	v_cndmask_b32_e64 v23, 1.0, 0x4f800000, vcc_lo
	v_mul_f32_e32 v20, v20, v23
	s_delay_alu instid0(VALU_DEP_1) | instskip(SKIP_2) | instid1(VALU_DEP_2)
	v_log_f32_e32 v20, v20
	v_fmaak_f32 v22, v15, v24, 0xbd97d4d7
	v_cndmask_b32_e64 v24, 0, 0x41b17218, vcc_lo
	v_fmaak_f32 v22, v15, v22, 0x3dd931b2
	s_waitcnt_depctr 0xfff
	v_cmp_gt_f32_e64 vcc_lo, 0x7f800000, |v20|
	v_fmaak_f32 v22, v15, v22, 0xbe1160e6
	s_delay_alu instid0(VALU_DEP_1) | instskip(NEXT) | instid1(VALU_DEP_1)
	v_fmaak_f32 v22, v15, v22, 0x3e4cb8bf
	v_fmaak_f32 v22, v15, v22, 0xbeaaaa62
	s_delay_alu instid0(VALU_DEP_1) | instskip(NEXT) | instid1(VALU_DEP_1)
	v_dual_mul_f32 v15, v15, v22 :: v_dual_mul_f32 v22, 0x3f317217, v20
	v_fmac_f32_e32 v21, v21, v15
	s_delay_alu instid0(VALU_DEP_2) | instskip(NEXT) | instid1(VALU_DEP_2)
	v_fma_f32 v15, 0x3f317217, v20, -v22
	v_sub_f32_e32 v23, 0x3fc90fdb, v21
	s_delay_alu instid0(VALU_DEP_2) | instskip(NEXT) | instid1(VALU_DEP_2)
	v_fmac_f32_e32 v15, 0x3377d1cf, v20
	v_cndmask_b32_e64 v21, v21, v23, s6
	v_cmp_gt_i32_e64 s6, 0, v13
	s_delay_alu instid0(VALU_DEP_3) | instskip(NEXT) | instid1(VALU_DEP_2)
	v_add_f32_e32 v15, v22, v15
	v_cndmask_b32_e64 v23, 0, 0x40490fdb, s6
	v_cmp_gt_f32_e64 s6, 0, v13
	s_delay_alu instid0(VALU_DEP_3) | instskip(SKIP_1) | instid1(VALU_DEP_3)
	v_dual_cndmask_b32 v15, v20, v15 :: v_dual_sub_f32 v22, 0x40490fdb, v21
	v_cmp_eq_f32_e32 vcc_lo, 0, v14
	v_cndmask_b32_e64 v20, 0x3f490fdb, v17, s6
	s_delay_alu instid0(VALU_DEP_3) | instskip(NEXT) | instid1(VALU_DEP_4)
	v_sub_f32_e32 v15, v15, v24
	v_cndmask_b32_e64 v13, v21, v22, s6
	s_delay_alu instid0(VALU_DEP_2) | instskip(NEXT) | instid1(VALU_DEP_2)
	v_add_f32_e32 v15, 1.0, v15
	v_cndmask_b32_e32 v13, v13, v23, vcc_lo
	s_and_b32 vcc_lo, s9, s7
	s_delay_alu instid0(VALU_DEP_1)
	v_cndmask_b32_e32 v20, v13, v20, vcc_lo
.LBB187_73:                             ;   in Loop: Header=BB187_4 Depth=1
	s_or_b32 exec_lo, exec_lo, s8
.LBB187_74:                             ;   in Loop: Header=BB187_4 Depth=1
	s_and_not1_saveexec_b32 s6, s27
	s_cbranch_execz .LBB187_80
; %bb.75:                               ;   in Loop: Header=BB187_4 Depth=1
	v_cmp_ngt_f32_e64 s7, 0x20000000, |v13|
	v_cmp_ngt_f32_e64 s8, 0x20000000, |v14|
                                        ; implicit-def: $vgpr15
	s_delay_alu instid0(VALU_DEP_1) | instskip(NEXT) | instid1(SALU_CYCLE_1)
	s_or_b32 s7, s8, s7
	s_and_saveexec_b32 s8, s7
	s_delay_alu instid0(SALU_CYCLE_1)
	s_xor_b32 s7, exec_lo, s8
; %bb.76:                               ;   in Loop: Header=BB187_4 Depth=1
	v_mul_f32_e32 v15, v13, v13
	s_delay_alu instid0(VALU_DEP_1)
	v_fmac_f32_e32 v15, v14, v14
; %bb.77:                               ;   in Loop: Header=BB187_4 Depth=1
	s_and_not1_saveexec_b32 s7, s7
; %bb.78:                               ;   in Loop: Header=BB187_4 Depth=1
	v_mul_f32_e32 v13, 4.0, v13
	v_mul_f32_e32 v15, 4.0, v14
	s_delay_alu instid0(VALU_DEP_2) | instskip(NEXT) | instid1(VALU_DEP_1)
	v_mul_f32_e32 v13, v13, v13
	v_fmac_f32_e32 v13, v15, v15
	s_delay_alu instid0(VALU_DEP_1)
	v_mul_f32_e32 v15, 0x3d800000, v13
; %bb.79:                               ;   in Loop: Header=BB187_4 Depth=1
	s_or_b32 exec_lo, exec_lo, s7
	s_delay_alu instid0(VALU_DEP_1) | instskip(SKIP_1) | instid1(VALU_DEP_1)
	v_cmp_gt_f32_e32 vcc_lo, 0x800000, v15
	v_cndmask_b32_e64 v13, 1.0, 0x4f800000, vcc_lo
	v_mul_f32_e32 v13, v15, v13
	s_delay_alu instid0(VALU_DEP_1) | instskip(SKIP_2) | instid1(VALU_DEP_1)
	v_log_f32_e32 v13, v13
	s_waitcnt_depctr 0xfff
	v_mul_f32_e32 v15, 0x3f317217, v13
	v_fma_f32 v20, 0x3f317217, v13, -v15
	s_delay_alu instid0(VALU_DEP_1) | instskip(NEXT) | instid1(VALU_DEP_1)
	v_fmac_f32_e32 v20, 0x3377d1cf, v13
	v_add_f32_e32 v15, v15, v20
	v_cndmask_b32_e64 v20, 0, 0x41b17218, vcc_lo
	v_cmp_gt_f32_e64 vcc_lo, 0x7f800000, |v13|
	s_delay_alu instid0(VALU_DEP_3) | instskip(NEXT) | instid1(VALU_DEP_1)
	v_cndmask_b32_e32 v13, v13, v15, vcc_lo
	v_dual_sub_f32 v15, v13, v20 :: v_dual_mov_b32 v20, 0x7fc00000
.LBB187_80:                             ;   in Loop: Header=BB187_4 Depth=1
	s_or_b32 exec_lo, exec_lo, s6
                                        ; implicit-def: $vgpr13
                                        ; implicit-def: $vgpr21
	s_delay_alu instid0(SALU_CYCLE_1)
	s_mov_b32 s6, exec_lo
	v_cmpx_o_f32_e32 v6, v5
	s_xor_b32 s27, exec_lo, s6
	s_cbranch_execz .LBB187_108
; %bb.81:                               ;   in Loop: Header=BB187_4 Depth=1
	v_cmp_lt_f32_e64 s6, |v5|, |v6|
                                        ; implicit-def: $vgpr13
                                        ; implicit-def: $vgpr21
	s_mov_b32 s7, exec_lo
	s_delay_alu instid0(VALU_DEP_1) | instskip(NEXT) | instid1(VALU_DEP_1)
	v_cndmask_b32_e64 v22, |v6|, |v5|, s6
	v_cmpx_nlt_f32_e32 0x77f684df, v22
	s_xor_b32 s28, exec_lo, s7
	s_cbranch_execz .LBB187_105
; %bb.82:                               ;   in Loop: Header=BB187_4 Depth=1
	v_and_b32_e32 v13, 0x7fffffff, v6
                                        ; implicit-def: $vgpr21
	s_mov_b32 s7, exec_lo
	s_delay_alu instid0(VALU_DEP_1) | instskip(NEXT) | instid1(VALU_DEP_1)
	v_cndmask_b32_e64 v23, |v5|, v13, s6
                                        ; implicit-def: $vgpr13
	v_cmpx_neq_f32_e32 1.0, v23
	s_xor_b32 s29, exec_lo, s7
	s_cbranch_execz .LBB187_98
; %bb.83:                               ;   in Loop: Header=BB187_4 Depth=1
	v_max_f32_e32 v13, v22, v22
	v_max_f32_e32 v21, v23, v23
	s_delay_alu instid0(VALU_DEP_1) | instskip(SKIP_1) | instid1(VALU_DEP_2)
	v_min_f32_e32 v24, v21, v13
	v_max_f32_e32 v13, v21, v13
                                        ; implicit-def: $vgpr21
	v_cmp_ngt_f32_e32 vcc_lo, 0x358637bd, v24
	s_delay_alu instid0(VALU_DEP_2) | instskip(NEXT) | instid1(VALU_DEP_1)
	v_cmp_nlt_f32_e64 s7, 0x49742400, v13
                                        ; implicit-def: $vgpr13
	s_and_b32 s7, s7, vcc_lo
	s_delay_alu instid0(SALU_CYCLE_1) | instskip(NEXT) | instid1(SALU_CYCLE_1)
	s_and_saveexec_b32 s8, s7
	s_xor_b32 s30, exec_lo, s8
	s_cbranch_execz .LBB187_95
; %bb.84:                               ;   in Loop: Header=BB187_4 Depth=1
                                        ; implicit-def: $vgpr13
                                        ; implicit-def: $vgpr21
	s_mov_b32 s7, exec_lo
	v_cmpx_le_f32_e32 1.0, v23
	s_xor_b32 s8, exec_lo, s7
	s_cbranch_execz .LBB187_86
; %bb.85:                               ;   in Loop: Header=BB187_4 Depth=1
	v_add_f32_e32 v13, -1.0, v23
	v_add_f32_e32 v21, 1.0, v23
	v_cmp_class_f32_e64 s9, v5, 0x204
	s_delay_alu instid0(VALU_DEP_2) | instskip(NEXT) | instid1(VALU_DEP_1)
	v_mul_f32_e32 v13, v13, v21
	v_fmac_f32_e32 v13, v22, v22
	s_delay_alu instid0(VALU_DEP_1) | instskip(NEXT) | instid1(VALU_DEP_1)
	v_add_f32_e32 v23, 1.0, v13
	v_cvt_f64_f32_e32 v[21:22], v23
	s_delay_alu instid0(VALU_DEP_1) | instskip(SKIP_1) | instid1(VALU_DEP_1)
	v_frexp_exp_i32_f64_e32 v21, v[21:22]
	v_frexp_mant_f32_e32 v22, v23
	v_cmp_gt_f32_e32 vcc_lo, 0x3f2aaaab, v22
	v_add_f32_e32 v22, -1.0, v23
	s_delay_alu instid0(VALU_DEP_1) | instskip(SKIP_1) | instid1(VALU_DEP_1)
	v_sub_f32_e32 v25, v22, v23
	v_subrev_co_ci_u32_e32 v21, vcc_lo, 0, v21, vcc_lo
	v_sub_nc_u32_e32 v24, 0, v21
	v_cvt_f32_i32_e32 v21, v21
	s_delay_alu instid0(VALU_DEP_2) | instskip(NEXT) | instid1(VALU_DEP_1)
	v_ldexp_f32 v23, v23, v24
	v_dual_add_f32 v25, 1.0, v25 :: v_dual_add_f32 v26, 1.0, v23
	v_sub_f32_e32 v22, v13, v22
	v_cmp_eq_f32_e32 vcc_lo, 0x7f800000, v13
	v_cmp_neq_f32_e64 s7, -1.0, v13
	s_delay_alu instid0(VALU_DEP_3) | instskip(NEXT) | instid1(VALU_DEP_1)
	v_add_f32_e32 v22, v22, v25
	v_ldexp_f32 v22, v22, v24
	v_dual_add_f32 v24, -1.0, v23 :: v_dual_add_f32 v25, -1.0, v26
	s_delay_alu instid0(VALU_DEP_1) | instskip(NEXT) | instid1(VALU_DEP_2)
	v_add_f32_e32 v27, 1.0, v24
	v_sub_f32_e32 v25, v23, v25
	s_delay_alu instid0(VALU_DEP_2) | instskip(NEXT) | instid1(VALU_DEP_2)
	v_sub_f32_e32 v23, v23, v27
	v_add_f32_e32 v25, v22, v25
	s_delay_alu instid0(VALU_DEP_2) | instskip(NEXT) | instid1(VALU_DEP_1)
	v_add_f32_e32 v22, v22, v23
	v_add_f32_e32 v28, v24, v22
	s_delay_alu instid0(VALU_DEP_1) | instskip(NEXT) | instid1(VALU_DEP_1)
	v_dual_sub_f32 v24, v28, v24 :: v_dual_add_f32 v27, v26, v25
	v_sub_f32_e32 v22, v22, v24
	s_delay_alu instid0(VALU_DEP_2) | instskip(SKIP_1) | instid1(VALU_DEP_1)
	v_rcp_f32_e32 v23, v27
	v_sub_f32_e32 v26, v27, v26
	v_sub_f32_e32 v25, v25, v26
	s_waitcnt_depctr 0xfff
	v_mul_f32_e32 v29, v28, v23
	s_delay_alu instid0(VALU_DEP_1) | instskip(NEXT) | instid1(VALU_DEP_1)
	v_mul_f32_e32 v30, v27, v29
	v_fma_f32 v26, v29, v27, -v30
	s_delay_alu instid0(VALU_DEP_1) | instskip(NEXT) | instid1(VALU_DEP_1)
	v_fmac_f32_e32 v26, v29, v25
	v_add_f32_e32 v31, v30, v26
	s_delay_alu instid0(VALU_DEP_1) | instskip(SKIP_1) | instid1(VALU_DEP_2)
	v_sub_f32_e32 v32, v28, v31
	v_sub_f32_e32 v24, v31, v30
	;; [unrolled: 1-line block ×3, first 2 shown]
	s_delay_alu instid0(VALU_DEP_2) | instskip(NEXT) | instid1(VALU_DEP_2)
	v_sub_f32_e32 v24, v24, v26
	v_sub_f32_e32 v28, v28, v31
	s_delay_alu instid0(VALU_DEP_1) | instskip(NEXT) | instid1(VALU_DEP_1)
	v_add_f32_e32 v22, v22, v28
	v_add_f32_e32 v22, v24, v22
	s_delay_alu instid0(VALU_DEP_1) | instskip(NEXT) | instid1(VALU_DEP_1)
	v_add_f32_e32 v24, v32, v22
	v_mul_f32_e32 v26, v23, v24
	s_delay_alu instid0(VALU_DEP_1) | instskip(NEXT) | instid1(VALU_DEP_1)
	v_dual_sub_f32 v31, v32, v24 :: v_dual_mul_f32 v28, v27, v26
	v_add_f32_e32 v22, v22, v31
	s_delay_alu instid0(VALU_DEP_2) | instskip(NEXT) | instid1(VALU_DEP_1)
	v_fma_f32 v27, v26, v27, -v28
	v_fmac_f32_e32 v27, v26, v25
	s_delay_alu instid0(VALU_DEP_1) | instskip(NEXT) | instid1(VALU_DEP_1)
	v_add_f32_e32 v25, v28, v27
	v_sub_f32_e32 v30, v24, v25
	s_delay_alu instid0(VALU_DEP_1) | instskip(NEXT) | instid1(VALU_DEP_1)
	v_sub_f32_e32 v24, v24, v30
	v_sub_f32_e32 v24, v24, v25
	s_delay_alu instid0(VALU_DEP_1) | instskip(SKIP_2) | instid1(VALU_DEP_1)
	v_add_f32_e32 v22, v22, v24
	v_add_f32_e32 v24, v29, v26
	v_sub_f32_e32 v28, v25, v28
	v_sub_f32_e32 v25, v28, v27
	v_max_f32_e64 v27, |v6|, |v6|
	s_delay_alu instid0(VALU_DEP_2) | instskip(NEXT) | instid1(VALU_DEP_1)
	v_dual_add_f32 v22, v25, v22 :: v_dual_sub_f32 v25, v24, v29
	v_add_f32_e32 v22, v30, v22
	s_delay_alu instid0(VALU_DEP_2) | instskip(SKIP_1) | instid1(VALU_DEP_3)
	v_sub_f32_e32 v25, v26, v25
	v_mul_f32_e32 v30, 0x3f317218, v21
	v_mul_f32_e32 v22, v23, v22
	s_delay_alu instid0(VALU_DEP_2) | instskip(NEXT) | instid1(VALU_DEP_1)
	v_fma_f32 v31, 0x3f317218, v21, -v30
	v_dual_add_f32 v22, v25, v22 :: v_dual_fmac_f32 v31, 0xb102e308, v21
	s_delay_alu instid0(VALU_DEP_1) | instskip(NEXT) | instid1(VALU_DEP_1)
	v_add_f32_e32 v23, v24, v22
	v_mul_f32_e32 v25, v23, v23
	v_ldexp_f32 v29, v23, 1
	s_delay_alu instid0(VALU_DEP_2) | instskip(SKIP_2) | instid1(VALU_DEP_3)
	v_fmaak_f32 v26, s21, v25, 0x3ecc95a3
	v_mul_f32_e32 v28, v23, v25
	v_sub_f32_e32 v23, v23, v24
	v_fmaak_f32 v25, v25, v26, 0x3f2aaada
	v_max_f32_e64 v26, |v5|, |v5|
	s_delay_alu instid0(VALU_DEP_2) | instskip(NEXT) | instid1(VALU_DEP_2)
	v_dual_sub_f32 v22, v22, v23 :: v_dual_mul_f32 v25, v28, v25
	v_max_f32_e32 v28, v26, v27
	s_delay_alu instid0(VALU_DEP_2) | instskip(NEXT) | instid1(VALU_DEP_3)
	v_ldexp_f32 v22, v22, 1
	v_add_f32_e32 v24, v29, v25
	s_delay_alu instid0(VALU_DEP_1) | instskip(NEXT) | instid1(VALU_DEP_1)
	v_sub_f32_e32 v23, v24, v29
	v_sub_f32_e32 v23, v25, v23
	s_delay_alu instid0(VALU_DEP_1) | instskip(SKIP_4) | instid1(VALU_DEP_4)
	v_add_f32_e32 v21, v22, v23
	v_min_f32_e32 v26, v26, v27
	v_frexp_mant_f32_e32 v27, v28
	v_add_f32_e32 v23, v30, v31
	v_frexp_exp_i32_f32_e32 v28, v28
	v_frexp_mant_f32_e32 v25, v26
	s_delay_alu instid0(VALU_DEP_4) | instskip(NEXT) | instid1(VALU_DEP_3)
	v_rcp_f32_e32 v27, v27
	v_sub_f32_e32 v30, v23, v30
	s_delay_alu instid0(VALU_DEP_1) | instskip(SKIP_2) | instid1(VALU_DEP_1)
	v_sub_f32_e32 v30, v31, v30
	s_waitcnt_depctr 0xfff
	v_dual_mul_f32 v22, v25, v27 :: v_dual_add_f32 v25, v24, v21
	v_sub_f32_e32 v24, v25, v24
	s_delay_alu instid0(VALU_DEP_1) | instskip(SKIP_1) | instid1(VALU_DEP_1)
	v_sub_f32_e32 v21, v21, v24
	v_frexp_exp_i32_f32_e32 v29, v26
	v_sub_nc_u32_e32 v26, v29, v28
	s_delay_alu instid0(VALU_DEP_1) | instskip(NEXT) | instid1(VALU_DEP_1)
	v_ldexp_f32 v22, v22, v26
	v_dual_add_f32 v26, v23, v25 :: v_dual_mul_f32 v27, v22, v22
	s_delay_alu instid0(VALU_DEP_1) | instskip(NEXT) | instid1(VALU_DEP_1)
	v_sub_f32_e32 v28, v26, v23
	v_dual_fmaak_f32 v29, s26, v27, 0xbc7a590c :: v_dual_sub_f32 v32, v26, v28
	v_sub_f32_e32 v24, v25, v28
	v_add_f32_e32 v28, v30, v21
	s_delay_alu instid0(VALU_DEP_3) | instskip(NEXT) | instid1(VALU_DEP_4)
	v_fmaak_f32 v29, v27, v29, 0x3d29fb3f
	v_sub_f32_e32 v23, v23, v32
	s_delay_alu instid0(VALU_DEP_2) | instskip(NEXT) | instid1(VALU_DEP_1)
	v_fmaak_f32 v25, v27, v29, 0xbd97d4d7
	v_dual_add_f32 v23, v24, v23 :: v_dual_fmaak_f32 v24, v27, v25, 0x3dd931b2
	v_sub_f32_e32 v25, v28, v30
	s_delay_alu instid0(VALU_DEP_2) | instskip(NEXT) | instid1(VALU_DEP_1)
	v_add_f32_e32 v23, v28, v23
	v_dual_sub_f32 v28, v28, v25 :: v_dual_add_f32 v29, v26, v23
	v_sub_f32_e32 v21, v21, v25
	s_delay_alu instid0(VALU_DEP_2) | instskip(NEXT) | instid1(VALU_DEP_1)
	v_dual_sub_f32 v25, v30, v28 :: v_dual_sub_f32 v26, v29, v26
	v_add_f32_e32 v21, v21, v25
	s_delay_alu instid0(VALU_DEP_2) | instskip(NEXT) | instid1(VALU_DEP_1)
	v_sub_f32_e32 v23, v23, v26
	v_dual_add_f32 v21, v21, v23 :: v_dual_fmaak_f32 v24, v27, v24, 0xbe1160e6
	s_delay_alu instid0(VALU_DEP_1) | instskip(NEXT) | instid1(VALU_DEP_1)
	v_dual_add_f32 v21, v29, v21 :: v_dual_fmaak_f32 v24, v27, v24, 0x3e4cb8bf
	v_dual_cndmask_b32 v21, v21, v13 :: v_dual_fmaak_f32 v24, v27, v24, 0xbeaaaa62
	v_cmp_gt_i32_e32 vcc_lo, 0, v5
	s_delay_alu instid0(VALU_DEP_2) | instskip(NEXT) | instid1(VALU_DEP_1)
	v_mul_f32_e32 v24, v27, v24
	v_fmac_f32_e32 v22, v22, v24
	s_delay_alu instid0(VALU_DEP_1) | instskip(NEXT) | instid1(VALU_DEP_1)
	v_sub_f32_e32 v23, 0x3fc90fdb, v22
	v_cndmask_b32_e64 v22, v22, v23, s6
	v_cndmask_b32_e64 v23, 0, 0x40490fdb, vcc_lo
	v_cmp_ngt_f32_e32 vcc_lo, -1.0, v13
	s_delay_alu instid0(VALU_DEP_3) | instskip(SKIP_2) | instid1(VALU_DEP_2)
	v_sub_f32_e32 v24, 0x40490fdb, v22
	v_cndmask_b32_e32 v21, 0x7fc00000, v21, vcc_lo
	v_cmp_gt_f32_e32 vcc_lo, 0, v5
	v_cndmask_b32_e64 v5, 0xff800000, v21, s7
	s_delay_alu instid0(VALU_DEP_4)
	v_cndmask_b32_e32 v21, v22, v24, vcc_lo
	v_cndmask_b32_e32 v22, 0x3f490fdb, v17, vcc_lo
	v_cmp_gt_f32_e64 vcc_lo, 0x33800000, |v13|
	v_cmp_class_f32_e64 s7, v6, 0x204
	v_cndmask_b32_e32 v5, v5, v13, vcc_lo
	v_cmp_eq_f32_e32 vcc_lo, 0, v6
	s_delay_alu instid0(VALU_DEP_2) | instskip(SKIP_2) | instid1(VALU_DEP_1)
	v_mul_f32_e32 v13, 0.5, v5
	v_cndmask_b32_e32 v21, v21, v23, vcc_lo
	s_and_b32 vcc_lo, s7, s9
                                        ; implicit-def: $vgpr23
	v_cndmask_b32_e32 v21, v21, v22, vcc_lo
                                        ; implicit-def: $vgpr22
.LBB187_86:                             ;   in Loop: Header=BB187_4 Depth=1
	s_and_not1_saveexec_b32 s31, s8
	s_cbranch_execz .LBB187_94
; %bb.87:                               ;   in Loop: Header=BB187_4 Depth=1
	v_mul_f32_e32 v24, v22, v22
                                        ; implicit-def: $vgpr13
                                        ; implicit-def: $vgpr21
	s_mov_b32 s7, exec_lo
	s_delay_alu instid0(VALU_DEP_1) | instskip(NEXT) | instid1(VALU_DEP_1)
	v_fmac_f32_e32 v24, v23, v23
	v_cmpx_ge_f32_e32 0x3f333333, v24
	s_xor_b32 s8, exec_lo, s7
	s_cbranch_execz .LBB187_89
; %bb.88:                               ;   in Loop: Header=BB187_4 Depth=1
	v_max_f32_e64 v13, |v6|, |v6|
	v_max_f32_e64 v21, |v5|, |v5|
	v_cmp_gt_f32_e32 vcc_lo, 0x800000, v24
	v_cmp_gt_i32_e64 s7, 0, v5
	v_cmp_class_f32_e64 s9, v5, 0x204
	v_cmp_class_f32_e64 s10, v6, 0x204
	v_max_f32_e32 v22, v21, v13
	v_min_f32_e32 v13, v21, v13
	v_cndmask_b32_e64 v25, 0, 0x41b17218, vcc_lo
	s_delay_alu instid0(VALU_DEP_3) | instskip(SKIP_1) | instid1(VALU_DEP_2)
	v_frexp_mant_f32_e32 v23, v22
	v_frexp_exp_i32_f32_e32 v22, v22
	v_rcp_f32_e32 v21, v23
	v_frexp_exp_i32_f32_e32 v23, v13
	v_frexp_mant_f32_e32 v13, v13
	s_delay_alu instid0(VALU_DEP_2) | instskip(SKIP_4) | instid1(VALU_DEP_2)
	v_sub_nc_u32_e32 v22, v23, v22
	v_cndmask_b32_e64 v23, 1.0, 0x4f800000, vcc_lo
	s_waitcnt_depctr 0xfff
	v_mul_f32_e32 v13, v13, v21
	v_mul_f32_e32 v23, v24, v23
	v_ldexp_f32 v13, v13, v22
	s_delay_alu instid0(VALU_DEP_2) | instskip(NEXT) | instid1(VALU_DEP_1)
	v_log_f32_e32 v23, v23
	v_mul_f32_e32 v21, v13, v13
	s_delay_alu instid0(VALU_DEP_1) | instskip(SKIP_3) | instid1(VALU_DEP_1)
	v_fmaak_f32 v22, s26, v21, 0xbc7a590c
	s_waitcnt_depctr 0xfff
	v_cmp_gt_f32_e64 vcc_lo, 0x7f800000, |v23|
	v_fmaak_f32 v22, v21, v22, 0x3d29fb3f
	v_fmaak_f32 v22, v21, v22, 0xbd97d4d7
	s_delay_alu instid0(VALU_DEP_1) | instskip(NEXT) | instid1(VALU_DEP_1)
	v_fmaak_f32 v22, v21, v22, 0x3dd931b2
	v_fmaak_f32 v22, v21, v22, 0xbe1160e6
	s_delay_alu instid0(VALU_DEP_1) | instskip(NEXT) | instid1(VALU_DEP_1)
	v_fmaak_f32 v22, v21, v22, 0x3e4cb8bf
	v_fmaak_f32 v22, v21, v22, 0xbeaaaa62
	s_delay_alu instid0(VALU_DEP_1) | instskip(NEXT) | instid1(VALU_DEP_1)
	v_dual_mul_f32 v21, v21, v22 :: v_dual_mul_f32 v22, 0x3f317217, v23
	v_fmac_f32_e32 v13, v13, v21
	s_delay_alu instid0(VALU_DEP_2) | instskip(NEXT) | instid1(VALU_DEP_2)
	v_fma_f32 v21, 0x3f317217, v23, -v22
	v_sub_f32_e32 v24, 0x3fc90fdb, v13
	s_delay_alu instid0(VALU_DEP_2) | instskip(NEXT) | instid1(VALU_DEP_2)
	v_fmac_f32_e32 v21, 0x3377d1cf, v23
	v_cndmask_b32_e64 v13, v13, v24, s6
	s_delay_alu instid0(VALU_DEP_2) | instskip(SKIP_2) | instid1(VALU_DEP_4)
	v_add_f32_e32 v21, v22, v21
	v_cndmask_b32_e64 v22, 0, 0x40490fdb, s7
	v_cmp_eq_f32_e64 s7, 0, v6
	v_sub_f32_e32 v24, 0x40490fdb, v13
	s_delay_alu instid0(VALU_DEP_4) | instskip(SKIP_1) | instid1(VALU_DEP_2)
	v_cndmask_b32_e32 v21, v23, v21, vcc_lo
	v_cmp_gt_f32_e32 vcc_lo, 0, v5
                                        ; implicit-def: $vgpr23
	v_sub_f32_e32 v5, v21, v25
	s_delay_alu instid0(VALU_DEP_4) | instskip(NEXT) | instid1(VALU_DEP_1)
	v_cndmask_b32_e32 v13, v13, v24, vcc_lo
	v_cndmask_b32_e64 v21, v13, v22, s7
	v_cndmask_b32_e32 v22, 0x3f490fdb, v17, vcc_lo
	s_and_b32 vcc_lo, s10, s9
	v_mul_f32_e32 v13, 0.5, v5
	s_delay_alu instid0(VALU_DEP_2)
	v_cndmask_b32_e32 v21, v21, v22, vcc_lo
                                        ; implicit-def: $vgpr22
.LBB187_89:                             ;   in Loop: Header=BB187_4 Depth=1
	s_and_not1_saveexec_b32 s33, s8
	s_cbranch_execz .LBB187_93
; %bb.90:                               ;   in Loop: Header=BB187_4 Depth=1
	v_and_b32_e32 v24, 0x7fff0000, v22
	v_and_b32_e32 v21, 0x7fff0000, v23
	s_mov_b32 s34, 0
	s_delay_alu instid0(VALU_DEP_2) | instskip(NEXT) | instid1(VALU_DEP_2)
	v_sub_f32_e32 v25, v22, v24
	v_dual_mul_f32 v22, v24, v24 :: v_dual_sub_f32 v23, v23, v21
	v_dual_add_f32 v28, v21, v21 :: v_dual_add_f32 v31, v24, v24
	s_delay_alu instid0(VALU_DEP_2) | instskip(NEXT) | instid1(VALU_DEP_4)
	v_and_b32_e32 v26, 0xffff0000, v23
	v_and_b32_e32 v27, 0xffff0000, v25
	s_delay_alu instid0(VALU_DEP_2) | instskip(NEXT) | instid1(VALU_DEP_4)
	v_dual_mul_f32 v13, v21, v21 :: v_dual_sub_f32 v24, v23, v26
	v_mul_f32_e32 v30, v28, v26
	s_delay_alu instid0(VALU_DEP_3)
	v_dual_sub_f32 v32, v25, v27 :: v_dual_mul_f32 v23, v26, v26
	v_add_f32_e32 v25, v26, v26
	v_add_f32_e32 v33, v27, v27
	v_dual_mul_f32 v21, v31, v27 :: v_dual_mul_f32 v26, v28, v24
	v_mul_f32_e32 v29, v27, v27
	v_mul_f32_e32 v28, v31, v32
	;; [unrolled: 1-line block ×6, first 2 shown]
.LBB187_91:                             ;   Parent Loop BB187_4 Depth=1
                                        ; =>  This Inner Loop Header: Depth=2
	v_cmp_nlt_f32_e32 vcc_lo, v13, v22
	s_delay_alu instid0(VALU_DEP_2) | instskip(SKIP_1) | instid1(VALU_DEP_2)
	v_dual_mov_b32 v33, v31 :: v_dual_cndmask_b32 v32, v13, v22
	v_cndmask_b32_e32 v13, v22, v13, vcc_lo
	v_cmp_nlt_f32_e64 s7, v32, v30
	s_delay_alu instid0(VALU_DEP_1) | instskip(SKIP_2) | instid1(VALU_DEP_2)
	v_cndmask_b32_e64 v31, v32, v30, s7
	v_cndmask_b32_e64 v22, v30, v32, s7
	s_and_b32 s35, vcc_lo, s7
	v_cmp_nlt_f32_e64 s8, v31, v21
	s_delay_alu instid0(VALU_DEP_1) | instskip(SKIP_1) | instid1(VALU_DEP_2)
	v_cndmask_b32_e64 v34, v31, v21, s8
	v_cndmask_b32_e64 v30, v21, v31, s8
	v_cmp_nlt_f32_e64 s9, v34, v23
	s_delay_alu instid0(VALU_DEP_1) | instskip(SKIP_2) | instid1(VALU_DEP_2)
	v_cndmask_b32_e64 v32, v34, v23, s9
	v_cndmask_b32_e64 v21, v23, v34, s9
	s_and_b32 s36, s8, s9
	v_cmp_nlt_f32_e64 s10, v32, v29
	s_delay_alu instid0(VALU_DEP_1) | instskip(SKIP_1) | instid1(VALU_DEP_2)
	v_cndmask_b32_e64 v35, v32, v29, s10
	v_cndmask_b32_e64 v23, v29, v32, s10
	v_cmp_nlt_f32_e64 s11, v35, v26
	s_delay_alu instid0(VALU_DEP_1) | instskip(SKIP_2) | instid1(VALU_DEP_2)
	v_cndmask_b32_e64 v36, v35, v26, s11
	s_and_b32 s9, s10, s11
	v_cndmask_b32_e64 v29, v26, v35, s11
	v_cmp_nlt_f32_e64 s12, v36, v28
	s_delay_alu instid0(VALU_DEP_1) | instskip(SKIP_2) | instid1(VALU_DEP_2)
	v_cndmask_b32_e64 v37, v36, v28, s12
	s_and_b32 s9, s9, s12
	v_cndmask_b32_e64 v26, v28, v36, s12
	v_cmp_nlt_f32_e32 vcc_lo, v37, v27
	v_cndmask_b32_e32 v38, v37, v27, vcc_lo
	s_and_b32 s10, s9, vcc_lo
	v_cndmask_b32_e32 v28, v27, v37, vcc_lo
	s_delay_alu instid0(VALU_DEP_2) | instskip(NEXT) | instid1(VALU_DEP_1)
	v_cmp_nlt_f32_e64 s7, v38, v25
	v_cndmask_b32_e64 v34, v38, v25, s7
	s_and_b32 s10, s10, s7
	v_cndmask_b32_e64 v27, v25, v38, s7
	s_delay_alu instid0(VALU_DEP_2) | instskip(NEXT) | instid1(VALU_DEP_1)
	v_cmp_nlt_f32_e64 s8, v34, v24
	v_cndmask_b32_e64 v32, v34, v24, s8
	s_and_b32 s10, s10, s8
	v_cndmask_b32_e64 v25, v24, v34, s8
	s_delay_alu instid0(VALU_DEP_2) | instskip(NEXT) | instid1(VALU_DEP_1)
	v_cmp_nlt_f32_e64 s9, v32, v33
	s_and_b32 s10, s10, s9
	v_cndmask_b32_e64 v31, v32, v33, s9
	s_and_b32 s7, s10, s36
	v_cndmask_b32_e64 v24, v33, v32, s9
	s_and_b32 s7, s7, s35
	s_delay_alu instid0(SALU_CYCLE_1) | instskip(NEXT) | instid1(SALU_CYCLE_1)
	s_and_b32 s7, exec_lo, s7
	s_or_b32 s34, s7, s34
	s_delay_alu instid0(SALU_CYCLE_1)
	s_and_not1_b32 exec_lo, exec_lo, s34
	s_cbranch_execnz .LBB187_91
; %bb.92:                               ;   in Loop: Header=BB187_4 Depth=1
	s_or_b32 exec_lo, exec_lo, s34
	v_add_f32_e32 v13, -1.0, v13
	v_cmp_class_f32_e64 s8, v5, 0x204
	s_delay_alu instid0(VALU_DEP_2) | instskip(NEXT) | instid1(VALU_DEP_1)
	v_add_f32_e32 v13, v13, v22
	v_add_f32_e32 v13, v13, v30
	s_delay_alu instid0(VALU_DEP_1) | instskip(NEXT) | instid1(VALU_DEP_1)
	v_add_f32_e32 v13, v13, v21
	v_add_f32_e32 v13, v13, v23
	s_delay_alu instid0(VALU_DEP_1) | instskip(NEXT) | instid1(VALU_DEP_1)
	;; [unrolled: 3-line block ×5, first 2 shown]
	v_add_f32_e32 v13, v31, v13
	v_add_f32_e32 v23, 1.0, v13
	s_delay_alu instid0(VALU_DEP_1) | instskip(NEXT) | instid1(VALU_DEP_1)
	v_cvt_f64_f32_e32 v[21:22], v23
	v_frexp_exp_i32_f64_e32 v21, v[21:22]
	v_frexp_mant_f32_e32 v22, v23
	s_delay_alu instid0(VALU_DEP_1) | instskip(SKIP_1) | instid1(VALU_DEP_1)
	v_cmp_gt_f32_e32 vcc_lo, 0x3f2aaaab, v22
	v_add_f32_e32 v22, -1.0, v23
	v_dual_sub_f32 v25, v22, v23 :: v_dual_sub_f32 v22, v13, v22
	s_delay_alu instid0(VALU_DEP_1) | instskip(NEXT) | instid1(VALU_DEP_1)
	v_add_f32_e32 v25, 1.0, v25
	v_add_f32_e32 v22, v22, v25
	v_subrev_co_ci_u32_e32 v21, vcc_lo, 0, v21, vcc_lo
	s_delay_alu instid0(VALU_DEP_1) | instskip(SKIP_1) | instid1(VALU_DEP_2)
	v_sub_nc_u32_e32 v24, 0, v21
	v_cvt_f32_i32_e32 v21, v21
	v_ldexp_f32 v23, v23, v24
	v_ldexp_f32 v22, v22, v24
	s_delay_alu instid0(VALU_DEP_2) | instskip(NEXT) | instid1(VALU_DEP_1)
	v_add_f32_e32 v26, 1.0, v23
	v_dual_add_f32 v24, -1.0, v23 :: v_dual_add_f32 v25, -1.0, v26
	s_delay_alu instid0(VALU_DEP_1) | instskip(NEXT) | instid1(VALU_DEP_2)
	v_add_f32_e32 v27, 1.0, v24
	v_sub_f32_e32 v25, v23, v25
	s_delay_alu instid0(VALU_DEP_2) | instskip(NEXT) | instid1(VALU_DEP_2)
	v_sub_f32_e32 v23, v23, v27
	v_add_f32_e32 v25, v22, v25
	s_delay_alu instid0(VALU_DEP_2) | instskip(NEXT) | instid1(VALU_DEP_1)
	v_add_f32_e32 v22, v22, v23
	v_dual_add_f32 v27, v26, v25 :: v_dual_add_f32 v28, v24, v22
	s_delay_alu instid0(VALU_DEP_1) | instskip(SKIP_1) | instid1(VALU_DEP_1)
	v_rcp_f32_e32 v23, v27
	v_sub_f32_e32 v26, v27, v26
	v_dual_sub_f32 v24, v28, v24 :: v_dual_sub_f32 v25, v25, v26
	s_waitcnt_depctr 0xfff
	v_dual_sub_f32 v22, v22, v24 :: v_dual_mul_f32 v29, v28, v23
	s_delay_alu instid0(VALU_DEP_1) | instskip(NEXT) | instid1(VALU_DEP_1)
	v_mul_f32_e32 v30, v27, v29
	v_fma_f32 v26, v29, v27, -v30
	s_delay_alu instid0(VALU_DEP_1) | instskip(NEXT) | instid1(VALU_DEP_1)
	v_fmac_f32_e32 v26, v29, v25
	v_add_f32_e32 v31, v30, v26
	s_delay_alu instid0(VALU_DEP_1) | instskip(SKIP_1) | instid1(VALU_DEP_2)
	v_sub_f32_e32 v32, v28, v31
	v_sub_f32_e32 v24, v31, v30
	;; [unrolled: 1-line block ×3, first 2 shown]
	s_delay_alu instid0(VALU_DEP_2) | instskip(SKIP_2) | instid1(VALU_DEP_4)
	v_sub_f32_e32 v24, v24, v26
	v_cmp_eq_f32_e32 vcc_lo, 0x7f800000, v13
	v_cmp_neq_f32_e64 s7, -1.0, v13
	v_sub_f32_e32 v28, v28, v31
	s_delay_alu instid0(VALU_DEP_1) | instskip(NEXT) | instid1(VALU_DEP_1)
	v_add_f32_e32 v22, v22, v28
	v_add_f32_e32 v22, v24, v22
	s_delay_alu instid0(VALU_DEP_1) | instskip(NEXT) | instid1(VALU_DEP_1)
	v_add_f32_e32 v24, v32, v22
	v_mul_f32_e32 v26, v23, v24
	s_delay_alu instid0(VALU_DEP_1) | instskip(NEXT) | instid1(VALU_DEP_1)
	v_dual_mul_f32 v28, v27, v26 :: v_dual_sub_f32 v31, v32, v24
	v_fma_f32 v27, v26, v27, -v28
	s_delay_alu instid0(VALU_DEP_2) | instskip(NEXT) | instid1(VALU_DEP_2)
	v_add_f32_e32 v22, v22, v31
	v_fmac_f32_e32 v27, v26, v25
	s_delay_alu instid0(VALU_DEP_1) | instskip(NEXT) | instid1(VALU_DEP_1)
	v_add_f32_e32 v25, v28, v27
	v_sub_f32_e32 v30, v24, v25
	s_delay_alu instid0(VALU_DEP_1) | instskip(NEXT) | instid1(VALU_DEP_1)
	v_sub_f32_e32 v24, v24, v30
	v_sub_f32_e32 v24, v24, v25
	s_delay_alu instid0(VALU_DEP_1) | instskip(SKIP_2) | instid1(VALU_DEP_1)
	v_add_f32_e32 v22, v22, v24
	v_add_f32_e32 v24, v29, v26
	v_sub_f32_e32 v28, v25, v28
	v_sub_f32_e32 v25, v28, v27
	v_max_f32_e64 v27, |v6|, |v6|
	s_delay_alu instid0(VALU_DEP_2) | instskip(NEXT) | instid1(VALU_DEP_1)
	v_dual_add_f32 v22, v25, v22 :: v_dual_sub_f32 v25, v24, v29
	v_sub_f32_e32 v25, v26, v25
	s_delay_alu instid0(VALU_DEP_2) | instskip(NEXT) | instid1(VALU_DEP_1)
	v_add_f32_e32 v22, v30, v22
	v_mul_f32_e32 v22, v23, v22
	s_delay_alu instid0(VALU_DEP_1) | instskip(NEXT) | instid1(VALU_DEP_1)
	v_add_f32_e32 v22, v25, v22
	v_add_f32_e32 v23, v24, v22
	s_delay_alu instid0(VALU_DEP_1) | instskip(NEXT) | instid1(VALU_DEP_1)
	v_mul_f32_e32 v25, v23, v23
	v_fmaak_f32 v26, s21, v25, 0x3ecc95a3
	v_mul_f32_e32 v28, v23, v25
	v_ldexp_f32 v29, v23, 1
	v_sub_f32_e32 v23, v23, v24
	s_delay_alu instid0(VALU_DEP_4) | instskip(SKIP_1) | instid1(VALU_DEP_2)
	v_fmaak_f32 v25, v25, v26, 0x3f2aaada
	v_max_f32_e64 v26, |v5|, |v5|
	v_dual_sub_f32 v22, v22, v23 :: v_dual_mul_f32 v25, v28, v25
	s_delay_alu instid0(VALU_DEP_1) | instskip(NEXT) | instid1(VALU_DEP_2)
	v_ldexp_f32 v22, v22, 1
	v_add_f32_e32 v24, v29, v25
	s_delay_alu instid0(VALU_DEP_1) | instskip(NEXT) | instid1(VALU_DEP_1)
	v_dual_max_f32 v28, v26, v27 :: v_dual_sub_f32 v23, v24, v29
	v_dual_mul_f32 v30, 0x3f317218, v21 :: v_dual_sub_f32 v23, v25, v23
	s_delay_alu instid0(VALU_DEP_1) | instskip(SKIP_1) | instid1(VALU_DEP_4)
	v_fma_f32 v31, 0x3f317218, v21, -v30
	v_min_f32_e32 v26, v26, v27
	v_frexp_mant_f32_e32 v27, v28
	v_frexp_exp_i32_f32_e32 v28, v28
	s_delay_alu instid0(VALU_DEP_4) | instskip(NEXT) | instid1(VALU_DEP_4)
	v_fmac_f32_e32 v31, 0xb102e308, v21
	v_frexp_exp_i32_f32_e32 v29, v26
	s_delay_alu instid0(VALU_DEP_4) | instskip(SKIP_2) | instid1(VALU_DEP_3)
	v_rcp_f32_e32 v27, v27
	v_frexp_mant_f32_e32 v25, v26
	v_add_f32_e32 v21, v22, v23
	v_sub_nc_u32_e32 v26, v29, v28
	s_waitcnt_depctr 0xfff
	v_dual_mul_f32 v22, v25, v27 :: v_dual_add_f32 v25, v24, v21
	v_add_f32_e32 v23, v30, v31
	s_delay_alu instid0(VALU_DEP_2) | instskip(NEXT) | instid1(VALU_DEP_3)
	v_ldexp_f32 v22, v22, v26
	v_sub_f32_e32 v24, v25, v24
	s_delay_alu instid0(VALU_DEP_3) | instskip(SKIP_1) | instid1(VALU_DEP_4)
	v_add_f32_e32 v26, v23, v25
	v_sub_f32_e32 v30, v23, v30
	v_mul_f32_e32 v27, v22, v22
	s_delay_alu instid0(VALU_DEP_3) | instskip(NEXT) | instid1(VALU_DEP_1)
	v_dual_sub_f32 v21, v21, v24 :: v_dual_sub_f32 v28, v26, v23
	v_dual_fmaak_f32 v29, s26, v27, 0xbc7a590c :: v_dual_sub_f32 v24, v25, v28
	s_delay_alu instid0(VALU_DEP_1) | instskip(NEXT) | instid1(VALU_DEP_1)
	v_dual_fmaak_f32 v29, v27, v29, 0x3d29fb3f :: v_dual_sub_f32 v32, v26, v28
	v_fmaak_f32 v25, v27, v29, 0xbd97d4d7
	s_delay_alu instid0(VALU_DEP_2) | instskip(NEXT) | instid1(VALU_DEP_1)
	v_sub_f32_e32 v23, v23, v32
	v_dual_sub_f32 v30, v31, v30 :: v_dual_add_f32 v23, v24, v23
	s_delay_alu instid0(VALU_DEP_1) | instskip(NEXT) | instid1(VALU_DEP_1)
	v_add_f32_e32 v28, v30, v21
	v_dual_fmaak_f32 v24, v27, v25, 0x3dd931b2 :: v_dual_add_f32 v23, v28, v23
	s_delay_alu instid0(VALU_DEP_1) | instskip(NEXT) | instid1(VALU_DEP_2)
	v_dual_sub_f32 v25, v28, v30 :: v_dual_fmaak_f32 v24, v27, v24, 0xbe1160e6
	v_add_f32_e32 v29, v26, v23
	s_delay_alu instid0(VALU_DEP_2) | instskip(NEXT) | instid1(VALU_DEP_2)
	v_dual_sub_f32 v21, v21, v25 :: v_dual_fmaak_f32 v24, v27, v24, 0x3e4cb8bf
	v_sub_f32_e32 v26, v29, v26
	s_delay_alu instid0(VALU_DEP_1) | instskip(NEXT) | instid1(VALU_DEP_1)
	v_dual_sub_f32 v28, v28, v25 :: v_dual_sub_f32 v23, v23, v26
	v_sub_f32_e32 v25, v30, v28
	s_delay_alu instid0(VALU_DEP_1) | instskip(NEXT) | instid1(VALU_DEP_1)
	v_dual_fmaak_f32 v24, v27, v24, 0xbeaaaa62 :: v_dual_add_f32 v21, v21, v25
	v_dual_mul_f32 v24, v27, v24 :: v_dual_add_f32 v21, v21, v23
	s_delay_alu instid0(VALU_DEP_1) | instskip(NEXT) | instid1(VALU_DEP_1)
	v_dual_fmac_f32 v22, v22, v24 :: v_dual_add_f32 v21, v29, v21
	v_sub_f32_e32 v23, 0x3fc90fdb, v22
	s_delay_alu instid0(VALU_DEP_2) | instskip(SKIP_1) | instid1(VALU_DEP_3)
	v_cndmask_b32_e32 v21, v21, v13, vcc_lo
	v_cmp_gt_i32_e32 vcc_lo, 0, v5
	v_cndmask_b32_e64 v22, v22, v23, s6
	v_cndmask_b32_e64 v23, 0, 0x40490fdb, vcc_lo
	v_cmp_ngt_f32_e32 vcc_lo, -1.0, v13
	s_delay_alu instid0(VALU_DEP_3) | instskip(SKIP_2) | instid1(VALU_DEP_2)
	v_sub_f32_e32 v24, 0x40490fdb, v22
	v_cndmask_b32_e32 v21, 0x7fc00000, v21, vcc_lo
	v_cmp_gt_f32_e32 vcc_lo, 0, v5
	v_cndmask_b32_e64 v5, 0xff800000, v21, s7
	s_delay_alu instid0(VALU_DEP_4)
	v_cndmask_b32_e32 v21, v22, v24, vcc_lo
	v_cndmask_b32_e32 v22, 0x3f490fdb, v17, vcc_lo
	v_cmp_gt_f32_e64 vcc_lo, 0x33800000, |v13|
	v_cmp_class_f32_e64 s7, v6, 0x204
	v_cndmask_b32_e32 v5, v5, v13, vcc_lo
	v_cmp_eq_f32_e32 vcc_lo, 0, v6
	s_delay_alu instid0(VALU_DEP_2) | instskip(SKIP_2) | instid1(VALU_DEP_1)
	v_mul_f32_e32 v13, 0.5, v5
	v_cndmask_b32_e32 v21, v21, v23, vcc_lo
	s_and_b32 vcc_lo, s7, s8
	v_cndmask_b32_e32 v21, v21, v22, vcc_lo
.LBB187_93:                             ;   in Loop: Header=BB187_4 Depth=1
	s_or_b32 exec_lo, exec_lo, s33
.LBB187_94:                             ;   in Loop: Header=BB187_4 Depth=1
	s_delay_alu instid0(SALU_CYCLE_1)
	s_or_b32 exec_lo, exec_lo, s31
.LBB187_95:                             ;   in Loop: Header=BB187_4 Depth=1
	s_and_not1_saveexec_b32 s8, s30
	s_cbranch_execz .LBB187_97
; %bb.96:                               ;   in Loop: Header=BB187_4 Depth=1
	v_max_f32_e64 v13, |v6|, |v6|
	v_max_f32_e64 v23, |v5|, |v5|
	v_cmp_gt_i32_e64 s7, 0, v5
	v_cmp_class_f32_e64 s9, v5, 0x204
	v_cmp_class_f32_e64 s10, v6, 0x204
	s_delay_alu instid0(VALU_DEP_4) | instskip(SKIP_1) | instid1(VALU_DEP_2)
	v_max_f32_e32 v24, v23, v13
	v_min_f32_e32 v13, v23, v13
	v_cvt_f64_f32_e32 v[21:22], v24
	s_delay_alu instid0(VALU_DEP_2) | instskip(SKIP_1) | instid1(VALU_DEP_3)
	v_frexp_exp_i32_f32_e32 v25, v13
	v_frexp_mant_f32_e32 v13, v13
	v_frexp_exp_i32_f64_e32 v21, v[21:22]
	v_frexp_mant_f32_e32 v22, v24
	s_delay_alu instid0(VALU_DEP_1) | instskip(SKIP_4) | instid1(VALU_DEP_2)
	v_rcp_f32_e32 v22, v22
	s_waitcnt_depctr 0xfff
	v_mul_f32_e32 v13, v13, v22
	v_frexp_exp_i32_f32_e32 v23, v24
	v_cmp_neq_f32_e32 vcc_lo, 0x7f800000, v24
	v_sub_nc_u32_e32 v23, v25, v23
	s_delay_alu instid0(VALU_DEP_1) | instskip(SKIP_1) | instid1(VALU_DEP_1)
	v_ldexp_f32 v13, v13, v23
	v_sub_nc_u32_e32 v26, 0, v21
	v_ldexp_f32 v22, |v6|, v26
	v_ldexp_f32 v23, |v5|, v26
	s_delay_alu instid0(VALU_DEP_2) | instskip(NEXT) | instid1(VALU_DEP_1)
	v_dual_mul_f32 v22, v22, v22 :: v_dual_mul_f32 v25, v13, v13
	v_dual_fmac_f32 v22, v23, v23 :: v_dual_fmaak_f32 v23, s26, v25, 0xbc7a590c
	s_delay_alu instid0(VALU_DEP_1) | instskip(NEXT) | instid1(VALU_DEP_1)
	v_sqrt_f32_e32 v22, v22
	v_fmaak_f32 v23, v25, v23, 0x3d29fb3f
	s_delay_alu instid0(VALU_DEP_1) | instskip(SKIP_3) | instid1(VALU_DEP_2)
	v_fmaak_f32 v23, v25, v23, 0xbd97d4d7
	s_waitcnt_depctr 0xfff
	v_ldexp_f32 v21, v22, v21
	v_fmaak_f32 v22, v25, v23, 0x3dd931b2
	v_cndmask_b32_e32 v21, 0x7f800000, v21, vcc_lo
	s_delay_alu instid0(VALU_DEP_2) | instskip(NEXT) | instid1(VALU_DEP_2)
	v_fmaak_f32 v22, v25, v22, 0xbe1160e6
	v_cmp_gt_f32_e32 vcc_lo, 0x800000, v21
	s_delay_alu instid0(VALU_DEP_2) | instskip(SKIP_1) | instid1(VALU_DEP_2)
	v_fmaak_f32 v22, v25, v22, 0x3e4cb8bf
	v_cndmask_b32_e64 v23, 1.0, 0x4f800000, vcc_lo
	v_fmaak_f32 v22, v25, v22, 0xbeaaaa62
	s_delay_alu instid0(VALU_DEP_2) | instskip(NEXT) | instid1(VALU_DEP_2)
	v_mul_f32_e32 v21, v21, v23
	v_mul_f32_e32 v22, v25, v22
	s_delay_alu instid0(VALU_DEP_2) | instskip(SKIP_2) | instid1(VALU_DEP_1)
	v_log_f32_e32 v21, v21
	s_waitcnt_depctr 0xfff
	v_dual_fmac_f32 v13, v13, v22 :: v_dual_mul_f32 v22, 0x3f317217, v21
	v_sub_f32_e32 v23, 0x3fc90fdb, v13
	s_delay_alu instid0(VALU_DEP_2) | instskip(NEXT) | instid1(VALU_DEP_2)
	v_fma_f32 v24, 0x3f317217, v21, -v22
	v_cndmask_b32_e64 v13, v13, v23, s6
	v_cndmask_b32_e64 v23, 0, 0x40490fdb, s7
	v_cmp_gt_f32_e64 s7, 0, v5
	s_delay_alu instid0(VALU_DEP_3) | instskip(NEXT) | instid1(VALU_DEP_1)
	v_sub_f32_e32 v25, 0x40490fdb, v13
	v_cndmask_b32_e64 v13, v13, v25, s7
	v_fmac_f32_e32 v24, 0x3377d1cf, v21
	s_delay_alu instid0(VALU_DEP_1) | instskip(SKIP_3) | instid1(VALU_DEP_4)
	v_add_f32_e32 v5, v22, v24
	v_cndmask_b32_e64 v24, 0, 0x41b17218, vcc_lo
	v_cmp_gt_f32_e64 vcc_lo, 0x7f800000, |v21|
	v_cndmask_b32_e64 v22, 0x3f490fdb, v17, s7
	v_cndmask_b32_e32 v5, v21, v5, vcc_lo
	v_cmp_eq_f32_e32 vcc_lo, 0, v6
	v_cndmask_b32_e32 v21, v13, v23, vcc_lo
	s_and_b32 vcc_lo, s10, s9
	s_delay_alu instid0(VALU_DEP_3) | instskip(NEXT) | instid1(VALU_DEP_2)
	v_sub_f32_e32 v13, v5, v24
	v_cndmask_b32_e32 v21, v21, v22, vcc_lo
.LBB187_97:                             ;   in Loop: Header=BB187_4 Depth=1
	s_or_b32 exec_lo, exec_lo, s8
                                        ; implicit-def: $vgpr22
.LBB187_98:                             ;   in Loop: Header=BB187_4 Depth=1
	s_and_not1_saveexec_b32 s8, s29
	s_cbranch_execz .LBB187_104
; %bb.99:                               ;   in Loop: Header=BB187_4 Depth=1
                                        ; implicit-def: $vgpr13
                                        ; implicit-def: $vgpr21
	s_mov_b32 s7, exec_lo
	v_cmpx_ngt_f32_e32 0x1fec1e4a, v22
	s_xor_b32 s9, exec_lo, s7
	s_cbranch_execz .LBB187_101
; %bb.100:                              ;   in Loop: Header=BB187_4 Depth=1
	v_mul_f32_e32 v13, v22, v22
	v_cmp_class_f32_e64 s10, v5, 0x204
	v_cmp_gt_f32_e64 s7, 0, v5
	v_cmp_class_f32_e64 s12, v6, 0x204
	s_delay_alu instid0(VALU_DEP_4) | instskip(NEXT) | instid1(VALU_DEP_1)
	v_add_f32_e32 v23, 1.0, v13
	v_cvt_f64_f32_e32 v[21:22], v23
	s_delay_alu instid0(VALU_DEP_1) | instskip(SKIP_1) | instid1(VALU_DEP_1)
	v_frexp_exp_i32_f64_e32 v21, v[21:22]
	v_frexp_mant_f32_e32 v22, v23
	v_cmp_gt_f32_e32 vcc_lo, 0x3f2aaaab, v22
	v_add_f32_e32 v22, -1.0, v23
	v_cmp_gt_f32_e64 s11, 0x33800000, |v13|
	s_delay_alu instid0(VALU_DEP_2) | instskip(SKIP_2) | instid1(VALU_DEP_2)
	v_dual_sub_f32 v25, v22, v23 :: v_dual_sub_f32 v22, v13, v22
	v_subrev_co_ci_u32_e32 v21, vcc_lo, 0, v21, vcc_lo
	v_cmp_gt_i32_e32 vcc_lo, 0, v5
	v_sub_nc_u32_e32 v24, 0, v21
	v_cvt_f32_i32_e32 v21, v21
	s_delay_alu instid0(VALU_DEP_2) | instskip(NEXT) | instid1(VALU_DEP_1)
	v_ldexp_f32 v23, v23, v24
	v_dual_add_f32 v25, 1.0, v25 :: v_dual_add_f32 v26, 1.0, v23
	s_delay_alu instid0(VALU_DEP_1) | instskip(NEXT) | instid1(VALU_DEP_1)
	v_dual_add_f32 v22, v22, v25 :: v_dual_add_f32 v25, -1.0, v26
	v_ldexp_f32 v22, v22, v24
	s_delay_alu instid0(VALU_DEP_2) | instskip(NEXT) | instid1(VALU_DEP_1)
	v_dual_add_f32 v24, -1.0, v23 :: v_dual_sub_f32 v25, v23, v25
	v_add_f32_e32 v27, 1.0, v24
	s_delay_alu instid0(VALU_DEP_2) | instskip(NEXT) | instid1(VALU_DEP_2)
	v_add_f32_e32 v25, v22, v25
	v_sub_f32_e32 v23, v23, v27
	s_delay_alu instid0(VALU_DEP_1) | instskip(NEXT) | instid1(VALU_DEP_1)
	v_add_f32_e32 v22, v22, v23
	v_dual_add_f32 v28, v24, v22 :: v_dual_add_f32 v27, v26, v25
	s_delay_alu instid0(VALU_DEP_1) | instskip(NEXT) | instid1(VALU_DEP_2)
	v_sub_f32_e32 v24, v24, v28
	v_rcp_f32_e32 v23, v27
	v_sub_f32_e32 v26, v26, v27
	s_delay_alu instid0(VALU_DEP_1) | instskip(SKIP_2) | instid1(VALU_DEP_1)
	v_dual_add_f32 v22, v22, v24 :: v_dual_add_f32 v25, v25, v26
	s_waitcnt_depctr 0xfff
	v_mul_f32_e32 v29, v28, v23
	v_mul_f32_e32 v30, v27, v29
	s_delay_alu instid0(VALU_DEP_1) | instskip(NEXT) | instid1(VALU_DEP_1)
	v_fma_f32 v26, v29, v27, -v30
	v_fmac_f32_e32 v26, v29, v25
	s_delay_alu instid0(VALU_DEP_1) | instskip(NEXT) | instid1(VALU_DEP_1)
	v_add_f32_e32 v31, v30, v26
	v_sub_f32_e32 v32, v28, v31
	s_delay_alu instid0(VALU_DEP_1) | instskip(SKIP_1) | instid1(VALU_DEP_2)
	v_sub_f32_e32 v28, v28, v32
	v_sub_f32_e32 v24, v31, v30
	;; [unrolled: 1-line block ×3, first 2 shown]
	s_delay_alu instid0(VALU_DEP_2) | instskip(NEXT) | instid1(VALU_DEP_2)
	v_sub_f32_e32 v24, v24, v26
	v_add_f32_e32 v22, v22, v28
	s_delay_alu instid0(VALU_DEP_1) | instskip(NEXT) | instid1(VALU_DEP_1)
	v_add_f32_e32 v22, v24, v22
	v_add_f32_e32 v24, v32, v22
	s_delay_alu instid0(VALU_DEP_1) | instskip(NEXT) | instid1(VALU_DEP_1)
	v_mul_f32_e32 v26, v23, v24
	v_dual_sub_f32 v31, v32, v24 :: v_dual_mul_f32 v28, v27, v26
	s_delay_alu instid0(VALU_DEP_1) | instskip(NEXT) | instid1(VALU_DEP_2)
	v_add_f32_e32 v22, v22, v31
	v_fma_f32 v27, v26, v27, -v28
	s_delay_alu instid0(VALU_DEP_1) | instskip(NEXT) | instid1(VALU_DEP_1)
	v_fmac_f32_e32 v27, v26, v25
	v_add_f32_e32 v25, v28, v27
	s_delay_alu instid0(VALU_DEP_1) | instskip(SKIP_1) | instid1(VALU_DEP_2)
	v_sub_f32_e32 v30, v24, v25
	v_sub_f32_e32 v28, v25, v28
	;; [unrolled: 1-line block ×3, first 2 shown]
	s_delay_alu instid0(VALU_DEP_1) | instskip(NEXT) | instid1(VALU_DEP_1)
	v_sub_f32_e32 v24, v24, v25
	v_dual_sub_f32 v25, v28, v27 :: v_dual_add_f32 v22, v22, v24
	v_add_f32_e32 v24, v29, v26
	s_delay_alu instid0(VALU_DEP_1) | instskip(NEXT) | instid1(VALU_DEP_1)
	v_dual_add_f32 v22, v25, v22 :: v_dual_sub_f32 v25, v24, v29
	v_add_f32_e32 v22, v30, v22
	s_delay_alu instid0(VALU_DEP_2) | instskip(SKIP_1) | instid1(VALU_DEP_3)
	v_sub_f32_e32 v25, v26, v25
	v_max_f32_e64 v26, |v5|, |v5|
	v_mul_f32_e32 v22, v23, v22
	v_max_f32_e64 v23, |v6|, |v6|
	s_delay_alu instid0(VALU_DEP_2) | instskip(NEXT) | instid1(VALU_DEP_2)
	v_add_f32_e32 v22, v25, v22
	v_max_f32_e32 v28, v26, v23
	v_min_f32_e32 v23, v26, v23
	s_delay_alu instid0(VALU_DEP_3) | instskip(NEXT) | instid1(VALU_DEP_3)
	v_add_f32_e32 v25, v24, v22
	v_frexp_mant_f32_e32 v30, v28
	v_frexp_exp_i32_f32_e32 v26, v28
	s_delay_alu instid0(VALU_DEP_3) | instskip(SKIP_2) | instid1(VALU_DEP_2)
	v_mul_f32_e32 v27, v25, v25
	v_sub_f32_e32 v24, v25, v24
	v_ldexp_f32 v31, v25, 1
	v_dual_fmaak_f32 v29, s21, v27, 0x3ecc95a3 :: v_dual_sub_f32 v22, v22, v24
	s_delay_alu instid0(VALU_DEP_1) | instskip(NEXT) | instid1(VALU_DEP_2)
	v_ldexp_f32 v22, v22, 1
	v_dual_mul_f32 v28, v25, v27 :: v_dual_fmaak_f32 v27, v27, v29, 0x3f2aaada
	v_rcp_f32_e32 v29, v30
	v_frexp_exp_i32_f32_e32 v30, v23
	v_frexp_mant_f32_e32 v23, v23
	s_delay_alu instid0(VALU_DEP_3) | instskip(NEXT) | instid1(VALU_DEP_3)
	v_dual_mul_f32 v27, v28, v27 :: v_dual_mul_f32 v28, 0x3f317218, v21
	v_sub_nc_u32_e32 v26, v30, v26
	s_delay_alu instid0(VALU_DEP_2) | instskip(SKIP_2) | instid1(VALU_DEP_1)
	v_add_f32_e32 v25, v31, v27
	s_waitcnt_depctr 0xfff
	v_mul_f32_e32 v23, v23, v29
	v_ldexp_f32 v23, v23, v26
	v_sub_f32_e32 v24, v25, v31
	v_fma_f32 v26, 0x3f317218, v21, -v28
	s_delay_alu instid0(VALU_DEP_2) | instskip(NEXT) | instid1(VALU_DEP_2)
	v_sub_f32_e32 v24, v27, v24
	v_dual_mul_f32 v27, v23, v23 :: v_dual_fmac_f32 v26, 0xb102e308, v21
	s_delay_alu instid0(VALU_DEP_1) | instskip(NEXT) | instid1(VALU_DEP_1)
	v_dual_add_f32 v21, v22, v24 :: v_dual_fmaak_f32 v22, s26, v27, 0xbc7a590c
	v_dual_add_f32 v24, v28, v26 :: v_dual_add_f32 v29, v25, v21
	s_delay_alu instid0(VALU_DEP_2) | instskip(NEXT) | instid1(VALU_DEP_2)
	v_fmaak_f32 v22, v27, v22, 0x3d29fb3f
	v_add_f32_e32 v30, v24, v29
	s_delay_alu instid0(VALU_DEP_2) | instskip(NEXT) | instid1(VALU_DEP_1)
	v_dual_fmaak_f32 v22, v27, v22, 0xbd97d4d7 :: v_dual_sub_f32 v25, v29, v25
	v_dual_sub_f32 v31, v30, v24 :: v_dual_fmaak_f32 v22, v27, v22, 0x3dd931b2
	s_delay_alu instid0(VALU_DEP_1) | instskip(SKIP_1) | instid1(VALU_DEP_3)
	v_dual_sub_f32 v21, v21, v25 :: v_dual_sub_f32 v32, v30, v31
	v_dual_sub_f32 v25, v29, v31 :: v_dual_sub_f32 v28, v24, v28
	v_fmaak_f32 v22, v27, v22, 0xbe1160e6
	s_delay_alu instid0(VALU_DEP_3) | instskip(NEXT) | instid1(VALU_DEP_3)
	v_sub_f32_e32 v24, v24, v32
	v_sub_f32_e32 v26, v26, v28
	s_delay_alu instid0(VALU_DEP_3) | instskip(NEXT) | instid1(VALU_DEP_3)
	v_fmaak_f32 v22, v27, v22, 0x3e4cb8bf
	v_add_f32_e32 v24, v25, v24
	s_delay_alu instid0(VALU_DEP_3) | instskip(NEXT) | instid1(VALU_DEP_3)
	v_add_f32_e32 v28, v26, v21
	v_fmaak_f32 v22, v27, v22, 0xbeaaaa62
	s_delay_alu instid0(VALU_DEP_2) | instskip(NEXT) | instid1(VALU_DEP_4)
	v_sub_f32_e32 v25, v28, v26
	v_add_f32_e32 v24, v28, v24
	s_delay_alu instid0(VALU_DEP_2) | instskip(NEXT) | instid1(VALU_DEP_1)
	v_dual_mul_f32 v22, v27, v22 :: v_dual_sub_f32 v27, v28, v25
	v_dual_add_f32 v28, v30, v24 :: v_dual_fmac_f32 v23, v23, v22
	s_delay_alu instid0(VALU_DEP_2) | instskip(NEXT) | instid1(VALU_DEP_2)
	v_dual_sub_f32 v21, v21, v25 :: v_dual_sub_f32 v22, v26, v27
	v_dual_sub_f32 v25, v28, v30 :: v_dual_sub_f32 v26, 0x3fc90fdb, v23
	s_delay_alu instid0(VALU_DEP_1) | instskip(NEXT) | instid1(VALU_DEP_2)
	v_dual_add_f32 v21, v21, v22 :: v_dual_sub_f32 v22, v24, v25
	v_cndmask_b32_e64 v23, v23, v26, s6
	v_cndmask_b32_e64 v24, 0, 0x40490fdb, vcc_lo
	v_cmp_eq_f32_e32 vcc_lo, 0x7f800000, v13
	s_delay_alu instid0(VALU_DEP_3) | instskip(SKIP_1) | instid1(VALU_DEP_1)
	v_dual_add_f32 v21, v21, v22 :: v_dual_sub_f32 v22, 0x40490fdb, v23
	s_or_b32 vcc_lo, vcc_lo, s11
	v_add_f32_e32 v5, v28, v21
	s_delay_alu instid0(VALU_DEP_2) | instskip(SKIP_1) | instid1(VALU_DEP_3)
	v_cndmask_b32_e64 v21, v23, v22, s7
	v_cndmask_b32_e64 v22, 0x3f490fdb, v17, s7
	v_cndmask_b32_e32 v5, v5, v13, vcc_lo
	v_cmp_eq_f32_e32 vcc_lo, 0, v6
	s_delay_alu instid0(VALU_DEP_2) | instskip(SKIP_2) | instid1(VALU_DEP_1)
	v_mul_f32_e32 v13, 0.5, v5
	v_cndmask_b32_e32 v21, v21, v24, vcc_lo
	s_and_b32 vcc_lo, s12, s10
	v_cndmask_b32_e32 v21, v21, v22, vcc_lo
                                        ; implicit-def: $vgpr22
.LBB187_101:                            ;   in Loop: Header=BB187_4 Depth=1
	s_and_not1_saveexec_b32 s9, s9
	s_cbranch_execz .LBB187_103
; %bb.102:                              ;   in Loop: Header=BB187_4 Depth=1
	v_max_f32_e64 v13, |v6|, |v6|
	v_max_f32_e64 v21, |v5|, |v5|
	v_cmp_gt_i32_e32 vcc_lo, 0, v5
	v_cmp_eq_f32_e64 s7, 0, v6
	v_cmp_class_f32_e64 s10, v5, 0x204
	v_cmp_class_f32_e64 s11, v6, 0x204
	v_max_f32_e32 v23, v21, v13
	v_min_f32_e32 v13, v21, v13
	s_delay_alu instid0(VALU_DEP_2) | instskip(SKIP_1) | instid1(VALU_DEP_2)
	v_frexp_mant_f32_e32 v24, v23
	v_frexp_exp_i32_f32_e32 v23, v23
	v_rcp_f32_e32 v21, v24
	s_delay_alu instid0(VALU_DEP_3) | instskip(SKIP_1) | instid1(VALU_DEP_2)
	v_frexp_exp_i32_f32_e32 v24, v13
	v_frexp_mant_f32_e32 v13, v13
	v_sub_nc_u32_e32 v23, v24, v23
	s_waitcnt_depctr 0xfff
	v_mul_f32_e32 v13, v13, v21
	s_delay_alu instid0(VALU_DEP_1) | instskip(NEXT) | instid1(VALU_DEP_1)
	v_ldexp_f32 v13, v13, v23
	v_mul_f32_e32 v21, v13, v13
	s_delay_alu instid0(VALU_DEP_1) | instskip(NEXT) | instid1(VALU_DEP_1)
	v_fmaak_f32 v23, s26, v21, 0xbc7a590c
	v_fmaak_f32 v23, v21, v23, 0x3d29fb3f
	s_delay_alu instid0(VALU_DEP_1) | instskip(NEXT) | instid1(VALU_DEP_1)
	v_fmaak_f32 v23, v21, v23, 0xbd97d4d7
	v_fmaak_f32 v23, v21, v23, 0x3dd931b2
	s_delay_alu instid0(VALU_DEP_1) | instskip(NEXT) | instid1(VALU_DEP_1)
	v_fmaak_f32 v23, v21, v23, 0xbe1160e6
	v_fmaak_f32 v23, v21, v23, 0x3e4cb8bf
	s_delay_alu instid0(VALU_DEP_1) | instskip(NEXT) | instid1(VALU_DEP_1)
	v_fmaak_f32 v23, v21, v23, 0xbeaaaa62
	v_mul_f32_e32 v21, v21, v23
	v_cndmask_b32_e64 v23, 0, 0x40490fdb, vcc_lo
	v_cmp_gt_f32_e32 vcc_lo, 0, v5
	s_delay_alu instid0(VALU_DEP_3) | instskip(NEXT) | instid1(VALU_DEP_1)
	v_fmac_f32_e32 v13, v13, v21
	v_sub_f32_e32 v21, 0x3fc90fdb, v13
	s_delay_alu instid0(VALU_DEP_1) | instskip(NEXT) | instid1(VALU_DEP_1)
	v_cndmask_b32_e64 v13, v13, v21, s6
	v_sub_f32_e32 v21, 0x40490fdb, v13
	s_delay_alu instid0(VALU_DEP_1) | instskip(SKIP_1) | instid1(VALU_DEP_2)
	v_cndmask_b32_e32 v13, v13, v21, vcc_lo
	v_mul_f32_e32 v21, 0.5, v22
	v_cndmask_b32_e64 v5, v13, v23, s7
	v_cndmask_b32_e32 v23, 0x3f490fdb, v17, vcc_lo
	s_and_b32 vcc_lo, s11, s10
	s_delay_alu instid0(VALU_DEP_3) | instskip(NEXT) | instid1(VALU_DEP_2)
	v_mul_f32_e32 v13, v22, v21
	v_cndmask_b32_e32 v21, v5, v23, vcc_lo
.LBB187_103:                            ;   in Loop: Header=BB187_4 Depth=1
	s_or_b32 exec_lo, exec_lo, s9
.LBB187_104:                            ;   in Loop: Header=BB187_4 Depth=1
	s_delay_alu instid0(SALU_CYCLE_1)
	s_or_b32 exec_lo, exec_lo, s8
.LBB187_105:                            ;   in Loop: Header=BB187_4 Depth=1
	s_and_not1_saveexec_b32 s8, s28
	s_cbranch_execz .LBB187_107
; %bb.106:                              ;   in Loop: Header=BB187_4 Depth=1
	v_div_scale_f32 v13, null, 0x402df854, 0x402df854, v5
	v_div_scale_f32 v21, null, 0x402df854, 0x402df854, v6
	v_div_scale_f32 v26, vcc_lo, v5, 0x402df854, v5
	s_delay_alu instid0(VALU_DEP_3) | instskip(NEXT) | instid1(VALU_DEP_2)
	v_rcp_f32_e32 v22, v13
	v_rcp_f32_e32 v23, v21
	v_cmp_class_f32_e64 s9, v6, 0x204
	s_waitcnt_depctr 0xfff
	v_fma_f32 v24, -v13, v22, 1.0
	v_fma_f32 v25, -v21, v23, 1.0
	s_delay_alu instid0(VALU_DEP_1) | instskip(SKIP_1) | instid1(VALU_DEP_2)
	v_dual_fmac_f32 v22, v24, v22 :: v_dual_fmac_f32 v23, v25, v23
	v_div_scale_f32 v24, s7, v6, 0x402df854, v6
	v_mul_f32_e32 v25, v26, v22
	s_delay_alu instid0(VALU_DEP_1) | instskip(NEXT) | instid1(VALU_DEP_1)
	v_fma_f32 v28, -v13, v25, v26
	v_fmac_f32_e32 v25, v28, v22
	s_delay_alu instid0(VALU_DEP_1) | instskip(NEXT) | instid1(VALU_DEP_1)
	v_fma_f32 v13, -v13, v25, v26
	v_div_fmas_f32 v13, v13, v22, v25
	v_max_f32_e64 v25, |v5|, |v5|
	v_mul_f32_e32 v27, v24, v23
	s_mov_b32 vcc_lo, s7
	v_cmp_class_f32_e64 s7, v5, 0x204
	v_div_fixup_f32 v13, v13, 0x402df854, v5
	s_delay_alu instid0(VALU_DEP_3) | instskip(NEXT) | instid1(VALU_DEP_1)
	v_fma_f32 v29, -v21, v27, v24
	v_fmac_f32_e32 v27, v29, v23
	s_delay_alu instid0(VALU_DEP_1) | instskip(NEXT) | instid1(VALU_DEP_1)
	v_fma_f32 v21, -v21, v27, v24
	v_div_fmas_f32 v21, v21, v23, v27
	s_delay_alu instid0(VALU_DEP_1) | instskip(NEXT) | instid1(VALU_DEP_1)
	v_div_fixup_f32 v23, v21, 0x402df854, v6
	v_max_f32_e64 v24, |v13|, |v23|
	s_delay_alu instid0(VALU_DEP_1) | instskip(SKIP_1) | instid1(VALU_DEP_2)
	v_cvt_f64_f32_e32 v[21:22], v24
	v_cmp_neq_f32_e32 vcc_lo, 0x7f800000, v24
	v_frexp_exp_i32_f64_e32 v21, v[21:22]
	v_max_f32_e64 v22, |v6|, |v6|
	s_delay_alu instid0(VALU_DEP_1) | instskip(SKIP_1) | instid1(VALU_DEP_2)
	v_max_f32_e32 v26, v25, v22
	v_min_f32_e32 v22, v25, v22
	v_frexp_mant_f32_e32 v27, v26
	v_frexp_exp_i32_f32_e32 v26, v26
	s_delay_alu instid0(VALU_DEP_2) | instskip(SKIP_1) | instid1(VALU_DEP_1)
	v_rcp_f32_e32 v25, v27
	v_sub_nc_u32_e32 v27, 0, v21
	v_ldexp_f32 v23, |v23|, v27
	v_ldexp_f32 v13, |v13|, v27
	s_delay_alu instid0(VALU_DEP_2) | instskip(SKIP_2) | instid1(VALU_DEP_3)
	v_mul_f32_e32 v23, v23, v23
	v_frexp_exp_i32_f32_e32 v28, v22
	v_frexp_mant_f32_e32 v22, v22
	v_fmac_f32_e32 v23, v13, v13
	s_delay_alu instid0(VALU_DEP_3)
	v_sub_nc_u32_e32 v26, v28, v26
	s_delay_alu instid0(TRANS32_DEP_1) | instid1(VALU_DEP_3)
	v_mul_f32_e32 v22, v22, v25
	s_delay_alu instid0(VALU_DEP_3) | instskip(NEXT) | instid1(VALU_DEP_1)
	v_sqrt_f32_e32 v23, v23
	v_ldexp_f32 v22, v22, v26
	s_delay_alu instid0(VALU_DEP_1) | instskip(SKIP_3) | instid1(VALU_DEP_2)
	v_mul_f32_e32 v13, v22, v22
	s_waitcnt_depctr 0xfff
	v_ldexp_f32 v21, v23, v21
	v_fmaak_f32 v25, s26, v13, 0xbc7a590c
	v_cndmask_b32_e32 v21, 0x7f800000, v21, vcc_lo
	s_delay_alu instid0(VALU_DEP_2) | instskip(NEXT) | instid1(VALU_DEP_2)
	v_fmaak_f32 v25, v13, v25, 0x3d29fb3f
	v_cmp_gt_f32_e32 vcc_lo, 0x800000, v21
	s_delay_alu instid0(VALU_DEP_2) | instskip(SKIP_2) | instid1(VALU_DEP_3)
	v_fmaak_f32 v23, v13, v25, 0xbd97d4d7
	v_cndmask_b32_e64 v24, 1.0, 0x4f800000, vcc_lo
	v_cndmask_b32_e64 v25, 0, 0x41b17218, vcc_lo
	v_fmaak_f32 v23, v13, v23, 0x3dd931b2
	s_delay_alu instid0(VALU_DEP_3) | instskip(NEXT) | instid1(VALU_DEP_2)
	v_mul_f32_e32 v21, v21, v24
	v_fmaak_f32 v23, v13, v23, 0xbe1160e6
	s_delay_alu instid0(VALU_DEP_2) | instskip(NEXT) | instid1(VALU_DEP_1)
	v_log_f32_e32 v21, v21
	v_fmaak_f32 v23, v13, v23, 0x3e4cb8bf
	s_delay_alu instid0(VALU_DEP_1) | instskip(SKIP_4) | instid1(VALU_DEP_2)
	v_fmaak_f32 v23, v13, v23, 0xbeaaaa62
	s_waitcnt_depctr 0xfff
	v_cmp_gt_f32_e64 vcc_lo, 0x7f800000, |v21|
	v_mul_f32_e32 v13, v13, v23
	v_mul_f32_e32 v23, 0x3f317217, v21
	v_fmac_f32_e32 v22, v22, v13
	s_delay_alu instid0(VALU_DEP_2) | instskip(NEXT) | instid1(VALU_DEP_2)
	v_fma_f32 v13, 0x3f317217, v21, -v23
	v_sub_f32_e32 v24, 0x3fc90fdb, v22
	s_delay_alu instid0(VALU_DEP_2) | instskip(NEXT) | instid1(VALU_DEP_2)
	v_fmac_f32_e32 v13, 0x3377d1cf, v21
	v_cndmask_b32_e64 v22, v22, v24, s6
	v_cmp_gt_i32_e64 s6, 0, v5
	s_delay_alu instid0(VALU_DEP_3) | instskip(NEXT) | instid1(VALU_DEP_3)
	v_add_f32_e32 v13, v23, v13
	v_sub_f32_e32 v23, 0x40490fdb, v22
	s_delay_alu instid0(VALU_DEP_3) | instskip(SKIP_1) | instid1(VALU_DEP_4)
	v_cndmask_b32_e64 v24, 0, 0x40490fdb, s6
	v_cmp_gt_f32_e64 s6, 0, v5
	v_cndmask_b32_e32 v13, v21, v13, vcc_lo
	v_cmp_eq_f32_e32 vcc_lo, 0, v6
	s_delay_alu instid0(VALU_DEP_3) | instskip(SKIP_1) | instid1(VALU_DEP_4)
	v_cndmask_b32_e64 v5, v22, v23, s6
	v_cndmask_b32_e64 v21, 0x3f490fdb, v17, s6
	v_sub_f32_e32 v13, v13, v25
	s_delay_alu instid0(VALU_DEP_3) | instskip(SKIP_1) | instid1(VALU_DEP_2)
	v_cndmask_b32_e32 v5, v5, v24, vcc_lo
	s_and_b32 vcc_lo, s9, s7
	v_add_f32_e32 v13, 1.0, v13
	s_delay_alu instid0(VALU_DEP_2)
	v_cndmask_b32_e32 v21, v5, v21, vcc_lo
.LBB187_107:                            ;   in Loop: Header=BB187_4 Depth=1
	s_or_b32 exec_lo, exec_lo, s8
.LBB187_108:                            ;   in Loop: Header=BB187_4 Depth=1
	s_and_not1_saveexec_b32 s6, s27
	s_cbranch_execz .LBB187_114
; %bb.109:                              ;   in Loop: Header=BB187_4 Depth=1
	v_cmp_ngt_f32_e64 s7, 0x20000000, |v5|
	v_cmp_ngt_f32_e64 s8, 0x20000000, |v6|
                                        ; implicit-def: $vgpr13
	s_delay_alu instid0(VALU_DEP_1) | instskip(NEXT) | instid1(SALU_CYCLE_1)
	s_or_b32 s7, s8, s7
	s_and_saveexec_b32 s8, s7
	s_delay_alu instid0(SALU_CYCLE_1)
	s_xor_b32 s7, exec_lo, s8
; %bb.110:                              ;   in Loop: Header=BB187_4 Depth=1
	v_mul_f32_e32 v13, v5, v5
	s_delay_alu instid0(VALU_DEP_1)
	v_fmac_f32_e32 v13, v6, v6
; %bb.111:                              ;   in Loop: Header=BB187_4 Depth=1
	s_and_not1_saveexec_b32 s7, s7
; %bb.112:                              ;   in Loop: Header=BB187_4 Depth=1
	v_mul_f32_e32 v5, 4.0, v5
	v_mul_f32_e32 v13, 4.0, v6
	s_delay_alu instid0(VALU_DEP_2) | instskip(NEXT) | instid1(VALU_DEP_1)
	v_mul_f32_e32 v5, v5, v5
	v_fmac_f32_e32 v5, v13, v13
	s_delay_alu instid0(VALU_DEP_1)
	v_mul_f32_e32 v13, 0x3d800000, v5
; %bb.113:                              ;   in Loop: Header=BB187_4 Depth=1
	s_or_b32 exec_lo, exec_lo, s7
	s_delay_alu instid0(VALU_DEP_1) | instskip(SKIP_1) | instid1(VALU_DEP_1)
	v_cmp_gt_f32_e32 vcc_lo, 0x800000, v13
	v_cndmask_b32_e64 v5, 1.0, 0x4f800000, vcc_lo
	v_mul_f32_e32 v5, v13, v5
	s_delay_alu instid0(VALU_DEP_1) | instskip(SKIP_2) | instid1(VALU_DEP_1)
	v_log_f32_e32 v5, v5
	s_waitcnt_depctr 0xfff
	v_mul_f32_e32 v13, 0x3f317217, v5
	v_fma_f32 v21, 0x3f317217, v5, -v13
	s_delay_alu instid0(VALU_DEP_1) | instskip(NEXT) | instid1(VALU_DEP_1)
	v_fmac_f32_e32 v21, 0x3377d1cf, v5
	v_add_f32_e32 v13, v13, v21
	v_cndmask_b32_e64 v21, 0, 0x41b17218, vcc_lo
	v_cmp_gt_f32_e64 vcc_lo, 0x7f800000, |v5|
	s_delay_alu instid0(VALU_DEP_3) | instskip(NEXT) | instid1(VALU_DEP_1)
	v_cndmask_b32_e32 v5, v5, v13, vcc_lo
	v_sub_f32_e32 v13, v5, v21
	v_mov_b32_e32 v21, 0x7fc00000
.LBB187_114:                            ;   in Loop: Header=BB187_4 Depth=1
	s_or_b32 exec_lo, exec_lo, s6
                                        ; implicit-def: $vgpr5
                                        ; implicit-def: $vgpr22
	s_delay_alu instid0(SALU_CYCLE_1)
	s_mov_b32 s6, exec_lo
	v_cmpx_o_f32_e32 v8, v7
	s_xor_b32 s27, exec_lo, s6
	s_cbranch_execnz .LBB187_120
; %bb.115:                              ;   in Loop: Header=BB187_4 Depth=1
	s_and_not1_saveexec_b32 s6, s27
	s_cbranch_execnz .LBB187_147
.LBB187_116:                            ;   in Loop: Header=BB187_4 Depth=1
	s_or_b32 exec_lo, exec_lo, s6
	s_and_saveexec_b32 s6, s5
	s_delay_alu instid0(SALU_CYCLE_1)
	s_xor_b32 s6, exec_lo, s6
	s_cbranch_execnz .LBB187_152
.LBB187_117:                            ;   in Loop: Header=BB187_4 Depth=1
	s_or_b32 exec_lo, exec_lo, s6
	s_and_saveexec_b32 s5, s4
	s_cbranch_execnz .LBB187_153
.LBB187_118:                            ;   in Loop: Header=BB187_4 Depth=1
	s_or_b32 exec_lo, exec_lo, s5
	s_and_saveexec_b32 s4, s3
	s_cbranch_execnz .LBB187_154
.LBB187_119:                            ;   in Loop: Header=BB187_4 Depth=1
	s_or_b32 exec_lo, exec_lo, s4
	s_and_saveexec_b32 s3, s2
	s_cbranch_execz .LBB187_3
	s_branch .LBB187_155
.LBB187_120:                            ;   in Loop: Header=BB187_4 Depth=1
	v_cmp_lt_f32_e64 s6, |v7|, |v8|
                                        ; implicit-def: $vgpr5
                                        ; implicit-def: $vgpr22
	s_mov_b32 s7, exec_lo
	s_delay_alu instid0(VALU_DEP_1) | instskip(NEXT) | instid1(VALU_DEP_1)
	v_cndmask_b32_e64 v23, |v8|, |v7|, s6
	v_cmpx_nlt_f32_e32 0x77f684df, v23
	s_xor_b32 s28, exec_lo, s7
	s_cbranch_execz .LBB187_144
; %bb.121:                              ;   in Loop: Header=BB187_4 Depth=1
	v_and_b32_e32 v5, 0x7fffffff, v8
                                        ; implicit-def: $vgpr22
	s_mov_b32 s7, exec_lo
	s_delay_alu instid0(VALU_DEP_1) | instskip(NEXT) | instid1(VALU_DEP_1)
	v_cndmask_b32_e64 v24, |v7|, v5, s6
                                        ; implicit-def: $vgpr5
	v_cmpx_neq_f32_e32 1.0, v24
	s_xor_b32 s29, exec_lo, s7
	s_cbranch_execz .LBB187_137
; %bb.122:                              ;   in Loop: Header=BB187_4 Depth=1
	v_dual_max_f32 v5, v23, v23 :: v_dual_max_f32 v22, v24, v24
	s_delay_alu instid0(VALU_DEP_1) | instskip(SKIP_1) | instid1(VALU_DEP_2)
	v_min_f32_e32 v25, v22, v5
	v_max_f32_e32 v5, v22, v5
                                        ; implicit-def: $vgpr22
	v_cmp_ngt_f32_e32 vcc_lo, 0x358637bd, v25
	s_delay_alu instid0(VALU_DEP_2) | instskip(NEXT) | instid1(VALU_DEP_1)
	v_cmp_nlt_f32_e64 s7, 0x49742400, v5
                                        ; implicit-def: $vgpr5
	s_and_b32 s7, s7, vcc_lo
	s_delay_alu instid0(SALU_CYCLE_1) | instskip(NEXT) | instid1(SALU_CYCLE_1)
	s_and_saveexec_b32 s8, s7
	s_xor_b32 s30, exec_lo, s8
	s_cbranch_execz .LBB187_134
; %bb.123:                              ;   in Loop: Header=BB187_4 Depth=1
                                        ; implicit-def: $vgpr5
                                        ; implicit-def: $vgpr22
	s_mov_b32 s7, exec_lo
	v_cmpx_le_f32_e32 1.0, v24
	s_xor_b32 s8, exec_lo, s7
	s_cbranch_execz .LBB187_125
; %bb.124:                              ;   in Loop: Header=BB187_4 Depth=1
	v_add_f32_e32 v5, -1.0, v24
	v_add_f32_e32 v22, 1.0, v24
	v_cmp_class_f32_e64 s9, v7, 0x204
	s_delay_alu instid0(VALU_DEP_2) | instskip(NEXT) | instid1(VALU_DEP_1)
	v_mul_f32_e32 v5, v5, v22
	v_fmac_f32_e32 v5, v23, v23
	s_delay_alu instid0(VALU_DEP_1) | instskip(SKIP_1) | instid1(VALU_DEP_2)
	v_add_f32_e32 v24, 1.0, v5
	v_cmp_neq_f32_e64 s7, -1.0, v5
	v_cvt_f64_f32_e32 v[22:23], v24
	s_delay_alu instid0(VALU_DEP_1) | instskip(SKIP_1) | instid1(VALU_DEP_1)
	v_frexp_exp_i32_f64_e32 v22, v[22:23]
	v_frexp_mant_f32_e32 v23, v24
	v_cmp_gt_f32_e32 vcc_lo, 0x3f2aaaab, v23
	v_add_f32_e32 v23, -1.0, v24
	s_delay_alu instid0(VALU_DEP_1) | instskip(NEXT) | instid1(VALU_DEP_1)
	v_dual_sub_f32 v26, v23, v24 :: v_dual_sub_f32 v23, v5, v23
	v_add_f32_e32 v26, 1.0, v26
	s_delay_alu instid0(VALU_DEP_1) | instskip(SKIP_2) | instid1(VALU_DEP_2)
	v_add_f32_e32 v23, v23, v26
	v_subrev_co_ci_u32_e32 v22, vcc_lo, 0, v22, vcc_lo
	v_cmp_eq_f32_e32 vcc_lo, 0x7f800000, v5
	v_sub_nc_u32_e32 v25, 0, v22
	v_cvt_f32_i32_e32 v22, v22
	s_delay_alu instid0(VALU_DEP_2) | instskip(SKIP_1) | instid1(VALU_DEP_2)
	v_ldexp_f32 v24, v24, v25
	v_ldexp_f32 v23, v23, v25
	v_add_f32_e32 v27, 1.0, v24
	s_delay_alu instid0(VALU_DEP_1) | instskip(NEXT) | instid1(VALU_DEP_1)
	v_add_f32_e32 v26, -1.0, v27
	v_dual_sub_f32 v26, v24, v26 :: v_dual_add_f32 v25, -1.0, v24
	s_delay_alu instid0(VALU_DEP_1) | instskip(NEXT) | instid1(VALU_DEP_2)
	v_add_f32_e32 v26, v23, v26
	v_add_f32_e32 v28, 1.0, v25
	s_delay_alu instid0(VALU_DEP_1) | instskip(NEXT) | instid1(VALU_DEP_1)
	v_sub_f32_e32 v24, v24, v28
	v_add_f32_e32 v23, v23, v24
	s_delay_alu instid0(VALU_DEP_1) | instskip(NEXT) | instid1(VALU_DEP_1)
	v_dual_add_f32 v29, v25, v23 :: v_dual_add_f32 v28, v27, v26
	v_sub_f32_e32 v25, v29, v25
	s_delay_alu instid0(VALU_DEP_2) | instskip(SKIP_1) | instid1(VALU_DEP_1)
	v_rcp_f32_e32 v24, v28
	v_sub_f32_e32 v27, v28, v27
	v_dual_sub_f32 v26, v26, v27 :: v_dual_sub_f32 v23, v23, v25
	s_waitcnt_depctr 0xfff
	v_mul_f32_e32 v30, v29, v24
	s_delay_alu instid0(VALU_DEP_1) | instskip(NEXT) | instid1(VALU_DEP_1)
	v_mul_f32_e32 v31, v28, v30
	v_fma_f32 v27, v30, v28, -v31
	s_delay_alu instid0(VALU_DEP_1) | instskip(NEXT) | instid1(VALU_DEP_1)
	v_fmac_f32_e32 v27, v30, v26
	v_add_f32_e32 v32, v31, v27
	s_delay_alu instid0(VALU_DEP_1) | instskip(SKIP_1) | instid1(VALU_DEP_2)
	v_sub_f32_e32 v33, v29, v32
	v_sub_f32_e32 v25, v32, v31
	;; [unrolled: 1-line block ×3, first 2 shown]
	s_delay_alu instid0(VALU_DEP_2) | instskip(NEXT) | instid1(VALU_DEP_2)
	v_sub_f32_e32 v25, v25, v27
	v_sub_f32_e32 v29, v29, v32
	s_delay_alu instid0(VALU_DEP_1) | instskip(NEXT) | instid1(VALU_DEP_1)
	v_add_f32_e32 v23, v23, v29
	v_add_f32_e32 v23, v25, v23
	s_delay_alu instid0(VALU_DEP_1) | instskip(NEXT) | instid1(VALU_DEP_1)
	v_add_f32_e32 v25, v33, v23
	v_mul_f32_e32 v27, v24, v25
	s_delay_alu instid0(VALU_DEP_1) | instskip(NEXT) | instid1(VALU_DEP_1)
	v_dual_sub_f32 v32, v33, v25 :: v_dual_mul_f32 v29, v28, v27
	v_add_f32_e32 v23, v23, v32
	s_delay_alu instid0(VALU_DEP_2) | instskip(NEXT) | instid1(VALU_DEP_1)
	v_fma_f32 v28, v27, v28, -v29
	v_fmac_f32_e32 v28, v27, v26
	s_delay_alu instid0(VALU_DEP_1) | instskip(NEXT) | instid1(VALU_DEP_1)
	v_add_f32_e32 v26, v29, v28
	v_sub_f32_e32 v31, v25, v26
	v_sub_f32_e32 v29, v26, v29
	s_delay_alu instid0(VALU_DEP_2) | instskip(NEXT) | instid1(VALU_DEP_1)
	v_sub_f32_e32 v25, v25, v31
	v_sub_f32_e32 v25, v25, v26
	s_delay_alu instid0(VALU_DEP_3) | instskip(SKIP_1) | instid1(VALU_DEP_3)
	v_sub_f32_e32 v26, v29, v28
	v_max_f32_e64 v28, |v8|, |v8|
	v_add_f32_e32 v23, v23, v25
	v_add_f32_e32 v25, v30, v27
	s_delay_alu instid0(VALU_DEP_1) | instskip(NEXT) | instid1(VALU_DEP_1)
	v_dual_add_f32 v23, v26, v23 :: v_dual_sub_f32 v26, v25, v30
	v_add_f32_e32 v23, v31, v23
	s_delay_alu instid0(VALU_DEP_2) | instskip(SKIP_1) | instid1(VALU_DEP_3)
	v_sub_f32_e32 v26, v27, v26
	v_mul_f32_e32 v31, 0x3f317218, v22
	v_mul_f32_e32 v23, v24, v23
	s_delay_alu instid0(VALU_DEP_2) | instskip(NEXT) | instid1(VALU_DEP_1)
	v_fma_f32 v32, 0x3f317218, v22, -v31
	v_dual_add_f32 v23, v26, v23 :: v_dual_fmac_f32 v32, 0xb102e308, v22
	s_delay_alu instid0(VALU_DEP_1) | instskip(NEXT) | instid1(VALU_DEP_1)
	v_add_f32_e32 v24, v25, v23
	v_mul_f32_e32 v26, v24, v24
	v_ldexp_f32 v30, v24, 1
	s_delay_alu instid0(VALU_DEP_2) | instskip(SKIP_2) | instid1(VALU_DEP_3)
	v_fmaak_f32 v27, s21, v26, 0x3ecc95a3
	v_mul_f32_e32 v29, v24, v26
	v_sub_f32_e32 v24, v24, v25
	v_fmaak_f32 v26, v26, v27, 0x3f2aaada
	v_max_f32_e64 v27, |v7|, |v7|
	s_delay_alu instid0(VALU_DEP_2) | instskip(NEXT) | instid1(VALU_DEP_2)
	v_dual_sub_f32 v23, v23, v24 :: v_dual_mul_f32 v26, v29, v26
	v_max_f32_e32 v29, v27, v28
	v_min_f32_e32 v27, v27, v28
	s_delay_alu instid0(VALU_DEP_3) | instskip(NEXT) | instid1(VALU_DEP_4)
	v_ldexp_f32 v23, v23, 1
	v_add_f32_e32 v25, v30, v26
	s_delay_alu instid0(VALU_DEP_4) | instskip(SKIP_1) | instid1(VALU_DEP_3)
	v_frexp_mant_f32_e32 v28, v29
	v_frexp_exp_i32_f32_e32 v29, v29
	v_sub_f32_e32 v24, v25, v30
	s_delay_alu instid0(VALU_DEP_3) | instskip(SKIP_1) | instid1(VALU_DEP_2)
	v_rcp_f32_e32 v28, v28
	v_frexp_exp_i32_f32_e32 v30, v27
	v_sub_f32_e32 v24, v26, v24
	v_frexp_mant_f32_e32 v26, v27
	s_delay_alu instid0(VALU_DEP_3) | instskip(NEXT) | instid1(VALU_DEP_3)
	v_sub_nc_u32_e32 v27, v30, v29
	v_add_f32_e32 v22, v23, v24
	v_add_f32_e32 v24, v31, v32
	s_delay_alu instid0(VALU_DEP_1) | instskip(NEXT) | instid1(VALU_DEP_1)
	v_sub_f32_e32 v31, v24, v31
	v_sub_f32_e32 v31, v32, v31
	s_delay_alu instid0(TRANS32_DEP_1) | instid1(VALU_DEP_4)
	v_dual_mul_f32 v23, v26, v28 :: v_dual_add_f32 v26, v25, v22
	s_delay_alu instid0(VALU_DEP_1) | instskip(NEXT) | instid1(VALU_DEP_2)
	v_ldexp_f32 v23, v23, v27
	v_add_f32_e32 v27, v24, v26
	s_delay_alu instid0(VALU_DEP_2) | instskip(NEXT) | instid1(VALU_DEP_1)
	v_dual_sub_f32 v25, v26, v25 :: v_dual_mul_f32 v28, v23, v23
	v_dual_sub_f32 v29, v27, v24 :: v_dual_sub_f32 v22, v22, v25
	s_delay_alu instid0(VALU_DEP_1) | instskip(SKIP_1) | instid1(VALU_DEP_3)
	v_dual_fmaak_f32 v30, s26, v28, 0xbc7a590c :: v_dual_sub_f32 v33, v27, v29
	v_sub_f32_e32 v25, v26, v29
	v_add_f32_e32 v29, v31, v22
	s_delay_alu instid0(VALU_DEP_3) | instskip(NEXT) | instid1(VALU_DEP_4)
	v_fmaak_f32 v30, v28, v30, 0x3d29fb3f
	v_sub_f32_e32 v24, v24, v33
	s_delay_alu instid0(VALU_DEP_2) | instskip(NEXT) | instid1(VALU_DEP_1)
	v_fmaak_f32 v26, v28, v30, 0xbd97d4d7
	v_dual_add_f32 v24, v25, v24 :: v_dual_fmaak_f32 v25, v28, v26, 0x3dd931b2
	v_sub_f32_e32 v26, v29, v31
	s_delay_alu instid0(VALU_DEP_2) | instskip(NEXT) | instid1(VALU_DEP_1)
	v_dual_add_f32 v24, v29, v24 :: v_dual_fmaak_f32 v25, v28, v25, 0xbe1160e6
	v_dual_sub_f32 v29, v29, v26 :: v_dual_add_f32 v30, v27, v24
	s_delay_alu instid0(VALU_DEP_2) | instskip(NEXT) | instid1(VALU_DEP_2)
	v_dual_sub_f32 v22, v22, v26 :: v_dual_fmaak_f32 v25, v28, v25, 0x3e4cb8bf
	v_dual_sub_f32 v26, v31, v29 :: v_dual_sub_f32 v27, v30, v27
	s_delay_alu instid0(VALU_DEP_1) | instskip(NEXT) | instid1(VALU_DEP_2)
	v_dual_fmaak_f32 v25, v28, v25, 0xbeaaaa62 :: v_dual_add_f32 v22, v22, v26
	v_sub_f32_e32 v24, v24, v27
	s_delay_alu instid0(VALU_DEP_1) | instskip(NEXT) | instid1(VALU_DEP_1)
	v_dual_mul_f32 v25, v28, v25 :: v_dual_add_f32 v22, v22, v24
	v_dual_fmac_f32 v23, v23, v25 :: v_dual_add_f32 v22, v30, v22
	s_delay_alu instid0(VALU_DEP_1) | instskip(NEXT) | instid1(VALU_DEP_2)
	v_sub_f32_e32 v24, 0x3fc90fdb, v23
	v_cndmask_b32_e32 v22, v22, v5, vcc_lo
	v_cmp_gt_i32_e32 vcc_lo, 0, v7
	s_delay_alu instid0(VALU_DEP_3) | instskip(SKIP_2) | instid1(VALU_DEP_3)
	v_cndmask_b32_e64 v23, v23, v24, s6
	v_cndmask_b32_e64 v24, 0, 0x40490fdb, vcc_lo
	v_cmp_ngt_f32_e32 vcc_lo, -1.0, v5
	v_sub_f32_e32 v25, 0x40490fdb, v23
	v_cndmask_b32_e32 v22, 0x7fc00000, v22, vcc_lo
	v_cmp_gt_f32_e32 vcc_lo, 0, v7
	s_delay_alu instid0(VALU_DEP_2) | instskip(NEXT) | instid1(VALU_DEP_4)
	v_cndmask_b32_e64 v7, 0xff800000, v22, s7
	v_cndmask_b32_e32 v22, v23, v25, vcc_lo
	v_cndmask_b32_e32 v23, 0x3f490fdb, v17, vcc_lo
	v_cmp_gt_f32_e64 vcc_lo, 0x33800000, |v5|
	v_cmp_class_f32_e64 s7, v8, 0x204
	v_cndmask_b32_e32 v5, v7, v5, vcc_lo
	v_cmp_eq_f32_e32 vcc_lo, 0, v8
	s_delay_alu instid0(VALU_DEP_2) | instskip(SKIP_2) | instid1(VALU_DEP_1)
	v_mul_f32_e32 v5, 0.5, v5
	v_cndmask_b32_e32 v7, v22, v24, vcc_lo
	s_and_b32 vcc_lo, s7, s9
                                        ; implicit-def: $vgpr24
	v_cndmask_b32_e32 v22, v7, v23, vcc_lo
                                        ; implicit-def: $vgpr23
.LBB187_125:                            ;   in Loop: Header=BB187_4 Depth=1
	s_and_not1_saveexec_b32 s31, s8
	s_cbranch_execz .LBB187_133
; %bb.126:                              ;   in Loop: Header=BB187_4 Depth=1
	v_mul_f32_e32 v25, v23, v23
                                        ; implicit-def: $vgpr5
                                        ; implicit-def: $vgpr22
	s_mov_b32 s7, exec_lo
	s_delay_alu instid0(VALU_DEP_1) | instskip(NEXT) | instid1(VALU_DEP_1)
	v_fmac_f32_e32 v25, v24, v24
	v_cmpx_ge_f32_e32 0x3f333333, v25
	s_xor_b32 s8, exec_lo, s7
	s_cbranch_execz .LBB187_128
; %bb.127:                              ;   in Loop: Header=BB187_4 Depth=1
	v_max_f32_e64 v5, |v8|, |v8|
	v_max_f32_e64 v22, |v7|, |v7|
	v_cmp_gt_f32_e32 vcc_lo, 0x800000, v25
	v_cmp_gt_i32_e64 s7, 0, v7
	v_cmp_class_f32_e64 s9, v7, 0x204
	v_cmp_class_f32_e64 s10, v8, 0x204
	v_max_f32_e32 v23, v22, v5
	v_min_f32_e32 v5, v22, v5
	v_cndmask_b32_e64 v26, 0, 0x41b17218, vcc_lo
	s_delay_alu instid0(VALU_DEP_3) | instskip(SKIP_1) | instid1(VALU_DEP_2)
	v_frexp_mant_f32_e32 v24, v23
	v_frexp_exp_i32_f32_e32 v23, v23
	v_rcp_f32_e32 v22, v24
	v_frexp_exp_i32_f32_e32 v24, v5
	v_frexp_mant_f32_e32 v5, v5
	s_delay_alu instid0(VALU_DEP_2) | instskip(SKIP_4) | instid1(VALU_DEP_2)
	v_sub_nc_u32_e32 v23, v24, v23
	v_cndmask_b32_e64 v24, 1.0, 0x4f800000, vcc_lo
	s_waitcnt_depctr 0xfff
	v_mul_f32_e32 v5, v5, v22
	v_mul_f32_e32 v24, v25, v24
	v_ldexp_f32 v5, v5, v23
	s_delay_alu instid0(VALU_DEP_2) | instskip(NEXT) | instid1(VALU_DEP_1)
	v_log_f32_e32 v24, v24
	v_mul_f32_e32 v22, v5, v5
	s_delay_alu instid0(VALU_DEP_1) | instskip(SKIP_3) | instid1(VALU_DEP_1)
	v_fmaak_f32 v23, s26, v22, 0xbc7a590c
	s_waitcnt_depctr 0xfff
	v_cmp_gt_f32_e64 vcc_lo, 0x7f800000, |v24|
	v_fmaak_f32 v23, v22, v23, 0x3d29fb3f
	v_fmaak_f32 v23, v22, v23, 0xbd97d4d7
	s_delay_alu instid0(VALU_DEP_1) | instskip(NEXT) | instid1(VALU_DEP_1)
	v_fmaak_f32 v23, v22, v23, 0x3dd931b2
	v_fmaak_f32 v23, v22, v23, 0xbe1160e6
	s_delay_alu instid0(VALU_DEP_1) | instskip(NEXT) | instid1(VALU_DEP_1)
	;; [unrolled: 3-line block ×3, first 2 shown]
	v_dual_mul_f32 v22, v22, v23 :: v_dual_mul_f32 v23, 0x3f317217, v24
	v_fmac_f32_e32 v5, v5, v22
	s_delay_alu instid0(VALU_DEP_2) | instskip(NEXT) | instid1(VALU_DEP_1)
	v_fma_f32 v22, 0x3f317217, v24, -v23
	v_fmac_f32_e32 v22, 0x3377d1cf, v24
	s_delay_alu instid0(VALU_DEP_1) | instskip(NEXT) | instid1(VALU_DEP_1)
	v_dual_sub_f32 v25, 0x3fc90fdb, v5 :: v_dual_add_f32 v22, v23, v22
	v_cndmask_b32_e64 v5, v5, v25, s6
	v_cndmask_b32_e64 v23, 0, 0x40490fdb, s7
	v_cmp_eq_f32_e64 s7, 0, v8
	s_delay_alu instid0(VALU_DEP_3) | instskip(SKIP_1) | instid1(VALU_DEP_2)
	v_dual_cndmask_b32 v22, v24, v22 :: v_dual_sub_f32 v25, 0x40490fdb, v5
	v_cmp_gt_f32_e32 vcc_lo, 0, v7
                                        ; implicit-def: $vgpr24
	v_sub_f32_e32 v7, v22, v26
	s_delay_alu instid0(VALU_DEP_3) | instskip(NEXT) | instid1(VALU_DEP_1)
	v_cndmask_b32_e32 v5, v5, v25, vcc_lo
	v_cndmask_b32_e64 v22, v5, v23, s7
	v_cndmask_b32_e32 v23, 0x3f490fdb, v17, vcc_lo
	s_and_b32 vcc_lo, s10, s9
	v_mul_f32_e32 v5, 0.5, v7
	s_delay_alu instid0(VALU_DEP_2)
	v_cndmask_b32_e32 v22, v22, v23, vcc_lo
                                        ; implicit-def: $vgpr23
.LBB187_128:                            ;   in Loop: Header=BB187_4 Depth=1
	s_and_not1_saveexec_b32 s33, s8
	s_cbranch_execz .LBB187_132
; %bb.129:                              ;   in Loop: Header=BB187_4 Depth=1
	v_and_b32_e32 v25, 0x7fff0000, v23
	v_and_b32_e32 v22, 0x7fff0000, v24
	s_mov_b32 s34, 0
	s_delay_alu instid0(VALU_DEP_2) | instskip(SKIP_1) | instid1(VALU_DEP_3)
	v_sub_f32_e32 v26, v23, v25
	v_mul_f32_e32 v23, v25, v25
	v_mul_f32_e32 v5, v22, v22
	v_sub_f32_e32 v24, v24, v22
	s_delay_alu instid0(VALU_DEP_1) | instskip(NEXT) | instid1(VALU_DEP_1)
	v_dual_add_f32 v32, v25, v25 :: v_dual_and_b32 v27, 0xffff0000, v24
	v_dual_sub_f32 v25, v24, v27 :: v_dual_and_b32 v28, 0xffff0000, v26
	s_delay_alu instid0(VALU_DEP_1) | instskip(SKIP_2) | instid1(VALU_DEP_3)
	v_dual_add_f32 v29, v22, v22 :: v_dual_mul_f32 v22, v32, v28
	v_dual_sub_f32 v33, v26, v28 :: v_dual_mul_f32 v24, v27, v27
	v_add_f32_e32 v26, v27, v27
	v_dual_mul_f32 v31, v29, v27 :: v_dual_add_f32 v34, v28, v28
	v_dual_mul_f32 v30, v28, v28 :: v_dual_mul_f32 v27, v29, v25
	s_delay_alu instid0(VALU_DEP_4) | instskip(NEXT) | instid1(VALU_DEP_4)
	v_mul_f32_e32 v29, v32, v33
	v_mul_f32_e32 v28, v26, v25
	;; [unrolled: 1-line block ×5, first 2 shown]
.LBB187_130:                            ;   Parent Loop BB187_4 Depth=1
                                        ; =>  This Inner Loop Header: Depth=2
	v_cmp_nlt_f32_e32 vcc_lo, v5, v23
	s_delay_alu instid0(VALU_DEP_2) | instskip(SKIP_1) | instid1(VALU_DEP_2)
	v_dual_mov_b32 v34, v32 :: v_dual_cndmask_b32 v33, v5, v23
	v_cndmask_b32_e32 v5, v23, v5, vcc_lo
	v_cmp_nlt_f32_e64 s7, v33, v31
	s_delay_alu instid0(VALU_DEP_1) | instskip(SKIP_2) | instid1(VALU_DEP_2)
	v_cndmask_b32_e64 v32, v33, v31, s7
	v_cndmask_b32_e64 v23, v31, v33, s7
	s_and_b32 s35, vcc_lo, s7
	v_cmp_nlt_f32_e64 s8, v32, v22
	s_delay_alu instid0(VALU_DEP_1) | instskip(SKIP_1) | instid1(VALU_DEP_2)
	v_cndmask_b32_e64 v35, v32, v22, s8
	v_cndmask_b32_e64 v31, v22, v32, s8
	v_cmp_nlt_f32_e64 s9, v35, v24
	s_delay_alu instid0(VALU_DEP_1) | instskip(SKIP_2) | instid1(VALU_DEP_2)
	v_cndmask_b32_e64 v33, v35, v24, s9
	v_cndmask_b32_e64 v22, v24, v35, s9
	s_and_b32 s36, s8, s9
	v_cmp_nlt_f32_e64 s10, v33, v30
	s_delay_alu instid0(VALU_DEP_1) | instskip(SKIP_1) | instid1(VALU_DEP_2)
	v_cndmask_b32_e64 v36, v33, v30, s10
	v_cndmask_b32_e64 v24, v30, v33, s10
	v_cmp_nlt_f32_e64 s11, v36, v27
	s_delay_alu instid0(VALU_DEP_1) | instskip(SKIP_2) | instid1(VALU_DEP_2)
	v_cndmask_b32_e64 v37, v36, v27, s11
	s_and_b32 s9, s10, s11
	v_cndmask_b32_e64 v30, v27, v36, s11
	v_cmp_nlt_f32_e64 s12, v37, v29
	s_delay_alu instid0(VALU_DEP_1) | instskip(SKIP_2) | instid1(VALU_DEP_2)
	v_cndmask_b32_e64 v38, v37, v29, s12
	s_and_b32 s9, s9, s12
	v_cndmask_b32_e64 v27, v29, v37, s12
	v_cmp_nlt_f32_e32 vcc_lo, v38, v28
	v_cndmask_b32_e32 v39, v38, v28, vcc_lo
	s_and_b32 s10, s9, vcc_lo
	v_cndmask_b32_e32 v29, v28, v38, vcc_lo
	s_delay_alu instid0(VALU_DEP_2) | instskip(NEXT) | instid1(VALU_DEP_1)
	v_cmp_nlt_f32_e64 s7, v39, v26
	v_cndmask_b32_e64 v35, v39, v26, s7
	s_and_b32 s10, s10, s7
	v_cndmask_b32_e64 v28, v26, v39, s7
	s_delay_alu instid0(VALU_DEP_2) | instskip(NEXT) | instid1(VALU_DEP_1)
	v_cmp_nlt_f32_e64 s8, v35, v25
	v_cndmask_b32_e64 v33, v35, v25, s8
	s_and_b32 s10, s10, s8
	v_cndmask_b32_e64 v26, v25, v35, s8
	s_delay_alu instid0(VALU_DEP_2) | instskip(NEXT) | instid1(VALU_DEP_1)
	v_cmp_nlt_f32_e64 s9, v33, v34
	s_and_b32 s10, s10, s9
	v_cndmask_b32_e64 v32, v33, v34, s9
	s_and_b32 s7, s10, s36
	v_cndmask_b32_e64 v25, v34, v33, s9
	s_and_b32 s7, s7, s35
	s_delay_alu instid0(SALU_CYCLE_1) | instskip(NEXT) | instid1(SALU_CYCLE_1)
	s_and_b32 s7, exec_lo, s7
	s_or_b32 s34, s7, s34
	s_delay_alu instid0(SALU_CYCLE_1)
	s_and_not1_b32 exec_lo, exec_lo, s34
	s_cbranch_execnz .LBB187_130
; %bb.131:                              ;   in Loop: Header=BB187_4 Depth=1
	s_or_b32 exec_lo, exec_lo, s34
	v_add_f32_e32 v5, -1.0, v5
	v_cmp_class_f32_e64 s8, v7, 0x204
	s_delay_alu instid0(VALU_DEP_2) | instskip(NEXT) | instid1(VALU_DEP_1)
	v_add_f32_e32 v5, v5, v23
	v_add_f32_e32 v5, v5, v31
	s_delay_alu instid0(VALU_DEP_1) | instskip(NEXT) | instid1(VALU_DEP_1)
	v_add_f32_e32 v5, v5, v22
	v_add_f32_e32 v5, v5, v24
	s_delay_alu instid0(VALU_DEP_1) | instskip(NEXT) | instid1(VALU_DEP_1)
	;; [unrolled: 3-line block ×5, first 2 shown]
	v_add_f32_e32 v5, v32, v5
	v_add_f32_e32 v24, 1.0, v5
	s_delay_alu instid0(VALU_DEP_1) | instskip(NEXT) | instid1(VALU_DEP_1)
	v_cvt_f64_f32_e32 v[22:23], v24
	v_frexp_exp_i32_f64_e32 v22, v[22:23]
	v_frexp_mant_f32_e32 v23, v24
	s_delay_alu instid0(VALU_DEP_1) | instskip(SKIP_1) | instid1(VALU_DEP_1)
	v_cmp_gt_f32_e32 vcc_lo, 0x3f2aaaab, v23
	v_add_f32_e32 v23, -1.0, v24
	v_dual_sub_f32 v26, v23, v24 :: v_dual_sub_f32 v23, v5, v23
	s_delay_alu instid0(VALU_DEP_1) | instskip(NEXT) | instid1(VALU_DEP_1)
	v_add_f32_e32 v26, 1.0, v26
	v_add_f32_e32 v23, v23, v26
	v_subrev_co_ci_u32_e32 v22, vcc_lo, 0, v22, vcc_lo
	s_delay_alu instid0(VALU_DEP_1) | instskip(SKIP_1) | instid1(VALU_DEP_2)
	v_sub_nc_u32_e32 v25, 0, v22
	v_cvt_f32_i32_e32 v22, v22
	v_ldexp_f32 v24, v24, v25
	v_ldexp_f32 v23, v23, v25
	s_delay_alu instid0(VALU_DEP_2) | instskip(NEXT) | instid1(VALU_DEP_1)
	v_add_f32_e32 v27, 1.0, v24
	v_dual_add_f32 v25, -1.0, v24 :: v_dual_add_f32 v26, -1.0, v27
	s_delay_alu instid0(VALU_DEP_1) | instskip(NEXT) | instid1(VALU_DEP_2)
	v_add_f32_e32 v28, 1.0, v25
	v_sub_f32_e32 v26, v24, v26
	s_delay_alu instid0(VALU_DEP_2) | instskip(NEXT) | instid1(VALU_DEP_2)
	v_sub_f32_e32 v24, v24, v28
	v_add_f32_e32 v26, v23, v26
	s_delay_alu instid0(VALU_DEP_2) | instskip(NEXT) | instid1(VALU_DEP_1)
	v_add_f32_e32 v23, v23, v24
	v_dual_add_f32 v28, v27, v26 :: v_dual_add_f32 v29, v25, v23
	s_delay_alu instid0(VALU_DEP_1) | instskip(SKIP_1) | instid1(VALU_DEP_1)
	v_rcp_f32_e32 v24, v28
	v_sub_f32_e32 v27, v28, v27
	v_dual_sub_f32 v25, v29, v25 :: v_dual_sub_f32 v26, v26, v27
	s_waitcnt_depctr 0xfff
	v_dual_sub_f32 v23, v23, v25 :: v_dual_mul_f32 v30, v29, v24
	v_cmp_eq_f32_e32 vcc_lo, 0x7f800000, v5
	v_cmp_neq_f32_e64 s7, -1.0, v5
	s_delay_alu instid0(VALU_DEP_3) | instskip(NEXT) | instid1(VALU_DEP_1)
	v_mul_f32_e32 v31, v28, v30
	v_fma_f32 v27, v30, v28, -v31
	s_delay_alu instid0(VALU_DEP_1) | instskip(NEXT) | instid1(VALU_DEP_1)
	v_fmac_f32_e32 v27, v30, v26
	v_add_f32_e32 v32, v31, v27
	s_delay_alu instid0(VALU_DEP_1) | instskip(SKIP_1) | instid1(VALU_DEP_2)
	v_sub_f32_e32 v33, v29, v32
	v_sub_f32_e32 v25, v32, v31
	v_sub_f32_e32 v29, v29, v33
	s_delay_alu instid0(VALU_DEP_2) | instskip(NEXT) | instid1(VALU_DEP_2)
	v_sub_f32_e32 v25, v25, v27
	v_sub_f32_e32 v29, v29, v32
	s_delay_alu instid0(VALU_DEP_1) | instskip(NEXT) | instid1(VALU_DEP_1)
	v_add_f32_e32 v23, v23, v29
	v_add_f32_e32 v23, v25, v23
	s_delay_alu instid0(VALU_DEP_1) | instskip(NEXT) | instid1(VALU_DEP_1)
	v_add_f32_e32 v25, v33, v23
	v_mul_f32_e32 v27, v24, v25
	s_delay_alu instid0(VALU_DEP_1) | instskip(NEXT) | instid1(VALU_DEP_1)
	v_dual_sub_f32 v32, v33, v25 :: v_dual_mul_f32 v29, v28, v27
	v_add_f32_e32 v23, v23, v32
	s_delay_alu instid0(VALU_DEP_2) | instskip(NEXT) | instid1(VALU_DEP_1)
	v_fma_f32 v28, v27, v28, -v29
	v_fmac_f32_e32 v28, v27, v26
	s_delay_alu instid0(VALU_DEP_1) | instskip(NEXT) | instid1(VALU_DEP_1)
	v_add_f32_e32 v26, v29, v28
	v_sub_f32_e32 v31, v25, v26
	v_sub_f32_e32 v29, v26, v29
	s_delay_alu instid0(VALU_DEP_2) | instskip(NEXT) | instid1(VALU_DEP_1)
	v_sub_f32_e32 v25, v25, v31
	v_sub_f32_e32 v25, v25, v26
	s_delay_alu instid0(VALU_DEP_3) | instskip(SKIP_1) | instid1(VALU_DEP_3)
	v_sub_f32_e32 v26, v29, v28
	v_max_f32_e64 v28, |v8|, |v8|
	v_add_f32_e32 v23, v23, v25
	v_add_f32_e32 v25, v30, v27
	s_delay_alu instid0(VALU_DEP_1) | instskip(NEXT) | instid1(VALU_DEP_1)
	v_dual_add_f32 v23, v26, v23 :: v_dual_sub_f32 v26, v25, v30
	v_add_f32_e32 v23, v31, v23
	s_delay_alu instid0(VALU_DEP_2) | instskip(SKIP_1) | instid1(VALU_DEP_3)
	v_sub_f32_e32 v26, v27, v26
	v_mul_f32_e32 v31, 0x3f317218, v22
	v_mul_f32_e32 v23, v24, v23
	s_delay_alu instid0(VALU_DEP_2) | instskip(NEXT) | instid1(VALU_DEP_1)
	v_fma_f32 v32, 0x3f317218, v22, -v31
	v_dual_add_f32 v23, v26, v23 :: v_dual_fmac_f32 v32, 0xb102e308, v22
	s_delay_alu instid0(VALU_DEP_1) | instskip(NEXT) | instid1(VALU_DEP_1)
	v_add_f32_e32 v24, v25, v23
	v_mul_f32_e32 v26, v24, v24
	v_ldexp_f32 v30, v24, 1
	s_delay_alu instid0(VALU_DEP_2) | instskip(SKIP_2) | instid1(VALU_DEP_3)
	v_fmaak_f32 v27, s21, v26, 0x3ecc95a3
	v_mul_f32_e32 v29, v24, v26
	v_sub_f32_e32 v24, v24, v25
	v_fmaak_f32 v26, v26, v27, 0x3f2aaada
	v_max_f32_e64 v27, |v7|, |v7|
	s_delay_alu instid0(VALU_DEP_2) | instskip(NEXT) | instid1(VALU_DEP_2)
	v_dual_sub_f32 v23, v23, v24 :: v_dual_mul_f32 v26, v29, v26
	v_max_f32_e32 v29, v27, v28
	v_min_f32_e32 v27, v27, v28
	s_delay_alu instid0(VALU_DEP_3) | instskip(NEXT) | instid1(VALU_DEP_4)
	v_ldexp_f32 v23, v23, 1
	v_add_f32_e32 v25, v30, v26
	s_delay_alu instid0(VALU_DEP_4) | instskip(SKIP_1) | instid1(VALU_DEP_3)
	v_frexp_mant_f32_e32 v28, v29
	v_frexp_exp_i32_f32_e32 v29, v29
	v_sub_f32_e32 v24, v25, v30
	s_delay_alu instid0(VALU_DEP_3) | instskip(SKIP_1) | instid1(VALU_DEP_2)
	v_rcp_f32_e32 v28, v28
	v_frexp_exp_i32_f32_e32 v30, v27
	v_sub_f32_e32 v24, v26, v24
	v_frexp_mant_f32_e32 v26, v27
	s_delay_alu instid0(VALU_DEP_3) | instskip(NEXT) | instid1(VALU_DEP_3)
	v_sub_nc_u32_e32 v27, v30, v29
	v_add_f32_e32 v22, v23, v24
	s_waitcnt_depctr 0xfff
	v_mul_f32_e32 v23, v26, v28
	v_add_f32_e32 v24, v31, v32
	v_add_f32_e32 v26, v25, v22
	s_delay_alu instid0(VALU_DEP_3) | instskip(NEXT) | instid1(VALU_DEP_3)
	v_ldexp_f32 v23, v23, v27
	v_sub_f32_e32 v31, v24, v31
	s_delay_alu instid0(VALU_DEP_2) | instskip(SKIP_1) | instid1(VALU_DEP_3)
	v_dual_add_f32 v27, v24, v26 :: v_dual_mul_f32 v28, v23, v23
	v_sub_f32_e32 v25, v26, v25
	v_sub_f32_e32 v31, v32, v31
	s_delay_alu instid0(VALU_DEP_3) | instskip(NEXT) | instid1(VALU_DEP_4)
	v_sub_f32_e32 v29, v27, v24
	v_fmaak_f32 v30, s26, v28, 0xbc7a590c
	s_delay_alu instid0(VALU_DEP_4) | instskip(NEXT) | instid1(VALU_DEP_2)
	v_sub_f32_e32 v22, v22, v25
	v_dual_sub_f32 v33, v27, v29 :: v_dual_fmaak_f32 v30, v28, v30, 0x3d29fb3f
	v_sub_f32_e32 v25, v26, v29
	s_delay_alu instid0(VALU_DEP_2) | instskip(NEXT) | instid1(VALU_DEP_3)
	v_dual_add_f32 v29, v31, v22 :: v_dual_sub_f32 v24, v24, v33
	v_fmaak_f32 v26, v28, v30, 0xbd97d4d7
	s_delay_alu instid0(VALU_DEP_1) | instskip(NEXT) | instid1(VALU_DEP_3)
	v_dual_add_f32 v24, v25, v24 :: v_dual_fmaak_f32 v25, v28, v26, 0x3dd931b2
	v_sub_f32_e32 v26, v29, v31
	s_delay_alu instid0(VALU_DEP_2) | instskip(NEXT) | instid1(VALU_DEP_2)
	v_dual_add_f32 v24, v29, v24 :: v_dual_fmaak_f32 v25, v28, v25, 0xbe1160e6
	v_sub_f32_e32 v29, v29, v26
	v_sub_f32_e32 v22, v22, v26
	s_delay_alu instid0(VALU_DEP_3) | instskip(NEXT) | instid1(VALU_DEP_1)
	v_dual_add_f32 v30, v27, v24 :: v_dual_fmaak_f32 v25, v28, v25, 0x3e4cb8bf
	v_dual_sub_f32 v26, v31, v29 :: v_dual_sub_f32 v27, v30, v27
	s_delay_alu instid0(VALU_DEP_1) | instskip(NEXT) | instid1(VALU_DEP_2)
	v_dual_fmaak_f32 v25, v28, v25, 0xbeaaaa62 :: v_dual_add_f32 v22, v22, v26
	v_sub_f32_e32 v24, v24, v27
	s_delay_alu instid0(VALU_DEP_1) | instskip(NEXT) | instid1(VALU_DEP_1)
	v_dual_mul_f32 v25, v28, v25 :: v_dual_add_f32 v22, v22, v24
	v_dual_fmac_f32 v23, v23, v25 :: v_dual_add_f32 v22, v30, v22
	s_delay_alu instid0(VALU_DEP_1) | instskip(NEXT) | instid1(VALU_DEP_2)
	v_sub_f32_e32 v24, 0x3fc90fdb, v23
	v_cndmask_b32_e32 v22, v22, v5, vcc_lo
	v_cmp_gt_i32_e32 vcc_lo, 0, v7
	s_delay_alu instid0(VALU_DEP_3) | instskip(SKIP_2) | instid1(VALU_DEP_3)
	v_cndmask_b32_e64 v23, v23, v24, s6
	v_cndmask_b32_e64 v24, 0, 0x40490fdb, vcc_lo
	v_cmp_ngt_f32_e32 vcc_lo, -1.0, v5
	v_sub_f32_e32 v25, 0x40490fdb, v23
	v_cndmask_b32_e32 v22, 0x7fc00000, v22, vcc_lo
	v_cmp_gt_f32_e32 vcc_lo, 0, v7
	s_delay_alu instid0(VALU_DEP_2) | instskip(NEXT) | instid1(VALU_DEP_4)
	v_cndmask_b32_e64 v7, 0xff800000, v22, s7
	v_cndmask_b32_e32 v22, v23, v25, vcc_lo
	v_cndmask_b32_e32 v23, 0x3f490fdb, v17, vcc_lo
	v_cmp_gt_f32_e64 vcc_lo, 0x33800000, |v5|
	v_cmp_class_f32_e64 s7, v8, 0x204
	v_cndmask_b32_e32 v5, v7, v5, vcc_lo
	v_cmp_eq_f32_e32 vcc_lo, 0, v8
	s_delay_alu instid0(VALU_DEP_2) | instskip(SKIP_2) | instid1(VALU_DEP_1)
	v_mul_f32_e32 v5, 0.5, v5
	v_cndmask_b32_e32 v7, v22, v24, vcc_lo
	s_and_b32 vcc_lo, s7, s8
	v_cndmask_b32_e32 v22, v7, v23, vcc_lo
.LBB187_132:                            ;   in Loop: Header=BB187_4 Depth=1
	s_or_b32 exec_lo, exec_lo, s33
.LBB187_133:                            ;   in Loop: Header=BB187_4 Depth=1
	s_delay_alu instid0(SALU_CYCLE_1)
	s_or_b32 exec_lo, exec_lo, s31
.LBB187_134:                            ;   in Loop: Header=BB187_4 Depth=1
	s_and_not1_saveexec_b32 s8, s30
	s_cbranch_execz .LBB187_136
; %bb.135:                              ;   in Loop: Header=BB187_4 Depth=1
	v_max_f32_e64 v5, |v8|, |v8|
	v_max_f32_e64 v24, |v7|, |v7|
	v_cmp_gt_i32_e64 s7, 0, v7
	v_cmp_class_f32_e64 s9, v7, 0x204
	v_cmp_class_f32_e64 s10, v8, 0x204
	s_delay_alu instid0(VALU_DEP_4) | instskip(SKIP_1) | instid1(VALU_DEP_2)
	v_max_f32_e32 v25, v24, v5
	v_min_f32_e32 v5, v24, v5
	v_cvt_f64_f32_e32 v[22:23], v25
	v_frexp_exp_i32_f32_e32 v24, v25
	s_delay_alu instid0(VALU_DEP_3) | instskip(SKIP_1) | instid1(VALU_DEP_2)
	v_frexp_exp_i32_f32_e32 v26, v5
	v_frexp_mant_f32_e32 v5, v5
	v_sub_nc_u32_e32 v24, v26, v24
	v_frexp_exp_i32_f64_e32 v22, v[22:23]
	v_frexp_mant_f32_e32 v23, v25
	s_delay_alu instid0(VALU_DEP_1) | instskip(SKIP_2) | instid1(VALU_DEP_1)
	v_rcp_f32_e32 v23, v23
	s_waitcnt_depctr 0xfff
	v_mul_f32_e32 v5, v5, v23
	v_ldexp_f32 v5, v5, v24
	s_delay_alu instid0(VALU_DEP_1) | instskip(SKIP_1) | instid1(VALU_DEP_1)
	v_mul_f32_e32 v26, v5, v5
	v_sub_nc_u32_e32 v27, 0, v22
	v_ldexp_f32 v23, |v8|, v27
	v_ldexp_f32 v24, |v7|, v27
	s_delay_alu instid0(VALU_DEP_2) | instskip(NEXT) | instid1(VALU_DEP_1)
	v_mul_f32_e32 v23, v23, v23
	v_dual_fmac_f32 v23, v24, v24 :: v_dual_fmaak_f32 v24, s26, v26, 0xbc7a590c
	v_cmp_neq_f32_e32 vcc_lo, 0x7f800000, v25
	s_delay_alu instid0(VALU_DEP_2) | instskip(NEXT) | instid1(VALU_DEP_2)
	v_sqrt_f32_e32 v23, v23
	v_fmaak_f32 v24, v26, v24, 0x3d29fb3f
	s_delay_alu instid0(VALU_DEP_1) | instskip(SKIP_3) | instid1(VALU_DEP_2)
	v_fmaak_f32 v24, v26, v24, 0xbd97d4d7
	s_waitcnt_depctr 0xfff
	v_ldexp_f32 v22, v23, v22
	v_fmaak_f32 v23, v26, v24, 0x3dd931b2
	v_cndmask_b32_e32 v22, 0x7f800000, v22, vcc_lo
	s_delay_alu instid0(VALU_DEP_2) | instskip(NEXT) | instid1(VALU_DEP_2)
	v_fmaak_f32 v23, v26, v23, 0xbe1160e6
	v_cmp_gt_f32_e32 vcc_lo, 0x800000, v22
	s_delay_alu instid0(VALU_DEP_2) | instskip(SKIP_1) | instid1(VALU_DEP_2)
	v_fmaak_f32 v23, v26, v23, 0x3e4cb8bf
	v_cndmask_b32_e64 v24, 1.0, 0x4f800000, vcc_lo
	v_fmaak_f32 v23, v26, v23, 0xbeaaaa62
	s_delay_alu instid0(VALU_DEP_1) | instskip(NEXT) | instid1(VALU_DEP_1)
	v_mul_f32_e32 v23, v26, v23
	v_dual_mul_f32 v22, v22, v24 :: v_dual_fmac_f32 v5, v5, v23
	s_delay_alu instid0(VALU_DEP_1) | instskip(NEXT) | instid1(VALU_DEP_1)
	v_log_f32_e32 v22, v22
	v_sub_f32_e32 v24, 0x3fc90fdb, v5
	s_delay_alu instid0(VALU_DEP_1) | instskip(SKIP_4) | instid1(VALU_DEP_3)
	v_cndmask_b32_e64 v5, v5, v24, s6
	s_waitcnt_depctr 0xfff
	v_mul_f32_e32 v23, 0x3f317217, v22
	v_cndmask_b32_e64 v24, 0, 0x40490fdb, s7
	v_cmp_gt_f32_e64 s7, 0, v7
	v_fma_f32 v25, 0x3f317217, v22, -v23
	s_delay_alu instid0(VALU_DEP_1) | instskip(NEXT) | instid1(VALU_DEP_1)
	v_fmac_f32_e32 v25, 0x3377d1cf, v22
	v_add_f32_e32 v7, v23, v25
	v_cndmask_b32_e64 v25, 0, 0x41b17218, vcc_lo
	v_cmp_gt_f32_e64 vcc_lo, 0x7f800000, |v22|
	v_sub_f32_e32 v26, 0x40490fdb, v5
	v_cndmask_b32_e64 v23, 0x3f490fdb, v17, s7
	v_cndmask_b32_e32 v7, v22, v7, vcc_lo
	s_delay_alu instid0(VALU_DEP_3) | instskip(SKIP_1) | instid1(VALU_DEP_2)
	v_cndmask_b32_e64 v5, v5, v26, s7
	v_cmp_eq_f32_e32 vcc_lo, 0, v8
	v_cndmask_b32_e32 v22, v5, v24, vcc_lo
	s_and_b32 vcc_lo, s10, s9
	s_delay_alu instid0(VALU_DEP_1)
	v_dual_sub_f32 v5, v7, v25 :: v_dual_cndmask_b32 v22, v22, v23
.LBB187_136:                            ;   in Loop: Header=BB187_4 Depth=1
	s_or_b32 exec_lo, exec_lo, s8
                                        ; implicit-def: $vgpr23
.LBB187_137:                            ;   in Loop: Header=BB187_4 Depth=1
	s_and_not1_saveexec_b32 s8, s29
	s_cbranch_execz .LBB187_143
; %bb.138:                              ;   in Loop: Header=BB187_4 Depth=1
                                        ; implicit-def: $vgpr5
                                        ; implicit-def: $vgpr22
	s_mov_b32 s7, exec_lo
	v_cmpx_ngt_f32_e32 0x1fec1e4a, v23
	s_xor_b32 s9, exec_lo, s7
	s_cbranch_execz .LBB187_140
; %bb.139:                              ;   in Loop: Header=BB187_4 Depth=1
	v_mul_f32_e32 v5, v23, v23
	v_cmp_class_f32_e64 s10, v7, 0x204
	v_cmp_gt_f32_e64 s7, 0, v7
	v_cmp_class_f32_e64 s12, v8, 0x204
	s_delay_alu instid0(VALU_DEP_4) | instskip(NEXT) | instid1(VALU_DEP_1)
	v_add_f32_e32 v24, 1.0, v5
	v_cvt_f64_f32_e32 v[22:23], v24
	s_delay_alu instid0(VALU_DEP_1) | instskip(SKIP_1) | instid1(VALU_DEP_1)
	v_frexp_exp_i32_f64_e32 v22, v[22:23]
	v_frexp_mant_f32_e32 v23, v24
	v_cmp_gt_f32_e32 vcc_lo, 0x3f2aaaab, v23
	v_add_f32_e32 v23, -1.0, v24
	s_delay_alu instid0(VALU_DEP_1) | instskip(NEXT) | instid1(VALU_DEP_1)
	v_sub_f32_e32 v26, v23, v24
	v_dual_add_f32 v26, 1.0, v26 :: v_dual_sub_f32 v23, v5, v23
	v_cmp_gt_f32_e64 s11, 0x33800000, |v5|
	s_delay_alu instid0(VALU_DEP_2) | instskip(SKIP_2) | instid1(VALU_DEP_2)
	v_add_f32_e32 v23, v23, v26
	v_subrev_co_ci_u32_e32 v22, vcc_lo, 0, v22, vcc_lo
	v_cmp_gt_i32_e32 vcc_lo, 0, v7
	v_sub_nc_u32_e32 v25, 0, v22
	v_cvt_f32_i32_e32 v22, v22
	s_delay_alu instid0(VALU_DEP_2) | instskip(SKIP_1) | instid1(VALU_DEP_2)
	v_ldexp_f32 v24, v24, v25
	v_ldexp_f32 v23, v23, v25
	v_add_f32_e32 v27, 1.0, v24
	s_delay_alu instid0(VALU_DEP_1) | instskip(NEXT) | instid1(VALU_DEP_1)
	v_add_f32_e32 v26, -1.0, v27
	v_dual_sub_f32 v26, v24, v26 :: v_dual_add_f32 v25, -1.0, v24
	s_delay_alu instid0(VALU_DEP_1) | instskip(NEXT) | instid1(VALU_DEP_2)
	v_add_f32_e32 v26, v23, v26
	v_add_f32_e32 v28, 1.0, v25
	s_delay_alu instid0(VALU_DEP_1) | instskip(NEXT) | instid1(VALU_DEP_1)
	v_sub_f32_e32 v24, v24, v28
	v_add_f32_e32 v23, v23, v24
	s_delay_alu instid0(VALU_DEP_1) | instskip(NEXT) | instid1(VALU_DEP_1)
	v_dual_add_f32 v29, v25, v23 :: v_dual_add_f32 v28, v27, v26
	v_rcp_f32_e32 v24, v28
	v_sub_f32_e32 v27, v27, v28
	s_delay_alu instid0(VALU_DEP_1) | instskip(SKIP_2) | instid1(VALU_DEP_1)
	v_dual_add_f32 v26, v26, v27 :: v_dual_sub_f32 v25, v25, v29
	s_waitcnt_depctr 0xfff
	v_dual_mul_f32 v30, v29, v24 :: v_dual_add_f32 v23, v23, v25
	v_mul_f32_e32 v31, v28, v30
	s_delay_alu instid0(VALU_DEP_1) | instskip(NEXT) | instid1(VALU_DEP_1)
	v_fma_f32 v27, v30, v28, -v31
	v_fmac_f32_e32 v27, v30, v26
	s_delay_alu instid0(VALU_DEP_1) | instskip(NEXT) | instid1(VALU_DEP_1)
	v_add_f32_e32 v32, v31, v27
	v_sub_f32_e32 v33, v29, v32
	s_delay_alu instid0(VALU_DEP_1) | instskip(SKIP_1) | instid1(VALU_DEP_2)
	v_sub_f32_e32 v29, v29, v33
	v_sub_f32_e32 v25, v32, v31
	v_sub_f32_e32 v29, v29, v32
	s_delay_alu instid0(VALU_DEP_2) | instskip(NEXT) | instid1(VALU_DEP_2)
	v_sub_f32_e32 v25, v25, v27
	v_add_f32_e32 v23, v23, v29
	s_delay_alu instid0(VALU_DEP_1) | instskip(NEXT) | instid1(VALU_DEP_1)
	v_add_f32_e32 v23, v25, v23
	v_add_f32_e32 v25, v33, v23
	s_delay_alu instid0(VALU_DEP_1) | instskip(NEXT) | instid1(VALU_DEP_1)
	v_mul_f32_e32 v27, v24, v25
	v_dual_sub_f32 v32, v33, v25 :: v_dual_mul_f32 v29, v28, v27
	s_delay_alu instid0(VALU_DEP_1) | instskip(NEXT) | instid1(VALU_DEP_2)
	v_add_f32_e32 v23, v23, v32
	v_fma_f32 v28, v27, v28, -v29
	s_delay_alu instid0(VALU_DEP_1) | instskip(NEXT) | instid1(VALU_DEP_1)
	v_fmac_f32_e32 v28, v27, v26
	v_add_f32_e32 v26, v29, v28
	s_delay_alu instid0(VALU_DEP_1) | instskip(SKIP_1) | instid1(VALU_DEP_2)
	v_sub_f32_e32 v31, v25, v26
	v_sub_f32_e32 v29, v26, v29
	;; [unrolled: 1-line block ×3, first 2 shown]
	s_delay_alu instid0(VALU_DEP_1) | instskip(NEXT) | instid1(VALU_DEP_1)
	v_sub_f32_e32 v25, v25, v26
	v_dual_sub_f32 v26, v29, v28 :: v_dual_add_f32 v23, v23, v25
	v_add_f32_e32 v25, v30, v27
	s_delay_alu instid0(VALU_DEP_1) | instskip(NEXT) | instid1(VALU_DEP_1)
	v_dual_add_f32 v23, v26, v23 :: v_dual_sub_f32 v26, v25, v30
	v_add_f32_e32 v23, v31, v23
	s_delay_alu instid0(VALU_DEP_2) | instskip(SKIP_1) | instid1(VALU_DEP_3)
	v_sub_f32_e32 v26, v27, v26
	v_max_f32_e64 v27, |v7|, |v7|
	v_mul_f32_e32 v23, v24, v23
	v_max_f32_e64 v24, |v8|, |v8|
	s_delay_alu instid0(VALU_DEP_2) | instskip(NEXT) | instid1(VALU_DEP_2)
	v_add_f32_e32 v23, v26, v23
	v_max_f32_e32 v29, v27, v24
	v_min_f32_e32 v24, v27, v24
	s_delay_alu instid0(VALU_DEP_3) | instskip(NEXT) | instid1(VALU_DEP_3)
	v_add_f32_e32 v26, v25, v23
	v_frexp_mant_f32_e32 v31, v29
	v_frexp_exp_i32_f32_e32 v27, v29
	s_delay_alu instid0(VALU_DEP_3) | instskip(SKIP_1) | instid1(VALU_DEP_2)
	v_mul_f32_e32 v28, v26, v26
	v_ldexp_f32 v32, v26, 1
	v_dual_sub_f32 v25, v26, v25 :: v_dual_fmaak_f32 v30, s21, v28, 0x3ecc95a3
	v_mul_f32_e32 v29, v26, v28
	s_delay_alu instid0(VALU_DEP_2) | instskip(SKIP_3) | instid1(VALU_DEP_3)
	v_dual_sub_f32 v23, v23, v25 :: v_dual_fmaak_f32 v28, v28, v30, 0x3f2aaada
	v_rcp_f32_e32 v30, v31
	v_frexp_exp_i32_f32_e32 v31, v24
	v_frexp_mant_f32_e32 v24, v24
	v_ldexp_f32 v23, v23, 1
	v_dual_mul_f32 v28, v29, v28 :: v_dual_mul_f32 v29, 0x3f317218, v22
	s_delay_alu instid0(VALU_DEP_4) | instskip(NEXT) | instid1(VALU_DEP_2)
	v_sub_nc_u32_e32 v27, v31, v27
	v_add_f32_e32 v26, v32, v28
	s_delay_alu instid0(TRANS32_DEP_1) | instid1(VALU_DEP_1)
	v_dual_mul_f32 v24, v24, v30 :: v_dual_sub_f32 v25, v26, v32
	s_delay_alu instid0(VALU_DEP_1) | instskip(SKIP_1) | instid1(VALU_DEP_3)
	v_ldexp_f32 v24, v24, v27
	v_fma_f32 v27, 0x3f317218, v22, -v29
	v_sub_f32_e32 v25, v28, v25
	s_delay_alu instid0(VALU_DEP_2) | instskip(NEXT) | instid1(VALU_DEP_1)
	v_dual_mul_f32 v28, v24, v24 :: v_dual_fmac_f32 v27, 0xb102e308, v22
	v_dual_add_f32 v22, v23, v25 :: v_dual_fmaak_f32 v23, s26, v28, 0xbc7a590c
	s_delay_alu instid0(VALU_DEP_1) | instskip(NEXT) | instid1(VALU_DEP_2)
	v_dual_add_f32 v25, v29, v27 :: v_dual_add_f32 v30, v26, v22
	v_fmaak_f32 v23, v28, v23, 0x3d29fb3f
	s_delay_alu instid0(VALU_DEP_2) | instskip(NEXT) | instid1(VALU_DEP_3)
	v_sub_f32_e32 v29, v25, v29
	v_add_f32_e32 v31, v25, v30
	s_delay_alu instid0(VALU_DEP_3) | instskip(NEXT) | instid1(VALU_DEP_3)
	v_dual_fmaak_f32 v23, v28, v23, 0xbd97d4d7 :: v_dual_sub_f32 v26, v30, v26
	v_sub_f32_e32 v27, v27, v29
	s_delay_alu instid0(VALU_DEP_2) | instskip(NEXT) | instid1(VALU_DEP_1)
	v_dual_sub_f32 v32, v31, v25 :: v_dual_fmaak_f32 v23, v28, v23, 0x3dd931b2
	v_dual_sub_f32 v22, v22, v26 :: v_dual_sub_f32 v33, v31, v32
	s_delay_alu instid0(VALU_DEP_2) | instskip(NEXT) | instid1(VALU_DEP_2)
	v_dual_fmaak_f32 v23, v28, v23, 0xbe1160e6 :: v_dual_sub_f32 v26, v30, v32
	v_add_f32_e32 v29, v27, v22
	s_delay_alu instid0(VALU_DEP_3) | instskip(NEXT) | instid1(VALU_DEP_3)
	v_sub_f32_e32 v25, v25, v33
	v_fmaak_f32 v23, v28, v23, 0x3e4cb8bf
	s_delay_alu instid0(VALU_DEP_2) | instskip(NEXT) | instid1(VALU_DEP_2)
	v_add_f32_e32 v25, v26, v25
	v_fmaak_f32 v23, v28, v23, 0xbeaaaa62
	v_sub_f32_e32 v26, v29, v27
	s_delay_alu instid0(VALU_DEP_3) | instskip(NEXT) | instid1(VALU_DEP_2)
	v_add_f32_e32 v25, v29, v25
	v_dual_mul_f32 v23, v28, v23 :: v_dual_sub_f32 v28, v29, v26
	s_delay_alu instid0(VALU_DEP_2) | instskip(NEXT) | instid1(VALU_DEP_2)
	v_dual_sub_f32 v22, v22, v26 :: v_dual_add_f32 v29, v31, v25
	v_dual_fmac_f32 v24, v24, v23 :: v_dual_sub_f32 v23, v27, v28
	s_delay_alu instid0(VALU_DEP_1) | instskip(NEXT) | instid1(VALU_DEP_1)
	v_dual_sub_f32 v26, v29, v31 :: v_dual_sub_f32 v27, 0x3fc90fdb, v24
	v_dual_add_f32 v22, v22, v23 :: v_dual_sub_f32 v23, v25, v26
	s_delay_alu instid0(VALU_DEP_2) | instskip(SKIP_2) | instid1(VALU_DEP_3)
	v_cndmask_b32_e64 v24, v24, v27, s6
	v_cndmask_b32_e64 v25, 0, 0x40490fdb, vcc_lo
	v_cmp_eq_f32_e32 vcc_lo, 0x7f800000, v5
	v_dual_add_f32 v22, v22, v23 :: v_dual_sub_f32 v23, 0x40490fdb, v24
	s_or_b32 vcc_lo, vcc_lo, s11
	s_delay_alu instid0(VALU_DEP_1) | instskip(NEXT) | instid1(VALU_DEP_2)
	v_add_f32_e32 v7, v29, v22
	v_cndmask_b32_e64 v22, v24, v23, s7
	v_cndmask_b32_e64 v23, 0x3f490fdb, v17, s7
	s_delay_alu instid0(VALU_DEP_3) | instskip(SKIP_1) | instid1(VALU_DEP_2)
	v_cndmask_b32_e32 v5, v7, v5, vcc_lo
	v_cmp_eq_f32_e32 vcc_lo, 0, v8
	v_mul_f32_e32 v5, 0.5, v5
	v_cndmask_b32_e32 v7, v22, v25, vcc_lo
	s_and_b32 vcc_lo, s12, s10
	s_delay_alu instid0(VALU_DEP_1)
	v_cndmask_b32_e32 v22, v7, v23, vcc_lo
                                        ; implicit-def: $vgpr23
.LBB187_140:                            ;   in Loop: Header=BB187_4 Depth=1
	s_and_not1_saveexec_b32 s9, s9
	s_cbranch_execz .LBB187_142
; %bb.141:                              ;   in Loop: Header=BB187_4 Depth=1
	v_max_f32_e64 v5, |v8|, |v8|
	v_max_f32_e64 v22, |v7|, |v7|
	v_cmp_gt_i32_e32 vcc_lo, 0, v7
	v_cmp_eq_f32_e64 s7, 0, v8
	v_cmp_class_f32_e64 s10, v7, 0x204
	v_cmp_class_f32_e64 s11, v8, 0x204
	v_max_f32_e32 v24, v22, v5
	v_min_f32_e32 v5, v22, v5
	s_delay_alu instid0(VALU_DEP_2) | instskip(NEXT) | instid1(VALU_DEP_1)
	v_frexp_mant_f32_e32 v25, v24
	v_rcp_f32_e32 v22, v25
	s_delay_alu instid0(VALU_DEP_2) | instskip(SKIP_4) | instid1(VALU_DEP_1)
	v_frexp_exp_i32_f32_e32 v25, v5
	v_frexp_mant_f32_e32 v5, v5
	s_waitcnt_depctr 0xfff
	v_mul_f32_e32 v5, v5, v22
	v_frexp_exp_i32_f32_e32 v24, v24
	v_sub_nc_u32_e32 v24, v25, v24
	s_delay_alu instid0(VALU_DEP_1) | instskip(NEXT) | instid1(VALU_DEP_1)
	v_ldexp_f32 v5, v5, v24
	v_mul_f32_e32 v22, v5, v5
	s_delay_alu instid0(VALU_DEP_1) | instskip(NEXT) | instid1(VALU_DEP_1)
	v_fmaak_f32 v24, s26, v22, 0xbc7a590c
	v_fmaak_f32 v24, v22, v24, 0x3d29fb3f
	s_delay_alu instid0(VALU_DEP_1) | instskip(NEXT) | instid1(VALU_DEP_1)
	v_fmaak_f32 v24, v22, v24, 0xbd97d4d7
	v_fmaak_f32 v24, v22, v24, 0x3dd931b2
	;; [unrolled: 3-line block ×3, first 2 shown]
	s_delay_alu instid0(VALU_DEP_1) | instskip(NEXT) | instid1(VALU_DEP_1)
	v_fmaak_f32 v24, v22, v24, 0xbeaaaa62
	v_mul_f32_e32 v22, v22, v24
	v_cndmask_b32_e64 v24, 0, 0x40490fdb, vcc_lo
	v_cmp_gt_f32_e32 vcc_lo, 0, v7
	s_delay_alu instid0(VALU_DEP_3) | instskip(NEXT) | instid1(VALU_DEP_1)
	v_fmac_f32_e32 v5, v5, v22
	v_sub_f32_e32 v22, 0x3fc90fdb, v5
	s_delay_alu instid0(VALU_DEP_1) | instskip(NEXT) | instid1(VALU_DEP_1)
	v_cndmask_b32_e64 v5, v5, v22, s6
	v_sub_f32_e32 v22, 0x40490fdb, v5
	s_delay_alu instid0(VALU_DEP_1) | instskip(NEXT) | instid1(VALU_DEP_1)
	v_dual_cndmask_b32 v5, v5, v22 :: v_dual_mul_f32 v22, 0.5, v23
	v_cndmask_b32_e64 v7, v5, v24, s7
	s_delay_alu instid0(VALU_DEP_2) | instskip(SKIP_1) | instid1(VALU_DEP_1)
	v_dual_mul_f32 v5, v23, v22 :: v_dual_cndmask_b32 v24, 0x3f490fdb, v17
	s_and_b32 vcc_lo, s11, s10
	v_cndmask_b32_e32 v22, v7, v24, vcc_lo
.LBB187_142:                            ;   in Loop: Header=BB187_4 Depth=1
	s_or_b32 exec_lo, exec_lo, s9
.LBB187_143:                            ;   in Loop: Header=BB187_4 Depth=1
	s_delay_alu instid0(SALU_CYCLE_1)
	s_or_b32 exec_lo, exec_lo, s8
.LBB187_144:                            ;   in Loop: Header=BB187_4 Depth=1
	s_and_not1_saveexec_b32 s8, s28
	s_cbranch_execz .LBB187_146
; %bb.145:                              ;   in Loop: Header=BB187_4 Depth=1
	v_div_scale_f32 v5, null, 0x402df854, 0x402df854, v7
	v_div_scale_f32 v22, null, 0x402df854, 0x402df854, v8
	v_div_scale_f32 v27, vcc_lo, v7, 0x402df854, v7
	s_delay_alu instid0(VALU_DEP_3) | instskip(NEXT) | instid1(VALU_DEP_2)
	v_rcp_f32_e32 v23, v5
	v_rcp_f32_e32 v24, v22
	v_cmp_class_f32_e64 s9, v8, 0x204
	s_waitcnt_depctr 0xfff
	v_fma_f32 v25, -v5, v23, 1.0
	v_fma_f32 v26, -v22, v24, 1.0
	s_delay_alu instid0(VALU_DEP_1) | instskip(SKIP_1) | instid1(VALU_DEP_2)
	v_dual_fmac_f32 v23, v25, v23 :: v_dual_fmac_f32 v24, v26, v24
	v_div_scale_f32 v25, s7, v8, 0x402df854, v8
	v_mul_f32_e32 v26, v27, v23
	s_delay_alu instid0(VALU_DEP_1) | instskip(NEXT) | instid1(VALU_DEP_1)
	v_fma_f32 v29, -v5, v26, v27
	v_fmac_f32_e32 v26, v29, v23
	s_delay_alu instid0(VALU_DEP_1) | instskip(NEXT) | instid1(VALU_DEP_1)
	v_fma_f32 v5, -v5, v26, v27
	v_div_fmas_f32 v5, v5, v23, v26
	v_max_f32_e64 v26, |v7|, |v7|
	v_mul_f32_e32 v28, v25, v24
	s_mov_b32 vcc_lo, s7
	v_cmp_class_f32_e64 s7, v7, 0x204
	v_div_fixup_f32 v5, v5, 0x402df854, v7
	s_delay_alu instid0(VALU_DEP_3) | instskip(NEXT) | instid1(VALU_DEP_1)
	v_fma_f32 v30, -v22, v28, v25
	v_fmac_f32_e32 v28, v30, v24
	s_delay_alu instid0(VALU_DEP_1) | instskip(NEXT) | instid1(VALU_DEP_1)
	v_fma_f32 v22, -v22, v28, v25
	v_div_fmas_f32 v22, v22, v24, v28
	s_delay_alu instid0(VALU_DEP_1) | instskip(NEXT) | instid1(VALU_DEP_1)
	v_div_fixup_f32 v24, v22, 0x402df854, v8
	v_max_f32_e64 v25, |v5|, |v24|
	s_delay_alu instid0(VALU_DEP_1) | instskip(SKIP_1) | instid1(VALU_DEP_2)
	v_cvt_f64_f32_e32 v[22:23], v25
	v_cmp_neq_f32_e32 vcc_lo, 0x7f800000, v25
	v_frexp_exp_i32_f64_e32 v22, v[22:23]
	v_max_f32_e64 v23, |v8|, |v8|
	s_delay_alu instid0(VALU_DEP_1) | instskip(SKIP_1) | instid1(VALU_DEP_2)
	v_max_f32_e32 v27, v26, v23
	v_min_f32_e32 v23, v26, v23
	v_frexp_mant_f32_e32 v28, v27
	v_frexp_exp_i32_f32_e32 v27, v27
	s_delay_alu instid0(VALU_DEP_2) | instskip(SKIP_1) | instid1(VALU_DEP_1)
	v_rcp_f32_e32 v26, v28
	v_sub_nc_u32_e32 v28, 0, v22
	v_ldexp_f32 v24, |v24|, v28
	v_ldexp_f32 v5, |v5|, v28
	s_delay_alu instid0(VALU_DEP_2) | instskip(SKIP_2) | instid1(VALU_DEP_2)
	v_mul_f32_e32 v24, v24, v24
	v_frexp_exp_i32_f32_e32 v29, v23
	v_frexp_mant_f32_e32 v23, v23
	v_sub_nc_u32_e32 v27, v29, v27
	s_delay_alu instid0(TRANS32_DEP_1) | instid1(VALU_DEP_2)
	v_mul_f32_e32 v23, v23, v26
	s_delay_alu instid0(VALU_DEP_1) | instskip(NEXT) | instid1(VALU_DEP_1)
	v_ldexp_f32 v23, v23, v27
	v_dual_fmac_f32 v24, v5, v5 :: v_dual_mul_f32 v5, v23, v23
	s_delay_alu instid0(VALU_DEP_1) | instskip(NEXT) | instid1(VALU_DEP_1)
	v_sqrt_f32_e32 v24, v24
	v_fmaak_f32 v26, s26, v5, 0xbc7a590c
	s_delay_alu instid0(VALU_DEP_1) | instskip(SKIP_2) | instid1(VALU_DEP_1)
	v_fmaak_f32 v26, v5, v26, 0x3d29fb3f
	s_waitcnt_depctr 0xfff
	v_ldexp_f32 v22, v24, v22
	v_cndmask_b32_e32 v22, 0x7f800000, v22, vcc_lo
	s_delay_alu instid0(VALU_DEP_1) | instskip(SKIP_1) | instid1(VALU_DEP_1)
	v_cmp_gt_f32_e32 vcc_lo, 0x800000, v22
	v_cndmask_b32_e64 v25, 1.0, 0x4f800000, vcc_lo
	v_mul_f32_e32 v22, v22, v25
	s_delay_alu instid0(VALU_DEP_1) | instskip(SKIP_2) | instid1(VALU_DEP_2)
	v_log_f32_e32 v22, v22
	v_fmaak_f32 v24, v5, v26, 0xbd97d4d7
	v_cndmask_b32_e64 v26, 0, 0x41b17218, vcc_lo
	v_fmaak_f32 v24, v5, v24, 0x3dd931b2
	s_waitcnt_depctr 0xfff
	v_cmp_gt_f32_e64 vcc_lo, 0x7f800000, |v22|
	v_fmaak_f32 v24, v5, v24, 0xbe1160e6
	s_delay_alu instid0(VALU_DEP_1) | instskip(NEXT) | instid1(VALU_DEP_1)
	v_fmaak_f32 v24, v5, v24, 0x3e4cb8bf
	v_fmaak_f32 v24, v5, v24, 0xbeaaaa62
	s_delay_alu instid0(VALU_DEP_1) | instskip(NEXT) | instid1(VALU_DEP_1)
	v_dual_mul_f32 v5, v5, v24 :: v_dual_mul_f32 v24, 0x3f317217, v22
	v_fmac_f32_e32 v23, v23, v5
	s_delay_alu instid0(VALU_DEP_2) | instskip(NEXT) | instid1(VALU_DEP_2)
	v_fma_f32 v5, 0x3f317217, v22, -v24
	v_sub_f32_e32 v25, 0x3fc90fdb, v23
	s_delay_alu instid0(VALU_DEP_2) | instskip(NEXT) | instid1(VALU_DEP_2)
	v_fmac_f32_e32 v5, 0x3377d1cf, v22
	v_cndmask_b32_e64 v23, v23, v25, s6
	v_cmp_gt_i32_e64 s6, 0, v7
	s_delay_alu instid0(VALU_DEP_3) | instskip(NEXT) | instid1(VALU_DEP_2)
	v_add_f32_e32 v5, v24, v5
	v_cndmask_b32_e64 v25, 0, 0x40490fdb, s6
	v_cmp_gt_f32_e64 s6, 0, v7
	s_delay_alu instid0(VALU_DEP_3) | instskip(SKIP_1) | instid1(VALU_DEP_3)
	v_dual_cndmask_b32 v5, v22, v5 :: v_dual_sub_f32 v24, 0x40490fdb, v23
	v_cmp_eq_f32_e32 vcc_lo, 0, v8
	v_cndmask_b32_e64 v22, 0x3f490fdb, v17, s6
	s_delay_alu instid0(VALU_DEP_3) | instskip(NEXT) | instid1(VALU_DEP_4)
	v_sub_f32_e32 v5, v5, v26
	v_cndmask_b32_e64 v7, v23, v24, s6
	s_delay_alu instid0(VALU_DEP_2) | instskip(NEXT) | instid1(VALU_DEP_2)
	v_add_f32_e32 v5, 1.0, v5
	v_cndmask_b32_e32 v7, v7, v25, vcc_lo
	s_and_b32 vcc_lo, s9, s7
	s_delay_alu instid0(VALU_DEP_1)
	v_cndmask_b32_e32 v22, v7, v22, vcc_lo
.LBB187_146:                            ;   in Loop: Header=BB187_4 Depth=1
	s_or_b32 exec_lo, exec_lo, s8
	s_and_not1_saveexec_b32 s6, s27
	s_cbranch_execz .LBB187_116
.LBB187_147:                            ;   in Loop: Header=BB187_4 Depth=1
	v_cmp_ngt_f32_e64 s7, 0x20000000, |v7|
	v_cmp_ngt_f32_e64 s8, 0x20000000, |v8|
                                        ; implicit-def: $vgpr5
	s_delay_alu instid0(VALU_DEP_1) | instskip(NEXT) | instid1(SALU_CYCLE_1)
	s_or_b32 s7, s8, s7
	s_and_saveexec_b32 s8, s7
	s_delay_alu instid0(SALU_CYCLE_1)
	s_xor_b32 s7, exec_lo, s8
; %bb.148:                              ;   in Loop: Header=BB187_4 Depth=1
	v_mul_f32_e32 v5, v7, v7
	s_delay_alu instid0(VALU_DEP_1)
	v_fmac_f32_e32 v5, v8, v8
; %bb.149:                              ;   in Loop: Header=BB187_4 Depth=1
	s_and_not1_saveexec_b32 s7, s7
; %bb.150:                              ;   in Loop: Header=BB187_4 Depth=1
	v_mul_f32_e32 v5, 4.0, v7
	v_mul_f32_e32 v7, 4.0, v8
	s_delay_alu instid0(VALU_DEP_2) | instskip(NEXT) | instid1(VALU_DEP_1)
	v_mul_f32_e32 v5, v5, v5
	v_fmac_f32_e32 v5, v7, v7
	s_delay_alu instid0(VALU_DEP_1)
	v_mul_f32_e32 v5, 0x3d800000, v5
; %bb.151:                              ;   in Loop: Header=BB187_4 Depth=1
	s_or_b32 exec_lo, exec_lo, s7
	s_delay_alu instid0(VALU_DEP_1) | instskip(SKIP_1) | instid1(VALU_DEP_1)
	v_cmp_gt_f32_e32 vcc_lo, 0x800000, v5
	v_cndmask_b32_e64 v7, 1.0, 0x4f800000, vcc_lo
	v_mul_f32_e32 v5, v5, v7
	s_delay_alu instid0(VALU_DEP_1) | instskip(SKIP_2) | instid1(VALU_DEP_1)
	v_log_f32_e32 v5, v5
	s_waitcnt_depctr 0xfff
	v_mul_f32_e32 v7, 0x3f317217, v5
	v_fma_f32 v22, 0x3f317217, v5, -v7
	s_delay_alu instid0(VALU_DEP_1) | instskip(NEXT) | instid1(VALU_DEP_1)
	v_fmac_f32_e32 v22, 0x3377d1cf, v5
	v_add_f32_e32 v7, v7, v22
	v_cndmask_b32_e64 v22, 0, 0x41b17218, vcc_lo
	v_cmp_gt_f32_e64 vcc_lo, 0x7f800000, |v5|
	s_delay_alu instid0(VALU_DEP_3) | instskip(NEXT) | instid1(VALU_DEP_1)
	v_cndmask_b32_e32 v5, v5, v7, vcc_lo
	v_dual_sub_f32 v5, v5, v22 :: v_dual_mov_b32 v22, 0x7fc00000
	s_or_b32 exec_lo, exec_lo, s6
	s_and_saveexec_b32 s6, s5
	s_delay_alu instid0(SALU_CYCLE_1)
	s_xor_b32 s6, exec_lo, s6
	s_cbranch_execz .LBB187_117
.LBB187_152:                            ;   in Loop: Header=BB187_4 Depth=1
	v_bfi_b32 v7, 0x7fffffff, v19, v16
	v_div_scale_f32 v16, null, 0x40135d8e, 0x40135d8e, v18
	v_div_scale_f32 v27, vcc_lo, v18, 0x40135d8e, v18
	s_delay_alu instid0(VALU_DEP_3) | instskip(NEXT) | instid1(VALU_DEP_3)
	v_div_scale_f32 v19, null, 0x40135d8e, 0x40135d8e, v7
	v_rcp_f32_e32 v23, v16
	s_delay_alu instid0(VALU_DEP_1) | instskip(SKIP_3) | instid1(VALU_DEP_2)
	v_rcp_f32_e32 v24, v19
	s_waitcnt_depctr 0xfff
	v_fma_f32 v25, -v16, v23, 1.0
	v_fma_f32 v26, -v19, v24, 1.0
	v_fmac_f32_e32 v23, v25, v23
	v_div_scale_f32 v25, s5, v7, 0x40135d8e, v7
	s_delay_alu instid0(VALU_DEP_3) | instskip(NEXT) | instid1(VALU_DEP_3)
	v_fmac_f32_e32 v24, v26, v24
	v_mul_f32_e32 v26, v27, v23
	s_delay_alu instid0(VALU_DEP_2) | instskip(NEXT) | instid1(VALU_DEP_2)
	v_mul_f32_e32 v28, v25, v24
	v_fma_f32 v29, -v16, v26, v27
	s_delay_alu instid0(VALU_DEP_2) | instskip(NEXT) | instid1(VALU_DEP_2)
	v_fma_f32 v30, -v19, v28, v25
	v_fmac_f32_e32 v26, v29, v23
	s_delay_alu instid0(VALU_DEP_2) | instskip(NEXT) | instid1(VALU_DEP_2)
	v_fmac_f32_e32 v28, v30, v24
	v_fma_f32 v16, -v16, v26, v27
	s_delay_alu instid0(VALU_DEP_2) | instskip(NEXT) | instid1(VALU_DEP_2)
	v_fma_f32 v19, -v19, v28, v25
	v_div_fmas_f32 v16, v16, v23, v26
	s_mov_b32 vcc_lo, s5
	s_delay_alu instid0(VALU_DEP_2) | instskip(SKIP_1) | instid1(VALU_DEP_3)
	v_div_fmas_f32 v19, v19, v24, v28
	v_add_co_u32 v11, vcc_lo, s13, v11
	v_div_fixup_f32 v18, v16, 0x40135d8e, v18
	v_add_co_ci_u32_e32 v12, vcc_lo, s20, v12, vcc_lo
	s_delay_alu instid0(VALU_DEP_4)
	v_div_fixup_f32 v19, v19, 0x40135d8e, v7
	global_store_b64 v[11:12], v[18:19], off
	s_or_b32 exec_lo, exec_lo, s6
	s_and_saveexec_b32 s5, s4
	s_cbranch_execz .LBB187_118
.LBB187_153:                            ;   in Loop: Header=BB187_4 Depth=1
	v_bfi_b32 v7, 0x7fffffff, v20, v14
	v_div_scale_f32 v11, null, 0x40135d8e, 0x40135d8e, v15
	v_div_scale_f32 v20, vcc_lo, v15, 0x40135d8e, v15
	s_delay_alu instid0(VALU_DEP_3) | instskip(NEXT) | instid1(VALU_DEP_3)
	v_div_scale_f32 v12, null, 0x40135d8e, 0x40135d8e, v7
	v_rcp_f32_e32 v14, v11
	s_delay_alu instid0(VALU_DEP_1) | instskip(SKIP_3) | instid1(VALU_DEP_1)
	v_rcp_f32_e32 v16, v12
	s_waitcnt_depctr 0xfff
	v_fma_f32 v18, -v11, v14, 1.0
	v_fma_f32 v19, -v12, v16, 1.0
	v_fmac_f32_e32 v16, v19, v16
	s_delay_alu instid0(VALU_DEP_3) | instskip(SKIP_1) | instid1(VALU_DEP_1)
	v_fmac_f32_e32 v14, v18, v14
	v_div_scale_f32 v18, s4, v7, 0x40135d8e, v7
	v_mul_f32_e32 v23, v18, v16
	s_delay_alu instid0(VALU_DEP_1) | instskip(NEXT) | instid1(VALU_DEP_1)
	v_fma_f32 v25, -v12, v23, v18
	v_fmac_f32_e32 v23, v25, v16
	v_mul_f32_e32 v19, v20, v14
	s_delay_alu instid0(VALU_DEP_2) | instskip(NEXT) | instid1(VALU_DEP_2)
	v_fma_f32 v12, -v12, v23, v18
	v_fma_f32 v24, -v11, v19, v20
	s_delay_alu instid0(VALU_DEP_1) | instskip(NEXT) | instid1(VALU_DEP_1)
	v_fmac_f32_e32 v19, v24, v14
	v_fma_f32 v11, -v11, v19, v20
	s_delay_alu instid0(VALU_DEP_1) | instskip(SKIP_3) | instid1(VALU_DEP_3)
	v_div_fmas_f32 v11, v11, v14, v19
	s_mov_b32 vcc_lo, s4
	v_div_fmas_f32 v12, v12, v16, v23
	v_add_co_u32 v9, vcc_lo, s13, v9
	v_div_fixup_f32 v11, v11, 0x40135d8e, v15
	v_add_co_ci_u32_e32 v10, vcc_lo, s20, v10, vcc_lo
	s_delay_alu instid0(VALU_DEP_4)
	v_div_fixup_f32 v12, v12, 0x40135d8e, v7
	global_store_b64 v[9:10], v[11:12], off
	s_or_b32 exec_lo, exec_lo, s5
	s_and_saveexec_b32 s4, s3
	s_cbranch_execz .LBB187_119
.LBB187_154:                            ;   in Loop: Header=BB187_4 Depth=1
	v_bfi_b32 v7, 0x7fffffff, v21, v6
	v_div_scale_f32 v6, null, 0x40135d8e, 0x40135d8e, v13
	v_div_scale_f32 v15, vcc_lo, v13, 0x40135d8e, v13
	s_delay_alu instid0(VALU_DEP_3) | instskip(NEXT) | instid1(VALU_DEP_3)
	v_div_scale_f32 v9, null, 0x40135d8e, 0x40135d8e, v7
	v_rcp_f32_e32 v10, v6
	s_delay_alu instid0(VALU_DEP_1) | instskip(SKIP_3) | instid1(VALU_DEP_2)
	v_rcp_f32_e32 v11, v9
	s_waitcnt_depctr 0xfff
	v_fma_f32 v12, -v6, v10, 1.0
	v_fma_f32 v14, -v9, v11, 1.0
	v_fmac_f32_e32 v10, v12, v10
	v_div_scale_f32 v12, s3, v7, 0x40135d8e, v7
	s_delay_alu instid0(VALU_DEP_2) | instskip(NEXT) | instid1(VALU_DEP_1)
	v_dual_fmac_f32 v11, v14, v11 :: v_dual_mul_f32 v14, v15, v10
	v_mul_f32_e32 v16, v12, v11
	s_delay_alu instid0(VALU_DEP_2) | instskip(NEXT) | instid1(VALU_DEP_2)
	v_fma_f32 v18, -v6, v14, v15
	v_fma_f32 v19, -v9, v16, v12
	s_delay_alu instid0(VALU_DEP_2) | instskip(NEXT) | instid1(VALU_DEP_2)
	v_fmac_f32_e32 v14, v18, v10
	v_fmac_f32_e32 v16, v19, v11
	s_delay_alu instid0(VALU_DEP_2) | instskip(NEXT) | instid1(VALU_DEP_2)
	v_fma_f32 v6, -v6, v14, v15
	v_fma_f32 v9, -v9, v16, v12
	s_delay_alu instid0(VALU_DEP_2) | instskip(SKIP_1) | instid1(VALU_DEP_2)
	v_div_fmas_f32 v6, v6, v10, v14
	s_mov_b32 vcc_lo, s3
	v_div_fmas_f32 v9, v9, v11, v16
	v_add_co_u32 v3, vcc_lo, s13, v3
	s_delay_alu instid0(VALU_DEP_3) | instskip(SKIP_1) | instid1(VALU_DEP_4)
	v_div_fixup_f32 v6, v6, 0x40135d8e, v13
	v_add_co_ci_u32_e32 v4, vcc_lo, s20, v4, vcc_lo
	v_div_fixup_f32 v7, v9, 0x40135d8e, v7
	global_store_b64 v[3:4], v[6:7], off
	s_or_b32 exec_lo, exec_lo, s4
	s_and_saveexec_b32 s3, s2
	s_cbranch_execz .LBB187_3
.LBB187_155:                            ;   in Loop: Header=BB187_4 Depth=1
	v_bfi_b32 v4, 0x7fffffff, v22, v8
	v_div_scale_f32 v3, null, 0x40135d8e, 0x40135d8e, v5
	v_div_scale_f32 v11, vcc_lo, v5, 0x40135d8e, v5
	s_delay_alu instid0(VALU_DEP_3) | instskip(NEXT) | instid1(VALU_DEP_3)
	v_div_scale_f32 v6, null, 0x40135d8e, 0x40135d8e, v4
	v_rcp_f32_e32 v7, v3
	s_delay_alu instid0(VALU_DEP_1) | instskip(SKIP_3) | instid1(VALU_DEP_2)
	v_rcp_f32_e32 v8, v6
	s_waitcnt_depctr 0xfff
	v_fma_f32 v9, -v3, v7, 1.0
	v_fma_f32 v10, -v6, v8, 1.0
	v_fmac_f32_e32 v7, v9, v7
	v_div_scale_f32 v9, s2, v4, 0x40135d8e, v4
	s_delay_alu instid0(VALU_DEP_3) | instskip(NEXT) | instid1(VALU_DEP_3)
	v_fmac_f32_e32 v8, v10, v8
	v_mul_f32_e32 v10, v11, v7
	s_delay_alu instid0(VALU_DEP_2) | instskip(NEXT) | instid1(VALU_DEP_2)
	v_mul_f32_e32 v12, v9, v8
	v_fma_f32 v13, -v3, v10, v11
	s_delay_alu instid0(VALU_DEP_2) | instskip(NEXT) | instid1(VALU_DEP_2)
	v_fma_f32 v14, -v6, v12, v9
	v_fmac_f32_e32 v10, v13, v7
	s_delay_alu instid0(VALU_DEP_2) | instskip(NEXT) | instid1(VALU_DEP_2)
	v_fmac_f32_e32 v12, v14, v8
	v_fma_f32 v3, -v3, v10, v11
	s_delay_alu instid0(VALU_DEP_2) | instskip(NEXT) | instid1(VALU_DEP_2)
	v_fma_f32 v6, -v6, v12, v9
	v_div_fmas_f32 v3, v3, v7, v10
	s_mov_b32 vcc_lo, s2
	s_delay_alu instid0(VALU_DEP_2) | instskip(SKIP_1) | instid1(VALU_DEP_3)
	v_div_fmas_f32 v6, v6, v8, v12
	v_add_co_u32 v1, vcc_lo, s13, v1
	v_div_fixup_f32 v3, v3, 0x40135d8e, v5
	v_add_co_ci_u32_e32 v2, vcc_lo, s20, v2, vcc_lo
	s_delay_alu instid0(VALU_DEP_4)
	v_div_fixup_f32 v4, v6, 0x40135d8e, v4
	global_store_b64 v[1:2], v[3:4], off
	s_branch .LBB187_3
.LBB187_156:
	s_cbranch_execz .LBB187_158
	s_branch .LBB187_297
.LBB187_157:
.LBB187_158:
	v_dual_mov_b32 v2, 0 :: v_dual_lshlrev_b32 v1, 2, v0
	s_mov_b32 s7, 0
	s_mov_b32 s2, exec_lo
	s_delay_alu instid0(VALU_DEP_1)
	v_cmpx_gt_i64_e64 s[14:15], v[1:2]
	s_cbranch_execz .LBB187_297
; %bb.159:
	s_load_b32 s0, s[0:1], 0xd3c
	v_dual_mov_b32 v1, v2 :: v_dual_mov_b32 v12, 0x4016cbe4
	s_mov_b32 s8, 0x3e9b6dac
	s_mov_b32 s10, 0x3b2d2a58
	s_waitcnt lgkmcnt(0)
	s_and_b32 s9, s0, 0xffff
	s_branch .LBB187_162
.LBB187_160:                            ;   in Loop: Header=BB187_162 Depth=1
	s_or_b32 exec_lo, exec_lo, s1
	s_delay_alu instid0(VALU_DEP_1) | instskip(SKIP_1) | instid1(VALU_DEP_1)
	v_cmp_gt_f32_e32 vcc_lo, 0x800000, v2
	v_cndmask_b32_e64 v4, 1.0, 0x4f800000, vcc_lo
	v_mul_f32_e32 v2, v2, v4
	s_delay_alu instid0(VALU_DEP_1) | instskip(SKIP_2) | instid1(VALU_DEP_1)
	v_log_f32_e32 v2, v2
	s_waitcnt_depctr 0xfff
	v_mul_f32_e32 v4, 0x3f317217, v2
	v_fma_f32 v17, 0x3f317217, v2, -v4
	s_delay_alu instid0(VALU_DEP_1) | instskip(NEXT) | instid1(VALU_DEP_1)
	v_fmac_f32_e32 v17, 0x3377d1cf, v2
	v_add_f32_e32 v4, v4, v17
	v_cndmask_b32_e64 v17, 0, 0x41b17218, vcc_lo
	v_cmp_gt_f32_e64 vcc_lo, 0x7f800000, |v2|
	s_delay_alu instid0(VALU_DEP_3) | instskip(NEXT) | instid1(VALU_DEP_1)
	v_cndmask_b32_e32 v2, v2, v4, vcc_lo
	v_dual_sub_f32 v2, v2, v17 :: v_dual_mov_b32 v17, 0x7fc00000
.LBB187_161:                            ;   in Loop: Header=BB187_162 Depth=1
	s_or_b32 exec_lo, exec_lo, s0
	v_bfi_b32 v4, 0x7fffffff, v16, v3
	v_div_scale_f32 v3, null, 0x40135d8e, 0x40135d8e, v8
	v_div_scale_f32 v16, null, 0x40135d8e, 0x40135d8e, v6
	s_delay_alu instid0(VALU_DEP_3) | instskip(NEXT) | instid1(VALU_DEP_3)
	v_div_scale_f32 v18, null, 0x40135d8e, 0x40135d8e, v4
	v_rcp_f32_e32 v19, v3
	s_delay_alu instid0(VALU_DEP_2) | instskip(SKIP_1) | instid1(VALU_DEP_2)
	v_rcp_f32_e32 v20, v16
	v_bfi_b32 v7, 0x7fffffff, v14, v7
	v_rcp_f32_e32 v21, v18
	v_div_scale_f32 v22, vcc_lo, v8, 0x40135d8e, v8
	v_bfi_b32 v9, 0x7fffffff, v15, v9
	v_div_scale_f32 v15, s0, v6, 0x40135d8e, v6
	v_div_scale_f32 v25, s1, v4, 0x40135d8e, v4
	s_delay_alu instid0(TRANS32_DEP_3) | instskip(NEXT) | instid1(TRANS32_DEP_2)
	v_fma_f32 v14, -v3, v19, 1.0
	v_fma_f32 v23, -v16, v20, 1.0
	s_delay_alu instid0(TRANS32_DEP_1) | instskip(SKIP_1) | instid1(VALU_DEP_3)
	v_fma_f32 v24, -v18, v21, 1.0
	v_div_scale_f32 v27, null, 0x40135d8e, 0x40135d8e, v13
	v_dual_fmac_f32 v19, v14, v19 :: v_dual_fmac_f32 v20, v23, v20
	s_delay_alu instid0(VALU_DEP_3) | instskip(SKIP_2) | instid1(VALU_DEP_4)
	v_fmac_f32_e32 v21, v24, v21
	v_div_scale_f32 v14, null, 0x40135d8e, 0x40135d8e, v9
	v_div_scale_f32 v32, s2, v9, 0x40135d8e, v9
	v_dual_mul_f32 v24, v15, v20 :: v_dual_mul_f32 v23, v22, v19
	s_delay_alu instid0(VALU_DEP_4) | instskip(NEXT) | instid1(VALU_DEP_4)
	v_mul_f32_e32 v26, v25, v21
	v_rcp_f32_e32 v28, v14
	v_bfi_b32 v17, 0x7fffffff, v17, v5
	s_delay_alu instid0(VALU_DEP_3) | instskip(SKIP_2) | instid1(VALU_DEP_2)
	v_fma_f32 v30, -v16, v24, v15
	v_fma_f32 v29, -v3, v23, v22
	;; [unrolled: 1-line block ×3, first 2 shown]
	v_dual_fmac_f32 v24, v30, v20 :: v_dual_fmac_f32 v23, v29, v19
	s_delay_alu instid0(VALU_DEP_2) | instskip(SKIP_1) | instid1(TRANS32_DEP_2)
	v_fmac_f32_e32 v26, v31, v21
	v_rcp_f32_e32 v29, v27
	v_fma_f32 v30, -v14, v28, 1.0
	s_delay_alu instid0(VALU_DEP_3) | instskip(SKIP_4) | instid1(VALU_DEP_4)
	v_fma_f32 v15, -v16, v24, v15
	v_fma_f32 v3, -v3, v23, v22
	;; [unrolled: 1-line block ×3, first 2 shown]
	v_div_scale_f32 v18, null, 0x40135d8e, 0x40135d8e, v7
	v_div_scale_f32 v25, s3, v2, 0x40135d8e, v2
	v_div_fmas_f32 v3, v3, v19, v23
	s_delay_alu instid0(VALU_DEP_3) | instskip(SKIP_4) | instid1(VALU_DEP_2)
	v_rcp_f32_e32 v19, v18
	s_mov_b32 vcc_lo, s1
	v_fma_f32 v5, -v27, v29, 1.0
	v_fmac_f32_e32 v28, v30, v28
	v_div_fixup_f32 v3, v3, 0x40135d8e, v8
	v_dual_fmac_f32 v29, v5, v29 :: v_dual_mul_f32 v8, v32, v28
	s_waitcnt_depctr 0xfff
	v_fma_f32 v22, -v18, v19, 1.0
	s_delay_alu instid0(VALU_DEP_1) | instskip(SKIP_4) | instid1(VALU_DEP_3)
	v_fmac_f32_e32 v19, v22, v19
	v_div_fmas_f32 v16, v16, v21, v26
	s_mov_b32 vcc_lo, s0
	v_div_scale_f32 v21, null, 0x40135d8e, 0x40135d8e, v17
	v_div_fmas_f32 v15, v15, v20, v24
	v_div_fixup_f32 v4, v16, 0x40135d8e, v4
	v_fma_f32 v16, -v14, v8, v32
	s_delay_alu instid0(VALU_DEP_4)
	v_rcp_f32_e32 v23, v21
	v_div_scale_f32 v5, s0, v13, 0x40135d8e, v13
	v_div_fixup_f32 v15, v15, 0x40135d8e, v6
	v_div_scale_f32 v6, null, 0x40135d8e, 0x40135d8e, v2
	v_fmac_f32_e32 v8, v16, v28
	v_div_scale_f32 v22, s1, v7, 0x40135d8e, v7
	s_delay_alu instid0(VALU_DEP_3) | instskip(SKIP_1) | instid1(VALU_DEP_2)
	v_rcp_f32_e32 v20, v6
	s_mov_b32 vcc_lo, s2
	v_fma_f32 v14, -v14, v8, v32
	v_div_scale_f32 v32, s4, v17, 0x40135d8e, v17
	s_delay_alu instid0(VALU_DEP_2)
	v_div_fmas_f32 v8, v14, v28, v8
	v_add_co_u32 v0, vcc_lo, v0, s9
	s_waitcnt_depctr 0xfff
	v_fma_f32 v16, -v6, v20, 1.0
	v_add_co_ci_u32_e32 v1, vcc_lo, 0, v1, vcc_lo
	s_mov_b32 vcc_lo, s0
	s_delay_alu instid0(VALU_DEP_2) | instskip(SKIP_2) | instid1(VALU_DEP_3)
	v_fmac_f32_e32 v20, v16, v20
	v_fma_f32 v16, -v21, v23, 1.0
	v_mul_f32_e32 v24, v5, v29
	v_dual_mul_f32 v30, v22, v19 :: v_dual_mul_f32 v31, v25, v20
	s_delay_alu instid0(VALU_DEP_3) | instskip(NEXT) | instid1(VALU_DEP_3)
	v_fmac_f32_e32 v23, v16, v23
	v_fma_f32 v26, -v27, v24, v5
	s_delay_alu instid0(VALU_DEP_3) | instskip(SKIP_1) | instid1(VALU_DEP_3)
	v_fma_f32 v14, -v18, v30, v22
	v_div_fixup_f32 v16, v8, 0x40135d8e, v9
	v_fmac_f32_e32 v24, v26, v29
	v_fma_f32 v26, -v6, v31, v25
	v_mul_f32_e32 v28, v32, v23
	v_fmac_f32_e32 v30, v14, v19
	s_delay_alu instid0(VALU_DEP_4) | instskip(NEXT) | instid1(VALU_DEP_4)
	v_fma_f32 v5, -v27, v24, v5
	v_fmac_f32_e32 v31, v26, v20
	s_delay_alu instid0(VALU_DEP_4) | instskip(NEXT) | instid1(VALU_DEP_4)
	v_fma_f32 v8, -v21, v28, v32
	v_fma_f32 v14, -v18, v30, v22
	s_delay_alu instid0(VALU_DEP_4) | instskip(NEXT) | instid1(VALU_DEP_4)
	v_div_fmas_f32 v9, v5, v29, v24
	v_fma_f32 v18, -v6, v31, v25
	s_delay_alu instid0(VALU_DEP_4)
	v_fmac_f32_e32 v28, v8, v23
	v_lshlrev_b64 v[5:6], 2, v[0:1]
	s_mov_b32 vcc_lo, s1
	v_div_fixup_f32 v13, v9, 0x40135d8e, v13
	v_div_fmas_f32 v8, v14, v19, v30
	v_fma_f32 v14, -v21, v28, v32
	s_mov_b32 vcc_lo, s3
	v_cmp_le_i64_e64 s0, s[14:15], v[5:6]
	v_cmp_lt_u64_e64 s1, 0xffff, v[5:6]
	v_div_fmas_f32 v18, v18, v20, v31
	s_mov_b32 vcc_lo, s4
	v_div_fmas_f32 v6, v14, v23, v28
	v_div_fixup_f32 v14, v8, 0x40135d8e, v7
	s_delay_alu instid0(VALU_DEP_4)
	s_or_b32 s0, s0, s1
	v_div_fixup_f32 v5, v18, 0x40135d8e, v2
	s_and_b32 s0, exec_lo, s0
	v_div_fixup_f32 v6, v6, 0x40135d8e, v17
	s_or_b32 s7, s0, s7
	s_clause 0x1
	global_store_b128 v[10:11], v[13:16], off
	global_store_b128 v[10:11], v[3:6], off offset:16
	s_and_not1_b32 exec_lo, exec_lo, s7
	s_cbranch_execz .LBB187_297
.LBB187_162:                            ; =>This Loop Header: Depth=1
                                        ;     Child Loop BB187_173 Depth 2
                                        ;     Child Loop BB187_207 Depth 2
	;; [unrolled: 1-line block ×4, first 2 shown]
	v_lshlrev_b64 v[2:3], 5, v[0:1]
                                        ; implicit-def: $vgpr13
                                        ; implicit-def: $vgpr14
	s_mov_b32 s0, exec_lo
	s_delay_alu instid0(VALU_DEP_1) | instskip(NEXT) | instid1(VALU_DEP_2)
	v_add_co_u32 v10, vcc_lo, s13, v2
	v_add_co_ci_u32_e32 v11, vcc_lo, s20, v3, vcc_lo
	s_clause 0x1
	global_load_b128 v[6:9], v[10:11], off
	global_load_b128 v[2:5], v[10:11], off offset:16
	s_waitcnt vmcnt(1)
	v_cmpx_o_f32_e32 v7, v6
	s_xor_b32 s11, exec_lo, s0
	s_cbranch_execz .LBB187_190
; %bb.163:                              ;   in Loop: Header=BB187_162 Depth=1
	v_cmp_lt_f32_e64 s0, |v6|, |v7|
                                        ; implicit-def: $vgpr13
                                        ; implicit-def: $vgpr14
	s_mov_b32 s1, exec_lo
	s_delay_alu instid0(VALU_DEP_1) | instskip(NEXT) | instid1(VALU_DEP_1)
	v_cndmask_b32_e64 v15, |v7|, |v6|, s0
	v_cmpx_nlt_f32_e32 0x77f684df, v15
	s_xor_b32 s12, exec_lo, s1
	s_cbranch_execz .LBB187_187
; %bb.164:                              ;   in Loop: Header=BB187_162 Depth=1
	v_and_b32_e32 v13, 0x7fffffff, v7
                                        ; implicit-def: $vgpr14
	s_mov_b32 s1, exec_lo
	s_delay_alu instid0(VALU_DEP_1) | instskip(NEXT) | instid1(VALU_DEP_1)
	v_cndmask_b32_e64 v16, |v6|, v13, s0
                                        ; implicit-def: $vgpr13
	v_cmpx_neq_f32_e32 1.0, v16
	s_xor_b32 s16, exec_lo, s1
	s_cbranch_execz .LBB187_180
; %bb.165:                              ;   in Loop: Header=BB187_162 Depth=1
	v_dual_max_f32 v13, v15, v15 :: v_dual_max_f32 v14, v16, v16
	s_delay_alu instid0(VALU_DEP_1) | instskip(SKIP_1) | instid1(VALU_DEP_2)
	v_min_f32_e32 v17, v14, v13
	v_max_f32_e32 v13, v14, v13
                                        ; implicit-def: $vgpr14
	v_cmp_ngt_f32_e32 vcc_lo, 0x358637bd, v17
	s_delay_alu instid0(VALU_DEP_2) | instskip(NEXT) | instid1(VALU_DEP_1)
	v_cmp_nlt_f32_e64 s1, 0x49742400, v13
                                        ; implicit-def: $vgpr13
	s_and_b32 s1, s1, vcc_lo
	s_delay_alu instid0(SALU_CYCLE_1) | instskip(NEXT) | instid1(SALU_CYCLE_1)
	s_and_saveexec_b32 s2, s1
	s_xor_b32 s17, exec_lo, s2
	s_cbranch_execz .LBB187_177
; %bb.166:                              ;   in Loop: Header=BB187_162 Depth=1
                                        ; implicit-def: $vgpr13
                                        ; implicit-def: $vgpr14
	s_mov_b32 s1, exec_lo
	v_cmpx_le_f32_e32 1.0, v16
	s_xor_b32 s2, exec_lo, s1
	s_cbranch_execz .LBB187_168
; %bb.167:                              ;   in Loop: Header=BB187_162 Depth=1
	v_add_f32_e32 v13, -1.0, v16
	v_add_f32_e32 v14, 1.0, v16
	v_cmp_class_f32_e64 s3, v6, 0x204
	s_delay_alu instid0(VALU_DEP_2) | instskip(NEXT) | instid1(VALU_DEP_1)
	v_mul_f32_e32 v16, v13, v14
	v_fmac_f32_e32 v16, v15, v15
	s_delay_alu instid0(VALU_DEP_1) | instskip(SKIP_1) | instid1(VALU_DEP_2)
	v_add_f32_e32 v15, 1.0, v16
	v_cmp_neq_f32_e64 s1, -1.0, v16
	v_cvt_f64_f32_e32 v[13:14], v15
	s_delay_alu instid0(VALU_DEP_1) | instskip(SKIP_1) | instid1(VALU_DEP_1)
	v_frexp_exp_i32_f64_e32 v13, v[13:14]
	v_frexp_mant_f32_e32 v14, v15
	v_cmp_gt_f32_e32 vcc_lo, 0x3f2aaaab, v14
	v_add_f32_e32 v14, -1.0, v15
	s_delay_alu instid0(VALU_DEP_1) | instskip(SKIP_3) | instid1(VALU_DEP_2)
	v_sub_f32_e32 v18, v14, v15
	v_sub_f32_e32 v14, v16, v14
	v_subrev_co_ci_u32_e32 v13, vcc_lo, 0, v13, vcc_lo
	v_cmp_eq_f32_e32 vcc_lo, 0x7f800000, v16
	v_sub_nc_u32_e32 v17, 0, v13
	v_cvt_f32_i32_e32 v13, v13
	s_delay_alu instid0(VALU_DEP_2) | instskip(NEXT) | instid1(VALU_DEP_1)
	v_ldexp_f32 v15, v15, v17
	v_dual_add_f32 v19, 1.0, v15 :: v_dual_add_f32 v18, 1.0, v18
	s_delay_alu instid0(VALU_DEP_1) | instskip(NEXT) | instid1(VALU_DEP_2)
	v_add_f32_e32 v14, v14, v18
	v_add_f32_e32 v18, -1.0, v19
	s_delay_alu instid0(VALU_DEP_2) | instskip(NEXT) | instid1(VALU_DEP_2)
	v_ldexp_f32 v14, v14, v17
	v_dual_add_f32 v17, -1.0, v15 :: v_dual_sub_f32 v18, v15, v18
	s_delay_alu instid0(VALU_DEP_1) | instskip(NEXT) | instid1(VALU_DEP_1)
	v_add_f32_e32 v20, 1.0, v17
	v_dual_add_f32 v18, v14, v18 :: v_dual_sub_f32 v15, v15, v20
	s_delay_alu instid0(VALU_DEP_1) | instskip(NEXT) | instid1(VALU_DEP_2)
	v_add_f32_e32 v20, v19, v18
	v_add_f32_e32 v14, v14, v15
	s_delay_alu instid0(VALU_DEP_2) | instskip(SKIP_1) | instid1(VALU_DEP_1)
	v_rcp_f32_e32 v15, v20
	v_sub_f32_e32 v19, v20, v19
	v_dual_add_f32 v21, v17, v14 :: v_dual_sub_f32 v18, v18, v19
	s_delay_alu instid0(VALU_DEP_1) | instskip(SKIP_2) | instid1(VALU_DEP_1)
	v_sub_f32_e32 v17, v21, v17
	s_waitcnt_depctr 0xfff
	v_mul_f32_e32 v22, v21, v15
	v_mul_f32_e32 v23, v20, v22
	s_delay_alu instid0(VALU_DEP_1) | instskip(NEXT) | instid1(VALU_DEP_1)
	v_fma_f32 v19, v22, v20, -v23
	v_fmac_f32_e32 v19, v22, v18
	s_delay_alu instid0(VALU_DEP_1) | instskip(NEXT) | instid1(VALU_DEP_1)
	v_add_f32_e32 v24, v23, v19
	v_sub_f32_e32 v25, v21, v24
	s_delay_alu instid0(VALU_DEP_1) | instskip(NEXT) | instid1(VALU_DEP_1)
	v_sub_f32_e32 v21, v21, v25
	v_dual_sub_f32 v21, v21, v24 :: v_dual_sub_f32 v14, v14, v17
	v_sub_f32_e32 v17, v24, v23
	s_delay_alu instid0(VALU_DEP_1) | instskip(NEXT) | instid1(VALU_DEP_1)
	v_dual_sub_f32 v17, v17, v19 :: v_dual_add_f32 v14, v14, v21
	v_add_f32_e32 v14, v17, v14
	s_delay_alu instid0(VALU_DEP_1) | instskip(NEXT) | instid1(VALU_DEP_1)
	v_add_f32_e32 v17, v25, v14
	v_mul_f32_e32 v19, v15, v17
	s_delay_alu instid0(VALU_DEP_1) | instskip(NEXT) | instid1(VALU_DEP_1)
	v_dual_sub_f32 v24, v25, v17 :: v_dual_mul_f32 v21, v20, v19
	v_fma_f32 v20, v19, v20, -v21
	s_delay_alu instid0(VALU_DEP_1) | instskip(NEXT) | instid1(VALU_DEP_1)
	v_fmac_f32_e32 v20, v19, v18
	v_add_f32_e32 v18, v21, v20
	s_delay_alu instid0(VALU_DEP_1) | instskip(SKIP_1) | instid1(VALU_DEP_2)
	v_sub_f32_e32 v23, v17, v18
	v_sub_f32_e32 v21, v18, v21
	v_dual_sub_f32 v17, v17, v23 :: v_dual_add_f32 v14, v14, v24
	s_delay_alu instid0(VALU_DEP_1) | instskip(NEXT) | instid1(VALU_DEP_1)
	v_sub_f32_e32 v17, v17, v18
	v_add_f32_e32 v14, v14, v17
	s_delay_alu instid0(VALU_DEP_4) | instskip(SKIP_1) | instid1(VALU_DEP_2)
	v_dual_add_f32 v17, v22, v19 :: v_dual_sub_f32 v18, v21, v20
	v_max_f32_e64 v20, |v7|, |v7|
	v_add_f32_e32 v14, v18, v14
	s_delay_alu instid0(VALU_DEP_3) | instskip(NEXT) | instid1(VALU_DEP_2)
	v_sub_f32_e32 v18, v17, v22
	v_dual_add_f32 v14, v23, v14 :: v_dual_mul_f32 v23, 0x3f317218, v13
	s_delay_alu instid0(VALU_DEP_2) | instskip(NEXT) | instid1(VALU_DEP_2)
	v_sub_f32_e32 v18, v19, v18
	v_mul_f32_e32 v14, v15, v14
	s_delay_alu instid0(VALU_DEP_3) | instskip(NEXT) | instid1(VALU_DEP_1)
	v_fma_f32 v24, 0x3f317218, v13, -v23
	v_fmac_f32_e32 v24, 0xb102e308, v13
	s_delay_alu instid0(VALU_DEP_3) | instskip(NEXT) | instid1(VALU_DEP_1)
	v_add_f32_e32 v14, v18, v14
	v_add_f32_e32 v15, v17, v14
	s_delay_alu instid0(VALU_DEP_1) | instskip(NEXT) | instid1(VALU_DEP_1)
	v_mul_f32_e32 v18, v15, v15
	v_fmaak_f32 v19, s8, v18, 0x3ecc95a3
	s_delay_alu instid0(VALU_DEP_1) | instskip(SKIP_2) | instid1(VALU_DEP_3)
	v_dual_mul_f32 v21, v15, v18 :: v_dual_fmaak_f32 v18, v18, v19, 0x3f2aaada
	v_max_f32_e64 v19, |v6|, |v6|
	v_ldexp_f32 v22, v15, 1
	v_dual_sub_f32 v15, v15, v17 :: v_dual_mul_f32 v18, v21, v18
	s_delay_alu instid0(VALU_DEP_3) | instskip(NEXT) | instid1(VALU_DEP_2)
	v_max_f32_e32 v21, v19, v20
	v_dual_min_f32 v19, v19, v20 :: v_dual_sub_f32 v14, v14, v15
	s_delay_alu instid0(VALU_DEP_3) | instskip(NEXT) | instid1(VALU_DEP_3)
	v_add_f32_e32 v17, v22, v18
	v_frexp_mant_f32_e32 v20, v21
	v_frexp_exp_i32_f32_e32 v21, v21
	s_delay_alu instid0(VALU_DEP_4) | instskip(NEXT) | instid1(VALU_DEP_4)
	v_ldexp_f32 v14, v14, 1
	v_sub_f32_e32 v15, v17, v22
	s_delay_alu instid0(VALU_DEP_4) | instskip(SKIP_1) | instid1(VALU_DEP_2)
	v_rcp_f32_e32 v20, v20
	v_frexp_exp_i32_f32_e32 v22, v19
	v_sub_f32_e32 v15, v18, v15
	v_frexp_mant_f32_e32 v18, v19
	s_delay_alu instid0(VALU_DEP_3) | instskip(NEXT) | instid1(VALU_DEP_3)
	v_sub_nc_u32_e32 v19, v22, v21
	v_add_f32_e32 v13, v14, v15
	s_waitcnt_depctr 0xfff
	v_mul_f32_e32 v14, v18, v20
	v_add_f32_e32 v15, v23, v24
	s_delay_alu instid0(VALU_DEP_2) | instskip(NEXT) | instid1(VALU_DEP_1)
	v_ldexp_f32 v14, v14, v19
	v_dual_sub_f32 v23, v15, v23 :: v_dual_mul_f32 v20, v14, v14
	s_delay_alu instid0(VALU_DEP_1) | instskip(SKIP_1) | instid1(VALU_DEP_1)
	v_dual_sub_f32 v23, v24, v23 :: v_dual_fmaak_f32 v22, s10, v20, 0xbc7a590c
	v_add_f32_e32 v18, v17, v13
	v_add_f32_e32 v19, v15, v18
	v_sub_f32_e32 v17, v18, v17
	s_delay_alu instid0(VALU_DEP_2) | instskip(NEXT) | instid1(VALU_DEP_2)
	v_sub_f32_e32 v21, v19, v15
	v_dual_sub_f32 v13, v13, v17 :: v_dual_fmaak_f32 v22, v20, v22, 0x3d29fb3f
	s_delay_alu instid0(VALU_DEP_2) | instskip(NEXT) | instid1(VALU_DEP_2)
	v_sub_f32_e32 v25, v19, v21
	v_dual_sub_f32 v17, v18, v21 :: v_dual_fmaak_f32 v18, v20, v22, 0xbd97d4d7
	s_delay_alu instid0(VALU_DEP_3) | instskip(NEXT) | instid1(VALU_DEP_3)
	v_add_f32_e32 v21, v23, v13
	v_sub_f32_e32 v15, v15, v25
	s_delay_alu instid0(VALU_DEP_1) | instskip(NEXT) | instid1(VALU_DEP_1)
	v_add_f32_e32 v15, v17, v15
	v_add_f32_e32 v15, v21, v15
	v_dual_fmaak_f32 v17, v20, v18, 0x3dd931b2 :: v_dual_sub_f32 v18, v21, v23
	s_delay_alu instid0(VALU_DEP_1) | instskip(NEXT) | instid1(VALU_DEP_2)
	v_dual_add_f32 v22, v19, v15 :: v_dual_fmaak_f32 v17, v20, v17, 0xbe1160e6
	v_sub_f32_e32 v21, v21, v18
	v_sub_f32_e32 v13, v13, v18
	s_delay_alu instid0(VALU_DEP_3) | instskip(NEXT) | instid1(VALU_DEP_4)
	v_sub_f32_e32 v19, v22, v19
	v_fmaak_f32 v17, v20, v17, 0x3e4cb8bf
	s_delay_alu instid0(VALU_DEP_4) | instskip(NEXT) | instid1(VALU_DEP_2)
	v_sub_f32_e32 v18, v23, v21
	v_fmaak_f32 v17, v20, v17, 0xbeaaaa62
	s_delay_alu instid0(VALU_DEP_2) | instskip(NEXT) | instid1(VALU_DEP_2)
	v_add_f32_e32 v13, v13, v18
	v_mul_f32_e32 v17, v20, v17
	s_delay_alu instid0(VALU_DEP_1) | instskip(NEXT) | instid1(VALU_DEP_1)
	v_dual_fmac_f32 v14, v14, v17 :: v_dual_sub_f32 v15, v15, v19
	v_add_f32_e32 v13, v13, v15
	s_delay_alu instid0(VALU_DEP_2) | instskip(NEXT) | instid1(VALU_DEP_2)
	v_sub_f32_e32 v15, 0x3fc90fdb, v14
	v_add_f32_e32 v13, v22, v13
	s_delay_alu instid0(VALU_DEP_2) | instskip(NEXT) | instid1(VALU_DEP_2)
	v_cndmask_b32_e64 v14, v14, v15, s0
	v_cndmask_b32_e32 v13, v13, v16, vcc_lo
	v_cmp_gt_i32_e32 vcc_lo, 0, v6
	s_delay_alu instid0(VALU_DEP_3) | instskip(SKIP_4) | instid1(VALU_DEP_2)
	v_sub_f32_e32 v17, 0x40490fdb, v14
	v_cndmask_b32_e64 v15, 0, 0x40490fdb, vcc_lo
	v_cmp_ngt_f32_e32 vcc_lo, -1.0, v16
	v_cndmask_b32_e32 v13, 0x7fc00000, v13, vcc_lo
	v_cmp_gt_f32_e32 vcc_lo, 0, v6
	v_cndmask_b32_e64 v13, 0xff800000, v13, s1
	v_cndmask_b32_e32 v14, v14, v17, vcc_lo
	v_cndmask_b32_e32 v17, 0x3f490fdb, v12, vcc_lo
	v_cmp_gt_f32_e64 vcc_lo, 0x33800000, |v16|
	v_cmp_class_f32_e64 s1, v7, 0x204
	v_cndmask_b32_e32 v13, v13, v16, vcc_lo
	v_cmp_eq_f32_e32 vcc_lo, 0, v7
                                        ; implicit-def: $vgpr16
	s_delay_alu instid0(VALU_DEP_2) | instskip(NEXT) | instid1(VALU_DEP_4)
	v_dual_mul_f32 v13, 0.5, v13 :: v_dual_cndmask_b32 v14, v14, v15
	s_and_b32 vcc_lo, s3, s1
                                        ; implicit-def: $vgpr15
	s_delay_alu instid0(VALU_DEP_1)
	v_cndmask_b32_e32 v14, v14, v17, vcc_lo
.LBB187_168:                            ;   in Loop: Header=BB187_162 Depth=1
	s_and_not1_saveexec_b32 s18, s2
	s_cbranch_execz .LBB187_176
; %bb.169:                              ;   in Loop: Header=BB187_162 Depth=1
	v_mul_f32_e32 v17, v15, v15
                                        ; implicit-def: $vgpr13
                                        ; implicit-def: $vgpr14
	s_mov_b32 s1, exec_lo
	s_delay_alu instid0(VALU_DEP_1) | instskip(NEXT) | instid1(VALU_DEP_1)
	v_fmac_f32_e32 v17, v16, v16
	v_cmpx_ge_f32_e32 0x3f333333, v17
	s_xor_b32 s2, exec_lo, s1
	s_cbranch_execz .LBB187_171
; %bb.170:                              ;   in Loop: Header=BB187_162 Depth=1
	v_max_f32_e64 v13, |v7|, |v7|
	v_max_f32_e64 v14, |v6|, |v6|
	v_cmp_gt_f32_e32 vcc_lo, 0x800000, v17
	v_cmp_gt_i32_e64 s1, 0, v6
	v_cmp_class_f32_e64 s3, v6, 0x204
	v_cmp_class_f32_e64 s4, v7, 0x204
	v_max_f32_e32 v15, v14, v13
	v_min_f32_e32 v13, v14, v13
	v_cndmask_b32_e64 v18, 0, 0x41b17218, vcc_lo
	s_delay_alu instid0(VALU_DEP_3) | instskip(SKIP_1) | instid1(VALU_DEP_2)
	v_frexp_mant_f32_e32 v16, v15
	v_frexp_exp_i32_f32_e32 v15, v15
	v_rcp_f32_e32 v14, v16
	v_frexp_exp_i32_f32_e32 v16, v13
	v_frexp_mant_f32_e32 v13, v13
	s_delay_alu instid0(VALU_DEP_2) | instskip(SKIP_4) | instid1(VALU_DEP_2)
	v_sub_nc_u32_e32 v15, v16, v15
	v_cndmask_b32_e64 v16, 1.0, 0x4f800000, vcc_lo
	s_waitcnt_depctr 0xfff
	v_mul_f32_e32 v13, v13, v14
	v_mul_f32_e32 v16, v17, v16
	v_ldexp_f32 v13, v13, v15
	s_delay_alu instid0(VALU_DEP_2) | instskip(NEXT) | instid1(VALU_DEP_1)
	v_log_f32_e32 v16, v16
	v_mul_f32_e32 v14, v13, v13
	s_delay_alu instid0(VALU_DEP_1) | instskip(SKIP_3) | instid1(VALU_DEP_1)
	v_fmaak_f32 v15, s10, v14, 0xbc7a590c
	s_waitcnt_depctr 0xfff
	v_cmp_gt_f32_e64 vcc_lo, 0x7f800000, |v16|
	v_fmaak_f32 v15, v14, v15, 0x3d29fb3f
	v_fmaak_f32 v15, v14, v15, 0xbd97d4d7
	s_delay_alu instid0(VALU_DEP_1) | instskip(NEXT) | instid1(VALU_DEP_1)
	v_fmaak_f32 v15, v14, v15, 0x3dd931b2
	v_fmaak_f32 v15, v14, v15, 0xbe1160e6
	s_delay_alu instid0(VALU_DEP_1) | instskip(NEXT) | instid1(VALU_DEP_1)
	;; [unrolled: 3-line block ×3, first 2 shown]
	v_dual_mul_f32 v14, v14, v15 :: v_dual_mul_f32 v15, 0x3f317217, v16
	v_fmac_f32_e32 v13, v13, v14
	s_delay_alu instid0(VALU_DEP_2) | instskip(NEXT) | instid1(VALU_DEP_1)
	v_fma_f32 v14, 0x3f317217, v16, -v15
	v_fmac_f32_e32 v14, 0x3377d1cf, v16
	s_delay_alu instid0(VALU_DEP_1) | instskip(SKIP_2) | instid1(VALU_DEP_3)
	v_add_f32_e32 v14, v15, v14
	v_cndmask_b32_e64 v15, 0, 0x40490fdb, s1
	v_cmp_eq_f32_e64 s1, 0, v7
	v_cndmask_b32_e32 v14, v16, v14, vcc_lo
	v_cmp_gt_f32_e32 vcc_lo, 0, v6
	s_delay_alu instid0(VALU_DEP_2) | instskip(SKIP_2) | instid1(VALU_DEP_1)
	v_sub_f32_e32 v14, v14, v18
	v_cndmask_b32_e32 v16, 0x3f490fdb, v12, vcc_lo
	v_sub_f32_e32 v17, 0x3fc90fdb, v13
	v_cndmask_b32_e64 v13, v13, v17, s0
	s_delay_alu instid0(VALU_DEP_1) | instskip(NEXT) | instid1(VALU_DEP_1)
	v_sub_f32_e32 v17, 0x40490fdb, v13
	v_cndmask_b32_e32 v13, v13, v17, vcc_lo
	s_and_b32 vcc_lo, s3, s4
	s_delay_alu instid0(VALU_DEP_1) | instskip(NEXT) | instid1(VALU_DEP_1)
	v_cndmask_b32_e64 v15, v13, v15, s1
	v_dual_mul_f32 v13, 0.5, v14 :: v_dual_cndmask_b32 v14, v15, v16
                                        ; implicit-def: $vgpr16
                                        ; implicit-def: $vgpr15
.LBB187_171:                            ;   in Loop: Header=BB187_162 Depth=1
	s_and_not1_saveexec_b32 s19, s2
	s_cbranch_execz .LBB187_175
; %bb.172:                              ;   in Loop: Header=BB187_162 Depth=1
	v_and_b32_e32 v17, 0x7fff0000, v15
	v_and_b32_e32 v14, 0x7fff0000, v16
	s_mov_b32 s21, 0
	s_delay_alu instid0(VALU_DEP_2) | instskip(SKIP_1) | instid1(VALU_DEP_3)
	v_sub_f32_e32 v18, v15, v17
	v_mul_f32_e32 v15, v17, v17
	v_mul_f32_e32 v13, v14, v14
	v_sub_f32_e32 v16, v16, v14
	s_delay_alu instid0(VALU_DEP_1) | instskip(NEXT) | instid1(VALU_DEP_1)
	v_dual_add_f32 v24, v17, v17 :: v_dual_and_b32 v19, 0xffff0000, v16
	v_dual_sub_f32 v17, v16, v19 :: v_dual_and_b32 v20, 0xffff0000, v18
	s_delay_alu instid0(VALU_DEP_1) | instskip(SKIP_2) | instid1(VALU_DEP_3)
	v_dual_add_f32 v21, v14, v14 :: v_dual_mul_f32 v14, v24, v20
	v_dual_sub_f32 v25, v18, v20 :: v_dual_mul_f32 v16, v19, v19
	v_add_f32_e32 v18, v19, v19
	v_dual_mul_f32 v23, v21, v19 :: v_dual_add_f32 v26, v20, v20
	v_dual_mul_f32 v22, v20, v20 :: v_dual_mul_f32 v19, v21, v17
	s_delay_alu instid0(VALU_DEP_4) | instskip(NEXT) | instid1(VALU_DEP_4)
	v_mul_f32_e32 v21, v24, v25
	v_mul_f32_e32 v20, v18, v17
	;; [unrolled: 1-line block ×5, first 2 shown]
.LBB187_173:                            ;   Parent Loop BB187_162 Depth=1
                                        ; =>  This Inner Loop Header: Depth=2
	v_cmp_nlt_f32_e32 vcc_lo, v13, v15
	s_delay_alu instid0(VALU_DEP_2) | instskip(SKIP_1) | instid1(VALU_DEP_2)
	v_dual_mov_b32 v26, v24 :: v_dual_cndmask_b32 v25, v13, v15
	v_cndmask_b32_e32 v13, v15, v13, vcc_lo
	v_cmp_nlt_f32_e64 s1, v25, v23
	s_delay_alu instid0(VALU_DEP_1) | instskip(SKIP_2) | instid1(VALU_DEP_2)
	v_cndmask_b32_e64 v24, v25, v23, s1
	v_cndmask_b32_e64 v15, v23, v25, s1
	s_and_b32 s22, vcc_lo, s1
	v_cmp_nlt_f32_e64 s2, v24, v14
	s_delay_alu instid0(VALU_DEP_1) | instskip(SKIP_1) | instid1(VALU_DEP_2)
	v_cndmask_b32_e64 v27, v24, v14, s2
	v_cndmask_b32_e64 v23, v14, v24, s2
	v_cmp_nlt_f32_e64 s3, v27, v16
	s_delay_alu instid0(VALU_DEP_1) | instskip(SKIP_2) | instid1(VALU_DEP_2)
	v_cndmask_b32_e64 v25, v27, v16, s3
	v_cndmask_b32_e64 v14, v16, v27, s3
	s_and_b32 s23, s2, s3
	v_cmp_nlt_f32_e64 s4, v25, v22
	s_delay_alu instid0(VALU_DEP_1) | instskip(SKIP_1) | instid1(VALU_DEP_2)
	v_cndmask_b32_e64 v28, v25, v22, s4
	v_cndmask_b32_e64 v16, v22, v25, s4
	v_cmp_nlt_f32_e64 s5, v28, v19
	s_delay_alu instid0(VALU_DEP_1) | instskip(SKIP_2) | instid1(VALU_DEP_2)
	v_cndmask_b32_e64 v29, v28, v19, s5
	s_and_b32 s3, s4, s5
	v_cndmask_b32_e64 v22, v19, v28, s5
	v_cmp_nlt_f32_e64 s6, v29, v21
	s_delay_alu instid0(VALU_DEP_1) | instskip(SKIP_2) | instid1(VALU_DEP_2)
	v_cndmask_b32_e64 v30, v29, v21, s6
	s_and_b32 s3, s3, s6
	v_cndmask_b32_e64 v19, v21, v29, s6
	v_cmp_nlt_f32_e32 vcc_lo, v30, v20
	v_cndmask_b32_e32 v31, v30, v20, vcc_lo
	s_and_b32 s4, s3, vcc_lo
	v_cndmask_b32_e32 v21, v20, v30, vcc_lo
	s_delay_alu instid0(VALU_DEP_2) | instskip(NEXT) | instid1(VALU_DEP_1)
	v_cmp_nlt_f32_e64 s1, v31, v18
	v_cndmask_b32_e64 v27, v31, v18, s1
	s_and_b32 s4, s4, s1
	v_cndmask_b32_e64 v20, v18, v31, s1
	s_delay_alu instid0(VALU_DEP_2) | instskip(NEXT) | instid1(VALU_DEP_1)
	v_cmp_nlt_f32_e64 s2, v27, v17
	v_cndmask_b32_e64 v25, v27, v17, s2
	s_and_b32 s4, s4, s2
	v_cndmask_b32_e64 v18, v17, v27, s2
	s_delay_alu instid0(VALU_DEP_2) | instskip(NEXT) | instid1(VALU_DEP_1)
	v_cmp_nlt_f32_e64 s3, v25, v26
	s_and_b32 s4, s4, s3
	v_cndmask_b32_e64 v24, v25, v26, s3
	s_and_b32 s1, s4, s23
	v_cndmask_b32_e64 v17, v26, v25, s3
	s_and_b32 s1, s1, s22
	s_delay_alu instid0(SALU_CYCLE_1) | instskip(NEXT) | instid1(SALU_CYCLE_1)
	s_and_b32 s1, exec_lo, s1
	s_or_b32 s21, s1, s21
	s_delay_alu instid0(SALU_CYCLE_1)
	s_and_not1_b32 exec_lo, exec_lo, s21
	s_cbranch_execnz .LBB187_173
; %bb.174:                              ;   in Loop: Header=BB187_162 Depth=1
	s_or_b32 exec_lo, exec_lo, s21
	v_add_f32_e32 v13, -1.0, v13
	v_cmp_class_f32_e64 s2, v6, 0x204
	s_delay_alu instid0(VALU_DEP_2) | instskip(NEXT) | instid1(VALU_DEP_1)
	v_add_f32_e32 v13, v13, v15
	v_add_f32_e32 v13, v13, v23
	s_delay_alu instid0(VALU_DEP_1) | instskip(NEXT) | instid1(VALU_DEP_1)
	v_add_f32_e32 v13, v13, v14
	v_add_f32_e32 v13, v13, v16
	s_delay_alu instid0(VALU_DEP_1) | instskip(NEXT) | instid1(VALU_DEP_1)
	;; [unrolled: 3-line block ×5, first 2 shown]
	v_add_f32_e32 v15, v24, v13
	v_add_f32_e32 v16, 1.0, v15
	s_delay_alu instid0(VALU_DEP_1) | instskip(NEXT) | instid1(VALU_DEP_1)
	v_cvt_f64_f32_e32 v[13:14], v16
	v_frexp_exp_i32_f64_e32 v13, v[13:14]
	v_frexp_mant_f32_e32 v14, v16
	s_delay_alu instid0(VALU_DEP_1) | instskip(SKIP_1) | instid1(VALU_DEP_1)
	v_cmp_gt_f32_e32 vcc_lo, 0x3f2aaaab, v14
	v_add_f32_e32 v14, -1.0, v16
	v_sub_f32_e32 v18, v14, v16
	v_sub_f32_e32 v14, v15, v14
	s_delay_alu instid0(VALU_DEP_2) | instskip(NEXT) | instid1(VALU_DEP_1)
	v_add_f32_e32 v18, 1.0, v18
	v_add_f32_e32 v14, v14, v18
	v_subrev_co_ci_u32_e32 v13, vcc_lo, 0, v13, vcc_lo
	s_delay_alu instid0(VALU_DEP_1) | instskip(SKIP_1) | instid1(VALU_DEP_2)
	v_sub_nc_u32_e32 v17, 0, v13
	v_cvt_f32_i32_e32 v13, v13
	v_ldexp_f32 v16, v16, v17
	v_ldexp_f32 v14, v14, v17
	s_delay_alu instid0(VALU_DEP_2) | instskip(NEXT) | instid1(VALU_DEP_1)
	v_add_f32_e32 v19, 1.0, v16
	v_add_f32_e32 v18, -1.0, v19
	s_delay_alu instid0(VALU_DEP_1) | instskip(NEXT) | instid1(VALU_DEP_1)
	v_sub_f32_e32 v18, v16, v18
	v_dual_add_f32 v18, v14, v18 :: v_dual_add_f32 v17, -1.0, v16
	s_delay_alu instid0(VALU_DEP_1) | instskip(NEXT) | instid1(VALU_DEP_1)
	v_add_f32_e32 v20, 1.0, v17
	v_sub_f32_e32 v16, v16, v20
	s_delay_alu instid0(VALU_DEP_1) | instskip(NEXT) | instid1(VALU_DEP_1)
	v_add_f32_e32 v14, v14, v16
	v_add_f32_e32 v21, v17, v14
	s_delay_alu instid0(VALU_DEP_1) | instskip(NEXT) | instid1(VALU_DEP_1)
	v_sub_f32_e32 v17, v21, v17
	v_sub_f32_e32 v14, v14, v17
	v_add_f32_e32 v20, v19, v18
	v_cmp_eq_f32_e32 vcc_lo, 0x7f800000, v15
	v_cmp_neq_f32_e64 s1, -1.0, v15
	s_delay_alu instid0(VALU_DEP_3) | instskip(SKIP_1) | instid1(VALU_DEP_1)
	v_rcp_f32_e32 v16, v20
	v_sub_f32_e32 v19, v20, v19
	v_sub_f32_e32 v18, v18, v19
	s_waitcnt_depctr 0xfff
	v_mul_f32_e32 v22, v21, v16
	s_delay_alu instid0(VALU_DEP_1) | instskip(NEXT) | instid1(VALU_DEP_1)
	v_mul_f32_e32 v23, v20, v22
	v_fma_f32 v19, v22, v20, -v23
	s_delay_alu instid0(VALU_DEP_1) | instskip(NEXT) | instid1(VALU_DEP_1)
	v_fmac_f32_e32 v19, v22, v18
	v_add_f32_e32 v24, v23, v19
	s_delay_alu instid0(VALU_DEP_1) | instskip(NEXT) | instid1(VALU_DEP_1)
	v_sub_f32_e32 v25, v21, v24
	v_sub_f32_e32 v21, v21, v25
	s_delay_alu instid0(VALU_DEP_1) | instskip(NEXT) | instid1(VALU_DEP_1)
	v_sub_f32_e32 v21, v21, v24
	v_dual_add_f32 v14, v14, v21 :: v_dual_sub_f32 v17, v24, v23
	s_delay_alu instid0(VALU_DEP_1) | instskip(NEXT) | instid1(VALU_DEP_1)
	v_sub_f32_e32 v17, v17, v19
	v_add_f32_e32 v14, v17, v14
	s_delay_alu instid0(VALU_DEP_1) | instskip(NEXT) | instid1(VALU_DEP_1)
	v_add_f32_e32 v17, v25, v14
	v_mul_f32_e32 v19, v16, v17
	s_delay_alu instid0(VALU_DEP_1) | instskip(NEXT) | instid1(VALU_DEP_1)
	v_mul_f32_e32 v21, v20, v19
	v_fma_f32 v20, v19, v20, -v21
	s_delay_alu instid0(VALU_DEP_1) | instskip(SKIP_1) | instid1(VALU_DEP_2)
	v_fmac_f32_e32 v20, v19, v18
	v_sub_f32_e32 v24, v25, v17
	v_add_f32_e32 v18, v21, v20
	s_delay_alu instid0(VALU_DEP_1) | instskip(NEXT) | instid1(VALU_DEP_1)
	v_dual_add_f32 v14, v14, v24 :: v_dual_sub_f32 v23, v17, v18
	v_sub_f32_e32 v17, v17, v23
	s_delay_alu instid0(VALU_DEP_1) | instskip(NEXT) | instid1(VALU_DEP_1)
	v_sub_f32_e32 v17, v17, v18
	v_add_f32_e32 v14, v14, v17
	v_add_f32_e32 v17, v22, v19
	v_sub_f32_e32 v21, v18, v21
	s_delay_alu instid0(VALU_DEP_1) | instskip(SKIP_1) | instid1(VALU_DEP_2)
	v_sub_f32_e32 v18, v21, v20
	v_max_f32_e64 v20, |v7|, |v7|
	v_add_f32_e32 v14, v18, v14
	s_delay_alu instid0(VALU_DEP_1) | instskip(NEXT) | instid1(VALU_DEP_1)
	v_dual_add_f32 v14, v23, v14 :: v_dual_mul_f32 v23, 0x3f317218, v13
	v_mul_f32_e32 v14, v16, v14
	v_sub_f32_e32 v18, v17, v22
	s_delay_alu instid0(VALU_DEP_3) | instskip(NEXT) | instid1(VALU_DEP_2)
	v_fma_f32 v24, 0x3f317218, v13, -v23
	v_sub_f32_e32 v18, v19, v18
	s_delay_alu instid0(VALU_DEP_2) | instskip(NEXT) | instid1(VALU_DEP_2)
	v_fmac_f32_e32 v24, 0xb102e308, v13
	v_add_f32_e32 v14, v18, v14
	s_delay_alu instid0(VALU_DEP_1) | instskip(NEXT) | instid1(VALU_DEP_1)
	v_add_f32_e32 v16, v17, v14
	v_mul_f32_e32 v18, v16, v16
	s_delay_alu instid0(VALU_DEP_1) | instskip(NEXT) | instid1(VALU_DEP_1)
	v_fmaak_f32 v19, s8, v18, 0x3ecc95a3
	v_dual_mul_f32 v21, v16, v18 :: v_dual_fmaak_f32 v18, v18, v19, 0x3f2aaada
	v_max_f32_e64 v19, |v6|, |v6|
	s_delay_alu instid0(VALU_DEP_1) | instskip(SKIP_3) | instid1(VALU_DEP_4)
	v_dual_mul_f32 v18, v21, v18 :: v_dual_max_f32 v21, v19, v20
	v_min_f32_e32 v19, v19, v20
	v_ldexp_f32 v22, v16, 1
	v_sub_f32_e32 v16, v16, v17
	v_frexp_mant_f32_e32 v20, v21
	v_frexp_exp_i32_f32_e32 v21, v21
	s_delay_alu instid0(VALU_DEP_4) | instskip(NEXT) | instid1(VALU_DEP_4)
	v_add_f32_e32 v17, v22, v18
	v_sub_f32_e32 v14, v14, v16
	s_delay_alu instid0(VALU_DEP_4) | instskip(NEXT) | instid1(VALU_DEP_2)
	v_rcp_f32_e32 v20, v20
	v_sub_f32_e32 v16, v17, v22
	s_delay_alu instid0(VALU_DEP_2) | instskip(SKIP_1) | instid1(VALU_DEP_3)
	v_ldexp_f32 v14, v14, 1
	v_frexp_exp_i32_f32_e32 v22, v19
	v_sub_f32_e32 v16, v18, v16
	v_frexp_mant_f32_e32 v18, v19
	s_delay_alu instid0(VALU_DEP_3) | instskip(NEXT) | instid1(VALU_DEP_3)
	v_sub_nc_u32_e32 v19, v22, v21
	v_add_f32_e32 v13, v14, v16
	v_add_f32_e32 v16, v23, v24
	s_delay_alu instid0(VALU_DEP_1) | instskip(NEXT) | instid1(VALU_DEP_1)
	v_sub_f32_e32 v23, v16, v23
	v_dual_sub_f32 v23, v24, v23 :: v_dual_mul_f32 v14, v18, v20
	s_delay_alu instid0(VALU_DEP_4) | instskip(NEXT) | instid1(VALU_DEP_2)
	v_add_f32_e32 v18, v17, v13
	v_ldexp_f32 v14, v14, v19
	s_delay_alu instid0(VALU_DEP_2) | instskip(NEXT) | instid1(VALU_DEP_1)
	v_add_f32_e32 v19, v16, v18
	v_dual_sub_f32 v21, v19, v16 :: v_dual_mul_f32 v20, v14, v14
	v_sub_f32_e32 v17, v18, v17
	s_delay_alu instid0(VALU_DEP_2) | instskip(NEXT) | instid1(VALU_DEP_2)
	v_dual_sub_f32 v25, v19, v21 :: v_dual_fmaak_f32 v22, s10, v20, 0xbc7a590c
	v_sub_f32_e32 v13, v13, v17
	s_delay_alu instid0(VALU_DEP_2) | instskip(NEXT) | instid1(VALU_DEP_2)
	v_dual_sub_f32 v17, v18, v21 :: v_dual_fmaak_f32 v22, v20, v22, 0x3d29fb3f
	v_add_f32_e32 v21, v23, v13
	s_delay_alu instid0(VALU_DEP_4) | instskip(NEXT) | instid1(VALU_DEP_3)
	v_sub_f32_e32 v16, v16, v25
	v_fmaak_f32 v18, v20, v22, 0xbd97d4d7
	s_delay_alu instid0(VALU_DEP_1) | instskip(NEXT) | instid1(VALU_DEP_4)
	v_dual_add_f32 v16, v17, v16 :: v_dual_fmaak_f32 v17, v20, v18, 0x3dd931b2
	v_sub_f32_e32 v18, v21, v23
	s_delay_alu instid0(VALU_DEP_2) | instskip(NEXT) | instid1(VALU_DEP_1)
	v_dual_add_f32 v16, v21, v16 :: v_dual_fmaak_f32 v17, v20, v17, 0xbe1160e6
	v_dual_sub_f32 v21, v21, v18 :: v_dual_add_f32 v22, v19, v16
	v_sub_f32_e32 v13, v13, v18
	s_delay_alu instid0(VALU_DEP_3) | instskip(NEXT) | instid1(VALU_DEP_3)
	v_fmaak_f32 v17, v20, v17, 0x3e4cb8bf
	v_sub_f32_e32 v18, v23, v21
	s_delay_alu instid0(VALU_DEP_2) | instskip(NEXT) | instid1(VALU_DEP_1)
	v_fmaak_f32 v17, v20, v17, 0xbeaaaa62
	v_mul_f32_e32 v17, v20, v17
	s_delay_alu instid0(VALU_DEP_1) | instskip(SKIP_1) | instid1(VALU_DEP_1)
	v_fmac_f32_e32 v14, v14, v17
	v_sub_f32_e32 v19, v22, v19
	v_dual_add_f32 v13, v13, v18 :: v_dual_sub_f32 v16, v16, v19
	s_delay_alu instid0(VALU_DEP_1) | instskip(NEXT) | instid1(VALU_DEP_1)
	v_add_f32_e32 v13, v13, v16
	v_add_f32_e32 v13, v22, v13
	s_delay_alu instid0(VALU_DEP_1) | instskip(SKIP_1) | instid1(VALU_DEP_2)
	v_dual_cndmask_b32 v13, v13, v15 :: v_dual_sub_f32 v16, 0x3fc90fdb, v14
	v_cmp_gt_i32_e32 vcc_lo, 0, v6
	v_cndmask_b32_e64 v14, v14, v16, s0
	v_cndmask_b32_e64 v16, 0, 0x40490fdb, vcc_lo
	v_cmp_ngt_f32_e32 vcc_lo, -1.0, v15
	s_delay_alu instid0(VALU_DEP_3) | instskip(SKIP_2) | instid1(VALU_DEP_2)
	v_sub_f32_e32 v17, 0x40490fdb, v14
	v_cndmask_b32_e32 v13, 0x7fc00000, v13, vcc_lo
	v_cmp_gt_f32_e32 vcc_lo, 0, v6
	v_cndmask_b32_e64 v13, 0xff800000, v13, s1
	s_delay_alu instid0(VALU_DEP_4)
	v_cndmask_b32_e32 v14, v14, v17, vcc_lo
	v_cndmask_b32_e32 v17, 0x3f490fdb, v12, vcc_lo
	v_cmp_gt_f32_e64 vcc_lo, 0x33800000, |v15|
	v_cmp_class_f32_e64 s1, v7, 0x204
	v_cndmask_b32_e32 v13, v13, v15, vcc_lo
	v_cmp_eq_f32_e32 vcc_lo, 0, v7
	v_cndmask_b32_e32 v14, v14, v16, vcc_lo
	s_delay_alu instid0(VALU_DEP_4) | instskip(NEXT) | instid1(VALU_DEP_1)
	s_and_b32 vcc_lo, s2, s1
	v_cndmask_b32_e32 v14, v14, v17, vcc_lo
	v_mul_f32_e32 v13, 0.5, v13
.LBB187_175:                            ;   in Loop: Header=BB187_162 Depth=1
	s_or_b32 exec_lo, exec_lo, s19
.LBB187_176:                            ;   in Loop: Header=BB187_162 Depth=1
	s_delay_alu instid0(SALU_CYCLE_1)
	s_or_b32 exec_lo, exec_lo, s18
.LBB187_177:                            ;   in Loop: Header=BB187_162 Depth=1
	s_and_not1_saveexec_b32 s2, s17
	s_cbranch_execz .LBB187_179
; %bb.178:                              ;   in Loop: Header=BB187_162 Depth=1
	v_max_f32_e64 v15, |v7|, |v7|
	v_max_f32_e64 v16, |v6|, |v6|
	v_cmp_gt_i32_e64 s1, 0, v6
	v_cmp_class_f32_e64 s3, v6, 0x204
	v_cmp_class_f32_e64 s4, v7, 0x204
	s_delay_alu instid0(VALU_DEP_4) | instskip(SKIP_1) | instid1(VALU_DEP_2)
	v_max_f32_e32 v17, v16, v15
	v_min_f32_e32 v15, v16, v15
	v_cvt_f64_f32_e32 v[13:14], v17
	s_delay_alu instid0(VALU_DEP_2) | instskip(SKIP_1) | instid1(VALU_DEP_3)
	v_frexp_exp_i32_f32_e32 v18, v15
	v_frexp_mant_f32_e32 v15, v15
	v_frexp_exp_i32_f64_e32 v13, v[13:14]
	v_frexp_mant_f32_e32 v14, v17
	s_delay_alu instid0(VALU_DEP_1) | instskip(SKIP_4) | instid1(VALU_DEP_2)
	v_rcp_f32_e32 v14, v14
	s_waitcnt_depctr 0xfff
	v_mul_f32_e32 v14, v15, v14
	v_frexp_exp_i32_f32_e32 v16, v17
	v_cmp_neq_f32_e32 vcc_lo, 0x7f800000, v17
	v_sub_nc_u32_e32 v16, v18, v16
	s_delay_alu instid0(VALU_DEP_1) | instskip(NEXT) | instid1(VALU_DEP_1)
	v_ldexp_f32 v14, v14, v16
	v_mul_f32_e32 v18, v14, v14
	v_sub_nc_u32_e32 v19, 0, v13
	s_delay_alu instid0(VALU_DEP_1) | instskip(SKIP_1) | instid1(VALU_DEP_2)
	v_ldexp_f32 v15, |v7|, v19
	v_ldexp_f32 v16, |v6|, v19
	v_mul_f32_e32 v15, v15, v15
	s_delay_alu instid0(VALU_DEP_1) | instskip(NEXT) | instid1(VALU_DEP_1)
	v_dual_fmac_f32 v15, v16, v16 :: v_dual_fmaak_f32 v16, s10, v18, 0xbc7a590c
	v_sqrt_f32_e32 v15, v15
	s_delay_alu instid0(VALU_DEP_1) | instskip(NEXT) | instid1(VALU_DEP_1)
	v_fmaak_f32 v16, v18, v16, 0x3d29fb3f
	v_fmaak_f32 v16, v18, v16, 0xbd97d4d7
	s_waitcnt_depctr 0xfff
	v_ldexp_f32 v13, v15, v13
	v_fmaak_f32 v15, v18, v16, 0x3dd931b2
	s_delay_alu instid0(VALU_DEP_1) | instskip(NEXT) | instid1(VALU_DEP_1)
	v_fmaak_f32 v15, v18, v15, 0xbe1160e6
	v_fmaak_f32 v15, v18, v15, 0x3e4cb8bf
	s_delay_alu instid0(VALU_DEP_1) | instskip(NEXT) | instid1(VALU_DEP_1)
	v_fmaak_f32 v15, v18, v15, 0xbeaaaa62
	v_mul_f32_e32 v15, v18, v15
	s_delay_alu instid0(VALU_DEP_1) | instskip(NEXT) | instid1(VALU_DEP_1)
	v_dual_cndmask_b32 v13, 0x7f800000, v13 :: v_dual_fmac_f32 v14, v14, v15
	v_cmp_gt_f32_e32 vcc_lo, 0x800000, v13
	v_cndmask_b32_e64 v16, 1.0, 0x4f800000, vcc_lo
	s_delay_alu instid0(VALU_DEP_1) | instskip(NEXT) | instid1(VALU_DEP_1)
	v_dual_mul_f32 v13, v13, v16 :: v_dual_sub_f32 v16, 0x3fc90fdb, v14
	v_cndmask_b32_e64 v14, v14, v16, s0
	v_cndmask_b32_e64 v16, 0, 0x40490fdb, s1
	v_cmp_gt_f32_e64 s1, 0, v6
	s_delay_alu instid0(VALU_DEP_3) | instskip(SKIP_1) | instid1(VALU_DEP_1)
	v_sub_f32_e32 v18, 0x40490fdb, v14
	v_log_f32_e32 v13, v13
	v_cndmask_b32_e64 v14, v14, v18, s1
	v_cndmask_b32_e64 v18, 0, 0x41b17218, vcc_lo
	s_waitcnt_depctr 0xfff
	v_mul_f32_e32 v15, 0x3f317217, v13
	v_cmp_gt_f32_e64 vcc_lo, 0x7f800000, |v13|
	s_delay_alu instid0(VALU_DEP_2) | instskip(NEXT) | instid1(VALU_DEP_1)
	v_fma_f32 v17, 0x3f317217, v13, -v15
	v_fmac_f32_e32 v17, 0x3377d1cf, v13
	s_delay_alu instid0(VALU_DEP_1) | instskip(SKIP_1) | instid1(VALU_DEP_2)
	v_add_f32_e32 v15, v15, v17
	v_cndmask_b32_e64 v17, 0x3f490fdb, v12, s1
	v_cndmask_b32_e32 v13, v13, v15, vcc_lo
	v_cmp_eq_f32_e32 vcc_lo, 0, v7
	v_cndmask_b32_e32 v14, v14, v16, vcc_lo
	s_and_b32 vcc_lo, s3, s4
	s_delay_alu instid0(VALU_DEP_1)
	v_dual_sub_f32 v13, v13, v18 :: v_dual_cndmask_b32 v14, v14, v17
.LBB187_179:                            ;   in Loop: Header=BB187_162 Depth=1
	s_or_b32 exec_lo, exec_lo, s2
                                        ; implicit-def: $vgpr15
.LBB187_180:                            ;   in Loop: Header=BB187_162 Depth=1
	s_and_not1_saveexec_b32 s2, s16
	s_cbranch_execz .LBB187_186
; %bb.181:                              ;   in Loop: Header=BB187_162 Depth=1
                                        ; implicit-def: $vgpr13
                                        ; implicit-def: $vgpr14
	s_mov_b32 s1, exec_lo
	v_cmpx_ngt_f32_e32 0x1fec1e4a, v15
	s_xor_b32 s3, exec_lo, s1
	s_cbranch_execz .LBB187_183
; %bb.182:                              ;   in Loop: Header=BB187_162 Depth=1
	v_mul_f32_e32 v15, v15, v15
	v_cmp_gt_f32_e64 s1, 0, v6
	v_cmp_class_f32_e64 s4, v6, 0x204
	v_cmp_class_f32_e64 s6, v7, 0x204
	s_delay_alu instid0(VALU_DEP_4) | instskip(NEXT) | instid1(VALU_DEP_1)
	v_add_f32_e32 v16, 1.0, v15
	v_cvt_f64_f32_e32 v[13:14], v16
	s_delay_alu instid0(VALU_DEP_1) | instskip(SKIP_1) | instid1(VALU_DEP_1)
	v_frexp_exp_i32_f64_e32 v13, v[13:14]
	v_frexp_mant_f32_e32 v14, v16
	v_cmp_gt_f32_e32 vcc_lo, 0x3f2aaaab, v14
	v_add_f32_e32 v14, -1.0, v16
	v_cmp_gt_f32_e64 s5, 0x33800000, |v15|
	s_delay_alu instid0(VALU_DEP_2) | instskip(SKIP_2) | instid1(VALU_DEP_2)
	v_sub_f32_e32 v18, v14, v16
	v_subrev_co_ci_u32_e32 v13, vcc_lo, 0, v13, vcc_lo
	v_cmp_gt_i32_e32 vcc_lo, 0, v6
	v_sub_nc_u32_e32 v17, 0, v13
	v_cvt_f32_i32_e32 v13, v13
	s_delay_alu instid0(VALU_DEP_2) | instskip(SKIP_1) | instid1(VALU_DEP_2)
	v_ldexp_f32 v16, v16, v17
	v_sub_f32_e32 v14, v15, v14
	v_dual_add_f32 v18, 1.0, v18 :: v_dual_add_f32 v19, 1.0, v16
	s_delay_alu instid0(VALU_DEP_1) | instskip(NEXT) | instid1(VALU_DEP_2)
	v_add_f32_e32 v14, v14, v18
	v_add_f32_e32 v18, -1.0, v19
	s_delay_alu instid0(VALU_DEP_2) | instskip(NEXT) | instid1(VALU_DEP_2)
	v_ldexp_f32 v14, v14, v17
	v_dual_add_f32 v17, -1.0, v16 :: v_dual_sub_f32 v18, v16, v18
	s_delay_alu instid0(VALU_DEP_1) | instskip(NEXT) | instid1(VALU_DEP_2)
	v_add_f32_e32 v20, 1.0, v17
	v_add_f32_e32 v18, v14, v18
	s_delay_alu instid0(VALU_DEP_2) | instskip(NEXT) | instid1(VALU_DEP_2)
	v_sub_f32_e32 v16, v16, v20
	v_add_f32_e32 v20, v19, v18
	s_delay_alu instid0(VALU_DEP_2) | instskip(NEXT) | instid1(VALU_DEP_2)
	v_add_f32_e32 v14, v14, v16
	v_rcp_f32_e32 v16, v20
	v_sub_f32_e32 v19, v19, v20
	s_delay_alu instid0(VALU_DEP_1) | instskip(NEXT) | instid1(VALU_DEP_1)
	v_dual_add_f32 v21, v17, v14 :: v_dual_add_f32 v18, v18, v19
	v_sub_f32_e32 v17, v17, v21
	s_waitcnt_depctr 0xfff
	v_mul_f32_e32 v22, v21, v16
	s_delay_alu instid0(VALU_DEP_1) | instskip(NEXT) | instid1(VALU_DEP_1)
	v_dual_add_f32 v14, v14, v17 :: v_dual_mul_f32 v23, v20, v22
	v_fma_f32 v19, v22, v20, -v23
	s_delay_alu instid0(VALU_DEP_1) | instskip(NEXT) | instid1(VALU_DEP_1)
	v_fmac_f32_e32 v19, v22, v18
	v_add_f32_e32 v24, v23, v19
	s_delay_alu instid0(VALU_DEP_1) | instskip(SKIP_1) | instid1(VALU_DEP_2)
	v_sub_f32_e32 v25, v21, v24
	v_sub_f32_e32 v17, v24, v23
	;; [unrolled: 1-line block ×3, first 2 shown]
	s_delay_alu instid0(VALU_DEP_2) | instskip(NEXT) | instid1(VALU_DEP_2)
	v_sub_f32_e32 v17, v17, v19
	v_sub_f32_e32 v21, v21, v24
	s_delay_alu instid0(VALU_DEP_1) | instskip(NEXT) | instid1(VALU_DEP_1)
	v_add_f32_e32 v14, v14, v21
	v_add_f32_e32 v14, v17, v14
	s_delay_alu instid0(VALU_DEP_1) | instskip(NEXT) | instid1(VALU_DEP_1)
	v_add_f32_e32 v17, v25, v14
	v_mul_f32_e32 v19, v16, v17
	s_delay_alu instid0(VALU_DEP_1) | instskip(NEXT) | instid1(VALU_DEP_1)
	v_dual_sub_f32 v24, v25, v17 :: v_dual_mul_f32 v21, v20, v19
	v_fma_f32 v20, v19, v20, -v21
	s_delay_alu instid0(VALU_DEP_1) | instskip(NEXT) | instid1(VALU_DEP_1)
	v_fmac_f32_e32 v20, v19, v18
	v_add_f32_e32 v18, v21, v20
	s_delay_alu instid0(VALU_DEP_1) | instskip(SKIP_1) | instid1(VALU_DEP_2)
	v_sub_f32_e32 v23, v17, v18
	v_sub_f32_e32 v21, v18, v21
	v_dual_sub_f32 v17, v17, v23 :: v_dual_add_f32 v14, v14, v24
	s_delay_alu instid0(VALU_DEP_1) | instskip(NEXT) | instid1(VALU_DEP_1)
	v_sub_f32_e32 v17, v17, v18
	v_add_f32_e32 v14, v14, v17
	s_delay_alu instid0(VALU_DEP_4) | instskip(NEXT) | instid1(VALU_DEP_1)
	v_dual_add_f32 v17, v22, v19 :: v_dual_sub_f32 v18, v21, v20
	v_add_f32_e32 v14, v18, v14
	s_delay_alu instid0(VALU_DEP_2) | instskip(NEXT) | instid1(VALU_DEP_2)
	v_sub_f32_e32 v18, v17, v22
	v_add_f32_e32 v14, v23, v14
	s_delay_alu instid0(VALU_DEP_2) | instskip(SKIP_1) | instid1(VALU_DEP_3)
	v_sub_f32_e32 v18, v19, v18
	v_max_f32_e64 v19, |v6|, |v6|
	v_mul_f32_e32 v14, v16, v14
	v_max_f32_e64 v16, |v7|, |v7|
	s_delay_alu instid0(VALU_DEP_1) | instskip(SKIP_1) | instid1(VALU_DEP_2)
	v_dual_add_f32 v14, v18, v14 :: v_dual_max_f32 v21, v19, v16
	v_min_f32_e32 v16, v19, v16
	v_add_f32_e32 v18, v17, v14
	s_delay_alu instid0(VALU_DEP_3) | instskip(SKIP_1) | instid1(VALU_DEP_3)
	v_frexp_mant_f32_e32 v23, v21
	v_frexp_exp_i32_f32_e32 v19, v21
	v_mul_f32_e32 v20, v18, v18
	v_ldexp_f32 v24, v18, 1
	s_delay_alu instid0(VALU_DEP_2) | instskip(SKIP_1) | instid1(VALU_DEP_2)
	v_dual_sub_f32 v17, v18, v17 :: v_dual_fmaak_f32 v22, s8, v20, 0x3ecc95a3
	v_mul_f32_e32 v21, v18, v20
	v_sub_f32_e32 v14, v14, v17
	s_delay_alu instid0(VALU_DEP_3)
	v_fmaak_f32 v20, v20, v22, 0x3f2aaada
	v_rcp_f32_e32 v22, v23
	v_frexp_exp_i32_f32_e32 v23, v16
	v_frexp_mant_f32_e32 v16, v16
	v_ldexp_f32 v14, v14, 1
	v_dual_mul_f32 v20, v21, v20 :: v_dual_mul_f32 v21, 0x3f317218, v13
	s_delay_alu instid0(VALU_DEP_4) | instskip(NEXT) | instid1(VALU_DEP_2)
	v_sub_nc_u32_e32 v19, v23, v19
	v_add_f32_e32 v18, v24, v20
	s_delay_alu instid0(TRANS32_DEP_1) | instid1(VALU_DEP_1)
	v_dual_mul_f32 v16, v16, v22 :: v_dual_sub_f32 v17, v18, v24
	s_delay_alu instid0(VALU_DEP_1) | instskip(SKIP_1) | instid1(VALU_DEP_3)
	v_ldexp_f32 v16, v16, v19
	v_fma_f32 v19, 0x3f317218, v13, -v21
	v_sub_f32_e32 v17, v20, v17
	s_delay_alu instid0(VALU_DEP_2) | instskip(NEXT) | instid1(VALU_DEP_2)
	v_fmac_f32_e32 v19, 0xb102e308, v13
	v_add_f32_e32 v13, v14, v17
	s_delay_alu instid0(VALU_DEP_1) | instskip(NEXT) | instid1(VALU_DEP_1)
	v_dual_add_f32 v17, v21, v19 :: v_dual_add_f32 v22, v18, v13
	v_sub_f32_e32 v21, v17, v21
	s_delay_alu instid0(VALU_DEP_2) | instskip(NEXT) | instid1(VALU_DEP_2)
	v_add_f32_e32 v23, v17, v22
	v_dual_sub_f32 v18, v22, v18 :: v_dual_sub_f32 v19, v19, v21
	s_delay_alu instid0(VALU_DEP_1) | instskip(NEXT) | instid1(VALU_DEP_1)
	v_dual_sub_f32 v24, v23, v17 :: v_dual_sub_f32 v13, v13, v18
	v_sub_f32_e32 v25, v23, v24
	s_delay_alu instid0(VALU_DEP_2) | instskip(NEXT) | instid1(VALU_DEP_2)
	v_dual_sub_f32 v18, v22, v24 :: v_dual_add_f32 v21, v19, v13
	v_sub_f32_e32 v17, v17, v25
	s_delay_alu instid0(VALU_DEP_1) | instskip(NEXT) | instid1(VALU_DEP_1)
	v_dual_add_f32 v17, v18, v17 :: v_dual_sub_f32 v18, v21, v19
	v_dual_add_f32 v17, v21, v17 :: v_dual_mul_f32 v20, v16, v16
	s_delay_alu instid0(VALU_DEP_1) | instskip(NEXT) | instid1(VALU_DEP_1)
	v_dual_sub_f32 v13, v13, v18 :: v_dual_fmaak_f32 v14, s10, v20, 0xbc7a590c
	v_fmaak_f32 v14, v20, v14, 0x3d29fb3f
	s_delay_alu instid0(VALU_DEP_1) | instskip(NEXT) | instid1(VALU_DEP_1)
	v_fmaak_f32 v14, v20, v14, 0xbd97d4d7
	v_fmaak_f32 v14, v20, v14, 0x3dd931b2
	s_delay_alu instid0(VALU_DEP_1) | instskip(NEXT) | instid1(VALU_DEP_1)
	v_fmaak_f32 v14, v20, v14, 0xbe1160e6
	;; [unrolled: 3-line block ×3, first 2 shown]
	v_mul_f32_e32 v14, v20, v14
	v_dual_sub_f32 v20, v21, v18 :: v_dual_add_f32 v21, v23, v17
	s_delay_alu instid0(VALU_DEP_2) | instskip(NEXT) | instid1(VALU_DEP_2)
	v_fmac_f32_e32 v16, v16, v14
	v_sub_f32_e32 v14, v19, v20
	s_delay_alu instid0(VALU_DEP_2) | instskip(NEXT) | instid1(VALU_DEP_2)
	v_dual_sub_f32 v18, v21, v23 :: v_dual_sub_f32 v19, 0x3fc90fdb, v16
	v_add_f32_e32 v13, v13, v14
	s_delay_alu instid0(VALU_DEP_2) | instskip(SKIP_3) | instid1(VALU_DEP_4)
	v_sub_f32_e32 v14, v17, v18
	v_cndmask_b32_e64 v17, 0, 0x40490fdb, vcc_lo
	v_cmp_eq_f32_e32 vcc_lo, 0x7f800000, v15
	v_cndmask_b32_e64 v16, v16, v19, s0
	v_add_f32_e32 v13, v13, v14
	s_or_b32 vcc_lo, vcc_lo, s5
	s_delay_alu instid0(VALU_DEP_1) | instskip(NEXT) | instid1(VALU_DEP_1)
	v_dual_sub_f32 v14, 0x40490fdb, v16 :: v_dual_add_f32 v13, v21, v13
	v_cndmask_b32_e64 v14, v16, v14, s1
	v_cndmask_b32_e64 v16, 0x3f490fdb, v12, s1
	s_delay_alu instid0(VALU_DEP_3) | instskip(SKIP_1) | instid1(VALU_DEP_2)
	v_cndmask_b32_e32 v13, v13, v15, vcc_lo
	v_cmp_eq_f32_e32 vcc_lo, 0, v7
                                        ; implicit-def: $vgpr15
	v_mul_f32_e32 v13, 0.5, v13
	v_cndmask_b32_e32 v14, v14, v17, vcc_lo
	s_and_b32 vcc_lo, s4, s6
	s_delay_alu instid0(VALU_DEP_1)
	v_cndmask_b32_e32 v14, v14, v16, vcc_lo
.LBB187_183:                            ;   in Loop: Header=BB187_162 Depth=1
	s_and_not1_saveexec_b32 s3, s3
	s_cbranch_execz .LBB187_185
; %bb.184:                              ;   in Loop: Header=BB187_162 Depth=1
	v_max_f32_e64 v13, |v7|, |v7|
	v_max_f32_e64 v14, |v6|, |v6|
	v_cmp_gt_i32_e32 vcc_lo, 0, v6
	v_cmp_eq_f32_e64 s1, 0, v7
	v_cmp_class_f32_e64 s4, v6, 0x204
	v_cmp_class_f32_e64 s5, v7, 0x204
	v_max_f32_e32 v16, v14, v13
	v_min_f32_e32 v13, v14, v13
	s_delay_alu instid0(VALU_DEP_2) | instskip(NEXT) | instid1(VALU_DEP_1)
	v_frexp_mant_f32_e32 v17, v16
	v_rcp_f32_e32 v14, v17
	s_delay_alu instid0(VALU_DEP_2) | instskip(SKIP_4) | instid1(VALU_DEP_1)
	v_frexp_exp_i32_f32_e32 v17, v13
	v_frexp_mant_f32_e32 v13, v13
	s_waitcnt_depctr 0xfff
	v_mul_f32_e32 v13, v13, v14
	v_frexp_exp_i32_f32_e32 v16, v16
	v_sub_nc_u32_e32 v16, v17, v16
	s_delay_alu instid0(VALU_DEP_1) | instskip(NEXT) | instid1(VALU_DEP_1)
	v_ldexp_f32 v13, v13, v16
	v_mul_f32_e32 v14, v13, v13
	s_delay_alu instid0(VALU_DEP_1) | instskip(NEXT) | instid1(VALU_DEP_1)
	v_fmaak_f32 v16, s10, v14, 0xbc7a590c
	v_fmaak_f32 v16, v14, v16, 0x3d29fb3f
	s_delay_alu instid0(VALU_DEP_1) | instskip(NEXT) | instid1(VALU_DEP_1)
	v_fmaak_f32 v16, v14, v16, 0xbd97d4d7
	v_fmaak_f32 v16, v14, v16, 0x3dd931b2
	;; [unrolled: 3-line block ×3, first 2 shown]
	s_delay_alu instid0(VALU_DEP_1) | instskip(NEXT) | instid1(VALU_DEP_1)
	v_fmaak_f32 v16, v14, v16, 0xbeaaaa62
	v_mul_f32_e32 v14, v14, v16
	v_cndmask_b32_e64 v16, 0, 0x40490fdb, vcc_lo
	v_cmp_gt_f32_e32 vcc_lo, 0, v6
	s_delay_alu instid0(VALU_DEP_3) | instskip(SKIP_1) | instid1(VALU_DEP_2)
	v_fmac_f32_e32 v13, v13, v14
	v_cndmask_b32_e32 v17, 0x3f490fdb, v12, vcc_lo
	v_sub_f32_e32 v14, 0x3fc90fdb, v13
	s_delay_alu instid0(VALU_DEP_1) | instskip(NEXT) | instid1(VALU_DEP_1)
	v_cndmask_b32_e64 v13, v13, v14, s0
	v_sub_f32_e32 v14, 0x40490fdb, v13
	s_delay_alu instid0(VALU_DEP_1) | instskip(SKIP_1) | instid1(VALU_DEP_1)
	v_dual_cndmask_b32 v13, v13, v14 :: v_dual_mul_f32 v14, 0.5, v15
	s_and_b32 vcc_lo, s4, s5
	v_cndmask_b32_e64 v16, v13, v16, s1
	s_delay_alu instid0(VALU_DEP_1)
	v_dual_mul_f32 v13, v15, v14 :: v_dual_cndmask_b32 v14, v16, v17
.LBB187_185:                            ;   in Loop: Header=BB187_162 Depth=1
	s_or_b32 exec_lo, exec_lo, s3
.LBB187_186:                            ;   in Loop: Header=BB187_162 Depth=1
	s_delay_alu instid0(SALU_CYCLE_1)
	s_or_b32 exec_lo, exec_lo, s2
.LBB187_187:                            ;   in Loop: Header=BB187_162 Depth=1
	s_and_not1_saveexec_b32 s2, s12
	s_cbranch_execz .LBB187_189
; %bb.188:                              ;   in Loop: Header=BB187_162 Depth=1
	v_div_scale_f32 v13, null, 0x402df854, 0x402df854, v6
	v_div_scale_f32 v14, null, 0x402df854, 0x402df854, v7
	v_div_scale_f32 v19, vcc_lo, v6, 0x402df854, v6
	s_delay_alu instid0(VALU_DEP_3) | instskip(NEXT) | instid1(VALU_DEP_2)
	v_rcp_f32_e32 v15, v13
	v_rcp_f32_e32 v16, v14
	v_cmp_class_f32_e64 s3, v7, 0x204
	s_waitcnt_depctr 0xfff
	v_fma_f32 v17, -v13, v15, 1.0
	v_fma_f32 v18, -v14, v16, 1.0
	s_delay_alu instid0(VALU_DEP_1) | instskip(SKIP_1) | instid1(VALU_DEP_2)
	v_dual_fmac_f32 v15, v17, v15 :: v_dual_fmac_f32 v16, v18, v16
	v_div_scale_f32 v17, s1, v7, 0x402df854, v7
	v_mul_f32_e32 v18, v19, v15
	s_delay_alu instid0(VALU_DEP_1) | instskip(NEXT) | instid1(VALU_DEP_1)
	v_fma_f32 v21, -v13, v18, v19
	v_fmac_f32_e32 v18, v21, v15
	s_delay_alu instid0(VALU_DEP_1) | instskip(NEXT) | instid1(VALU_DEP_1)
	v_fma_f32 v13, -v13, v18, v19
	v_div_fmas_f32 v13, v13, v15, v18
	v_max_f32_e64 v18, |v6|, |v6|
	v_mul_f32_e32 v20, v17, v16
	s_mov_b32 vcc_lo, s1
	v_cmp_class_f32_e64 s1, v6, 0x204
	v_div_fixup_f32 v15, v13, 0x402df854, v6
	s_delay_alu instid0(VALU_DEP_3) | instskip(NEXT) | instid1(VALU_DEP_1)
	v_fma_f32 v22, -v14, v20, v17
	v_fmac_f32_e32 v20, v22, v16
	s_delay_alu instid0(VALU_DEP_1) | instskip(NEXT) | instid1(VALU_DEP_1)
	v_fma_f32 v14, -v14, v20, v17
	v_div_fmas_f32 v14, v14, v16, v20
	s_delay_alu instid0(VALU_DEP_1) | instskip(NEXT) | instid1(VALU_DEP_1)
	v_div_fixup_f32 v16, v14, 0x402df854, v7
	v_max_f32_e64 v17, |v15|, |v16|
	s_delay_alu instid0(VALU_DEP_1) | instskip(SKIP_1) | instid1(VALU_DEP_2)
	v_cvt_f64_f32_e32 v[13:14], v17
	v_cmp_neq_f32_e32 vcc_lo, 0x7f800000, v17
	v_frexp_exp_i32_f64_e32 v13, v[13:14]
	v_max_f32_e64 v14, |v7|, |v7|
	s_delay_alu instid0(VALU_DEP_1) | instskip(SKIP_1) | instid1(VALU_DEP_2)
	v_max_f32_e32 v19, v18, v14
	v_min_f32_e32 v14, v18, v14
	v_frexp_mant_f32_e32 v20, v19
	v_frexp_exp_i32_f32_e32 v19, v19
	s_delay_alu instid0(VALU_DEP_3) | instskip(SKIP_1) | instid1(VALU_DEP_4)
	v_frexp_exp_i32_f32_e32 v21, v14
	v_frexp_mant_f32_e32 v14, v14
	v_rcp_f32_e32 v18, v20
	s_delay_alu instid0(VALU_DEP_2) | instskip(SKIP_1) | instid1(VALU_DEP_1)
	v_sub_nc_u32_e32 v19, v21, v19
	v_sub_nc_u32_e32 v20, 0, v13
	v_ldexp_f32 v16, |v16|, v20
	v_ldexp_f32 v15, |v15|, v20
	s_delay_alu instid0(VALU_DEP_2) | instskip(NEXT) | instid1(VALU_DEP_1)
	v_mul_f32_e32 v16, v16, v16
	v_fmac_f32_e32 v16, v15, v15
	s_delay_alu instid0(VALU_DEP_1) | instskip(SKIP_2) | instid1(VALU_DEP_1)
	v_sqrt_f32_e32 v16, v16
	s_waitcnt_depctr 0xfff
	v_ldexp_f32 v13, v16, v13
	v_cndmask_b32_e32 v13, 0x7f800000, v13, vcc_lo
	s_delay_alu instid0(VALU_DEP_1) | instskip(SKIP_1) | instid1(VALU_DEP_1)
	v_cmp_gt_f32_e32 vcc_lo, 0x800000, v13
	v_cndmask_b32_e64 v17, 1.0, 0x4f800000, vcc_lo
	v_mul_f32_e32 v13, v13, v17
	s_delay_alu instid0(VALU_DEP_1) | instskip(SKIP_1) | instid1(VALU_DEP_1)
	v_log_f32_e32 v13, v13
	v_mul_f32_e32 v14, v14, v18
	v_ldexp_f32 v14, v14, v19
	s_delay_alu instid0(VALU_DEP_1) | instskip(NEXT) | instid1(VALU_DEP_1)
	v_mul_f32_e32 v15, v14, v14
	v_fmaak_f32 v18, s10, v15, 0xbc7a590c
	s_delay_alu instid0(VALU_DEP_1) | instskip(NEXT) | instid1(VALU_DEP_1)
	v_fmaak_f32 v18, v15, v18, 0x3d29fb3f
	v_fmaak_f32 v16, v15, v18, 0xbd97d4d7
	v_cndmask_b32_e64 v18, 0, 0x41b17218, vcc_lo
	s_delay_alu instid0(TRANS32_DEP_1) | instskip(NEXT) | instid1(VALU_DEP_3)
	v_cmp_gt_f32_e64 vcc_lo, 0x7f800000, |v13|
	v_fmaak_f32 v16, v15, v16, 0x3dd931b2
	s_delay_alu instid0(VALU_DEP_1) | instskip(NEXT) | instid1(VALU_DEP_1)
	v_fmaak_f32 v16, v15, v16, 0xbe1160e6
	v_fmaak_f32 v16, v15, v16, 0x3e4cb8bf
	s_delay_alu instid0(VALU_DEP_1) | instskip(NEXT) | instid1(VALU_DEP_1)
	v_fmaak_f32 v16, v15, v16, 0xbeaaaa62
	v_dual_mul_f32 v15, v15, v16 :: v_dual_mul_f32 v16, 0x3f317217, v13
	s_delay_alu instid0(VALU_DEP_1) | instskip(NEXT) | instid1(VALU_DEP_2)
	v_fmac_f32_e32 v14, v14, v15
	v_fma_f32 v15, 0x3f317217, v13, -v16
	s_delay_alu instid0(VALU_DEP_2) | instskip(NEXT) | instid1(VALU_DEP_2)
	v_sub_f32_e32 v17, 0x3fc90fdb, v14
	v_fmac_f32_e32 v15, 0x3377d1cf, v13
	s_delay_alu instid0(VALU_DEP_2) | instskip(SKIP_1) | instid1(VALU_DEP_2)
	v_cndmask_b32_e64 v14, v14, v17, s0
	v_cmp_gt_i32_e64 s0, 0, v6
	v_dual_add_f32 v15, v16, v15 :: v_dual_sub_f32 v16, 0x40490fdb, v14
	s_delay_alu instid0(VALU_DEP_2) | instskip(NEXT) | instid1(VALU_DEP_2)
	v_cndmask_b32_e64 v17, 0, 0x40490fdb, s0
	v_cndmask_b32_e32 v13, v13, v15, vcc_lo
	v_cmp_gt_f32_e64 s0, 0, v6
	v_cmp_eq_f32_e32 vcc_lo, 0, v7
	s_delay_alu instid0(VALU_DEP_3) | instskip(NEXT) | instid1(VALU_DEP_3)
	v_sub_f32_e32 v13, v13, v18
	v_cndmask_b32_e64 v14, v14, v16, s0
	v_cndmask_b32_e64 v15, 0x3f490fdb, v12, s0
	s_delay_alu instid0(VALU_DEP_3) | instskip(NEXT) | instid1(VALU_DEP_3)
	v_add_f32_e32 v13, 1.0, v13
	v_cndmask_b32_e32 v14, v14, v17, vcc_lo
	s_and_b32 vcc_lo, s1, s3
	s_delay_alu instid0(VALU_DEP_1)
	v_cndmask_b32_e32 v14, v14, v15, vcc_lo
.LBB187_189:                            ;   in Loop: Header=BB187_162 Depth=1
	s_or_b32 exec_lo, exec_lo, s2
.LBB187_190:                            ;   in Loop: Header=BB187_162 Depth=1
	s_and_not1_saveexec_b32 s0, s11
	s_cbranch_execz .LBB187_196
; %bb.191:                              ;   in Loop: Header=BB187_162 Depth=1
	v_cmp_ngt_f32_e64 s1, 0x20000000, |v6|
	v_cmp_ngt_f32_e64 s2, 0x20000000, |v7|
                                        ; implicit-def: $vgpr13
	s_delay_alu instid0(VALU_DEP_1) | instskip(NEXT) | instid1(SALU_CYCLE_1)
	s_or_b32 s1, s1, s2
	s_and_saveexec_b32 s2, s1
	s_delay_alu instid0(SALU_CYCLE_1)
	s_xor_b32 s1, exec_lo, s2
; %bb.192:                              ;   in Loop: Header=BB187_162 Depth=1
	v_mul_f32_e32 v13, v7, v7
	s_delay_alu instid0(VALU_DEP_1)
	v_fmac_f32_e32 v13, v6, v6
; %bb.193:                              ;   in Loop: Header=BB187_162 Depth=1
	s_and_not1_saveexec_b32 s1, s1
; %bb.194:                              ;   in Loop: Header=BB187_162 Depth=1
	v_dual_mul_f32 v13, 4.0, v7 :: v_dual_mul_f32 v6, 4.0, v6
	s_delay_alu instid0(VALU_DEP_1) | instskip(NEXT) | instid1(VALU_DEP_1)
	v_mul_f32_e32 v13, v13, v13
	v_fmac_f32_e32 v13, v6, v6
	s_delay_alu instid0(VALU_DEP_1)
	v_mul_f32_e32 v13, 0x3d800000, v13
; %bb.195:                              ;   in Loop: Header=BB187_162 Depth=1
	s_or_b32 exec_lo, exec_lo, s1
	s_delay_alu instid0(VALU_DEP_1) | instskip(SKIP_1) | instid1(VALU_DEP_1)
	v_cmp_gt_f32_e32 vcc_lo, 0x800000, v13
	v_cndmask_b32_e64 v6, 1.0, 0x4f800000, vcc_lo
	v_mul_f32_e32 v6, v13, v6
	s_delay_alu instid0(VALU_DEP_1) | instskip(SKIP_2) | instid1(VALU_DEP_1)
	v_log_f32_e32 v6, v6
	s_waitcnt_depctr 0xfff
	v_mul_f32_e32 v13, 0x3f317217, v6
	v_fma_f32 v14, 0x3f317217, v6, -v13
	s_delay_alu instid0(VALU_DEP_1) | instskip(NEXT) | instid1(VALU_DEP_1)
	v_fmac_f32_e32 v14, 0x3377d1cf, v6
	v_add_f32_e32 v13, v13, v14
	v_cndmask_b32_e64 v14, 0, 0x41b17218, vcc_lo
	v_cmp_gt_f32_e64 vcc_lo, 0x7f800000, |v6|
	s_delay_alu instid0(VALU_DEP_3) | instskip(NEXT) | instid1(VALU_DEP_1)
	v_cndmask_b32_e32 v6, v6, v13, vcc_lo
	v_dual_sub_f32 v13, v6, v14 :: v_dual_mov_b32 v14, 0x7fc00000
.LBB187_196:                            ;   in Loop: Header=BB187_162 Depth=1
	s_or_b32 exec_lo, exec_lo, s0
                                        ; implicit-def: $vgpr6
                                        ; implicit-def: $vgpr15
	s_delay_alu instid0(SALU_CYCLE_1)
	s_mov_b32 s0, exec_lo
	v_cmpx_o_f32_e32 v9, v8
	s_xor_b32 s11, exec_lo, s0
	s_cbranch_execz .LBB187_224
; %bb.197:                              ;   in Loop: Header=BB187_162 Depth=1
	v_cmp_lt_f32_e64 s0, |v8|, |v9|
                                        ; implicit-def: $vgpr6
                                        ; implicit-def: $vgpr15
	s_mov_b32 s1, exec_lo
	s_delay_alu instid0(VALU_DEP_1) | instskip(NEXT) | instid1(VALU_DEP_1)
	v_cndmask_b32_e64 v16, |v9|, |v8|, s0
	v_cmpx_nlt_f32_e32 0x77f684df, v16
	s_xor_b32 s12, exec_lo, s1
	s_cbranch_execz .LBB187_221
; %bb.198:                              ;   in Loop: Header=BB187_162 Depth=1
	v_and_b32_e32 v6, 0x7fffffff, v9
                                        ; implicit-def: $vgpr15
	s_mov_b32 s1, exec_lo
	s_delay_alu instid0(VALU_DEP_1) | instskip(NEXT) | instid1(VALU_DEP_1)
	v_cndmask_b32_e64 v17, |v8|, v6, s0
                                        ; implicit-def: $vgpr6
	v_cmpx_neq_f32_e32 1.0, v17
	s_xor_b32 s16, exec_lo, s1
	s_cbranch_execz .LBB187_214
; %bb.199:                              ;   in Loop: Header=BB187_162 Depth=1
	v_dual_max_f32 v6, v16, v16 :: v_dual_max_f32 v15, v17, v17
	s_delay_alu instid0(VALU_DEP_1) | instskip(SKIP_1) | instid1(VALU_DEP_2)
	v_min_f32_e32 v18, v15, v6
	v_max_f32_e32 v6, v15, v6
                                        ; implicit-def: $vgpr15
	v_cmp_ngt_f32_e32 vcc_lo, 0x358637bd, v18
	s_delay_alu instid0(VALU_DEP_2) | instskip(NEXT) | instid1(VALU_DEP_1)
	v_cmp_nlt_f32_e64 s1, 0x49742400, v6
                                        ; implicit-def: $vgpr6
	s_and_b32 s1, s1, vcc_lo
	s_delay_alu instid0(SALU_CYCLE_1) | instskip(NEXT) | instid1(SALU_CYCLE_1)
	s_and_saveexec_b32 s2, s1
	s_xor_b32 s17, exec_lo, s2
	s_cbranch_execz .LBB187_211
; %bb.200:                              ;   in Loop: Header=BB187_162 Depth=1
                                        ; implicit-def: $vgpr6
                                        ; implicit-def: $vgpr15
	s_mov_b32 s1, exec_lo
	v_cmpx_le_f32_e32 1.0, v17
	s_xor_b32 s2, exec_lo, s1
	s_cbranch_execz .LBB187_202
; %bb.201:                              ;   in Loop: Header=BB187_162 Depth=1
	v_add_f32_e32 v6, -1.0, v17
	v_add_f32_e32 v15, 1.0, v17
	v_cmp_class_f32_e64 s3, v8, 0x204
	s_delay_alu instid0(VALU_DEP_2) | instskip(NEXT) | instid1(VALU_DEP_1)
	v_mul_f32_e32 v6, v6, v15
	v_fmac_f32_e32 v6, v16, v16
	s_delay_alu instid0(VALU_DEP_1) | instskip(SKIP_1) | instid1(VALU_DEP_2)
	v_add_f32_e32 v17, 1.0, v6
	v_cmp_neq_f32_e64 s1, -1.0, v6
	v_cvt_f64_f32_e32 v[15:16], v17
	s_delay_alu instid0(VALU_DEP_1) | instskip(SKIP_1) | instid1(VALU_DEP_1)
	v_frexp_exp_i32_f64_e32 v15, v[15:16]
	v_frexp_mant_f32_e32 v16, v17
	v_cmp_gt_f32_e32 vcc_lo, 0x3f2aaaab, v16
	v_add_f32_e32 v16, -1.0, v17
	s_delay_alu instid0(VALU_DEP_1) | instskip(NEXT) | instid1(VALU_DEP_1)
	v_dual_sub_f32 v19, v16, v17 :: v_dual_sub_f32 v16, v6, v16
	v_add_f32_e32 v19, 1.0, v19
	s_delay_alu instid0(VALU_DEP_1) | instskip(SKIP_2) | instid1(VALU_DEP_2)
	v_add_f32_e32 v16, v16, v19
	v_subrev_co_ci_u32_e32 v15, vcc_lo, 0, v15, vcc_lo
	v_cmp_eq_f32_e32 vcc_lo, 0x7f800000, v6
	v_sub_nc_u32_e32 v18, 0, v15
	v_cvt_f32_i32_e32 v15, v15
	s_delay_alu instid0(VALU_DEP_2) | instskip(SKIP_1) | instid1(VALU_DEP_2)
	v_ldexp_f32 v17, v17, v18
	v_ldexp_f32 v16, v16, v18
	v_add_f32_e32 v20, 1.0, v17
	s_delay_alu instid0(VALU_DEP_1) | instskip(NEXT) | instid1(VALU_DEP_1)
	v_add_f32_e32 v19, -1.0, v20
	v_dual_sub_f32 v19, v17, v19 :: v_dual_add_f32 v18, -1.0, v17
	s_delay_alu instid0(VALU_DEP_1) | instskip(NEXT) | instid1(VALU_DEP_2)
	v_add_f32_e32 v19, v16, v19
	v_add_f32_e32 v21, 1.0, v18
	s_delay_alu instid0(VALU_DEP_1) | instskip(NEXT) | instid1(VALU_DEP_1)
	v_sub_f32_e32 v17, v17, v21
	v_add_f32_e32 v16, v16, v17
	s_delay_alu instid0(VALU_DEP_1) | instskip(NEXT) | instid1(VALU_DEP_1)
	v_dual_add_f32 v22, v18, v16 :: v_dual_add_f32 v21, v20, v19
	v_sub_f32_e32 v18, v22, v18
	s_delay_alu instid0(VALU_DEP_2) | instskip(SKIP_1) | instid1(VALU_DEP_1)
	v_rcp_f32_e32 v17, v21
	v_sub_f32_e32 v20, v21, v20
	v_dual_sub_f32 v19, v19, v20 :: v_dual_sub_f32 v16, v16, v18
	s_waitcnt_depctr 0xfff
	v_mul_f32_e32 v23, v22, v17
	s_delay_alu instid0(VALU_DEP_1) | instskip(NEXT) | instid1(VALU_DEP_1)
	v_mul_f32_e32 v24, v21, v23
	v_fma_f32 v20, v23, v21, -v24
	s_delay_alu instid0(VALU_DEP_1) | instskip(NEXT) | instid1(VALU_DEP_1)
	v_fmac_f32_e32 v20, v23, v19
	v_add_f32_e32 v25, v24, v20
	s_delay_alu instid0(VALU_DEP_1) | instskip(SKIP_1) | instid1(VALU_DEP_2)
	v_sub_f32_e32 v26, v22, v25
	v_sub_f32_e32 v18, v25, v24
	;; [unrolled: 1-line block ×3, first 2 shown]
	s_delay_alu instid0(VALU_DEP_2) | instskip(NEXT) | instid1(VALU_DEP_2)
	v_sub_f32_e32 v18, v18, v20
	v_sub_f32_e32 v22, v22, v25
	s_delay_alu instid0(VALU_DEP_1) | instskip(NEXT) | instid1(VALU_DEP_1)
	v_add_f32_e32 v16, v16, v22
	v_add_f32_e32 v16, v18, v16
	s_delay_alu instid0(VALU_DEP_1) | instskip(NEXT) | instid1(VALU_DEP_1)
	v_add_f32_e32 v18, v26, v16
	v_mul_f32_e32 v20, v17, v18
	s_delay_alu instid0(VALU_DEP_1) | instskip(NEXT) | instid1(VALU_DEP_1)
	v_dual_sub_f32 v25, v26, v18 :: v_dual_mul_f32 v22, v21, v20
	v_add_f32_e32 v16, v16, v25
	s_delay_alu instid0(VALU_DEP_2) | instskip(NEXT) | instid1(VALU_DEP_1)
	v_fma_f32 v21, v20, v21, -v22
	v_fmac_f32_e32 v21, v20, v19
	s_delay_alu instid0(VALU_DEP_1) | instskip(NEXT) | instid1(VALU_DEP_1)
	v_add_f32_e32 v19, v22, v21
	v_sub_f32_e32 v24, v18, v19
	v_sub_f32_e32 v22, v19, v22
	s_delay_alu instid0(VALU_DEP_2) | instskip(NEXT) | instid1(VALU_DEP_1)
	v_sub_f32_e32 v18, v18, v24
	v_sub_f32_e32 v18, v18, v19
	s_delay_alu instid0(VALU_DEP_3) | instskip(SKIP_1) | instid1(VALU_DEP_3)
	v_sub_f32_e32 v19, v22, v21
	v_max_f32_e64 v21, |v9|, |v9|
	v_add_f32_e32 v16, v16, v18
	v_add_f32_e32 v18, v23, v20
	s_delay_alu instid0(VALU_DEP_1) | instskip(NEXT) | instid1(VALU_DEP_1)
	v_dual_add_f32 v16, v19, v16 :: v_dual_sub_f32 v19, v18, v23
	v_add_f32_e32 v16, v24, v16
	s_delay_alu instid0(VALU_DEP_2) | instskip(SKIP_1) | instid1(VALU_DEP_3)
	v_sub_f32_e32 v19, v20, v19
	v_mul_f32_e32 v24, 0x3f317218, v15
	v_mul_f32_e32 v16, v17, v16
	s_delay_alu instid0(VALU_DEP_2) | instskip(NEXT) | instid1(VALU_DEP_1)
	v_fma_f32 v25, 0x3f317218, v15, -v24
	v_dual_add_f32 v16, v19, v16 :: v_dual_fmac_f32 v25, 0xb102e308, v15
	s_delay_alu instid0(VALU_DEP_1) | instskip(NEXT) | instid1(VALU_DEP_1)
	v_add_f32_e32 v17, v18, v16
	v_mul_f32_e32 v19, v17, v17
	v_ldexp_f32 v23, v17, 1
	s_delay_alu instid0(VALU_DEP_2) | instskip(SKIP_2) | instid1(VALU_DEP_3)
	v_fmaak_f32 v20, s8, v19, 0x3ecc95a3
	v_mul_f32_e32 v22, v17, v19
	v_sub_f32_e32 v17, v17, v18
	v_fmaak_f32 v19, v19, v20, 0x3f2aaada
	v_max_f32_e64 v20, |v8|, |v8|
	s_delay_alu instid0(VALU_DEP_2) | instskip(NEXT) | instid1(VALU_DEP_2)
	v_dual_sub_f32 v16, v16, v17 :: v_dual_mul_f32 v19, v22, v19
	v_max_f32_e32 v22, v20, v21
	v_min_f32_e32 v20, v20, v21
	s_delay_alu instid0(VALU_DEP_3) | instskip(NEXT) | instid1(VALU_DEP_4)
	v_ldexp_f32 v16, v16, 1
	v_add_f32_e32 v18, v23, v19
	s_delay_alu instid0(VALU_DEP_4) | instskip(SKIP_1) | instid1(VALU_DEP_3)
	v_frexp_mant_f32_e32 v21, v22
	v_frexp_exp_i32_f32_e32 v22, v22
	v_sub_f32_e32 v17, v18, v23
	s_delay_alu instid0(VALU_DEP_3) | instskip(SKIP_1) | instid1(VALU_DEP_2)
	v_rcp_f32_e32 v21, v21
	v_frexp_exp_i32_f32_e32 v23, v20
	v_sub_f32_e32 v17, v19, v17
	v_frexp_mant_f32_e32 v19, v20
	s_delay_alu instid0(VALU_DEP_3) | instskip(NEXT) | instid1(VALU_DEP_3)
	v_sub_nc_u32_e32 v20, v23, v22
	v_add_f32_e32 v15, v16, v17
	v_add_f32_e32 v17, v24, v25
	s_delay_alu instid0(VALU_DEP_1) | instskip(NEXT) | instid1(VALU_DEP_1)
	v_sub_f32_e32 v24, v17, v24
	v_sub_f32_e32 v24, v25, v24
	s_delay_alu instid0(TRANS32_DEP_1) | instid1(VALU_DEP_4)
	v_dual_mul_f32 v16, v19, v21 :: v_dual_add_f32 v19, v18, v15
	s_delay_alu instid0(VALU_DEP_1) | instskip(NEXT) | instid1(VALU_DEP_2)
	v_ldexp_f32 v16, v16, v20
	v_add_f32_e32 v20, v17, v19
	s_delay_alu instid0(VALU_DEP_2) | instskip(NEXT) | instid1(VALU_DEP_1)
	v_dual_sub_f32 v18, v19, v18 :: v_dual_mul_f32 v21, v16, v16
	v_dual_sub_f32 v22, v20, v17 :: v_dual_sub_f32 v15, v15, v18
	s_delay_alu instid0(VALU_DEP_1) | instskip(SKIP_1) | instid1(VALU_DEP_3)
	v_dual_fmaak_f32 v23, s10, v21, 0xbc7a590c :: v_dual_sub_f32 v26, v20, v22
	v_sub_f32_e32 v18, v19, v22
	v_add_f32_e32 v22, v24, v15
	s_delay_alu instid0(VALU_DEP_3) | instskip(NEXT) | instid1(VALU_DEP_4)
	v_fmaak_f32 v23, v21, v23, 0x3d29fb3f
	v_sub_f32_e32 v17, v17, v26
	s_delay_alu instid0(VALU_DEP_2) | instskip(NEXT) | instid1(VALU_DEP_1)
	v_fmaak_f32 v19, v21, v23, 0xbd97d4d7
	v_dual_add_f32 v17, v18, v17 :: v_dual_fmaak_f32 v18, v21, v19, 0x3dd931b2
	v_sub_f32_e32 v19, v22, v24
	s_delay_alu instid0(VALU_DEP_2) | instskip(NEXT) | instid1(VALU_DEP_1)
	v_dual_add_f32 v17, v22, v17 :: v_dual_fmaak_f32 v18, v21, v18, 0xbe1160e6
	v_dual_sub_f32 v22, v22, v19 :: v_dual_add_f32 v23, v20, v17
	s_delay_alu instid0(VALU_DEP_2) | instskip(NEXT) | instid1(VALU_DEP_2)
	v_dual_sub_f32 v15, v15, v19 :: v_dual_fmaak_f32 v18, v21, v18, 0x3e4cb8bf
	v_dual_sub_f32 v19, v24, v22 :: v_dual_sub_f32 v20, v23, v20
	s_delay_alu instid0(VALU_DEP_1) | instskip(NEXT) | instid1(VALU_DEP_2)
	v_dual_fmaak_f32 v18, v21, v18, 0xbeaaaa62 :: v_dual_add_f32 v15, v15, v19
	v_sub_f32_e32 v17, v17, v20
	s_delay_alu instid0(VALU_DEP_1) | instskip(NEXT) | instid1(VALU_DEP_1)
	v_dual_mul_f32 v18, v21, v18 :: v_dual_add_f32 v15, v15, v17
	v_dual_fmac_f32 v16, v16, v18 :: v_dual_add_f32 v15, v23, v15
	s_delay_alu instid0(VALU_DEP_1) | instskip(NEXT) | instid1(VALU_DEP_2)
	v_sub_f32_e32 v17, 0x3fc90fdb, v16
	v_cndmask_b32_e32 v15, v15, v6, vcc_lo
	v_cmp_gt_i32_e32 vcc_lo, 0, v8
	s_delay_alu instid0(VALU_DEP_3) | instskip(SKIP_2) | instid1(VALU_DEP_3)
	v_cndmask_b32_e64 v16, v16, v17, s0
	v_cndmask_b32_e64 v17, 0, 0x40490fdb, vcc_lo
	v_cmp_ngt_f32_e32 vcc_lo, -1.0, v6
	v_sub_f32_e32 v18, 0x40490fdb, v16
	v_cndmask_b32_e32 v15, 0x7fc00000, v15, vcc_lo
	v_cmp_gt_f32_e32 vcc_lo, 0, v8
	s_delay_alu instid0(VALU_DEP_2) | instskip(NEXT) | instid1(VALU_DEP_4)
	v_cndmask_b32_e64 v15, 0xff800000, v15, s1
	v_cndmask_b32_e32 v16, v16, v18, vcc_lo
	v_cndmask_b32_e32 v18, 0x3f490fdb, v12, vcc_lo
	v_cmp_gt_f32_e64 vcc_lo, 0x33800000, |v6|
	v_cmp_class_f32_e64 s1, v9, 0x204
	v_cndmask_b32_e32 v6, v15, v6, vcc_lo
	v_cmp_eq_f32_e32 vcc_lo, 0, v9
	s_delay_alu instid0(VALU_DEP_2) | instskip(NEXT) | instid1(VALU_DEP_4)
	v_dual_mul_f32 v6, 0.5, v6 :: v_dual_cndmask_b32 v15, v16, v17
	s_and_b32 vcc_lo, s3, s1
                                        ; implicit-def: $vgpr16
                                        ; implicit-def: $vgpr17
	s_delay_alu instid0(VALU_DEP_1)
	v_cndmask_b32_e32 v15, v15, v18, vcc_lo
.LBB187_202:                            ;   in Loop: Header=BB187_162 Depth=1
	s_and_not1_saveexec_b32 s18, s2
	s_cbranch_execz .LBB187_210
; %bb.203:                              ;   in Loop: Header=BB187_162 Depth=1
	v_mul_f32_e32 v18, v16, v16
                                        ; implicit-def: $vgpr6
                                        ; implicit-def: $vgpr15
	s_mov_b32 s1, exec_lo
	s_delay_alu instid0(VALU_DEP_1) | instskip(NEXT) | instid1(VALU_DEP_1)
	v_fmac_f32_e32 v18, v17, v17
	v_cmpx_ge_f32_e32 0x3f333333, v18
	s_xor_b32 s2, exec_lo, s1
	s_cbranch_execz .LBB187_205
; %bb.204:                              ;   in Loop: Header=BB187_162 Depth=1
	v_max_f32_e64 v6, |v9|, |v9|
	v_max_f32_e64 v15, |v8|, |v8|
	v_cmp_gt_f32_e32 vcc_lo, 0x800000, v18
	v_cmp_gt_i32_e64 s1, 0, v8
	v_cmp_class_f32_e64 s3, v8, 0x204
	v_cmp_class_f32_e64 s4, v9, 0x204
	v_max_f32_e32 v16, v15, v6
	v_min_f32_e32 v6, v15, v6
	v_cndmask_b32_e64 v19, 0, 0x41b17218, vcc_lo
	s_delay_alu instid0(VALU_DEP_3) | instskip(SKIP_1) | instid1(VALU_DEP_2)
	v_frexp_mant_f32_e32 v17, v16
	v_frexp_exp_i32_f32_e32 v16, v16
	v_rcp_f32_e32 v15, v17
	v_frexp_exp_i32_f32_e32 v17, v6
	v_frexp_mant_f32_e32 v6, v6
	s_delay_alu instid0(VALU_DEP_2) | instskip(SKIP_4) | instid1(VALU_DEP_2)
	v_sub_nc_u32_e32 v16, v17, v16
	v_cndmask_b32_e64 v17, 1.0, 0x4f800000, vcc_lo
	s_waitcnt_depctr 0xfff
	v_mul_f32_e32 v6, v6, v15
	v_mul_f32_e32 v17, v18, v17
	v_ldexp_f32 v6, v6, v16
	s_delay_alu instid0(VALU_DEP_2) | instskip(NEXT) | instid1(VALU_DEP_1)
	v_log_f32_e32 v17, v17
	v_mul_f32_e32 v15, v6, v6
	s_delay_alu instid0(VALU_DEP_1) | instskip(SKIP_3) | instid1(VALU_DEP_1)
	v_fmaak_f32 v16, s10, v15, 0xbc7a590c
	s_waitcnt_depctr 0xfff
	v_cmp_gt_f32_e64 vcc_lo, 0x7f800000, |v17|
	v_fmaak_f32 v16, v15, v16, 0x3d29fb3f
	v_fmaak_f32 v16, v15, v16, 0xbd97d4d7
	s_delay_alu instid0(VALU_DEP_1) | instskip(NEXT) | instid1(VALU_DEP_1)
	v_fmaak_f32 v16, v15, v16, 0x3dd931b2
	v_fmaak_f32 v16, v15, v16, 0xbe1160e6
	s_delay_alu instid0(VALU_DEP_1) | instskip(NEXT) | instid1(VALU_DEP_1)
	;; [unrolled: 3-line block ×3, first 2 shown]
	v_dual_mul_f32 v15, v15, v16 :: v_dual_mul_f32 v16, 0x3f317217, v17
	v_fmac_f32_e32 v6, v6, v15
	s_delay_alu instid0(VALU_DEP_2) | instskip(NEXT) | instid1(VALU_DEP_1)
	v_fma_f32 v15, 0x3f317217, v17, -v16
	v_fmac_f32_e32 v15, 0x3377d1cf, v17
	s_delay_alu instid0(VALU_DEP_1) | instskip(SKIP_2) | instid1(VALU_DEP_3)
	v_add_f32_e32 v15, v16, v15
	v_cndmask_b32_e64 v16, 0, 0x40490fdb, s1
	v_cmp_eq_f32_e64 s1, 0, v9
	v_cndmask_b32_e32 v15, v17, v15, vcc_lo
	v_cmp_gt_f32_e32 vcc_lo, 0, v8
	s_delay_alu instid0(VALU_DEP_2) | instskip(SKIP_2) | instid1(VALU_DEP_1)
	v_sub_f32_e32 v15, v15, v19
	v_cndmask_b32_e32 v17, 0x3f490fdb, v12, vcc_lo
	v_sub_f32_e32 v18, 0x3fc90fdb, v6
	v_cndmask_b32_e64 v6, v6, v18, s0
	s_delay_alu instid0(VALU_DEP_1) | instskip(NEXT) | instid1(VALU_DEP_1)
	v_sub_f32_e32 v18, 0x40490fdb, v6
	v_cndmask_b32_e32 v6, v6, v18, vcc_lo
	s_and_b32 vcc_lo, s3, s4
	s_delay_alu instid0(VALU_DEP_1) | instskip(NEXT) | instid1(VALU_DEP_1)
	v_cndmask_b32_e64 v16, v6, v16, s1
	v_dual_mul_f32 v6, 0.5, v15 :: v_dual_cndmask_b32 v15, v16, v17
                                        ; implicit-def: $vgpr17
                                        ; implicit-def: $vgpr16
.LBB187_205:                            ;   in Loop: Header=BB187_162 Depth=1
	s_and_not1_saveexec_b32 s19, s2
	s_cbranch_execz .LBB187_209
; %bb.206:                              ;   in Loop: Header=BB187_162 Depth=1
	v_and_b32_e32 v18, 0x7fff0000, v16
	v_and_b32_e32 v15, 0x7fff0000, v17
	s_mov_b32 s21, 0
	s_delay_alu instid0(VALU_DEP_2) | instskip(SKIP_1) | instid1(VALU_DEP_3)
	v_sub_f32_e32 v19, v16, v18
	v_mul_f32_e32 v16, v18, v18
	v_mul_f32_e32 v6, v15, v15
	v_sub_f32_e32 v17, v17, v15
	s_delay_alu instid0(VALU_DEP_1) | instskip(NEXT) | instid1(VALU_DEP_1)
	v_dual_add_f32 v25, v18, v18 :: v_dual_and_b32 v20, 0xffff0000, v17
	v_dual_sub_f32 v18, v17, v20 :: v_dual_and_b32 v21, 0xffff0000, v19
	s_delay_alu instid0(VALU_DEP_1) | instskip(SKIP_2) | instid1(VALU_DEP_3)
	v_dual_add_f32 v22, v15, v15 :: v_dual_mul_f32 v15, v25, v21
	v_dual_sub_f32 v26, v19, v21 :: v_dual_mul_f32 v17, v20, v20
	v_add_f32_e32 v19, v20, v20
	v_dual_mul_f32 v24, v22, v20 :: v_dual_add_f32 v27, v21, v21
	v_dual_mul_f32 v23, v21, v21 :: v_dual_mul_f32 v20, v22, v18
	s_delay_alu instid0(VALU_DEP_4) | instskip(NEXT) | instid1(VALU_DEP_4)
	v_mul_f32_e32 v22, v25, v26
	v_mul_f32_e32 v21, v19, v18
	;; [unrolled: 1-line block ×5, first 2 shown]
.LBB187_207:                            ;   Parent Loop BB187_162 Depth=1
                                        ; =>  This Inner Loop Header: Depth=2
	v_cmp_nlt_f32_e32 vcc_lo, v6, v16
	s_delay_alu instid0(VALU_DEP_2) | instskip(SKIP_1) | instid1(VALU_DEP_2)
	v_dual_mov_b32 v27, v25 :: v_dual_cndmask_b32 v26, v6, v16
	v_cndmask_b32_e32 v6, v16, v6, vcc_lo
	v_cmp_nlt_f32_e64 s1, v26, v24
	s_delay_alu instid0(VALU_DEP_1) | instskip(SKIP_2) | instid1(VALU_DEP_2)
	v_cndmask_b32_e64 v25, v26, v24, s1
	v_cndmask_b32_e64 v16, v24, v26, s1
	s_and_b32 s22, vcc_lo, s1
	v_cmp_nlt_f32_e64 s2, v25, v15
	s_delay_alu instid0(VALU_DEP_1) | instskip(SKIP_1) | instid1(VALU_DEP_2)
	v_cndmask_b32_e64 v28, v25, v15, s2
	v_cndmask_b32_e64 v24, v15, v25, s2
	v_cmp_nlt_f32_e64 s3, v28, v17
	s_delay_alu instid0(VALU_DEP_1) | instskip(SKIP_2) | instid1(VALU_DEP_2)
	v_cndmask_b32_e64 v26, v28, v17, s3
	v_cndmask_b32_e64 v15, v17, v28, s3
	s_and_b32 s23, s2, s3
	v_cmp_nlt_f32_e64 s4, v26, v23
	s_delay_alu instid0(VALU_DEP_1) | instskip(SKIP_1) | instid1(VALU_DEP_2)
	v_cndmask_b32_e64 v29, v26, v23, s4
	v_cndmask_b32_e64 v17, v23, v26, s4
	v_cmp_nlt_f32_e64 s5, v29, v20
	s_delay_alu instid0(VALU_DEP_1) | instskip(SKIP_2) | instid1(VALU_DEP_2)
	v_cndmask_b32_e64 v30, v29, v20, s5
	s_and_b32 s3, s4, s5
	v_cndmask_b32_e64 v23, v20, v29, s5
	v_cmp_nlt_f32_e64 s6, v30, v22
	s_delay_alu instid0(VALU_DEP_1) | instskip(SKIP_2) | instid1(VALU_DEP_2)
	v_cndmask_b32_e64 v31, v30, v22, s6
	s_and_b32 s3, s3, s6
	v_cndmask_b32_e64 v20, v22, v30, s6
	v_cmp_nlt_f32_e32 vcc_lo, v31, v21
	v_cndmask_b32_e32 v32, v31, v21, vcc_lo
	s_and_b32 s4, s3, vcc_lo
	v_cndmask_b32_e32 v22, v21, v31, vcc_lo
	s_delay_alu instid0(VALU_DEP_2) | instskip(NEXT) | instid1(VALU_DEP_1)
	v_cmp_nlt_f32_e64 s1, v32, v19
	v_cndmask_b32_e64 v28, v32, v19, s1
	s_and_b32 s4, s4, s1
	v_cndmask_b32_e64 v21, v19, v32, s1
	s_delay_alu instid0(VALU_DEP_2) | instskip(NEXT) | instid1(VALU_DEP_1)
	v_cmp_nlt_f32_e64 s2, v28, v18
	v_cndmask_b32_e64 v26, v28, v18, s2
	s_and_b32 s4, s4, s2
	v_cndmask_b32_e64 v19, v18, v28, s2
	s_delay_alu instid0(VALU_DEP_2) | instskip(NEXT) | instid1(VALU_DEP_1)
	v_cmp_nlt_f32_e64 s3, v26, v27
	s_and_b32 s4, s4, s3
	v_cndmask_b32_e64 v25, v26, v27, s3
	s_and_b32 s1, s4, s23
	v_cndmask_b32_e64 v18, v27, v26, s3
	s_and_b32 s1, s1, s22
	s_delay_alu instid0(SALU_CYCLE_1) | instskip(NEXT) | instid1(SALU_CYCLE_1)
	s_and_b32 s1, exec_lo, s1
	s_or_b32 s21, s1, s21
	s_delay_alu instid0(SALU_CYCLE_1)
	s_and_not1_b32 exec_lo, exec_lo, s21
	s_cbranch_execnz .LBB187_207
; %bb.208:                              ;   in Loop: Header=BB187_162 Depth=1
	s_or_b32 exec_lo, exec_lo, s21
	v_add_f32_e32 v6, -1.0, v6
	v_cmp_class_f32_e64 s2, v8, 0x204
	s_delay_alu instid0(VALU_DEP_2) | instskip(NEXT) | instid1(VALU_DEP_1)
	v_add_f32_e32 v6, v6, v16
	v_add_f32_e32 v6, v6, v24
	s_delay_alu instid0(VALU_DEP_1) | instskip(NEXT) | instid1(VALU_DEP_1)
	v_add_f32_e32 v6, v6, v15
	v_add_f32_e32 v6, v6, v17
	s_delay_alu instid0(VALU_DEP_1) | instskip(NEXT) | instid1(VALU_DEP_1)
	;; [unrolled: 3-line block ×5, first 2 shown]
	v_add_f32_e32 v6, v25, v6
	v_add_f32_e32 v17, 1.0, v6
	s_delay_alu instid0(VALU_DEP_1) | instskip(NEXT) | instid1(VALU_DEP_1)
	v_cvt_f64_f32_e32 v[15:16], v17
	v_frexp_exp_i32_f64_e32 v15, v[15:16]
	v_frexp_mant_f32_e32 v16, v17
	s_delay_alu instid0(VALU_DEP_1) | instskip(SKIP_1) | instid1(VALU_DEP_1)
	v_cmp_gt_f32_e32 vcc_lo, 0x3f2aaaab, v16
	v_add_f32_e32 v16, -1.0, v17
	v_dual_sub_f32 v19, v16, v17 :: v_dual_sub_f32 v16, v6, v16
	s_delay_alu instid0(VALU_DEP_1) | instskip(NEXT) | instid1(VALU_DEP_1)
	v_add_f32_e32 v19, 1.0, v19
	v_add_f32_e32 v16, v16, v19
	v_subrev_co_ci_u32_e32 v15, vcc_lo, 0, v15, vcc_lo
	s_delay_alu instid0(VALU_DEP_1) | instskip(SKIP_1) | instid1(VALU_DEP_2)
	v_sub_nc_u32_e32 v18, 0, v15
	v_cvt_f32_i32_e32 v15, v15
	v_ldexp_f32 v17, v17, v18
	v_ldexp_f32 v16, v16, v18
	s_delay_alu instid0(VALU_DEP_2) | instskip(NEXT) | instid1(VALU_DEP_1)
	v_add_f32_e32 v20, 1.0, v17
	v_dual_add_f32 v18, -1.0, v17 :: v_dual_add_f32 v19, -1.0, v20
	s_delay_alu instid0(VALU_DEP_1) | instskip(NEXT) | instid1(VALU_DEP_2)
	v_add_f32_e32 v21, 1.0, v18
	v_sub_f32_e32 v19, v17, v19
	s_delay_alu instid0(VALU_DEP_2) | instskip(NEXT) | instid1(VALU_DEP_2)
	v_sub_f32_e32 v17, v17, v21
	v_add_f32_e32 v19, v16, v19
	s_delay_alu instid0(VALU_DEP_2) | instskip(NEXT) | instid1(VALU_DEP_1)
	v_add_f32_e32 v16, v16, v17
	v_dual_add_f32 v21, v20, v19 :: v_dual_add_f32 v22, v18, v16
	s_delay_alu instid0(VALU_DEP_1) | instskip(SKIP_1) | instid1(VALU_DEP_1)
	v_rcp_f32_e32 v17, v21
	v_sub_f32_e32 v20, v21, v20
	v_dual_sub_f32 v18, v22, v18 :: v_dual_sub_f32 v19, v19, v20
	s_waitcnt_depctr 0xfff
	v_dual_sub_f32 v16, v16, v18 :: v_dual_mul_f32 v23, v22, v17
	v_cmp_eq_f32_e32 vcc_lo, 0x7f800000, v6
	v_cmp_neq_f32_e64 s1, -1.0, v6
	s_delay_alu instid0(VALU_DEP_3) | instskip(NEXT) | instid1(VALU_DEP_1)
	v_mul_f32_e32 v24, v21, v23
	v_fma_f32 v20, v23, v21, -v24
	s_delay_alu instid0(VALU_DEP_1) | instskip(NEXT) | instid1(VALU_DEP_1)
	v_fmac_f32_e32 v20, v23, v19
	v_add_f32_e32 v25, v24, v20
	s_delay_alu instid0(VALU_DEP_1) | instskip(SKIP_1) | instid1(VALU_DEP_2)
	v_sub_f32_e32 v26, v22, v25
	v_sub_f32_e32 v18, v25, v24
	;; [unrolled: 1-line block ×3, first 2 shown]
	s_delay_alu instid0(VALU_DEP_2) | instskip(NEXT) | instid1(VALU_DEP_2)
	v_sub_f32_e32 v18, v18, v20
	v_sub_f32_e32 v22, v22, v25
	s_delay_alu instid0(VALU_DEP_1) | instskip(NEXT) | instid1(VALU_DEP_1)
	v_add_f32_e32 v16, v16, v22
	v_add_f32_e32 v16, v18, v16
	s_delay_alu instid0(VALU_DEP_1) | instskip(NEXT) | instid1(VALU_DEP_1)
	v_add_f32_e32 v18, v26, v16
	v_mul_f32_e32 v20, v17, v18
	s_delay_alu instid0(VALU_DEP_1) | instskip(NEXT) | instid1(VALU_DEP_1)
	v_dual_sub_f32 v25, v26, v18 :: v_dual_mul_f32 v22, v21, v20
	v_add_f32_e32 v16, v16, v25
	s_delay_alu instid0(VALU_DEP_2) | instskip(NEXT) | instid1(VALU_DEP_1)
	v_fma_f32 v21, v20, v21, -v22
	v_fmac_f32_e32 v21, v20, v19
	s_delay_alu instid0(VALU_DEP_1) | instskip(NEXT) | instid1(VALU_DEP_1)
	v_add_f32_e32 v19, v22, v21
	v_sub_f32_e32 v24, v18, v19
	v_sub_f32_e32 v22, v19, v22
	s_delay_alu instid0(VALU_DEP_2) | instskip(NEXT) | instid1(VALU_DEP_1)
	v_sub_f32_e32 v18, v18, v24
	v_sub_f32_e32 v18, v18, v19
	s_delay_alu instid0(VALU_DEP_3) | instskip(SKIP_1) | instid1(VALU_DEP_3)
	v_sub_f32_e32 v19, v22, v21
	v_max_f32_e64 v21, |v9|, |v9|
	v_add_f32_e32 v16, v16, v18
	v_add_f32_e32 v18, v23, v20
	s_delay_alu instid0(VALU_DEP_1) | instskip(NEXT) | instid1(VALU_DEP_1)
	v_dual_add_f32 v16, v19, v16 :: v_dual_sub_f32 v19, v18, v23
	v_add_f32_e32 v16, v24, v16
	s_delay_alu instid0(VALU_DEP_2) | instskip(SKIP_1) | instid1(VALU_DEP_3)
	v_sub_f32_e32 v19, v20, v19
	v_mul_f32_e32 v24, 0x3f317218, v15
	v_mul_f32_e32 v16, v17, v16
	s_delay_alu instid0(VALU_DEP_2) | instskip(NEXT) | instid1(VALU_DEP_1)
	v_fma_f32 v25, 0x3f317218, v15, -v24
	v_dual_add_f32 v16, v19, v16 :: v_dual_fmac_f32 v25, 0xb102e308, v15
	s_delay_alu instid0(VALU_DEP_1) | instskip(NEXT) | instid1(VALU_DEP_1)
	v_add_f32_e32 v17, v18, v16
	v_mul_f32_e32 v19, v17, v17
	v_ldexp_f32 v23, v17, 1
	s_delay_alu instid0(VALU_DEP_2) | instskip(SKIP_2) | instid1(VALU_DEP_3)
	v_fmaak_f32 v20, s8, v19, 0x3ecc95a3
	v_mul_f32_e32 v22, v17, v19
	v_sub_f32_e32 v17, v17, v18
	v_fmaak_f32 v19, v19, v20, 0x3f2aaada
	v_max_f32_e64 v20, |v8|, |v8|
	s_delay_alu instid0(VALU_DEP_2) | instskip(NEXT) | instid1(VALU_DEP_2)
	v_dual_sub_f32 v16, v16, v17 :: v_dual_mul_f32 v19, v22, v19
	v_max_f32_e32 v22, v20, v21
	v_min_f32_e32 v20, v20, v21
	s_delay_alu instid0(VALU_DEP_3) | instskip(NEXT) | instid1(VALU_DEP_4)
	v_ldexp_f32 v16, v16, 1
	v_add_f32_e32 v18, v23, v19
	s_delay_alu instid0(VALU_DEP_4) | instskip(SKIP_1) | instid1(VALU_DEP_3)
	v_frexp_mant_f32_e32 v21, v22
	v_frexp_exp_i32_f32_e32 v22, v22
	v_sub_f32_e32 v17, v18, v23
	s_delay_alu instid0(VALU_DEP_3) | instskip(SKIP_1) | instid1(VALU_DEP_2)
	v_rcp_f32_e32 v21, v21
	v_frexp_exp_i32_f32_e32 v23, v20
	v_sub_f32_e32 v17, v19, v17
	v_frexp_mant_f32_e32 v19, v20
	s_delay_alu instid0(VALU_DEP_3) | instskip(NEXT) | instid1(VALU_DEP_3)
	v_sub_nc_u32_e32 v20, v23, v22
	v_add_f32_e32 v15, v16, v17
	s_waitcnt_depctr 0xfff
	v_mul_f32_e32 v16, v19, v21
	v_add_f32_e32 v17, v24, v25
	v_add_f32_e32 v19, v18, v15
	s_delay_alu instid0(VALU_DEP_3) | instskip(NEXT) | instid1(VALU_DEP_3)
	v_ldexp_f32 v16, v16, v20
	v_sub_f32_e32 v24, v17, v24
	s_delay_alu instid0(VALU_DEP_2) | instskip(SKIP_1) | instid1(VALU_DEP_3)
	v_dual_add_f32 v20, v17, v19 :: v_dual_mul_f32 v21, v16, v16
	v_sub_f32_e32 v18, v19, v18
	v_sub_f32_e32 v24, v25, v24
	s_delay_alu instid0(VALU_DEP_3) | instskip(NEXT) | instid1(VALU_DEP_4)
	v_sub_f32_e32 v22, v20, v17
	v_fmaak_f32 v23, s10, v21, 0xbc7a590c
	s_delay_alu instid0(VALU_DEP_4) | instskip(NEXT) | instid1(VALU_DEP_2)
	v_sub_f32_e32 v15, v15, v18
	v_dual_sub_f32 v26, v20, v22 :: v_dual_fmaak_f32 v23, v21, v23, 0x3d29fb3f
	v_sub_f32_e32 v18, v19, v22
	s_delay_alu instid0(VALU_DEP_2) | instskip(NEXT) | instid1(VALU_DEP_3)
	v_dual_add_f32 v22, v24, v15 :: v_dual_sub_f32 v17, v17, v26
	v_fmaak_f32 v19, v21, v23, 0xbd97d4d7
	s_delay_alu instid0(VALU_DEP_1) | instskip(NEXT) | instid1(VALU_DEP_3)
	v_dual_add_f32 v17, v18, v17 :: v_dual_fmaak_f32 v18, v21, v19, 0x3dd931b2
	v_sub_f32_e32 v19, v22, v24
	s_delay_alu instid0(VALU_DEP_2) | instskip(NEXT) | instid1(VALU_DEP_2)
	v_dual_add_f32 v17, v22, v17 :: v_dual_fmaak_f32 v18, v21, v18, 0xbe1160e6
	v_sub_f32_e32 v22, v22, v19
	v_sub_f32_e32 v15, v15, v19
	s_delay_alu instid0(VALU_DEP_3) | instskip(NEXT) | instid1(VALU_DEP_1)
	v_dual_add_f32 v23, v20, v17 :: v_dual_fmaak_f32 v18, v21, v18, 0x3e4cb8bf
	v_dual_sub_f32 v19, v24, v22 :: v_dual_sub_f32 v20, v23, v20
	s_delay_alu instid0(VALU_DEP_1) | instskip(NEXT) | instid1(VALU_DEP_2)
	v_dual_fmaak_f32 v18, v21, v18, 0xbeaaaa62 :: v_dual_add_f32 v15, v15, v19
	v_sub_f32_e32 v17, v17, v20
	s_delay_alu instid0(VALU_DEP_1) | instskip(NEXT) | instid1(VALU_DEP_1)
	v_dual_mul_f32 v18, v21, v18 :: v_dual_add_f32 v15, v15, v17
	v_dual_fmac_f32 v16, v16, v18 :: v_dual_add_f32 v15, v23, v15
	s_delay_alu instid0(VALU_DEP_1) | instskip(NEXT) | instid1(VALU_DEP_2)
	v_sub_f32_e32 v17, 0x3fc90fdb, v16
	v_cndmask_b32_e32 v15, v15, v6, vcc_lo
	v_cmp_gt_i32_e32 vcc_lo, 0, v8
	s_delay_alu instid0(VALU_DEP_3) | instskip(SKIP_2) | instid1(VALU_DEP_3)
	v_cndmask_b32_e64 v16, v16, v17, s0
	v_cndmask_b32_e64 v17, 0, 0x40490fdb, vcc_lo
	v_cmp_ngt_f32_e32 vcc_lo, -1.0, v6
	v_sub_f32_e32 v18, 0x40490fdb, v16
	v_cndmask_b32_e32 v15, 0x7fc00000, v15, vcc_lo
	v_cmp_gt_f32_e32 vcc_lo, 0, v8
	s_delay_alu instid0(VALU_DEP_2) | instskip(NEXT) | instid1(VALU_DEP_4)
	v_cndmask_b32_e64 v15, 0xff800000, v15, s1
	v_cndmask_b32_e32 v16, v16, v18, vcc_lo
	v_cndmask_b32_e32 v18, 0x3f490fdb, v12, vcc_lo
	v_cmp_gt_f32_e64 vcc_lo, 0x33800000, |v6|
	v_cmp_class_f32_e64 s1, v9, 0x204
	v_cndmask_b32_e32 v6, v15, v6, vcc_lo
	v_cmp_eq_f32_e32 vcc_lo, 0, v9
	s_delay_alu instid0(VALU_DEP_2) | instskip(NEXT) | instid1(VALU_DEP_4)
	v_dual_mul_f32 v6, 0.5, v6 :: v_dual_cndmask_b32 v15, v16, v17
	s_and_b32 vcc_lo, s2, s1
	s_delay_alu instid0(VALU_DEP_1)
	v_cndmask_b32_e32 v15, v15, v18, vcc_lo
.LBB187_209:                            ;   in Loop: Header=BB187_162 Depth=1
	s_or_b32 exec_lo, exec_lo, s19
.LBB187_210:                            ;   in Loop: Header=BB187_162 Depth=1
	s_delay_alu instid0(SALU_CYCLE_1)
	s_or_b32 exec_lo, exec_lo, s18
.LBB187_211:                            ;   in Loop: Header=BB187_162 Depth=1
	s_and_not1_saveexec_b32 s2, s17
	s_cbranch_execz .LBB187_213
; %bb.212:                              ;   in Loop: Header=BB187_162 Depth=1
	v_max_f32_e64 v6, |v9|, |v9|
	v_max_f32_e64 v17, |v8|, |v8|
	v_cmp_gt_i32_e64 s1, 0, v8
	v_cmp_class_f32_e64 s3, v8, 0x204
	v_cmp_class_f32_e64 s4, v9, 0x204
	s_delay_alu instid0(VALU_DEP_4) | instskip(SKIP_1) | instid1(VALU_DEP_2)
	v_max_f32_e32 v18, v17, v6
	v_min_f32_e32 v6, v17, v6
	v_cvt_f64_f32_e32 v[15:16], v18
	v_frexp_exp_i32_f32_e32 v17, v18
	s_delay_alu instid0(VALU_DEP_3) | instskip(SKIP_1) | instid1(VALU_DEP_2)
	v_frexp_exp_i32_f32_e32 v19, v6
	v_frexp_mant_f32_e32 v6, v6
	v_sub_nc_u32_e32 v17, v19, v17
	v_frexp_exp_i32_f64_e32 v15, v[15:16]
	v_frexp_mant_f32_e32 v16, v18
	s_delay_alu instid0(VALU_DEP_1) | instskip(SKIP_2) | instid1(VALU_DEP_1)
	v_rcp_f32_e32 v16, v16
	s_waitcnt_depctr 0xfff
	v_mul_f32_e32 v6, v6, v16
	v_ldexp_f32 v6, v6, v17
	s_delay_alu instid0(VALU_DEP_1) | instskip(SKIP_1) | instid1(VALU_DEP_1)
	v_mul_f32_e32 v19, v6, v6
	v_sub_nc_u32_e32 v20, 0, v15
	v_ldexp_f32 v16, |v9|, v20
	v_ldexp_f32 v17, |v8|, v20
	s_delay_alu instid0(VALU_DEP_2) | instskip(NEXT) | instid1(VALU_DEP_1)
	v_mul_f32_e32 v16, v16, v16
	v_dual_fmac_f32 v16, v17, v17 :: v_dual_fmaak_f32 v17, s10, v19, 0xbc7a590c
	v_cmp_neq_f32_e32 vcc_lo, 0x7f800000, v18
	s_delay_alu instid0(VALU_DEP_2) | instskip(NEXT) | instid1(VALU_DEP_2)
	v_sqrt_f32_e32 v16, v16
	v_fmaak_f32 v17, v19, v17, 0x3d29fb3f
	s_delay_alu instid0(VALU_DEP_1) | instskip(SKIP_3) | instid1(VALU_DEP_2)
	v_fmaak_f32 v17, v19, v17, 0xbd97d4d7
	s_waitcnt_depctr 0xfff
	v_ldexp_f32 v15, v16, v15
	v_fmaak_f32 v16, v19, v17, 0x3dd931b2
	v_cndmask_b32_e32 v15, 0x7f800000, v15, vcc_lo
	s_delay_alu instid0(VALU_DEP_2) | instskip(NEXT) | instid1(VALU_DEP_2)
	v_fmaak_f32 v16, v19, v16, 0xbe1160e6
	v_cmp_gt_f32_e32 vcc_lo, 0x800000, v15
	s_delay_alu instid0(VALU_DEP_2) | instskip(SKIP_1) | instid1(VALU_DEP_2)
	v_fmaak_f32 v16, v19, v16, 0x3e4cb8bf
	v_cndmask_b32_e64 v17, 1.0, 0x4f800000, vcc_lo
	v_fmaak_f32 v16, v19, v16, 0xbeaaaa62
	s_delay_alu instid0(VALU_DEP_1) | instskip(NEXT) | instid1(VALU_DEP_1)
	v_mul_f32_e32 v16, v19, v16
	v_dual_mul_f32 v15, v15, v17 :: v_dual_fmac_f32 v6, v6, v16
	s_delay_alu instid0(VALU_DEP_1) | instskip(NEXT) | instid1(VALU_DEP_1)
	v_log_f32_e32 v15, v15
	v_sub_f32_e32 v17, 0x3fc90fdb, v6
	s_delay_alu instid0(VALU_DEP_1)
	v_cndmask_b32_e64 v6, v6, v17, s0
	s_waitcnt_depctr 0xfff
	v_mul_f32_e32 v16, 0x3f317217, v15
	v_cndmask_b32_e64 v17, 0, 0x40490fdb, s1
	v_cmp_gt_f32_e64 s1, 0, v8
	v_sub_f32_e32 v19, 0x40490fdb, v6
	s_delay_alu instid0(VALU_DEP_4) | instskip(NEXT) | instid1(VALU_DEP_2)
	v_fma_f32 v18, 0x3f317217, v15, -v16
	v_cndmask_b32_e64 v6, v6, v19, s1
	v_cndmask_b32_e64 v19, 0, 0x41b17218, vcc_lo
	v_cmp_gt_f32_e64 vcc_lo, 0x7f800000, |v15|
	s_delay_alu instid0(VALU_DEP_4) | instskip(NEXT) | instid1(VALU_DEP_1)
	v_fmac_f32_e32 v18, 0x3377d1cf, v15
	v_add_f32_e32 v16, v16, v18
	v_cndmask_b32_e64 v18, 0x3f490fdb, v12, s1
	s_delay_alu instid0(VALU_DEP_2) | instskip(SKIP_3) | instid1(VALU_DEP_1)
	v_cndmask_b32_e32 v15, v15, v16, vcc_lo
	v_cmp_eq_f32_e32 vcc_lo, 0, v9
	v_cndmask_b32_e32 v16, v6, v17, vcc_lo
	s_and_b32 vcc_lo, s3, s4
	v_dual_sub_f32 v6, v15, v19 :: v_dual_cndmask_b32 v15, v16, v18
.LBB187_213:                            ;   in Loop: Header=BB187_162 Depth=1
	s_or_b32 exec_lo, exec_lo, s2
                                        ; implicit-def: $vgpr16
.LBB187_214:                            ;   in Loop: Header=BB187_162 Depth=1
	s_and_not1_saveexec_b32 s2, s16
	s_cbranch_execz .LBB187_220
; %bb.215:                              ;   in Loop: Header=BB187_162 Depth=1
                                        ; implicit-def: $vgpr6
                                        ; implicit-def: $vgpr15
	s_mov_b32 s1, exec_lo
	v_cmpx_ngt_f32_e32 0x1fec1e4a, v16
	s_xor_b32 s3, exec_lo, s1
	s_cbranch_execz .LBB187_217
; %bb.216:                              ;   in Loop: Header=BB187_162 Depth=1
	v_mul_f32_e32 v6, v16, v16
	v_cmp_gt_f32_e64 s1, 0, v8
	v_cmp_class_f32_e64 s4, v8, 0x204
	v_cmp_class_f32_e64 s6, v9, 0x204
	s_delay_alu instid0(VALU_DEP_4) | instskip(NEXT) | instid1(VALU_DEP_1)
	v_add_f32_e32 v17, 1.0, v6
	v_cvt_f64_f32_e32 v[15:16], v17
	s_delay_alu instid0(VALU_DEP_1) | instskip(SKIP_1) | instid1(VALU_DEP_1)
	v_frexp_exp_i32_f64_e32 v15, v[15:16]
	v_frexp_mant_f32_e32 v16, v17
	v_cmp_gt_f32_e32 vcc_lo, 0x3f2aaaab, v16
	v_add_f32_e32 v16, -1.0, v17
	s_delay_alu instid0(VALU_DEP_1) | instskip(NEXT) | instid1(VALU_DEP_1)
	v_sub_f32_e32 v19, v16, v17
	v_dual_add_f32 v19, 1.0, v19 :: v_dual_sub_f32 v16, v6, v16
	v_cmp_gt_f32_e64 s5, 0x33800000, |v6|
	s_delay_alu instid0(VALU_DEP_2) | instskip(SKIP_2) | instid1(VALU_DEP_2)
	v_add_f32_e32 v16, v16, v19
	v_subrev_co_ci_u32_e32 v15, vcc_lo, 0, v15, vcc_lo
	v_cmp_gt_i32_e32 vcc_lo, 0, v8
	v_sub_nc_u32_e32 v18, 0, v15
	v_cvt_f32_i32_e32 v15, v15
	s_delay_alu instid0(VALU_DEP_2) | instskip(SKIP_1) | instid1(VALU_DEP_2)
	v_ldexp_f32 v17, v17, v18
	v_ldexp_f32 v16, v16, v18
	v_add_f32_e32 v20, 1.0, v17
	s_delay_alu instid0(VALU_DEP_1) | instskip(NEXT) | instid1(VALU_DEP_1)
	v_add_f32_e32 v19, -1.0, v20
	v_dual_sub_f32 v19, v17, v19 :: v_dual_add_f32 v18, -1.0, v17
	s_delay_alu instid0(VALU_DEP_1) | instskip(NEXT) | instid1(VALU_DEP_2)
	v_add_f32_e32 v19, v16, v19
	v_add_f32_e32 v21, 1.0, v18
	s_delay_alu instid0(VALU_DEP_1) | instskip(NEXT) | instid1(VALU_DEP_1)
	v_sub_f32_e32 v17, v17, v21
	v_add_f32_e32 v16, v16, v17
	s_delay_alu instid0(VALU_DEP_1) | instskip(NEXT) | instid1(VALU_DEP_1)
	v_dual_add_f32 v22, v18, v16 :: v_dual_add_f32 v21, v20, v19
	v_rcp_f32_e32 v17, v21
	v_sub_f32_e32 v20, v20, v21
	s_delay_alu instid0(VALU_DEP_1) | instskip(SKIP_2) | instid1(VALU_DEP_1)
	v_dual_add_f32 v19, v19, v20 :: v_dual_sub_f32 v18, v18, v22
	s_waitcnt_depctr 0xfff
	v_dual_mul_f32 v23, v22, v17 :: v_dual_add_f32 v16, v16, v18
	v_mul_f32_e32 v24, v21, v23
	s_delay_alu instid0(VALU_DEP_1) | instskip(NEXT) | instid1(VALU_DEP_1)
	v_fma_f32 v20, v23, v21, -v24
	v_fmac_f32_e32 v20, v23, v19
	s_delay_alu instid0(VALU_DEP_1) | instskip(NEXT) | instid1(VALU_DEP_1)
	v_add_f32_e32 v25, v24, v20
	v_sub_f32_e32 v26, v22, v25
	s_delay_alu instid0(VALU_DEP_1) | instskip(SKIP_1) | instid1(VALU_DEP_2)
	v_sub_f32_e32 v22, v22, v26
	v_sub_f32_e32 v18, v25, v24
	v_sub_f32_e32 v22, v22, v25
	s_delay_alu instid0(VALU_DEP_2) | instskip(NEXT) | instid1(VALU_DEP_2)
	v_sub_f32_e32 v18, v18, v20
	v_add_f32_e32 v16, v16, v22
	s_delay_alu instid0(VALU_DEP_1) | instskip(NEXT) | instid1(VALU_DEP_1)
	v_add_f32_e32 v16, v18, v16
	v_add_f32_e32 v18, v26, v16
	s_delay_alu instid0(VALU_DEP_1) | instskip(NEXT) | instid1(VALU_DEP_1)
	v_mul_f32_e32 v20, v17, v18
	v_dual_sub_f32 v25, v26, v18 :: v_dual_mul_f32 v22, v21, v20
	s_delay_alu instid0(VALU_DEP_1) | instskip(NEXT) | instid1(VALU_DEP_2)
	v_add_f32_e32 v16, v16, v25
	v_fma_f32 v21, v20, v21, -v22
	s_delay_alu instid0(VALU_DEP_1) | instskip(NEXT) | instid1(VALU_DEP_1)
	v_fmac_f32_e32 v21, v20, v19
	v_add_f32_e32 v19, v22, v21
	s_delay_alu instid0(VALU_DEP_1) | instskip(SKIP_1) | instid1(VALU_DEP_2)
	v_sub_f32_e32 v24, v18, v19
	v_sub_f32_e32 v22, v19, v22
	;; [unrolled: 1-line block ×3, first 2 shown]
	s_delay_alu instid0(VALU_DEP_1) | instskip(NEXT) | instid1(VALU_DEP_1)
	v_sub_f32_e32 v18, v18, v19
	v_dual_sub_f32 v19, v22, v21 :: v_dual_add_f32 v16, v16, v18
	v_add_f32_e32 v18, v23, v20
	s_delay_alu instid0(VALU_DEP_1) | instskip(NEXT) | instid1(VALU_DEP_1)
	v_dual_add_f32 v16, v19, v16 :: v_dual_sub_f32 v19, v18, v23
	v_add_f32_e32 v16, v24, v16
	s_delay_alu instid0(VALU_DEP_2) | instskip(SKIP_1) | instid1(VALU_DEP_3)
	v_sub_f32_e32 v19, v20, v19
	v_max_f32_e64 v20, |v8|, |v8|
	v_mul_f32_e32 v16, v17, v16
	v_max_f32_e64 v17, |v9|, |v9|
	s_delay_alu instid0(VALU_DEP_2) | instskip(NEXT) | instid1(VALU_DEP_2)
	v_add_f32_e32 v16, v19, v16
	v_max_f32_e32 v22, v20, v17
	v_min_f32_e32 v17, v20, v17
	s_delay_alu instid0(VALU_DEP_3) | instskip(NEXT) | instid1(VALU_DEP_3)
	v_add_f32_e32 v19, v18, v16
	v_frexp_mant_f32_e32 v24, v22
	v_frexp_exp_i32_f32_e32 v20, v22
	s_delay_alu instid0(VALU_DEP_3) | instskip(SKIP_1) | instid1(VALU_DEP_2)
	v_mul_f32_e32 v21, v19, v19
	v_ldexp_f32 v25, v19, 1
	v_dual_sub_f32 v18, v19, v18 :: v_dual_fmaak_f32 v23, s8, v21, 0x3ecc95a3
	v_mul_f32_e32 v22, v19, v21
	s_delay_alu instid0(VALU_DEP_2) | instskip(SKIP_3) | instid1(VALU_DEP_3)
	v_dual_sub_f32 v16, v16, v18 :: v_dual_fmaak_f32 v21, v21, v23, 0x3f2aaada
	v_rcp_f32_e32 v23, v24
	v_frexp_exp_i32_f32_e32 v24, v17
	v_frexp_mant_f32_e32 v17, v17
	v_ldexp_f32 v16, v16, 1
	v_dual_mul_f32 v21, v22, v21 :: v_dual_mul_f32 v22, 0x3f317218, v15
	s_delay_alu instid0(VALU_DEP_4) | instskip(NEXT) | instid1(VALU_DEP_2)
	v_sub_nc_u32_e32 v20, v24, v20
	v_add_f32_e32 v19, v25, v21
	s_delay_alu instid0(TRANS32_DEP_1) | instid1(VALU_DEP_1)
	v_dual_mul_f32 v17, v17, v23 :: v_dual_sub_f32 v18, v19, v25
	s_delay_alu instid0(VALU_DEP_1) | instskip(SKIP_1) | instid1(VALU_DEP_3)
	v_ldexp_f32 v17, v17, v20
	v_fma_f32 v20, 0x3f317218, v15, -v22
	v_sub_f32_e32 v18, v21, v18
	s_delay_alu instid0(VALU_DEP_2) | instskip(NEXT) | instid1(VALU_DEP_1)
	v_dual_mul_f32 v21, v17, v17 :: v_dual_fmac_f32 v20, 0xb102e308, v15
	v_dual_add_f32 v15, v16, v18 :: v_dual_fmaak_f32 v16, s10, v21, 0xbc7a590c
	s_delay_alu instid0(VALU_DEP_1) | instskip(NEXT) | instid1(VALU_DEP_2)
	v_dual_add_f32 v18, v22, v20 :: v_dual_add_f32 v23, v19, v15
	v_fmaak_f32 v16, v21, v16, 0x3d29fb3f
	s_delay_alu instid0(VALU_DEP_2) | instskip(NEXT) | instid1(VALU_DEP_3)
	v_sub_f32_e32 v22, v18, v22
	v_add_f32_e32 v24, v18, v23
	s_delay_alu instid0(VALU_DEP_3) | instskip(NEXT) | instid1(VALU_DEP_3)
	v_dual_fmaak_f32 v16, v21, v16, 0xbd97d4d7 :: v_dual_sub_f32 v19, v23, v19
	v_sub_f32_e32 v20, v20, v22
	s_delay_alu instid0(VALU_DEP_2) | instskip(NEXT) | instid1(VALU_DEP_1)
	v_dual_sub_f32 v25, v24, v18 :: v_dual_fmaak_f32 v16, v21, v16, 0x3dd931b2
	v_dual_sub_f32 v15, v15, v19 :: v_dual_sub_f32 v26, v24, v25
	s_delay_alu instid0(VALU_DEP_2) | instskip(NEXT) | instid1(VALU_DEP_2)
	v_dual_fmaak_f32 v16, v21, v16, 0xbe1160e6 :: v_dual_sub_f32 v19, v23, v25
	v_add_f32_e32 v22, v20, v15
	s_delay_alu instid0(VALU_DEP_3) | instskip(NEXT) | instid1(VALU_DEP_3)
	v_sub_f32_e32 v18, v18, v26
	v_fmaak_f32 v16, v21, v16, 0x3e4cb8bf
	s_delay_alu instid0(VALU_DEP_2) | instskip(NEXT) | instid1(VALU_DEP_2)
	v_add_f32_e32 v18, v19, v18
	v_fmaak_f32 v16, v21, v16, 0xbeaaaa62
	v_sub_f32_e32 v19, v22, v20
	s_delay_alu instid0(VALU_DEP_3) | instskip(NEXT) | instid1(VALU_DEP_2)
	v_add_f32_e32 v18, v22, v18
	v_dual_mul_f32 v16, v21, v16 :: v_dual_sub_f32 v21, v22, v19
	s_delay_alu instid0(VALU_DEP_2) | instskip(NEXT) | instid1(VALU_DEP_2)
	v_dual_sub_f32 v15, v15, v19 :: v_dual_add_f32 v22, v24, v18
	v_dual_fmac_f32 v17, v17, v16 :: v_dual_sub_f32 v16, v20, v21
	s_delay_alu instid0(VALU_DEP_1) | instskip(NEXT) | instid1(VALU_DEP_1)
	v_dual_sub_f32 v19, v22, v24 :: v_dual_sub_f32 v20, 0x3fc90fdb, v17
	v_dual_add_f32 v15, v15, v16 :: v_dual_sub_f32 v16, v18, v19
	s_delay_alu instid0(VALU_DEP_2) | instskip(SKIP_2) | instid1(VALU_DEP_3)
	v_cndmask_b32_e64 v17, v17, v20, s0
	v_cndmask_b32_e64 v18, 0, 0x40490fdb, vcc_lo
	v_cmp_eq_f32_e32 vcc_lo, 0x7f800000, v6
	v_dual_add_f32 v15, v15, v16 :: v_dual_sub_f32 v16, 0x40490fdb, v17
	s_or_b32 vcc_lo, vcc_lo, s5
	s_delay_alu instid0(VALU_DEP_1) | instskip(NEXT) | instid1(VALU_DEP_2)
	v_add_f32_e32 v15, v22, v15
	v_cndmask_b32_e64 v16, v17, v16, s1
	v_cndmask_b32_e64 v17, 0x3f490fdb, v12, s1
	s_delay_alu instid0(VALU_DEP_3) | instskip(SKIP_1) | instid1(VALU_DEP_2)
	v_cndmask_b32_e32 v6, v15, v6, vcc_lo
	v_cmp_eq_f32_e32 vcc_lo, 0, v9
	v_mul_f32_e32 v6, 0.5, v6
	v_cndmask_b32_e32 v15, v16, v18, vcc_lo
	s_and_b32 vcc_lo, s4, s6
                                        ; implicit-def: $vgpr16
	s_delay_alu instid0(VALU_DEP_1)
	v_cndmask_b32_e32 v15, v15, v17, vcc_lo
.LBB187_217:                            ;   in Loop: Header=BB187_162 Depth=1
	s_and_not1_saveexec_b32 s3, s3
	s_cbranch_execz .LBB187_219
; %bb.218:                              ;   in Loop: Header=BB187_162 Depth=1
	v_max_f32_e64 v6, |v9|, |v9|
	v_max_f32_e64 v15, |v8|, |v8|
	v_cmp_gt_i32_e32 vcc_lo, 0, v8
	v_cmp_eq_f32_e64 s1, 0, v9
	v_cmp_class_f32_e64 s4, v8, 0x204
	v_cmp_class_f32_e64 s5, v9, 0x204
	v_max_f32_e32 v17, v15, v6
	v_min_f32_e32 v6, v15, v6
	s_delay_alu instid0(VALU_DEP_2) | instskip(NEXT) | instid1(VALU_DEP_1)
	v_frexp_mant_f32_e32 v18, v17
	v_rcp_f32_e32 v15, v18
	s_delay_alu instid0(VALU_DEP_2) | instskip(SKIP_4) | instid1(VALU_DEP_1)
	v_frexp_exp_i32_f32_e32 v18, v6
	v_frexp_mant_f32_e32 v6, v6
	s_waitcnt_depctr 0xfff
	v_mul_f32_e32 v6, v6, v15
	v_frexp_exp_i32_f32_e32 v17, v17
	v_sub_nc_u32_e32 v17, v18, v17
	s_delay_alu instid0(VALU_DEP_1) | instskip(NEXT) | instid1(VALU_DEP_1)
	v_ldexp_f32 v6, v6, v17
	v_mul_f32_e32 v15, v6, v6
	s_delay_alu instid0(VALU_DEP_1) | instskip(NEXT) | instid1(VALU_DEP_1)
	v_fmaak_f32 v17, s10, v15, 0xbc7a590c
	v_fmaak_f32 v17, v15, v17, 0x3d29fb3f
	s_delay_alu instid0(VALU_DEP_1) | instskip(NEXT) | instid1(VALU_DEP_1)
	v_fmaak_f32 v17, v15, v17, 0xbd97d4d7
	v_fmaak_f32 v17, v15, v17, 0x3dd931b2
	;; [unrolled: 3-line block ×3, first 2 shown]
	s_delay_alu instid0(VALU_DEP_1) | instskip(NEXT) | instid1(VALU_DEP_1)
	v_fmaak_f32 v17, v15, v17, 0xbeaaaa62
	v_mul_f32_e32 v15, v15, v17
	v_cndmask_b32_e64 v17, 0, 0x40490fdb, vcc_lo
	v_cmp_gt_f32_e32 vcc_lo, 0, v8
	s_delay_alu instid0(VALU_DEP_3) | instskip(SKIP_1) | instid1(VALU_DEP_2)
	v_fmac_f32_e32 v6, v6, v15
	v_cndmask_b32_e32 v18, 0x3f490fdb, v12, vcc_lo
	v_sub_f32_e32 v15, 0x3fc90fdb, v6
	s_delay_alu instid0(VALU_DEP_1) | instskip(NEXT) | instid1(VALU_DEP_1)
	v_cndmask_b32_e64 v6, v6, v15, s0
	v_sub_f32_e32 v15, 0x40490fdb, v6
	s_delay_alu instid0(VALU_DEP_1) | instskip(SKIP_1) | instid1(VALU_DEP_1)
	v_dual_cndmask_b32 v6, v6, v15 :: v_dual_mul_f32 v15, 0.5, v16
	s_and_b32 vcc_lo, s4, s5
	v_cndmask_b32_e64 v17, v6, v17, s1
	s_delay_alu instid0(VALU_DEP_1)
	v_dual_mul_f32 v6, v16, v15 :: v_dual_cndmask_b32 v15, v17, v18
.LBB187_219:                            ;   in Loop: Header=BB187_162 Depth=1
	s_or_b32 exec_lo, exec_lo, s3
.LBB187_220:                            ;   in Loop: Header=BB187_162 Depth=1
	s_delay_alu instid0(SALU_CYCLE_1)
	s_or_b32 exec_lo, exec_lo, s2
.LBB187_221:                            ;   in Loop: Header=BB187_162 Depth=1
	s_and_not1_saveexec_b32 s2, s12
	s_cbranch_execz .LBB187_223
; %bb.222:                              ;   in Loop: Header=BB187_162 Depth=1
	v_div_scale_f32 v6, null, 0x402df854, 0x402df854, v8
	v_div_scale_f32 v15, null, 0x402df854, 0x402df854, v9
	v_div_scale_f32 v20, vcc_lo, v8, 0x402df854, v8
	s_delay_alu instid0(VALU_DEP_3) | instskip(NEXT) | instid1(VALU_DEP_2)
	v_rcp_f32_e32 v16, v6
	v_rcp_f32_e32 v17, v15
	v_cmp_class_f32_e64 s3, v9, 0x204
	s_waitcnt_depctr 0xfff
	v_fma_f32 v18, -v6, v16, 1.0
	v_fma_f32 v19, -v15, v17, 1.0
	s_delay_alu instid0(VALU_DEP_1) | instskip(SKIP_1) | instid1(VALU_DEP_2)
	v_dual_fmac_f32 v16, v18, v16 :: v_dual_fmac_f32 v17, v19, v17
	v_div_scale_f32 v18, s1, v9, 0x402df854, v9
	v_mul_f32_e32 v19, v20, v16
	s_delay_alu instid0(VALU_DEP_1) | instskip(NEXT) | instid1(VALU_DEP_1)
	v_fma_f32 v22, -v6, v19, v20
	v_fmac_f32_e32 v19, v22, v16
	s_delay_alu instid0(VALU_DEP_1) | instskip(NEXT) | instid1(VALU_DEP_1)
	v_fma_f32 v6, -v6, v19, v20
	v_div_fmas_f32 v6, v6, v16, v19
	v_max_f32_e64 v19, |v8|, |v8|
	v_mul_f32_e32 v21, v18, v17
	s_mov_b32 vcc_lo, s1
	v_cmp_class_f32_e64 s1, v8, 0x204
	v_div_fixup_f32 v6, v6, 0x402df854, v8
	s_delay_alu instid0(VALU_DEP_3) | instskip(NEXT) | instid1(VALU_DEP_1)
	v_fma_f32 v23, -v15, v21, v18
	v_fmac_f32_e32 v21, v23, v17
	s_delay_alu instid0(VALU_DEP_1) | instskip(NEXT) | instid1(VALU_DEP_1)
	v_fma_f32 v15, -v15, v21, v18
	v_div_fmas_f32 v15, v15, v17, v21
	s_delay_alu instid0(VALU_DEP_1) | instskip(NEXT) | instid1(VALU_DEP_1)
	v_div_fixup_f32 v17, v15, 0x402df854, v9
	v_max_f32_e64 v18, |v6|, |v17|
	s_delay_alu instid0(VALU_DEP_1) | instskip(SKIP_1) | instid1(VALU_DEP_2)
	v_cvt_f64_f32_e32 v[15:16], v18
	v_cmp_neq_f32_e32 vcc_lo, 0x7f800000, v18
	v_frexp_exp_i32_f64_e32 v15, v[15:16]
	v_max_f32_e64 v16, |v9|, |v9|
	s_delay_alu instid0(VALU_DEP_1) | instskip(SKIP_1) | instid1(VALU_DEP_2)
	v_max_f32_e32 v20, v19, v16
	v_min_f32_e32 v16, v19, v16
	v_frexp_mant_f32_e32 v21, v20
	v_frexp_exp_i32_f32_e32 v20, v20
	s_delay_alu instid0(VALU_DEP_2) | instskip(SKIP_1) | instid1(VALU_DEP_1)
	v_rcp_f32_e32 v19, v21
	v_sub_nc_u32_e32 v21, 0, v15
	v_ldexp_f32 v17, |v17|, v21
	v_ldexp_f32 v6, |v6|, v21
	s_delay_alu instid0(VALU_DEP_2) | instskip(SKIP_2) | instid1(VALU_DEP_2)
	v_mul_f32_e32 v17, v17, v17
	v_frexp_exp_i32_f32_e32 v22, v16
	v_frexp_mant_f32_e32 v16, v16
	v_sub_nc_u32_e32 v20, v22, v20
	s_delay_alu instid0(TRANS32_DEP_1) | instid1(VALU_DEP_2)
	v_mul_f32_e32 v16, v16, v19
	s_delay_alu instid0(VALU_DEP_1) | instskip(NEXT) | instid1(VALU_DEP_1)
	v_ldexp_f32 v16, v16, v20
	v_dual_fmac_f32 v17, v6, v6 :: v_dual_mul_f32 v6, v16, v16
	s_delay_alu instid0(VALU_DEP_1) | instskip(NEXT) | instid1(VALU_DEP_1)
	v_sqrt_f32_e32 v17, v17
	v_fmaak_f32 v19, s10, v6, 0xbc7a590c
	s_delay_alu instid0(VALU_DEP_1) | instskip(SKIP_2) | instid1(VALU_DEP_1)
	v_fmaak_f32 v19, v6, v19, 0x3d29fb3f
	s_waitcnt_depctr 0xfff
	v_ldexp_f32 v15, v17, v15
	v_cndmask_b32_e32 v15, 0x7f800000, v15, vcc_lo
	s_delay_alu instid0(VALU_DEP_1) | instskip(SKIP_1) | instid1(VALU_DEP_1)
	v_cmp_gt_f32_e32 vcc_lo, 0x800000, v15
	v_cndmask_b32_e64 v18, 1.0, 0x4f800000, vcc_lo
	v_mul_f32_e32 v15, v15, v18
	s_delay_alu instid0(VALU_DEP_1) | instskip(SKIP_2) | instid1(VALU_DEP_2)
	v_log_f32_e32 v15, v15
	v_fmaak_f32 v17, v6, v19, 0xbd97d4d7
	v_cndmask_b32_e64 v19, 0, 0x41b17218, vcc_lo
	v_fmaak_f32 v17, v6, v17, 0x3dd931b2
	s_waitcnt_depctr 0xfff
	v_cmp_gt_f32_e64 vcc_lo, 0x7f800000, |v15|
	v_fmaak_f32 v17, v6, v17, 0xbe1160e6
	s_delay_alu instid0(VALU_DEP_1) | instskip(NEXT) | instid1(VALU_DEP_1)
	v_fmaak_f32 v17, v6, v17, 0x3e4cb8bf
	v_fmaak_f32 v17, v6, v17, 0xbeaaaa62
	s_delay_alu instid0(VALU_DEP_1) | instskip(NEXT) | instid1(VALU_DEP_1)
	v_dual_mul_f32 v6, v6, v17 :: v_dual_mul_f32 v17, 0x3f317217, v15
	v_fmac_f32_e32 v16, v16, v6
	s_delay_alu instid0(VALU_DEP_2) | instskip(NEXT) | instid1(VALU_DEP_2)
	v_fma_f32 v6, 0x3f317217, v15, -v17
	v_sub_f32_e32 v18, 0x3fc90fdb, v16
	s_delay_alu instid0(VALU_DEP_1) | instskip(SKIP_1) | instid1(VALU_DEP_1)
	v_cndmask_b32_e64 v16, v16, v18, s0
	v_cmp_gt_i32_e64 s0, 0, v8
	v_cndmask_b32_e64 v18, 0, 0x40490fdb, s0
	v_fmac_f32_e32 v6, 0x3377d1cf, v15
	v_cmp_gt_f32_e64 s0, 0, v8
	s_delay_alu instid0(VALU_DEP_2) | instskip(NEXT) | instid1(VALU_DEP_1)
	v_add_f32_e32 v6, v17, v6
	v_dual_cndmask_b32 v6, v15, v6 :: v_dual_sub_f32 v17, 0x40490fdb, v16
	v_cmp_eq_f32_e32 vcc_lo, 0, v9
	s_delay_alu instid0(VALU_DEP_2) | instskip(NEXT) | instid1(VALU_DEP_3)
	v_sub_f32_e32 v6, v6, v19
	v_cndmask_b32_e64 v15, v16, v17, s0
	v_cndmask_b32_e64 v16, 0x3f490fdb, v12, s0
	s_delay_alu instid0(VALU_DEP_3) | instskip(NEXT) | instid1(VALU_DEP_3)
	v_add_f32_e32 v6, 1.0, v6
	v_cndmask_b32_e32 v15, v15, v18, vcc_lo
	s_and_b32 vcc_lo, s1, s3
	s_delay_alu instid0(VALU_DEP_1)
	v_cndmask_b32_e32 v15, v15, v16, vcc_lo
.LBB187_223:                            ;   in Loop: Header=BB187_162 Depth=1
	s_or_b32 exec_lo, exec_lo, s2
.LBB187_224:                            ;   in Loop: Header=BB187_162 Depth=1
	s_and_not1_saveexec_b32 s0, s11
	s_cbranch_execz .LBB187_230
; %bb.225:                              ;   in Loop: Header=BB187_162 Depth=1
	v_cmp_ngt_f32_e64 s1, 0x20000000, |v8|
	v_cmp_ngt_f32_e64 s2, 0x20000000, |v9|
                                        ; implicit-def: $vgpr6
	s_delay_alu instid0(VALU_DEP_1) | instskip(NEXT) | instid1(SALU_CYCLE_1)
	s_or_b32 s1, s1, s2
	s_and_saveexec_b32 s2, s1
	s_delay_alu instid0(SALU_CYCLE_1)
	s_xor_b32 s1, exec_lo, s2
; %bb.226:                              ;   in Loop: Header=BB187_162 Depth=1
	v_mul_f32_e32 v6, v9, v9
	s_delay_alu instid0(VALU_DEP_1)
	v_fmac_f32_e32 v6, v8, v8
; %bb.227:                              ;   in Loop: Header=BB187_162 Depth=1
	s_and_not1_saveexec_b32 s1, s1
; %bb.228:                              ;   in Loop: Header=BB187_162 Depth=1
	v_mul_f32_e32 v6, 4.0, v9
	v_mul_f32_e32 v8, 4.0, v8
	s_delay_alu instid0(VALU_DEP_2) | instskip(NEXT) | instid1(VALU_DEP_1)
	v_mul_f32_e32 v6, v6, v6
	v_fmac_f32_e32 v6, v8, v8
	s_delay_alu instid0(VALU_DEP_1)
	v_mul_f32_e32 v6, 0x3d800000, v6
; %bb.229:                              ;   in Loop: Header=BB187_162 Depth=1
	s_or_b32 exec_lo, exec_lo, s1
	s_delay_alu instid0(VALU_DEP_1) | instskip(SKIP_1) | instid1(VALU_DEP_1)
	v_cmp_gt_f32_e32 vcc_lo, 0x800000, v6
	v_cndmask_b32_e64 v8, 1.0, 0x4f800000, vcc_lo
	v_mul_f32_e32 v6, v6, v8
	s_delay_alu instid0(VALU_DEP_1) | instskip(SKIP_2) | instid1(VALU_DEP_1)
	v_log_f32_e32 v6, v6
	s_waitcnt_depctr 0xfff
	v_mul_f32_e32 v8, 0x3f317217, v6
	v_fma_f32 v15, 0x3f317217, v6, -v8
	s_delay_alu instid0(VALU_DEP_1) | instskip(NEXT) | instid1(VALU_DEP_1)
	v_fmac_f32_e32 v15, 0x3377d1cf, v6
	v_add_f32_e32 v8, v8, v15
	v_cndmask_b32_e64 v15, 0, 0x41b17218, vcc_lo
	v_cmp_gt_f32_e64 vcc_lo, 0x7f800000, |v6|
	s_delay_alu instid0(VALU_DEP_3) | instskip(NEXT) | instid1(VALU_DEP_1)
	v_cndmask_b32_e32 v6, v6, v8, vcc_lo
	v_dual_sub_f32 v6, v6, v15 :: v_dual_mov_b32 v15, 0x7fc00000
.LBB187_230:                            ;   in Loop: Header=BB187_162 Depth=1
	s_or_b32 exec_lo, exec_lo, s0
                                        ; implicit-def: $vgpr8
                                        ; implicit-def: $vgpr16
	s_delay_alu instid0(SALU_CYCLE_1)
	s_mov_b32 s0, exec_lo
	s_waitcnt vmcnt(0)
	v_cmpx_o_f32_e32 v3, v2
	s_xor_b32 s11, exec_lo, s0
	s_cbranch_execz .LBB187_258
; %bb.231:                              ;   in Loop: Header=BB187_162 Depth=1
	v_cmp_lt_f32_e64 s0, |v2|, |v3|
                                        ; implicit-def: $vgpr8
                                        ; implicit-def: $vgpr16
	s_mov_b32 s1, exec_lo
	s_delay_alu instid0(VALU_DEP_1) | instskip(NEXT) | instid1(VALU_DEP_1)
	v_cndmask_b32_e64 v17, |v3|, |v2|, s0
	v_cmpx_nlt_f32_e32 0x77f684df, v17
	s_xor_b32 s12, exec_lo, s1
	s_cbranch_execz .LBB187_255
; %bb.232:                              ;   in Loop: Header=BB187_162 Depth=1
	v_and_b32_e32 v8, 0x7fffffff, v3
                                        ; implicit-def: $vgpr16
	s_mov_b32 s1, exec_lo
	s_delay_alu instid0(VALU_DEP_1) | instskip(NEXT) | instid1(VALU_DEP_1)
	v_cndmask_b32_e64 v18, |v2|, v8, s0
                                        ; implicit-def: $vgpr8
	v_cmpx_neq_f32_e32 1.0, v18
	s_xor_b32 s16, exec_lo, s1
	s_cbranch_execz .LBB187_248
; %bb.233:                              ;   in Loop: Header=BB187_162 Depth=1
	v_max_f32_e32 v8, v17, v17
	v_max_f32_e32 v16, v18, v18
	s_delay_alu instid0(VALU_DEP_1) | instskip(SKIP_1) | instid1(VALU_DEP_2)
	v_min_f32_e32 v19, v16, v8
	v_max_f32_e32 v8, v16, v8
                                        ; implicit-def: $vgpr16
	v_cmp_ngt_f32_e32 vcc_lo, 0x358637bd, v19
	s_delay_alu instid0(VALU_DEP_2) | instskip(NEXT) | instid1(VALU_DEP_1)
	v_cmp_nlt_f32_e64 s1, 0x49742400, v8
                                        ; implicit-def: $vgpr8
	s_and_b32 s1, s1, vcc_lo
	s_delay_alu instid0(SALU_CYCLE_1) | instskip(NEXT) | instid1(SALU_CYCLE_1)
	s_and_saveexec_b32 s2, s1
	s_xor_b32 s17, exec_lo, s2
	s_cbranch_execz .LBB187_245
; %bb.234:                              ;   in Loop: Header=BB187_162 Depth=1
                                        ; implicit-def: $vgpr8
                                        ; implicit-def: $vgpr16
	s_mov_b32 s1, exec_lo
	v_cmpx_le_f32_e32 1.0, v18
	s_xor_b32 s2, exec_lo, s1
	s_cbranch_execz .LBB187_236
; %bb.235:                              ;   in Loop: Header=BB187_162 Depth=1
	v_add_f32_e32 v8, -1.0, v18
	v_add_f32_e32 v16, 1.0, v18
	v_cmp_class_f32_e64 s3, v2, 0x204
	s_delay_alu instid0(VALU_DEP_2) | instskip(NEXT) | instid1(VALU_DEP_1)
	v_mul_f32_e32 v8, v8, v16
	v_fmac_f32_e32 v8, v17, v17
	s_delay_alu instid0(VALU_DEP_1) | instskip(NEXT) | instid1(VALU_DEP_1)
	v_add_f32_e32 v18, 1.0, v8
	v_cvt_f64_f32_e32 v[16:17], v18
	s_delay_alu instid0(VALU_DEP_1) | instskip(SKIP_1) | instid1(VALU_DEP_1)
	v_frexp_exp_i32_f64_e32 v16, v[16:17]
	v_frexp_mant_f32_e32 v17, v18
	v_cmp_gt_f32_e32 vcc_lo, 0x3f2aaaab, v17
	v_add_f32_e32 v17, -1.0, v18
	s_delay_alu instid0(VALU_DEP_1) | instskip(SKIP_1) | instid1(VALU_DEP_1)
	v_sub_f32_e32 v20, v17, v18
	v_subrev_co_ci_u32_e32 v16, vcc_lo, 0, v16, vcc_lo
	v_sub_nc_u32_e32 v19, 0, v16
	v_cvt_f32_i32_e32 v16, v16
	s_delay_alu instid0(VALU_DEP_2) | instskip(NEXT) | instid1(VALU_DEP_1)
	v_ldexp_f32 v18, v18, v19
	v_dual_add_f32 v20, 1.0, v20 :: v_dual_add_f32 v21, 1.0, v18
	v_sub_f32_e32 v17, v8, v17
	v_cmp_eq_f32_e32 vcc_lo, 0x7f800000, v8
	v_cmp_neq_f32_e64 s1, -1.0, v8
	s_delay_alu instid0(VALU_DEP_3) | instskip(NEXT) | instid1(VALU_DEP_1)
	v_add_f32_e32 v17, v17, v20
	v_ldexp_f32 v17, v17, v19
	v_dual_add_f32 v19, -1.0, v18 :: v_dual_add_f32 v20, -1.0, v21
	s_delay_alu instid0(VALU_DEP_1) | instskip(NEXT) | instid1(VALU_DEP_2)
	v_add_f32_e32 v22, 1.0, v19
	v_sub_f32_e32 v20, v18, v20
	s_delay_alu instid0(VALU_DEP_2) | instskip(NEXT) | instid1(VALU_DEP_2)
	v_sub_f32_e32 v18, v18, v22
	v_add_f32_e32 v20, v17, v20
	s_delay_alu instid0(VALU_DEP_2) | instskip(NEXT) | instid1(VALU_DEP_1)
	v_add_f32_e32 v17, v17, v18
	v_add_f32_e32 v23, v19, v17
	s_delay_alu instid0(VALU_DEP_1) | instskip(NEXT) | instid1(VALU_DEP_1)
	v_dual_sub_f32 v19, v23, v19 :: v_dual_add_f32 v22, v21, v20
	v_sub_f32_e32 v17, v17, v19
	s_delay_alu instid0(VALU_DEP_2) | instskip(SKIP_1) | instid1(VALU_DEP_1)
	v_rcp_f32_e32 v18, v22
	v_sub_f32_e32 v21, v22, v21
	v_sub_f32_e32 v20, v20, v21
	s_waitcnt_depctr 0xfff
	v_mul_f32_e32 v24, v23, v18
	s_delay_alu instid0(VALU_DEP_1) | instskip(NEXT) | instid1(VALU_DEP_1)
	v_mul_f32_e32 v25, v22, v24
	v_fma_f32 v21, v24, v22, -v25
	s_delay_alu instid0(VALU_DEP_1) | instskip(NEXT) | instid1(VALU_DEP_1)
	v_fmac_f32_e32 v21, v24, v20
	v_add_f32_e32 v26, v25, v21
	s_delay_alu instid0(VALU_DEP_1) | instskip(SKIP_1) | instid1(VALU_DEP_2)
	v_sub_f32_e32 v27, v23, v26
	v_sub_f32_e32 v19, v26, v25
	;; [unrolled: 1-line block ×3, first 2 shown]
	s_delay_alu instid0(VALU_DEP_2) | instskip(NEXT) | instid1(VALU_DEP_2)
	v_sub_f32_e32 v19, v19, v21
	v_sub_f32_e32 v23, v23, v26
	s_delay_alu instid0(VALU_DEP_1) | instskip(NEXT) | instid1(VALU_DEP_1)
	v_add_f32_e32 v17, v17, v23
	v_add_f32_e32 v17, v19, v17
	s_delay_alu instid0(VALU_DEP_1) | instskip(NEXT) | instid1(VALU_DEP_1)
	v_add_f32_e32 v19, v27, v17
	v_mul_f32_e32 v21, v18, v19
	s_delay_alu instid0(VALU_DEP_1) | instskip(NEXT) | instid1(VALU_DEP_1)
	v_dual_sub_f32 v26, v27, v19 :: v_dual_mul_f32 v23, v22, v21
	v_add_f32_e32 v17, v17, v26
	s_delay_alu instid0(VALU_DEP_2) | instskip(NEXT) | instid1(VALU_DEP_1)
	v_fma_f32 v22, v21, v22, -v23
	v_fmac_f32_e32 v22, v21, v20
	s_delay_alu instid0(VALU_DEP_1) | instskip(NEXT) | instid1(VALU_DEP_1)
	v_add_f32_e32 v20, v23, v22
	v_sub_f32_e32 v25, v19, v20
	s_delay_alu instid0(VALU_DEP_1) | instskip(NEXT) | instid1(VALU_DEP_1)
	v_sub_f32_e32 v19, v19, v25
	v_sub_f32_e32 v19, v19, v20
	s_delay_alu instid0(VALU_DEP_1) | instskip(SKIP_2) | instid1(VALU_DEP_1)
	v_add_f32_e32 v17, v17, v19
	v_add_f32_e32 v19, v24, v21
	v_sub_f32_e32 v23, v20, v23
	v_sub_f32_e32 v20, v23, v22
	v_max_f32_e64 v22, |v3|, |v3|
	s_delay_alu instid0(VALU_DEP_2) | instskip(NEXT) | instid1(VALU_DEP_1)
	v_dual_add_f32 v17, v20, v17 :: v_dual_sub_f32 v20, v19, v24
	v_add_f32_e32 v17, v25, v17
	s_delay_alu instid0(VALU_DEP_2) | instskip(SKIP_1) | instid1(VALU_DEP_3)
	v_sub_f32_e32 v20, v21, v20
	v_mul_f32_e32 v25, 0x3f317218, v16
	v_mul_f32_e32 v17, v18, v17
	s_delay_alu instid0(VALU_DEP_2) | instskip(NEXT) | instid1(VALU_DEP_1)
	v_fma_f32 v26, 0x3f317218, v16, -v25
	v_dual_add_f32 v17, v20, v17 :: v_dual_fmac_f32 v26, 0xb102e308, v16
	s_delay_alu instid0(VALU_DEP_1) | instskip(NEXT) | instid1(VALU_DEP_1)
	v_add_f32_e32 v18, v19, v17
	v_mul_f32_e32 v20, v18, v18
	v_ldexp_f32 v24, v18, 1
	s_delay_alu instid0(VALU_DEP_2) | instskip(SKIP_2) | instid1(VALU_DEP_3)
	v_fmaak_f32 v21, s8, v20, 0x3ecc95a3
	v_mul_f32_e32 v23, v18, v20
	v_sub_f32_e32 v18, v18, v19
	v_fmaak_f32 v20, v20, v21, 0x3f2aaada
	v_max_f32_e64 v21, |v2|, |v2|
	s_delay_alu instid0(VALU_DEP_2) | instskip(NEXT) | instid1(VALU_DEP_2)
	v_dual_sub_f32 v17, v17, v18 :: v_dual_mul_f32 v20, v23, v20
	v_max_f32_e32 v23, v21, v22
	s_delay_alu instid0(VALU_DEP_2) | instskip(NEXT) | instid1(VALU_DEP_3)
	v_ldexp_f32 v17, v17, 1
	v_add_f32_e32 v19, v24, v20
	s_delay_alu instid0(VALU_DEP_1) | instskip(NEXT) | instid1(VALU_DEP_1)
	v_sub_f32_e32 v18, v19, v24
	v_sub_f32_e32 v18, v20, v18
	s_delay_alu instid0(VALU_DEP_1) | instskip(SKIP_4) | instid1(VALU_DEP_4)
	v_add_f32_e32 v16, v17, v18
	v_min_f32_e32 v21, v21, v22
	v_frexp_mant_f32_e32 v22, v23
	v_add_f32_e32 v18, v25, v26
	v_frexp_exp_i32_f32_e32 v23, v23
	v_frexp_mant_f32_e32 v20, v21
	s_delay_alu instid0(VALU_DEP_4) | instskip(NEXT) | instid1(VALU_DEP_3)
	v_rcp_f32_e32 v22, v22
	v_sub_f32_e32 v25, v18, v25
	s_delay_alu instid0(VALU_DEP_1) | instskip(SKIP_2) | instid1(VALU_DEP_1)
	v_sub_f32_e32 v25, v26, v25
	s_waitcnt_depctr 0xfff
	v_dual_mul_f32 v17, v20, v22 :: v_dual_add_f32 v20, v19, v16
	v_sub_f32_e32 v19, v20, v19
	s_delay_alu instid0(VALU_DEP_1) | instskip(SKIP_1) | instid1(VALU_DEP_1)
	v_sub_f32_e32 v16, v16, v19
	v_frexp_exp_i32_f32_e32 v24, v21
	v_sub_nc_u32_e32 v21, v24, v23
	s_delay_alu instid0(VALU_DEP_1) | instskip(NEXT) | instid1(VALU_DEP_1)
	v_ldexp_f32 v17, v17, v21
	v_dual_add_f32 v21, v18, v20 :: v_dual_mul_f32 v22, v17, v17
	s_delay_alu instid0(VALU_DEP_1) | instskip(NEXT) | instid1(VALU_DEP_1)
	v_sub_f32_e32 v23, v21, v18
	v_dual_fmaak_f32 v24, s10, v22, 0xbc7a590c :: v_dual_sub_f32 v27, v21, v23
	v_sub_f32_e32 v19, v20, v23
	v_add_f32_e32 v23, v25, v16
	s_delay_alu instid0(VALU_DEP_3) | instskip(NEXT) | instid1(VALU_DEP_4)
	v_fmaak_f32 v24, v22, v24, 0x3d29fb3f
	v_sub_f32_e32 v18, v18, v27
	s_delay_alu instid0(VALU_DEP_2) | instskip(NEXT) | instid1(VALU_DEP_1)
	v_fmaak_f32 v20, v22, v24, 0xbd97d4d7
	v_dual_add_f32 v18, v19, v18 :: v_dual_fmaak_f32 v19, v22, v20, 0x3dd931b2
	v_sub_f32_e32 v20, v23, v25
	s_delay_alu instid0(VALU_DEP_2) | instskip(NEXT) | instid1(VALU_DEP_1)
	v_add_f32_e32 v18, v23, v18
	v_dual_sub_f32 v23, v23, v20 :: v_dual_add_f32 v24, v21, v18
	v_sub_f32_e32 v16, v16, v20
	s_delay_alu instid0(VALU_DEP_2) | instskip(NEXT) | instid1(VALU_DEP_1)
	v_dual_sub_f32 v20, v25, v23 :: v_dual_sub_f32 v21, v24, v21
	v_add_f32_e32 v16, v16, v20
	s_delay_alu instid0(VALU_DEP_2) | instskip(NEXT) | instid1(VALU_DEP_1)
	v_sub_f32_e32 v18, v18, v21
	v_dual_add_f32 v16, v16, v18 :: v_dual_fmaak_f32 v19, v22, v19, 0xbe1160e6
	s_delay_alu instid0(VALU_DEP_1) | instskip(NEXT) | instid1(VALU_DEP_1)
	v_dual_add_f32 v16, v24, v16 :: v_dual_fmaak_f32 v19, v22, v19, 0x3e4cb8bf
	v_dual_cndmask_b32 v16, v16, v8 :: v_dual_fmaak_f32 v19, v22, v19, 0xbeaaaa62
	v_cmp_gt_i32_e32 vcc_lo, 0, v2
	s_delay_alu instid0(VALU_DEP_2) | instskip(NEXT) | instid1(VALU_DEP_1)
	v_mul_f32_e32 v19, v22, v19
	v_fmac_f32_e32 v17, v17, v19
	s_delay_alu instid0(VALU_DEP_1) | instskip(NEXT) | instid1(VALU_DEP_1)
	v_sub_f32_e32 v18, 0x3fc90fdb, v17
	v_cndmask_b32_e64 v17, v17, v18, s0
	v_cndmask_b32_e64 v18, 0, 0x40490fdb, vcc_lo
	v_cmp_ngt_f32_e32 vcc_lo, -1.0, v8
	s_delay_alu instid0(VALU_DEP_3) | instskip(SKIP_2) | instid1(VALU_DEP_2)
	v_sub_f32_e32 v19, 0x40490fdb, v17
	v_cndmask_b32_e32 v16, 0x7fc00000, v16, vcc_lo
	v_cmp_gt_f32_e32 vcc_lo, 0, v2
	v_cndmask_b32_e64 v16, 0xff800000, v16, s1
	s_delay_alu instid0(VALU_DEP_4)
	v_cndmask_b32_e32 v17, v17, v19, vcc_lo
	v_cndmask_b32_e32 v19, 0x3f490fdb, v12, vcc_lo
	v_cmp_gt_f32_e64 vcc_lo, 0x33800000, |v8|
	v_cmp_class_f32_e64 s1, v3, 0x204
	v_cndmask_b32_e32 v8, v16, v8, vcc_lo
	v_cmp_eq_f32_e32 vcc_lo, 0, v3
	s_delay_alu instid0(VALU_DEP_2) | instskip(SKIP_2) | instid1(VALU_DEP_1)
	v_mul_f32_e32 v8, 0.5, v8
	v_cndmask_b32_e32 v16, v17, v18, vcc_lo
	s_and_b32 vcc_lo, s3, s1
                                        ; implicit-def: $vgpr17
                                        ; implicit-def: $vgpr18
	v_cndmask_b32_e32 v16, v16, v19, vcc_lo
.LBB187_236:                            ;   in Loop: Header=BB187_162 Depth=1
	s_and_not1_saveexec_b32 s18, s2
	s_cbranch_execz .LBB187_244
; %bb.237:                              ;   in Loop: Header=BB187_162 Depth=1
	v_mul_f32_e32 v19, v17, v17
                                        ; implicit-def: $vgpr8
                                        ; implicit-def: $vgpr16
	s_mov_b32 s1, exec_lo
	s_delay_alu instid0(VALU_DEP_1) | instskip(NEXT) | instid1(VALU_DEP_1)
	v_fmac_f32_e32 v19, v18, v18
	v_cmpx_ge_f32_e32 0x3f333333, v19
	s_xor_b32 s2, exec_lo, s1
	s_cbranch_execz .LBB187_239
; %bb.238:                              ;   in Loop: Header=BB187_162 Depth=1
	v_max_f32_e64 v8, |v3|, |v3|
	v_max_f32_e64 v16, |v2|, |v2|
	v_cmp_gt_f32_e32 vcc_lo, 0x800000, v19
	v_cmp_gt_i32_e64 s1, 0, v2
	v_cmp_class_f32_e64 s3, v2, 0x204
	v_cmp_class_f32_e64 s4, v3, 0x204
	v_max_f32_e32 v17, v16, v8
	v_min_f32_e32 v8, v16, v8
	v_cndmask_b32_e64 v20, 0, 0x41b17218, vcc_lo
	s_delay_alu instid0(VALU_DEP_3) | instskip(SKIP_1) | instid1(VALU_DEP_2)
	v_frexp_mant_f32_e32 v18, v17
	v_frexp_exp_i32_f32_e32 v17, v17
	v_rcp_f32_e32 v16, v18
	v_frexp_exp_i32_f32_e32 v18, v8
	v_frexp_mant_f32_e32 v8, v8
	s_delay_alu instid0(VALU_DEP_2) | instskip(SKIP_4) | instid1(VALU_DEP_2)
	v_sub_nc_u32_e32 v17, v18, v17
	v_cndmask_b32_e64 v18, 1.0, 0x4f800000, vcc_lo
	s_waitcnt_depctr 0xfff
	v_mul_f32_e32 v8, v8, v16
	v_mul_f32_e32 v18, v19, v18
	v_ldexp_f32 v8, v8, v17
	s_delay_alu instid0(VALU_DEP_2) | instskip(NEXT) | instid1(VALU_DEP_1)
	v_log_f32_e32 v18, v18
	v_mul_f32_e32 v16, v8, v8
	s_delay_alu instid0(VALU_DEP_1) | instskip(SKIP_3) | instid1(VALU_DEP_1)
	v_fmaak_f32 v17, s10, v16, 0xbc7a590c
	s_waitcnt_depctr 0xfff
	v_cmp_gt_f32_e64 vcc_lo, 0x7f800000, |v18|
	v_fmaak_f32 v17, v16, v17, 0x3d29fb3f
	v_fmaak_f32 v17, v16, v17, 0xbd97d4d7
	s_delay_alu instid0(VALU_DEP_1) | instskip(NEXT) | instid1(VALU_DEP_1)
	v_fmaak_f32 v17, v16, v17, 0x3dd931b2
	v_fmaak_f32 v17, v16, v17, 0xbe1160e6
	s_delay_alu instid0(VALU_DEP_1) | instskip(NEXT) | instid1(VALU_DEP_1)
	;; [unrolled: 3-line block ×3, first 2 shown]
	v_dual_mul_f32 v16, v16, v17 :: v_dual_mul_f32 v17, 0x3f317217, v18
	v_fmac_f32_e32 v8, v8, v16
	s_delay_alu instid0(VALU_DEP_2) | instskip(NEXT) | instid1(VALU_DEP_2)
	v_fma_f32 v16, 0x3f317217, v18, -v17
	v_sub_f32_e32 v19, 0x3fc90fdb, v8
	s_delay_alu instid0(VALU_DEP_2) | instskip(NEXT) | instid1(VALU_DEP_2)
	v_fmac_f32_e32 v16, 0x3377d1cf, v18
	v_cndmask_b32_e64 v8, v8, v19, s0
	s_delay_alu instid0(VALU_DEP_2) | instskip(SKIP_2) | instid1(VALU_DEP_3)
	v_add_f32_e32 v16, v17, v16
	v_cndmask_b32_e64 v17, 0, 0x40490fdb, s1
	v_cmp_eq_f32_e64 s1, 0, v3
	v_cndmask_b32_e32 v16, v18, v16, vcc_lo
	v_cmp_gt_f32_e32 vcc_lo, 0, v2
	s_delay_alu instid0(VALU_DEP_2) | instskip(SKIP_2) | instid1(VALU_DEP_1)
	v_sub_f32_e32 v16, v16, v20
	v_cndmask_b32_e32 v18, 0x3f490fdb, v12, vcc_lo
	v_sub_f32_e32 v19, 0x40490fdb, v8
	v_cndmask_b32_e32 v8, v8, v19, vcc_lo
	s_and_b32 vcc_lo, s3, s4
	s_delay_alu instid0(VALU_DEP_1) | instskip(SKIP_1) | instid1(VALU_DEP_2)
	v_cndmask_b32_e64 v17, v8, v17, s1
	v_mul_f32_e32 v8, 0.5, v16
	v_cndmask_b32_e32 v16, v17, v18, vcc_lo
                                        ; implicit-def: $vgpr18
                                        ; implicit-def: $vgpr17
.LBB187_239:                            ;   in Loop: Header=BB187_162 Depth=1
	s_and_not1_saveexec_b32 s19, s2
	s_cbranch_execz .LBB187_243
; %bb.240:                              ;   in Loop: Header=BB187_162 Depth=1
	v_and_b32_e32 v19, 0x7fff0000, v17
	v_and_b32_e32 v16, 0x7fff0000, v18
	s_mov_b32 s21, 0
	s_delay_alu instid0(VALU_DEP_2) | instskip(NEXT) | instid1(VALU_DEP_2)
	v_sub_f32_e32 v20, v17, v19
	v_dual_mul_f32 v17, v19, v19 :: v_dual_sub_f32 v18, v18, v16
	v_dual_add_f32 v23, v16, v16 :: v_dual_add_f32 v26, v19, v19
	s_delay_alu instid0(VALU_DEP_2) | instskip(NEXT) | instid1(VALU_DEP_4)
	v_and_b32_e32 v21, 0xffff0000, v18
	v_and_b32_e32 v22, 0xffff0000, v20
	s_delay_alu instid0(VALU_DEP_2) | instskip(NEXT) | instid1(VALU_DEP_4)
	v_dual_mul_f32 v8, v16, v16 :: v_dual_sub_f32 v19, v18, v21
	v_mul_f32_e32 v25, v23, v21
	s_delay_alu instid0(VALU_DEP_3)
	v_dual_sub_f32 v27, v20, v22 :: v_dual_mul_f32 v18, v21, v21
	v_add_f32_e32 v20, v21, v21
	v_add_f32_e32 v28, v22, v22
	v_dual_mul_f32 v16, v26, v22 :: v_dual_mul_f32 v21, v23, v19
	v_mul_f32_e32 v24, v22, v22
	v_mul_f32_e32 v23, v26, v27
	;; [unrolled: 1-line block ×6, first 2 shown]
.LBB187_241:                            ;   Parent Loop BB187_162 Depth=1
                                        ; =>  This Inner Loop Header: Depth=2
	v_cmp_nlt_f32_e32 vcc_lo, v8, v17
	s_delay_alu instid0(VALU_DEP_2) | instskip(SKIP_1) | instid1(VALU_DEP_2)
	v_dual_mov_b32 v28, v26 :: v_dual_cndmask_b32 v27, v8, v17
	v_cndmask_b32_e32 v8, v17, v8, vcc_lo
	v_cmp_nlt_f32_e64 s1, v27, v25
	s_delay_alu instid0(VALU_DEP_1) | instskip(SKIP_2) | instid1(VALU_DEP_2)
	v_cndmask_b32_e64 v26, v27, v25, s1
	v_cndmask_b32_e64 v17, v25, v27, s1
	s_and_b32 s22, vcc_lo, s1
	v_cmp_nlt_f32_e64 s2, v26, v16
	s_delay_alu instid0(VALU_DEP_1) | instskip(SKIP_1) | instid1(VALU_DEP_2)
	v_cndmask_b32_e64 v29, v26, v16, s2
	v_cndmask_b32_e64 v25, v16, v26, s2
	v_cmp_nlt_f32_e64 s3, v29, v18
	s_delay_alu instid0(VALU_DEP_1) | instskip(SKIP_2) | instid1(VALU_DEP_2)
	v_cndmask_b32_e64 v27, v29, v18, s3
	v_cndmask_b32_e64 v16, v18, v29, s3
	s_and_b32 s23, s2, s3
	v_cmp_nlt_f32_e64 s4, v27, v24
	s_delay_alu instid0(VALU_DEP_1) | instskip(SKIP_1) | instid1(VALU_DEP_2)
	v_cndmask_b32_e64 v30, v27, v24, s4
	v_cndmask_b32_e64 v18, v24, v27, s4
	v_cmp_nlt_f32_e64 s5, v30, v21
	s_delay_alu instid0(VALU_DEP_1) | instskip(SKIP_2) | instid1(VALU_DEP_2)
	v_cndmask_b32_e64 v31, v30, v21, s5
	s_and_b32 s3, s4, s5
	v_cndmask_b32_e64 v24, v21, v30, s5
	v_cmp_nlt_f32_e64 s6, v31, v23
	s_delay_alu instid0(VALU_DEP_1) | instskip(SKIP_2) | instid1(VALU_DEP_2)
	v_cndmask_b32_e64 v32, v31, v23, s6
	s_and_b32 s3, s3, s6
	v_cndmask_b32_e64 v21, v23, v31, s6
	v_cmp_nlt_f32_e32 vcc_lo, v32, v22
	v_cndmask_b32_e32 v33, v32, v22, vcc_lo
	s_and_b32 s4, s3, vcc_lo
	v_cndmask_b32_e32 v23, v22, v32, vcc_lo
	s_delay_alu instid0(VALU_DEP_2) | instskip(NEXT) | instid1(VALU_DEP_1)
	v_cmp_nlt_f32_e64 s1, v33, v20
	v_cndmask_b32_e64 v29, v33, v20, s1
	s_and_b32 s4, s4, s1
	v_cndmask_b32_e64 v22, v20, v33, s1
	s_delay_alu instid0(VALU_DEP_2) | instskip(NEXT) | instid1(VALU_DEP_1)
	v_cmp_nlt_f32_e64 s2, v29, v19
	v_cndmask_b32_e64 v27, v29, v19, s2
	s_and_b32 s4, s4, s2
	v_cndmask_b32_e64 v20, v19, v29, s2
	s_delay_alu instid0(VALU_DEP_2) | instskip(NEXT) | instid1(VALU_DEP_1)
	v_cmp_nlt_f32_e64 s3, v27, v28
	s_and_b32 s4, s4, s3
	v_cndmask_b32_e64 v26, v27, v28, s3
	s_and_b32 s1, s4, s23
	v_cndmask_b32_e64 v19, v28, v27, s3
	s_and_b32 s1, s1, s22
	s_delay_alu instid0(SALU_CYCLE_1) | instskip(NEXT) | instid1(SALU_CYCLE_1)
	s_and_b32 s1, exec_lo, s1
	s_or_b32 s21, s1, s21
	s_delay_alu instid0(SALU_CYCLE_1)
	s_and_not1_b32 exec_lo, exec_lo, s21
	s_cbranch_execnz .LBB187_241
; %bb.242:                              ;   in Loop: Header=BB187_162 Depth=1
	s_or_b32 exec_lo, exec_lo, s21
	v_add_f32_e32 v8, -1.0, v8
	v_cmp_class_f32_e64 s2, v2, 0x204
	s_delay_alu instid0(VALU_DEP_2) | instskip(NEXT) | instid1(VALU_DEP_1)
	v_add_f32_e32 v8, v8, v17
	v_add_f32_e32 v8, v8, v25
	s_delay_alu instid0(VALU_DEP_1) | instskip(NEXT) | instid1(VALU_DEP_1)
	v_add_f32_e32 v8, v8, v16
	v_add_f32_e32 v8, v8, v18
	s_delay_alu instid0(VALU_DEP_1) | instskip(NEXT) | instid1(VALU_DEP_1)
	;; [unrolled: 3-line block ×5, first 2 shown]
	v_add_f32_e32 v8, v26, v8
	v_add_f32_e32 v18, 1.0, v8
	s_delay_alu instid0(VALU_DEP_1) | instskip(NEXT) | instid1(VALU_DEP_1)
	v_cvt_f64_f32_e32 v[16:17], v18
	v_frexp_exp_i32_f64_e32 v16, v[16:17]
	v_frexp_mant_f32_e32 v17, v18
	s_delay_alu instid0(VALU_DEP_1) | instskip(SKIP_1) | instid1(VALU_DEP_1)
	v_cmp_gt_f32_e32 vcc_lo, 0x3f2aaaab, v17
	v_add_f32_e32 v17, -1.0, v18
	v_dual_sub_f32 v20, v17, v18 :: v_dual_sub_f32 v17, v8, v17
	s_delay_alu instid0(VALU_DEP_1) | instskip(NEXT) | instid1(VALU_DEP_1)
	v_add_f32_e32 v20, 1.0, v20
	v_add_f32_e32 v17, v17, v20
	v_subrev_co_ci_u32_e32 v16, vcc_lo, 0, v16, vcc_lo
	s_delay_alu instid0(VALU_DEP_1) | instskip(SKIP_1) | instid1(VALU_DEP_2)
	v_sub_nc_u32_e32 v19, 0, v16
	v_cvt_f32_i32_e32 v16, v16
	v_ldexp_f32 v18, v18, v19
	v_ldexp_f32 v17, v17, v19
	s_delay_alu instid0(VALU_DEP_2) | instskip(NEXT) | instid1(VALU_DEP_1)
	v_add_f32_e32 v21, 1.0, v18
	v_dual_add_f32 v19, -1.0, v18 :: v_dual_add_f32 v20, -1.0, v21
	s_delay_alu instid0(VALU_DEP_1) | instskip(NEXT) | instid1(VALU_DEP_2)
	v_add_f32_e32 v22, 1.0, v19
	v_sub_f32_e32 v20, v18, v20
	s_delay_alu instid0(VALU_DEP_2) | instskip(NEXT) | instid1(VALU_DEP_2)
	v_sub_f32_e32 v18, v18, v22
	v_add_f32_e32 v20, v17, v20
	s_delay_alu instid0(VALU_DEP_2) | instskip(NEXT) | instid1(VALU_DEP_1)
	v_add_f32_e32 v17, v17, v18
	v_dual_add_f32 v22, v21, v20 :: v_dual_add_f32 v23, v19, v17
	s_delay_alu instid0(VALU_DEP_1) | instskip(SKIP_1) | instid1(VALU_DEP_1)
	v_rcp_f32_e32 v18, v22
	v_sub_f32_e32 v21, v22, v21
	v_dual_sub_f32 v19, v23, v19 :: v_dual_sub_f32 v20, v20, v21
	s_waitcnt_depctr 0xfff
	v_dual_sub_f32 v17, v17, v19 :: v_dual_mul_f32 v24, v23, v18
	s_delay_alu instid0(VALU_DEP_1) | instskip(NEXT) | instid1(VALU_DEP_1)
	v_mul_f32_e32 v25, v22, v24
	v_fma_f32 v21, v24, v22, -v25
	s_delay_alu instid0(VALU_DEP_1) | instskip(NEXT) | instid1(VALU_DEP_1)
	v_fmac_f32_e32 v21, v24, v20
	v_add_f32_e32 v26, v25, v21
	s_delay_alu instid0(VALU_DEP_1) | instskip(SKIP_1) | instid1(VALU_DEP_2)
	v_sub_f32_e32 v27, v23, v26
	v_sub_f32_e32 v19, v26, v25
	;; [unrolled: 1-line block ×3, first 2 shown]
	s_delay_alu instid0(VALU_DEP_2) | instskip(SKIP_2) | instid1(VALU_DEP_4)
	v_sub_f32_e32 v19, v19, v21
	v_cmp_eq_f32_e32 vcc_lo, 0x7f800000, v8
	v_cmp_neq_f32_e64 s1, -1.0, v8
	v_sub_f32_e32 v23, v23, v26
	s_delay_alu instid0(VALU_DEP_1) | instskip(NEXT) | instid1(VALU_DEP_1)
	v_add_f32_e32 v17, v17, v23
	v_add_f32_e32 v17, v19, v17
	s_delay_alu instid0(VALU_DEP_1) | instskip(NEXT) | instid1(VALU_DEP_1)
	v_add_f32_e32 v19, v27, v17
	v_mul_f32_e32 v21, v18, v19
	s_delay_alu instid0(VALU_DEP_1) | instskip(NEXT) | instid1(VALU_DEP_1)
	v_dual_mul_f32 v23, v22, v21 :: v_dual_sub_f32 v26, v27, v19
	v_fma_f32 v22, v21, v22, -v23
	s_delay_alu instid0(VALU_DEP_2) | instskip(NEXT) | instid1(VALU_DEP_2)
	v_add_f32_e32 v17, v17, v26
	v_fmac_f32_e32 v22, v21, v20
	s_delay_alu instid0(VALU_DEP_1) | instskip(NEXT) | instid1(VALU_DEP_1)
	v_add_f32_e32 v20, v23, v22
	v_sub_f32_e32 v25, v19, v20
	s_delay_alu instid0(VALU_DEP_1) | instskip(NEXT) | instid1(VALU_DEP_1)
	v_sub_f32_e32 v19, v19, v25
	v_sub_f32_e32 v19, v19, v20
	s_delay_alu instid0(VALU_DEP_1) | instskip(SKIP_2) | instid1(VALU_DEP_1)
	v_add_f32_e32 v17, v17, v19
	v_add_f32_e32 v19, v24, v21
	v_sub_f32_e32 v23, v20, v23
	v_sub_f32_e32 v20, v23, v22
	v_max_f32_e64 v22, |v3|, |v3|
	s_delay_alu instid0(VALU_DEP_2) | instskip(NEXT) | instid1(VALU_DEP_1)
	v_dual_add_f32 v17, v20, v17 :: v_dual_sub_f32 v20, v19, v24
	v_sub_f32_e32 v20, v21, v20
	s_delay_alu instid0(VALU_DEP_2) | instskip(NEXT) | instid1(VALU_DEP_1)
	v_add_f32_e32 v17, v25, v17
	v_mul_f32_e32 v17, v18, v17
	s_delay_alu instid0(VALU_DEP_1) | instskip(NEXT) | instid1(VALU_DEP_1)
	v_add_f32_e32 v17, v20, v17
	v_add_f32_e32 v18, v19, v17
	s_delay_alu instid0(VALU_DEP_1) | instskip(NEXT) | instid1(VALU_DEP_1)
	v_mul_f32_e32 v20, v18, v18
	v_fmaak_f32 v21, s8, v20, 0x3ecc95a3
	v_mul_f32_e32 v23, v18, v20
	v_ldexp_f32 v24, v18, 1
	v_sub_f32_e32 v18, v18, v19
	s_delay_alu instid0(VALU_DEP_4) | instskip(SKIP_1) | instid1(VALU_DEP_2)
	v_fmaak_f32 v20, v20, v21, 0x3f2aaada
	v_max_f32_e64 v21, |v2|, |v2|
	v_dual_sub_f32 v17, v17, v18 :: v_dual_mul_f32 v20, v23, v20
	s_delay_alu instid0(VALU_DEP_1) | instskip(NEXT) | instid1(VALU_DEP_2)
	v_ldexp_f32 v17, v17, 1
	v_add_f32_e32 v19, v24, v20
	s_delay_alu instid0(VALU_DEP_1) | instskip(NEXT) | instid1(VALU_DEP_1)
	v_dual_max_f32 v23, v21, v22 :: v_dual_sub_f32 v18, v19, v24
	v_dual_mul_f32 v25, 0x3f317218, v16 :: v_dual_sub_f32 v18, v20, v18
	s_delay_alu instid0(VALU_DEP_1) | instskip(SKIP_1) | instid1(VALU_DEP_4)
	v_fma_f32 v26, 0x3f317218, v16, -v25
	v_min_f32_e32 v21, v21, v22
	v_frexp_mant_f32_e32 v22, v23
	v_frexp_exp_i32_f32_e32 v23, v23
	s_delay_alu instid0(VALU_DEP_4) | instskip(NEXT) | instid1(VALU_DEP_4)
	v_fmac_f32_e32 v26, 0xb102e308, v16
	v_frexp_exp_i32_f32_e32 v24, v21
	s_delay_alu instid0(VALU_DEP_4) | instskip(SKIP_2) | instid1(VALU_DEP_3)
	v_rcp_f32_e32 v22, v22
	v_frexp_mant_f32_e32 v20, v21
	v_add_f32_e32 v16, v17, v18
	v_sub_nc_u32_e32 v21, v24, v23
	s_waitcnt_depctr 0xfff
	v_dual_mul_f32 v17, v20, v22 :: v_dual_add_f32 v20, v19, v16
	v_add_f32_e32 v18, v25, v26
	s_delay_alu instid0(VALU_DEP_2) | instskip(NEXT) | instid1(VALU_DEP_3)
	v_ldexp_f32 v17, v17, v21
	v_sub_f32_e32 v19, v20, v19
	s_delay_alu instid0(VALU_DEP_3) | instskip(SKIP_1) | instid1(VALU_DEP_4)
	v_add_f32_e32 v21, v18, v20
	v_sub_f32_e32 v25, v18, v25
	v_mul_f32_e32 v22, v17, v17
	s_delay_alu instid0(VALU_DEP_3) | instskip(NEXT) | instid1(VALU_DEP_1)
	v_dual_sub_f32 v16, v16, v19 :: v_dual_sub_f32 v23, v21, v18
	v_dual_fmaak_f32 v24, s10, v22, 0xbc7a590c :: v_dual_sub_f32 v19, v20, v23
	s_delay_alu instid0(VALU_DEP_1) | instskip(NEXT) | instid1(VALU_DEP_1)
	v_dual_fmaak_f32 v24, v22, v24, 0x3d29fb3f :: v_dual_sub_f32 v27, v21, v23
	v_fmaak_f32 v20, v22, v24, 0xbd97d4d7
	s_delay_alu instid0(VALU_DEP_2) | instskip(NEXT) | instid1(VALU_DEP_1)
	v_sub_f32_e32 v18, v18, v27
	v_dual_sub_f32 v25, v26, v25 :: v_dual_add_f32 v18, v19, v18
	s_delay_alu instid0(VALU_DEP_1) | instskip(NEXT) | instid1(VALU_DEP_1)
	v_add_f32_e32 v23, v25, v16
	v_dual_fmaak_f32 v19, v22, v20, 0x3dd931b2 :: v_dual_add_f32 v18, v23, v18
	s_delay_alu instid0(VALU_DEP_1) | instskip(NEXT) | instid1(VALU_DEP_2)
	v_dual_sub_f32 v20, v23, v25 :: v_dual_fmaak_f32 v19, v22, v19, 0xbe1160e6
	v_add_f32_e32 v24, v21, v18
	s_delay_alu instid0(VALU_DEP_2) | instskip(NEXT) | instid1(VALU_DEP_2)
	v_dual_sub_f32 v16, v16, v20 :: v_dual_fmaak_f32 v19, v22, v19, 0x3e4cb8bf
	v_sub_f32_e32 v21, v24, v21
	s_delay_alu instid0(VALU_DEP_1) | instskip(NEXT) | instid1(VALU_DEP_1)
	v_dual_sub_f32 v23, v23, v20 :: v_dual_sub_f32 v18, v18, v21
	v_sub_f32_e32 v20, v25, v23
	s_delay_alu instid0(VALU_DEP_1) | instskip(NEXT) | instid1(VALU_DEP_1)
	v_dual_fmaak_f32 v19, v22, v19, 0xbeaaaa62 :: v_dual_add_f32 v16, v16, v20
	v_dual_mul_f32 v19, v22, v19 :: v_dual_add_f32 v16, v16, v18
	s_delay_alu instid0(VALU_DEP_1) | instskip(NEXT) | instid1(VALU_DEP_1)
	v_dual_fmac_f32 v17, v17, v19 :: v_dual_add_f32 v16, v24, v16
	v_sub_f32_e32 v18, 0x3fc90fdb, v17
	s_delay_alu instid0(VALU_DEP_2) | instskip(SKIP_1) | instid1(VALU_DEP_3)
	v_cndmask_b32_e32 v16, v16, v8, vcc_lo
	v_cmp_gt_i32_e32 vcc_lo, 0, v2
	v_cndmask_b32_e64 v17, v17, v18, s0
	v_cndmask_b32_e64 v18, 0, 0x40490fdb, vcc_lo
	v_cmp_ngt_f32_e32 vcc_lo, -1.0, v8
	s_delay_alu instid0(VALU_DEP_3) | instskip(SKIP_2) | instid1(VALU_DEP_2)
	v_sub_f32_e32 v19, 0x40490fdb, v17
	v_cndmask_b32_e32 v16, 0x7fc00000, v16, vcc_lo
	v_cmp_gt_f32_e32 vcc_lo, 0, v2
	v_cndmask_b32_e64 v16, 0xff800000, v16, s1
	s_delay_alu instid0(VALU_DEP_4)
	v_cndmask_b32_e32 v17, v17, v19, vcc_lo
	v_cndmask_b32_e32 v19, 0x3f490fdb, v12, vcc_lo
	v_cmp_gt_f32_e64 vcc_lo, 0x33800000, |v8|
	v_cmp_class_f32_e64 s1, v3, 0x204
	v_cndmask_b32_e32 v8, v16, v8, vcc_lo
	v_cmp_eq_f32_e32 vcc_lo, 0, v3
	s_delay_alu instid0(VALU_DEP_2) | instskip(SKIP_2) | instid1(VALU_DEP_1)
	v_mul_f32_e32 v8, 0.5, v8
	v_cndmask_b32_e32 v16, v17, v18, vcc_lo
	s_and_b32 vcc_lo, s2, s1
	v_cndmask_b32_e32 v16, v16, v19, vcc_lo
.LBB187_243:                            ;   in Loop: Header=BB187_162 Depth=1
	s_or_b32 exec_lo, exec_lo, s19
.LBB187_244:                            ;   in Loop: Header=BB187_162 Depth=1
	s_delay_alu instid0(SALU_CYCLE_1)
	s_or_b32 exec_lo, exec_lo, s18
.LBB187_245:                            ;   in Loop: Header=BB187_162 Depth=1
	s_and_not1_saveexec_b32 s2, s17
	s_cbranch_execz .LBB187_247
; %bb.246:                              ;   in Loop: Header=BB187_162 Depth=1
	v_max_f32_e64 v8, |v3|, |v3|
	v_max_f32_e64 v18, |v2|, |v2|
	v_cmp_gt_i32_e64 s1, 0, v2
	v_cmp_class_f32_e64 s3, v2, 0x204
	v_cmp_class_f32_e64 s4, v3, 0x204
	s_delay_alu instid0(VALU_DEP_4) | instskip(SKIP_1) | instid1(VALU_DEP_2)
	v_max_f32_e32 v19, v18, v8
	v_min_f32_e32 v8, v18, v8
	v_cvt_f64_f32_e32 v[16:17], v19
	s_delay_alu instid0(VALU_DEP_2) | instskip(SKIP_1) | instid1(VALU_DEP_3)
	v_frexp_exp_i32_f32_e32 v20, v8
	v_frexp_mant_f32_e32 v8, v8
	v_frexp_exp_i32_f64_e32 v16, v[16:17]
	v_frexp_mant_f32_e32 v17, v19
	s_delay_alu instid0(VALU_DEP_1) | instskip(SKIP_4) | instid1(VALU_DEP_2)
	v_rcp_f32_e32 v17, v17
	s_waitcnt_depctr 0xfff
	v_mul_f32_e32 v8, v8, v17
	v_frexp_exp_i32_f32_e32 v18, v19
	v_cmp_neq_f32_e32 vcc_lo, 0x7f800000, v19
	v_sub_nc_u32_e32 v18, v20, v18
	s_delay_alu instid0(VALU_DEP_1) | instskip(SKIP_1) | instid1(VALU_DEP_1)
	v_ldexp_f32 v8, v8, v18
	v_sub_nc_u32_e32 v21, 0, v16
	v_ldexp_f32 v17, |v3|, v21
	v_ldexp_f32 v18, |v2|, v21
	s_delay_alu instid0(VALU_DEP_2) | instskip(NEXT) | instid1(VALU_DEP_1)
	v_dual_mul_f32 v17, v17, v17 :: v_dual_mul_f32 v20, v8, v8
	v_dual_fmac_f32 v17, v18, v18 :: v_dual_fmaak_f32 v18, s10, v20, 0xbc7a590c
	s_delay_alu instid0(VALU_DEP_1) | instskip(NEXT) | instid1(VALU_DEP_1)
	v_sqrt_f32_e32 v17, v17
	v_fmaak_f32 v18, v20, v18, 0x3d29fb3f
	s_delay_alu instid0(VALU_DEP_1) | instskip(SKIP_3) | instid1(VALU_DEP_2)
	v_fmaak_f32 v18, v20, v18, 0xbd97d4d7
	s_waitcnt_depctr 0xfff
	v_ldexp_f32 v16, v17, v16
	v_fmaak_f32 v17, v20, v18, 0x3dd931b2
	v_cndmask_b32_e32 v16, 0x7f800000, v16, vcc_lo
	s_delay_alu instid0(VALU_DEP_2) | instskip(NEXT) | instid1(VALU_DEP_2)
	v_fmaak_f32 v17, v20, v17, 0xbe1160e6
	v_cmp_gt_f32_e32 vcc_lo, 0x800000, v16
	s_delay_alu instid0(VALU_DEP_2) | instskip(SKIP_1) | instid1(VALU_DEP_2)
	v_fmaak_f32 v17, v20, v17, 0x3e4cb8bf
	v_cndmask_b32_e64 v18, 1.0, 0x4f800000, vcc_lo
	v_fmaak_f32 v17, v20, v17, 0xbeaaaa62
	s_delay_alu instid0(VALU_DEP_2) | instskip(NEXT) | instid1(VALU_DEP_2)
	v_mul_f32_e32 v16, v16, v18
	v_mul_f32_e32 v17, v20, v17
	s_delay_alu instid0(VALU_DEP_2) | instskip(SKIP_2) | instid1(VALU_DEP_1)
	v_log_f32_e32 v16, v16
	s_waitcnt_depctr 0xfff
	v_dual_fmac_f32 v8, v8, v17 :: v_dual_mul_f32 v17, 0x3f317217, v16
	v_sub_f32_e32 v18, 0x3fc90fdb, v8
	s_delay_alu instid0(VALU_DEP_2) | instskip(NEXT) | instid1(VALU_DEP_2)
	v_fma_f32 v19, 0x3f317217, v16, -v17
	v_cndmask_b32_e64 v8, v8, v18, s0
	v_cndmask_b32_e64 v18, 0, 0x40490fdb, s1
	v_cmp_gt_f32_e64 s1, 0, v2
	s_delay_alu instid0(VALU_DEP_3) | instskip(NEXT) | instid1(VALU_DEP_1)
	v_sub_f32_e32 v20, 0x40490fdb, v8
	v_cndmask_b32_e64 v8, v8, v20, s1
	v_cndmask_b32_e64 v20, 0, 0x41b17218, vcc_lo
	v_cmp_gt_f32_e64 vcc_lo, 0x7f800000, |v16|
	v_fmac_f32_e32 v19, 0x3377d1cf, v16
	s_delay_alu instid0(VALU_DEP_1) | instskip(SKIP_1) | instid1(VALU_DEP_2)
	v_add_f32_e32 v17, v17, v19
	v_cndmask_b32_e64 v19, 0x3f490fdb, v12, s1
	v_cndmask_b32_e32 v16, v16, v17, vcc_lo
	v_cmp_eq_f32_e32 vcc_lo, 0, v3
	v_cndmask_b32_e32 v17, v8, v18, vcc_lo
	s_and_b32 vcc_lo, s3, s4
	s_delay_alu instid0(VALU_DEP_3) | instskip(NEXT) | instid1(VALU_DEP_2)
	v_sub_f32_e32 v8, v16, v20
	v_cndmask_b32_e32 v16, v17, v19, vcc_lo
.LBB187_247:                            ;   in Loop: Header=BB187_162 Depth=1
	s_or_b32 exec_lo, exec_lo, s2
                                        ; implicit-def: $vgpr17
.LBB187_248:                            ;   in Loop: Header=BB187_162 Depth=1
	s_and_not1_saveexec_b32 s2, s16
	s_cbranch_execz .LBB187_254
; %bb.249:                              ;   in Loop: Header=BB187_162 Depth=1
                                        ; implicit-def: $vgpr8
                                        ; implicit-def: $vgpr16
	s_mov_b32 s1, exec_lo
	v_cmpx_ngt_f32_e32 0x1fec1e4a, v17
	s_xor_b32 s3, exec_lo, s1
	s_cbranch_execz .LBB187_251
; %bb.250:                              ;   in Loop: Header=BB187_162 Depth=1
	v_mul_f32_e32 v8, v17, v17
	v_cmp_gt_f32_e64 s1, 0, v2
	v_cmp_class_f32_e64 s4, v2, 0x204
	v_cmp_class_f32_e64 s6, v3, 0x204
	s_delay_alu instid0(VALU_DEP_4) | instskip(NEXT) | instid1(VALU_DEP_1)
	v_add_f32_e32 v18, 1.0, v8
	v_cvt_f64_f32_e32 v[16:17], v18
	s_delay_alu instid0(VALU_DEP_1) | instskip(SKIP_1) | instid1(VALU_DEP_1)
	v_frexp_exp_i32_f64_e32 v16, v[16:17]
	v_frexp_mant_f32_e32 v17, v18
	v_cmp_gt_f32_e32 vcc_lo, 0x3f2aaaab, v17
	v_add_f32_e32 v17, -1.0, v18
	v_cmp_gt_f32_e64 s5, 0x33800000, |v8|
	s_delay_alu instid0(VALU_DEP_2) | instskip(SKIP_2) | instid1(VALU_DEP_2)
	v_dual_sub_f32 v20, v17, v18 :: v_dual_sub_f32 v17, v8, v17
	v_subrev_co_ci_u32_e32 v16, vcc_lo, 0, v16, vcc_lo
	v_cmp_gt_i32_e32 vcc_lo, 0, v2
	v_sub_nc_u32_e32 v19, 0, v16
	v_cvt_f32_i32_e32 v16, v16
	s_delay_alu instid0(VALU_DEP_2) | instskip(NEXT) | instid1(VALU_DEP_1)
	v_ldexp_f32 v18, v18, v19
	v_dual_add_f32 v20, 1.0, v20 :: v_dual_add_f32 v21, 1.0, v18
	s_delay_alu instid0(VALU_DEP_1) | instskip(NEXT) | instid1(VALU_DEP_1)
	v_dual_add_f32 v17, v17, v20 :: v_dual_add_f32 v20, -1.0, v21
	v_ldexp_f32 v17, v17, v19
	s_delay_alu instid0(VALU_DEP_2) | instskip(NEXT) | instid1(VALU_DEP_1)
	v_dual_add_f32 v19, -1.0, v18 :: v_dual_sub_f32 v20, v18, v20
	v_add_f32_e32 v22, 1.0, v19
	s_delay_alu instid0(VALU_DEP_2) | instskip(NEXT) | instid1(VALU_DEP_2)
	v_add_f32_e32 v20, v17, v20
	v_sub_f32_e32 v18, v18, v22
	s_delay_alu instid0(VALU_DEP_1) | instskip(NEXT) | instid1(VALU_DEP_1)
	v_add_f32_e32 v17, v17, v18
	v_dual_add_f32 v23, v19, v17 :: v_dual_add_f32 v22, v21, v20
	s_delay_alu instid0(VALU_DEP_1) | instskip(NEXT) | instid1(VALU_DEP_2)
	v_sub_f32_e32 v19, v19, v23
	v_rcp_f32_e32 v18, v22
	v_sub_f32_e32 v21, v21, v22
	s_delay_alu instid0(VALU_DEP_1) | instskip(SKIP_2) | instid1(VALU_DEP_1)
	v_dual_add_f32 v17, v17, v19 :: v_dual_add_f32 v20, v20, v21
	s_waitcnt_depctr 0xfff
	v_mul_f32_e32 v24, v23, v18
	v_mul_f32_e32 v25, v22, v24
	s_delay_alu instid0(VALU_DEP_1) | instskip(NEXT) | instid1(VALU_DEP_1)
	v_fma_f32 v21, v24, v22, -v25
	v_fmac_f32_e32 v21, v24, v20
	s_delay_alu instid0(VALU_DEP_1) | instskip(NEXT) | instid1(VALU_DEP_1)
	v_add_f32_e32 v26, v25, v21
	v_sub_f32_e32 v27, v23, v26
	s_delay_alu instid0(VALU_DEP_1) | instskip(SKIP_1) | instid1(VALU_DEP_2)
	v_sub_f32_e32 v23, v23, v27
	v_sub_f32_e32 v19, v26, v25
	;; [unrolled: 1-line block ×3, first 2 shown]
	s_delay_alu instid0(VALU_DEP_2) | instskip(NEXT) | instid1(VALU_DEP_2)
	v_sub_f32_e32 v19, v19, v21
	v_add_f32_e32 v17, v17, v23
	s_delay_alu instid0(VALU_DEP_1) | instskip(NEXT) | instid1(VALU_DEP_1)
	v_add_f32_e32 v17, v19, v17
	v_add_f32_e32 v19, v27, v17
	s_delay_alu instid0(VALU_DEP_1) | instskip(NEXT) | instid1(VALU_DEP_1)
	v_mul_f32_e32 v21, v18, v19
	v_dual_sub_f32 v26, v27, v19 :: v_dual_mul_f32 v23, v22, v21
	s_delay_alu instid0(VALU_DEP_1) | instskip(NEXT) | instid1(VALU_DEP_2)
	v_add_f32_e32 v17, v17, v26
	v_fma_f32 v22, v21, v22, -v23
	s_delay_alu instid0(VALU_DEP_1) | instskip(NEXT) | instid1(VALU_DEP_1)
	v_fmac_f32_e32 v22, v21, v20
	v_add_f32_e32 v20, v23, v22
	s_delay_alu instid0(VALU_DEP_1) | instskip(SKIP_1) | instid1(VALU_DEP_2)
	v_sub_f32_e32 v25, v19, v20
	v_sub_f32_e32 v23, v20, v23
	;; [unrolled: 1-line block ×3, first 2 shown]
	s_delay_alu instid0(VALU_DEP_1) | instskip(NEXT) | instid1(VALU_DEP_1)
	v_sub_f32_e32 v19, v19, v20
	v_dual_sub_f32 v20, v23, v22 :: v_dual_add_f32 v17, v17, v19
	v_add_f32_e32 v19, v24, v21
	s_delay_alu instid0(VALU_DEP_1) | instskip(NEXT) | instid1(VALU_DEP_1)
	v_dual_add_f32 v17, v20, v17 :: v_dual_sub_f32 v20, v19, v24
	v_add_f32_e32 v17, v25, v17
	s_delay_alu instid0(VALU_DEP_2) | instskip(SKIP_1) | instid1(VALU_DEP_3)
	v_sub_f32_e32 v20, v21, v20
	v_max_f32_e64 v21, |v2|, |v2|
	v_mul_f32_e32 v17, v18, v17
	v_max_f32_e64 v18, |v3|, |v3|
	s_delay_alu instid0(VALU_DEP_2) | instskip(NEXT) | instid1(VALU_DEP_2)
	v_add_f32_e32 v17, v20, v17
	v_max_f32_e32 v23, v21, v18
	v_min_f32_e32 v18, v21, v18
	s_delay_alu instid0(VALU_DEP_3) | instskip(NEXT) | instid1(VALU_DEP_3)
	v_add_f32_e32 v20, v19, v17
	v_frexp_mant_f32_e32 v25, v23
	v_frexp_exp_i32_f32_e32 v21, v23
	s_delay_alu instid0(VALU_DEP_3) | instskip(SKIP_2) | instid1(VALU_DEP_2)
	v_mul_f32_e32 v22, v20, v20
	v_sub_f32_e32 v19, v20, v19
	v_ldexp_f32 v26, v20, 1
	v_dual_fmaak_f32 v24, s8, v22, 0x3ecc95a3 :: v_dual_sub_f32 v17, v17, v19
	s_delay_alu instid0(VALU_DEP_1) | instskip(NEXT) | instid1(VALU_DEP_2)
	v_ldexp_f32 v17, v17, 1
	v_dual_mul_f32 v23, v20, v22 :: v_dual_fmaak_f32 v22, v22, v24, 0x3f2aaada
	v_rcp_f32_e32 v24, v25
	v_frexp_exp_i32_f32_e32 v25, v18
	v_frexp_mant_f32_e32 v18, v18
	s_delay_alu instid0(VALU_DEP_3) | instskip(NEXT) | instid1(VALU_DEP_3)
	v_dual_mul_f32 v22, v23, v22 :: v_dual_mul_f32 v23, 0x3f317218, v16
	v_sub_nc_u32_e32 v21, v25, v21
	s_delay_alu instid0(VALU_DEP_2) | instskip(SKIP_2) | instid1(VALU_DEP_1)
	v_add_f32_e32 v20, v26, v22
	s_waitcnt_depctr 0xfff
	v_mul_f32_e32 v18, v18, v24
	v_ldexp_f32 v18, v18, v21
	v_sub_f32_e32 v19, v20, v26
	v_fma_f32 v21, 0x3f317218, v16, -v23
	s_delay_alu instid0(VALU_DEP_2) | instskip(NEXT) | instid1(VALU_DEP_2)
	v_sub_f32_e32 v19, v22, v19
	v_dual_mul_f32 v22, v18, v18 :: v_dual_fmac_f32 v21, 0xb102e308, v16
	s_delay_alu instid0(VALU_DEP_1) | instskip(NEXT) | instid1(VALU_DEP_1)
	v_dual_add_f32 v16, v17, v19 :: v_dual_fmaak_f32 v17, s10, v22, 0xbc7a590c
	v_dual_add_f32 v19, v23, v21 :: v_dual_add_f32 v24, v20, v16
	s_delay_alu instid0(VALU_DEP_2) | instskip(NEXT) | instid1(VALU_DEP_2)
	v_fmaak_f32 v17, v22, v17, 0x3d29fb3f
	v_add_f32_e32 v25, v19, v24
	s_delay_alu instid0(VALU_DEP_2) | instskip(NEXT) | instid1(VALU_DEP_1)
	v_dual_fmaak_f32 v17, v22, v17, 0xbd97d4d7 :: v_dual_sub_f32 v20, v24, v20
	v_dual_sub_f32 v26, v25, v19 :: v_dual_fmaak_f32 v17, v22, v17, 0x3dd931b2
	s_delay_alu instid0(VALU_DEP_1) | instskip(SKIP_1) | instid1(VALU_DEP_3)
	v_dual_sub_f32 v16, v16, v20 :: v_dual_sub_f32 v27, v25, v26
	v_dual_sub_f32 v20, v24, v26 :: v_dual_sub_f32 v23, v19, v23
	v_fmaak_f32 v17, v22, v17, 0xbe1160e6
	s_delay_alu instid0(VALU_DEP_3) | instskip(NEXT) | instid1(VALU_DEP_3)
	v_sub_f32_e32 v19, v19, v27
	v_sub_f32_e32 v21, v21, v23
	s_delay_alu instid0(VALU_DEP_3) | instskip(NEXT) | instid1(VALU_DEP_3)
	v_fmaak_f32 v17, v22, v17, 0x3e4cb8bf
	v_add_f32_e32 v19, v20, v19
	s_delay_alu instid0(VALU_DEP_3) | instskip(NEXT) | instid1(VALU_DEP_3)
	v_add_f32_e32 v23, v21, v16
	v_fmaak_f32 v17, v22, v17, 0xbeaaaa62
	s_delay_alu instid0(VALU_DEP_2) | instskip(NEXT) | instid1(VALU_DEP_4)
	v_sub_f32_e32 v20, v23, v21
	v_add_f32_e32 v19, v23, v19
	s_delay_alu instid0(VALU_DEP_2) | instskip(NEXT) | instid1(VALU_DEP_1)
	v_dual_mul_f32 v17, v22, v17 :: v_dual_sub_f32 v22, v23, v20
	v_dual_add_f32 v23, v25, v19 :: v_dual_fmac_f32 v18, v18, v17
	s_delay_alu instid0(VALU_DEP_2) | instskip(NEXT) | instid1(VALU_DEP_2)
	v_dual_sub_f32 v16, v16, v20 :: v_dual_sub_f32 v17, v21, v22
	v_sub_f32_e32 v20, v23, v25
	s_delay_alu instid0(VALU_DEP_1) | instskip(SKIP_2) | instid1(VALU_DEP_3)
	v_dual_add_f32 v16, v16, v17 :: v_dual_sub_f32 v17, v19, v20
	v_cndmask_b32_e64 v19, 0, 0x40490fdb, vcc_lo
	v_cmp_eq_f32_e32 vcc_lo, 0x7f800000, v8
	v_add_f32_e32 v16, v16, v17
	s_or_b32 vcc_lo, vcc_lo, s5
	s_delay_alu instid0(VALU_DEP_1) | instskip(NEXT) | instid1(VALU_DEP_1)
	v_add_f32_e32 v16, v23, v16
	v_cndmask_b32_e32 v8, v16, v8, vcc_lo
	v_cmp_eq_f32_e32 vcc_lo, 0, v3
	s_delay_alu instid0(VALU_DEP_2) | instskip(NEXT) | instid1(VALU_DEP_1)
	v_dual_sub_f32 v21, 0x3fc90fdb, v18 :: v_dual_mul_f32 v8, 0.5, v8
	v_cndmask_b32_e64 v18, v18, v21, s0
	s_delay_alu instid0(VALU_DEP_1) | instskip(NEXT) | instid1(VALU_DEP_1)
	v_sub_f32_e32 v17, 0x40490fdb, v18
	v_cndmask_b32_e64 v17, v18, v17, s1
	v_cndmask_b32_e64 v18, 0x3f490fdb, v12, s1
	s_delay_alu instid0(VALU_DEP_2) | instskip(SKIP_1) | instid1(VALU_DEP_1)
	v_cndmask_b32_e32 v16, v17, v19, vcc_lo
	s_and_b32 vcc_lo, s4, s6
                                        ; implicit-def: $vgpr17
	v_cndmask_b32_e32 v16, v16, v18, vcc_lo
.LBB187_251:                            ;   in Loop: Header=BB187_162 Depth=1
	s_and_not1_saveexec_b32 s3, s3
	s_cbranch_execz .LBB187_253
; %bb.252:                              ;   in Loop: Header=BB187_162 Depth=1
	v_max_f32_e64 v8, |v3|, |v3|
	v_max_f32_e64 v16, |v2|, |v2|
	v_cmp_gt_i32_e32 vcc_lo, 0, v2
	v_cmp_eq_f32_e64 s1, 0, v3
	v_cmp_class_f32_e64 s4, v2, 0x204
	v_cmp_class_f32_e64 s5, v3, 0x204
	v_max_f32_e32 v18, v16, v8
	v_min_f32_e32 v8, v16, v8
	s_delay_alu instid0(VALU_DEP_2) | instskip(SKIP_1) | instid1(VALU_DEP_2)
	v_frexp_mant_f32_e32 v19, v18
	v_frexp_exp_i32_f32_e32 v18, v18
	v_rcp_f32_e32 v16, v19
	s_delay_alu instid0(VALU_DEP_3) | instskip(SKIP_1) | instid1(VALU_DEP_2)
	v_frexp_exp_i32_f32_e32 v19, v8
	v_frexp_mant_f32_e32 v8, v8
	v_sub_nc_u32_e32 v18, v19, v18
	s_waitcnt_depctr 0xfff
	v_mul_f32_e32 v8, v8, v16
	s_delay_alu instid0(VALU_DEP_1) | instskip(NEXT) | instid1(VALU_DEP_1)
	v_ldexp_f32 v8, v8, v18
	v_mul_f32_e32 v16, v8, v8
	s_delay_alu instid0(VALU_DEP_1) | instskip(NEXT) | instid1(VALU_DEP_1)
	v_fmaak_f32 v18, s10, v16, 0xbc7a590c
	v_fmaak_f32 v18, v16, v18, 0x3d29fb3f
	s_delay_alu instid0(VALU_DEP_1) | instskip(NEXT) | instid1(VALU_DEP_1)
	v_fmaak_f32 v18, v16, v18, 0xbd97d4d7
	v_fmaak_f32 v18, v16, v18, 0x3dd931b2
	s_delay_alu instid0(VALU_DEP_1) | instskip(NEXT) | instid1(VALU_DEP_1)
	v_fmaak_f32 v18, v16, v18, 0xbe1160e6
	v_fmaak_f32 v18, v16, v18, 0x3e4cb8bf
	s_delay_alu instid0(VALU_DEP_1) | instskip(NEXT) | instid1(VALU_DEP_1)
	v_fmaak_f32 v18, v16, v18, 0xbeaaaa62
	v_mul_f32_e32 v16, v16, v18
	v_cndmask_b32_e64 v18, 0, 0x40490fdb, vcc_lo
	v_cmp_gt_f32_e32 vcc_lo, 0, v2
	v_cndmask_b32_e32 v19, 0x3f490fdb, v12, vcc_lo
	s_delay_alu instid0(VALU_DEP_4) | instskip(NEXT) | instid1(VALU_DEP_1)
	v_fmac_f32_e32 v8, v8, v16
	v_sub_f32_e32 v16, 0x3fc90fdb, v8
	s_delay_alu instid0(VALU_DEP_1) | instskip(NEXT) | instid1(VALU_DEP_1)
	v_cndmask_b32_e64 v8, v8, v16, s0
	v_sub_f32_e32 v16, 0x40490fdb, v8
	s_delay_alu instid0(VALU_DEP_1) | instskip(SKIP_2) | instid1(VALU_DEP_2)
	v_cndmask_b32_e32 v8, v8, v16, vcc_lo
	v_mul_f32_e32 v16, 0.5, v17
	s_and_b32 vcc_lo, s4, s5
	v_cndmask_b32_e64 v18, v8, v18, s1
	s_delay_alu instid0(VALU_DEP_2) | instskip(NEXT) | instid1(VALU_DEP_2)
	v_mul_f32_e32 v8, v17, v16
	v_cndmask_b32_e32 v16, v18, v19, vcc_lo
.LBB187_253:                            ;   in Loop: Header=BB187_162 Depth=1
	s_or_b32 exec_lo, exec_lo, s3
.LBB187_254:                            ;   in Loop: Header=BB187_162 Depth=1
	s_delay_alu instid0(SALU_CYCLE_1)
	s_or_b32 exec_lo, exec_lo, s2
.LBB187_255:                            ;   in Loop: Header=BB187_162 Depth=1
	s_and_not1_saveexec_b32 s2, s12
	s_cbranch_execz .LBB187_257
; %bb.256:                              ;   in Loop: Header=BB187_162 Depth=1
	v_div_scale_f32 v8, null, 0x402df854, 0x402df854, v2
	v_div_scale_f32 v16, null, 0x402df854, 0x402df854, v3
	v_div_scale_f32 v21, vcc_lo, v2, 0x402df854, v2
	s_delay_alu instid0(VALU_DEP_3) | instskip(NEXT) | instid1(VALU_DEP_2)
	v_rcp_f32_e32 v17, v8
	v_rcp_f32_e32 v18, v16
	v_cmp_class_f32_e64 s3, v3, 0x204
	s_waitcnt_depctr 0xfff
	v_fma_f32 v19, -v8, v17, 1.0
	v_fma_f32 v20, -v16, v18, 1.0
	s_delay_alu instid0(VALU_DEP_1) | instskip(SKIP_1) | instid1(VALU_DEP_2)
	v_dual_fmac_f32 v17, v19, v17 :: v_dual_fmac_f32 v18, v20, v18
	v_div_scale_f32 v19, s1, v3, 0x402df854, v3
	v_mul_f32_e32 v20, v21, v17
	s_delay_alu instid0(VALU_DEP_1) | instskip(NEXT) | instid1(VALU_DEP_1)
	v_fma_f32 v23, -v8, v20, v21
	v_fmac_f32_e32 v20, v23, v17
	s_delay_alu instid0(VALU_DEP_1) | instskip(NEXT) | instid1(VALU_DEP_1)
	v_fma_f32 v8, -v8, v20, v21
	v_div_fmas_f32 v8, v8, v17, v20
	v_max_f32_e64 v20, |v2|, |v2|
	v_mul_f32_e32 v22, v19, v18
	s_mov_b32 vcc_lo, s1
	v_cmp_class_f32_e64 s1, v2, 0x204
	v_div_fixup_f32 v8, v8, 0x402df854, v2
	s_delay_alu instid0(VALU_DEP_3) | instskip(NEXT) | instid1(VALU_DEP_1)
	v_fma_f32 v24, -v16, v22, v19
	v_fmac_f32_e32 v22, v24, v18
	s_delay_alu instid0(VALU_DEP_1) | instskip(NEXT) | instid1(VALU_DEP_1)
	v_fma_f32 v16, -v16, v22, v19
	v_div_fmas_f32 v16, v16, v18, v22
	s_delay_alu instid0(VALU_DEP_1) | instskip(NEXT) | instid1(VALU_DEP_1)
	v_div_fixup_f32 v18, v16, 0x402df854, v3
	v_max_f32_e64 v19, |v8|, |v18|
	s_delay_alu instid0(VALU_DEP_1) | instskip(SKIP_1) | instid1(VALU_DEP_2)
	v_cvt_f64_f32_e32 v[16:17], v19
	v_cmp_neq_f32_e32 vcc_lo, 0x7f800000, v19
	v_frexp_exp_i32_f64_e32 v16, v[16:17]
	v_max_f32_e64 v17, |v3|, |v3|
	s_delay_alu instid0(VALU_DEP_1) | instskip(SKIP_1) | instid1(VALU_DEP_2)
	v_max_f32_e32 v21, v20, v17
	v_min_f32_e32 v17, v20, v17
	v_frexp_mant_f32_e32 v22, v21
	v_frexp_exp_i32_f32_e32 v21, v21
	s_delay_alu instid0(VALU_DEP_2) | instskip(SKIP_1) | instid1(VALU_DEP_1)
	v_rcp_f32_e32 v20, v22
	v_sub_nc_u32_e32 v22, 0, v16
	v_ldexp_f32 v18, |v18|, v22
	v_ldexp_f32 v8, |v8|, v22
	s_delay_alu instid0(VALU_DEP_2) | instskip(SKIP_2) | instid1(VALU_DEP_3)
	v_mul_f32_e32 v18, v18, v18
	v_frexp_exp_i32_f32_e32 v23, v17
	v_frexp_mant_f32_e32 v17, v17
	v_fmac_f32_e32 v18, v8, v8
	s_delay_alu instid0(VALU_DEP_3)
	v_sub_nc_u32_e32 v21, v23, v21
	s_delay_alu instid0(TRANS32_DEP_1) | instid1(VALU_DEP_3)
	v_mul_f32_e32 v17, v17, v20
	s_delay_alu instid0(VALU_DEP_3) | instskip(NEXT) | instid1(VALU_DEP_1)
	v_sqrt_f32_e32 v18, v18
	v_ldexp_f32 v17, v17, v21
	s_delay_alu instid0(VALU_DEP_1) | instskip(SKIP_3) | instid1(VALU_DEP_2)
	v_mul_f32_e32 v8, v17, v17
	s_waitcnt_depctr 0xfff
	v_ldexp_f32 v16, v18, v16
	v_fmaak_f32 v20, s10, v8, 0xbc7a590c
	v_cndmask_b32_e32 v16, 0x7f800000, v16, vcc_lo
	s_delay_alu instid0(VALU_DEP_2) | instskip(NEXT) | instid1(VALU_DEP_2)
	v_fmaak_f32 v20, v8, v20, 0x3d29fb3f
	v_cmp_gt_f32_e32 vcc_lo, 0x800000, v16
	s_delay_alu instid0(VALU_DEP_2) | instskip(SKIP_2) | instid1(VALU_DEP_3)
	v_fmaak_f32 v18, v8, v20, 0xbd97d4d7
	v_cndmask_b32_e64 v19, 1.0, 0x4f800000, vcc_lo
	v_cndmask_b32_e64 v20, 0, 0x41b17218, vcc_lo
	v_fmaak_f32 v18, v8, v18, 0x3dd931b2
	s_delay_alu instid0(VALU_DEP_3) | instskip(NEXT) | instid1(VALU_DEP_2)
	v_mul_f32_e32 v16, v16, v19
	v_fmaak_f32 v18, v8, v18, 0xbe1160e6
	s_delay_alu instid0(VALU_DEP_2) | instskip(NEXT) | instid1(VALU_DEP_1)
	v_log_f32_e32 v16, v16
	v_fmaak_f32 v18, v8, v18, 0x3e4cb8bf
	s_delay_alu instid0(VALU_DEP_1) | instskip(SKIP_4) | instid1(VALU_DEP_2)
	v_fmaak_f32 v18, v8, v18, 0xbeaaaa62
	s_waitcnt_depctr 0xfff
	v_cmp_gt_f32_e64 vcc_lo, 0x7f800000, |v16|
	v_mul_f32_e32 v8, v8, v18
	v_mul_f32_e32 v18, 0x3f317217, v16
	v_fmac_f32_e32 v17, v17, v8
	s_delay_alu instid0(VALU_DEP_2) | instskip(NEXT) | instid1(VALU_DEP_2)
	v_fma_f32 v8, 0x3f317217, v16, -v18
	v_sub_f32_e32 v19, 0x3fc90fdb, v17
	s_delay_alu instid0(VALU_DEP_2) | instskip(NEXT) | instid1(VALU_DEP_2)
	v_fmac_f32_e32 v8, 0x3377d1cf, v16
	v_cndmask_b32_e64 v17, v17, v19, s0
	v_cmp_gt_i32_e64 s0, 0, v2
	s_delay_alu instid0(VALU_DEP_3) | instskip(NEXT) | instid1(VALU_DEP_3)
	v_add_f32_e32 v8, v18, v8
	v_sub_f32_e32 v18, 0x40490fdb, v17
	s_delay_alu instid0(VALU_DEP_3) | instskip(SKIP_1) | instid1(VALU_DEP_4)
	v_cndmask_b32_e64 v19, 0, 0x40490fdb, s0
	v_cmp_gt_f32_e64 s0, 0, v2
	v_cndmask_b32_e32 v8, v16, v8, vcc_lo
	v_cmp_eq_f32_e32 vcc_lo, 0, v3
	s_delay_alu instid0(VALU_DEP_3) | instskip(SKIP_1) | instid1(VALU_DEP_4)
	v_cndmask_b32_e64 v16, v17, v18, s0
	v_cndmask_b32_e64 v17, 0x3f490fdb, v12, s0
	v_sub_f32_e32 v8, v8, v20
	s_delay_alu instid0(VALU_DEP_3) | instskip(SKIP_1) | instid1(VALU_DEP_2)
	v_cndmask_b32_e32 v16, v16, v19, vcc_lo
	s_and_b32 vcc_lo, s1, s3
	v_add_f32_e32 v8, 1.0, v8
	s_delay_alu instid0(VALU_DEP_2)
	v_cndmask_b32_e32 v16, v16, v17, vcc_lo
.LBB187_257:                            ;   in Loop: Header=BB187_162 Depth=1
	s_or_b32 exec_lo, exec_lo, s2
.LBB187_258:                            ;   in Loop: Header=BB187_162 Depth=1
	s_and_not1_saveexec_b32 s0, s11
	s_cbranch_execz .LBB187_264
; %bb.259:                              ;   in Loop: Header=BB187_162 Depth=1
	v_cmp_ngt_f32_e64 s1, 0x20000000, |v2|
	v_cmp_ngt_f32_e64 s2, 0x20000000, |v3|
                                        ; implicit-def: $vgpr8
	s_delay_alu instid0(VALU_DEP_1) | instskip(NEXT) | instid1(SALU_CYCLE_1)
	s_or_b32 s1, s1, s2
	s_and_saveexec_b32 s2, s1
	s_delay_alu instid0(SALU_CYCLE_1)
	s_xor_b32 s1, exec_lo, s2
; %bb.260:                              ;   in Loop: Header=BB187_162 Depth=1
	v_mul_f32_e32 v8, v3, v3
	s_delay_alu instid0(VALU_DEP_1)
	v_fmac_f32_e32 v8, v2, v2
; %bb.261:                              ;   in Loop: Header=BB187_162 Depth=1
	s_and_not1_saveexec_b32 s1, s1
; %bb.262:                              ;   in Loop: Header=BB187_162 Depth=1
	v_mul_f32_e32 v8, 4.0, v3
	v_mul_f32_e32 v2, 4.0, v2
	s_delay_alu instid0(VALU_DEP_2) | instskip(NEXT) | instid1(VALU_DEP_1)
	v_mul_f32_e32 v8, v8, v8
	v_fmac_f32_e32 v8, v2, v2
	s_delay_alu instid0(VALU_DEP_1)
	v_mul_f32_e32 v8, 0x3d800000, v8
; %bb.263:                              ;   in Loop: Header=BB187_162 Depth=1
	s_or_b32 exec_lo, exec_lo, s1
	s_delay_alu instid0(VALU_DEP_1) | instskip(SKIP_1) | instid1(VALU_DEP_1)
	v_cmp_gt_f32_e32 vcc_lo, 0x800000, v8
	v_cndmask_b32_e64 v2, 1.0, 0x4f800000, vcc_lo
	v_mul_f32_e32 v2, v8, v2
	s_delay_alu instid0(VALU_DEP_1) | instskip(SKIP_2) | instid1(VALU_DEP_1)
	v_log_f32_e32 v2, v2
	s_waitcnt_depctr 0xfff
	v_mul_f32_e32 v8, 0x3f317217, v2
	v_fma_f32 v16, 0x3f317217, v2, -v8
	s_delay_alu instid0(VALU_DEP_1) | instskip(NEXT) | instid1(VALU_DEP_1)
	v_fmac_f32_e32 v16, 0x3377d1cf, v2
	v_add_f32_e32 v8, v8, v16
	v_cndmask_b32_e64 v16, 0, 0x41b17218, vcc_lo
	v_cmp_gt_f32_e64 vcc_lo, 0x7f800000, |v2|
	s_delay_alu instid0(VALU_DEP_3) | instskip(NEXT) | instid1(VALU_DEP_1)
	v_cndmask_b32_e32 v2, v2, v8, vcc_lo
	v_sub_f32_e32 v8, v2, v16
	v_mov_b32_e32 v16, 0x7fc00000
.LBB187_264:                            ;   in Loop: Header=BB187_162 Depth=1
	s_or_b32 exec_lo, exec_lo, s0
                                        ; implicit-def: $vgpr2
                                        ; implicit-def: $vgpr17
	s_delay_alu instid0(SALU_CYCLE_1)
	s_mov_b32 s0, exec_lo
	v_cmpx_o_f32_e32 v5, v4
	s_xor_b32 s11, exec_lo, s0
	s_cbranch_execz .LBB187_292
; %bb.265:                              ;   in Loop: Header=BB187_162 Depth=1
	v_cmp_lt_f32_e64 s0, |v4|, |v5|
                                        ; implicit-def: $vgpr2
                                        ; implicit-def: $vgpr17
	s_mov_b32 s1, exec_lo
	s_delay_alu instid0(VALU_DEP_1) | instskip(NEXT) | instid1(VALU_DEP_1)
	v_cndmask_b32_e64 v18, |v5|, |v4|, s0
	v_cmpx_nlt_f32_e32 0x77f684df, v18
	s_xor_b32 s12, exec_lo, s1
	s_cbranch_execz .LBB187_289
; %bb.266:                              ;   in Loop: Header=BB187_162 Depth=1
	v_and_b32_e32 v2, 0x7fffffff, v5
                                        ; implicit-def: $vgpr17
	s_mov_b32 s1, exec_lo
	s_delay_alu instid0(VALU_DEP_1) | instskip(NEXT) | instid1(VALU_DEP_1)
	v_cndmask_b32_e64 v19, |v4|, v2, s0
                                        ; implicit-def: $vgpr2
	v_cmpx_neq_f32_e32 1.0, v19
	s_xor_b32 s16, exec_lo, s1
	s_cbranch_execz .LBB187_282
; %bb.267:                              ;   in Loop: Header=BB187_162 Depth=1
	v_dual_max_f32 v2, v18, v18 :: v_dual_max_f32 v17, v19, v19
	s_delay_alu instid0(VALU_DEP_1) | instskip(SKIP_1) | instid1(VALU_DEP_2)
	v_min_f32_e32 v20, v17, v2
	v_max_f32_e32 v2, v17, v2
                                        ; implicit-def: $vgpr17
	v_cmp_ngt_f32_e32 vcc_lo, 0x358637bd, v20
	s_delay_alu instid0(VALU_DEP_2) | instskip(NEXT) | instid1(VALU_DEP_1)
	v_cmp_nlt_f32_e64 s1, 0x49742400, v2
                                        ; implicit-def: $vgpr2
	s_and_b32 s1, s1, vcc_lo
	s_delay_alu instid0(SALU_CYCLE_1) | instskip(NEXT) | instid1(SALU_CYCLE_1)
	s_and_saveexec_b32 s2, s1
	s_xor_b32 s17, exec_lo, s2
	s_cbranch_execz .LBB187_279
; %bb.268:                              ;   in Loop: Header=BB187_162 Depth=1
                                        ; implicit-def: $vgpr2
                                        ; implicit-def: $vgpr17
	s_mov_b32 s1, exec_lo
	v_cmpx_le_f32_e32 1.0, v19
	s_xor_b32 s2, exec_lo, s1
	s_cbranch_execz .LBB187_270
; %bb.269:                              ;   in Loop: Header=BB187_162 Depth=1
	v_add_f32_e32 v2, -1.0, v19
	v_add_f32_e32 v17, 1.0, v19
	v_cmp_class_f32_e64 s3, v4, 0x204
	s_delay_alu instid0(VALU_DEP_2) | instskip(NEXT) | instid1(VALU_DEP_1)
	v_mul_f32_e32 v2, v2, v17
	v_fmac_f32_e32 v2, v18, v18
	s_delay_alu instid0(VALU_DEP_1) | instskip(SKIP_1) | instid1(VALU_DEP_2)
	v_add_f32_e32 v19, 1.0, v2
	v_cmp_neq_f32_e64 s1, -1.0, v2
	v_cvt_f64_f32_e32 v[17:18], v19
	s_delay_alu instid0(VALU_DEP_1) | instskip(SKIP_1) | instid1(VALU_DEP_1)
	v_frexp_exp_i32_f64_e32 v17, v[17:18]
	v_frexp_mant_f32_e32 v18, v19
	v_cmp_gt_f32_e32 vcc_lo, 0x3f2aaaab, v18
	v_add_f32_e32 v18, -1.0, v19
	s_delay_alu instid0(VALU_DEP_1) | instskip(NEXT) | instid1(VALU_DEP_1)
	v_sub_f32_e32 v21, v18, v19
	v_dual_sub_f32 v18, v2, v18 :: v_dual_add_f32 v21, 1.0, v21
	s_delay_alu instid0(VALU_DEP_1) | instskip(SKIP_2) | instid1(VALU_DEP_2)
	v_add_f32_e32 v18, v18, v21
	v_subrev_co_ci_u32_e32 v17, vcc_lo, 0, v17, vcc_lo
	v_cmp_eq_f32_e32 vcc_lo, 0x7f800000, v2
	v_sub_nc_u32_e32 v20, 0, v17
	v_cvt_f32_i32_e32 v17, v17
	s_delay_alu instid0(VALU_DEP_2) | instskip(SKIP_1) | instid1(VALU_DEP_2)
	v_ldexp_f32 v19, v19, v20
	v_ldexp_f32 v18, v18, v20
	v_add_f32_e32 v22, 1.0, v19
	s_delay_alu instid0(VALU_DEP_1) | instskip(NEXT) | instid1(VALU_DEP_1)
	v_add_f32_e32 v21, -1.0, v22
	v_sub_f32_e32 v21, v19, v21
	s_delay_alu instid0(VALU_DEP_1) | instskip(NEXT) | instid1(VALU_DEP_1)
	v_dual_add_f32 v21, v18, v21 :: v_dual_add_f32 v20, -1.0, v19
	v_add_f32_e32 v23, 1.0, v20
	s_delay_alu instid0(VALU_DEP_1) | instskip(NEXT) | instid1(VALU_DEP_3)
	v_sub_f32_e32 v19, v19, v23
	v_add_f32_e32 v23, v22, v21
	s_delay_alu instid0(VALU_DEP_1) | instskip(NEXT) | instid1(VALU_DEP_3)
	v_sub_f32_e32 v22, v23, v22
	v_add_f32_e32 v18, v18, v19
	v_rcp_f32_e32 v19, v23
	s_delay_alu instid0(VALU_DEP_2) | instskip(NEXT) | instid1(VALU_DEP_2)
	v_sub_f32_e32 v21, v21, v22
	v_add_f32_e32 v24, v20, v18
	s_delay_alu instid0(VALU_DEP_1) | instskip(SKIP_2) | instid1(VALU_DEP_1)
	v_sub_f32_e32 v20, v24, v20
	s_waitcnt_depctr 0xfff
	v_dual_mul_f32 v25, v24, v19 :: v_dual_sub_f32 v18, v18, v20
	v_mul_f32_e32 v26, v23, v25
	s_delay_alu instid0(VALU_DEP_1) | instskip(NEXT) | instid1(VALU_DEP_1)
	v_fma_f32 v22, v25, v23, -v26
	v_fmac_f32_e32 v22, v25, v21
	s_delay_alu instid0(VALU_DEP_1) | instskip(NEXT) | instid1(VALU_DEP_1)
	v_add_f32_e32 v27, v26, v22
	v_sub_f32_e32 v28, v24, v27
	s_delay_alu instid0(VALU_DEP_1) | instskip(SKIP_1) | instid1(VALU_DEP_2)
	v_sub_f32_e32 v24, v24, v28
	v_sub_f32_e32 v20, v27, v26
	;; [unrolled: 1-line block ×3, first 2 shown]
	s_delay_alu instid0(VALU_DEP_2) | instskip(NEXT) | instid1(VALU_DEP_2)
	v_sub_f32_e32 v20, v20, v22
	v_add_f32_e32 v18, v18, v24
	s_delay_alu instid0(VALU_DEP_1) | instskip(NEXT) | instid1(VALU_DEP_1)
	v_add_f32_e32 v18, v20, v18
	v_add_f32_e32 v20, v28, v18
	s_delay_alu instid0(VALU_DEP_1) | instskip(NEXT) | instid1(VALU_DEP_1)
	v_mul_f32_e32 v22, v19, v20
	v_mul_f32_e32 v24, v23, v22
	s_delay_alu instid0(VALU_DEP_1) | instskip(NEXT) | instid1(VALU_DEP_1)
	v_fma_f32 v23, v22, v23, -v24
	v_fmac_f32_e32 v23, v22, v21
	v_sub_f32_e32 v27, v28, v20
	s_delay_alu instid0(VALU_DEP_2) | instskip(NEXT) | instid1(VALU_DEP_2)
	v_add_f32_e32 v21, v24, v23
	v_add_f32_e32 v18, v18, v27
	s_delay_alu instid0(VALU_DEP_2) | instskip(SKIP_1) | instid1(VALU_DEP_2)
	v_sub_f32_e32 v26, v20, v21
	v_sub_f32_e32 v24, v21, v24
	;; [unrolled: 1-line block ×3, first 2 shown]
	s_delay_alu instid0(VALU_DEP_1) | instskip(NEXT) | instid1(VALU_DEP_3)
	v_sub_f32_e32 v20, v20, v21
	v_sub_f32_e32 v21, v24, v23
	v_max_f32_e64 v23, |v5|, |v5|
	s_delay_alu instid0(VALU_DEP_3) | instskip(SKIP_1) | instid1(VALU_DEP_1)
	v_add_f32_e32 v18, v18, v20
	v_add_f32_e32 v20, v25, v22
	v_dual_add_f32 v18, v21, v18 :: v_dual_sub_f32 v21, v20, v25
	s_delay_alu instid0(VALU_DEP_1) | instskip(NEXT) | instid1(VALU_DEP_2)
	v_add_f32_e32 v18, v26, v18
	v_sub_f32_e32 v21, v22, v21
	v_mul_f32_e32 v26, 0x3f317218, v17
	s_delay_alu instid0(VALU_DEP_3) | instskip(NEXT) | instid1(VALU_DEP_2)
	v_mul_f32_e32 v18, v19, v18
	v_fma_f32 v27, 0x3f317218, v17, -v26
	s_delay_alu instid0(VALU_DEP_1) | instskip(NEXT) | instid1(VALU_DEP_1)
	v_dual_add_f32 v18, v21, v18 :: v_dual_fmac_f32 v27, 0xb102e308, v17
	v_add_f32_e32 v19, v20, v18
	s_delay_alu instid0(VALU_DEP_1) | instskip(SKIP_1) | instid1(VALU_DEP_2)
	v_mul_f32_e32 v21, v19, v19
	v_ldexp_f32 v25, v19, 1
	v_fmaak_f32 v22, s8, v21, 0x3ecc95a3
	v_mul_f32_e32 v24, v19, v21
	v_sub_f32_e32 v19, v19, v20
	s_delay_alu instid0(VALU_DEP_3) | instskip(SKIP_1) | instid1(VALU_DEP_2)
	v_fmaak_f32 v21, v21, v22, 0x3f2aaada
	v_max_f32_e64 v22, |v4|, |v4|
	v_dual_sub_f32 v18, v18, v19 :: v_dual_mul_f32 v21, v24, v21
	s_delay_alu instid0(VALU_DEP_2) | instskip(SKIP_1) | instid1(VALU_DEP_3)
	v_max_f32_e32 v24, v22, v23
	v_min_f32_e32 v22, v22, v23
	v_ldexp_f32 v18, v18, 1
	s_delay_alu instid0(VALU_DEP_4) | instskip(NEXT) | instid1(VALU_DEP_4)
	v_add_f32_e32 v20, v25, v21
	v_frexp_mant_f32_e32 v23, v24
	v_frexp_exp_i32_f32_e32 v24, v24
	s_delay_alu instid0(VALU_DEP_3) | instskip(NEXT) | instid1(VALU_DEP_3)
	v_sub_f32_e32 v19, v20, v25
	v_rcp_f32_e32 v23, v23
	v_frexp_exp_i32_f32_e32 v25, v22
	s_delay_alu instid0(VALU_DEP_2) | instskip(SKIP_1) | instid1(VALU_DEP_3)
	v_sub_f32_e32 v19, v21, v19
	v_frexp_mant_f32_e32 v21, v22
	v_sub_nc_u32_e32 v22, v25, v24
	s_delay_alu instid0(VALU_DEP_3) | instskip(SKIP_1) | instid1(VALU_DEP_1)
	v_add_f32_e32 v17, v18, v19
	v_add_f32_e32 v19, v26, v27
	v_sub_f32_e32 v26, v19, v26
	s_delay_alu instid0(VALU_DEP_1)
	v_sub_f32_e32 v26, v27, v26
	s_delay_alu instid0(TRANS32_DEP_1) | instid1(VALU_DEP_4)
	v_dual_mul_f32 v18, v21, v23 :: v_dual_add_f32 v21, v20, v17
	s_delay_alu instid0(VALU_DEP_1) | instskip(NEXT) | instid1(VALU_DEP_2)
	v_ldexp_f32 v18, v18, v22
	v_add_f32_e32 v22, v19, v21
	s_delay_alu instid0(VALU_DEP_2) | instskip(NEXT) | instid1(VALU_DEP_1)
	v_dual_sub_f32 v20, v21, v20 :: v_dual_mul_f32 v23, v18, v18
	v_dual_sub_f32 v24, v22, v19 :: v_dual_sub_f32 v17, v17, v20
	s_delay_alu instid0(VALU_DEP_1) | instskip(SKIP_1) | instid1(VALU_DEP_3)
	v_dual_fmaak_f32 v25, s10, v23, 0xbc7a590c :: v_dual_sub_f32 v28, v22, v24
	v_sub_f32_e32 v20, v21, v24
	v_add_f32_e32 v24, v26, v17
	s_delay_alu instid0(VALU_DEP_3) | instskip(NEXT) | instid1(VALU_DEP_4)
	v_fmaak_f32 v25, v23, v25, 0x3d29fb3f
	v_sub_f32_e32 v19, v19, v28
	s_delay_alu instid0(VALU_DEP_2) | instskip(NEXT) | instid1(VALU_DEP_1)
	v_fmaak_f32 v21, v23, v25, 0xbd97d4d7
	v_dual_add_f32 v19, v20, v19 :: v_dual_fmaak_f32 v20, v23, v21, 0x3dd931b2
	v_sub_f32_e32 v21, v24, v26
	s_delay_alu instid0(VALU_DEP_2) | instskip(NEXT) | instid1(VALU_DEP_1)
	v_dual_add_f32 v19, v24, v19 :: v_dual_fmaak_f32 v20, v23, v20, 0xbe1160e6
	v_dual_sub_f32 v24, v24, v21 :: v_dual_add_f32 v25, v22, v19
	s_delay_alu instid0(VALU_DEP_2) | instskip(NEXT) | instid1(VALU_DEP_2)
	v_dual_sub_f32 v17, v17, v21 :: v_dual_fmaak_f32 v20, v23, v20, 0x3e4cb8bf
	v_dual_sub_f32 v21, v26, v24 :: v_dual_sub_f32 v22, v25, v22
	s_delay_alu instid0(VALU_DEP_1) | instskip(NEXT) | instid1(VALU_DEP_2)
	v_dual_fmaak_f32 v20, v23, v20, 0xbeaaaa62 :: v_dual_add_f32 v17, v17, v21
	v_sub_f32_e32 v19, v19, v22
	s_delay_alu instid0(VALU_DEP_1) | instskip(NEXT) | instid1(VALU_DEP_1)
	v_dual_mul_f32 v20, v23, v20 :: v_dual_add_f32 v17, v17, v19
	v_dual_fmac_f32 v18, v18, v20 :: v_dual_add_f32 v17, v25, v17
	s_delay_alu instid0(VALU_DEP_1) | instskip(NEXT) | instid1(VALU_DEP_2)
	v_sub_f32_e32 v19, 0x3fc90fdb, v18
	v_cndmask_b32_e32 v17, v17, v2, vcc_lo
	v_cmp_gt_i32_e32 vcc_lo, 0, v4
	s_delay_alu instid0(VALU_DEP_3) | instskip(SKIP_2) | instid1(VALU_DEP_3)
	v_cndmask_b32_e64 v18, v18, v19, s0
	v_cndmask_b32_e64 v19, 0, 0x40490fdb, vcc_lo
	v_cmp_ngt_f32_e32 vcc_lo, -1.0, v2
	v_sub_f32_e32 v20, 0x40490fdb, v18
	v_cndmask_b32_e32 v17, 0x7fc00000, v17, vcc_lo
	v_cmp_gt_f32_e32 vcc_lo, 0, v4
	s_delay_alu instid0(VALU_DEP_2) | instskip(NEXT) | instid1(VALU_DEP_4)
	v_cndmask_b32_e64 v17, 0xff800000, v17, s1
	v_cndmask_b32_e32 v18, v18, v20, vcc_lo
	v_cndmask_b32_e32 v20, 0x3f490fdb, v12, vcc_lo
	v_cmp_gt_f32_e64 vcc_lo, 0x33800000, |v2|
	v_cmp_class_f32_e64 s1, v5, 0x204
	v_cndmask_b32_e32 v2, v17, v2, vcc_lo
	v_cmp_eq_f32_e32 vcc_lo, 0, v5
	s_delay_alu instid0(VALU_DEP_2) | instskip(NEXT) | instid1(VALU_DEP_4)
	v_dual_mul_f32 v2, 0.5, v2 :: v_dual_cndmask_b32 v17, v18, v19
	s_and_b32 vcc_lo, s3, s1
                                        ; implicit-def: $vgpr18
                                        ; implicit-def: $vgpr19
	s_delay_alu instid0(VALU_DEP_1)
	v_cndmask_b32_e32 v17, v17, v20, vcc_lo
.LBB187_270:                            ;   in Loop: Header=BB187_162 Depth=1
	s_and_not1_saveexec_b32 s18, s2
	s_cbranch_execz .LBB187_278
; %bb.271:                              ;   in Loop: Header=BB187_162 Depth=1
	v_mul_f32_e32 v20, v18, v18
                                        ; implicit-def: $vgpr2
                                        ; implicit-def: $vgpr17
	s_mov_b32 s1, exec_lo
	s_delay_alu instid0(VALU_DEP_1) | instskip(NEXT) | instid1(VALU_DEP_1)
	v_fmac_f32_e32 v20, v19, v19
	v_cmpx_ge_f32_e32 0x3f333333, v20
	s_xor_b32 s2, exec_lo, s1
	s_cbranch_execz .LBB187_273
; %bb.272:                              ;   in Loop: Header=BB187_162 Depth=1
	v_max_f32_e64 v2, |v5|, |v5|
	v_max_f32_e64 v17, |v4|, |v4|
	v_cmp_gt_f32_e32 vcc_lo, 0x800000, v20
	v_cmp_gt_i32_e64 s1, 0, v4
	v_cmp_class_f32_e64 s3, v4, 0x204
	v_cmp_class_f32_e64 s4, v5, 0x204
	v_max_f32_e32 v18, v17, v2
	v_min_f32_e32 v2, v17, v2
	v_cndmask_b32_e64 v21, 0, 0x41b17218, vcc_lo
	s_delay_alu instid0(VALU_DEP_3) | instskip(SKIP_1) | instid1(VALU_DEP_2)
	v_frexp_mant_f32_e32 v19, v18
	v_frexp_exp_i32_f32_e32 v18, v18
	v_rcp_f32_e32 v17, v19
	v_frexp_exp_i32_f32_e32 v19, v2
	v_frexp_mant_f32_e32 v2, v2
	s_delay_alu instid0(VALU_DEP_2) | instskip(SKIP_3) | instid1(VALU_DEP_1)
	v_sub_nc_u32_e32 v18, v19, v18
	v_cndmask_b32_e64 v19, 1.0, 0x4f800000, vcc_lo
	s_waitcnt_depctr 0xfff
	v_dual_mul_f32 v2, v2, v17 :: v_dual_mul_f32 v19, v20, v19
	v_ldexp_f32 v2, v2, v18
	s_delay_alu instid0(VALU_DEP_2) | instskip(NEXT) | instid1(VALU_DEP_1)
	v_log_f32_e32 v19, v19
	v_mul_f32_e32 v17, v2, v2
	s_delay_alu instid0(VALU_DEP_1) | instskip(SKIP_3) | instid1(VALU_DEP_1)
	v_fmaak_f32 v18, s10, v17, 0xbc7a590c
	s_waitcnt_depctr 0xfff
	v_cmp_gt_f32_e64 vcc_lo, 0x7f800000, |v19|
	v_fmaak_f32 v18, v17, v18, 0x3d29fb3f
	v_fmaak_f32 v18, v17, v18, 0xbd97d4d7
	s_delay_alu instid0(VALU_DEP_1) | instskip(NEXT) | instid1(VALU_DEP_1)
	v_fmaak_f32 v18, v17, v18, 0x3dd931b2
	v_fmaak_f32 v18, v17, v18, 0xbe1160e6
	s_delay_alu instid0(VALU_DEP_1) | instskip(NEXT) | instid1(VALU_DEP_1)
	;; [unrolled: 3-line block ×3, first 2 shown]
	v_dual_mul_f32 v17, v17, v18 :: v_dual_mul_f32 v18, 0x3f317217, v19
	v_fmac_f32_e32 v2, v2, v17
	s_delay_alu instid0(VALU_DEP_2) | instskip(NEXT) | instid1(VALU_DEP_1)
	v_fma_f32 v17, 0x3f317217, v19, -v18
	v_fmac_f32_e32 v17, 0x3377d1cf, v19
	s_delay_alu instid0(VALU_DEP_1) | instskip(SKIP_2) | instid1(VALU_DEP_3)
	v_add_f32_e32 v17, v18, v17
	v_cndmask_b32_e64 v18, 0, 0x40490fdb, s1
	v_cmp_eq_f32_e64 s1, 0, v5
	v_cndmask_b32_e32 v17, v19, v17, vcc_lo
	v_cmp_gt_f32_e32 vcc_lo, 0, v4
	s_delay_alu instid0(VALU_DEP_2) | instskip(SKIP_2) | instid1(VALU_DEP_1)
	v_sub_f32_e32 v17, v17, v21
	v_cndmask_b32_e32 v19, 0x3f490fdb, v12, vcc_lo
	v_sub_f32_e32 v20, 0x3fc90fdb, v2
	v_cndmask_b32_e64 v2, v2, v20, s0
	s_delay_alu instid0(VALU_DEP_1) | instskip(NEXT) | instid1(VALU_DEP_1)
	v_sub_f32_e32 v20, 0x40490fdb, v2
	v_cndmask_b32_e32 v2, v2, v20, vcc_lo
	s_and_b32 vcc_lo, s3, s4
	s_delay_alu instid0(VALU_DEP_1) | instskip(NEXT) | instid1(VALU_DEP_1)
	v_cndmask_b32_e64 v18, v2, v18, s1
	v_dual_mul_f32 v2, 0.5, v17 :: v_dual_cndmask_b32 v17, v18, v19
                                        ; implicit-def: $vgpr19
                                        ; implicit-def: $vgpr18
.LBB187_273:                            ;   in Loop: Header=BB187_162 Depth=1
	s_and_not1_saveexec_b32 s19, s2
	s_cbranch_execz .LBB187_277
; %bb.274:                              ;   in Loop: Header=BB187_162 Depth=1
	v_and_b32_e32 v20, 0x7fff0000, v18
	v_and_b32_e32 v17, 0x7fff0000, v19
	s_mov_b32 s21, 0
	s_delay_alu instid0(VALU_DEP_2) | instskip(SKIP_1) | instid1(VALU_DEP_3)
	v_sub_f32_e32 v21, v18, v20
	v_mul_f32_e32 v18, v20, v20
	v_mul_f32_e32 v2, v17, v17
	v_sub_f32_e32 v19, v19, v17
	s_delay_alu instid0(VALU_DEP_1) | instskip(NEXT) | instid1(VALU_DEP_1)
	v_dual_add_f32 v27, v20, v20 :: v_dual_and_b32 v22, 0xffff0000, v19
	v_dual_sub_f32 v20, v19, v22 :: v_dual_and_b32 v23, 0xffff0000, v21
	s_delay_alu instid0(VALU_DEP_1) | instskip(SKIP_2) | instid1(VALU_DEP_3)
	v_dual_add_f32 v24, v17, v17 :: v_dual_mul_f32 v17, v27, v23
	v_dual_sub_f32 v28, v21, v23 :: v_dual_mul_f32 v19, v22, v22
	v_add_f32_e32 v21, v22, v22
	v_dual_mul_f32 v26, v24, v22 :: v_dual_add_f32 v29, v23, v23
	v_dual_mul_f32 v25, v23, v23 :: v_dual_mul_f32 v22, v24, v20
	s_delay_alu instid0(VALU_DEP_4) | instskip(NEXT) | instid1(VALU_DEP_4)
	v_mul_f32_e32 v24, v27, v28
	v_mul_f32_e32 v23, v21, v20
	;; [unrolled: 1-line block ×5, first 2 shown]
.LBB187_275:                            ;   Parent Loop BB187_162 Depth=1
                                        ; =>  This Inner Loop Header: Depth=2
	v_cmp_nlt_f32_e32 vcc_lo, v2, v18
	s_delay_alu instid0(VALU_DEP_2) | instskip(SKIP_1) | instid1(VALU_DEP_2)
	v_dual_mov_b32 v29, v27 :: v_dual_cndmask_b32 v28, v2, v18
	v_cndmask_b32_e32 v2, v18, v2, vcc_lo
	v_cmp_nlt_f32_e64 s1, v28, v26
	s_delay_alu instid0(VALU_DEP_1) | instskip(SKIP_2) | instid1(VALU_DEP_2)
	v_cndmask_b32_e64 v27, v28, v26, s1
	v_cndmask_b32_e64 v18, v26, v28, s1
	s_and_b32 s22, vcc_lo, s1
	v_cmp_nlt_f32_e64 s2, v27, v17
	s_delay_alu instid0(VALU_DEP_1) | instskip(SKIP_1) | instid1(VALU_DEP_2)
	v_cndmask_b32_e64 v30, v27, v17, s2
	v_cndmask_b32_e64 v26, v17, v27, s2
	v_cmp_nlt_f32_e64 s3, v30, v19
	s_delay_alu instid0(VALU_DEP_1) | instskip(SKIP_2) | instid1(VALU_DEP_2)
	v_cndmask_b32_e64 v28, v30, v19, s3
	v_cndmask_b32_e64 v17, v19, v30, s3
	s_and_b32 s23, s2, s3
	v_cmp_nlt_f32_e64 s4, v28, v25
	s_delay_alu instid0(VALU_DEP_1) | instskip(SKIP_1) | instid1(VALU_DEP_2)
	v_cndmask_b32_e64 v31, v28, v25, s4
	v_cndmask_b32_e64 v19, v25, v28, s4
	v_cmp_nlt_f32_e64 s5, v31, v22
	s_delay_alu instid0(VALU_DEP_1) | instskip(SKIP_2) | instid1(VALU_DEP_2)
	v_cndmask_b32_e64 v32, v31, v22, s5
	s_and_b32 s3, s4, s5
	v_cndmask_b32_e64 v25, v22, v31, s5
	v_cmp_nlt_f32_e64 s6, v32, v24
	s_delay_alu instid0(VALU_DEP_1) | instskip(SKIP_2) | instid1(VALU_DEP_2)
	v_cndmask_b32_e64 v33, v32, v24, s6
	s_and_b32 s3, s3, s6
	v_cndmask_b32_e64 v22, v24, v32, s6
	v_cmp_nlt_f32_e32 vcc_lo, v33, v23
	v_cndmask_b32_e32 v34, v33, v23, vcc_lo
	s_and_b32 s4, s3, vcc_lo
	v_cndmask_b32_e32 v24, v23, v33, vcc_lo
	s_delay_alu instid0(VALU_DEP_2) | instskip(NEXT) | instid1(VALU_DEP_1)
	v_cmp_nlt_f32_e64 s1, v34, v21
	v_cndmask_b32_e64 v30, v34, v21, s1
	s_and_b32 s4, s4, s1
	v_cndmask_b32_e64 v23, v21, v34, s1
	s_delay_alu instid0(VALU_DEP_2) | instskip(NEXT) | instid1(VALU_DEP_1)
	v_cmp_nlt_f32_e64 s2, v30, v20
	v_cndmask_b32_e64 v28, v30, v20, s2
	s_and_b32 s4, s4, s2
	v_cndmask_b32_e64 v21, v20, v30, s2
	s_delay_alu instid0(VALU_DEP_2) | instskip(NEXT) | instid1(VALU_DEP_1)
	v_cmp_nlt_f32_e64 s3, v28, v29
	s_and_b32 s4, s4, s3
	v_cndmask_b32_e64 v27, v28, v29, s3
	s_and_b32 s1, s4, s23
	v_cndmask_b32_e64 v20, v29, v28, s3
	s_and_b32 s1, s1, s22
	s_delay_alu instid0(SALU_CYCLE_1) | instskip(NEXT) | instid1(SALU_CYCLE_1)
	s_and_b32 s1, exec_lo, s1
	s_or_b32 s21, s1, s21
	s_delay_alu instid0(SALU_CYCLE_1)
	s_and_not1_b32 exec_lo, exec_lo, s21
	s_cbranch_execnz .LBB187_275
; %bb.276:                              ;   in Loop: Header=BB187_162 Depth=1
	s_or_b32 exec_lo, exec_lo, s21
	v_add_f32_e32 v2, -1.0, v2
	v_cmp_class_f32_e64 s2, v4, 0x204
	s_delay_alu instid0(VALU_DEP_2) | instskip(NEXT) | instid1(VALU_DEP_1)
	v_add_f32_e32 v2, v2, v18
	v_add_f32_e32 v2, v2, v26
	s_delay_alu instid0(VALU_DEP_1) | instskip(NEXT) | instid1(VALU_DEP_1)
	v_add_f32_e32 v2, v2, v17
	v_add_f32_e32 v2, v2, v19
	s_delay_alu instid0(VALU_DEP_1) | instskip(NEXT) | instid1(VALU_DEP_1)
	;; [unrolled: 3-line block ×5, first 2 shown]
	v_add_f32_e32 v2, v27, v2
	v_add_f32_e32 v19, 1.0, v2
	s_delay_alu instid0(VALU_DEP_1) | instskip(NEXT) | instid1(VALU_DEP_1)
	v_cvt_f64_f32_e32 v[17:18], v19
	v_frexp_exp_i32_f64_e32 v17, v[17:18]
	v_frexp_mant_f32_e32 v18, v19
	s_delay_alu instid0(VALU_DEP_1) | instskip(SKIP_1) | instid1(VALU_DEP_1)
	v_cmp_gt_f32_e32 vcc_lo, 0x3f2aaaab, v18
	v_add_f32_e32 v18, -1.0, v19
	v_sub_f32_e32 v21, v18, v19
	s_delay_alu instid0(VALU_DEP_1) | instskip(NEXT) | instid1(VALU_DEP_1)
	v_dual_sub_f32 v18, v2, v18 :: v_dual_add_f32 v21, 1.0, v21
	v_add_f32_e32 v18, v18, v21
	v_subrev_co_ci_u32_e32 v17, vcc_lo, 0, v17, vcc_lo
	s_delay_alu instid0(VALU_DEP_1) | instskip(SKIP_1) | instid1(VALU_DEP_2)
	v_sub_nc_u32_e32 v20, 0, v17
	v_cvt_f32_i32_e32 v17, v17
	v_ldexp_f32 v19, v19, v20
	v_ldexp_f32 v18, v18, v20
	s_delay_alu instid0(VALU_DEP_2) | instskip(NEXT) | instid1(VALU_DEP_1)
	v_add_f32_e32 v22, 1.0, v19
	v_dual_add_f32 v20, -1.0, v19 :: v_dual_add_f32 v21, -1.0, v22
	s_delay_alu instid0(VALU_DEP_1) | instskip(NEXT) | instid1(VALU_DEP_2)
	v_add_f32_e32 v23, 1.0, v20
	v_sub_f32_e32 v21, v19, v21
	s_delay_alu instid0(VALU_DEP_2) | instskip(NEXT) | instid1(VALU_DEP_2)
	v_sub_f32_e32 v19, v19, v23
	v_add_f32_e32 v21, v18, v21
	s_delay_alu instid0(VALU_DEP_2) | instskip(SKIP_2) | instid1(VALU_DEP_4)
	v_add_f32_e32 v18, v18, v19
	v_cmp_eq_f32_e32 vcc_lo, 0x7f800000, v2
	v_cmp_neq_f32_e64 s1, -1.0, v2
	v_add_f32_e32 v23, v22, v21
	s_delay_alu instid0(VALU_DEP_1) | instskip(SKIP_1) | instid1(VALU_DEP_1)
	v_rcp_f32_e32 v19, v23
	v_sub_f32_e32 v22, v23, v22
	v_sub_f32_e32 v21, v21, v22
	v_add_f32_e32 v24, v20, v18
	s_waitcnt_depctr 0xfff
	v_mul_f32_e32 v25, v24, v19
	s_delay_alu instid0(VALU_DEP_1) | instskip(NEXT) | instid1(VALU_DEP_1)
	v_mul_f32_e32 v26, v23, v25
	v_fma_f32 v22, v25, v23, -v26
	s_delay_alu instid0(VALU_DEP_1) | instskip(NEXT) | instid1(VALU_DEP_1)
	v_fmac_f32_e32 v22, v25, v21
	v_dual_add_f32 v27, v26, v22 :: v_dual_sub_f32 v20, v24, v20
	s_delay_alu instid0(VALU_DEP_1) | instskip(NEXT) | instid1(VALU_DEP_2)
	v_sub_f32_e32 v28, v24, v27
	v_sub_f32_e32 v18, v18, v20
	;; [unrolled: 1-line block ×3, first 2 shown]
	s_delay_alu instid0(VALU_DEP_3) | instskip(NEXT) | instid1(VALU_DEP_2)
	v_sub_f32_e32 v24, v24, v28
	v_sub_f32_e32 v20, v20, v22
	s_delay_alu instid0(VALU_DEP_2) | instskip(NEXT) | instid1(VALU_DEP_1)
	v_sub_f32_e32 v24, v24, v27
	v_add_f32_e32 v18, v18, v24
	s_delay_alu instid0(VALU_DEP_1) | instskip(NEXT) | instid1(VALU_DEP_1)
	v_add_f32_e32 v18, v20, v18
	v_add_f32_e32 v20, v28, v18
	s_delay_alu instid0(VALU_DEP_1) | instskip(NEXT) | instid1(VALU_DEP_1)
	v_mul_f32_e32 v22, v19, v20
	v_dual_sub_f32 v27, v28, v20 :: v_dual_mul_f32 v24, v23, v22
	s_delay_alu instid0(VALU_DEP_1) | instskip(NEXT) | instid1(VALU_DEP_2)
	v_add_f32_e32 v18, v18, v27
	v_fma_f32 v23, v22, v23, -v24
	s_delay_alu instid0(VALU_DEP_1) | instskip(NEXT) | instid1(VALU_DEP_1)
	v_fmac_f32_e32 v23, v22, v21
	v_add_f32_e32 v21, v24, v23
	s_delay_alu instid0(VALU_DEP_1) | instskip(SKIP_1) | instid1(VALU_DEP_2)
	v_sub_f32_e32 v26, v20, v21
	v_sub_f32_e32 v24, v21, v24
	;; [unrolled: 1-line block ×3, first 2 shown]
	s_delay_alu instid0(VALU_DEP_1) | instskip(NEXT) | instid1(VALU_DEP_3)
	v_sub_f32_e32 v20, v20, v21
	v_sub_f32_e32 v21, v24, v23
	v_max_f32_e64 v23, |v5|, |v5|
	s_delay_alu instid0(VALU_DEP_3) | instskip(SKIP_1) | instid1(VALU_DEP_1)
	v_add_f32_e32 v18, v18, v20
	v_add_f32_e32 v20, v25, v22
	v_dual_add_f32 v18, v21, v18 :: v_dual_sub_f32 v21, v20, v25
	s_delay_alu instid0(VALU_DEP_1) | instskip(NEXT) | instid1(VALU_DEP_2)
	v_add_f32_e32 v18, v26, v18
	v_sub_f32_e32 v21, v22, v21
	v_mul_f32_e32 v26, 0x3f317218, v17
	s_delay_alu instid0(VALU_DEP_3) | instskip(NEXT) | instid1(VALU_DEP_2)
	v_mul_f32_e32 v18, v19, v18
	v_fma_f32 v27, 0x3f317218, v17, -v26
	s_delay_alu instid0(VALU_DEP_1) | instskip(NEXT) | instid1(VALU_DEP_1)
	v_dual_add_f32 v18, v21, v18 :: v_dual_fmac_f32 v27, 0xb102e308, v17
	v_add_f32_e32 v19, v20, v18
	s_delay_alu instid0(VALU_DEP_1) | instskip(SKIP_1) | instid1(VALU_DEP_2)
	v_mul_f32_e32 v21, v19, v19
	v_ldexp_f32 v25, v19, 1
	v_fmaak_f32 v22, s8, v21, 0x3ecc95a3
	v_mul_f32_e32 v24, v19, v21
	v_sub_f32_e32 v19, v19, v20
	s_delay_alu instid0(VALU_DEP_3) | instskip(SKIP_1) | instid1(VALU_DEP_2)
	v_fmaak_f32 v21, v21, v22, 0x3f2aaada
	v_max_f32_e64 v22, |v4|, |v4|
	v_dual_sub_f32 v18, v18, v19 :: v_dual_mul_f32 v21, v24, v21
	s_delay_alu instid0(VALU_DEP_2) | instskip(SKIP_1) | instid1(VALU_DEP_3)
	v_max_f32_e32 v24, v22, v23
	v_min_f32_e32 v22, v22, v23
	v_ldexp_f32 v18, v18, 1
	s_delay_alu instid0(VALU_DEP_4) | instskip(NEXT) | instid1(VALU_DEP_4)
	v_add_f32_e32 v20, v25, v21
	v_frexp_mant_f32_e32 v23, v24
	v_frexp_exp_i32_f32_e32 v24, v24
	s_delay_alu instid0(VALU_DEP_3) | instskip(NEXT) | instid1(VALU_DEP_3)
	v_sub_f32_e32 v19, v20, v25
	v_rcp_f32_e32 v23, v23
	v_frexp_exp_i32_f32_e32 v25, v22
	s_delay_alu instid0(VALU_DEP_2) | instskip(SKIP_1) | instid1(VALU_DEP_3)
	v_sub_f32_e32 v19, v21, v19
	v_frexp_mant_f32_e32 v21, v22
	v_sub_nc_u32_e32 v22, v25, v24
	s_delay_alu instid0(VALU_DEP_3) | instskip(SKIP_4) | instid1(VALU_DEP_3)
	v_add_f32_e32 v17, v18, v19
	s_waitcnt_depctr 0xfff
	v_mul_f32_e32 v18, v21, v23
	v_add_f32_e32 v19, v26, v27
	v_add_f32_e32 v21, v20, v17
	v_ldexp_f32 v18, v18, v22
	s_delay_alu instid0(VALU_DEP_3) | instskip(NEXT) | instid1(VALU_DEP_2)
	v_sub_f32_e32 v26, v19, v26
	v_dual_add_f32 v22, v19, v21 :: v_dual_mul_f32 v23, v18, v18
	v_sub_f32_e32 v20, v21, v20
	s_delay_alu instid0(VALU_DEP_3) | instskip(NEXT) | instid1(VALU_DEP_3)
	v_sub_f32_e32 v26, v27, v26
	v_sub_f32_e32 v24, v22, v19
	s_delay_alu instid0(VALU_DEP_4) | instskip(NEXT) | instid1(VALU_DEP_4)
	v_fmaak_f32 v25, s10, v23, 0xbc7a590c
	v_sub_f32_e32 v17, v17, v20
	s_delay_alu instid0(VALU_DEP_2) | instskip(SKIP_1) | instid1(VALU_DEP_2)
	v_dual_sub_f32 v28, v22, v24 :: v_dual_fmaak_f32 v25, v23, v25, 0x3d29fb3f
	v_sub_f32_e32 v20, v21, v24
	v_dual_add_f32 v24, v26, v17 :: v_dual_sub_f32 v19, v19, v28
	s_delay_alu instid0(VALU_DEP_3) | instskip(NEXT) | instid1(VALU_DEP_1)
	v_fmaak_f32 v21, v23, v25, 0xbd97d4d7
	v_dual_add_f32 v19, v20, v19 :: v_dual_fmaak_f32 v20, v23, v21, 0x3dd931b2
	s_delay_alu instid0(VALU_DEP_3) | instskip(NEXT) | instid1(VALU_DEP_2)
	v_sub_f32_e32 v21, v24, v26
	v_dual_add_f32 v19, v24, v19 :: v_dual_fmaak_f32 v20, v23, v20, 0xbe1160e6
	s_delay_alu instid0(VALU_DEP_2) | instskip(SKIP_1) | instid1(VALU_DEP_3)
	v_sub_f32_e32 v24, v24, v21
	v_sub_f32_e32 v17, v17, v21
	v_dual_add_f32 v25, v22, v19 :: v_dual_fmaak_f32 v20, v23, v20, 0x3e4cb8bf
	s_delay_alu instid0(VALU_DEP_1) | instskip(NEXT) | instid1(VALU_DEP_1)
	v_dual_sub_f32 v21, v26, v24 :: v_dual_sub_f32 v22, v25, v22
	v_dual_fmaak_f32 v20, v23, v20, 0xbeaaaa62 :: v_dual_add_f32 v17, v17, v21
	s_delay_alu instid0(VALU_DEP_2) | instskip(NEXT) | instid1(VALU_DEP_1)
	v_sub_f32_e32 v19, v19, v22
	v_dual_mul_f32 v20, v23, v20 :: v_dual_add_f32 v17, v17, v19
	s_delay_alu instid0(VALU_DEP_1) | instskip(NEXT) | instid1(VALU_DEP_1)
	v_dual_fmac_f32 v18, v18, v20 :: v_dual_add_f32 v17, v25, v17
	v_sub_f32_e32 v19, 0x3fc90fdb, v18
	s_delay_alu instid0(VALU_DEP_2) | instskip(SKIP_1) | instid1(VALU_DEP_3)
	v_cndmask_b32_e32 v17, v17, v2, vcc_lo
	v_cmp_gt_i32_e32 vcc_lo, 0, v4
	v_cndmask_b32_e64 v18, v18, v19, s0
	v_cndmask_b32_e64 v19, 0, 0x40490fdb, vcc_lo
	v_cmp_ngt_f32_e32 vcc_lo, -1.0, v2
	s_delay_alu instid0(VALU_DEP_3) | instskip(SKIP_2) | instid1(VALU_DEP_2)
	v_sub_f32_e32 v20, 0x40490fdb, v18
	v_cndmask_b32_e32 v17, 0x7fc00000, v17, vcc_lo
	v_cmp_gt_f32_e32 vcc_lo, 0, v4
	v_cndmask_b32_e64 v17, 0xff800000, v17, s1
	s_delay_alu instid0(VALU_DEP_4)
	v_cndmask_b32_e32 v18, v18, v20, vcc_lo
	v_cndmask_b32_e32 v20, 0x3f490fdb, v12, vcc_lo
	v_cmp_gt_f32_e64 vcc_lo, 0x33800000, |v2|
	v_cmp_class_f32_e64 s1, v5, 0x204
	v_cndmask_b32_e32 v2, v17, v2, vcc_lo
	v_cmp_eq_f32_e32 vcc_lo, 0, v5
	s_delay_alu instid0(VALU_DEP_2) | instskip(NEXT) | instid1(VALU_DEP_4)
	v_dual_mul_f32 v2, 0.5, v2 :: v_dual_cndmask_b32 v17, v18, v19
	s_and_b32 vcc_lo, s2, s1
	s_delay_alu instid0(VALU_DEP_1)
	v_cndmask_b32_e32 v17, v17, v20, vcc_lo
.LBB187_277:                            ;   in Loop: Header=BB187_162 Depth=1
	s_or_b32 exec_lo, exec_lo, s19
.LBB187_278:                            ;   in Loop: Header=BB187_162 Depth=1
	s_delay_alu instid0(SALU_CYCLE_1)
	s_or_b32 exec_lo, exec_lo, s18
.LBB187_279:                            ;   in Loop: Header=BB187_162 Depth=1
	s_and_not1_saveexec_b32 s2, s17
	s_cbranch_execz .LBB187_281
; %bb.280:                              ;   in Loop: Header=BB187_162 Depth=1
	v_max_f32_e64 v2, |v5|, |v5|
	v_max_f32_e64 v19, |v4|, |v4|
	v_cmp_gt_i32_e64 s1, 0, v4
	v_cmp_class_f32_e64 s3, v4, 0x204
	v_cmp_class_f32_e64 s4, v5, 0x204
	s_delay_alu instid0(VALU_DEP_4) | instskip(SKIP_1) | instid1(VALU_DEP_2)
	v_max_f32_e32 v20, v19, v2
	v_min_f32_e32 v2, v19, v2
	v_cvt_f64_f32_e32 v[17:18], v20
	v_frexp_exp_i32_f32_e32 v19, v20
	s_delay_alu instid0(VALU_DEP_3) | instskip(SKIP_1) | instid1(VALU_DEP_2)
	v_frexp_exp_i32_f32_e32 v21, v2
	v_frexp_mant_f32_e32 v2, v2
	v_sub_nc_u32_e32 v19, v21, v19
	v_frexp_exp_i32_f64_e32 v17, v[17:18]
	v_frexp_mant_f32_e32 v18, v20
	s_delay_alu instid0(VALU_DEP_1) | instskip(SKIP_2) | instid1(VALU_DEP_1)
	v_rcp_f32_e32 v18, v18
	s_waitcnt_depctr 0xfff
	v_mul_f32_e32 v2, v2, v18
	v_ldexp_f32 v2, v2, v19
	v_sub_nc_u32_e32 v22, 0, v17
	s_delay_alu instid0(VALU_DEP_1) | instskip(SKIP_1) | instid1(VALU_DEP_2)
	v_ldexp_f32 v18, |v5|, v22
	v_ldexp_f32 v19, |v4|, v22
	v_mul_f32_e32 v18, v18, v18
	s_delay_alu instid0(VALU_DEP_1) | instskip(NEXT) | instid1(VALU_DEP_1)
	v_dual_mul_f32 v21, v2, v2 :: v_dual_fmac_f32 v18, v19, v19
	v_fmaak_f32 v19, s10, v21, 0xbc7a590c
	v_cmp_neq_f32_e32 vcc_lo, 0x7f800000, v20
	s_delay_alu instid0(VALU_DEP_3) | instskip(NEXT) | instid1(VALU_DEP_2)
	v_sqrt_f32_e32 v18, v18
	v_fmaak_f32 v19, v21, v19, 0x3d29fb3f
	s_delay_alu instid0(VALU_DEP_1) | instskip(SKIP_3) | instid1(VALU_DEP_2)
	v_fmaak_f32 v19, v21, v19, 0xbd97d4d7
	s_waitcnt_depctr 0xfff
	v_ldexp_f32 v17, v18, v17
	v_fmaak_f32 v18, v21, v19, 0x3dd931b2
	v_cndmask_b32_e32 v17, 0x7f800000, v17, vcc_lo
	s_delay_alu instid0(VALU_DEP_2) | instskip(NEXT) | instid1(VALU_DEP_2)
	v_fmaak_f32 v18, v21, v18, 0xbe1160e6
	v_cmp_gt_f32_e32 vcc_lo, 0x800000, v17
	s_delay_alu instid0(VALU_DEP_2) | instskip(SKIP_1) | instid1(VALU_DEP_2)
	v_fmaak_f32 v18, v21, v18, 0x3e4cb8bf
	v_cndmask_b32_e64 v19, 1.0, 0x4f800000, vcc_lo
	v_fmaak_f32 v18, v21, v18, 0xbeaaaa62
	s_delay_alu instid0(VALU_DEP_1) | instskip(NEXT) | instid1(VALU_DEP_1)
	v_mul_f32_e32 v18, v21, v18
	v_dual_mul_f32 v17, v17, v19 :: v_dual_fmac_f32 v2, v2, v18
	s_delay_alu instid0(VALU_DEP_1) | instskip(SKIP_2) | instid1(VALU_DEP_1)
	v_log_f32_e32 v17, v17
	s_waitcnt_depctr 0xfff
	v_mul_f32_e32 v18, 0x3f317217, v17
	v_fma_f32 v20, 0x3f317217, v17, -v18
	s_delay_alu instid0(VALU_DEP_1) | instskip(NEXT) | instid1(VALU_DEP_1)
	v_fmac_f32_e32 v20, 0x3377d1cf, v17
	v_dual_sub_f32 v19, 0x3fc90fdb, v2 :: v_dual_add_f32 v18, v18, v20
	s_delay_alu instid0(VALU_DEP_1) | instskip(SKIP_2) | instid1(VALU_DEP_3)
	v_cndmask_b32_e64 v2, v2, v19, s0
	v_cndmask_b32_e64 v19, 0, 0x40490fdb, s1
	v_cmp_gt_f32_e64 s1, 0, v4
	v_sub_f32_e32 v21, 0x40490fdb, v2
	s_delay_alu instid0(VALU_DEP_2) | instskip(NEXT) | instid1(VALU_DEP_2)
	v_cndmask_b32_e64 v20, 0x3f490fdb, v12, s1
	v_cndmask_b32_e64 v2, v2, v21, s1
	v_cndmask_b32_e64 v21, 0, 0x41b17218, vcc_lo
	v_cmp_gt_f32_e64 vcc_lo, 0x7f800000, |v17|
	v_cndmask_b32_e32 v17, v17, v18, vcc_lo
	v_cmp_eq_f32_e32 vcc_lo, 0, v5
	v_cndmask_b32_e32 v18, v2, v19, vcc_lo
	s_and_b32 vcc_lo, s3, s4
	s_delay_alu instid0(VALU_DEP_1)
	v_dual_sub_f32 v2, v17, v21 :: v_dual_cndmask_b32 v17, v18, v20
.LBB187_281:                            ;   in Loop: Header=BB187_162 Depth=1
	s_or_b32 exec_lo, exec_lo, s2
                                        ; implicit-def: $vgpr18
.LBB187_282:                            ;   in Loop: Header=BB187_162 Depth=1
	s_and_not1_saveexec_b32 s2, s16
	s_cbranch_execz .LBB187_288
; %bb.283:                              ;   in Loop: Header=BB187_162 Depth=1
                                        ; implicit-def: $vgpr2
                                        ; implicit-def: $vgpr17
	s_mov_b32 s1, exec_lo
	v_cmpx_ngt_f32_e32 0x1fec1e4a, v18
	s_xor_b32 s3, exec_lo, s1
	s_cbranch_execz .LBB187_285
; %bb.284:                              ;   in Loop: Header=BB187_162 Depth=1
	v_mul_f32_e32 v2, v18, v18
	v_cmp_gt_f32_e64 s1, 0, v4
	v_cmp_class_f32_e64 s4, v4, 0x204
	v_cmp_class_f32_e64 s6, v5, 0x204
	s_delay_alu instid0(VALU_DEP_4) | instskip(NEXT) | instid1(VALU_DEP_1)
	v_add_f32_e32 v19, 1.0, v2
	v_cvt_f64_f32_e32 v[17:18], v19
	s_delay_alu instid0(VALU_DEP_1) | instskip(SKIP_1) | instid1(VALU_DEP_1)
	v_frexp_exp_i32_f64_e32 v17, v[17:18]
	v_frexp_mant_f32_e32 v18, v19
	v_cmp_gt_f32_e32 vcc_lo, 0x3f2aaaab, v18
	v_add_f32_e32 v18, -1.0, v19
	s_delay_alu instid0(VALU_DEP_1) | instskip(NEXT) | instid1(VALU_DEP_1)
	v_sub_f32_e32 v21, v18, v19
	v_dual_add_f32 v21, 1.0, v21 :: v_dual_sub_f32 v18, v2, v18
	v_cmp_gt_f32_e64 s5, 0x33800000, |v2|
	s_delay_alu instid0(VALU_DEP_2) | instskip(SKIP_2) | instid1(VALU_DEP_2)
	v_add_f32_e32 v18, v18, v21
	v_subrev_co_ci_u32_e32 v17, vcc_lo, 0, v17, vcc_lo
	v_cmp_gt_i32_e32 vcc_lo, 0, v4
	v_sub_nc_u32_e32 v20, 0, v17
	v_cvt_f32_i32_e32 v17, v17
	s_delay_alu instid0(VALU_DEP_2) | instskip(SKIP_1) | instid1(VALU_DEP_2)
	v_ldexp_f32 v19, v19, v20
	v_ldexp_f32 v18, v18, v20
	v_add_f32_e32 v20, -1.0, v19
	s_delay_alu instid0(VALU_DEP_1) | instskip(NEXT) | instid1(VALU_DEP_1)
	v_dual_add_f32 v22, 1.0, v19 :: v_dual_add_f32 v23, 1.0, v20
	v_add_f32_e32 v21, -1.0, v22
	s_delay_alu instid0(VALU_DEP_1) | instskip(NEXT) | instid1(VALU_DEP_3)
	v_sub_f32_e32 v21, v19, v21
	v_sub_f32_e32 v19, v19, v23
	s_delay_alu instid0(VALU_DEP_2) | instskip(NEXT) | instid1(VALU_DEP_2)
	v_add_f32_e32 v21, v18, v21
	v_add_f32_e32 v18, v18, v19
	s_delay_alu instid0(VALU_DEP_1) | instskip(NEXT) | instid1(VALU_DEP_1)
	v_dual_add_f32 v24, v20, v18 :: v_dual_add_f32 v23, v22, v21
	v_rcp_f32_e32 v19, v23
	v_sub_f32_e32 v22, v22, v23
	s_delay_alu instid0(VALU_DEP_1) | instskip(SKIP_2) | instid1(VALU_DEP_1)
	v_dual_add_f32 v21, v21, v22 :: v_dual_sub_f32 v20, v20, v24
	s_waitcnt_depctr 0xfff
	v_dual_mul_f32 v25, v24, v19 :: v_dual_add_f32 v18, v18, v20
	v_mul_f32_e32 v26, v23, v25
	s_delay_alu instid0(VALU_DEP_1) | instskip(NEXT) | instid1(VALU_DEP_1)
	v_fma_f32 v22, v25, v23, -v26
	v_fmac_f32_e32 v22, v25, v21
	s_delay_alu instid0(VALU_DEP_1) | instskip(NEXT) | instid1(VALU_DEP_1)
	v_add_f32_e32 v27, v26, v22
	v_sub_f32_e32 v28, v24, v27
	s_delay_alu instid0(VALU_DEP_1) | instskip(SKIP_1) | instid1(VALU_DEP_2)
	v_sub_f32_e32 v24, v24, v28
	v_sub_f32_e32 v20, v27, v26
	;; [unrolled: 1-line block ×3, first 2 shown]
	s_delay_alu instid0(VALU_DEP_2) | instskip(NEXT) | instid1(VALU_DEP_2)
	v_sub_f32_e32 v20, v20, v22
	v_add_f32_e32 v18, v18, v24
	s_delay_alu instid0(VALU_DEP_1) | instskip(NEXT) | instid1(VALU_DEP_1)
	v_add_f32_e32 v18, v20, v18
	v_add_f32_e32 v20, v28, v18
	s_delay_alu instid0(VALU_DEP_1) | instskip(NEXT) | instid1(VALU_DEP_1)
	v_mul_f32_e32 v22, v19, v20
	v_dual_sub_f32 v27, v28, v20 :: v_dual_mul_f32 v24, v23, v22
	s_delay_alu instid0(VALU_DEP_1) | instskip(NEXT) | instid1(VALU_DEP_2)
	v_add_f32_e32 v18, v18, v27
	v_fma_f32 v23, v22, v23, -v24
	s_delay_alu instid0(VALU_DEP_1) | instskip(NEXT) | instid1(VALU_DEP_1)
	v_fmac_f32_e32 v23, v22, v21
	v_add_f32_e32 v21, v24, v23
	s_delay_alu instid0(VALU_DEP_1) | instskip(SKIP_1) | instid1(VALU_DEP_2)
	v_sub_f32_e32 v26, v20, v21
	v_sub_f32_e32 v24, v21, v24
	;; [unrolled: 1-line block ×3, first 2 shown]
	s_delay_alu instid0(VALU_DEP_1) | instskip(NEXT) | instid1(VALU_DEP_1)
	v_sub_f32_e32 v20, v20, v21
	v_dual_sub_f32 v21, v24, v23 :: v_dual_add_f32 v18, v18, v20
	v_add_f32_e32 v20, v25, v22
	s_delay_alu instid0(VALU_DEP_1) | instskip(NEXT) | instid1(VALU_DEP_1)
	v_dual_add_f32 v18, v21, v18 :: v_dual_sub_f32 v21, v20, v25
	v_add_f32_e32 v18, v26, v18
	s_delay_alu instid0(VALU_DEP_2) | instskip(SKIP_1) | instid1(VALU_DEP_3)
	v_sub_f32_e32 v21, v22, v21
	v_max_f32_e64 v22, |v4|, |v4|
	v_mul_f32_e32 v18, v19, v18
	v_max_f32_e64 v19, |v5|, |v5|
	s_delay_alu instid0(VALU_DEP_2) | instskip(NEXT) | instid1(VALU_DEP_2)
	v_add_f32_e32 v18, v21, v18
	v_max_f32_e32 v24, v22, v19
	v_min_f32_e32 v19, v22, v19
	s_delay_alu instid0(VALU_DEP_3) | instskip(NEXT) | instid1(VALU_DEP_3)
	v_add_f32_e32 v21, v20, v18
	v_frexp_mant_f32_e32 v26, v24
	v_frexp_exp_i32_f32_e32 v22, v24
	s_delay_alu instid0(VALU_DEP_3) | instskip(SKIP_1) | instid1(VALU_DEP_2)
	v_mul_f32_e32 v23, v21, v21
	v_ldexp_f32 v27, v21, 1
	v_dual_sub_f32 v20, v21, v20 :: v_dual_fmaak_f32 v25, s8, v23, 0x3ecc95a3
	v_mul_f32_e32 v24, v21, v23
	s_delay_alu instid0(VALU_DEP_2) | instskip(SKIP_3) | instid1(VALU_DEP_3)
	v_dual_sub_f32 v18, v18, v20 :: v_dual_fmaak_f32 v23, v23, v25, 0x3f2aaada
	v_rcp_f32_e32 v25, v26
	v_frexp_exp_i32_f32_e32 v26, v19
	v_frexp_mant_f32_e32 v19, v19
	v_ldexp_f32 v18, v18, 1
	v_dual_mul_f32 v23, v24, v23 :: v_dual_mul_f32 v24, 0x3f317218, v17
	s_delay_alu instid0(VALU_DEP_4) | instskip(NEXT) | instid1(VALU_DEP_2)
	v_sub_nc_u32_e32 v22, v26, v22
	v_add_f32_e32 v21, v27, v23
	s_delay_alu instid0(TRANS32_DEP_1) | instid1(VALU_DEP_1)
	v_dual_mul_f32 v19, v19, v25 :: v_dual_sub_f32 v20, v21, v27
	s_delay_alu instid0(VALU_DEP_1) | instskip(SKIP_1) | instid1(VALU_DEP_3)
	v_ldexp_f32 v19, v19, v22
	v_fma_f32 v22, 0x3f317218, v17, -v24
	v_sub_f32_e32 v20, v23, v20
	s_delay_alu instid0(VALU_DEP_2) | instskip(NEXT) | instid1(VALU_DEP_1)
	v_dual_mul_f32 v23, v19, v19 :: v_dual_fmac_f32 v22, 0xb102e308, v17
	v_dual_add_f32 v17, v18, v20 :: v_dual_fmaak_f32 v18, s10, v23, 0xbc7a590c
	s_delay_alu instid0(VALU_DEP_1) | instskip(NEXT) | instid1(VALU_DEP_2)
	v_dual_add_f32 v20, v24, v22 :: v_dual_add_f32 v25, v21, v17
	v_fmaak_f32 v18, v23, v18, 0x3d29fb3f
	s_delay_alu instid0(VALU_DEP_2) | instskip(NEXT) | instid1(VALU_DEP_3)
	v_sub_f32_e32 v24, v20, v24
	v_add_f32_e32 v26, v20, v25
	s_delay_alu instid0(VALU_DEP_3) | instskip(NEXT) | instid1(VALU_DEP_3)
	v_dual_fmaak_f32 v18, v23, v18, 0xbd97d4d7 :: v_dual_sub_f32 v21, v25, v21
	v_sub_f32_e32 v22, v22, v24
	s_delay_alu instid0(VALU_DEP_2) | instskip(NEXT) | instid1(VALU_DEP_1)
	v_dual_sub_f32 v27, v26, v20 :: v_dual_fmaak_f32 v18, v23, v18, 0x3dd931b2
	v_dual_sub_f32 v17, v17, v21 :: v_dual_sub_f32 v28, v26, v27
	s_delay_alu instid0(VALU_DEP_2) | instskip(NEXT) | instid1(VALU_DEP_2)
	v_dual_fmaak_f32 v18, v23, v18, 0xbe1160e6 :: v_dual_sub_f32 v21, v25, v27
	v_add_f32_e32 v24, v22, v17
	s_delay_alu instid0(VALU_DEP_3) | instskip(NEXT) | instid1(VALU_DEP_3)
	v_sub_f32_e32 v20, v20, v28
	v_fmaak_f32 v18, v23, v18, 0x3e4cb8bf
	s_delay_alu instid0(VALU_DEP_2) | instskip(NEXT) | instid1(VALU_DEP_2)
	v_add_f32_e32 v20, v21, v20
	v_fmaak_f32 v18, v23, v18, 0xbeaaaa62
	v_sub_f32_e32 v21, v24, v22
	s_delay_alu instid0(VALU_DEP_3) | instskip(NEXT) | instid1(VALU_DEP_2)
	v_add_f32_e32 v20, v24, v20
	v_dual_mul_f32 v18, v23, v18 :: v_dual_sub_f32 v23, v24, v21
	s_delay_alu instid0(VALU_DEP_2) | instskip(NEXT) | instid1(VALU_DEP_2)
	v_dual_sub_f32 v17, v17, v21 :: v_dual_add_f32 v24, v26, v20
	v_dual_fmac_f32 v19, v19, v18 :: v_dual_sub_f32 v18, v22, v23
	s_delay_alu instid0(VALU_DEP_1) | instskip(NEXT) | instid1(VALU_DEP_1)
	v_dual_sub_f32 v21, v24, v26 :: v_dual_sub_f32 v22, 0x3fc90fdb, v19
	v_dual_add_f32 v17, v17, v18 :: v_dual_sub_f32 v18, v20, v21
	s_delay_alu instid0(VALU_DEP_2) | instskip(SKIP_2) | instid1(VALU_DEP_3)
	v_cndmask_b32_e64 v19, v19, v22, s0
	v_cndmask_b32_e64 v20, 0, 0x40490fdb, vcc_lo
	v_cmp_eq_f32_e32 vcc_lo, 0x7f800000, v2
	v_dual_add_f32 v17, v17, v18 :: v_dual_sub_f32 v18, 0x40490fdb, v19
	s_or_b32 vcc_lo, vcc_lo, s5
	s_delay_alu instid0(VALU_DEP_1) | instskip(NEXT) | instid1(VALU_DEP_2)
	v_add_f32_e32 v17, v24, v17
	v_cndmask_b32_e64 v18, v19, v18, s1
	v_cndmask_b32_e64 v19, 0x3f490fdb, v12, s1
	s_delay_alu instid0(VALU_DEP_3) | instskip(SKIP_1) | instid1(VALU_DEP_2)
	v_cndmask_b32_e32 v2, v17, v2, vcc_lo
	v_cmp_eq_f32_e32 vcc_lo, 0, v5
	v_dual_mul_f32 v2, 0.5, v2 :: v_dual_cndmask_b32 v17, v18, v20
	s_and_b32 vcc_lo, s4, s6
                                        ; implicit-def: $vgpr18
	s_delay_alu instid0(VALU_DEP_1)
	v_cndmask_b32_e32 v17, v17, v19, vcc_lo
.LBB187_285:                            ;   in Loop: Header=BB187_162 Depth=1
	s_and_not1_saveexec_b32 s3, s3
	s_cbranch_execz .LBB187_287
; %bb.286:                              ;   in Loop: Header=BB187_162 Depth=1
	v_max_f32_e64 v2, |v5|, |v5|
	v_max_f32_e64 v17, |v4|, |v4|
	v_cmp_gt_i32_e32 vcc_lo, 0, v4
	v_cmp_eq_f32_e64 s1, 0, v5
	v_cmp_class_f32_e64 s4, v4, 0x204
	v_cmp_class_f32_e64 s5, v5, 0x204
	v_max_f32_e32 v19, v17, v2
	v_min_f32_e32 v2, v17, v2
	s_delay_alu instid0(VALU_DEP_2) | instskip(NEXT) | instid1(VALU_DEP_1)
	v_frexp_mant_f32_e32 v20, v19
	v_rcp_f32_e32 v17, v20
	s_delay_alu instid0(VALU_DEP_2) | instskip(SKIP_4) | instid1(VALU_DEP_1)
	v_frexp_exp_i32_f32_e32 v20, v2
	v_frexp_mant_f32_e32 v2, v2
	s_waitcnt_depctr 0xfff
	v_mul_f32_e32 v2, v2, v17
	v_frexp_exp_i32_f32_e32 v19, v19
	v_sub_nc_u32_e32 v19, v20, v19
	s_delay_alu instid0(VALU_DEP_1) | instskip(NEXT) | instid1(VALU_DEP_1)
	v_ldexp_f32 v2, v2, v19
	v_mul_f32_e32 v17, v2, v2
	s_delay_alu instid0(VALU_DEP_1) | instskip(NEXT) | instid1(VALU_DEP_1)
	v_fmaak_f32 v19, s10, v17, 0xbc7a590c
	v_fmaak_f32 v19, v17, v19, 0x3d29fb3f
	s_delay_alu instid0(VALU_DEP_1) | instskip(NEXT) | instid1(VALU_DEP_1)
	v_fmaak_f32 v19, v17, v19, 0xbd97d4d7
	v_fmaak_f32 v19, v17, v19, 0x3dd931b2
	;; [unrolled: 3-line block ×3, first 2 shown]
	s_delay_alu instid0(VALU_DEP_1) | instskip(NEXT) | instid1(VALU_DEP_1)
	v_fmaak_f32 v19, v17, v19, 0xbeaaaa62
	v_mul_f32_e32 v17, v17, v19
	v_cndmask_b32_e64 v19, 0, 0x40490fdb, vcc_lo
	v_cmp_gt_f32_e32 vcc_lo, 0, v4
	s_delay_alu instid0(VALU_DEP_3) | instskip(SKIP_1) | instid1(VALU_DEP_2)
	v_fmac_f32_e32 v2, v2, v17
	v_cndmask_b32_e32 v20, 0x3f490fdb, v12, vcc_lo
	v_sub_f32_e32 v17, 0x3fc90fdb, v2
	s_delay_alu instid0(VALU_DEP_1) | instskip(NEXT) | instid1(VALU_DEP_1)
	v_cndmask_b32_e64 v2, v2, v17, s0
	v_sub_f32_e32 v17, 0x40490fdb, v2
	s_delay_alu instid0(VALU_DEP_1) | instskip(SKIP_1) | instid1(VALU_DEP_1)
	v_dual_cndmask_b32 v2, v2, v17 :: v_dual_mul_f32 v17, 0.5, v18
	s_and_b32 vcc_lo, s4, s5
	v_cndmask_b32_e64 v19, v2, v19, s1
	s_delay_alu instid0(VALU_DEP_1)
	v_dual_mul_f32 v2, v18, v17 :: v_dual_cndmask_b32 v17, v19, v20
.LBB187_287:                            ;   in Loop: Header=BB187_162 Depth=1
	s_or_b32 exec_lo, exec_lo, s3
.LBB187_288:                            ;   in Loop: Header=BB187_162 Depth=1
	s_delay_alu instid0(SALU_CYCLE_1)
	s_or_b32 exec_lo, exec_lo, s2
.LBB187_289:                            ;   in Loop: Header=BB187_162 Depth=1
	s_and_not1_saveexec_b32 s2, s12
	s_cbranch_execz .LBB187_291
; %bb.290:                              ;   in Loop: Header=BB187_162 Depth=1
	v_div_scale_f32 v2, null, 0x402df854, 0x402df854, v4
	v_div_scale_f32 v17, null, 0x402df854, 0x402df854, v5
	v_div_scale_f32 v22, vcc_lo, v4, 0x402df854, v4
	s_delay_alu instid0(VALU_DEP_3) | instskip(NEXT) | instid1(VALU_DEP_2)
	v_rcp_f32_e32 v18, v2
	v_rcp_f32_e32 v19, v17
	v_cmp_class_f32_e64 s3, v5, 0x204
	s_waitcnt_depctr 0xfff
	v_fma_f32 v20, -v2, v18, 1.0
	v_fma_f32 v21, -v17, v19, 1.0
	s_delay_alu instid0(VALU_DEP_1) | instskip(SKIP_1) | instid1(VALU_DEP_2)
	v_dual_fmac_f32 v18, v20, v18 :: v_dual_fmac_f32 v19, v21, v19
	v_div_scale_f32 v20, s1, v5, 0x402df854, v5
	v_mul_f32_e32 v21, v22, v18
	s_delay_alu instid0(VALU_DEP_1) | instskip(NEXT) | instid1(VALU_DEP_1)
	v_fma_f32 v24, -v2, v21, v22
	v_fmac_f32_e32 v21, v24, v18
	s_delay_alu instid0(VALU_DEP_1) | instskip(NEXT) | instid1(VALU_DEP_1)
	v_fma_f32 v2, -v2, v21, v22
	v_div_fmas_f32 v2, v2, v18, v21
	v_max_f32_e64 v21, |v4|, |v4|
	v_mul_f32_e32 v23, v20, v19
	s_mov_b32 vcc_lo, s1
	v_cmp_class_f32_e64 s1, v4, 0x204
	v_div_fixup_f32 v2, v2, 0x402df854, v4
	s_delay_alu instid0(VALU_DEP_3) | instskip(NEXT) | instid1(VALU_DEP_1)
	v_fma_f32 v25, -v17, v23, v20
	v_fmac_f32_e32 v23, v25, v19
	s_delay_alu instid0(VALU_DEP_1) | instskip(NEXT) | instid1(VALU_DEP_1)
	v_fma_f32 v17, -v17, v23, v20
	v_div_fmas_f32 v17, v17, v19, v23
	s_delay_alu instid0(VALU_DEP_1) | instskip(NEXT) | instid1(VALU_DEP_1)
	v_div_fixup_f32 v19, v17, 0x402df854, v5
	v_max_f32_e64 v20, |v2|, |v19|
	s_delay_alu instid0(VALU_DEP_1) | instskip(SKIP_1) | instid1(VALU_DEP_2)
	v_cvt_f64_f32_e32 v[17:18], v20
	v_cmp_neq_f32_e32 vcc_lo, 0x7f800000, v20
	v_frexp_exp_i32_f64_e32 v17, v[17:18]
	v_max_f32_e64 v18, |v5|, |v5|
	s_delay_alu instid0(VALU_DEP_1) | instskip(SKIP_1) | instid1(VALU_DEP_2)
	v_max_f32_e32 v22, v21, v18
	v_min_f32_e32 v18, v21, v18
	v_frexp_mant_f32_e32 v23, v22
	v_frexp_exp_i32_f32_e32 v22, v22
	s_delay_alu instid0(VALU_DEP_2) | instskip(SKIP_1) | instid1(VALU_DEP_1)
	v_rcp_f32_e32 v21, v23
	v_sub_nc_u32_e32 v23, 0, v17
	v_ldexp_f32 v19, |v19|, v23
	v_ldexp_f32 v2, |v2|, v23
	s_delay_alu instid0(VALU_DEP_2) | instskip(SKIP_2) | instid1(VALU_DEP_3)
	v_mul_f32_e32 v19, v19, v19
	v_frexp_exp_i32_f32_e32 v24, v18
	v_frexp_mant_f32_e32 v18, v18
	v_fmac_f32_e32 v19, v2, v2
	s_delay_alu instid0(VALU_DEP_3)
	v_sub_nc_u32_e32 v22, v24, v22
	s_delay_alu instid0(TRANS32_DEP_1) | instid1(VALU_DEP_3)
	v_mul_f32_e32 v18, v18, v21
	s_delay_alu instid0(VALU_DEP_3) | instskip(NEXT) | instid1(VALU_DEP_1)
	v_sqrt_f32_e32 v19, v19
	v_ldexp_f32 v18, v18, v22
	s_waitcnt_depctr 0xfff
	v_ldexp_f32 v17, v19, v17
	s_delay_alu instid0(VALU_DEP_1) | instskip(NEXT) | instid1(VALU_DEP_1)
	v_dual_mul_f32 v2, v18, v18 :: v_dual_cndmask_b32 v17, 0x7f800000, v17
	v_fmaak_f32 v21, s10, v2, 0xbc7a590c
	s_delay_alu instid0(VALU_DEP_2) | instskip(NEXT) | instid1(VALU_DEP_2)
	v_cmp_gt_f32_e32 vcc_lo, 0x800000, v17
	v_fmaak_f32 v21, v2, v21, 0x3d29fb3f
	v_cndmask_b32_e64 v20, 1.0, 0x4f800000, vcc_lo
	s_delay_alu instid0(VALU_DEP_1) | instskip(NEXT) | instid1(VALU_DEP_1)
	v_mul_f32_e32 v17, v17, v20
	v_log_f32_e32 v17, v17
	s_delay_alu instid0(VALU_DEP_3) | instskip(SKIP_1) | instid1(VALU_DEP_2)
	v_fmaak_f32 v19, v2, v21, 0xbd97d4d7
	v_cndmask_b32_e64 v21, 0, 0x41b17218, vcc_lo
	v_fmaak_f32 v19, v2, v19, 0x3dd931b2
	s_waitcnt_depctr 0xfff
	v_cmp_gt_f32_e64 vcc_lo, 0x7f800000, |v17|
	v_fmaak_f32 v19, v2, v19, 0xbe1160e6
	s_delay_alu instid0(VALU_DEP_1) | instskip(NEXT) | instid1(VALU_DEP_1)
	v_fmaak_f32 v19, v2, v19, 0x3e4cb8bf
	v_fmaak_f32 v19, v2, v19, 0xbeaaaa62
	s_delay_alu instid0(VALU_DEP_1) | instskip(NEXT) | instid1(VALU_DEP_1)
	v_dual_mul_f32 v2, v2, v19 :: v_dual_mul_f32 v19, 0x3f317217, v17
	v_fmac_f32_e32 v18, v18, v2
	s_delay_alu instid0(VALU_DEP_2) | instskip(NEXT) | instid1(VALU_DEP_2)
	v_fma_f32 v2, 0x3f317217, v17, -v19
	v_sub_f32_e32 v20, 0x3fc90fdb, v18
	s_delay_alu instid0(VALU_DEP_2) | instskip(NEXT) | instid1(VALU_DEP_2)
	v_fmac_f32_e32 v2, 0x3377d1cf, v17
	v_cndmask_b32_e64 v18, v18, v20, s0
	v_cmp_gt_i32_e64 s0, 0, v4
	s_delay_alu instid0(VALU_DEP_3) | instskip(NEXT) | instid1(VALU_DEP_2)
	v_add_f32_e32 v2, v19, v2
	v_cndmask_b32_e64 v20, 0, 0x40490fdb, s0
	v_cmp_gt_f32_e64 s0, 0, v4
	s_delay_alu instid0(VALU_DEP_3) | instskip(SKIP_2) | instid1(VALU_DEP_3)
	v_cndmask_b32_e32 v2, v17, v2, vcc_lo
	v_sub_f32_e32 v19, 0x40490fdb, v18
	v_cmp_eq_f32_e32 vcc_lo, 0, v5
	v_sub_f32_e32 v2, v2, v21
	s_delay_alu instid0(VALU_DEP_3) | instskip(SKIP_1) | instid1(VALU_DEP_2)
	v_cndmask_b32_e64 v17, v18, v19, s0
	v_cndmask_b32_e64 v18, 0x3f490fdb, v12, s0
	v_dual_add_f32 v2, 1.0, v2 :: v_dual_cndmask_b32 v17, v17, v20
	s_and_b32 vcc_lo, s1, s3
	s_delay_alu instid0(VALU_DEP_1)
	v_cndmask_b32_e32 v17, v17, v18, vcc_lo
.LBB187_291:                            ;   in Loop: Header=BB187_162 Depth=1
	s_or_b32 exec_lo, exec_lo, s2
.LBB187_292:                            ;   in Loop: Header=BB187_162 Depth=1
	s_and_not1_saveexec_b32 s0, s11
	s_cbranch_execz .LBB187_161
; %bb.293:                              ;   in Loop: Header=BB187_162 Depth=1
	v_cmp_ngt_f32_e64 s1, 0x20000000, |v4|
	v_cmp_ngt_f32_e64 s2, 0x20000000, |v5|
                                        ; implicit-def: $vgpr2
	s_delay_alu instid0(VALU_DEP_1) | instskip(NEXT) | instid1(SALU_CYCLE_1)
	s_or_b32 s1, s1, s2
	s_and_saveexec_b32 s2, s1
	s_delay_alu instid0(SALU_CYCLE_1)
	s_xor_b32 s1, exec_lo, s2
; %bb.294:                              ;   in Loop: Header=BB187_162 Depth=1
	v_mul_f32_e32 v2, v5, v5
	s_delay_alu instid0(VALU_DEP_1)
	v_fmac_f32_e32 v2, v4, v4
; %bb.295:                              ;   in Loop: Header=BB187_162 Depth=1
	s_and_not1_saveexec_b32 s1, s1
	s_cbranch_execz .LBB187_160
; %bb.296:                              ;   in Loop: Header=BB187_162 Depth=1
	v_mul_f32_e32 v2, 4.0, v5
	v_mul_f32_e32 v4, 4.0, v4
	s_delay_alu instid0(VALU_DEP_2) | instskip(NEXT) | instid1(VALU_DEP_1)
	v_mul_f32_e32 v2, v2, v2
	v_fmac_f32_e32 v2, v4, v4
	s_delay_alu instid0(VALU_DEP_1)
	v_mul_f32_e32 v2, 0x3d800000, v2
	s_branch .LBB187_160
.LBB187_297:
	s_nop 0
	s_sendmsg sendmsg(MSG_DEALLOC_VGPRS)
	s_endpgm
	.section	.rodata,"a",@progbits
	.p2align	6, 0x0
	.amdhsa_kernel _ZN2at6native12_GLOBAL__N_125multi_tensor_apply_kernelINS1_18TensorListMetadataILi1EEENS1_14UnaryOpFunctorIN3c107complexIfEELi1ELi1ELi0EEEJNS0_5Log10IS8_EEEEEvT_T0_DpT1_
		.amdhsa_group_segment_fixed_size 0
		.amdhsa_private_segment_fixed_size 0
		.amdhsa_kernarg_size 3632
		.amdhsa_user_sgpr_count 15
		.amdhsa_user_sgpr_dispatch_ptr 0
		.amdhsa_user_sgpr_queue_ptr 0
		.amdhsa_user_sgpr_kernarg_segment_ptr 1
		.amdhsa_user_sgpr_dispatch_id 0
		.amdhsa_user_sgpr_private_segment_size 0
		.amdhsa_wavefront_size32 1
		.amdhsa_uses_dynamic_stack 0
		.amdhsa_enable_private_segment 0
		.amdhsa_system_sgpr_workgroup_id_x 1
		.amdhsa_system_sgpr_workgroup_id_y 0
		.amdhsa_system_sgpr_workgroup_id_z 0
		.amdhsa_system_sgpr_workgroup_info 0
		.amdhsa_system_vgpr_workitem_id 0
		.amdhsa_next_free_vgpr 40
		.amdhsa_next_free_sgpr 37
		.amdhsa_reserve_vcc 1
		.amdhsa_float_round_mode_32 0
		.amdhsa_float_round_mode_16_64 0
		.amdhsa_float_denorm_mode_32 3
		.amdhsa_float_denorm_mode_16_64 3
		.amdhsa_dx10_clamp 1
		.amdhsa_ieee_mode 1
		.amdhsa_fp16_overflow 0
		.amdhsa_workgroup_processor_mode 1
		.amdhsa_memory_ordered 1
		.amdhsa_forward_progress 0
		.amdhsa_shared_vgpr_count 0
		.amdhsa_exception_fp_ieee_invalid_op 0
		.amdhsa_exception_fp_denorm_src 0
		.amdhsa_exception_fp_ieee_div_zero 0
		.amdhsa_exception_fp_ieee_overflow 0
		.amdhsa_exception_fp_ieee_underflow 0
		.amdhsa_exception_fp_ieee_inexact 0
		.amdhsa_exception_int_div_zero 0
	.end_amdhsa_kernel
	.section	.text._ZN2at6native12_GLOBAL__N_125multi_tensor_apply_kernelINS1_18TensorListMetadataILi1EEENS1_14UnaryOpFunctorIN3c107complexIfEELi1ELi1ELi0EEEJNS0_5Log10IS8_EEEEEvT_T0_DpT1_,"axG",@progbits,_ZN2at6native12_GLOBAL__N_125multi_tensor_apply_kernelINS1_18TensorListMetadataILi1EEENS1_14UnaryOpFunctorIN3c107complexIfEELi1ELi1ELi0EEEJNS0_5Log10IS8_EEEEEvT_T0_DpT1_,comdat
.Lfunc_end187:
	.size	_ZN2at6native12_GLOBAL__N_125multi_tensor_apply_kernelINS1_18TensorListMetadataILi1EEENS1_14UnaryOpFunctorIN3c107complexIfEELi1ELi1ELi0EEEJNS0_5Log10IS8_EEEEEvT_T0_DpT1_, .Lfunc_end187-_ZN2at6native12_GLOBAL__N_125multi_tensor_apply_kernelINS1_18TensorListMetadataILi1EEENS1_14UnaryOpFunctorIN3c107complexIfEELi1ELi1ELi0EEEJNS0_5Log10IS8_EEEEEvT_T0_DpT1_
                                        ; -- End function
	.section	.AMDGPU.csdata,"",@progbits
; Kernel info:
; codeLenInByte = 48964
; NumSgprs: 39
; NumVgprs: 40
; ScratchSize: 0
; MemoryBound: 1
; FloatMode: 240
; IeeeMode: 1
; LDSByteSize: 0 bytes/workgroup (compile time only)
; SGPRBlocks: 4
; VGPRBlocks: 4
; NumSGPRsForWavesPerEU: 39
; NumVGPRsForWavesPerEU: 40
; Occupancy: 16
; WaveLimiterHint : 0
; COMPUTE_PGM_RSRC2:SCRATCH_EN: 0
; COMPUTE_PGM_RSRC2:USER_SGPR: 15
; COMPUTE_PGM_RSRC2:TRAP_HANDLER: 0
; COMPUTE_PGM_RSRC2:TGID_X_EN: 1
; COMPUTE_PGM_RSRC2:TGID_Y_EN: 0
; COMPUTE_PGM_RSRC2:TGID_Z_EN: 0
; COMPUTE_PGM_RSRC2:TIDIG_COMP_CNT: 0
	.section	.text._ZN2at6native12_GLOBAL__N_125multi_tensor_apply_kernelINS1_18TensorListMetadataILi1EEENS1_14UnaryOpFunctorIN3c104HalfELi1ELi1ELi0EEEJNS0_5Log10IfEEEEEvT_T0_DpT1_,"axG",@progbits,_ZN2at6native12_GLOBAL__N_125multi_tensor_apply_kernelINS1_18TensorListMetadataILi1EEENS1_14UnaryOpFunctorIN3c104HalfELi1ELi1ELi0EEEJNS0_5Log10IfEEEEEvT_T0_DpT1_,comdat
	.globl	_ZN2at6native12_GLOBAL__N_125multi_tensor_apply_kernelINS1_18TensorListMetadataILi1EEENS1_14UnaryOpFunctorIN3c104HalfELi1ELi1ELi0EEEJNS0_5Log10IfEEEEEvT_T0_DpT1_ ; -- Begin function _ZN2at6native12_GLOBAL__N_125multi_tensor_apply_kernelINS1_18TensorListMetadataILi1EEENS1_14UnaryOpFunctorIN3c104HalfELi1ELi1ELi0EEEJNS0_5Log10IfEEEEEvT_T0_DpT1_
	.p2align	8
	.type	_ZN2at6native12_GLOBAL__N_125multi_tensor_apply_kernelINS1_18TensorListMetadataILi1EEENS1_14UnaryOpFunctorIN3c104HalfELi1ELi1ELi0EEEJNS0_5Log10IfEEEEEvT_T0_DpT1_,@function
_ZN2at6native12_GLOBAL__N_125multi_tensor_apply_kernelINS1_18TensorListMetadataILi1EEENS1_14UnaryOpFunctorIN3c104HalfELi1ELi1ELi0EEEJNS0_5Log10IfEEEEEvT_T0_DpT1_: ; @_ZN2at6native12_GLOBAL__N_125multi_tensor_apply_kernelINS1_18TensorListMetadataILi1EEENS1_14UnaryOpFunctorIN3c104HalfELi1ELi1ELi0EEEJNS0_5Log10IfEEEEEvT_T0_DpT1_
; %bb.0:
	v_mov_b32_e32 v1, s15
	s_add_u32 s2, s0, s15
	s_mul_hi_u32 s3, s15, 3
	s_mul_i32 s15, s15, 3
	s_addc_u32 s4, s1, 0
	global_load_u8 v1, v1, s[0:1] offset:1760
	s_add_u32 s2, s2, s15
	s_addc_u32 s3, s4, s3
	s_mov_b32 s13, 0
	s_load_b32 s2, s[2:3], 0x820
	s_waitcnt vmcnt(0)
	v_readfirstlane_b32 s5, v1
	s_delay_alu instid0(VALU_DEP_1)
	s_lshl_b32 s3, s5, 3
	s_clause 0x1
	s_load_b64 s[8:9], s[0:1], s3 offset:0x0
	s_load_b64 s[4:5], s[0:1], s3 offset:0x370
	s_waitcnt lgkmcnt(0)
	s_ashr_i32 s3, s2, 31
	s_delay_alu instid0(SALU_CYCLE_1)
	s_lshl_b64 s[10:11], s[2:3], 17
	s_lshl_b64 s[2:3], s[2:3], 16
	s_and_b32 s12, s8, 7
	s_sub_u32 s6, s4, s2
	s_subb_u32 s7, s5, s3
	s_and_b32 s2, s4, 3
	s_mov_b32 s3, s13
	s_delay_alu instid0(SALU_CYCLE_1) | instskip(NEXT) | instid1(SALU_CYCLE_1)
	s_or_b64 s[2:3], s[12:13], s[2:3]
	s_cmp_eq_u64 s[2:3], 0
	s_cbranch_scc1 .LBB188_21
; %bb.1:
	v_cmp_lt_i64_e64 s2, s[6:7], 1
	s_delay_alu instid0(VALU_DEP_1)
	s_and_b32 vcc_lo, exec_lo, s2
	s_cbranch_vccnz .LBB188_20
; %bb.2:
	s_load_b32 s2, s[0:1], 0xd3c
	v_cmp_gt_u64_e64 s3, 0x10000, s[6:7]
	v_lshlrev_b32_e32 v1, 1, v0
	s_waitcnt lgkmcnt(0)
	s_and_b32 s2, s2, 0xffff
	s_delay_alu instid0(VALU_DEP_2)
	s_and_b32 s3, s3, exec_lo
	v_add_co_u32 v5, s5, v0, s2
	s_cselect_b32 s13, s7, 0
	s_cselect_b32 s12, s6, 0x10000
	s_lshl_b32 s3, s2, 1
	s_lshl_b32 s16, s2, 2
	v_lshlrev_b32_e32 v3, 1, v5
	v_add_co_ci_u32_e64 v6, null, 0, 0, s5
	s_add_u32 s5, s8, s10
	v_add_co_u32 v9, s3, s3, v0
	s_mul_i32 s4, s2, 3
	s_addc_u32 s14, s9, s11
	v_add_co_ci_u32_e64 v10, null, 0, 0, s3
	v_add_co_u32 v1, s3, s5, v1
	v_add_co_u32 v7, s4, s4, v0
	v_add_co_ci_u32_e64 v2, null, s14, 0, s3
	v_add_co_u32 v3, s3, s5, v3
	v_add_co_ci_u32_e64 v8, null, 0, 0, s4
	v_add_co_ci_u32_e64 v4, null, s14, 0, s3
	s_lshl_b32 s17, s2, 3
	s_mul_i32 s18, s2, 6
	s_mov_b64 s[14:15], 0
	s_branch .LBB188_4
.LBB188_3:                              ;   in Loop: Header=BB188_4 Depth=1
	s_or_b32 exec_lo, exec_lo, s2
	s_add_u32 s14, s14, s16
	s_addc_u32 s15, s15, 0
	v_add_co_u32 v1, vcc_lo, v1, s17
	v_cmp_lt_i64_e64 s2, s[14:15], s[6:7]
	v_cmp_gt_u64_e64 s3, 0x10000, s[14:15]
	v_add_co_ci_u32_e32 v2, vcc_lo, 0, v2, vcc_lo
	v_add_co_u32 v3, vcc_lo, v3, s17
	v_add_co_ci_u32_e32 v4, vcc_lo, 0, v4, vcc_lo
	s_delay_alu instid0(VALU_DEP_4) | instskip(NEXT) | instid1(SALU_CYCLE_1)
	s_and_b32 s2, s2, s3
	s_and_b32 vcc_lo, exec_lo, s2
	s_cbranch_vccz .LBB188_20
.LBB188_4:                              ; =>This Inner Loop Header: Depth=1
	s_waitcnt vmcnt(0)
	v_add_co_u32 v11, s2, v0, s14
	s_delay_alu instid0(VALU_DEP_1) | instskip(SKIP_1) | instid1(VALU_DEP_2)
	v_add_co_ci_u32_e64 v12, null, 0, s15, s2
	v_mov_b32_e32 v14, 0
	v_cmp_gt_u64_e64 s4, s[12:13], v[11:12]
	s_delay_alu instid0(VALU_DEP_1)
	s_and_saveexec_b32 s2, s4
	s_cbranch_execz .LBB188_6
; %bb.5:                                ;   in Loop: Header=BB188_4 Depth=1
	global_load_u16 v14, v[1:2], off
.LBB188_6:                              ;   in Loop: Header=BB188_4 Depth=1
	s_or_b32 exec_lo, exec_lo, s2
	v_add_co_u32 v11, vcc_lo, v5, s14
	v_add_co_ci_u32_e32 v12, vcc_lo, s15, v6, vcc_lo
	s_delay_alu instid0(VALU_DEP_1) | instskip(SKIP_1) | instid1(VALU_DEP_2)
	v_cmp_gt_u64_e64 s3, s[12:13], v[11:12]
	v_mov_b32_e32 v12, 0
	s_and_saveexec_b32 s2, s3
	s_cbranch_execz .LBB188_8
; %bb.7:                                ;   in Loop: Header=BB188_4 Depth=1
	global_load_u16 v12, v[3:4], off
.LBB188_8:                              ;   in Loop: Header=BB188_4 Depth=1
	s_or_b32 exec_lo, exec_lo, s2
	v_add_co_u32 v15, vcc_lo, v9, s14
	v_add_co_ci_u32_e32 v16, vcc_lo, s15, v10, vcc_lo
	v_mov_b32_e32 v11, 0
	v_mov_b32_e32 v13, 0
	s_delay_alu instid0(VALU_DEP_3) | instskip(NEXT) | instid1(VALU_DEP_1)
	v_cmp_gt_u64_e64 s2, s[12:13], v[15:16]
	s_and_saveexec_b32 s5, s2
	s_cbranch_execz .LBB188_10
; %bb.9:                                ;   in Loop: Header=BB188_4 Depth=1
	v_add_co_u32 v15, vcc_lo, v1, s16
	v_add_co_ci_u32_e32 v16, vcc_lo, 0, v2, vcc_lo
	global_load_u16 v13, v[15:16], off
.LBB188_10:                             ;   in Loop: Header=BB188_4 Depth=1
	s_or_b32 exec_lo, exec_lo, s5
	v_add_co_u32 v15, vcc_lo, v7, s14
	v_add_co_ci_u32_e32 v16, vcc_lo, s15, v8, vcc_lo
	s_delay_alu instid0(VALU_DEP_1)
	v_cmp_gt_u64_e32 vcc_lo, s[12:13], v[15:16]
	s_and_saveexec_b32 s19, vcc_lo
	s_cbranch_execnz .LBB188_15
; %bb.11:                               ;   in Loop: Header=BB188_4 Depth=1
	s_or_b32 exec_lo, exec_lo, s19
	s_and_saveexec_b32 s5, s4
	s_cbranch_execnz .LBB188_16
.LBB188_12:                             ;   in Loop: Header=BB188_4 Depth=1
	s_or_b32 exec_lo, exec_lo, s5
	s_and_saveexec_b32 s4, s3
	s_cbranch_execnz .LBB188_17
.LBB188_13:                             ;   in Loop: Header=BB188_4 Depth=1
	s_or_b32 exec_lo, exec_lo, s4
	s_and_saveexec_b32 s3, s2
	s_cbranch_execnz .LBB188_18
.LBB188_14:                             ;   in Loop: Header=BB188_4 Depth=1
	s_or_b32 exec_lo, exec_lo, s3
	s_and_saveexec_b32 s2, vcc_lo
	s_cbranch_execz .LBB188_3
	s_branch .LBB188_19
.LBB188_15:                             ;   in Loop: Header=BB188_4 Depth=1
	v_add_co_u32 v15, s5, v1, s18
	s_delay_alu instid0(VALU_DEP_1)
	v_add_co_ci_u32_e64 v16, s5, 0, v2, s5
	global_load_u16 v11, v[15:16], off
	s_or_b32 exec_lo, exec_lo, s19
	s_and_saveexec_b32 s5, s4
	s_cbranch_execz .LBB188_12
.LBB188_16:                             ;   in Loop: Header=BB188_4 Depth=1
	s_waitcnt vmcnt(0)
	v_cvt_f32_f16_e32 v14, v14
	s_delay_alu instid0(VALU_DEP_1) | instskip(SKIP_3) | instid1(VALU_DEP_2)
	v_log_f32_e32 v14, v14
	s_waitcnt_depctr 0xfff
	v_mul_f32_e32 v15, 0x3e9a209a, v14
	v_cmp_gt_f32_e64 s4, 0x7f800000, |v14|
	v_fma_f32 v15, 0x3e9a209a, v14, -v15
	s_delay_alu instid0(VALU_DEP_1) | instskip(NEXT) | instid1(VALU_DEP_1)
	v_fmac_f32_e32 v15, 0x3284fbcf, v14
	v_fmac_f32_e32 v15, 0x3e9a209a, v14
	s_delay_alu instid0(VALU_DEP_1) | instskip(NEXT) | instid1(VALU_DEP_1)
	v_cndmask_b32_e64 v14, v14, v15, s4
	v_cvt_f16_f32_e32 v14, v14
	global_store_b16 v[1:2], v14, off
	s_or_b32 exec_lo, exec_lo, s5
	s_and_saveexec_b32 s4, s3
	s_cbranch_execz .LBB188_13
.LBB188_17:                             ;   in Loop: Header=BB188_4 Depth=1
	s_waitcnt vmcnt(0)
	v_cvt_f32_f16_e32 v12, v12
	s_delay_alu instid0(VALU_DEP_1) | instskip(SKIP_3) | instid1(VALU_DEP_2)
	v_log_f32_e32 v12, v12
	s_waitcnt_depctr 0xfff
	v_mul_f32_e32 v14, 0x3e9a209a, v12
	v_cmp_gt_f32_e64 s3, 0x7f800000, |v12|
	v_fma_f32 v14, 0x3e9a209a, v12, -v14
	s_delay_alu instid0(VALU_DEP_1) | instskip(NEXT) | instid1(VALU_DEP_1)
	v_fmac_f32_e32 v14, 0x3284fbcf, v12
	v_fmac_f32_e32 v14, 0x3e9a209a, v12
	s_delay_alu instid0(VALU_DEP_1) | instskip(NEXT) | instid1(VALU_DEP_1)
	v_cndmask_b32_e64 v12, v12, v14, s3
	v_cvt_f16_f32_e32 v12, v12
	global_store_b16 v[3:4], v12, off
	s_or_b32 exec_lo, exec_lo, s4
	s_and_saveexec_b32 s3, s2
	s_cbranch_execz .LBB188_14
.LBB188_18:                             ;   in Loop: Header=BB188_4 Depth=1
	s_waitcnt vmcnt(0)
	v_cvt_f32_f16_e32 v12, v13
	s_delay_alu instid0(VALU_DEP_1) | instskip(SKIP_3) | instid1(VALU_DEP_2)
	v_log_f32_e32 v12, v12
	s_waitcnt_depctr 0xfff
	v_mul_f32_e32 v13, 0x3e9a209a, v12
	v_cmp_gt_f32_e64 s2, 0x7f800000, |v12|
	v_fma_f32 v13, 0x3e9a209a, v12, -v13
	s_delay_alu instid0(VALU_DEP_1) | instskip(NEXT) | instid1(VALU_DEP_1)
	v_fmac_f32_e32 v13, 0x3284fbcf, v12
	v_fmac_f32_e32 v13, 0x3e9a209a, v12
	s_delay_alu instid0(VALU_DEP_1) | instskip(NEXT) | instid1(VALU_DEP_1)
	v_cndmask_b32_e64 v12, v12, v13, s2
	v_cvt_f16_f32_e32 v14, v12
	v_add_co_u32 v12, s2, v1, s16
	s_delay_alu instid0(VALU_DEP_1)
	v_add_co_ci_u32_e64 v13, s2, 0, v2, s2
	global_store_b16 v[12:13], v14, off
	s_or_b32 exec_lo, exec_lo, s3
	s_and_saveexec_b32 s2, vcc_lo
	s_cbranch_execz .LBB188_3
.LBB188_19:                             ;   in Loop: Header=BB188_4 Depth=1
	s_waitcnt vmcnt(0)
	v_cvt_f32_f16_e32 v11, v11
	s_delay_alu instid0(VALU_DEP_1) | instskip(SKIP_3) | instid1(VALU_DEP_2)
	v_log_f32_e32 v11, v11
	s_waitcnt_depctr 0xfff
	v_mul_f32_e32 v12, 0x3e9a209a, v11
	v_cmp_gt_f32_e64 vcc_lo, 0x7f800000, |v11|
	v_fma_f32 v12, 0x3e9a209a, v11, -v12
	s_delay_alu instid0(VALU_DEP_1) | instskip(NEXT) | instid1(VALU_DEP_1)
	v_fmac_f32_e32 v12, 0x3284fbcf, v11
	v_fmac_f32_e32 v12, 0x3e9a209a, v11
	s_delay_alu instid0(VALU_DEP_1) | instskip(NEXT) | instid1(VALU_DEP_1)
	v_cndmask_b32_e32 v11, v11, v12, vcc_lo
	v_cvt_f16_f32_e32 v13, v11
	v_add_co_u32 v11, vcc_lo, v1, s18
	v_add_co_ci_u32_e32 v12, vcc_lo, 0, v2, vcc_lo
	global_store_b16 v[11:12], v13, off
	s_branch .LBB188_3
.LBB188_20:
	s_cbranch_execz .LBB188_22
	s_branch .LBB188_25
.LBB188_21:
.LBB188_22:
	v_dual_mov_b32 v2, 0 :: v_dual_lshlrev_b32 v1, 2, v0
	s_mov_b32 s2, 0
	s_mov_b32 s3, exec_lo
	s_delay_alu instid0(VALU_DEP_1)
	v_cmpx_gt_i64_e64 s[6:7], v[1:2]
	s_cbranch_execz .LBB188_25
; %bb.23:
	s_load_b32 s0, s[0:1], 0xd3c
	v_lshlrev_b32_e32 v1, 3, v0
	s_waitcnt lgkmcnt(0)
	s_and_b32 s0, s0, 0xffff
	s_delay_alu instid0(SALU_CYCLE_1) | instskip(SKIP_3) | instid1(VALU_DEP_1)
	s_lshl_b32 s3, s0, 2
	s_add_u32 s1, s8, s10
	s_addc_u32 s4, s9, s11
	v_add_co_u32 v3, s1, s1, v1
	v_add_co_ci_u32_e64 v4, null, s4, 0, s1
	v_add_lshl_u32 v1, v0, s0, 2
	s_delay_alu instid0(VALU_DEP_3) | instskip(NEXT) | instid1(VALU_DEP_3)
	v_add_co_u32 v3, vcc_lo, v3, 4
	v_add_co_ci_u32_e32 v4, vcc_lo, 0, v4, vcc_lo
	s_lshl_b32 s4, s0, 3
.LBB188_24:                             ; =>This Inner Loop Header: Depth=1
	global_load_b64 v[5:6], v[3:4], off offset:-4
	v_cmp_lt_u64_e64 s0, 0xffff, v[1:2]
	s_waitcnt vmcnt(0)
	v_cvt_f32_f16_e32 v0, v5
	v_lshrrev_b32_e32 v7, 16, v6
	v_lshrrev_b32_e32 v5, 16, v5
	v_cvt_f32_f16_e32 v6, v6
	s_delay_alu instid0(VALU_DEP_4) | instskip(NEXT) | instid1(VALU_DEP_3)
	v_log_f32_e32 v0, v0
	v_cvt_f32_f16_e32 v7, v7
	s_delay_alu instid0(VALU_DEP_3) | instskip(NEXT) | instid1(VALU_DEP_3)
	v_cvt_f32_f16_e32 v5, v5
	v_log_f32_e32 v6, v6
	s_delay_alu instid0(VALU_DEP_2) | instskip(NEXT) | instid1(VALU_DEP_1)
	v_log_f32_e32 v7, v7
	v_log_f32_e32 v5, v5
	v_mul_f32_e32 v8, 0x3e9a209a, v0
	v_cmp_gt_f32_e64 vcc_lo, 0x7f800000, |v0|
	s_delay_alu instid0(TRANS32_DEP_3) | instskip(NEXT) | instid1(VALU_DEP_3)
	v_mul_f32_e32 v9, 0x3e9a209a, v6
	v_fma_f32 v8, 0x3e9a209a, v0, -v8
	s_waitcnt_depctr 0xfff
	v_dual_mul_f32 v10, 0x3e9a209a, v7 :: v_dual_mul_f32 v11, 0x3e9a209a, v5
	v_fma_f32 v9, 0x3e9a209a, v6, -v9
	v_fmac_f32_e32 v8, 0x3284fbcf, v0
	s_delay_alu instid0(VALU_DEP_3) | instskip(NEXT) | instid1(VALU_DEP_4)
	v_fma_f32 v10, 0x3e9a209a, v7, -v10
	v_fma_f32 v11, 0x3e9a209a, v5, -v11
	s_delay_alu instid0(VALU_DEP_4) | instskip(NEXT) | instid1(VALU_DEP_4)
	v_fmac_f32_e32 v9, 0x3284fbcf, v6
	v_fmac_f32_e32 v8, 0x3e9a209a, v0
	s_delay_alu instid0(VALU_DEP_3) | instskip(NEXT) | instid1(VALU_DEP_2)
	v_dual_fmac_f32 v10, 0x3284fbcf, v7 :: v_dual_fmac_f32 v11, 0x3284fbcf, v5
	v_dual_fmac_f32 v9, 0x3e9a209a, v6 :: v_dual_cndmask_b32 v0, v0, v8
	v_cmp_gt_f32_e64 vcc_lo, 0x7f800000, |v6|
	s_delay_alu instid0(VALU_DEP_3) | instskip(NEXT) | instid1(VALU_DEP_3)
	v_dual_fmac_f32 v11, 0x3e9a209a, v5 :: v_dual_fmac_f32 v10, 0x3e9a209a, v7
	v_cvt_f16_f32_e32 v0, v0
	s_delay_alu instid0(VALU_DEP_4) | instskip(SKIP_1) | instid1(VALU_DEP_4)
	v_cndmask_b32_e32 v6, v6, v9, vcc_lo
	v_cmp_gt_f32_e64 vcc_lo, 0x7f800000, |v7|
	v_cndmask_b32_e32 v7, v7, v10, vcc_lo
	v_cmp_gt_f32_e64 vcc_lo, 0x7f800000, |v5|
	s_delay_alu instid0(VALU_DEP_4) | instskip(NEXT) | instid1(VALU_DEP_3)
	v_cvt_f16_f32_e32 v6, v6
	v_cvt_f16_f32_e32 v7, v7
	v_cndmask_b32_e32 v5, v5, v11, vcc_lo
	v_cmp_le_i64_e32 vcc_lo, s[6:7], v[1:2]
	v_add_co_u32 v1, s1, v1, s3
	s_delay_alu instid0(VALU_DEP_4) | instskip(NEXT) | instid1(VALU_DEP_4)
	v_pack_b32_f16 v6, v6, v7
	v_cvt_f16_f32_e32 v5, v5
	v_add_co_ci_u32_e64 v2, s1, 0, v2, s1
	s_or_b32 s0, vcc_lo, s0
	s_delay_alu instid0(VALU_DEP_2) | instskip(SKIP_1) | instid1(SALU_CYCLE_1)
	v_pack_b32_f16 v5, v0, v5
	s_and_b32 s0, exec_lo, s0
	s_or_b32 s2, s0, s2
	global_store_b64 v[3:4], v[5:6], off offset:-4
	v_add_co_u32 v3, vcc_lo, v3, s4
	v_add_co_ci_u32_e32 v4, vcc_lo, 0, v4, vcc_lo
	s_and_not1_b32 exec_lo, exec_lo, s2
	s_cbranch_execnz .LBB188_24
.LBB188_25:
	s_nop 0
	s_sendmsg sendmsg(MSG_DEALLOC_VGPRS)
	s_endpgm
	.section	.rodata,"a",@progbits
	.p2align	6, 0x0
	.amdhsa_kernel _ZN2at6native12_GLOBAL__N_125multi_tensor_apply_kernelINS1_18TensorListMetadataILi1EEENS1_14UnaryOpFunctorIN3c104HalfELi1ELi1ELi0EEEJNS0_5Log10IfEEEEEvT_T0_DpT1_
		.amdhsa_group_segment_fixed_size 0
		.amdhsa_private_segment_fixed_size 0
		.amdhsa_kernarg_size 3632
		.amdhsa_user_sgpr_count 15
		.amdhsa_user_sgpr_dispatch_ptr 0
		.amdhsa_user_sgpr_queue_ptr 0
		.amdhsa_user_sgpr_kernarg_segment_ptr 1
		.amdhsa_user_sgpr_dispatch_id 0
		.amdhsa_user_sgpr_private_segment_size 0
		.amdhsa_wavefront_size32 1
		.amdhsa_uses_dynamic_stack 0
		.amdhsa_enable_private_segment 0
		.amdhsa_system_sgpr_workgroup_id_x 1
		.amdhsa_system_sgpr_workgroup_id_y 0
		.amdhsa_system_sgpr_workgroup_id_z 0
		.amdhsa_system_sgpr_workgroup_info 0
		.amdhsa_system_vgpr_workitem_id 0
		.amdhsa_next_free_vgpr 17
		.amdhsa_next_free_sgpr 20
		.amdhsa_reserve_vcc 1
		.amdhsa_float_round_mode_32 0
		.amdhsa_float_round_mode_16_64 0
		.amdhsa_float_denorm_mode_32 3
		.amdhsa_float_denorm_mode_16_64 3
		.amdhsa_dx10_clamp 1
		.amdhsa_ieee_mode 1
		.amdhsa_fp16_overflow 0
		.amdhsa_workgroup_processor_mode 1
		.amdhsa_memory_ordered 1
		.amdhsa_forward_progress 0
		.amdhsa_shared_vgpr_count 0
		.amdhsa_exception_fp_ieee_invalid_op 0
		.amdhsa_exception_fp_denorm_src 0
		.amdhsa_exception_fp_ieee_div_zero 0
		.amdhsa_exception_fp_ieee_overflow 0
		.amdhsa_exception_fp_ieee_underflow 0
		.amdhsa_exception_fp_ieee_inexact 0
		.amdhsa_exception_int_div_zero 0
	.end_amdhsa_kernel
	.section	.text._ZN2at6native12_GLOBAL__N_125multi_tensor_apply_kernelINS1_18TensorListMetadataILi1EEENS1_14UnaryOpFunctorIN3c104HalfELi1ELi1ELi0EEEJNS0_5Log10IfEEEEEvT_T0_DpT1_,"axG",@progbits,_ZN2at6native12_GLOBAL__N_125multi_tensor_apply_kernelINS1_18TensorListMetadataILi1EEENS1_14UnaryOpFunctorIN3c104HalfELi1ELi1ELi0EEEJNS0_5Log10IfEEEEEvT_T0_DpT1_,comdat
.Lfunc_end188:
	.size	_ZN2at6native12_GLOBAL__N_125multi_tensor_apply_kernelINS1_18TensorListMetadataILi1EEENS1_14UnaryOpFunctorIN3c104HalfELi1ELi1ELi0EEEJNS0_5Log10IfEEEEEvT_T0_DpT1_, .Lfunc_end188-_ZN2at6native12_GLOBAL__N_125multi_tensor_apply_kernelINS1_18TensorListMetadataILi1EEENS1_14UnaryOpFunctorIN3c104HalfELi1ELi1ELi0EEEJNS0_5Log10IfEEEEEvT_T0_DpT1_
                                        ; -- End function
	.section	.AMDGPU.csdata,"",@progbits
; Kernel info:
; codeLenInByte = 1692
; NumSgprs: 22
; NumVgprs: 17
; ScratchSize: 0
; MemoryBound: 0
; FloatMode: 240
; IeeeMode: 1
; LDSByteSize: 0 bytes/workgroup (compile time only)
; SGPRBlocks: 2
; VGPRBlocks: 2
; NumSGPRsForWavesPerEU: 22
; NumVGPRsForWavesPerEU: 17
; Occupancy: 16
; WaveLimiterHint : 0
; COMPUTE_PGM_RSRC2:SCRATCH_EN: 0
; COMPUTE_PGM_RSRC2:USER_SGPR: 15
; COMPUTE_PGM_RSRC2:TRAP_HANDLER: 0
; COMPUTE_PGM_RSRC2:TGID_X_EN: 1
; COMPUTE_PGM_RSRC2:TGID_Y_EN: 0
; COMPUTE_PGM_RSRC2:TGID_Z_EN: 0
; COMPUTE_PGM_RSRC2:TIDIG_COMP_CNT: 0
	.section	.text._ZN2at6native12_GLOBAL__N_125multi_tensor_apply_kernelINS1_18TensorListMetadataILi1EEENS1_14UnaryOpFunctorIN3c108BFloat16ELi1ELi1ELi0EEEJNS0_5Log10IfEEEEEvT_T0_DpT1_,"axG",@progbits,_ZN2at6native12_GLOBAL__N_125multi_tensor_apply_kernelINS1_18TensorListMetadataILi1EEENS1_14UnaryOpFunctorIN3c108BFloat16ELi1ELi1ELi0EEEJNS0_5Log10IfEEEEEvT_T0_DpT1_,comdat
	.globl	_ZN2at6native12_GLOBAL__N_125multi_tensor_apply_kernelINS1_18TensorListMetadataILi1EEENS1_14UnaryOpFunctorIN3c108BFloat16ELi1ELi1ELi0EEEJNS0_5Log10IfEEEEEvT_T0_DpT1_ ; -- Begin function _ZN2at6native12_GLOBAL__N_125multi_tensor_apply_kernelINS1_18TensorListMetadataILi1EEENS1_14UnaryOpFunctorIN3c108BFloat16ELi1ELi1ELi0EEEJNS0_5Log10IfEEEEEvT_T0_DpT1_
	.p2align	8
	.type	_ZN2at6native12_GLOBAL__N_125multi_tensor_apply_kernelINS1_18TensorListMetadataILi1EEENS1_14UnaryOpFunctorIN3c108BFloat16ELi1ELi1ELi0EEEJNS0_5Log10IfEEEEEvT_T0_DpT1_,@function
_ZN2at6native12_GLOBAL__N_125multi_tensor_apply_kernelINS1_18TensorListMetadataILi1EEENS1_14UnaryOpFunctorIN3c108BFloat16ELi1ELi1ELi0EEEJNS0_5Log10IfEEEEEvT_T0_DpT1_: ; @_ZN2at6native12_GLOBAL__N_125multi_tensor_apply_kernelINS1_18TensorListMetadataILi1EEENS1_14UnaryOpFunctorIN3c108BFloat16ELi1ELi1ELi0EEEJNS0_5Log10IfEEEEEvT_T0_DpT1_
; %bb.0:
	v_mov_b32_e32 v1, s15
	s_add_u32 s2, s0, s15
	s_mul_hi_u32 s3, s15, 3
	s_mul_i32 s15, s15, 3
	s_addc_u32 s4, s1, 0
	global_load_u8 v1, v1, s[0:1] offset:1760
	s_add_u32 s2, s2, s15
	s_addc_u32 s3, s4, s3
	s_mov_b32 s13, 0
	s_load_b32 s2, s[2:3], 0x820
	s_waitcnt vmcnt(0)
	v_readfirstlane_b32 s5, v1
	s_delay_alu instid0(VALU_DEP_1)
	s_lshl_b32 s3, s5, 3
	s_clause 0x1
	s_load_b64 s[8:9], s[0:1], s3 offset:0x0
	s_load_b64 s[4:5], s[0:1], s3 offset:0x370
	s_waitcnt lgkmcnt(0)
	s_ashr_i32 s3, s2, 31
	s_delay_alu instid0(SALU_CYCLE_1)
	s_lshl_b64 s[10:11], s[2:3], 17
	s_lshl_b64 s[2:3], s[2:3], 16
	s_and_b32 s12, s8, 7
	s_sub_u32 s6, s4, s2
	s_subb_u32 s7, s5, s3
	s_and_b32 s2, s4, 3
	s_mov_b32 s3, s13
	s_delay_alu instid0(SALU_CYCLE_1) | instskip(NEXT) | instid1(SALU_CYCLE_1)
	s_or_b64 s[2:3], s[12:13], s[2:3]
	s_cmp_eq_u64 s[2:3], 0
	s_cbranch_scc1 .LBB189_21
; %bb.1:
	v_cmp_lt_i64_e64 s2, s[6:7], 1
	s_delay_alu instid0(VALU_DEP_1)
	s_and_b32 vcc_lo, exec_lo, s2
	s_cbranch_vccnz .LBB189_20
; %bb.2:
	s_load_b32 s2, s[0:1], 0xd3c
	v_cmp_gt_u64_e64 s3, 0x10000, s[6:7]
	v_lshlrev_b32_e32 v1, 1, v0
	s_waitcnt lgkmcnt(0)
	s_and_b32 s2, s2, 0xffff
	s_delay_alu instid0(VALU_DEP_2)
	s_and_b32 s3, s3, exec_lo
	v_add_co_u32 v5, s5, v0, s2
	s_cselect_b32 s13, s7, 0
	s_cselect_b32 s12, s6, 0x10000
	s_lshl_b32 s3, s2, 1
	s_lshl_b32 s16, s2, 2
	v_lshlrev_b32_e32 v3, 1, v5
	v_add_co_ci_u32_e64 v6, null, 0, 0, s5
	s_add_u32 s5, s8, s10
	v_add_co_u32 v9, s3, s3, v0
	s_mul_i32 s4, s2, 3
	s_addc_u32 s14, s9, s11
	v_add_co_ci_u32_e64 v10, null, 0, 0, s3
	v_add_co_u32 v1, s3, s5, v1
	v_add_co_u32 v7, s4, s4, v0
	v_add_co_ci_u32_e64 v2, null, s14, 0, s3
	v_add_co_u32 v3, s3, s5, v3
	v_add_co_ci_u32_e64 v8, null, 0, 0, s4
	v_add_co_ci_u32_e64 v4, null, s14, 0, s3
	s_lshl_b32 s17, s2, 3
	s_mul_i32 s18, s2, 6
	s_mov_b64 s[14:15], 0
	s_branch .LBB189_4
.LBB189_3:                              ;   in Loop: Header=BB189_4 Depth=1
	s_or_b32 exec_lo, exec_lo, s2
	s_add_u32 s14, s14, s16
	s_addc_u32 s15, s15, 0
	v_add_co_u32 v1, vcc_lo, v1, s17
	v_cmp_lt_i64_e64 s2, s[14:15], s[6:7]
	v_cmp_gt_u64_e64 s3, 0x10000, s[14:15]
	v_add_co_ci_u32_e32 v2, vcc_lo, 0, v2, vcc_lo
	v_add_co_u32 v3, vcc_lo, v3, s17
	v_add_co_ci_u32_e32 v4, vcc_lo, 0, v4, vcc_lo
	s_delay_alu instid0(VALU_DEP_4) | instskip(NEXT) | instid1(SALU_CYCLE_1)
	s_and_b32 s2, s2, s3
	s_and_b32 vcc_lo, exec_lo, s2
	s_cbranch_vccz .LBB189_20
.LBB189_4:                              ; =>This Inner Loop Header: Depth=1
	s_waitcnt vmcnt(0)
	v_add_co_u32 v11, s2, v0, s14
	s_delay_alu instid0(VALU_DEP_1) | instskip(SKIP_1) | instid1(VALU_DEP_2)
	v_add_co_ci_u32_e64 v12, null, 0, s15, s2
	v_mov_b32_e32 v14, 0
	v_cmp_gt_u64_e64 s4, s[12:13], v[11:12]
	s_delay_alu instid0(VALU_DEP_1)
	s_and_saveexec_b32 s2, s4
	s_cbranch_execz .LBB189_6
; %bb.5:                                ;   in Loop: Header=BB189_4 Depth=1
	global_load_u16 v14, v[1:2], off
.LBB189_6:                              ;   in Loop: Header=BB189_4 Depth=1
	s_or_b32 exec_lo, exec_lo, s2
	v_add_co_u32 v11, vcc_lo, v5, s14
	v_add_co_ci_u32_e32 v12, vcc_lo, s15, v6, vcc_lo
	v_mov_b32_e32 v13, 0
	s_delay_alu instid0(VALU_DEP_2) | instskip(NEXT) | instid1(VALU_DEP_1)
	v_cmp_gt_u64_e64 s3, s[12:13], v[11:12]
	s_and_saveexec_b32 s2, s3
	s_cbranch_execz .LBB189_8
; %bb.7:                                ;   in Loop: Header=BB189_4 Depth=1
	global_load_u16 v13, v[3:4], off
.LBB189_8:                              ;   in Loop: Header=BB189_4 Depth=1
	s_or_b32 exec_lo, exec_lo, s2
	v_add_co_u32 v11, vcc_lo, v9, s14
	v_add_co_ci_u32_e32 v12, vcc_lo, s15, v10, vcc_lo
	s_delay_alu instid0(VALU_DEP_1) | instskip(SKIP_1) | instid1(VALU_DEP_2)
	v_cmp_gt_u64_e64 s2, s[12:13], v[11:12]
	v_dual_mov_b32 v11, 0 :: v_dual_mov_b32 v12, 0
	s_and_saveexec_b32 s5, s2
	s_cbranch_execz .LBB189_10
; %bb.9:                                ;   in Loop: Header=BB189_4 Depth=1
	v_add_co_u32 v15, vcc_lo, v1, s16
	v_add_co_ci_u32_e32 v16, vcc_lo, 0, v2, vcc_lo
	global_load_u16 v12, v[15:16], off
.LBB189_10:                             ;   in Loop: Header=BB189_4 Depth=1
	s_or_b32 exec_lo, exec_lo, s5
	v_add_co_u32 v15, vcc_lo, v7, s14
	v_add_co_ci_u32_e32 v16, vcc_lo, s15, v8, vcc_lo
	s_delay_alu instid0(VALU_DEP_1)
	v_cmp_gt_u64_e32 vcc_lo, s[12:13], v[15:16]
	s_and_saveexec_b32 s19, vcc_lo
	s_cbranch_execnz .LBB189_15
; %bb.11:                               ;   in Loop: Header=BB189_4 Depth=1
	s_or_b32 exec_lo, exec_lo, s19
	s_and_saveexec_b32 s19, s4
	s_cbranch_execnz .LBB189_16
.LBB189_12:                             ;   in Loop: Header=BB189_4 Depth=1
	s_or_b32 exec_lo, exec_lo, s19
	s_and_saveexec_b32 s5, s3
	s_cbranch_execnz .LBB189_17
.LBB189_13:                             ;   in Loop: Header=BB189_4 Depth=1
	s_or_b32 exec_lo, exec_lo, s5
	s_and_saveexec_b32 s3, s2
	s_cbranch_execnz .LBB189_18
.LBB189_14:                             ;   in Loop: Header=BB189_4 Depth=1
	s_or_b32 exec_lo, exec_lo, s3
	s_and_saveexec_b32 s2, vcc_lo
	s_cbranch_execz .LBB189_3
	s_branch .LBB189_19
.LBB189_15:                             ;   in Loop: Header=BB189_4 Depth=1
	v_add_co_u32 v15, s5, v1, s18
	s_delay_alu instid0(VALU_DEP_1)
	v_add_co_ci_u32_e64 v16, s5, 0, v2, s5
	global_load_u16 v11, v[15:16], off
	s_or_b32 exec_lo, exec_lo, s19
	s_and_saveexec_b32 s19, s4
	s_cbranch_execz .LBB189_12
.LBB189_16:                             ;   in Loop: Header=BB189_4 Depth=1
	s_waitcnt vmcnt(0)
	v_lshlrev_b32_e32 v14, 16, v14
	s_delay_alu instid0(VALU_DEP_1) | instskip(NEXT) | instid1(VALU_DEP_1)
	v_cmp_gt_f32_e64 s4, 0x800000, v14
	v_cndmask_b32_e64 v15, 1.0, 0x4f800000, s4
	s_delay_alu instid0(VALU_DEP_1) | instskip(NEXT) | instid1(VALU_DEP_1)
	v_mul_f32_e32 v14, v14, v15
	v_log_f32_e32 v14, v14
	s_waitcnt_depctr 0xfff
	v_mul_f32_e32 v15, 0x3e9a209a, v14
	v_cmp_gt_f32_e64 s5, 0x7f800000, |v14|
	s_delay_alu instid0(VALU_DEP_2) | instskip(NEXT) | instid1(VALU_DEP_1)
	v_fma_f32 v15, 0x3e9a209a, v14, -v15
	v_fmac_f32_e32 v15, 0x3284fbcf, v14
	s_delay_alu instid0(VALU_DEP_1) | instskip(NEXT) | instid1(VALU_DEP_1)
	v_fmac_f32_e32 v15, 0x3e9a209a, v14
	v_cndmask_b32_e64 v14, v14, v15, s5
	v_cndmask_b32_e64 v15, 0, 0x411a209b, s4
	s_delay_alu instid0(VALU_DEP_1) | instskip(NEXT) | instid1(VALU_DEP_1)
	v_sub_f32_e32 v14, v14, v15
	v_bfe_u32 v15, v14, 16, 1
	v_cmp_o_f32_e64 s4, v14, v14
	s_delay_alu instid0(VALU_DEP_2) | instskip(NEXT) | instid1(VALU_DEP_1)
	v_add3_u32 v15, v14, v15, 0x7fff
	v_lshrrev_b32_e32 v15, 16, v15
	s_delay_alu instid0(VALU_DEP_1)
	v_cndmask_b32_e64 v14, 0x7fc0, v15, s4
	global_store_b16 v[1:2], v14, off
	s_or_b32 exec_lo, exec_lo, s19
	s_and_saveexec_b32 s5, s3
	s_cbranch_execz .LBB189_13
.LBB189_17:                             ;   in Loop: Header=BB189_4 Depth=1
	s_waitcnt vmcnt(0)
	v_lshlrev_b32_e32 v13, 16, v13
	s_delay_alu instid0(VALU_DEP_1) | instskip(NEXT) | instid1(VALU_DEP_1)
	v_cmp_gt_f32_e64 s3, 0x800000, v13
	v_cndmask_b32_e64 v14, 1.0, 0x4f800000, s3
	s_delay_alu instid0(VALU_DEP_1) | instskip(NEXT) | instid1(VALU_DEP_1)
	v_mul_f32_e32 v13, v13, v14
	v_log_f32_e32 v13, v13
	s_waitcnt_depctr 0xfff
	v_mul_f32_e32 v14, 0x3e9a209a, v13
	v_cmp_gt_f32_e64 s4, 0x7f800000, |v13|
	s_delay_alu instid0(VALU_DEP_2) | instskip(NEXT) | instid1(VALU_DEP_1)
	v_fma_f32 v14, 0x3e9a209a, v13, -v14
	v_fmac_f32_e32 v14, 0x3284fbcf, v13
	s_delay_alu instid0(VALU_DEP_1) | instskip(NEXT) | instid1(VALU_DEP_1)
	v_fmac_f32_e32 v14, 0x3e9a209a, v13
	v_cndmask_b32_e64 v13, v13, v14, s4
	v_cndmask_b32_e64 v14, 0, 0x411a209b, s3
	s_delay_alu instid0(VALU_DEP_1) | instskip(NEXT) | instid1(VALU_DEP_1)
	v_sub_f32_e32 v13, v13, v14
	v_bfe_u32 v14, v13, 16, 1
	v_cmp_o_f32_e64 s3, v13, v13
	s_delay_alu instid0(VALU_DEP_2) | instskip(NEXT) | instid1(VALU_DEP_1)
	v_add3_u32 v14, v13, v14, 0x7fff
	v_lshrrev_b32_e32 v14, 16, v14
	s_delay_alu instid0(VALU_DEP_1)
	v_cndmask_b32_e64 v13, 0x7fc0, v14, s3
	global_store_b16 v[3:4], v13, off
	s_or_b32 exec_lo, exec_lo, s5
	s_and_saveexec_b32 s3, s2
	s_cbranch_execz .LBB189_14
.LBB189_18:                             ;   in Loop: Header=BB189_4 Depth=1
	s_waitcnt vmcnt(0)
	v_lshlrev_b32_e32 v12, 16, v12
	s_delay_alu instid0(VALU_DEP_1) | instskip(NEXT) | instid1(VALU_DEP_1)
	v_cmp_gt_f32_e64 s2, 0x800000, v12
	v_cndmask_b32_e64 v13, 1.0, 0x4f800000, s2
	v_cndmask_b32_e64 v14, 0, 0x411a209b, s2
	s_delay_alu instid0(VALU_DEP_2) | instskip(NEXT) | instid1(VALU_DEP_1)
	v_mul_f32_e32 v12, v12, v13
	v_log_f32_e32 v12, v12
	s_waitcnt_depctr 0xfff
	v_mul_f32_e32 v13, 0x3e9a209a, v12
	v_cmp_gt_f32_e64 s2, 0x7f800000, |v12|
	s_delay_alu instid0(VALU_DEP_2) | instskip(NEXT) | instid1(VALU_DEP_1)
	v_fma_f32 v13, 0x3e9a209a, v12, -v13
	v_fmac_f32_e32 v13, 0x3284fbcf, v12
	s_delay_alu instid0(VALU_DEP_1) | instskip(NEXT) | instid1(VALU_DEP_1)
	v_fmac_f32_e32 v13, 0x3e9a209a, v12
	v_cndmask_b32_e64 v12, v12, v13, s2
	s_delay_alu instid0(VALU_DEP_1) | instskip(NEXT) | instid1(VALU_DEP_1)
	v_sub_f32_e32 v12, v12, v14
	v_bfe_u32 v13, v12, 16, 1
	v_cmp_o_f32_e64 s2, v12, v12
	s_delay_alu instid0(VALU_DEP_2) | instskip(NEXT) | instid1(VALU_DEP_1)
	v_add3_u32 v13, v12, v13, 0x7fff
	v_lshrrev_b32_e32 v13, 16, v13
	s_delay_alu instid0(VALU_DEP_1) | instskip(SKIP_1) | instid1(VALU_DEP_1)
	v_cndmask_b32_e64 v14, 0x7fc0, v13, s2
	v_add_co_u32 v12, s2, v1, s16
	v_add_co_ci_u32_e64 v13, s2, 0, v2, s2
	global_store_b16 v[12:13], v14, off
	s_or_b32 exec_lo, exec_lo, s3
	s_and_saveexec_b32 s2, vcc_lo
	s_cbranch_execz .LBB189_3
.LBB189_19:                             ;   in Loop: Header=BB189_4 Depth=1
	s_waitcnt vmcnt(0)
	v_lshlrev_b32_e32 v11, 16, v11
	s_delay_alu instid0(VALU_DEP_1) | instskip(SKIP_2) | instid1(VALU_DEP_2)
	v_cmp_gt_f32_e32 vcc_lo, 0x800000, v11
	v_cndmask_b32_e64 v12, 1.0, 0x4f800000, vcc_lo
	v_cndmask_b32_e64 v13, 0, 0x411a209b, vcc_lo
	v_mul_f32_e32 v11, v11, v12
	s_delay_alu instid0(VALU_DEP_1) | instskip(SKIP_3) | instid1(VALU_DEP_2)
	v_log_f32_e32 v11, v11
	s_waitcnt_depctr 0xfff
	v_mul_f32_e32 v12, 0x3e9a209a, v11
	v_cmp_gt_f32_e64 vcc_lo, 0x7f800000, |v11|
	v_fma_f32 v12, 0x3e9a209a, v11, -v12
	s_delay_alu instid0(VALU_DEP_1) | instskip(NEXT) | instid1(VALU_DEP_1)
	v_fmac_f32_e32 v12, 0x3284fbcf, v11
	v_fmac_f32_e32 v12, 0x3e9a209a, v11
	s_delay_alu instid0(VALU_DEP_1) | instskip(NEXT) | instid1(VALU_DEP_1)
	v_cndmask_b32_e32 v11, v11, v12, vcc_lo
	v_sub_f32_e32 v11, v11, v13
	s_delay_alu instid0(VALU_DEP_1) | instskip(SKIP_1) | instid1(VALU_DEP_2)
	v_bfe_u32 v12, v11, 16, 1
	v_cmp_o_f32_e32 vcc_lo, v11, v11
	v_add3_u32 v12, v11, v12, 0x7fff
	s_delay_alu instid0(VALU_DEP_1) | instskip(NEXT) | instid1(VALU_DEP_1)
	v_lshrrev_b32_e32 v12, 16, v12
	v_cndmask_b32_e32 v13, 0x7fc0, v12, vcc_lo
	v_add_co_u32 v11, vcc_lo, v1, s18
	v_add_co_ci_u32_e32 v12, vcc_lo, 0, v2, vcc_lo
	global_store_b16 v[11:12], v13, off
	s_branch .LBB189_3
.LBB189_20:
	s_cbranch_execz .LBB189_22
	s_branch .LBB189_25
.LBB189_21:
.LBB189_22:
	v_dual_mov_b32 v2, 0 :: v_dual_lshlrev_b32 v1, 2, v0
	s_mov_b32 s3, 0
	s_mov_b32 s2, exec_lo
	s_delay_alu instid0(VALU_DEP_1)
	v_cmpx_gt_i64_e64 s[6:7], v[1:2]
	s_cbranch_execz .LBB189_25
; %bb.23:
	s_load_b32 s0, s[0:1], 0xd3c
	v_lshlrev_b32_e32 v1, 3, v0
	s_waitcnt lgkmcnt(0)
	s_and_b32 s0, s0, 0xffff
	s_add_u32 s1, s8, s10
	s_addc_u32 s2, s9, s11
	v_add_co_u32 v3, s1, s1, v1
	s_delay_alu instid0(VALU_DEP_1)
	v_add_co_ci_u32_e64 v4, null, s2, 0, s1
	v_add_lshl_u32 v1, v0, s0, 2
	s_lshl_b32 s4, s0, 3
	s_lshl_b32 s5, s0, 2
.LBB189_24:                             ; =>This Inner Loop Header: Depth=1
	global_load_b64 v[5:6], v[3:4], off
	s_waitcnt vmcnt(0)
	v_alignbit_b32 v7, v6, v5, 16
	s_delay_alu instid0(VALU_DEP_1) | instskip(SKIP_1) | instid1(VALU_DEP_1)
	v_and_b32_e32 v7, 0xffff0000, v7
	v_lshlrev_b32_e32 v0, 16, v5
	v_cmp_gt_f32_e32 vcc_lo, 0x800000, v0
	v_cndmask_b32_e64 v8, 1.0, 0x4f800000, vcc_lo
	s_delay_alu instid0(VALU_DEP_1) | instskip(NEXT) | instid1(VALU_DEP_1)
	v_dual_mul_f32 v0, v0, v8 :: v_dual_and_b32 v5, 0xffff0000, v5
	v_cmp_gt_f32_e64 s0, 0x800000, v5
	s_delay_alu instid0(VALU_DEP_2) | instskip(NEXT) | instid1(VALU_DEP_1)
	v_log_f32_e32 v0, v0
	v_cndmask_b32_e64 v9, 1.0, 0x4f800000, s0
	v_and_b32_e32 v6, 0xffff0000, v6
	v_cndmask_b32_e64 v12, 0, 0x411a209b, s0
	v_cmp_lt_u64_e64 s0, 0xffff, v[1:2]
	s_delay_alu instid0(VALU_DEP_4) | instskip(NEXT) | instid1(VALU_DEP_4)
	v_mul_f32_e32 v5, v5, v9
	v_cmp_gt_f32_e64 s1, 0x800000, v6
	v_cndmask_b32_e64 v9, 0, 0x411a209b, vcc_lo
	s_delay_alu instid0(TRANS32_DEP_1) | instskip(NEXT) | instid1(VALU_DEP_4)
	v_cmp_gt_f32_e64 vcc_lo, 0x7f800000, |v0|
	v_log_f32_e32 v5, v5
	s_delay_alu instid0(VALU_DEP_3) | instskip(SKIP_1) | instid1(VALU_DEP_2)
	v_cndmask_b32_e64 v10, 1.0, 0x4f800000, s1
	v_cndmask_b32_e64 v14, 0, 0x411a209b, s1
	v_mul_f32_e32 v6, v6, v10
	v_cmp_gt_f32_e64 s2, 0x800000, v7
	s_delay_alu instid0(VALU_DEP_2) | instskip(NEXT) | instid1(VALU_DEP_1)
	v_log_f32_e32 v6, v6
	v_cndmask_b32_e64 v8, 1.0, 0x4f800000, s2
	v_cndmask_b32_e64 v15, 0, 0x411a209b, s2
	s_delay_alu instid0(VALU_DEP_2) | instskip(SKIP_4) | instid1(VALU_DEP_2)
	v_mul_f32_e32 v7, v7, v8
	s_waitcnt_depctr 0xfff
	v_dual_mul_f32 v8, 0x3e9a209a, v0 :: v_dual_mul_f32 v11, 0x3e9a209a, v6
	v_log_f32_e32 v7, v7
	v_mul_f32_e32 v10, 0x3e9a209a, v5
	v_fma_f32 v8, 0x3e9a209a, v0, -v8
	s_delay_alu instid0(VALU_DEP_3) | instskip(NEXT) | instid1(VALU_DEP_1)
	v_fma_f32 v11, 0x3e9a209a, v6, -v11
	v_dual_fmac_f32 v8, 0x3284fbcf, v0 :: v_dual_fmac_f32 v11, 0x3284fbcf, v6
	s_waitcnt_depctr 0xfff
	v_mul_f32_e32 v13, 0x3e9a209a, v7
	v_fma_f32 v10, 0x3e9a209a, v5, -v10
	v_dual_fmac_f32 v8, 0x3e9a209a, v0 :: v_dual_fmac_f32 v11, 0x3e9a209a, v6
	s_delay_alu instid0(VALU_DEP_3) | instskip(NEXT) | instid1(VALU_DEP_1)
	v_fma_f32 v13, 0x3e9a209a, v7, -v13
	v_dual_fmac_f32 v10, 0x3284fbcf, v5 :: v_dual_fmac_f32 v13, 0x3284fbcf, v7
	s_delay_alu instid0(VALU_DEP_1) | instskip(NEXT) | instid1(VALU_DEP_4)
	v_dual_fmac_f32 v10, 0x3e9a209a, v5 :: v_dual_fmac_f32 v13, 0x3e9a209a, v7
	v_cndmask_b32_e32 v0, v0, v8, vcc_lo
	v_cmp_gt_f32_e64 vcc_lo, 0x7f800000, |v5|
	s_delay_alu instid0(VALU_DEP_3) | instskip(SKIP_1) | instid1(VALU_DEP_2)
	v_cndmask_b32_e32 v5, v5, v10, vcc_lo
	v_cmp_gt_f32_e64 vcc_lo, 0x7f800000, |v6|
	v_dual_sub_f32 v0, v0, v9 :: v_dual_sub_f32 v5, v5, v12
	v_cndmask_b32_e32 v6, v6, v11, vcc_lo
	v_cmp_gt_f32_e64 vcc_lo, 0x7f800000, |v7|
	s_delay_alu instid0(VALU_DEP_3) | instskip(NEXT) | instid1(VALU_DEP_4)
	v_bfe_u32 v9, v0, 16, 1
	v_bfe_u32 v8, v5, 16, 1
	s_delay_alu instid0(VALU_DEP_4) | instskip(NEXT) | instid1(VALU_DEP_3)
	v_dual_cndmask_b32 v7, v7, v13 :: v_dual_sub_f32 v6, v6, v14
	v_add3_u32 v9, v0, v9, 0x7fff
	s_delay_alu instid0(VALU_DEP_3) | instskip(SKIP_1) | instid1(VALU_DEP_4)
	v_add3_u32 v8, v5, v8, 0x7fff
	v_cmp_o_f32_e32 vcc_lo, v5, v5
	v_sub_f32_e32 v7, v7, v15
	v_bfe_u32 v10, v6, 16, 1
	v_lshrrev_b32_e32 v9, 16, v9
	v_and_b32_e32 v8, 0xffff0000, v8
	s_delay_alu instid0(VALU_DEP_4) | instskip(NEXT) | instid1(VALU_DEP_4)
	v_bfe_u32 v11, v7, 16, 1
	v_add3_u32 v10, v6, v10, 0x7fff
	s_delay_alu instid0(VALU_DEP_3) | instskip(SKIP_1) | instid1(VALU_DEP_4)
	v_cndmask_b32_e32 v5, 0x7fc00000, v8, vcc_lo
	v_cmp_o_f32_e32 vcc_lo, v0, v0
	v_add3_u32 v11, v7, v11, 0x7fff
	s_delay_alu instid0(VALU_DEP_4) | instskip(SKIP_2) | instid1(VALU_DEP_4)
	v_and_b32_e32 v10, 0xffff0000, v10
	v_cndmask_b32_e32 v0, 0x7fc0, v9, vcc_lo
	v_cmp_o_f32_e32 vcc_lo, v6, v6
	v_lshrrev_b32_e32 v11, 16, v11
	s_delay_alu instid0(VALU_DEP_3) | instskip(SKIP_2) | instid1(VALU_DEP_3)
	v_or_b32_e32 v0, v0, v5
	v_cndmask_b32_e32 v6, 0x7fc00000, v10, vcc_lo
	v_cmp_o_f32_e32 vcc_lo, v7, v7
	v_or3_b32 v5, v0, 0, 0
	v_cndmask_b32_e32 v7, 0x7fc0, v11, vcc_lo
	v_cmp_le_i64_e32 vcc_lo, s[6:7], v[1:2]
	v_add_co_u32 v1, s1, v1, s5
	s_delay_alu instid0(VALU_DEP_1) | instskip(NEXT) | instid1(VALU_DEP_4)
	v_add_co_ci_u32_e64 v2, s1, 0, v2, s1
	v_or3_b32 v6, 0, v7, v6
	s_or_b32 s0, vcc_lo, s0
	s_delay_alu instid0(SALU_CYCLE_1) | instskip(SKIP_4) | instid1(SALU_CYCLE_1)
	s_and_b32 s0, exec_lo, s0
	global_store_b64 v[3:4], v[5:6], off
	v_add_co_u32 v3, vcc_lo, v3, s4
	v_add_co_ci_u32_e32 v4, vcc_lo, 0, v4, vcc_lo
	s_or_b32 s3, s0, s3
	s_and_not1_b32 exec_lo, exec_lo, s3
	s_cbranch_execnz .LBB189_24
.LBB189_25:
	s_nop 0
	s_sendmsg sendmsg(MSG_DEALLOC_VGPRS)
	s_endpgm
	.section	.rodata,"a",@progbits
	.p2align	6, 0x0
	.amdhsa_kernel _ZN2at6native12_GLOBAL__N_125multi_tensor_apply_kernelINS1_18TensorListMetadataILi1EEENS1_14UnaryOpFunctorIN3c108BFloat16ELi1ELi1ELi0EEEJNS0_5Log10IfEEEEEvT_T0_DpT1_
		.amdhsa_group_segment_fixed_size 0
		.amdhsa_private_segment_fixed_size 0
		.amdhsa_kernarg_size 3632
		.amdhsa_user_sgpr_count 15
		.amdhsa_user_sgpr_dispatch_ptr 0
		.amdhsa_user_sgpr_queue_ptr 0
		.amdhsa_user_sgpr_kernarg_segment_ptr 1
		.amdhsa_user_sgpr_dispatch_id 0
		.amdhsa_user_sgpr_private_segment_size 0
		.amdhsa_wavefront_size32 1
		.amdhsa_uses_dynamic_stack 0
		.amdhsa_enable_private_segment 0
		.amdhsa_system_sgpr_workgroup_id_x 1
		.amdhsa_system_sgpr_workgroup_id_y 0
		.amdhsa_system_sgpr_workgroup_id_z 0
		.amdhsa_system_sgpr_workgroup_info 0
		.amdhsa_system_vgpr_workitem_id 0
		.amdhsa_next_free_vgpr 17
		.amdhsa_next_free_sgpr 20
		.amdhsa_reserve_vcc 1
		.amdhsa_float_round_mode_32 0
		.amdhsa_float_round_mode_16_64 0
		.amdhsa_float_denorm_mode_32 3
		.amdhsa_float_denorm_mode_16_64 3
		.amdhsa_dx10_clamp 1
		.amdhsa_ieee_mode 1
		.amdhsa_fp16_overflow 0
		.amdhsa_workgroup_processor_mode 1
		.amdhsa_memory_ordered 1
		.amdhsa_forward_progress 0
		.amdhsa_shared_vgpr_count 0
		.amdhsa_exception_fp_ieee_invalid_op 0
		.amdhsa_exception_fp_denorm_src 0
		.amdhsa_exception_fp_ieee_div_zero 0
		.amdhsa_exception_fp_ieee_overflow 0
		.amdhsa_exception_fp_ieee_underflow 0
		.amdhsa_exception_fp_ieee_inexact 0
		.amdhsa_exception_int_div_zero 0
	.end_amdhsa_kernel
	.section	.text._ZN2at6native12_GLOBAL__N_125multi_tensor_apply_kernelINS1_18TensorListMetadataILi1EEENS1_14UnaryOpFunctorIN3c108BFloat16ELi1ELi1ELi0EEEJNS0_5Log10IfEEEEEvT_T0_DpT1_,"axG",@progbits,_ZN2at6native12_GLOBAL__N_125multi_tensor_apply_kernelINS1_18TensorListMetadataILi1EEENS1_14UnaryOpFunctorIN3c108BFloat16ELi1ELi1ELi0EEEJNS0_5Log10IfEEEEEvT_T0_DpT1_,comdat
.Lfunc_end189:
	.size	_ZN2at6native12_GLOBAL__N_125multi_tensor_apply_kernelINS1_18TensorListMetadataILi1EEENS1_14UnaryOpFunctorIN3c108BFloat16ELi1ELi1ELi0EEEJNS0_5Log10IfEEEEEvT_T0_DpT1_, .Lfunc_end189-_ZN2at6native12_GLOBAL__N_125multi_tensor_apply_kernelINS1_18TensorListMetadataILi1EEENS1_14UnaryOpFunctorIN3c108BFloat16ELi1ELi1ELi0EEEJNS0_5Log10IfEEEEEvT_T0_DpT1_
                                        ; -- End function
	.section	.AMDGPU.csdata,"",@progbits
; Kernel info:
; codeLenInByte = 2412
; NumSgprs: 22
; NumVgprs: 17
; ScratchSize: 0
; MemoryBound: 0
; FloatMode: 240
; IeeeMode: 1
; LDSByteSize: 0 bytes/workgroup (compile time only)
; SGPRBlocks: 2
; VGPRBlocks: 2
; NumSGPRsForWavesPerEU: 22
; NumVGPRsForWavesPerEU: 17
; Occupancy: 16
; WaveLimiterHint : 0
; COMPUTE_PGM_RSRC2:SCRATCH_EN: 0
; COMPUTE_PGM_RSRC2:USER_SGPR: 15
; COMPUTE_PGM_RSRC2:TRAP_HANDLER: 0
; COMPUTE_PGM_RSRC2:TGID_X_EN: 1
; COMPUTE_PGM_RSRC2:TGID_Y_EN: 0
; COMPUTE_PGM_RSRC2:TGID_Z_EN: 0
; COMPUTE_PGM_RSRC2:TIDIG_COMP_CNT: 0
	.section	.text._ZN2at6native12_GLOBAL__N_125multi_tensor_apply_kernelINS1_18TensorListMetadataILi2EEENS1_14UnaryOpFunctorIdLi2ELi1ELi1EEEJNS0_4Log2IdEEEEEvT_T0_DpT1_,"axG",@progbits,_ZN2at6native12_GLOBAL__N_125multi_tensor_apply_kernelINS1_18TensorListMetadataILi2EEENS1_14UnaryOpFunctorIdLi2ELi1ELi1EEEJNS0_4Log2IdEEEEEvT_T0_DpT1_,comdat
	.globl	_ZN2at6native12_GLOBAL__N_125multi_tensor_apply_kernelINS1_18TensorListMetadataILi2EEENS1_14UnaryOpFunctorIdLi2ELi1ELi1EEEJNS0_4Log2IdEEEEEvT_T0_DpT1_ ; -- Begin function _ZN2at6native12_GLOBAL__N_125multi_tensor_apply_kernelINS1_18TensorListMetadataILi2EEENS1_14UnaryOpFunctorIdLi2ELi1ELi1EEEJNS0_4Log2IdEEEEEvT_T0_DpT1_
	.p2align	8
	.type	_ZN2at6native12_GLOBAL__N_125multi_tensor_apply_kernelINS1_18TensorListMetadataILi2EEENS1_14UnaryOpFunctorIdLi2ELi1ELi1EEEJNS0_4Log2IdEEEEEvT_T0_DpT1_,@function
_ZN2at6native12_GLOBAL__N_125multi_tensor_apply_kernelINS1_18TensorListMetadataILi2EEENS1_14UnaryOpFunctorIdLi2ELi1ELi1EEEJNS0_4Log2IdEEEEEvT_T0_DpT1_: ; @_ZN2at6native12_GLOBAL__N_125multi_tensor_apply_kernelINS1_18TensorListMetadataILi2EEENS1_14UnaryOpFunctorIdLi2ELi1ELi1EEEJNS0_4Log2IdEEEEEvT_T0_DpT1_
; %bb.0:
	v_mov_b32_e32 v1, s15
	s_add_u32 s2, s0, s15
	s_mul_hi_u32 s3, s15, 3
	s_mul_i32 s15, s15, 3
	s_addc_u32 s4, s1, 0
	global_load_u8 v1, v1, s[0:1] offset:1536
	s_add_u32 s2, s2, s15
	s_addc_u32 s3, s4, s3
	s_mov_b32 s7, 0
	s_load_b32 s2, s[2:3], 0x740
	s_mov_b32 s11, s7
	s_mov_b32 s17, s7
	s_waitcnt vmcnt(0)
	v_readfirstlane_b32 s5, v1
	s_delay_alu instid0(VALU_DEP_1)
	s_lshl_b32 s3, s5, 3
	s_clause 0x2
	s_load_b64 s[14:15], s[0:1], s3 offset:0x0
	s_load_b64 s[12:13], s[0:1], s3 offset:0x200
	;; [unrolled: 1-line block ×3, first 2 shown]
	s_waitcnt lgkmcnt(0)
	s_ashr_i32 s3, s2, 31
	s_delay_alu instid0(SALU_CYCLE_1) | instskip(NEXT) | instid1(SALU_CYCLE_1)
	s_lshl_b64 s[8:9], s[2:3], 19
	s_add_u32 s33, s14, s8
	s_addc_u32 s38, s15, s9
	s_and_b32 s6, s33, 31
	s_add_u32 s39, s12, s8
	s_addc_u32 s40, s13, s9
	s_and_b32 s10, s4, 3
	s_and_b32 s16, s39, 31
	s_or_b64 s[6:7], s[6:7], s[10:11]
	s_lshl_b64 s[2:3], s[2:3], 16
	s_or_b64 s[6:7], s[16:17], s[6:7]
	s_sub_u32 s10, s4, s2
	s_subb_u32 s11, s5, s3
	s_cmp_eq_u64 s[6:7], 0
	s_mov_b32 s2, -1
	s_cbranch_scc0 .LBB190_5
; %bb.1:
	v_mov_b32_e32 v9, 0
	v_lshlrev_b32_e32 v1, 2, v0
	s_mov_b32 s41, exec_lo
	s_delay_alu instid0(VALU_DEP_2) | instskip(NEXT) | instid1(VALU_DEP_1)
	v_mov_b32_e32 v2, v9
	v_cmpx_gt_i64_e64 s[10:11], v[1:2]
	s_cbranch_execz .LBB190_4
; %bb.2:
	s_load_b32 s2, s[0:1], 0xc5c
	v_dual_mov_b32 v12, v9 :: v_dual_lshlrev_b32 v13, 5, v0
	s_mov_b32 s34, 0x55555555
	s_mov_b32 s35, 0x3fe55555
	;; [unrolled: 1-line block ×17, first 2 shown]
	s_waitcnt lgkmcnt(0)
	s_and_b32 s2, s2, 0xffff
	s_mov_b32 s29, 0x3ff71547
	v_add_lshl_u32 v11, v0, s2, 2
	s_lshl_b32 s43, s2, 2
	s_lshl_b32 s44, s2, 5
	s_mov_b32 s31, 0x3c7777d0
	s_mov_b32 s36, 0x55555780
	;; [unrolled: 1-line block ×3, first 2 shown]
.LBB190_3:                              ; =>This Inner Loop Header: Depth=1
	v_add_co_u32 v1, s2, s33, v13
	s_delay_alu instid0(VALU_DEP_1)
	v_add_co_ci_u32_e64 v2, null, s38, 0, s2
	v_cmp_lt_u64_e64 s6, 0xffff, v[11:12]
	s_clause 0x1
	global_load_b128 v[5:8], v[1:2], off
	global_load_b128 v[1:4], v[1:2], off offset:16
	s_waitcnt vmcnt(1)
	v_frexp_mant_f64_e32 v[14:15], v[5:6]
	v_frexp_mant_f64_e32 v[16:17], v[7:8]
	s_waitcnt vmcnt(0)
	v_frexp_mant_f64_e32 v[18:19], v[1:2]
	v_frexp_mant_f64_e32 v[20:21], v[3:4]
	v_cmp_class_f64_e64 s5, v[3:4], 0x204
	v_cmp_gt_f64_e32 vcc_lo, s[34:35], v[14:15]
	v_cmp_gt_f64_e64 s3, s[34:35], v[16:17]
	v_cmp_gt_f64_e64 s2, s[34:35], v[18:19]
	;; [unrolled: 1-line block ×3, first 2 shown]
	v_cndmask_b32_e64 v10, 0x3ff00000, 2.0, vcc_lo
	s_delay_alu instid0(VALU_DEP_1) | instskip(SKIP_1) | instid1(VALU_DEP_1)
	v_mul_f64 v[14:15], v[14:15], v[9:10]
	v_cndmask_b32_e64 v10, 0x3ff00000, 2.0, s3
	v_mul_f64 v[16:17], v[16:17], v[9:10]
	v_cndmask_b32_e64 v10, 0x3ff00000, 2.0, s2
	s_delay_alu instid0(VALU_DEP_1) | instskip(SKIP_1) | instid1(VALU_DEP_1)
	v_mul_f64 v[18:19], v[18:19], v[9:10]
	v_cndmask_b32_e64 v10, 0x3ff00000, 2.0, s4
	v_mul_f64 v[20:21], v[20:21], v[9:10]
	v_frexp_exp_i32_f64_e32 v10, v[5:6]
	v_add_f64 v[22:23], v[14:15], 1.0
	v_add_f64 v[46:47], v[14:15], -1.0
	v_add_f64 v[24:25], v[16:17], 1.0
	v_add_f64 v[48:49], v[16:17], -1.0
	;; [unrolled: 2-line block ×4, first 2 shown]
	v_subrev_co_ci_u32_e32 v10, vcc_lo, 0, v10, vcc_lo
	v_rcp_f64_e32 v[30:31], v[22:23]
	v_add_f64 v[54:55], v[22:23], -1.0
	v_rcp_f64_e32 v[32:33], v[24:25]
	v_add_f64 v[56:57], v[24:25], -1.0
	v_rcp_f64_e32 v[34:35], v[26:27]
	v_add_f64 v[58:59], v[26:27], -1.0
	v_rcp_f64_e32 v[36:37], v[28:29]
	v_add_f64 v[60:61], v[28:29], -1.0
	s_delay_alu instid0(VALU_DEP_4) | instskip(SKIP_2) | instid1(TRANS32_DEP_3)
	v_add_f64 v[14:15], v[14:15], -v[54:55]
	v_fma_f64 v[38:39], -v[22:23], v[30:31], 1.0
	v_add_f64 v[16:17], v[16:17], -v[56:57]
	v_fma_f64 v[40:41], -v[24:25], v[32:33], 1.0
	v_add_f64 v[18:19], v[18:19], -v[58:59]
	s_delay_alu instid0(TRANS32_DEP_2) | instskip(SKIP_1) | instid1(TRANS32_DEP_1)
	v_fma_f64 v[42:43], -v[26:27], v[34:35], 1.0
	v_add_f64 v[20:21], v[20:21], -v[60:61]
	v_fma_f64 v[44:45], -v[28:29], v[36:37], 1.0
	v_fma_f64 v[30:31], v[38:39], v[30:31], v[30:31]
	v_fma_f64 v[32:33], v[40:41], v[32:33], v[32:33]
	;; [unrolled: 1-line block ×3, first 2 shown]
	s_delay_alu instid0(VALU_DEP_4) | instskip(NEXT) | instid1(VALU_DEP_4)
	v_fma_f64 v[36:37], v[44:45], v[36:37], v[36:37]
	v_fma_f64 v[38:39], -v[22:23], v[30:31], 1.0
	s_delay_alu instid0(VALU_DEP_4) | instskip(NEXT) | instid1(VALU_DEP_4)
	v_fma_f64 v[40:41], -v[24:25], v[32:33], 1.0
	v_fma_f64 v[42:43], -v[26:27], v[34:35], 1.0
	s_delay_alu instid0(VALU_DEP_4) | instskip(NEXT) | instid1(VALU_DEP_4)
	v_fma_f64 v[44:45], -v[28:29], v[36:37], 1.0
	v_fma_f64 v[30:31], v[38:39], v[30:31], v[30:31]
	s_delay_alu instid0(VALU_DEP_4) | instskip(NEXT) | instid1(VALU_DEP_4)
	v_fma_f64 v[32:33], v[40:41], v[32:33], v[32:33]
	v_fma_f64 v[34:35], v[42:43], v[34:35], v[34:35]
	s_delay_alu instid0(VALU_DEP_4) | instskip(NEXT) | instid1(VALU_DEP_4)
	v_fma_f64 v[36:37], v[44:45], v[36:37], v[36:37]
	v_mul_f64 v[38:39], v[46:47], v[30:31]
	s_delay_alu instid0(VALU_DEP_4) | instskip(NEXT) | instid1(VALU_DEP_4)
	v_mul_f64 v[40:41], v[48:49], v[32:33]
	v_mul_f64 v[42:43], v[50:51], v[34:35]
	s_delay_alu instid0(VALU_DEP_4) | instskip(NEXT) | instid1(VALU_DEP_4)
	v_mul_f64 v[44:45], v[52:53], v[36:37]
	;; [unrolled: 3-line block ×4, first 2 shown]
	v_fma_f64 v[22:23], v[38:39], v[22:23], -v[62:63]
	s_delay_alu instid0(VALU_DEP_4) | instskip(NEXT) | instid1(VALU_DEP_4)
	v_fma_f64 v[24:25], v[40:41], v[24:25], -v[64:65]
	v_fma_f64 v[26:27], v[42:43], v[26:27], -v[66:67]
	s_delay_alu instid0(VALU_DEP_4) | instskip(NEXT) | instid1(VALU_DEP_4)
	v_fma_f64 v[28:29], v[44:45], v[28:29], -v[68:69]
	v_fma_f64 v[14:15], v[38:39], v[14:15], v[22:23]
	s_delay_alu instid0(VALU_DEP_4) | instskip(NEXT) | instid1(VALU_DEP_4)
	v_fma_f64 v[16:17], v[40:41], v[16:17], v[24:25]
	v_fma_f64 v[18:19], v[42:43], v[18:19], v[26:27]
	s_delay_alu instid0(VALU_DEP_4) | instskip(NEXT) | instid1(VALU_DEP_4)
	v_fma_f64 v[20:21], v[44:45], v[20:21], v[28:29]
	v_add_f64 v[22:23], v[62:63], v[14:15]
	s_delay_alu instid0(VALU_DEP_4) | instskip(NEXT) | instid1(VALU_DEP_4)
	v_add_f64 v[24:25], v[64:65], v[16:17]
	v_add_f64 v[26:27], v[66:67], v[18:19]
	s_delay_alu instid0(VALU_DEP_4) | instskip(NEXT) | instid1(VALU_DEP_4)
	v_add_f64 v[28:29], v[68:69], v[20:21]
	v_add_f64 v[54:55], v[46:47], -v[22:23]
	v_add_f64 v[62:63], v[22:23], -v[62:63]
	v_add_f64 v[56:57], v[48:49], -v[24:25]
	v_add_f64 v[64:65], v[24:25], -v[64:65]
	v_add_f64 v[58:59], v[50:51], -v[26:27]
	v_add_f64 v[66:67], v[26:27], -v[66:67]
	v_add_f64 v[60:61], v[52:53], -v[28:29]
	v_add_f64 v[68:69], v[28:29], -v[68:69]
	v_add_f64 v[46:47], v[46:47], -v[54:55]
	v_add_f64 v[14:15], v[62:63], -v[14:15]
	v_add_f64 v[48:49], v[48:49], -v[56:57]
	v_add_f64 v[16:17], v[64:65], -v[16:17]
	v_add_f64 v[50:51], v[50:51], -v[58:59]
	v_add_f64 v[18:19], v[66:67], -v[18:19]
	v_add_f64 v[52:53], v[52:53], -v[60:61]
	v_add_f64 v[20:21], v[68:69], -v[20:21]
	v_add_f64 v[22:23], v[46:47], -v[22:23]
	v_add_f64 v[24:25], v[48:49], -v[24:25]
	v_add_f64 v[26:27], v[50:51], -v[26:27]
	v_add_f64 v[28:29], v[52:53], -v[28:29]
	s_delay_alu instid0(VALU_DEP_4) | instskip(NEXT) | instid1(VALU_DEP_4)
	v_add_f64 v[14:15], v[14:15], v[22:23]
	v_add_f64 v[16:17], v[16:17], v[24:25]
	s_delay_alu instid0(VALU_DEP_4) | instskip(NEXT) | instid1(VALU_DEP_4)
	v_add_f64 v[18:19], v[18:19], v[26:27]
	v_add_f64 v[20:21], v[20:21], v[28:29]
	;; [unrolled: 3-line block ×4, first 2 shown]
	s_delay_alu instid0(VALU_DEP_4) | instskip(NEXT) | instid1(VALU_DEP_4)
	v_mul_f64 v[14:15], v[30:31], v[14:15]
	v_mul_f64 v[16:17], v[32:33], v[16:17]
	s_delay_alu instid0(VALU_DEP_4) | instskip(NEXT) | instid1(VALU_DEP_4)
	v_mul_f64 v[18:19], v[34:35], v[18:19]
	v_mul_f64 v[20:21], v[36:37], v[20:21]
	s_delay_alu instid0(VALU_DEP_4) | instskip(NEXT) | instid1(VALU_DEP_4)
	v_add_f64 v[22:23], v[38:39], v[14:15]
	v_add_f64 v[24:25], v[40:41], v[16:17]
	s_delay_alu instid0(VALU_DEP_4) | instskip(NEXT) | instid1(VALU_DEP_4)
	v_add_f64 v[26:27], v[42:43], v[18:19]
	v_add_f64 v[28:29], v[44:45], v[20:21]
	s_delay_alu instid0(VALU_DEP_4) | instskip(NEXT) | instid1(VALU_DEP_4)
	v_mul_f64 v[30:31], v[22:23], v[22:23]
	v_mul_f64 v[32:33], v[24:25], v[24:25]
	s_delay_alu instid0(VALU_DEP_4) | instskip(NEXT) | instid1(VALU_DEP_4)
	v_mul_f64 v[34:35], v[26:27], v[26:27]
	v_mul_f64 v[36:37], v[28:29], v[28:29]
	s_delay_alu instid0(VALU_DEP_4)
	v_fma_f64 v[46:47], v[30:31], s[18:19], s[16:17]
	v_mul_f64 v[54:55], v[22:23], v[30:31]
	v_fma_f64 v[48:49], v[32:33], s[18:19], s[16:17]
	v_mul_f64 v[56:57], v[24:25], v[32:33]
	;; [unrolled: 2-line block ×4, first 2 shown]
	v_fma_f64 v[46:47], v[30:31], v[46:47], s[20:21]
	v_fma_f64 v[48:49], v[32:33], v[48:49], s[20:21]
	;; [unrolled: 1-line block ×4, first 2 shown]
	s_delay_alu instid0(VALU_DEP_4) | instskip(NEXT) | instid1(VALU_DEP_4)
	v_fma_f64 v[46:47], v[30:31], v[46:47], s[22:23]
	v_fma_f64 v[48:49], v[32:33], v[48:49], s[22:23]
	s_delay_alu instid0(VALU_DEP_4) | instskip(NEXT) | instid1(VALU_DEP_4)
	v_fma_f64 v[50:51], v[34:35], v[50:51], s[22:23]
	v_fma_f64 v[52:53], v[36:37], v[52:53], s[22:23]
	;; [unrolled: 3-line block ×6, first 2 shown]
	s_delay_alu instid0(VALU_DEP_4)
	v_fma_f64 v[30:31], v[30:31], v[46:47], s[36:37]
	v_ldexp_f64 v[46:47], v[22:23], 1
	v_add_f64 v[22:23], v[22:23], -v[38:39]
	v_fma_f64 v[32:33], v[32:33], v[48:49], s[36:37]
	v_ldexp_f64 v[48:49], v[24:25], 1
	v_add_f64 v[24:25], v[24:25], -v[40:41]
	;; [unrolled: 3-line block ×4, first 2 shown]
	v_mul_f64 v[30:31], v[54:55], v[30:31]
	v_add_f64 v[14:15], v[14:15], -v[22:23]
	v_mul_f64 v[32:33], v[56:57], v[32:33]
	v_add_f64 v[16:17], v[16:17], -v[24:25]
	;; [unrolled: 2-line block ×4, first 2 shown]
	v_add_f64 v[38:39], v[46:47], v[30:31]
	v_ldexp_f64 v[14:15], v[14:15], 1
	v_add_f64 v[40:41], v[48:49], v[32:33]
	v_ldexp_f64 v[16:17], v[16:17], 1
	;; [unrolled: 2-line block ×4, first 2 shown]
	v_add_f64 v[22:23], v[38:39], -v[46:47]
	v_add_f64 v[24:25], v[40:41], -v[48:49]
	v_add_f64 v[26:27], v[42:43], -v[50:51]
	v_add_f64 v[28:29], v[44:45], -v[52:53]
	s_delay_alu instid0(VALU_DEP_4) | instskip(NEXT) | instid1(VALU_DEP_4)
	v_add_f64 v[22:23], v[30:31], -v[22:23]
	v_add_f64 v[24:25], v[32:33], -v[24:25]
	s_delay_alu instid0(VALU_DEP_4) | instskip(NEXT) | instid1(VALU_DEP_4)
	v_add_f64 v[26:27], v[34:35], -v[26:27]
	v_add_f64 v[28:29], v[36:37], -v[28:29]
	s_delay_alu instid0(VALU_DEP_4) | instskip(NEXT) | instid1(VALU_DEP_4)
	v_add_f64 v[14:15], v[14:15], v[22:23]
	v_add_f64 v[16:17], v[16:17], v[24:25]
	s_delay_alu instid0(VALU_DEP_4) | instskip(NEXT) | instid1(VALU_DEP_4)
	v_add_f64 v[18:19], v[18:19], v[26:27]
	v_add_f64 v[20:21], v[20:21], v[28:29]
	;; [unrolled: 3-line block ×4, first 2 shown]
	s_delay_alu instid0(VALU_DEP_4)
	v_add_f64 v[30:31], v[22:23], -v[38:39]
	v_mul_f64 v[32:33], v[22:23], s[28:29]
	v_add_f64 v[34:35], v[24:25], -v[40:41]
	v_mul_f64 v[36:37], v[24:25], s[28:29]
	;; [unrolled: 2-line block ×4, first 2 shown]
	v_add_f64 v[14:15], v[14:15], -v[30:31]
	v_fma_f64 v[30:31], v[22:23], s[28:29], -v[32:33]
	v_add_f64 v[16:17], v[16:17], -v[34:35]
	v_fma_f64 v[34:35], v[24:25], s[28:29], -v[36:37]
	;; [unrolled: 2-line block ×4, first 2 shown]
	v_fma_f64 v[14:15], v[14:15], s[28:29], v[30:31]
	v_frexp_exp_i32_f64_e32 v30, v[7:8]
	v_frexp_exp_i32_f64_e32 v31, v[1:2]
	v_fma_f64 v[16:17], v[16:17], s[28:29], v[34:35]
	v_frexp_exp_i32_f64_e32 v34, v[3:4]
	v_fma_f64 v[18:19], v[18:19], s[28:29], v[38:39]
	v_fma_f64 v[20:21], v[20:21], s[28:29], v[42:43]
	;; [unrolled: 1-line block ×3, first 2 shown]
	v_cvt_f64_i32_e32 v[22:23], v10
	v_fma_f64 v[16:17], v[24:25], s[30:31], v[16:17]
	v_subrev_co_ci_u32_e64 v24, vcc_lo, 0, v30, s3
	v_cmp_class_f64_e64 s3, v[7:8], 0x204
	v_fma_f64 v[18:19], v[26:27], s[30:31], v[18:19]
	v_subrev_co_ci_u32_e64 v26, vcc_lo, 0, v31, s2
	s_delay_alu instid0(VALU_DEP_4)
	v_cvt_f64_i32_e32 v[24:25], v24
	v_cmp_class_f64_e64 s2, v[5:6], 0x204
	v_fma_f64 v[20:21], v[28:29], s[30:31], v[20:21]
	v_subrev_co_ci_u32_e64 v28, vcc_lo, 0, v34, s4
	v_cvt_f64_i32_e32 v[26:27], v26
	v_cmp_le_i64_e32 vcc_lo, s[10:11], v[11:12]
	v_cmp_class_f64_e64 s4, v[1:2], 0x204
	s_delay_alu instid0(VALU_DEP_4)
	v_cvt_f64_i32_e32 v[28:29], v28
	s_or_b32 s6, vcc_lo, s6
	v_cmp_nge_f64_e32 vcc_lo, 0, v[5:6]
	s_add_u32 s33, s33, s44
	s_addc_u32 s38, s38, 0
	v_add_f64 v[30:31], v[32:33], v[14:15]
	v_add_f64 v[34:35], v[36:37], v[16:17]
	;; [unrolled: 1-line block ×4, first 2 shown]
	s_delay_alu instid0(VALU_DEP_4)
	v_add_f64 v[46:47], v[30:31], v[22:23]
	v_add_f64 v[32:33], v[30:31], -v[32:33]
	v_add_f64 v[48:49], v[34:35], v[24:25]
	v_add_f64 v[36:37], v[34:35], -v[36:37]
	;; [unrolled: 2-line block ×4, first 2 shown]
	v_add_f64 v[54:55], v[46:47], -v[22:23]
	v_add_f64 v[14:15], v[14:15], -v[32:33]
	;; [unrolled: 1-line block ×16, first 2 shown]
	v_add_f64 v[22:23], v[62:63], v[22:23]
	v_add_f64 v[24:25], v[64:65], v[24:25]
	;; [unrolled: 1-line block ×4, first 2 shown]
	s_delay_alu instid0(VALU_DEP_4) | instskip(NEXT) | instid1(VALU_DEP_4)
	v_add_f64 v[22:23], v[30:31], v[22:23]
	v_add_f64 v[24:25], v[34:35], v[24:25]
	s_delay_alu instid0(VALU_DEP_4) | instskip(NEXT) | instid1(VALU_DEP_4)
	v_add_f64 v[26:27], v[38:39], v[26:27]
	v_add_f64 v[28:29], v[42:43], v[28:29]
	s_delay_alu instid0(VALU_DEP_4) | instskip(SKIP_1) | instid1(VALU_DEP_1)
	v_add_f64 v[14:15], v[14:15], v[22:23]
	v_add_co_u32 v22, s7, s39, v13
	v_add_co_ci_u32_e64 v23, null, s40, 0, s7
	v_add_co_u32 v11, s7, v11, s43
	v_add_f64 v[16:17], v[16:17], v[24:25]
	s_add_u32 s39, s39, s44
	v_add_co_ci_u32_e64 v12, s7, 0, v12, s7
	s_addc_u32 s40, s40, 0
	v_add_f64 v[18:19], v[18:19], v[26:27]
	v_add_f64 v[20:21], v[20:21], v[28:29]
	;; [unrolled: 1-line block ×4, first 2 shown]
	s_delay_alu instid0(VALU_DEP_4) | instskip(NEXT) | instid1(VALU_DEP_4)
	v_add_f64 v[18:19], v[50:51], v[18:19]
	v_add_f64 v[20:21], v[52:53], v[20:21]
	s_delay_alu instid0(VALU_DEP_4) | instskip(SKIP_2) | instid1(VALU_DEP_1)
	v_cndmask_b32_e64 v10, v14, v5, s2
	v_cndmask_b32_e64 v14, v15, v6, s2
	v_cmp_ngt_f64_e64 s2, 0, v[5:6]
	v_cndmask_b32_e64 v15, 0x7ff80000, v14, s2
	s_delay_alu instid0(VALU_DEP_4)
	v_cndmask_b32_e32 v14, 0, v10, vcc_lo
	v_cndmask_b32_e64 v10, v16, v7, s3
	v_cndmask_b32_e64 v16, v17, v8, s3
	v_cmp_ngt_f64_e32 vcc_lo, 0, v[7:8]
	v_cmp_nge_f64_e64 s2, 0, v[7:8]
	v_cmp_neq_f64_e64 s3, 0, v[5:6]
	v_cndmask_b32_e64 v6, v18, v1, s4
	v_cndmask_b32_e32 v5, 0x7ff80000, v16, vcc_lo
	s_delay_alu instid0(VALU_DEP_4) | instskip(NEXT) | instid1(VALU_DEP_4)
	v_cndmask_b32_e64 v16, 0, v10, s2
	v_cndmask_b32_e64 v15, 0xfff00000, v15, s3
	v_cmp_ngt_f64_e32 vcc_lo, 0, v[1:2]
	v_cmp_nge_f64_e64 s2, 0, v[1:2]
	v_cmp_neq_f64_e64 s3, 0, v[7:8]
	v_cndmask_b32_e64 v10, v19, v2, s4
	v_cndmask_b32_e64 v7, v20, v3, s5
	;; [unrolled: 1-line block ×3, first 2 shown]
	s_delay_alu instid0(VALU_DEP_3)
	v_cndmask_b32_e32 v10, 0x7ff80000, v10, vcc_lo
	v_cmp_nge_f64_e32 vcc_lo, 0, v[3:4]
	v_cndmask_b32_e64 v17, 0xfff00000, v5, s3
	v_cndmask_b32_e64 v5, 0, v6, s2
	v_cmp_ngt_f64_e64 s2, 0, v[3:4]
	v_cndmask_b32_e32 v7, 0, v7, vcc_lo
	v_cmp_neq_f64_e32 vcc_lo, 0, v[3:4]
	s_delay_alu instid0(VALU_DEP_3) | instskip(SKIP_1) | instid1(VALU_DEP_2)
	v_cndmask_b32_e64 v8, 0x7ff80000, v8, s2
	v_cmp_neq_f64_e64 s2, 0, v[1:2]
	v_cndmask_b32_e32 v8, 0xfff00000, v8, vcc_lo
	s_delay_alu instid0(VALU_DEP_2)
	v_cndmask_b32_e64 v6, 0xfff00000, v10, s2
	s_and_b32 s2, exec_lo, s6
	s_clause 0x1
	global_store_b128 v[22:23], v[14:17], off
	global_store_b128 v[22:23], v[5:8], off offset:16
	s_or_b32 s42, s2, s42
	s_delay_alu instid0(SALU_CYCLE_1)
	s_and_not1_b32 exec_lo, exec_lo, s42
	s_cbranch_execnz .LBB190_3
.LBB190_4:
	s_or_b32 exec_lo, exec_lo, s41
	s_mov_b32 s2, 0
.LBB190_5:
	s_delay_alu instid0(SALU_CYCLE_1)
	s_and_not1_b32 vcc_lo, exec_lo, s2
	s_cbranch_vccnz .LBB190_25
; %bb.6:
	v_cmp_lt_i64_e64 s2, s[10:11], 1
	s_delay_alu instid0(VALU_DEP_1)
	s_and_b32 vcc_lo, exec_lo, s2
	s_cbranch_vccnz .LBB190_25
; %bb.7:
	s_load_b32 s0, s[0:1], 0xc5c
	v_dual_mov_b32 v1, 0 :: v_dual_lshlrev_b32 v2, 3, v0
	v_cmp_gt_u64_e64 s1, 0x10000, s[10:11]
	s_mov_b32 s6, 0x55555555
	s_mov_b32 s16, 0xbf559e2b
	;; [unrolled: 1-line block ×3, first 2 shown]
	v_add_co_u32 v11, s2, s14, v2
	s_delay_alu instid0(VALU_DEP_1) | instskip(SKIP_1) | instid1(VALU_DEP_1)
	v_add_co_ci_u32_e64 v12, null, s15, 0, s2
	v_add_co_u32 v13, s2, s12, v2
	v_add_co_ci_u32_e64 v14, null, s13, 0, s2
	s_mov_b32 s20, 0x16291751
	s_mov_b32 s22, 0x9b27acf1
	;; [unrolled: 1-line block ×5, first 2 shown]
	s_waitcnt lgkmcnt(0)
	s_and_b32 s0, s0, 0xffff
	s_and_b32 s1, s1, exec_lo
	s_mul_i32 s2, s0, 3
	s_cselect_b32 s5, s11, 0
	v_add_co_u32 v19, s2, s2, v0
	s_delay_alu instid0(VALU_DEP_1)
	v_add_co_ci_u32_e64 v20, null, 0, 0, s2
	v_add_co_u32 v23, s2, v0, s0
	v_mov_b32_e32 v3, v1
	s_cselect_b32 s4, s10, 0x10000
	s_lshl_b32 s3, s0, 4
	s_lshl_b32 s1, s0, 1
	v_add_co_ci_u32_e64 v26, null, 0, 0, s2
	v_mad_u64_u32 v[4:5], null, s0, 24, v[2:3]
	v_add_co_u32 v2, s3, s3, v2
	s_delay_alu instid0(VALU_DEP_1) | instskip(SKIP_1) | instid1(VALU_DEP_4)
	v_add_co_ci_u32_e64 v3, null, 0, 0, s3
	v_add_co_u32 v27, s1, s1, v0
	v_add_co_u32 v15, vcc_lo, s14, v4
	v_add_co_ci_u32_e32 v16, vcc_lo, s15, v5, vcc_lo
	v_add_co_u32 v17, vcc_lo, s12, v4
	v_add_co_ci_u32_e32 v18, vcc_lo, s13, v5, vcc_lo
	;; [unrolled: 2-line block ×3, first 2 shown]
	v_add_co_u32 v24, vcc_lo, s12, v2
	v_lshlrev_b32_e32 v2, 3, v23
	v_add_co_ci_u32_e64 v28, null, 0, 0, s1
	v_add_co_ci_u32_e32 v25, vcc_lo, s13, v3, vcc_lo
	s_delay_alu instid0(VALU_DEP_3) | instskip(NEXT) | instid1(VALU_DEP_1)
	v_add_co_u32 v29, s1, s14, v2
	v_add_co_ci_u32_e64 v30, null, s15, 0, s1
	v_add_co_u32 v31, s1, s12, v2
	s_delay_alu instid0(VALU_DEP_1)
	v_add_co_ci_u32_e64 v32, null, s13, 0, s1
	s_mov_b32 s14, 0x6b47b09a
	s_lshl_b32 s33, s0, 2
	s_mov_b32 s7, 0x3fe55555
	s_mov_b32 s15, 0x3fc38538
	s_mov_b32 s17, 0x3fc3ab76
	s_mov_b32 s19, 0x3fc7474d
	s_mov_b32 s21, 0x3fcc71c0
	s_mov_b32 s23, 0x3fd24924
	s_mov_b32 s25, 0x3fd99999
	s_mov_b32 s27, 0x3ff71547
	s_mov_b32 s29, 0x3c7777d0
	s_lshl_b32 s34, s0, 5
	s_mov_b64 s[12:13], 0
	s_mov_b32 s30, 0x55555780
	s_branch .LBB190_9
.LBB190_8:                              ;   in Loop: Header=BB190_9 Depth=1
	s_or_b32 exec_lo, exec_lo, s0
	v_add_co_u32 v11, vcc_lo, v11, s34
	v_add_co_ci_u32_e32 v12, vcc_lo, 0, v12, vcc_lo
	v_add_co_u32 v13, vcc_lo, v13, s34
	v_add_co_ci_u32_e32 v14, vcc_lo, 0, v14, vcc_lo
	;; [unrolled: 2-line block ×5, first 2 shown]
	s_add_u32 s12, s12, s33
	v_add_co_u32 v24, vcc_lo, v24, s34
	s_addc_u32 s13, s13, 0
	v_add_co_ci_u32_e32 v25, vcc_lo, 0, v25, vcc_lo
	v_cmp_ge_i64_e64 s0, s[12:13], s[10:11]
	v_cmp_lt_u64_e64 s1, 0xffff, s[12:13]
	v_add_co_u32 v29, vcc_lo, v29, s34
	v_add_co_ci_u32_e32 v30, vcc_lo, 0, v30, vcc_lo
	v_add_co_u32 v31, vcc_lo, v31, s34
	v_add_co_ci_u32_e32 v32, vcc_lo, 0, v32, vcc_lo
	s_or_b32 s0, s0, s1
	s_delay_alu instid0(SALU_CYCLE_1)
	s_and_b32 vcc_lo, exec_lo, s0
	s_cbranch_vccnz .LBB190_25
.LBB190_9:                              ; =>This Inner Loop Header: Depth=1
	v_add_co_u32 v2, s0, v0, s12
	s_waitcnt vmcnt(0)
	v_add_co_ci_u32_e64 v3, null, 0, s13, s0
	v_mov_b32_e32 v7, 0
	v_mov_b32_e32 v8, 0
	s_delay_alu instid0(VALU_DEP_3) | instskip(NEXT) | instid1(VALU_DEP_2)
	v_cmp_gt_u64_e64 s2, s[4:5], v[2:3]
	v_dual_mov_b32 v10, v8 :: v_dual_mov_b32 v9, v7
	s_delay_alu instid0(VALU_DEP_2)
	s_and_saveexec_b32 s0, s2
	s_cbranch_execz .LBB190_11
; %bb.10:                               ;   in Loop: Header=BB190_9 Depth=1
	v_add_co_u32 v2, vcc_lo, v11, s8
	v_add_co_ci_u32_e32 v3, vcc_lo, s9, v12, vcc_lo
	global_load_b64 v[9:10], v[2:3], off
.LBB190_11:                             ;   in Loop: Header=BB190_9 Depth=1
	s_or_b32 exec_lo, exec_lo, s0
	v_add_co_u32 v2, vcc_lo, v23, s12
	v_add_co_ci_u32_e32 v3, vcc_lo, s13, v26, vcc_lo
	s_delay_alu instid0(VALU_DEP_1) | instskip(NEXT) | instid1(VALU_DEP_1)
	v_cmp_gt_u64_e64 s1, s[4:5], v[2:3]
	s_and_saveexec_b32 s0, s1
	s_cbranch_execz .LBB190_13
; %bb.12:                               ;   in Loop: Header=BB190_9 Depth=1
	v_add_co_u32 v2, vcc_lo, v29, s8
	v_add_co_ci_u32_e32 v3, vcc_lo, s9, v30, vcc_lo
	global_load_b64 v[7:8], v[2:3], off
.LBB190_13:                             ;   in Loop: Header=BB190_9 Depth=1
	s_or_b32 exec_lo, exec_lo, s0
	v_add_co_u32 v5, vcc_lo, v27, s12
	v_add_co_ci_u32_e32 v6, vcc_lo, s13, v28, vcc_lo
	v_mov_b32_e32 v3, 0
	v_mov_b32_e32 v4, 0
	s_delay_alu instid0(VALU_DEP_3) | instskip(NEXT) | instid1(VALU_DEP_2)
	v_cmp_gt_u64_e64 s0, s[4:5], v[5:6]
	v_dual_mov_b32 v6, v4 :: v_dual_mov_b32 v5, v3
	s_delay_alu instid0(VALU_DEP_2)
	s_and_saveexec_b32 s3, s0
	s_cbranch_execz .LBB190_15
; %bb.14:                               ;   in Loop: Header=BB190_9 Depth=1
	v_add_co_u32 v5, vcc_lo, v21, s8
	v_add_co_ci_u32_e32 v6, vcc_lo, s9, v22, vcc_lo
	global_load_b64 v[5:6], v[5:6], off
.LBB190_15:                             ;   in Loop: Header=BB190_9 Depth=1
	s_or_b32 exec_lo, exec_lo, s3
	v_add_co_u32 v33, vcc_lo, v19, s12
	v_add_co_ci_u32_e32 v34, vcc_lo, s13, v20, vcc_lo
	s_delay_alu instid0(VALU_DEP_1)
	v_cmp_gt_u64_e32 vcc_lo, s[4:5], v[33:34]
	s_and_saveexec_b32 s31, vcc_lo
	s_cbranch_execnz .LBB190_20
; %bb.16:                               ;   in Loop: Header=BB190_9 Depth=1
	s_or_b32 exec_lo, exec_lo, s31
	s_and_saveexec_b32 s3, s2
	s_cbranch_execnz .LBB190_21
.LBB190_17:                             ;   in Loop: Header=BB190_9 Depth=1
	s_or_b32 exec_lo, exec_lo, s3
	s_and_saveexec_b32 s2, s1
	s_cbranch_execnz .LBB190_22
.LBB190_18:                             ;   in Loop: Header=BB190_9 Depth=1
	s_or_b32 exec_lo, exec_lo, s2
	s_and_saveexec_b32 s1, s0
	s_cbranch_execnz .LBB190_23
.LBB190_19:                             ;   in Loop: Header=BB190_9 Depth=1
	s_or_b32 exec_lo, exec_lo, s1
	s_and_saveexec_b32 s0, vcc_lo
	s_cbranch_execz .LBB190_8
	s_branch .LBB190_24
.LBB190_20:                             ;   in Loop: Header=BB190_9 Depth=1
	v_add_co_u32 v2, s3, v15, s8
	s_delay_alu instid0(VALU_DEP_1)
	v_add_co_ci_u32_e64 v3, s3, s9, v16, s3
	global_load_b64 v[3:4], v[2:3], off
	s_or_b32 exec_lo, exec_lo, s31
	s_and_saveexec_b32 s3, s2
	s_cbranch_execz .LBB190_17
.LBB190_21:                             ;   in Loop: Header=BB190_9 Depth=1
	s_waitcnt vmcnt(0)
	v_frexp_mant_f64_e32 v[33:34], v[9:10]
	s_mov_b32 s31, s7
	s_delay_alu instid0(VALU_DEP_1) | instskip(NEXT) | instid1(VALU_DEP_1)
	v_cmp_gt_f64_e64 s2, s[6:7], v[33:34]
	v_cndmask_b32_e64 v2, 0x3ff00000, 2.0, s2
	s_delay_alu instid0(VALU_DEP_1) | instskip(SKIP_1) | instid1(VALU_DEP_2)
	v_mul_f64 v[33:34], v[33:34], v[1:2]
	v_frexp_exp_i32_f64_e32 v2, v[9:10]
	v_add_f64 v[35:36], v[33:34], 1.0
	v_add_f64 v[41:42], v[33:34], -1.0
	s_delay_alu instid0(VALU_DEP_3) | instskip(SKIP_1) | instid1(VALU_DEP_4)
	v_subrev_co_ci_u32_e64 v2, s2, 0, v2, s2
	v_cmp_class_f64_e64 s2, v[9:10], 0x204
	v_rcp_f64_e32 v[37:38], v[35:36]
	v_add_f64 v[43:44], v[35:36], -1.0
	s_delay_alu instid0(VALU_DEP_1) | instskip(SKIP_2) | instid1(VALU_DEP_1)
	v_add_f64 v[33:34], v[33:34], -v[43:44]
	s_waitcnt_depctr 0xfff
	v_fma_f64 v[39:40], -v[35:36], v[37:38], 1.0
	v_fma_f64 v[37:38], v[39:40], v[37:38], v[37:38]
	s_delay_alu instid0(VALU_DEP_1) | instskip(NEXT) | instid1(VALU_DEP_1)
	v_fma_f64 v[39:40], -v[35:36], v[37:38], 1.0
	v_fma_f64 v[37:38], v[39:40], v[37:38], v[37:38]
	s_delay_alu instid0(VALU_DEP_1) | instskip(NEXT) | instid1(VALU_DEP_1)
	v_mul_f64 v[39:40], v[41:42], v[37:38]
	v_mul_f64 v[45:46], v[35:36], v[39:40]
	s_delay_alu instid0(VALU_DEP_1) | instskip(NEXT) | instid1(VALU_DEP_1)
	v_fma_f64 v[35:36], v[39:40], v[35:36], -v[45:46]
	v_fma_f64 v[33:34], v[39:40], v[33:34], v[35:36]
	s_delay_alu instid0(VALU_DEP_1) | instskip(NEXT) | instid1(VALU_DEP_1)
	v_add_f64 v[35:36], v[45:46], v[33:34]
	v_add_f64 v[43:44], v[41:42], -v[35:36]
	v_add_f64 v[45:46], v[35:36], -v[45:46]
	s_delay_alu instid0(VALU_DEP_2) | instskip(NEXT) | instid1(VALU_DEP_2)
	v_add_f64 v[41:42], v[41:42], -v[43:44]
	v_add_f64 v[33:34], v[45:46], -v[33:34]
	s_delay_alu instid0(VALU_DEP_2) | instskip(NEXT) | instid1(VALU_DEP_1)
	v_add_f64 v[35:36], v[41:42], -v[35:36]
	v_add_f64 v[33:34], v[33:34], v[35:36]
	s_delay_alu instid0(VALU_DEP_1) | instskip(NEXT) | instid1(VALU_DEP_1)
	v_add_f64 v[33:34], v[43:44], v[33:34]
	v_mul_f64 v[33:34], v[37:38], v[33:34]
	s_delay_alu instid0(VALU_DEP_1) | instskip(NEXT) | instid1(VALU_DEP_1)
	v_add_f64 v[35:36], v[39:40], v[33:34]
	v_mul_f64 v[37:38], v[35:36], v[35:36]
	s_delay_alu instid0(VALU_DEP_1) | instskip(SKIP_1) | instid1(VALU_DEP_2)
	v_fma_f64 v[41:42], v[37:38], s[16:17], s[14:15]
	v_mul_f64 v[43:44], v[35:36], v[37:38]
	v_fma_f64 v[41:42], v[37:38], v[41:42], s[18:19]
	s_delay_alu instid0(VALU_DEP_1) | instskip(NEXT) | instid1(VALU_DEP_1)
	v_fma_f64 v[41:42], v[37:38], v[41:42], s[20:21]
	v_fma_f64 v[41:42], v[37:38], v[41:42], s[22:23]
	s_delay_alu instid0(VALU_DEP_1) | instskip(NEXT) | instid1(VALU_DEP_1)
	v_fma_f64 v[41:42], v[37:38], v[41:42], s[24:25]
	v_fma_f64 v[37:38], v[37:38], v[41:42], s[30:31]
	v_ldexp_f64 v[41:42], v[35:36], 1
	v_add_f64 v[35:36], v[35:36], -v[39:40]
	s_delay_alu instid0(VALU_DEP_3) | instskip(NEXT) | instid1(VALU_DEP_2)
	v_mul_f64 v[37:38], v[43:44], v[37:38]
	v_add_f64 v[33:34], v[33:34], -v[35:36]
	s_delay_alu instid0(VALU_DEP_2) | instskip(NEXT) | instid1(VALU_DEP_2)
	v_add_f64 v[39:40], v[41:42], v[37:38]
	v_ldexp_f64 v[33:34], v[33:34], 1
	s_delay_alu instid0(VALU_DEP_2) | instskip(NEXT) | instid1(VALU_DEP_1)
	v_add_f64 v[35:36], v[39:40], -v[41:42]
	v_add_f64 v[35:36], v[37:38], -v[35:36]
	s_delay_alu instid0(VALU_DEP_1) | instskip(NEXT) | instid1(VALU_DEP_1)
	v_add_f64 v[33:34], v[33:34], v[35:36]
	v_add_f64 v[35:36], v[39:40], v[33:34]
	s_delay_alu instid0(VALU_DEP_1) | instskip(SKIP_1) | instid1(VALU_DEP_2)
	v_add_f64 v[37:38], v[35:36], -v[39:40]
	v_mul_f64 v[39:40], v[35:36], s[26:27]
	v_add_f64 v[33:34], v[33:34], -v[37:38]
	s_delay_alu instid0(VALU_DEP_2) | instskip(NEXT) | instid1(VALU_DEP_1)
	v_fma_f64 v[37:38], v[35:36], s[26:27], -v[39:40]
	v_fma_f64 v[33:34], v[33:34], s[26:27], v[37:38]
	s_delay_alu instid0(VALU_DEP_1) | instskip(SKIP_1) | instid1(VALU_DEP_2)
	v_fma_f64 v[33:34], v[35:36], s[28:29], v[33:34]
	v_cvt_f64_i32_e32 v[35:36], v2
	v_add_f64 v[37:38], v[39:40], v[33:34]
	s_delay_alu instid0(VALU_DEP_1) | instskip(SKIP_1) | instid1(VALU_DEP_2)
	v_add_f64 v[41:42], v[37:38], v[35:36]
	v_add_f64 v[39:40], v[37:38], -v[39:40]
	v_add_f64 v[43:44], v[41:42], -v[35:36]
	s_delay_alu instid0(VALU_DEP_2) | instskip(NEXT) | instid1(VALU_DEP_2)
	v_add_f64 v[33:34], v[33:34], -v[39:40]
	v_add_f64 v[45:46], v[43:44], -v[41:42]
	v_add_f64 v[37:38], v[37:38], -v[43:44]
	s_delay_alu instid0(VALU_DEP_2) | instskip(NEXT) | instid1(VALU_DEP_1)
	v_add_f64 v[35:36], v[45:46], v[35:36]
	v_add_f64 v[35:36], v[37:38], v[35:36]
	s_delay_alu instid0(VALU_DEP_1) | instskip(NEXT) | instid1(VALU_DEP_1)
	v_add_f64 v[33:34], v[33:34], v[35:36]
	v_add_f64 v[33:34], v[41:42], v[33:34]
	s_delay_alu instid0(VALU_DEP_1) | instskip(NEXT) | instid1(VALU_DEP_2)
	v_cndmask_b32_e64 v2, v33, v9, s2
	v_cndmask_b32_e64 v33, v34, v10, s2
	v_cmp_ngt_f64_e64 s2, 0, v[9:10]
	s_delay_alu instid0(VALU_DEP_1) | instskip(SKIP_1) | instid1(VALU_DEP_1)
	v_cndmask_b32_e64 v34, 0x7ff80000, v33, s2
	v_cmp_nge_f64_e64 s2, 0, v[9:10]
	v_cndmask_b32_e64 v33, 0, v2, s2
	v_cmp_neq_f64_e64 s2, 0, v[9:10]
	s_delay_alu instid0(VALU_DEP_1) | instskip(SKIP_1) | instid1(VALU_DEP_1)
	v_cndmask_b32_e64 v34, 0xfff00000, v34, s2
	v_add_co_u32 v9, s2, v13, s8
	v_add_co_ci_u32_e64 v10, s2, s9, v14, s2
	global_store_b64 v[9:10], v[33:34], off
	s_or_b32 exec_lo, exec_lo, s3
	s_and_saveexec_b32 s2, s1
	s_cbranch_execz .LBB190_18
.LBB190_22:                             ;   in Loop: Header=BB190_9 Depth=1
	s_waitcnt vmcnt(0)
	v_frexp_mant_f64_e32 v[9:10], v[7:8]
	s_mov_b32 s31, s7
	s_delay_alu instid0(VALU_DEP_1) | instskip(NEXT) | instid1(VALU_DEP_1)
	v_cmp_gt_f64_e64 s1, s[6:7], v[9:10]
	v_cndmask_b32_e64 v2, 0x3ff00000, 2.0, s1
	s_delay_alu instid0(VALU_DEP_1) | instskip(SKIP_1) | instid1(VALU_DEP_2)
	v_mul_f64 v[9:10], v[9:10], v[1:2]
	v_frexp_exp_i32_f64_e32 v2, v[7:8]
	v_add_f64 v[33:34], v[9:10], 1.0
	v_add_f64 v[39:40], v[9:10], -1.0
	s_delay_alu instid0(VALU_DEP_3) | instskip(SKIP_1) | instid1(VALU_DEP_4)
	v_subrev_co_ci_u32_e64 v2, s1, 0, v2, s1
	v_cmp_class_f64_e64 s1, v[7:8], 0x204
	v_rcp_f64_e32 v[35:36], v[33:34]
	v_add_f64 v[41:42], v[33:34], -1.0
	s_delay_alu instid0(VALU_DEP_1) | instskip(SKIP_2) | instid1(VALU_DEP_1)
	v_add_f64 v[9:10], v[9:10], -v[41:42]
	s_waitcnt_depctr 0xfff
	v_fma_f64 v[37:38], -v[33:34], v[35:36], 1.0
	v_fma_f64 v[35:36], v[37:38], v[35:36], v[35:36]
	s_delay_alu instid0(VALU_DEP_1) | instskip(NEXT) | instid1(VALU_DEP_1)
	v_fma_f64 v[37:38], -v[33:34], v[35:36], 1.0
	v_fma_f64 v[35:36], v[37:38], v[35:36], v[35:36]
	s_delay_alu instid0(VALU_DEP_1) | instskip(NEXT) | instid1(VALU_DEP_1)
	v_mul_f64 v[37:38], v[39:40], v[35:36]
	v_mul_f64 v[43:44], v[33:34], v[37:38]
	s_delay_alu instid0(VALU_DEP_1) | instskip(NEXT) | instid1(VALU_DEP_1)
	v_fma_f64 v[33:34], v[37:38], v[33:34], -v[43:44]
	v_fma_f64 v[9:10], v[37:38], v[9:10], v[33:34]
	s_delay_alu instid0(VALU_DEP_1) | instskip(NEXT) | instid1(VALU_DEP_1)
	v_add_f64 v[33:34], v[43:44], v[9:10]
	v_add_f64 v[41:42], v[39:40], -v[33:34]
	v_add_f64 v[43:44], v[33:34], -v[43:44]
	s_delay_alu instid0(VALU_DEP_2) | instskip(NEXT) | instid1(VALU_DEP_2)
	v_add_f64 v[39:40], v[39:40], -v[41:42]
	v_add_f64 v[9:10], v[43:44], -v[9:10]
	s_delay_alu instid0(VALU_DEP_2) | instskip(NEXT) | instid1(VALU_DEP_1)
	v_add_f64 v[33:34], v[39:40], -v[33:34]
	v_add_f64 v[9:10], v[9:10], v[33:34]
	s_delay_alu instid0(VALU_DEP_1) | instskip(NEXT) | instid1(VALU_DEP_1)
	v_add_f64 v[9:10], v[41:42], v[9:10]
	v_mul_f64 v[9:10], v[35:36], v[9:10]
	s_delay_alu instid0(VALU_DEP_1) | instskip(NEXT) | instid1(VALU_DEP_1)
	v_add_f64 v[33:34], v[37:38], v[9:10]
	v_mul_f64 v[35:36], v[33:34], v[33:34]
	s_delay_alu instid0(VALU_DEP_1) | instskip(SKIP_1) | instid1(VALU_DEP_2)
	v_fma_f64 v[39:40], v[35:36], s[16:17], s[14:15]
	v_mul_f64 v[41:42], v[33:34], v[35:36]
	v_fma_f64 v[39:40], v[35:36], v[39:40], s[18:19]
	s_delay_alu instid0(VALU_DEP_1) | instskip(NEXT) | instid1(VALU_DEP_1)
	v_fma_f64 v[39:40], v[35:36], v[39:40], s[20:21]
	v_fma_f64 v[39:40], v[35:36], v[39:40], s[22:23]
	s_delay_alu instid0(VALU_DEP_1) | instskip(NEXT) | instid1(VALU_DEP_1)
	v_fma_f64 v[39:40], v[35:36], v[39:40], s[24:25]
	v_fma_f64 v[35:36], v[35:36], v[39:40], s[30:31]
	v_ldexp_f64 v[39:40], v[33:34], 1
	v_add_f64 v[33:34], v[33:34], -v[37:38]
	s_delay_alu instid0(VALU_DEP_3) | instskip(NEXT) | instid1(VALU_DEP_2)
	v_mul_f64 v[35:36], v[41:42], v[35:36]
	v_add_f64 v[9:10], v[9:10], -v[33:34]
	s_delay_alu instid0(VALU_DEP_2) | instskip(NEXT) | instid1(VALU_DEP_2)
	v_add_f64 v[37:38], v[39:40], v[35:36]
	v_ldexp_f64 v[9:10], v[9:10], 1
	s_delay_alu instid0(VALU_DEP_2) | instskip(NEXT) | instid1(VALU_DEP_1)
	v_add_f64 v[33:34], v[37:38], -v[39:40]
	v_add_f64 v[33:34], v[35:36], -v[33:34]
	s_delay_alu instid0(VALU_DEP_1) | instskip(NEXT) | instid1(VALU_DEP_1)
	v_add_f64 v[9:10], v[9:10], v[33:34]
	v_add_f64 v[33:34], v[37:38], v[9:10]
	s_delay_alu instid0(VALU_DEP_1) | instskip(SKIP_1) | instid1(VALU_DEP_2)
	v_add_f64 v[35:36], v[33:34], -v[37:38]
	v_mul_f64 v[37:38], v[33:34], s[26:27]
	v_add_f64 v[9:10], v[9:10], -v[35:36]
	s_delay_alu instid0(VALU_DEP_2) | instskip(NEXT) | instid1(VALU_DEP_1)
	v_fma_f64 v[35:36], v[33:34], s[26:27], -v[37:38]
	v_fma_f64 v[9:10], v[9:10], s[26:27], v[35:36]
	s_delay_alu instid0(VALU_DEP_1) | instskip(SKIP_1) | instid1(VALU_DEP_2)
	v_fma_f64 v[9:10], v[33:34], s[28:29], v[9:10]
	v_cvt_f64_i32_e32 v[33:34], v2
	v_add_f64 v[35:36], v[37:38], v[9:10]
	s_delay_alu instid0(VALU_DEP_1) | instskip(SKIP_1) | instid1(VALU_DEP_2)
	v_add_f64 v[39:40], v[35:36], v[33:34]
	v_add_f64 v[37:38], v[35:36], -v[37:38]
	v_add_f64 v[41:42], v[39:40], -v[33:34]
	s_delay_alu instid0(VALU_DEP_2) | instskip(NEXT) | instid1(VALU_DEP_2)
	v_add_f64 v[9:10], v[9:10], -v[37:38]
	v_add_f64 v[43:44], v[41:42], -v[39:40]
	;; [unrolled: 1-line block ×3, first 2 shown]
	s_delay_alu instid0(VALU_DEP_2) | instskip(NEXT) | instid1(VALU_DEP_1)
	v_add_f64 v[33:34], v[43:44], v[33:34]
	v_add_f64 v[33:34], v[35:36], v[33:34]
	s_delay_alu instid0(VALU_DEP_1) | instskip(NEXT) | instid1(VALU_DEP_1)
	v_add_f64 v[9:10], v[9:10], v[33:34]
	v_add_f64 v[9:10], v[39:40], v[9:10]
	s_delay_alu instid0(VALU_DEP_1) | instskip(NEXT) | instid1(VALU_DEP_2)
	v_cndmask_b32_e64 v2, v9, v7, s1
	v_cndmask_b32_e64 v9, v10, v8, s1
	v_cmp_ngt_f64_e64 s1, 0, v[7:8]
	s_delay_alu instid0(VALU_DEP_1) | instskip(SKIP_1) | instid1(VALU_DEP_1)
	v_cndmask_b32_e64 v10, 0x7ff80000, v9, s1
	v_cmp_nge_f64_e64 s1, 0, v[7:8]
	v_cndmask_b32_e64 v9, 0, v2, s1
	v_cmp_neq_f64_e64 s1, 0, v[7:8]
	s_delay_alu instid0(VALU_DEP_1) | instskip(SKIP_1) | instid1(VALU_DEP_1)
	v_cndmask_b32_e64 v10, 0xfff00000, v10, s1
	v_add_co_u32 v7, s1, v31, s8
	v_add_co_ci_u32_e64 v8, s1, s9, v32, s1
	global_store_b64 v[7:8], v[9:10], off
	s_or_b32 exec_lo, exec_lo, s2
	s_and_saveexec_b32 s1, s0
	s_cbranch_execz .LBB190_19
.LBB190_23:                             ;   in Loop: Header=BB190_9 Depth=1
	s_waitcnt vmcnt(0)
	v_frexp_mant_f64_e32 v[7:8], v[5:6]
	s_mov_b32 s31, s7
	s_delay_alu instid0(VALU_DEP_1) | instskip(NEXT) | instid1(VALU_DEP_1)
	v_cmp_gt_f64_e64 s0, s[6:7], v[7:8]
	v_cndmask_b32_e64 v2, 0x3ff00000, 2.0, s0
	s_delay_alu instid0(VALU_DEP_1) | instskip(SKIP_1) | instid1(VALU_DEP_2)
	v_mul_f64 v[7:8], v[7:8], v[1:2]
	v_frexp_exp_i32_f64_e32 v2, v[5:6]
	v_add_f64 v[9:10], v[7:8], 1.0
	v_add_f64 v[37:38], v[7:8], -1.0
	s_delay_alu instid0(VALU_DEP_3) | instskip(SKIP_1) | instid1(VALU_DEP_4)
	v_subrev_co_ci_u32_e64 v2, s0, 0, v2, s0
	v_cmp_class_f64_e64 s0, v[5:6], 0x204
	v_rcp_f64_e32 v[33:34], v[9:10]
	v_add_f64 v[39:40], v[9:10], -1.0
	s_delay_alu instid0(VALU_DEP_1) | instskip(SKIP_2) | instid1(VALU_DEP_1)
	v_add_f64 v[7:8], v[7:8], -v[39:40]
	s_waitcnt_depctr 0xfff
	v_fma_f64 v[35:36], -v[9:10], v[33:34], 1.0
	v_fma_f64 v[33:34], v[35:36], v[33:34], v[33:34]
	s_delay_alu instid0(VALU_DEP_1) | instskip(NEXT) | instid1(VALU_DEP_1)
	v_fma_f64 v[35:36], -v[9:10], v[33:34], 1.0
	v_fma_f64 v[33:34], v[35:36], v[33:34], v[33:34]
	s_delay_alu instid0(VALU_DEP_1) | instskip(NEXT) | instid1(VALU_DEP_1)
	v_mul_f64 v[35:36], v[37:38], v[33:34]
	v_mul_f64 v[41:42], v[9:10], v[35:36]
	s_delay_alu instid0(VALU_DEP_1) | instskip(NEXT) | instid1(VALU_DEP_1)
	v_fma_f64 v[9:10], v[35:36], v[9:10], -v[41:42]
	v_fma_f64 v[7:8], v[35:36], v[7:8], v[9:10]
	s_delay_alu instid0(VALU_DEP_1) | instskip(NEXT) | instid1(VALU_DEP_1)
	v_add_f64 v[9:10], v[41:42], v[7:8]
	v_add_f64 v[39:40], v[37:38], -v[9:10]
	v_add_f64 v[41:42], v[9:10], -v[41:42]
	s_delay_alu instid0(VALU_DEP_2) | instskip(NEXT) | instid1(VALU_DEP_2)
	v_add_f64 v[37:38], v[37:38], -v[39:40]
	v_add_f64 v[7:8], v[41:42], -v[7:8]
	s_delay_alu instid0(VALU_DEP_2) | instskip(NEXT) | instid1(VALU_DEP_1)
	v_add_f64 v[9:10], v[37:38], -v[9:10]
	v_add_f64 v[7:8], v[7:8], v[9:10]
	s_delay_alu instid0(VALU_DEP_1) | instskip(NEXT) | instid1(VALU_DEP_1)
	v_add_f64 v[7:8], v[39:40], v[7:8]
	v_mul_f64 v[7:8], v[33:34], v[7:8]
	s_delay_alu instid0(VALU_DEP_1) | instskip(NEXT) | instid1(VALU_DEP_1)
	v_add_f64 v[9:10], v[35:36], v[7:8]
	v_mul_f64 v[33:34], v[9:10], v[9:10]
	s_delay_alu instid0(VALU_DEP_1) | instskip(SKIP_1) | instid1(VALU_DEP_2)
	v_fma_f64 v[37:38], v[33:34], s[16:17], s[14:15]
	v_mul_f64 v[39:40], v[9:10], v[33:34]
	v_fma_f64 v[37:38], v[33:34], v[37:38], s[18:19]
	s_delay_alu instid0(VALU_DEP_1) | instskip(NEXT) | instid1(VALU_DEP_1)
	v_fma_f64 v[37:38], v[33:34], v[37:38], s[20:21]
	v_fma_f64 v[37:38], v[33:34], v[37:38], s[22:23]
	s_delay_alu instid0(VALU_DEP_1) | instskip(NEXT) | instid1(VALU_DEP_1)
	v_fma_f64 v[37:38], v[33:34], v[37:38], s[24:25]
	v_fma_f64 v[33:34], v[33:34], v[37:38], s[30:31]
	v_ldexp_f64 v[37:38], v[9:10], 1
	v_add_f64 v[9:10], v[9:10], -v[35:36]
	s_delay_alu instid0(VALU_DEP_3) | instskip(NEXT) | instid1(VALU_DEP_2)
	v_mul_f64 v[33:34], v[39:40], v[33:34]
	v_add_f64 v[7:8], v[7:8], -v[9:10]
	s_delay_alu instid0(VALU_DEP_2) | instskip(NEXT) | instid1(VALU_DEP_2)
	v_add_f64 v[35:36], v[37:38], v[33:34]
	v_ldexp_f64 v[7:8], v[7:8], 1
	s_delay_alu instid0(VALU_DEP_2) | instskip(NEXT) | instid1(VALU_DEP_1)
	v_add_f64 v[9:10], v[35:36], -v[37:38]
	v_add_f64 v[9:10], v[33:34], -v[9:10]
	s_delay_alu instid0(VALU_DEP_1) | instskip(NEXT) | instid1(VALU_DEP_1)
	v_add_f64 v[7:8], v[7:8], v[9:10]
	v_add_f64 v[9:10], v[35:36], v[7:8]
	s_delay_alu instid0(VALU_DEP_1) | instskip(SKIP_1) | instid1(VALU_DEP_2)
	v_add_f64 v[33:34], v[9:10], -v[35:36]
	v_mul_f64 v[35:36], v[9:10], s[26:27]
	v_add_f64 v[7:8], v[7:8], -v[33:34]
	s_delay_alu instid0(VALU_DEP_2) | instskip(NEXT) | instid1(VALU_DEP_1)
	v_fma_f64 v[33:34], v[9:10], s[26:27], -v[35:36]
	v_fma_f64 v[7:8], v[7:8], s[26:27], v[33:34]
	s_delay_alu instid0(VALU_DEP_1) | instskip(SKIP_1) | instid1(VALU_DEP_2)
	v_fma_f64 v[7:8], v[9:10], s[28:29], v[7:8]
	v_cvt_f64_i32_e32 v[9:10], v2
	v_add_f64 v[33:34], v[35:36], v[7:8]
	s_delay_alu instid0(VALU_DEP_1) | instskip(SKIP_1) | instid1(VALU_DEP_2)
	v_add_f64 v[37:38], v[33:34], v[9:10]
	v_add_f64 v[35:36], v[33:34], -v[35:36]
	v_add_f64 v[39:40], v[37:38], -v[9:10]
	s_delay_alu instid0(VALU_DEP_2) | instskip(NEXT) | instid1(VALU_DEP_2)
	v_add_f64 v[7:8], v[7:8], -v[35:36]
	v_add_f64 v[41:42], v[39:40], -v[37:38]
	;; [unrolled: 1-line block ×3, first 2 shown]
	s_delay_alu instid0(VALU_DEP_2) | instskip(NEXT) | instid1(VALU_DEP_1)
	v_add_f64 v[9:10], v[41:42], v[9:10]
	v_add_f64 v[9:10], v[33:34], v[9:10]
	s_delay_alu instid0(VALU_DEP_1) | instskip(NEXT) | instid1(VALU_DEP_1)
	v_add_f64 v[7:8], v[7:8], v[9:10]
	v_add_f64 v[7:8], v[37:38], v[7:8]
	s_delay_alu instid0(VALU_DEP_1) | instskip(NEXT) | instid1(VALU_DEP_2)
	v_cndmask_b32_e64 v2, v7, v5, s0
	v_cndmask_b32_e64 v7, v8, v6, s0
	v_cmp_ngt_f64_e64 s0, 0, v[5:6]
	s_delay_alu instid0(VALU_DEP_1) | instskip(SKIP_1) | instid1(VALU_DEP_1)
	v_cndmask_b32_e64 v8, 0x7ff80000, v7, s0
	v_cmp_nge_f64_e64 s0, 0, v[5:6]
	v_cndmask_b32_e64 v7, 0, v2, s0
	v_cmp_neq_f64_e64 s0, 0, v[5:6]
	s_delay_alu instid0(VALU_DEP_1) | instskip(SKIP_1) | instid1(VALU_DEP_1)
	v_cndmask_b32_e64 v8, 0xfff00000, v8, s0
	v_add_co_u32 v5, s0, v24, s8
	v_add_co_ci_u32_e64 v6, s0, s9, v25, s0
	global_store_b64 v[5:6], v[7:8], off
	s_or_b32 exec_lo, exec_lo, s1
	s_and_saveexec_b32 s0, vcc_lo
	s_cbranch_execz .LBB190_8
.LBB190_24:                             ;   in Loop: Header=BB190_9 Depth=1
	s_waitcnt vmcnt(0)
	v_frexp_mant_f64_e32 v[5:6], v[3:4]
	s_mov_b32 s31, s7
	s_delay_alu instid0(VALU_DEP_1) | instskip(SKIP_1) | instid1(VALU_DEP_1)
	v_cmp_gt_f64_e32 vcc_lo, s[6:7], v[5:6]
	v_cndmask_b32_e64 v2, 0x3ff00000, 2.0, vcc_lo
	v_mul_f64 v[5:6], v[5:6], v[1:2]
	v_frexp_exp_i32_f64_e32 v2, v[3:4]
	s_delay_alu instid0(VALU_DEP_2) | instskip(SKIP_1) | instid1(VALU_DEP_3)
	v_add_f64 v[7:8], v[5:6], 1.0
	v_add_f64 v[35:36], v[5:6], -1.0
	v_subrev_co_ci_u32_e32 v2, vcc_lo, 0, v2, vcc_lo
	v_cmp_class_f64_e64 vcc_lo, v[3:4], 0x204
	s_delay_alu instid0(VALU_DEP_4) | instskip(SKIP_1) | instid1(VALU_DEP_1)
	v_rcp_f64_e32 v[9:10], v[7:8]
	v_add_f64 v[37:38], v[7:8], -1.0
	v_add_f64 v[5:6], v[5:6], -v[37:38]
	s_waitcnt_depctr 0xfff
	v_fma_f64 v[33:34], -v[7:8], v[9:10], 1.0
	s_delay_alu instid0(VALU_DEP_1) | instskip(NEXT) | instid1(VALU_DEP_1)
	v_fma_f64 v[9:10], v[33:34], v[9:10], v[9:10]
	v_fma_f64 v[33:34], -v[7:8], v[9:10], 1.0
	s_delay_alu instid0(VALU_DEP_1) | instskip(NEXT) | instid1(VALU_DEP_1)
	v_fma_f64 v[9:10], v[33:34], v[9:10], v[9:10]
	v_mul_f64 v[33:34], v[35:36], v[9:10]
	s_delay_alu instid0(VALU_DEP_1) | instskip(NEXT) | instid1(VALU_DEP_1)
	v_mul_f64 v[39:40], v[7:8], v[33:34]
	v_fma_f64 v[7:8], v[33:34], v[7:8], -v[39:40]
	s_delay_alu instid0(VALU_DEP_1) | instskip(NEXT) | instid1(VALU_DEP_1)
	v_fma_f64 v[5:6], v[33:34], v[5:6], v[7:8]
	v_add_f64 v[7:8], v[39:40], v[5:6]
	s_delay_alu instid0(VALU_DEP_1) | instskip(SKIP_1) | instid1(VALU_DEP_2)
	v_add_f64 v[37:38], v[35:36], -v[7:8]
	v_add_f64 v[39:40], v[7:8], -v[39:40]
	;; [unrolled: 1-line block ×3, first 2 shown]
	s_delay_alu instid0(VALU_DEP_2) | instskip(NEXT) | instid1(VALU_DEP_2)
	v_add_f64 v[5:6], v[39:40], -v[5:6]
	v_add_f64 v[7:8], v[35:36], -v[7:8]
	s_delay_alu instid0(VALU_DEP_1) | instskip(NEXT) | instid1(VALU_DEP_1)
	v_add_f64 v[5:6], v[5:6], v[7:8]
	v_add_f64 v[5:6], v[37:38], v[5:6]
	s_delay_alu instid0(VALU_DEP_1) | instskip(NEXT) | instid1(VALU_DEP_1)
	v_mul_f64 v[5:6], v[9:10], v[5:6]
	v_add_f64 v[7:8], v[33:34], v[5:6]
	s_delay_alu instid0(VALU_DEP_1) | instskip(NEXT) | instid1(VALU_DEP_1)
	v_mul_f64 v[9:10], v[7:8], v[7:8]
	v_fma_f64 v[35:36], v[9:10], s[16:17], s[14:15]
	v_mul_f64 v[37:38], v[7:8], v[9:10]
	s_delay_alu instid0(VALU_DEP_2) | instskip(NEXT) | instid1(VALU_DEP_1)
	v_fma_f64 v[35:36], v[9:10], v[35:36], s[18:19]
	v_fma_f64 v[35:36], v[9:10], v[35:36], s[20:21]
	s_delay_alu instid0(VALU_DEP_1) | instskip(NEXT) | instid1(VALU_DEP_1)
	v_fma_f64 v[35:36], v[9:10], v[35:36], s[22:23]
	v_fma_f64 v[35:36], v[9:10], v[35:36], s[24:25]
	s_delay_alu instid0(VALU_DEP_1) | instskip(SKIP_2) | instid1(VALU_DEP_3)
	v_fma_f64 v[9:10], v[9:10], v[35:36], s[30:31]
	v_ldexp_f64 v[35:36], v[7:8], 1
	v_add_f64 v[7:8], v[7:8], -v[33:34]
	v_mul_f64 v[9:10], v[37:38], v[9:10]
	s_delay_alu instid0(VALU_DEP_2) | instskip(NEXT) | instid1(VALU_DEP_2)
	v_add_f64 v[5:6], v[5:6], -v[7:8]
	v_add_f64 v[33:34], v[35:36], v[9:10]
	s_delay_alu instid0(VALU_DEP_2) | instskip(NEXT) | instid1(VALU_DEP_2)
	v_ldexp_f64 v[5:6], v[5:6], 1
	v_add_f64 v[7:8], v[33:34], -v[35:36]
	s_delay_alu instid0(VALU_DEP_1) | instskip(NEXT) | instid1(VALU_DEP_1)
	v_add_f64 v[7:8], v[9:10], -v[7:8]
	v_add_f64 v[5:6], v[5:6], v[7:8]
	s_delay_alu instid0(VALU_DEP_1) | instskip(NEXT) | instid1(VALU_DEP_1)
	v_add_f64 v[7:8], v[33:34], v[5:6]
	v_add_f64 v[9:10], v[7:8], -v[33:34]
	v_mul_f64 v[33:34], v[7:8], s[26:27]
	s_delay_alu instid0(VALU_DEP_2) | instskip(NEXT) | instid1(VALU_DEP_2)
	v_add_f64 v[5:6], v[5:6], -v[9:10]
	v_fma_f64 v[9:10], v[7:8], s[26:27], -v[33:34]
	s_delay_alu instid0(VALU_DEP_1) | instskip(NEXT) | instid1(VALU_DEP_1)
	v_fma_f64 v[5:6], v[5:6], s[26:27], v[9:10]
	v_fma_f64 v[5:6], v[7:8], s[28:29], v[5:6]
	v_cvt_f64_i32_e32 v[7:8], v2
	s_delay_alu instid0(VALU_DEP_2) | instskip(NEXT) | instid1(VALU_DEP_1)
	v_add_f64 v[9:10], v[33:34], v[5:6]
	v_add_f64 v[35:36], v[9:10], v[7:8]
	v_add_f64 v[33:34], v[9:10], -v[33:34]
	s_delay_alu instid0(VALU_DEP_2) | instskip(NEXT) | instid1(VALU_DEP_2)
	v_add_f64 v[37:38], v[35:36], -v[7:8]
	v_add_f64 v[5:6], v[5:6], -v[33:34]
	s_delay_alu instid0(VALU_DEP_2) | instskip(SKIP_1) | instid1(VALU_DEP_2)
	v_add_f64 v[39:40], v[37:38], -v[35:36]
	v_add_f64 v[9:10], v[9:10], -v[37:38]
	v_add_f64 v[7:8], v[39:40], v[7:8]
	s_delay_alu instid0(VALU_DEP_1) | instskip(NEXT) | instid1(VALU_DEP_1)
	v_add_f64 v[7:8], v[9:10], v[7:8]
	v_add_f64 v[5:6], v[5:6], v[7:8]
	s_delay_alu instid0(VALU_DEP_1) | instskip(NEXT) | instid1(VALU_DEP_1)
	v_add_f64 v[5:6], v[35:36], v[5:6]
	v_dual_cndmask_b32 v2, v5, v3 :: v_dual_cndmask_b32 v5, v6, v4
	v_cmp_ngt_f64_e32 vcc_lo, 0, v[3:4]
	s_delay_alu instid0(VALU_DEP_2) | instskip(SKIP_1) | instid1(VALU_DEP_4)
	v_cndmask_b32_e32 v5, 0x7ff80000, v5, vcc_lo
	v_cmp_nge_f64_e32 vcc_lo, 0, v[3:4]
	v_cndmask_b32_e32 v2, 0, v2, vcc_lo
	v_cmp_neq_f64_e32 vcc_lo, 0, v[3:4]
	s_delay_alu instid0(VALU_DEP_4)
	v_cndmask_b32_e32 v3, 0xfff00000, v5, vcc_lo
	v_add_co_u32 v4, vcc_lo, v17, s8
	v_add_co_ci_u32_e32 v5, vcc_lo, s9, v18, vcc_lo
	global_store_b64 v[4:5], v[2:3], off
	s_branch .LBB190_8
.LBB190_25:
	s_nop 0
	s_sendmsg sendmsg(MSG_DEALLOC_VGPRS)
	s_endpgm
	.section	.rodata,"a",@progbits
	.p2align	6, 0x0
	.amdhsa_kernel _ZN2at6native12_GLOBAL__N_125multi_tensor_apply_kernelINS1_18TensorListMetadataILi2EEENS1_14UnaryOpFunctorIdLi2ELi1ELi1EEEJNS0_4Log2IdEEEEEvT_T0_DpT1_
		.amdhsa_group_segment_fixed_size 0
		.amdhsa_private_segment_fixed_size 0
		.amdhsa_kernarg_size 3408
		.amdhsa_user_sgpr_count 15
		.amdhsa_user_sgpr_dispatch_ptr 0
		.amdhsa_user_sgpr_queue_ptr 0
		.amdhsa_user_sgpr_kernarg_segment_ptr 1
		.amdhsa_user_sgpr_dispatch_id 0
		.amdhsa_user_sgpr_private_segment_size 0
		.amdhsa_wavefront_size32 1
		.amdhsa_uses_dynamic_stack 0
		.amdhsa_enable_private_segment 0
		.amdhsa_system_sgpr_workgroup_id_x 1
		.amdhsa_system_sgpr_workgroup_id_y 0
		.amdhsa_system_sgpr_workgroup_id_z 0
		.amdhsa_system_sgpr_workgroup_info 0
		.amdhsa_system_vgpr_workitem_id 0
		.amdhsa_next_free_vgpr 70
		.amdhsa_next_free_sgpr 45
		.amdhsa_reserve_vcc 1
		.amdhsa_float_round_mode_32 0
		.amdhsa_float_round_mode_16_64 0
		.amdhsa_float_denorm_mode_32 3
		.amdhsa_float_denorm_mode_16_64 3
		.amdhsa_dx10_clamp 1
		.amdhsa_ieee_mode 1
		.amdhsa_fp16_overflow 0
		.amdhsa_workgroup_processor_mode 1
		.amdhsa_memory_ordered 1
		.amdhsa_forward_progress 0
		.amdhsa_shared_vgpr_count 0
		.amdhsa_exception_fp_ieee_invalid_op 0
		.amdhsa_exception_fp_denorm_src 0
		.amdhsa_exception_fp_ieee_div_zero 0
		.amdhsa_exception_fp_ieee_overflow 0
		.amdhsa_exception_fp_ieee_underflow 0
		.amdhsa_exception_fp_ieee_inexact 0
		.amdhsa_exception_int_div_zero 0
	.end_amdhsa_kernel
	.section	.text._ZN2at6native12_GLOBAL__N_125multi_tensor_apply_kernelINS1_18TensorListMetadataILi2EEENS1_14UnaryOpFunctorIdLi2ELi1ELi1EEEJNS0_4Log2IdEEEEEvT_T0_DpT1_,"axG",@progbits,_ZN2at6native12_GLOBAL__N_125multi_tensor_apply_kernelINS1_18TensorListMetadataILi2EEENS1_14UnaryOpFunctorIdLi2ELi1ELi1EEEJNS0_4Log2IdEEEEEvT_T0_DpT1_,comdat
.Lfunc_end190:
	.size	_ZN2at6native12_GLOBAL__N_125multi_tensor_apply_kernelINS1_18TensorListMetadataILi2EEENS1_14UnaryOpFunctorIdLi2ELi1ELi1EEEJNS0_4Log2IdEEEEEvT_T0_DpT1_, .Lfunc_end190-_ZN2at6native12_GLOBAL__N_125multi_tensor_apply_kernelINS1_18TensorListMetadataILi2EEENS1_14UnaryOpFunctorIdLi2ELi1ELi1EEEJNS0_4Log2IdEEEEEvT_T0_DpT1_
                                        ; -- End function
	.section	.AMDGPU.csdata,"",@progbits
; Kernel info:
; codeLenInByte = 7064
; NumSgprs: 47
; NumVgprs: 70
; ScratchSize: 0
; MemoryBound: 0
; FloatMode: 240
; IeeeMode: 1
; LDSByteSize: 0 bytes/workgroup (compile time only)
; SGPRBlocks: 5
; VGPRBlocks: 8
; NumSGPRsForWavesPerEU: 47
; NumVGPRsForWavesPerEU: 70
; Occupancy: 16
; WaveLimiterHint : 0
; COMPUTE_PGM_RSRC2:SCRATCH_EN: 0
; COMPUTE_PGM_RSRC2:USER_SGPR: 15
; COMPUTE_PGM_RSRC2:TRAP_HANDLER: 0
; COMPUTE_PGM_RSRC2:TGID_X_EN: 1
; COMPUTE_PGM_RSRC2:TGID_Y_EN: 0
; COMPUTE_PGM_RSRC2:TGID_Z_EN: 0
; COMPUTE_PGM_RSRC2:TIDIG_COMP_CNT: 0
	.section	.text._ZN2at6native12_GLOBAL__N_125multi_tensor_apply_kernelINS1_18TensorListMetadataILi2EEENS1_14UnaryOpFunctorIfLi2ELi1ELi1EEEJNS0_4Log2IfEEEEEvT_T0_DpT1_,"axG",@progbits,_ZN2at6native12_GLOBAL__N_125multi_tensor_apply_kernelINS1_18TensorListMetadataILi2EEENS1_14UnaryOpFunctorIfLi2ELi1ELi1EEEJNS0_4Log2IfEEEEEvT_T0_DpT1_,comdat
	.globl	_ZN2at6native12_GLOBAL__N_125multi_tensor_apply_kernelINS1_18TensorListMetadataILi2EEENS1_14UnaryOpFunctorIfLi2ELi1ELi1EEEJNS0_4Log2IfEEEEEvT_T0_DpT1_ ; -- Begin function _ZN2at6native12_GLOBAL__N_125multi_tensor_apply_kernelINS1_18TensorListMetadataILi2EEENS1_14UnaryOpFunctorIfLi2ELi1ELi1EEEJNS0_4Log2IfEEEEEvT_T0_DpT1_
	.p2align	8
	.type	_ZN2at6native12_GLOBAL__N_125multi_tensor_apply_kernelINS1_18TensorListMetadataILi2EEENS1_14UnaryOpFunctorIfLi2ELi1ELi1EEEJNS0_4Log2IfEEEEEvT_T0_DpT1_,@function
_ZN2at6native12_GLOBAL__N_125multi_tensor_apply_kernelINS1_18TensorListMetadataILi2EEENS1_14UnaryOpFunctorIfLi2ELi1ELi1EEEJNS0_4Log2IfEEEEEvT_T0_DpT1_: ; @_ZN2at6native12_GLOBAL__N_125multi_tensor_apply_kernelINS1_18TensorListMetadataILi2EEENS1_14UnaryOpFunctorIfLi2ELi1ELi1EEEJNS0_4Log2IfEEEEEvT_T0_DpT1_
; %bb.0:
	v_mov_b32_e32 v1, s15
	s_add_u32 s2, s0, s15
	s_mul_hi_u32 s3, s15, 3
	s_mul_i32 s15, s15, 3
	s_addc_u32 s4, s1, 0
	global_load_u8 v1, v1, s[0:1] offset:1536
	s_add_u32 s2, s2, s15
	s_addc_u32 s3, s4, s3
	s_mov_b32 s19, 0
	s_load_b32 s2, s[2:3], 0x740
	s_mov_b32 s21, s19
	s_mov_b32 s23, s19
	s_waitcnt vmcnt(0)
	v_readfirstlane_b32 s5, v1
	s_delay_alu instid0(VALU_DEP_1)
	s_lshl_b32 s3, s5, 3
	s_clause 0x2
	s_load_b64 s[10:11], s[0:1], s3 offset:0x0
	s_load_b64 s[12:13], s[0:1], s3 offset:0x200
	;; [unrolled: 1-line block ×3, first 2 shown]
	s_waitcnt lgkmcnt(0)
	s_ashr_i32 s3, s2, 31
	s_delay_alu instid0(SALU_CYCLE_1) | instskip(NEXT) | instid1(SALU_CYCLE_1)
	s_lshl_b64 s[6:7], s[2:3], 18
	s_add_u32 s5, s10, s6
	s_addc_u32 s14, s11, s7
	s_and_b32 s18, s5, 15
	s_add_u32 s15, s12, s6
	s_addc_u32 s16, s13, s7
	s_and_b32 s20, s8, 3
	s_and_b32 s22, s15, 15
	s_or_b64 s[18:19], s[18:19], s[20:21]
	s_lshl_b64 s[2:3], s[2:3], 16
	s_or_b64 s[18:19], s[22:23], s[18:19]
	s_sub_u32 s8, s8, s2
	s_subb_u32 s9, s9, s3
	s_cmp_eq_u64 s[18:19], 0
	s_mov_b32 s2, -1
	s_cbranch_scc0 .LBB191_5
; %bb.1:
	v_dual_mov_b32 v2, 0 :: v_dual_lshlrev_b32 v1, 2, v0
	s_mov_b32 s17, exec_lo
	s_delay_alu instid0(VALU_DEP_1)
	v_cmpx_gt_i64_e64 s[8:9], v[1:2]
	s_cbranch_execz .LBB191_4
; %bb.2:
	s_load_b32 s2, s[0:1], 0xc5c
	v_lshlrev_b32_e32 v3, 4, v0
	s_mov_b32 s18, 0
	s_waitcnt lgkmcnt(0)
	s_and_b32 s2, s2, 0xffff
	s_delay_alu instid0(SALU_CYCLE_1)
	v_add_lshl_u32 v1, v0, s2, 2
	s_lshl_b32 s19, s2, 2
	s_lshl_b32 s20, s2, 4
.LBB191_3:                              ; =>This Inner Loop Header: Depth=1
	v_add_co_u32 v4, s2, s5, v3
	s_delay_alu instid0(VALU_DEP_1)
	v_add_co_ci_u32_e64 v5, null, s14, 0, s2
	v_cmp_le_i64_e32 vcc_lo, s[8:9], v[1:2]
	v_cmp_lt_u64_e64 s2, 0xffff, v[1:2]
	v_add_co_u32 v8, s3, s15, v3
	global_load_b128 v[4:7], v[4:5], off
	v_add_co_ci_u32_e64 v9, null, s16, 0, s3
	v_add_co_u32 v1, s3, v1, s19
	s_delay_alu instid0(VALU_DEP_1)
	v_add_co_ci_u32_e64 v2, s3, 0, v2, s3
	s_or_b32 s21, vcc_lo, s2
	s_add_u32 s5, s5, s20
	s_addc_u32 s14, s14, 0
	s_add_u32 s15, s15, s20
	s_addc_u32 s16, s16, 0
	s_waitcnt vmcnt(0)
	v_cmp_gt_f32_e32 vcc_lo, 0x800000, v4
	v_cmp_gt_f32_e64 s2, 0x800000, v5
	v_cmp_gt_f32_e64 s3, 0x800000, v6
	;; [unrolled: 1-line block ×3, first 2 shown]
	v_cndmask_b32_e64 v10, 1.0, 0x4f800000, vcc_lo
	s_delay_alu instid0(VALU_DEP_4) | instskip(NEXT) | instid1(VALU_DEP_4)
	v_cndmask_b32_e64 v11, 1.0, 0x4f800000, s2
	v_cndmask_b32_e64 v12, 1.0, 0x4f800000, s3
	s_delay_alu instid0(VALU_DEP_4) | instskip(NEXT) | instid1(VALU_DEP_3)
	v_cndmask_b32_e64 v13, 1.0, 0x4f800000, s4
	v_dual_mul_f32 v4, v4, v10 :: v_dual_mul_f32 v5, v5, v11
	s_delay_alu instid0(VALU_DEP_2) | instskip(SKIP_1) | instid1(VALU_DEP_3)
	v_dual_mul_f32 v6, v6, v12 :: v_dual_mul_f32 v7, v7, v13
	v_cndmask_b32_e64 v10, 0, 0x42000000, vcc_lo
	v_log_f32_e32 v4, v4
	s_delay_alu instid0(VALU_DEP_3) | instskip(NEXT) | instid1(VALU_DEP_2)
	v_log_f32_e32 v5, v5
	v_log_f32_e32 v6, v6
	;; [unrolled: 1-line block ×3, first 2 shown]
	v_cndmask_b32_e64 v11, 0, 0x42000000, s2
	v_cndmask_b32_e64 v12, 0, 0x42000000, s3
	;; [unrolled: 1-line block ×3, first 2 shown]
	s_and_b32 s2, exec_lo, s21
	s_delay_alu instid0(SALU_CYCLE_1) | instskip(NEXT) | instid1(TRANS32_DEP_3)
	s_or_b32 s18, s2, s18
	v_dual_sub_f32 v4, v4, v10 :: v_dual_sub_f32 v5, v5, v11
	s_waitcnt_depctr 0xfff
	v_dual_sub_f32 v6, v6, v12 :: v_dual_sub_f32 v7, v7, v13
	global_store_b128 v[8:9], v[4:7], off
	s_and_not1_b32 exec_lo, exec_lo, s18
	s_cbranch_execnz .LBB191_3
.LBB191_4:
	s_or_b32 exec_lo, exec_lo, s17
	s_mov_b32 s2, 0
.LBB191_5:
	s_delay_alu instid0(SALU_CYCLE_1)
	s_and_not1_b32 vcc_lo, exec_lo, s2
	s_cbranch_vccnz .LBB191_25
; %bb.6:
	v_cmp_lt_i64_e64 s2, s[8:9], 1
	s_delay_alu instid0(VALU_DEP_1)
	s_and_b32 vcc_lo, exec_lo, s2
	s_cbranch_vccnz .LBB191_25
; %bb.7:
	s_load_b32 s0, s[0:1], 0xc5c
	v_dual_mov_b32 v10, 0 :: v_dual_lshlrev_b32 v9, 2, v0
	v_cmp_gt_u64_e64 s1, 0x10000, s[8:9]
	s_delay_alu instid0(VALU_DEP_2) | instskip(NEXT) | instid1(VALU_DEP_1)
	v_add_co_u32 v1, s2, s10, v9
	v_add_co_ci_u32_e64 v2, null, s11, 0, s2
	v_add_co_u32 v3, s2, s12, v9
	s_delay_alu instid0(VALU_DEP_1)
	v_add_co_ci_u32_e64 v4, null, s13, 0, s2
	s_waitcnt lgkmcnt(0)
	s_and_b32 s0, s0, 0xffff
	s_and_b32 s1, s1, exec_lo
	v_mad_u64_u32 v[7:8], null, s0, 12, v[9:10]
	s_cselect_b32 s5, s9, 0
	s_cselect_b32 s4, s8, 0x10000
	s_mul_i32 s2, s0, 3
	s_lshl_b32 s3, s0, 3
	s_lshl_b32 s1, s0, 1
	v_add_co_u32 v14, s3, s3, v9
	v_add_co_u32 v9, s2, s2, v0
	s_delay_alu instid0(VALU_DEP_1) | instskip(SKIP_3) | instid1(VALU_DEP_3)
	v_add_co_ci_u32_e64 v10, null, 0, 0, s2
	v_add_co_u32 v13, s2, v0, s0
	v_add_co_u32 v5, vcc_lo, s10, v7
	v_add_co_ci_u32_e32 v6, vcc_lo, s11, v8, vcc_lo
	v_lshlrev_b32_e32 v21, 2, v13
	v_add_co_u32 v7, vcc_lo, s12, v7
	v_add_co_ci_u32_e64 v15, null, 0, 0, s3
	v_add_co_ci_u32_e32 v8, vcc_lo, s13, v8, vcc_lo
	v_add_co_u32 v17, s1, s1, v0
	v_add_co_u32 v11, vcc_lo, s10, v14
	v_add_co_ci_u32_e64 v18, null, 0, 0, s1
	v_add_co_u32 v19, s1, s10, v21
	v_add_co_ci_u32_e32 v12, vcc_lo, s11, v15, vcc_lo
	v_add_co_u32 v14, vcc_lo, s12, v14
	v_add_co_ci_u32_e64 v20, null, s11, 0, s1
	v_add_co_u32 v21, s1, s12, v21
	v_add_co_ci_u32_e32 v15, vcc_lo, s13, v15, vcc_lo
	v_add_co_ci_u32_e64 v16, null, 0, 0, s2
	v_add_co_ci_u32_e64 v22, null, s13, 0, s1
	s_lshl_b32 s12, s0, 2
	s_lshl_b32 s13, s0, 4
	s_mov_b64 s[10:11], 0
	s_branch .LBB191_9
.LBB191_8:                              ;   in Loop: Header=BB191_9 Depth=1
	s_or_b32 exec_lo, exec_lo, s0
	v_add_co_u32 v1, vcc_lo, v1, s13
	v_add_co_ci_u32_e32 v2, vcc_lo, 0, v2, vcc_lo
	v_add_co_u32 v3, vcc_lo, v3, s13
	v_add_co_ci_u32_e32 v4, vcc_lo, 0, v4, vcc_lo
	;; [unrolled: 2-line block ×5, first 2 shown]
	s_add_u32 s10, s10, s12
	v_add_co_u32 v14, vcc_lo, v14, s13
	s_addc_u32 s11, s11, 0
	v_add_co_ci_u32_e32 v15, vcc_lo, 0, v15, vcc_lo
	v_cmp_ge_i64_e64 s0, s[10:11], s[8:9]
	v_cmp_lt_u64_e64 s1, 0xffff, s[10:11]
	v_add_co_u32 v19, vcc_lo, v19, s13
	v_add_co_ci_u32_e32 v20, vcc_lo, 0, v20, vcc_lo
	v_add_co_u32 v21, vcc_lo, v21, s13
	v_add_co_ci_u32_e32 v22, vcc_lo, 0, v22, vcc_lo
	s_or_b32 s0, s0, s1
	s_delay_alu instid0(SALU_CYCLE_1)
	s_and_b32 vcc_lo, exec_lo, s0
	s_cbranch_vccnz .LBB191_25
.LBB191_9:                              ; =>This Inner Loop Header: Depth=1
	s_waitcnt vmcnt(0)
	v_add_co_u32 v23, s0, v0, s10
	s_delay_alu instid0(VALU_DEP_1) | instskip(NEXT) | instid1(VALU_DEP_1)
	v_add_co_ci_u32_e64 v24, null, 0, s11, s0
	v_cmp_gt_u64_e32 vcc_lo, s[4:5], v[23:24]
	v_mov_b32_e32 v24, 0
	s_and_saveexec_b32 s1, vcc_lo
	s_cbranch_execz .LBB191_11
; %bb.10:                               ;   in Loop: Header=BB191_9 Depth=1
	v_add_co_u32 v23, s0, v1, s6
	s_delay_alu instid0(VALU_DEP_1)
	v_add_co_ci_u32_e64 v24, s0, s7, v2, s0
	global_load_b32 v24, v[23:24], off
.LBB191_11:                             ;   in Loop: Header=BB191_9 Depth=1
	s_or_b32 exec_lo, exec_lo, s1
	v_add_co_u32 v25, s0, v13, s10
	s_delay_alu instid0(VALU_DEP_1) | instskip(NEXT) | instid1(VALU_DEP_1)
	v_add_co_ci_u32_e64 v26, s0, s11, v16, s0
	v_cmp_gt_u64_e64 s0, s[4:5], v[25:26]
	v_mov_b32_e32 v25, 0
	s_delay_alu instid0(VALU_DEP_2)
	s_and_saveexec_b32 s2, s0
	s_cbranch_execz .LBB191_13
; %bb.12:                               ;   in Loop: Header=BB191_9 Depth=1
	v_add_co_u32 v25, s1, v19, s6
	s_delay_alu instid0(VALU_DEP_1)
	v_add_co_ci_u32_e64 v26, s1, s7, v20, s1
	global_load_b32 v25, v[25:26], off
.LBB191_13:                             ;   in Loop: Header=BB191_9 Depth=1
	s_or_b32 exec_lo, exec_lo, s2
	v_add_co_u32 v26, s1, v17, s10
	s_delay_alu instid0(VALU_DEP_1) | instskip(SKIP_1) | instid1(VALU_DEP_2)
	v_add_co_ci_u32_e64 v27, s1, s11, v18, s1
	v_mov_b32_e32 v23, 0
	v_cmp_gt_u64_e64 s1, s[4:5], v[26:27]
	v_mov_b32_e32 v26, 0
	s_delay_alu instid0(VALU_DEP_2)
	s_and_saveexec_b32 s3, s1
	s_cbranch_execz .LBB191_15
; %bb.14:                               ;   in Loop: Header=BB191_9 Depth=1
	v_add_co_u32 v26, s2, v11, s6
	s_delay_alu instid0(VALU_DEP_1)
	v_add_co_ci_u32_e64 v27, s2, s7, v12, s2
	global_load_b32 v26, v[26:27], off
.LBB191_15:                             ;   in Loop: Header=BB191_9 Depth=1
	s_or_b32 exec_lo, exec_lo, s3
	v_add_co_u32 v27, s2, v9, s10
	s_delay_alu instid0(VALU_DEP_1) | instskip(NEXT) | instid1(VALU_DEP_1)
	v_add_co_ci_u32_e64 v28, s2, s11, v10, s2
	v_cmp_gt_u64_e64 s2, s[4:5], v[27:28]
	s_delay_alu instid0(VALU_DEP_1)
	s_and_saveexec_b32 s14, s2
	s_cbranch_execnz .LBB191_20
; %bb.16:                               ;   in Loop: Header=BB191_9 Depth=1
	s_or_b32 exec_lo, exec_lo, s14
	s_and_saveexec_b32 s3, vcc_lo
	s_cbranch_execnz .LBB191_21
.LBB191_17:                             ;   in Loop: Header=BB191_9 Depth=1
	s_or_b32 exec_lo, exec_lo, s3
	s_and_saveexec_b32 s3, s0
	s_cbranch_execnz .LBB191_22
.LBB191_18:                             ;   in Loop: Header=BB191_9 Depth=1
	s_or_b32 exec_lo, exec_lo, s3
	s_and_saveexec_b32 s0, s1
	s_cbranch_execnz .LBB191_23
.LBB191_19:                             ;   in Loop: Header=BB191_9 Depth=1
	s_or_b32 exec_lo, exec_lo, s0
	s_and_saveexec_b32 s0, s2
	s_cbranch_execz .LBB191_8
	s_branch .LBB191_24
.LBB191_20:                             ;   in Loop: Header=BB191_9 Depth=1
	v_add_co_u32 v27, s3, v5, s6
	s_delay_alu instid0(VALU_DEP_1)
	v_add_co_ci_u32_e64 v28, s3, s7, v6, s3
	global_load_b32 v23, v[27:28], off
	s_or_b32 exec_lo, exec_lo, s14
	s_and_saveexec_b32 s3, vcc_lo
	s_cbranch_execz .LBB191_17
.LBB191_21:                             ;   in Loop: Header=BB191_9 Depth=1
	s_waitcnt vmcnt(0)
	v_cmp_gt_f32_e32 vcc_lo, 0x800000, v24
	v_cndmask_b32_e64 v27, 1.0, 0x4f800000, vcc_lo
	v_cndmask_b32_e64 v29, 0, 0x42000000, vcc_lo
	s_delay_alu instid0(VALU_DEP_2) | instskip(SKIP_2) | instid1(VALU_DEP_3)
	v_mul_f32_e32 v24, v24, v27
	v_add_co_u32 v27, vcc_lo, v3, s6
	v_add_co_ci_u32_e32 v28, vcc_lo, s7, v4, vcc_lo
	v_log_f32_e32 v24, v24
	s_waitcnt_depctr 0xfff
	v_sub_f32_e32 v24, v24, v29
	global_store_b32 v[27:28], v24, off
	s_or_b32 exec_lo, exec_lo, s3
	s_and_saveexec_b32 s3, s0
	s_cbranch_execz .LBB191_18
.LBB191_22:                             ;   in Loop: Header=BB191_9 Depth=1
	s_waitcnt vmcnt(0)
	v_cmp_gt_f32_e32 vcc_lo, 0x800000, v25
	v_cndmask_b32_e64 v27, 1.0, 0x4f800000, vcc_lo
	v_cndmask_b32_e64 v24, 0, 0x42000000, vcc_lo
	s_delay_alu instid0(VALU_DEP_2) | instskip(NEXT) | instid1(VALU_DEP_1)
	v_mul_f32_e32 v25, v25, v27
	v_log_f32_e32 v25, v25
	s_waitcnt_depctr 0xfff
	v_sub_f32_e32 v27, v25, v24
	v_add_co_u32 v24, vcc_lo, v21, s6
	v_add_co_ci_u32_e32 v25, vcc_lo, s7, v22, vcc_lo
	global_store_b32 v[24:25], v27, off
	s_or_b32 exec_lo, exec_lo, s3
	s_and_saveexec_b32 s0, s1
	s_cbranch_execz .LBB191_19
.LBB191_23:                             ;   in Loop: Header=BB191_9 Depth=1
	s_waitcnt vmcnt(0)
	v_cmp_gt_f32_e32 vcc_lo, 0x800000, v26
	v_cndmask_b32_e64 v25, 1.0, 0x4f800000, vcc_lo
	v_cndmask_b32_e64 v24, 0, 0x42000000, vcc_lo
	s_delay_alu instid0(VALU_DEP_2) | instskip(NEXT) | instid1(VALU_DEP_1)
	v_mul_f32_e32 v25, v26, v25
	v_log_f32_e32 v25, v25
	s_waitcnt_depctr 0xfff
	v_sub_f32_e32 v26, v25, v24
	v_add_co_u32 v24, vcc_lo, v14, s6
	v_add_co_ci_u32_e32 v25, vcc_lo, s7, v15, vcc_lo
	global_store_b32 v[24:25], v26, off
	s_or_b32 exec_lo, exec_lo, s0
	s_and_saveexec_b32 s0, s2
	s_cbranch_execz .LBB191_8
.LBB191_24:                             ;   in Loop: Header=BB191_9 Depth=1
	s_waitcnt vmcnt(0)
	v_cmp_gt_f32_e32 vcc_lo, 0x800000, v23
	v_cndmask_b32_e64 v25, 1.0, 0x4f800000, vcc_lo
	v_cndmask_b32_e64 v24, 0, 0x42000000, vcc_lo
	s_delay_alu instid0(VALU_DEP_2) | instskip(NEXT) | instid1(VALU_DEP_1)
	v_mul_f32_e32 v23, v23, v25
	v_log_f32_e32 v23, v23
	s_waitcnt_depctr 0xfff
	v_sub_f32_e32 v25, v23, v24
	v_add_co_u32 v23, vcc_lo, v7, s6
	v_add_co_ci_u32_e32 v24, vcc_lo, s7, v8, vcc_lo
	global_store_b32 v[23:24], v25, off
	s_branch .LBB191_8
.LBB191_25:
	s_nop 0
	s_sendmsg sendmsg(MSG_DEALLOC_VGPRS)
	s_endpgm
	.section	.rodata,"a",@progbits
	.p2align	6, 0x0
	.amdhsa_kernel _ZN2at6native12_GLOBAL__N_125multi_tensor_apply_kernelINS1_18TensorListMetadataILi2EEENS1_14UnaryOpFunctorIfLi2ELi1ELi1EEEJNS0_4Log2IfEEEEEvT_T0_DpT1_
		.amdhsa_group_segment_fixed_size 0
		.amdhsa_private_segment_fixed_size 0
		.amdhsa_kernarg_size 3408
		.amdhsa_user_sgpr_count 15
		.amdhsa_user_sgpr_dispatch_ptr 0
		.amdhsa_user_sgpr_queue_ptr 0
		.amdhsa_user_sgpr_kernarg_segment_ptr 1
		.amdhsa_user_sgpr_dispatch_id 0
		.amdhsa_user_sgpr_private_segment_size 0
		.amdhsa_wavefront_size32 1
		.amdhsa_uses_dynamic_stack 0
		.amdhsa_enable_private_segment 0
		.amdhsa_system_sgpr_workgroup_id_x 1
		.amdhsa_system_sgpr_workgroup_id_y 0
		.amdhsa_system_sgpr_workgroup_id_z 0
		.amdhsa_system_sgpr_workgroup_info 0
		.amdhsa_system_vgpr_workitem_id 0
		.amdhsa_next_free_vgpr 30
		.amdhsa_next_free_sgpr 24
		.amdhsa_reserve_vcc 1
		.amdhsa_float_round_mode_32 0
		.amdhsa_float_round_mode_16_64 0
		.amdhsa_float_denorm_mode_32 3
		.amdhsa_float_denorm_mode_16_64 3
		.amdhsa_dx10_clamp 1
		.amdhsa_ieee_mode 1
		.amdhsa_fp16_overflow 0
		.amdhsa_workgroup_processor_mode 1
		.amdhsa_memory_ordered 1
		.amdhsa_forward_progress 0
		.amdhsa_shared_vgpr_count 0
		.amdhsa_exception_fp_ieee_invalid_op 0
		.amdhsa_exception_fp_denorm_src 0
		.amdhsa_exception_fp_ieee_div_zero 0
		.amdhsa_exception_fp_ieee_overflow 0
		.amdhsa_exception_fp_ieee_underflow 0
		.amdhsa_exception_fp_ieee_inexact 0
		.amdhsa_exception_int_div_zero 0
	.end_amdhsa_kernel
	.section	.text._ZN2at6native12_GLOBAL__N_125multi_tensor_apply_kernelINS1_18TensorListMetadataILi2EEENS1_14UnaryOpFunctorIfLi2ELi1ELi1EEEJNS0_4Log2IfEEEEEvT_T0_DpT1_,"axG",@progbits,_ZN2at6native12_GLOBAL__N_125multi_tensor_apply_kernelINS1_18TensorListMetadataILi2EEENS1_14UnaryOpFunctorIfLi2ELi1ELi1EEEJNS0_4Log2IfEEEEEvT_T0_DpT1_,comdat
.Lfunc_end191:
	.size	_ZN2at6native12_GLOBAL__N_125multi_tensor_apply_kernelINS1_18TensorListMetadataILi2EEENS1_14UnaryOpFunctorIfLi2ELi1ELi1EEEJNS0_4Log2IfEEEEEvT_T0_DpT1_, .Lfunc_end191-_ZN2at6native12_GLOBAL__N_125multi_tensor_apply_kernelINS1_18TensorListMetadataILi2EEENS1_14UnaryOpFunctorIfLi2ELi1ELi1EEEJNS0_4Log2IfEEEEEvT_T0_DpT1_
                                        ; -- End function
	.section	.AMDGPU.csdata,"",@progbits
; Kernel info:
; codeLenInByte = 1776
; NumSgprs: 26
; NumVgprs: 30
; ScratchSize: 0
; MemoryBound: 0
; FloatMode: 240
; IeeeMode: 1
; LDSByteSize: 0 bytes/workgroup (compile time only)
; SGPRBlocks: 3
; VGPRBlocks: 3
; NumSGPRsForWavesPerEU: 26
; NumVGPRsForWavesPerEU: 30
; Occupancy: 16
; WaveLimiterHint : 0
; COMPUTE_PGM_RSRC2:SCRATCH_EN: 0
; COMPUTE_PGM_RSRC2:USER_SGPR: 15
; COMPUTE_PGM_RSRC2:TRAP_HANDLER: 0
; COMPUTE_PGM_RSRC2:TGID_X_EN: 1
; COMPUTE_PGM_RSRC2:TGID_Y_EN: 0
; COMPUTE_PGM_RSRC2:TGID_Z_EN: 0
; COMPUTE_PGM_RSRC2:TIDIG_COMP_CNT: 0
	.section	.text._ZN2at6native12_GLOBAL__N_125multi_tensor_apply_kernelINS1_18TensorListMetadataILi2EEENS1_14UnaryOpFunctorIN3c107complexIdEELi2ELi1ELi1EEEJNS0_4Log2IS8_EEEEEvT_T0_DpT1_,"axG",@progbits,_ZN2at6native12_GLOBAL__N_125multi_tensor_apply_kernelINS1_18TensorListMetadataILi2EEENS1_14UnaryOpFunctorIN3c107complexIdEELi2ELi1ELi1EEEJNS0_4Log2IS8_EEEEEvT_T0_DpT1_,comdat
	.globl	_ZN2at6native12_GLOBAL__N_125multi_tensor_apply_kernelINS1_18TensorListMetadataILi2EEENS1_14UnaryOpFunctorIN3c107complexIdEELi2ELi1ELi1EEEJNS0_4Log2IS8_EEEEEvT_T0_DpT1_ ; -- Begin function _ZN2at6native12_GLOBAL__N_125multi_tensor_apply_kernelINS1_18TensorListMetadataILi2EEENS1_14UnaryOpFunctorIN3c107complexIdEELi2ELi1ELi1EEEJNS0_4Log2IS8_EEEEEvT_T0_DpT1_
	.p2align	8
	.type	_ZN2at6native12_GLOBAL__N_125multi_tensor_apply_kernelINS1_18TensorListMetadataILi2EEENS1_14UnaryOpFunctorIN3c107complexIdEELi2ELi1ELi1EEEJNS0_4Log2IS8_EEEEEvT_T0_DpT1_,@function
_ZN2at6native12_GLOBAL__N_125multi_tensor_apply_kernelINS1_18TensorListMetadataILi2EEENS1_14UnaryOpFunctorIN3c107complexIdEELi2ELi1ELi1EEEJNS0_4Log2IS8_EEEEEvT_T0_DpT1_: ; @_ZN2at6native12_GLOBAL__N_125multi_tensor_apply_kernelINS1_18TensorListMetadataILi2EEENS1_14UnaryOpFunctorIN3c107complexIdEELi2ELi1ELi1EEEJNS0_4Log2IS8_EEEEEvT_T0_DpT1_
; %bb.0:
	v_mov_b32_e32 v1, s15
	s_add_u32 s2, s0, s15
	s_mul_hi_u32 s3, s15, 3
	s_mul_i32 s15, s15, 3
	s_addc_u32 s4, s1, 0
	global_load_u8 v1, v1, s[0:1] offset:1536
	s_add_u32 s2, s2, s15
	s_addc_u32 s3, s4, s3
	s_mov_b32 s11, 0
	s_load_b32 s2, s[2:3], 0x740
	s_mov_b32 s15, s11
	s_waitcnt vmcnt(0)
	v_readfirstlane_b32 s5, v1
	s_delay_alu instid0(VALU_DEP_1)
	s_lshl_b32 s3, s5, 3
	s_clause 0x2
	s_load_b64 s[4:5], s[0:1], s3 offset:0x0
	s_load_b64 s[6:7], s[0:1], s3 offset:0x200
	;; [unrolled: 1-line block ×3, first 2 shown]
	s_waitcnt lgkmcnt(0)
	s_ashr_i32 s3, s2, 31
	s_delay_alu instid0(SALU_CYCLE_1) | instskip(NEXT) | instid1(SALU_CYCLE_1)
	s_lshl_b64 s[12:13], s[2:3], 20
	s_add_u32 s33, s4, s12
	s_addc_u32 s100, s5, s13
	s_add_u32 s101, s6, s12
	s_addc_u32 s102, s7, s13
	s_and_b32 s14, s33, 63
	s_and_b32 s4, s8, 3
	s_mov_b32 s5, s11
	s_and_b32 s10, s101, 63
	s_or_b64 s[4:5], s[14:15], s[4:5]
	s_lshl_b64 s[2:3], s[2:3], 16
	s_or_b64 s[4:5], s[10:11], s[4:5]
	s_sub_u32 s16, s8, s2
	s_subb_u32 s17, s9, s3
	s_cmp_eq_u64 s[4:5], 0
	s_mov_b32 s2, -1
	s_cbranch_scc0 .LBB192_141
; %bb.1:
	v_mov_b32_e32 v17, 0
	v_lshlrev_b32_e32 v1, 2, v0
	s_mov_b32 s94, exec_lo
	s_delay_alu instid0(VALU_DEP_2) | instskip(NEXT) | instid1(VALU_DEP_1)
	v_mov_b32_e32 v2, v17
	v_cmpx_gt_i64_e64 s[16:17], v[1:2]
	s_cbranch_execz .LBB192_140
; %bb.2:
	s_load_b32 s2, s[0:1], 0xc5c
	v_dual_mov_b32 v1, v17 :: v_dual_mov_b32 v56, 0x4002d97c
	v_mov_b32_e32 v55, 0x7f3321d2
	s_mov_b32 s14, 0x85ebc8a0
	s_mov_b32 s18, 0x4ad4b81f
	s_delay_alu instid0(VALU_DEP_2)
	v_dual_mov_b32 v20, v1 :: v_dual_mov_b32 v19, v0
	s_mov_b32 s20, 0xc57e649a
	s_mov_b32 s22, 0x55555555
	;; [unrolled: 1-line block ×44, first 2 shown]
	s_waitcnt lgkmcnt(0)
	s_and_b32 s95, s2, 0xffff
	s_mov_b32 s37, 0x3fd99999
	s_mov_b32 s39, 0x3fe62e42
	;; [unrolled: 1-line block ×31, first 2 shown]
	s_branch .LBB192_5
.LBB192_3:                              ;   in Loop: Header=BB192_5 Depth=1
	s_or_b32 exec_lo, exec_lo, s3
	s_delay_alu instid0(VALU_DEP_1) | instskip(SKIP_2) | instid1(VALU_DEP_2)
	v_frexp_mant_f64_e32 v[1:2], v[14:15]
	s_mov_b32 s93, s23
	v_frexp_exp_i32_f64_e32 v3, v[14:15]
	v_cmp_gt_f64_e32 vcc_lo, s[22:23], v[1:2]
	v_cndmask_b32_e64 v18, 0x3ff00000, 2.0, vcc_lo
	s_delay_alu instid0(VALU_DEP_3) | instskip(SKIP_1) | instid1(VALU_DEP_3)
	v_subrev_co_ci_u32_e32 v3, vcc_lo, 0, v3, vcc_lo
	v_cmp_class_f64_e64 vcc_lo, v[14:15], 0x204
	v_mul_f64 v[1:2], v[1:2], v[17:18]
	s_delay_alu instid0(VALU_DEP_1) | instskip(SKIP_1) | instid1(VALU_DEP_2)
	v_add_f64 v[31:32], v[1:2], 1.0
	v_add_f64 v[37:38], v[1:2], -1.0
	v_rcp_f64_e32 v[33:34], v[31:32]
	v_add_f64 v[39:40], v[31:32], -1.0
	s_delay_alu instid0(VALU_DEP_1) | instskip(SKIP_2) | instid1(VALU_DEP_1)
	v_add_f64 v[1:2], v[1:2], -v[39:40]
	s_waitcnt_depctr 0xfff
	v_fma_f64 v[35:36], -v[31:32], v[33:34], 1.0
	v_fma_f64 v[33:34], v[35:36], v[33:34], v[33:34]
	s_delay_alu instid0(VALU_DEP_1) | instskip(NEXT) | instid1(VALU_DEP_1)
	v_fma_f64 v[35:36], -v[31:32], v[33:34], 1.0
	v_fma_f64 v[33:34], v[35:36], v[33:34], v[33:34]
	s_delay_alu instid0(VALU_DEP_1) | instskip(NEXT) | instid1(VALU_DEP_1)
	v_mul_f64 v[35:36], v[37:38], v[33:34]
	v_mul_f64 v[41:42], v[31:32], v[35:36]
	s_delay_alu instid0(VALU_DEP_1) | instskip(NEXT) | instid1(VALU_DEP_1)
	v_fma_f64 v[31:32], v[35:36], v[31:32], -v[41:42]
	v_fma_f64 v[1:2], v[35:36], v[1:2], v[31:32]
	s_delay_alu instid0(VALU_DEP_1) | instskip(NEXT) | instid1(VALU_DEP_1)
	v_add_f64 v[31:32], v[41:42], v[1:2]
	v_add_f64 v[39:40], v[37:38], -v[31:32]
	v_add_f64 v[41:42], v[31:32], -v[41:42]
	s_delay_alu instid0(VALU_DEP_2) | instskip(NEXT) | instid1(VALU_DEP_2)
	v_add_f64 v[37:38], v[37:38], -v[39:40]
	v_add_f64 v[1:2], v[41:42], -v[1:2]
	s_delay_alu instid0(VALU_DEP_2) | instskip(NEXT) | instid1(VALU_DEP_1)
	v_add_f64 v[31:32], v[37:38], -v[31:32]
	v_add_f64 v[1:2], v[1:2], v[31:32]
	s_delay_alu instid0(VALU_DEP_1) | instskip(NEXT) | instid1(VALU_DEP_1)
	v_add_f64 v[1:2], v[39:40], v[1:2]
	v_mul_f64 v[1:2], v[33:34], v[1:2]
	s_delay_alu instid0(VALU_DEP_1) | instskip(NEXT) | instid1(VALU_DEP_1)
	v_add_f64 v[31:32], v[35:36], v[1:2]
	v_mul_f64 v[33:34], v[31:32], v[31:32]
	s_delay_alu instid0(VALU_DEP_1) | instskip(SKIP_1) | instid1(VALU_DEP_2)
	v_fma_f64 v[37:38], v[33:34], s[26:27], s[24:25]
	v_mul_f64 v[39:40], v[31:32], v[33:34]
	v_fma_f64 v[37:38], v[33:34], v[37:38], s[28:29]
	s_delay_alu instid0(VALU_DEP_1) | instskip(NEXT) | instid1(VALU_DEP_1)
	v_fma_f64 v[37:38], v[33:34], v[37:38], s[30:31]
	v_fma_f64 v[37:38], v[33:34], v[37:38], s[34:35]
	s_delay_alu instid0(VALU_DEP_1) | instskip(NEXT) | instid1(VALU_DEP_1)
	v_fma_f64 v[37:38], v[33:34], v[37:38], s[36:37]
	v_fma_f64 v[33:34], v[33:34], v[37:38], s[92:93]
	v_ldexp_f64 v[37:38], v[31:32], 1
	v_add_f64 v[31:32], v[31:32], -v[35:36]
	s_delay_alu instid0(VALU_DEP_3) | instskip(SKIP_1) | instid1(VALU_DEP_3)
	v_mul_f64 v[33:34], v[39:40], v[33:34]
	v_cvt_f64_i32_e32 v[39:40], v3
	v_add_f64 v[1:2], v[1:2], -v[31:32]
	s_delay_alu instid0(VALU_DEP_3) | instskip(NEXT) | instid1(VALU_DEP_3)
	v_add_f64 v[35:36], v[37:38], v[33:34]
	v_mul_f64 v[41:42], v[39:40], s[38:39]
	s_delay_alu instid0(VALU_DEP_3) | instskip(NEXT) | instid1(VALU_DEP_3)
	v_ldexp_f64 v[1:2], v[1:2], 1
	v_add_f64 v[31:32], v[35:36], -v[37:38]
	s_delay_alu instid0(VALU_DEP_3) | instskip(NEXT) | instid1(VALU_DEP_2)
	v_fma_f64 v[37:38], v[39:40], s[38:39], -v[41:42]
	v_add_f64 v[31:32], v[33:34], -v[31:32]
	s_delay_alu instid0(VALU_DEP_2) | instskip(NEXT) | instid1(VALU_DEP_2)
	v_fma_f64 v[33:34], v[39:40], s[40:41], v[37:38]
	v_add_f64 v[1:2], v[1:2], v[31:32]
	s_delay_alu instid0(VALU_DEP_2) | instskip(NEXT) | instid1(VALU_DEP_2)
	v_add_f64 v[31:32], v[41:42], v[33:34]
	v_add_f64 v[37:38], v[35:36], v[1:2]
	s_delay_alu instid0(VALU_DEP_2) | instskip(NEXT) | instid1(VALU_DEP_2)
	v_add_f64 v[41:42], v[31:32], -v[41:42]
	v_add_f64 v[39:40], v[31:32], v[37:38]
	v_add_f64 v[35:36], v[37:38], -v[35:36]
	s_delay_alu instid0(VALU_DEP_3) | instskip(NEXT) | instid1(VALU_DEP_3)
	v_add_f64 v[33:34], v[33:34], -v[41:42]
	v_add_f64 v[43:44], v[39:40], -v[31:32]
	s_delay_alu instid0(VALU_DEP_3) | instskip(NEXT) | instid1(VALU_DEP_2)
	v_add_f64 v[1:2], v[1:2], -v[35:36]
	v_add_f64 v[45:46], v[39:40], -v[43:44]
	;; [unrolled: 1-line block ×3, first 2 shown]
	s_delay_alu instid0(VALU_DEP_3) | instskip(NEXT) | instid1(VALU_DEP_3)
	v_add_f64 v[37:38], v[33:34], v[1:2]
	v_add_f64 v[31:32], v[31:32], -v[45:46]
	s_delay_alu instid0(VALU_DEP_1) | instskip(NEXT) | instid1(VALU_DEP_3)
	v_add_f64 v[31:32], v[35:36], v[31:32]
	v_add_f64 v[35:36], v[37:38], -v[33:34]
	s_delay_alu instid0(VALU_DEP_2) | instskip(NEXT) | instid1(VALU_DEP_2)
	v_add_f64 v[31:32], v[37:38], v[31:32]
	v_add_f64 v[37:38], v[37:38], -v[35:36]
	v_add_f64 v[1:2], v[1:2], -v[35:36]
	s_delay_alu instid0(VALU_DEP_3) | instskip(NEXT) | instid1(VALU_DEP_3)
	v_add_f64 v[41:42], v[39:40], v[31:32]
	v_add_f64 v[33:34], v[33:34], -v[37:38]
	s_delay_alu instid0(VALU_DEP_2) | instskip(NEXT) | instid1(VALU_DEP_2)
	v_add_f64 v[35:36], v[41:42], -v[39:40]
	v_add_f64 v[1:2], v[1:2], v[33:34]
	s_delay_alu instid0(VALU_DEP_2) | instskip(NEXT) | instid1(VALU_DEP_1)
	v_add_f64 v[31:32], v[31:32], -v[35:36]
	v_add_f64 v[1:2], v[1:2], v[31:32]
	v_mov_b32_e32 v31, 0
	v_mov_b32_e32 v32, 0x7ff80000
	s_delay_alu instid0(VALU_DEP_3) | instskip(NEXT) | instid1(VALU_DEP_1)
	v_add_f64 v[1:2], v[41:42], v[1:2]
	v_dual_cndmask_b32 v1, v1, v14 :: v_dual_cndmask_b32 v2, v2, v15
	v_cmp_ngt_f64_e32 vcc_lo, 0, v[14:15]
	s_delay_alu instid0(VALU_DEP_2) | instskip(SKIP_1) | instid1(VALU_DEP_4)
	v_cndmask_b32_e32 v2, 0x7ff80000, v2, vcc_lo
	v_cmp_nge_f64_e32 vcc_lo, 0, v[14:15]
	v_cndmask_b32_e32 v13, 0, v1, vcc_lo
	v_cmp_neq_f64_e32 vcc_lo, 0, v[14:15]
	s_delay_alu instid0(VALU_DEP_4)
	v_cndmask_b32_e32 v14, 0xfff00000, v2, vcc_lo
.LBB192_4:                              ;   in Loop: Header=BB192_5 Depth=1
	s_or_b32 exec_lo, exec_lo, s2
	v_bfi_b32 v30, 0x7fffffff, v30, v16
	v_bfi_b32 v26, 0x7fffffff, v26, v8
	v_bfi_b32 v28, 0x7fffffff, v28, v12
	v_bfi_b32 v32, 0x7fffffff, v32, v4
	v_add_co_u32 v19, vcc_lo, v19, s95
	v_fma_f64 v[1:2], v[29:30], 0, v[9:10]
	v_fma_f64 v[3:4], 0x80000000, v[9:10], v[29:30]
	;; [unrolled: 1-line block ×8, first 2 shown]
	v_add_co_ci_u32_e32 v20, vcc_lo, 0, v20, vcc_lo
	v_add_co_u32 v21, s3, s101, v21
	s_delay_alu instid0(VALU_DEP_1)
	v_add_co_ci_u32_e64 v22, s3, s102, v22, s3
	v_mul_f64 v[1:2], v[1:2], s[90:91]
	v_mul_f64 v[3:4], v[3:4], s[90:91]
	;; [unrolled: 1-line block ×8, first 2 shown]
	v_lshlrev_b64 v[23:24], 2, v[19:20]
	s_clause 0x3
	global_store_b128 v[21:22], v[9:12], off
	global_store_b128 v[21:22], v[5:8], off offset:16
	global_store_b128 v[21:22], v[1:4], off offset:32
	;; [unrolled: 1-line block ×3, first 2 shown]
	v_cmp_le_i64_e32 vcc_lo, s[16:17], v[23:24]
	v_cmp_lt_u64_e64 s2, 0xffff, v[23:24]
	s_delay_alu instid0(VALU_DEP_1) | instskip(NEXT) | instid1(SALU_CYCLE_1)
	s_or_b32 s2, vcc_lo, s2
	s_and_b32 s2, exec_lo, s2
	s_delay_alu instid0(SALU_CYCLE_1) | instskip(NEXT) | instid1(SALU_CYCLE_1)
	s_or_b32 s96, s2, s96
	s_and_not1_b32 exec_lo, exec_lo, s96
	s_cbranch_execz .LBB192_140
.LBB192_5:                              ; =>This Loop Header: Depth=1
                                        ;     Child Loop BB192_16 Depth 2
                                        ;     Child Loop BB192_50 Depth 2
	;; [unrolled: 1-line block ×4, first 2 shown]
	v_lshlrev_b64 v[21:22], 6, v[19:20]
                                        ; implicit-def: $vgpr23_vgpr24
                                        ; implicit-def: $vgpr25_vgpr26
	s_mov_b32 s2, exec_lo
	s_delay_alu instid0(VALU_DEP_1) | instskip(NEXT) | instid1(VALU_DEP_2)
	v_add_co_u32 v13, vcc_lo, s33, v21
	v_add_co_ci_u32_e32 v14, vcc_lo, s100, v22, vcc_lo
	s_clause 0x3
	global_load_b128 v[5:8], v[13:14], off
	global_load_b128 v[9:12], v[13:14], off offset:16
	global_load_b128 v[1:4], v[13:14], off offset:48
	;; [unrolled: 1-line block ×3, first 2 shown]
	s_waitcnt vmcnt(3)
	v_cmpx_o_f64_e32 v[5:6], v[7:8]
	s_xor_b32 s97, exec_lo, s2
	s_cbranch_execz .LBB192_33
; %bb.6:                                ;   in Loop: Header=BB192_5 Depth=1
	v_cmp_lt_f64_e64 s2, |v[5:6]|, |v[7:8]|
	v_and_b32_e32 v18, 0x7fffffff, v6
	v_dual_mov_b32 v28, v7 :: v_dual_and_b32 v27, 0x7fffffff, v8
                                        ; implicit-def: $vgpr23_vgpr24
                                        ; implicit-def: $vgpr25_vgpr26
	s_mov_b32 s3, exec_lo
	s_delay_alu instid0(VALU_DEP_1) | instskip(NEXT) | instid1(VALU_DEP_2)
	v_cndmask_b32_e64 v30, v27, v18, s2
	v_cndmask_b32_e64 v29, v28, v5, s2
	s_delay_alu instid0(VALU_DEP_1)
	v_cmpx_nlt_f64_e32 s[14:15], v[29:30]
	s_xor_b32 s98, exec_lo, s3
	s_cbranch_execz .LBB192_30
; %bb.7:                                ;   in Loop: Header=BB192_5 Depth=1
	v_cndmask_b32_e64 v32, v18, v27, s2
	v_cndmask_b32_e64 v31, v5, v28, s2
                                        ; implicit-def: $vgpr23_vgpr24
                                        ; implicit-def: $vgpr25_vgpr26
	s_mov_b32 s3, exec_lo
	s_delay_alu instid0(VALU_DEP_1)
	v_cmpx_neq_f64_e32 1.0, v[31:32]
	s_xor_b32 s99, exec_lo, s3
	s_cbranch_execz .LBB192_23
; %bb.8:                                ;   in Loop: Header=BB192_5 Depth=1
	v_max_f64 v[23:24], v[29:30], v[29:30]
	v_max_f64 v[25:26], v[31:32], v[31:32]
	s_delay_alu instid0(VALU_DEP_1) | instskip(SKIP_1) | instid1(VALU_DEP_2)
	v_min_f64 v[27:28], v[25:26], v[23:24]
	v_max_f64 v[23:24], v[25:26], v[23:24]
                                        ; implicit-def: $vgpr25_vgpr26
	v_cmp_ngt_f64_e32 vcc_lo, s[18:19], v[27:28]
	s_delay_alu instid0(VALU_DEP_2) | instskip(NEXT) | instid1(VALU_DEP_1)
	v_cmp_nlt_f64_e64 s3, s[20:21], v[23:24]
                                        ; implicit-def: $vgpr23_vgpr24
	s_and_b32 s3, s3, vcc_lo
	s_delay_alu instid0(SALU_CYCLE_1) | instskip(NEXT) | instid1(SALU_CYCLE_1)
	s_and_saveexec_b32 s4, s3
	s_xor_b32 s103, exec_lo, s4
	s_cbranch_execz .LBB192_20
; %bb.9:                                ;   in Loop: Header=BB192_5 Depth=1
                                        ; implicit-def: $vgpr23_vgpr24
                                        ; implicit-def: $vgpr25_vgpr26
	s_mov_b32 s3, exec_lo
	v_cmpx_le_f64_e32 1.0, v[31:32]
	s_xor_b32 s4, exec_lo, s3
	s_cbranch_execz .LBB192_11
; %bb.10:                               ;   in Loop: Header=BB192_5 Depth=1
	v_add_f64 v[23:24], v[31:32], -1.0
	v_add_f64 v[25:26], v[31:32], 1.0
	s_mov_b32 s93, s23
	s_mov_b32 s12, s82
	v_cmp_gt_i32_e64 s3, 0, v6
	v_cmp_class_f64_e64 s6, v[5:6], 0x204
	v_cmp_class_f64_e64 s5, v[7:8], 0x204
	s_delay_alu instid0(VALU_DEP_4) | instskip(NEXT) | instid1(VALU_DEP_1)
	v_mul_f64 v[23:24], v[23:24], v[25:26]
	v_fma_f64 v[24:25], v[29:30], v[29:30], v[23:24]
	s_delay_alu instid0(VALU_DEP_1) | instskip(NEXT) | instid1(VALU_DEP_1)
	v_add_f64 v[26:27], v[24:25], 1.0
	v_frexp_mant_f64_e32 v[28:29], v[26:27]
	v_frexp_exp_i32_f64_e32 v18, v[26:27]
	v_add_f64 v[30:31], v[26:27], -1.0
	s_delay_alu instid0(VALU_DEP_3) | instskip(NEXT) | instid1(VALU_DEP_2)
	v_cmp_gt_f64_e32 vcc_lo, s[22:23], v[28:29]
	v_add_f64 v[28:29], v[30:31], -v[26:27]
	v_add_f64 v[30:31], v[24:25], -v[30:31]
	v_subrev_co_ci_u32_e32 v18, vcc_lo, 0, v18, vcc_lo
	s_delay_alu instid0(VALU_DEP_3) | instskip(NEXT) | instid1(VALU_DEP_2)
	v_add_f64 v[28:29], v[28:29], 1.0
	v_sub_nc_u32_e32 v23, 0, v18
	s_delay_alu instid0(VALU_DEP_1) | instskip(NEXT) | instid1(VALU_DEP_3)
	v_ldexp_f64 v[26:27], v[26:27], v23
	v_add_f64 v[28:29], v[30:31], v[28:29]
	s_delay_alu instid0(VALU_DEP_2) | instskip(SKIP_1) | instid1(VALU_DEP_3)
	v_add_f64 v[32:33], v[26:27], 1.0
	v_add_f64 v[38:39], v[26:27], -1.0
	v_ldexp_f64 v[28:29], v[28:29], v23
	s_delay_alu instid0(VALU_DEP_3) | instskip(NEXT) | instid1(VALU_DEP_3)
	v_add_f64 v[30:31], v[32:33], -1.0
	v_add_f64 v[40:41], v[38:39], 1.0
	s_delay_alu instid0(VALU_DEP_2) | instskip(NEXT) | instid1(VALU_DEP_2)
	v_add_f64 v[30:31], v[26:27], -v[30:31]
	v_add_f64 v[26:27], v[26:27], -v[40:41]
	s_delay_alu instid0(VALU_DEP_2) | instskip(NEXT) | instid1(VALU_DEP_2)
	v_add_f64 v[30:31], v[28:29], v[30:31]
	v_add_f64 v[26:27], v[28:29], v[26:27]
	s_delay_alu instid0(VALU_DEP_2) | instskip(NEXT) | instid1(VALU_DEP_2)
	v_add_f64 v[34:35], v[32:33], v[30:31]
	v_add_f64 v[40:41], v[38:39], v[26:27]
	s_delay_alu instid0(VALU_DEP_2) | instskip(SKIP_1) | instid1(VALU_DEP_2)
	v_rcp_f64_e32 v[36:37], v[34:35]
	v_add_f64 v[32:33], v[34:35], -v[32:33]
	v_add_f64 v[38:39], v[40:41], -v[38:39]
	s_delay_alu instid0(VALU_DEP_2) | instskip(SKIP_3) | instid1(VALU_DEP_2)
	v_add_f64 v[30:31], v[30:31], -v[32:33]
	s_waitcnt_depctr 0xfff
	v_fma_f64 v[42:43], -v[34:35], v[36:37], 1.0
	v_add_f64 v[26:27], v[26:27], -v[38:39]
	v_fma_f64 v[36:37], v[42:43], v[36:37], v[36:37]
	s_delay_alu instid0(VALU_DEP_1) | instskip(NEXT) | instid1(VALU_DEP_1)
	v_fma_f64 v[28:29], -v[34:35], v[36:37], 1.0
	v_fma_f64 v[28:29], v[28:29], v[36:37], v[36:37]
	s_delay_alu instid0(VALU_DEP_1) | instskip(NEXT) | instid1(VALU_DEP_1)
	v_mul_f64 v[36:37], v[40:41], v[28:29]
	v_mul_f64 v[42:43], v[34:35], v[36:37]
	s_delay_alu instid0(VALU_DEP_1) | instskip(NEXT) | instid1(VALU_DEP_1)
	v_fma_f64 v[32:33], v[36:37], v[34:35], -v[42:43]
	v_fma_f64 v[32:33], v[36:37], v[30:31], v[32:33]
	s_delay_alu instid0(VALU_DEP_1) | instskip(NEXT) | instid1(VALU_DEP_1)
	v_add_f64 v[44:45], v[42:43], v[32:33]
	v_add_f64 v[46:47], v[40:41], -v[44:45]
	v_add_f64 v[38:39], v[44:45], -v[42:43]
	v_max_f64 v[42:43], |v[7:8]|, |v[7:8]|
	s_delay_alu instid0(VALU_DEP_3) | instskip(NEXT) | instid1(VALU_DEP_3)
	v_add_f64 v[40:41], v[40:41], -v[46:47]
	v_add_f64 v[32:33], v[38:39], -v[32:33]
	s_delay_alu instid0(VALU_DEP_2) | instskip(SKIP_2) | instid1(VALU_DEP_1)
	v_add_f64 v[40:41], v[40:41], -v[44:45]
	v_max_f64 v[44:45], |v[5:6]|, |v[5:6]|
	v_cndmask_b32_e64 v5, 0x3fe921fb, v56, s3
	v_bfi_b32 v5, 0x7fffffff, v5, v8
	s_delay_alu instid0(VALU_DEP_4) | instskip(NEXT) | instid1(VALU_DEP_4)
	v_add_f64 v[26:27], v[26:27], v[40:41]
	v_max_f64 v[48:49], v[44:45], v[42:43]
	v_min_f64 v[42:43], v[44:45], v[42:43]
	s_delay_alu instid0(VALU_DEP_3) | instskip(NEXT) | instid1(VALU_DEP_1)
	v_add_f64 v[26:27], v[32:33], v[26:27]
	v_add_f64 v[32:33], v[46:47], v[26:27]
	s_delay_alu instid0(VALU_DEP_1) | instskip(SKIP_1) | instid1(VALU_DEP_2)
	v_mul_f64 v[38:39], v[28:29], v[32:33]
	v_add_f64 v[46:47], v[46:47], -v[32:33]
	v_mul_f64 v[40:41], v[34:35], v[38:39]
	s_delay_alu instid0(VALU_DEP_2) | instskip(NEXT) | instid1(VALU_DEP_2)
	v_add_f64 v[26:27], v[26:27], v[46:47]
	v_fma_f64 v[34:35], v[38:39], v[34:35], -v[40:41]
	s_delay_alu instid0(VALU_DEP_1) | instskip(SKIP_1) | instid1(VALU_DEP_2)
	v_fma_f64 v[30:31], v[38:39], v[30:31], v[34:35]
	v_div_scale_f64 v[34:35], null, v[48:49], v[48:49], v[42:43]
	v_add_f64 v[44:45], v[40:41], v[30:31]
	s_delay_alu instid0(VALU_DEP_2) | instskip(NEXT) | instid1(VALU_DEP_1)
	v_rcp_f64_e32 v[50:51], v[34:35]
	v_add_f64 v[52:53], v[32:33], -v[44:45]
	v_add_f64 v[40:41], v[44:45], -v[40:41]
	s_waitcnt_depctr 0xfff
	v_fma_f64 v[57:58], -v[34:35], v[50:51], 1.0
	v_add_f64 v[32:33], v[32:33], -v[52:53]
	v_add_f64 v[30:31], v[40:41], -v[30:31]
	s_delay_alu instid0(VALU_DEP_3) | instskip(NEXT) | instid1(VALU_DEP_3)
	v_fma_f64 v[50:51], v[50:51], v[57:58], v[50:51]
	v_add_f64 v[32:33], v[32:33], -v[44:45]
	s_delay_alu instid0(VALU_DEP_2) | instskip(NEXT) | instid1(VALU_DEP_2)
	v_fma_f64 v[44:45], -v[34:35], v[50:51], 1.0
	v_add_f64 v[26:27], v[26:27], v[32:33]
	v_div_scale_f64 v[32:33], vcc_lo, v[42:43], v[48:49], v[42:43]
	s_delay_alu instid0(VALU_DEP_3) | instskip(SKIP_1) | instid1(VALU_DEP_4)
	v_fma_f64 v[40:41], v[50:51], v[44:45], v[50:51]
	v_add_f64 v[44:45], v[36:37], v[38:39]
	v_add_f64 v[26:27], v[30:31], v[26:27]
	s_delay_alu instid0(VALU_DEP_3) | instskip(NEXT) | instid1(VALU_DEP_3)
	v_mul_f64 v[30:31], v[32:33], v[40:41]
	v_add_f64 v[36:37], v[44:45], -v[36:37]
	s_delay_alu instid0(VALU_DEP_3) | instskip(NEXT) | instid1(VALU_DEP_3)
	v_add_f64 v[26:27], v[52:53], v[26:27]
	v_fma_f64 v[32:33], -v[34:35], v[30:31], v[32:33]
	s_delay_alu instid0(VALU_DEP_3) | instskip(NEXT) | instid1(VALU_DEP_3)
	v_add_f64 v[34:35], v[38:39], -v[36:37]
	v_mul_f64 v[26:27], v[28:29], v[26:27]
	s_delay_alu instid0(VALU_DEP_3) | instskip(SKIP_1) | instid1(VALU_DEP_3)
	v_div_fmas_f64 v[28:29], v[32:33], v[40:41], v[30:31]
	v_cmp_eq_f64_e32 vcc_lo, 0x7ff00000, v[24:25]
	v_add_f64 v[26:27], v[34:35], v[26:27]
	s_delay_alu instid0(VALU_DEP_3) | instskip(NEXT) | instid1(VALU_DEP_2)
	v_div_fixup_f64 v[28:29], v[28:29], v[48:49], v[42:43]
	v_add_f64 v[30:31], v[44:45], v[26:27]
	s_delay_alu instid0(VALU_DEP_2) | instskip(NEXT) | instid1(VALU_DEP_2)
	v_mul_f64 v[32:33], v[28:29], v[28:29]
	v_mul_f64 v[34:35], v[30:31], v[30:31]
	s_delay_alu instid0(VALU_DEP_2) | instskip(NEXT) | instid1(VALU_DEP_2)
	v_fma_f64 v[36:37], v[32:33], s[44:45], s[42:43]
	v_fma_f64 v[38:39], v[34:35], s[26:27], s[24:25]
	v_mul_f64 v[40:41], v[30:31], v[34:35]
	s_delay_alu instid0(VALU_DEP_3) | instskip(NEXT) | instid1(VALU_DEP_3)
	v_fma_f64 v[36:37], v[32:33], v[36:37], s[46:47]
	v_fma_f64 v[38:39], v[34:35], v[38:39], s[28:29]
	s_delay_alu instid0(VALU_DEP_2) | instskip(NEXT) | instid1(VALU_DEP_2)
	v_fma_f64 v[36:37], v[32:33], v[36:37], s[48:49]
	v_fma_f64 v[38:39], v[34:35], v[38:39], s[30:31]
	s_delay_alu instid0(VALU_DEP_2) | instskip(NEXT) | instid1(VALU_DEP_2)
	;; [unrolled: 3-line block ×4, first 2 shown]
	v_fma_f64 v[36:37], v[32:33], v[36:37], s[54:55]
	v_fma_f64 v[34:35], v[34:35], v[38:39], s[92:93]
	v_ldexp_f64 v[38:39], v[30:31], 1
	v_add_f64 v[30:31], v[30:31], -v[44:45]
	s_delay_alu instid0(VALU_DEP_4) | instskip(NEXT) | instid1(VALU_DEP_4)
	v_fma_f64 v[36:37], v[32:33], v[36:37], s[56:57]
	v_mul_f64 v[34:35], v[40:41], v[34:35]
	v_cvt_f64_i32_e32 v[40:41], v18
	s_delay_alu instid0(VALU_DEP_4) | instskip(NEXT) | instid1(VALU_DEP_4)
	v_add_f64 v[26:27], v[26:27], -v[30:31]
	v_fma_f64 v[36:37], v[32:33], v[36:37], s[58:59]
	v_ashrrev_i32_e32 v18, 31, v6
	s_delay_alu instid0(VALU_DEP_1) | instskip(SKIP_4) | instid1(VALU_DEP_4)
	v_and_b32_e32 v6, 0x400921fb, v18
	v_add_f64 v[42:43], v[38:39], v[34:35]
	v_mul_f64 v[44:45], v[40:41], s[38:39]
	v_ldexp_f64 v[26:27], v[26:27], 1
	v_fma_f64 v[36:37], v[32:33], v[36:37], s[60:61]
	v_add_f64 v[30:31], v[42:43], -v[38:39]
	s_delay_alu instid0(VALU_DEP_4) | instskip(NEXT) | instid1(VALU_DEP_3)
	v_fma_f64 v[38:39], v[40:41], s[38:39], -v[44:45]
	v_fma_f64 v[36:37], v[32:33], v[36:37], s[62:63]
	s_delay_alu instid0(VALU_DEP_3) | instskip(NEXT) | instid1(VALU_DEP_2)
	v_add_f64 v[30:31], v[34:35], -v[30:31]
	v_fma_f64 v[34:35], v[32:33], v[36:37], s[64:65]
	s_delay_alu instid0(VALU_DEP_4) | instskip(NEXT) | instid1(VALU_DEP_3)
	v_fma_f64 v[36:37], v[40:41], s[40:41], v[38:39]
	v_add_f64 v[26:27], v[26:27], v[30:31]
	s_delay_alu instid0(VALU_DEP_3) | instskip(NEXT) | instid1(VALU_DEP_3)
	v_fma_f64 v[30:31], v[32:33], v[34:35], s[66:67]
	v_add_f64 v[34:35], v[44:45], v[36:37]
	s_delay_alu instid0(VALU_DEP_3) | instskip(NEXT) | instid1(VALU_DEP_3)
	v_add_f64 v[38:39], v[42:43], v[26:27]
	v_fma_f64 v[30:31], v[32:33], v[30:31], s[68:69]
	s_delay_alu instid0(VALU_DEP_3) | instskip(NEXT) | instid1(VALU_DEP_3)
	v_add_f64 v[44:45], v[34:35], -v[44:45]
	v_add_f64 v[40:41], v[34:35], v[38:39]
	v_add_f64 v[42:43], v[38:39], -v[42:43]
	s_delay_alu instid0(VALU_DEP_4) | instskip(NEXT) | instid1(VALU_DEP_4)
	v_fma_f64 v[30:31], v[32:33], v[30:31], s[70:71]
	v_add_f64 v[36:37], v[36:37], -v[44:45]
	s_delay_alu instid0(VALU_DEP_4) | instskip(NEXT) | instid1(VALU_DEP_4)
	v_add_f64 v[46:47], v[40:41], -v[34:35]
	v_add_f64 v[26:27], v[26:27], -v[42:43]
	s_delay_alu instid0(VALU_DEP_4) | instskip(NEXT) | instid1(VALU_DEP_3)
	v_fma_f64 v[30:31], v[32:33], v[30:31], s[72:73]
	v_add_f64 v[48:49], v[40:41], -v[46:47]
	v_add_f64 v[38:39], v[38:39], -v[46:47]
	s_delay_alu instid0(VALU_DEP_4) | instskip(NEXT) | instid1(VALU_DEP_4)
	v_add_f64 v[42:43], v[36:37], v[26:27]
	v_fma_f64 v[30:31], v[32:33], v[30:31], s[74:75]
	s_delay_alu instid0(VALU_DEP_4) | instskip(NEXT) | instid1(VALU_DEP_2)
	v_add_f64 v[34:35], v[34:35], -v[48:49]
	v_fma_f64 v[30:31], v[32:33], v[30:31], s[76:77]
	s_delay_alu instid0(VALU_DEP_2) | instskip(SKIP_1) | instid1(VALU_DEP_3)
	v_add_f64 v[34:35], v[38:39], v[34:35]
	v_add_f64 v[38:39], v[42:43], -v[36:37]
	v_fma_f64 v[30:31], v[32:33], v[30:31], s[78:79]
	s_delay_alu instid0(VALU_DEP_3) | instskip(NEXT) | instid1(VALU_DEP_3)
	v_add_f64 v[34:35], v[42:43], v[34:35]
	v_add_f64 v[42:43], v[42:43], -v[38:39]
	v_add_f64 v[26:27], v[26:27], -v[38:39]
	s_delay_alu instid0(VALU_DEP_4) | instskip(NEXT) | instid1(VALU_DEP_4)
	v_fma_f64 v[30:31], v[32:33], v[30:31], s[80:81]
	v_add_f64 v[44:45], v[40:41], v[34:35]
	s_delay_alu instid0(VALU_DEP_2) | instskip(SKIP_1) | instid1(VALU_DEP_3)
	v_mul_f64 v[30:31], v[32:33], v[30:31]
	v_add_f64 v[32:33], v[36:37], -v[42:43]
	v_add_f64 v[36:37], v[44:45], -v[40:41]
	s_delay_alu instid0(VALU_DEP_3) | instskip(NEXT) | instid1(VALU_DEP_3)
	v_fma_f64 v[28:29], v[28:29], v[30:31], v[28:29]
	v_add_f64 v[26:27], v[26:27], v[32:33]
	s_delay_alu instid0(VALU_DEP_3) | instskip(NEXT) | instid1(VALU_DEP_3)
	v_add_f64 v[30:31], v[34:35], -v[36:37]
	v_add_f64 v[32:33], -v[28:29], s[82:83]
	s_delay_alu instid0(VALU_DEP_2) | instskip(NEXT) | instid1(VALU_DEP_2)
	v_add_f64 v[26:27], v[26:27], v[30:31]
	v_cndmask_b32_e64 v29, v29, v33, s2
	s_delay_alu instid0(VALU_DEP_3) | instskip(SKIP_1) | instid1(VALU_DEP_2)
	v_cndmask_b32_e64 v28, v28, v32, s2
	v_cndmask_b32_e64 v32, 0x54442d18, v55, s3
	v_add_f64 v[30:31], -v[28:29], s[12:13]
	v_add_f64 v[26:27], v[44:45], v[26:27]
	v_and_b32_e32 v23, 0x54442d18, v18
	s_delay_alu instid0(VALU_DEP_3) | instskip(NEXT) | instid1(VALU_DEP_4)
	v_cndmask_b32_e64 v30, v28, v30, s3
	v_cndmask_b32_e64 v18, v29, v31, s3
	v_cmp_nge_f64_e64 s3, -1.0, v[24:25]
	v_dual_cndmask_b32 v26, v26, v24 :: v_dual_cndmask_b32 v27, v27, v25
	v_cmp_eq_f64_e32 vcc_lo, 0, v[7:8]
	s_delay_alu instid0(VALU_DEP_2) | instskip(SKIP_3) | instid1(VALU_DEP_4)
	v_mul_f64 v[27:28], v[26:27], 0.5
	v_cndmask_b32_e32 v29, v30, v23, vcc_lo
	v_cndmask_b32_e32 v6, v18, v6, vcc_lo
	v_cmp_ngt_f64_e32 vcc_lo, -1.0, v[24:25]
	v_cndmask_b32_e64 v23, 0, v27, s3
	v_cmp_neq_f64_e64 s3, -1.0, v[24:25]
	v_cndmask_b32_e32 v18, 0x7ff80000, v28, vcc_lo
	s_and_b32 vcc_lo, s6, s5
	v_dual_cndmask_b32 v25, v29, v32 :: v_dual_cndmask_b32 v26, v6, v5
	s_delay_alu instid0(VALU_DEP_2)
	v_cndmask_b32_e64 v24, 0xfff00000, v18, s3
                                        ; implicit-def: $vgpr29_vgpr30
                                        ; implicit-def: $vgpr31_vgpr32
.LBB192_11:                             ;   in Loop: Header=BB192_5 Depth=1
	s_and_not1_saveexec_b32 s104, s4
	s_cbranch_execz .LBB192_19
; %bb.12:                               ;   in Loop: Header=BB192_5 Depth=1
	v_mul_f64 v[23:24], v[29:30], v[29:30]
                                        ; implicit-def: $vgpr25_vgpr26
	s_mov_b32 s3, exec_lo
	s_delay_alu instid0(VALU_DEP_1) | instskip(NEXT) | instid1(VALU_DEP_1)
	v_fma_f64 v[27:28], v[31:32], v[31:32], v[23:24]
                                        ; implicit-def: $vgpr23_vgpr24
	v_cmpx_ge_f64_e32 s[84:85], v[27:28]
	s_xor_b32 s5, exec_lo, s3
	s_cbranch_execz .LBB192_14
; %bb.13:                               ;   in Loop: Header=BB192_5 Depth=1
	v_frexp_mant_f64_e32 v[23:24], v[27:28]
	v_max_f64 v[35:36], |v[5:6]|, |v[5:6]|
	s_mov_b32 s93, s23
	s_mov_b32 s12, s82
	v_cmp_class_f64_e64 s6, v[7:8], 0x204
	v_cmp_class_f64_e64 s7, v[5:6], 0x204
	v_cmp_neq_f64_e64 s4, 0, v[27:28]
	v_cmp_gt_f64_e64 s3, s[22:23], v[23:24]
	s_delay_alu instid0(VALU_DEP_1) | instskip(NEXT) | instid1(VALU_DEP_1)
	v_cndmask_b32_e64 v18, 0x3ff00000, 2.0, s3
	v_mul_f64 v[23:24], v[23:24], v[17:18]
	v_frexp_exp_i32_f64_e32 v18, v[27:28]
	s_delay_alu instid0(VALU_DEP_2) | instskip(SKIP_1) | instid1(VALU_DEP_2)
	v_add_f64 v[25:26], v[23:24], 1.0
	v_add_f64 v[33:34], v[23:24], -1.0
	v_rcp_f64_e32 v[29:30], v[25:26]
	s_waitcnt_depctr 0xfff
	v_fma_f64 v[31:32], -v[25:26], v[29:30], 1.0
	s_delay_alu instid0(VALU_DEP_1) | instskip(NEXT) | instid1(VALU_DEP_1)
	v_fma_f64 v[29:30], v[31:32], v[29:30], v[29:30]
	v_fma_f64 v[31:32], -v[25:26], v[29:30], 1.0
	s_delay_alu instid0(VALU_DEP_1) | instskip(SKIP_1) | instid1(VALU_DEP_2)
	v_fma_f64 v[29:30], v[31:32], v[29:30], v[29:30]
	v_max_f64 v[31:32], |v[7:8]|, |v[7:8]|
	v_mul_f64 v[37:38], v[33:34], v[29:30]
	s_delay_alu instid0(VALU_DEP_2) | instskip(SKIP_2) | instid1(VALU_DEP_4)
	v_max_f64 v[39:40], v[35:36], v[31:32]
	v_min_f64 v[31:32], v[35:36], v[31:32]
	v_add_f64 v[35:36], v[25:26], -1.0
	v_mul_f64 v[41:42], v[25:26], v[37:38]
	s_delay_alu instid0(VALU_DEP_3) | instskip(NEXT) | instid1(VALU_DEP_3)
	v_div_scale_f64 v[43:44], null, v[39:40], v[39:40], v[31:32]
	v_add_f64 v[23:24], v[23:24], -v[35:36]
	v_div_scale_f64 v[49:50], vcc_lo, v[31:32], v[39:40], v[31:32]
	s_delay_alu instid0(VALU_DEP_4) | instskip(NEXT) | instid1(VALU_DEP_4)
	v_fma_f64 v[25:26], v[37:38], v[25:26], -v[41:42]
	v_rcp_f64_e32 v[35:36], v[43:44]
	s_delay_alu instid0(VALU_DEP_1) | instskip(SKIP_3) | instid1(VALU_DEP_2)
	v_fma_f64 v[23:24], v[37:38], v[23:24], v[25:26]
	s_waitcnt_depctr 0xfff
	v_fma_f64 v[25:26], -v[43:44], v[35:36], 1.0
	v_add_f64 v[45:46], v[41:42], v[23:24]
	v_fma_f64 v[25:26], v[35:36], v[25:26], v[35:36]
	s_delay_alu instid0(VALU_DEP_2) | instskip(SKIP_1) | instid1(VALU_DEP_3)
	v_add_f64 v[35:36], v[33:34], -v[45:46]
	v_add_f64 v[41:42], v[45:46], -v[41:42]
	v_fma_f64 v[47:48], -v[43:44], v[25:26], 1.0
	s_delay_alu instid0(VALU_DEP_3) | instskip(NEXT) | instid1(VALU_DEP_3)
	v_add_f64 v[33:34], v[33:34], -v[35:36]
	v_add_f64 v[23:24], v[41:42], -v[23:24]
	s_delay_alu instid0(VALU_DEP_3) | instskip(NEXT) | instid1(VALU_DEP_3)
	v_fma_f64 v[25:26], v[25:26], v[47:48], v[25:26]
	v_add_f64 v[33:34], v[33:34], -v[45:46]
	s_delay_alu instid0(VALU_DEP_2) | instskip(NEXT) | instid1(VALU_DEP_2)
	v_mul_f64 v[41:42], v[49:50], v[25:26]
	v_add_f64 v[23:24], v[23:24], v[33:34]
	s_delay_alu instid0(VALU_DEP_2) | instskip(NEXT) | instid1(VALU_DEP_2)
	v_fma_f64 v[33:34], -v[43:44], v[41:42], v[49:50]
	v_add_f64 v[23:24], v[35:36], v[23:24]
	s_delay_alu instid0(VALU_DEP_2)
	v_div_fmas_f64 v[25:26], v[33:34], v[25:26], v[41:42]
	v_subrev_co_ci_u32_e64 v18, vcc_lo, 0, v18, s3
	v_cmp_eq_f64_e64 s3, 0, v[7:8]
	v_cmp_gt_i32_e32 vcc_lo, 0, v6
	v_mul_f64 v[23:24], v[29:30], v[23:24]
	v_div_fixup_f64 v[25:26], v[25:26], v[39:40], v[31:32]
	s_delay_alu instid0(VALU_DEP_2) | instskip(NEXT) | instid1(VALU_DEP_2)
	v_add_f64 v[29:30], v[37:38], v[23:24]
	v_mul_f64 v[31:32], v[25:26], v[25:26]
	s_delay_alu instid0(VALU_DEP_2) | instskip(NEXT) | instid1(VALU_DEP_2)
	v_mul_f64 v[33:34], v[29:30], v[29:30]
	v_fma_f64 v[35:36], v[31:32], s[44:45], s[42:43]
	s_delay_alu instid0(VALU_DEP_2) | instskip(SKIP_1) | instid1(VALU_DEP_3)
	v_fma_f64 v[39:40], v[33:34], s[26:27], s[24:25]
	v_mul_f64 v[41:42], v[29:30], v[33:34]
	v_fma_f64 v[35:36], v[31:32], v[35:36], s[46:47]
	s_delay_alu instid0(VALU_DEP_3) | instskip(NEXT) | instid1(VALU_DEP_2)
	v_fma_f64 v[39:40], v[33:34], v[39:40], s[28:29]
	v_fma_f64 v[35:36], v[31:32], v[35:36], s[48:49]
	s_delay_alu instid0(VALU_DEP_2) | instskip(NEXT) | instid1(VALU_DEP_2)
	v_fma_f64 v[39:40], v[33:34], v[39:40], s[30:31]
	v_fma_f64 v[35:36], v[31:32], v[35:36], s[50:51]
	s_delay_alu instid0(VALU_DEP_2) | instskip(NEXT) | instid1(VALU_DEP_2)
	;; [unrolled: 3-line block ×3, first 2 shown]
	v_fma_f64 v[39:40], v[33:34], v[39:40], s[36:37]
	v_fma_f64 v[35:36], v[31:32], v[35:36], s[54:55]
	s_delay_alu instid0(VALU_DEP_2) | instskip(SKIP_2) | instid1(VALU_DEP_4)
	v_fma_f64 v[33:34], v[33:34], v[39:40], s[92:93]
	v_ldexp_f64 v[39:40], v[29:30], 1
	v_add_f64 v[29:30], v[29:30], -v[37:38]
	v_fma_f64 v[35:36], v[31:32], v[35:36], s[56:57]
	s_delay_alu instid0(VALU_DEP_4) | instskip(SKIP_1) | instid1(VALU_DEP_4)
	v_mul_f64 v[33:34], v[41:42], v[33:34]
	v_cvt_f64_i32_e32 v[41:42], v18
	v_add_f64 v[23:24], v[23:24], -v[29:30]
	v_ashrrev_i32_e32 v18, 31, v6
	v_fma_f64 v[35:36], v[31:32], v[35:36], s[58:59]
	v_add_f64 v[37:38], v[39:40], v[33:34]
	v_mul_f64 v[43:44], v[41:42], s[38:39]
	v_ldexp_f64 v[23:24], v[23:24], 1
	s_delay_alu instid0(VALU_DEP_4) | instskip(NEXT) | instid1(VALU_DEP_4)
	v_fma_f64 v[35:36], v[31:32], v[35:36], s[60:61]
	v_add_f64 v[29:30], v[37:38], -v[39:40]
	s_delay_alu instid0(VALU_DEP_4) | instskip(NEXT) | instid1(VALU_DEP_3)
	v_fma_f64 v[39:40], v[41:42], s[38:39], -v[43:44]
	v_fma_f64 v[35:36], v[31:32], v[35:36], s[62:63]
	s_delay_alu instid0(VALU_DEP_3) | instskip(NEXT) | instid1(VALU_DEP_2)
	v_add_f64 v[29:30], v[33:34], -v[29:30]
	v_fma_f64 v[33:34], v[31:32], v[35:36], s[64:65]
	s_delay_alu instid0(VALU_DEP_4) | instskip(NEXT) | instid1(VALU_DEP_3)
	v_fma_f64 v[35:36], v[41:42], s[40:41], v[39:40]
	v_add_f64 v[23:24], v[23:24], v[29:30]
	s_delay_alu instid0(VALU_DEP_3) | instskip(NEXT) | instid1(VALU_DEP_3)
	v_fma_f64 v[29:30], v[31:32], v[33:34], s[66:67]
	v_add_f64 v[33:34], v[43:44], v[35:36]
	s_delay_alu instid0(VALU_DEP_3) | instskip(NEXT) | instid1(VALU_DEP_3)
	v_add_f64 v[39:40], v[37:38], v[23:24]
	v_fma_f64 v[29:30], v[31:32], v[29:30], s[68:69]
	s_delay_alu instid0(VALU_DEP_3) | instskip(NEXT) | instid1(VALU_DEP_3)
	v_add_f64 v[43:44], v[33:34], -v[43:44]
	v_add_f64 v[41:42], v[33:34], v[39:40]
	v_add_f64 v[37:38], v[39:40], -v[37:38]
	s_delay_alu instid0(VALU_DEP_4) | instskip(NEXT) | instid1(VALU_DEP_4)
	v_fma_f64 v[29:30], v[31:32], v[29:30], s[70:71]
	v_add_f64 v[35:36], v[35:36], -v[43:44]
	s_delay_alu instid0(VALU_DEP_4) | instskip(NEXT) | instid1(VALU_DEP_4)
	v_add_f64 v[45:46], v[41:42], -v[33:34]
	v_add_f64 v[23:24], v[23:24], -v[37:38]
	s_delay_alu instid0(VALU_DEP_4) | instskip(NEXT) | instid1(VALU_DEP_3)
	v_fma_f64 v[29:30], v[31:32], v[29:30], s[72:73]
	v_add_f64 v[47:48], v[41:42], -v[45:46]
	v_add_f64 v[37:38], v[39:40], -v[45:46]
	s_delay_alu instid0(VALU_DEP_4) | instskip(NEXT) | instid1(VALU_DEP_4)
	v_add_f64 v[39:40], v[35:36], v[23:24]
	v_fma_f64 v[29:30], v[31:32], v[29:30], s[74:75]
	s_delay_alu instid0(VALU_DEP_4) | instskip(NEXT) | instid1(VALU_DEP_2)
	v_add_f64 v[33:34], v[33:34], -v[47:48]
	v_fma_f64 v[29:30], v[31:32], v[29:30], s[76:77]
	s_delay_alu instid0(VALU_DEP_2) | instskip(SKIP_1) | instid1(VALU_DEP_3)
	v_add_f64 v[33:34], v[37:38], v[33:34]
	v_add_f64 v[37:38], v[39:40], -v[35:36]
	v_fma_f64 v[29:30], v[31:32], v[29:30], s[78:79]
	s_delay_alu instid0(VALU_DEP_3) | instskip(NEXT) | instid1(VALU_DEP_3)
	v_add_f64 v[33:34], v[39:40], v[33:34]
	v_add_f64 v[39:40], v[39:40], -v[37:38]
	v_add_f64 v[23:24], v[23:24], -v[37:38]
	s_delay_alu instid0(VALU_DEP_4) | instskip(NEXT) | instid1(VALU_DEP_4)
	v_fma_f64 v[29:30], v[31:32], v[29:30], s[80:81]
	v_add_f64 v[43:44], v[41:42], v[33:34]
	s_delay_alu instid0(VALU_DEP_2) | instskip(SKIP_1) | instid1(VALU_DEP_3)
	v_mul_f64 v[29:30], v[31:32], v[29:30]
	v_add_f64 v[31:32], v[35:36], -v[39:40]
	v_add_f64 v[35:36], v[43:44], -v[41:42]
	s_delay_alu instid0(VALU_DEP_3) | instskip(NEXT) | instid1(VALU_DEP_3)
	v_fma_f64 v[25:26], v[25:26], v[29:30], v[25:26]
	v_add_f64 v[23:24], v[23:24], v[31:32]
	s_delay_alu instid0(VALU_DEP_3) | instskip(NEXT) | instid1(VALU_DEP_3)
	v_add_f64 v[29:30], v[33:34], -v[35:36]
	v_add_f64 v[31:32], -v[25:26], s[82:83]
	s_delay_alu instid0(VALU_DEP_2) | instskip(NEXT) | instid1(VALU_DEP_2)
	v_add_f64 v[23:24], v[23:24], v[29:30]
	v_cndmask_b32_e64 v26, v26, v32, s2
	s_delay_alu instid0(VALU_DEP_3) | instskip(SKIP_2) | instid1(VALU_DEP_3)
	v_cndmask_b32_e64 v25, v25, v31, s2
	v_dual_cndmask_b32 v31, 0x54442d18, v55 :: v_dual_and_b32 v32, 0x54442d18, v18
	v_and_b32_e32 v18, 0x400921fb, v18
	v_add_f64 v[29:30], -v[25:26], s[12:13]
	v_add_f64 v[23:24], v[43:44], v[23:24]
	s_delay_alu instid0(VALU_DEP_2) | instskip(NEXT) | instid1(VALU_DEP_1)
	v_cndmask_b32_e32 v25, v25, v29, vcc_lo
	v_cndmask_b32_e64 v25, v25, v32, s3
	s_delay_alu instid0(VALU_DEP_3) | instskip(SKIP_4) | instid1(VALU_DEP_3)
	v_mul_f64 v[5:6], v[23:24], 0.5
	v_cndmask_b32_e32 v23, 0x3fe921fb, v56, vcc_lo
	v_cndmask_b32_e32 v24, v26, v30, vcc_lo
	s_and_b32 vcc_lo, s7, s6
                                        ; implicit-def: $vgpr29_vgpr30
	v_cndmask_b32_e32 v25, v25, v31, vcc_lo
	v_bfi_b32 v23, 0x7fffffff, v23, v8
	s_delay_alu instid0(VALU_DEP_3) | instskip(NEXT) | instid1(VALU_DEP_1)
	v_cndmask_b32_e64 v18, v24, v18, s3
                                        ; implicit-def: $vgpr31_vgpr32
	v_cndmask_b32_e32 v26, v18, v23, vcc_lo
	v_cndmask_b32_e64 v24, 0xfff00000, v6, s4
	v_cndmask_b32_e64 v23, 0, v5, s4
.LBB192_14:                             ;   in Loop: Header=BB192_5 Depth=1
	s_and_not1_saveexec_b32 vcc_hi, s5
	s_cbranch_execz .LBB192_18
; %bb.15:                               ;   in Loop: Header=BB192_5 Depth=1
	v_dual_mov_b32 v25, v17 :: v_dual_and_b32 v18, 0x7ffffff8, v32
	v_and_b32_e32 v26, 0x7ffffff8, v30
	s_mov_b32 s93, 0
	s_delay_alu instid0(VALU_DEP_2) | instskip(SKIP_1) | instid1(VALU_DEP_3)
	v_add_f64 v[23:24], v[31:32], -v[17:18]
	v_mov_b32_e32 v31, v17
	v_add_f64 v[27:28], v[29:30], -v[25:26]
	v_mov_b32_e32 v33, v17
	v_add_f64 v[35:36], v[17:18], v[17:18]
	v_add_f64 v[43:44], v[25:26], v[25:26]
	v_mul_f64 v[29:30], v[25:26], v[25:26]
	v_and_b32_e32 v32, -8, v24
	v_and_b32_e32 v34, -8, v28
	s_delay_alu instid0(VALU_DEP_2) | instskip(SKIP_1) | instid1(VALU_DEP_3)
	v_add_f64 v[45:46], v[23:24], -v[31:32]
	v_add_f64 v[49:50], v[31:32], v[31:32]
	v_add_f64 v[47:48], v[27:28], -v[33:34]
	v_add_f64 v[51:52], v[33:34], v[33:34]
	v_mul_f64 v[23:24], v[17:18], v[17:18]
	v_mul_f64 v[41:42], v[35:36], v[31:32]
	;; [unrolled: 1-line block ×11, first 2 shown]
.LBB192_16:                             ;   Parent Loop BB192_5 Depth=1
                                        ; =>  This Inner Loop Header: Depth=2
	v_cmp_nlt_f64_e32 vcc_lo, v[23:24], v[29:30]
	v_dual_cndmask_b32 v48, v24, v30 :: v_dual_cndmask_b32 v47, v23, v29
	v_dual_cndmask_b32 v24, v30, v24 :: v_dual_cndmask_b32 v23, v29, v23
	s_delay_alu instid0(VALU_DEP_2) | instskip(NEXT) | instid1(VALU_DEP_1)
	v_cmp_nlt_f64_e64 s3, v[47:48], v[41:42]
	v_cndmask_b32_e64 v50, v48, v42, s3
	v_cndmask_b32_e64 v49, v47, v41, s3
	;; [unrolled: 1-line block ×4, first 2 shown]
	s_and_b32 s3, vcc_lo, s3
	s_delay_alu instid0(VALU_DEP_3) | instskip(NEXT) | instid1(VALU_DEP_1)
	v_cmp_nlt_f64_e64 s4, v[49:50], v[27:28]
	v_cndmask_b32_e64 v48, v50, v28, s4
	v_cndmask_b32_e64 v47, v49, v27, s4
	;; [unrolled: 1-line block ×4, first 2 shown]
	s_delay_alu instid0(VALU_DEP_3) | instskip(NEXT) | instid1(VALU_DEP_1)
	v_cmp_nlt_f64_e64 s5, v[47:48], v[39:40]
	v_cndmask_b32_e64 v50, v48, v40, s5
	v_cndmask_b32_e64 v49, v47, v39, s5
	;; [unrolled: 1-line block ×4, first 2 shown]
	s_and_b32 s4, s4, s5
	s_delay_alu instid0(VALU_DEP_3) | instskip(NEXT) | instid1(VALU_DEP_1)
	v_cmp_nlt_f64_e64 s6, v[49:50], v[25:26]
	v_cndmask_b32_e64 v48, v50, v26, s6
	v_cndmask_b32_e64 v47, v49, v25, s6
	;; [unrolled: 1-line block ×4, first 2 shown]
	s_delay_alu instid0(VALU_DEP_3) | instskip(NEXT) | instid1(VALU_DEP_1)
	v_cmp_nlt_f64_e64 s7, v[47:48], v[37:38]
	v_cndmask_b32_e64 v50, v48, v38, s7
	v_cndmask_b32_e64 v49, v47, v37, s7
	v_cndmask_b32_e64 v26, v38, v48, s7
	v_cndmask_b32_e64 v25, v37, v47, s7
	s_and_b32 s5, s6, s7
	s_delay_alu instid0(VALU_DEP_3) | instskip(NEXT) | instid1(VALU_DEP_1)
	v_cmp_nlt_f64_e64 s8, v[49:50], v[35:36]
	v_cndmask_b32_e64 v48, v50, v36, s8
	v_cndmask_b32_e64 v47, v49, v35, s8
	v_cndmask_b32_e64 v38, v36, v50, s8
	v_cndmask_b32_e64 v37, v35, v49, s8
	s_and_b32 s5, s5, s8
	;; [unrolled: 7-line block ×4, first 2 shown]
	s_delay_alu instid0(VALU_DEP_3) | instskip(NEXT) | instid1(VALU_DEP_1)
	v_cmp_nlt_f64_e64 s11, v[47:48], v[43:44]
	v_cndmask_b32_e64 v50, v48, v44, s11
	v_cndmask_b32_e64 v49, v47, v43, s11
	s_and_b32 s5, s5, s11
	v_cndmask_b32_e64 v32, v44, v48, s11
	v_cndmask_b32_e64 v31, v43, v47, s11
	s_delay_alu instid0(VALU_DEP_3) | instskip(NEXT) | instid1(VALU_DEP_1)
	v_cmp_nlt_f64_e64 s12, v[49:50], v[45:46]
	v_cndmask_b32_e64 v48, v50, v46, s12
	v_cndmask_b32_e64 v47, v49, v45, s12
	s_and_b32 s5, s5, s12
	v_cndmask_b32_e64 v44, v46, v50, s12
	s_and_b32 s4, s5, s4
	;; [unrolled: 2-line block ×3, first 2 shown]
	v_dual_mov_b32 v45, v47 :: v_dual_mov_b32 v46, v48
	s_and_b32 s3, exec_lo, s3
	s_delay_alu instid0(SALU_CYCLE_1) | instskip(NEXT) | instid1(SALU_CYCLE_1)
	s_or_b32 s93, s3, s93
	s_and_not1_b32 exec_lo, exec_lo, s93
	s_cbranch_execnz .LBB192_16
; %bb.17:                               ;   in Loop: Header=BB192_5 Depth=1
	s_or_b32 exec_lo, exec_lo, s93
	v_add_f64 v[23:24], v[23:24], -1.0
	s_mov_b32 s93, s23
	s_mov_b32 s12, s82
	v_cmp_gt_i32_e64 s3, 0, v6
	v_cmp_class_f64_e64 s5, v[5:6], 0x204
	v_cmp_class_f64_e64 s4, v[7:8], 0x204
	s_delay_alu instid0(VALU_DEP_4) | instskip(NEXT) | instid1(VALU_DEP_1)
	v_add_f64 v[23:24], v[23:24], v[29:30]
	v_add_f64 v[23:24], v[23:24], v[41:42]
	s_delay_alu instid0(VALU_DEP_1) | instskip(NEXT) | instid1(VALU_DEP_1)
	v_add_f64 v[23:24], v[23:24], v[27:28]
	v_add_f64 v[23:24], v[23:24], v[39:40]
	s_delay_alu instid0(VALU_DEP_1) | instskip(NEXT) | instid1(VALU_DEP_1)
	;; [unrolled: 3-line block ×5, first 2 shown]
	v_add_f64 v[24:25], v[47:48], v[23:24]
	v_add_f64 v[26:27], v[24:25], 1.0
	s_delay_alu instid0(VALU_DEP_1) | instskip(SKIP_2) | instid1(VALU_DEP_3)
	v_frexp_mant_f64_e32 v[28:29], v[26:27]
	v_frexp_exp_i32_f64_e32 v18, v[26:27]
	v_add_f64 v[30:31], v[26:27], -1.0
	v_cmp_gt_f64_e32 vcc_lo, s[22:23], v[28:29]
	s_delay_alu instid0(VALU_DEP_2) | instskip(SKIP_2) | instid1(VALU_DEP_3)
	v_add_f64 v[28:29], v[30:31], -v[26:27]
	v_add_f64 v[30:31], v[24:25], -v[30:31]
	v_subrev_co_ci_u32_e32 v18, vcc_lo, 0, v18, vcc_lo
	v_add_f64 v[28:29], v[28:29], 1.0
	s_delay_alu instid0(VALU_DEP_2) | instskip(NEXT) | instid1(VALU_DEP_1)
	v_sub_nc_u32_e32 v23, 0, v18
	v_ldexp_f64 v[26:27], v[26:27], v23
	s_delay_alu instid0(VALU_DEP_3) | instskip(NEXT) | instid1(VALU_DEP_2)
	v_add_f64 v[28:29], v[30:31], v[28:29]
	v_add_f64 v[32:33], v[26:27], 1.0
	v_add_f64 v[38:39], v[26:27], -1.0
	s_delay_alu instid0(VALU_DEP_3) | instskip(NEXT) | instid1(VALU_DEP_3)
	v_ldexp_f64 v[28:29], v[28:29], v23
	v_add_f64 v[30:31], v[32:33], -1.0
	s_delay_alu instid0(VALU_DEP_3) | instskip(NEXT) | instid1(VALU_DEP_2)
	v_add_f64 v[40:41], v[38:39], 1.0
	v_add_f64 v[30:31], v[26:27], -v[30:31]
	s_delay_alu instid0(VALU_DEP_2) | instskip(NEXT) | instid1(VALU_DEP_2)
	v_add_f64 v[26:27], v[26:27], -v[40:41]
	v_add_f64 v[30:31], v[28:29], v[30:31]
	s_delay_alu instid0(VALU_DEP_2) | instskip(NEXT) | instid1(VALU_DEP_2)
	v_add_f64 v[26:27], v[28:29], v[26:27]
	v_add_f64 v[34:35], v[32:33], v[30:31]
	s_delay_alu instid0(VALU_DEP_2) | instskip(NEXT) | instid1(VALU_DEP_2)
	v_add_f64 v[40:41], v[38:39], v[26:27]
	v_rcp_f64_e32 v[36:37], v[34:35]
	v_add_f64 v[32:33], v[34:35], -v[32:33]
	s_delay_alu instid0(VALU_DEP_2) | instskip(NEXT) | instid1(VALU_DEP_2)
	v_add_f64 v[38:39], v[40:41], -v[38:39]
	v_add_f64 v[30:31], v[30:31], -v[32:33]
	s_waitcnt_depctr 0xfff
	v_fma_f64 v[42:43], -v[34:35], v[36:37], 1.0
	v_add_f64 v[26:27], v[26:27], -v[38:39]
	s_delay_alu instid0(VALU_DEP_2) | instskip(NEXT) | instid1(VALU_DEP_1)
	v_fma_f64 v[36:37], v[42:43], v[36:37], v[36:37]
	v_fma_f64 v[28:29], -v[34:35], v[36:37], 1.0
	s_delay_alu instid0(VALU_DEP_1) | instskip(NEXT) | instid1(VALU_DEP_1)
	v_fma_f64 v[28:29], v[28:29], v[36:37], v[36:37]
	v_mul_f64 v[36:37], v[40:41], v[28:29]
	s_delay_alu instid0(VALU_DEP_1) | instskip(NEXT) | instid1(VALU_DEP_1)
	v_mul_f64 v[42:43], v[34:35], v[36:37]
	v_fma_f64 v[32:33], v[36:37], v[34:35], -v[42:43]
	s_delay_alu instid0(VALU_DEP_1) | instskip(NEXT) | instid1(VALU_DEP_1)
	v_fma_f64 v[32:33], v[36:37], v[30:31], v[32:33]
	v_add_f64 v[44:45], v[42:43], v[32:33]
	s_delay_alu instid0(VALU_DEP_1) | instskip(SKIP_2) | instid1(VALU_DEP_3)
	v_add_f64 v[46:47], v[40:41], -v[44:45]
	v_add_f64 v[38:39], v[44:45], -v[42:43]
	v_max_f64 v[42:43], |v[7:8]|, |v[7:8]|
	v_add_f64 v[40:41], v[40:41], -v[46:47]
	s_delay_alu instid0(VALU_DEP_3) | instskip(NEXT) | instid1(VALU_DEP_2)
	v_add_f64 v[32:33], v[38:39], -v[32:33]
	v_add_f64 v[40:41], v[40:41], -v[44:45]
	v_max_f64 v[44:45], |v[5:6]|, |v[5:6]|
	v_cndmask_b32_e64 v5, 0x3fe921fb, v56, s3
	s_delay_alu instid0(VALU_DEP_1) | instskip(NEXT) | instid1(VALU_DEP_4)
	v_bfi_b32 v5, 0x7fffffff, v5, v8
	v_add_f64 v[26:27], v[26:27], v[40:41]
	s_delay_alu instid0(VALU_DEP_4) | instskip(SKIP_1) | instid1(VALU_DEP_3)
	v_max_f64 v[48:49], v[44:45], v[42:43]
	v_min_f64 v[42:43], v[44:45], v[42:43]
	v_add_f64 v[26:27], v[32:33], v[26:27]
	s_delay_alu instid0(VALU_DEP_1) | instskip(NEXT) | instid1(VALU_DEP_1)
	v_add_f64 v[32:33], v[46:47], v[26:27]
	v_mul_f64 v[38:39], v[28:29], v[32:33]
	v_add_f64 v[46:47], v[46:47], -v[32:33]
	s_delay_alu instid0(VALU_DEP_2) | instskip(NEXT) | instid1(VALU_DEP_2)
	v_mul_f64 v[40:41], v[34:35], v[38:39]
	v_add_f64 v[26:27], v[26:27], v[46:47]
	s_delay_alu instid0(VALU_DEP_2) | instskip(NEXT) | instid1(VALU_DEP_1)
	v_fma_f64 v[34:35], v[38:39], v[34:35], -v[40:41]
	v_fma_f64 v[30:31], v[38:39], v[30:31], v[34:35]
	v_div_scale_f64 v[34:35], null, v[48:49], v[48:49], v[42:43]
	s_delay_alu instid0(VALU_DEP_2) | instskip(NEXT) | instid1(VALU_DEP_2)
	v_add_f64 v[44:45], v[40:41], v[30:31]
	v_rcp_f64_e32 v[50:51], v[34:35]
	s_delay_alu instid0(VALU_DEP_1)
	v_add_f64 v[52:53], v[32:33], -v[44:45]
	v_add_f64 v[40:41], v[44:45], -v[40:41]
	s_waitcnt_depctr 0xfff
	v_fma_f64 v[57:58], -v[34:35], v[50:51], 1.0
	v_add_f64 v[32:33], v[32:33], -v[52:53]
	v_add_f64 v[30:31], v[40:41], -v[30:31]
	s_delay_alu instid0(VALU_DEP_3) | instskip(NEXT) | instid1(VALU_DEP_3)
	v_fma_f64 v[50:51], v[50:51], v[57:58], v[50:51]
	v_add_f64 v[32:33], v[32:33], -v[44:45]
	s_delay_alu instid0(VALU_DEP_2) | instskip(NEXT) | instid1(VALU_DEP_2)
	v_fma_f64 v[44:45], -v[34:35], v[50:51], 1.0
	v_add_f64 v[26:27], v[26:27], v[32:33]
	v_div_scale_f64 v[32:33], vcc_lo, v[42:43], v[48:49], v[42:43]
	s_delay_alu instid0(VALU_DEP_3) | instskip(SKIP_1) | instid1(VALU_DEP_4)
	v_fma_f64 v[40:41], v[50:51], v[44:45], v[50:51]
	v_add_f64 v[44:45], v[36:37], v[38:39]
	v_add_f64 v[26:27], v[30:31], v[26:27]
	s_delay_alu instid0(VALU_DEP_3) | instskip(NEXT) | instid1(VALU_DEP_3)
	v_mul_f64 v[30:31], v[32:33], v[40:41]
	v_add_f64 v[36:37], v[44:45], -v[36:37]
	s_delay_alu instid0(VALU_DEP_3) | instskip(NEXT) | instid1(VALU_DEP_3)
	v_add_f64 v[26:27], v[52:53], v[26:27]
	v_fma_f64 v[32:33], -v[34:35], v[30:31], v[32:33]
	s_delay_alu instid0(VALU_DEP_3) | instskip(NEXT) | instid1(VALU_DEP_3)
	v_add_f64 v[34:35], v[38:39], -v[36:37]
	v_mul_f64 v[26:27], v[28:29], v[26:27]
	s_delay_alu instid0(VALU_DEP_3) | instskip(SKIP_1) | instid1(VALU_DEP_3)
	v_div_fmas_f64 v[28:29], v[32:33], v[40:41], v[30:31]
	v_cmp_eq_f64_e32 vcc_lo, 0x7ff00000, v[24:25]
	v_add_f64 v[26:27], v[34:35], v[26:27]
	s_delay_alu instid0(VALU_DEP_3) | instskip(NEXT) | instid1(VALU_DEP_2)
	v_div_fixup_f64 v[28:29], v[28:29], v[48:49], v[42:43]
	v_add_f64 v[30:31], v[44:45], v[26:27]
	s_delay_alu instid0(VALU_DEP_2) | instskip(NEXT) | instid1(VALU_DEP_2)
	v_mul_f64 v[32:33], v[28:29], v[28:29]
	v_mul_f64 v[34:35], v[30:31], v[30:31]
	s_delay_alu instid0(VALU_DEP_2) | instskip(NEXT) | instid1(VALU_DEP_2)
	v_fma_f64 v[36:37], v[32:33], s[44:45], s[42:43]
	v_fma_f64 v[38:39], v[34:35], s[26:27], s[24:25]
	v_mul_f64 v[40:41], v[30:31], v[34:35]
	s_delay_alu instid0(VALU_DEP_3) | instskip(NEXT) | instid1(VALU_DEP_3)
	v_fma_f64 v[36:37], v[32:33], v[36:37], s[46:47]
	v_fma_f64 v[38:39], v[34:35], v[38:39], s[28:29]
	s_delay_alu instid0(VALU_DEP_2) | instskip(NEXT) | instid1(VALU_DEP_2)
	v_fma_f64 v[36:37], v[32:33], v[36:37], s[48:49]
	v_fma_f64 v[38:39], v[34:35], v[38:39], s[30:31]
	s_delay_alu instid0(VALU_DEP_2) | instskip(NEXT) | instid1(VALU_DEP_2)
	;; [unrolled: 3-line block ×4, first 2 shown]
	v_fma_f64 v[36:37], v[32:33], v[36:37], s[54:55]
	v_fma_f64 v[34:35], v[34:35], v[38:39], s[92:93]
	v_ldexp_f64 v[38:39], v[30:31], 1
	v_add_f64 v[30:31], v[30:31], -v[44:45]
	s_delay_alu instid0(VALU_DEP_4) | instskip(NEXT) | instid1(VALU_DEP_4)
	v_fma_f64 v[36:37], v[32:33], v[36:37], s[56:57]
	v_mul_f64 v[34:35], v[40:41], v[34:35]
	v_cvt_f64_i32_e32 v[40:41], v18
	s_delay_alu instid0(VALU_DEP_4) | instskip(NEXT) | instid1(VALU_DEP_4)
	v_add_f64 v[26:27], v[26:27], -v[30:31]
	v_fma_f64 v[36:37], v[32:33], v[36:37], s[58:59]
	v_ashrrev_i32_e32 v18, 31, v6
	s_delay_alu instid0(VALU_DEP_1) | instskip(SKIP_4) | instid1(VALU_DEP_4)
	v_and_b32_e32 v6, 0x400921fb, v18
	v_add_f64 v[42:43], v[38:39], v[34:35]
	v_mul_f64 v[44:45], v[40:41], s[38:39]
	v_ldexp_f64 v[26:27], v[26:27], 1
	v_fma_f64 v[36:37], v[32:33], v[36:37], s[60:61]
	v_add_f64 v[30:31], v[42:43], -v[38:39]
	s_delay_alu instid0(VALU_DEP_4) | instskip(NEXT) | instid1(VALU_DEP_3)
	v_fma_f64 v[38:39], v[40:41], s[38:39], -v[44:45]
	v_fma_f64 v[36:37], v[32:33], v[36:37], s[62:63]
	s_delay_alu instid0(VALU_DEP_3) | instskip(NEXT) | instid1(VALU_DEP_2)
	v_add_f64 v[30:31], v[34:35], -v[30:31]
	v_fma_f64 v[34:35], v[32:33], v[36:37], s[64:65]
	s_delay_alu instid0(VALU_DEP_4) | instskip(NEXT) | instid1(VALU_DEP_3)
	v_fma_f64 v[36:37], v[40:41], s[40:41], v[38:39]
	v_add_f64 v[26:27], v[26:27], v[30:31]
	s_delay_alu instid0(VALU_DEP_3) | instskip(NEXT) | instid1(VALU_DEP_3)
	v_fma_f64 v[30:31], v[32:33], v[34:35], s[66:67]
	v_add_f64 v[34:35], v[44:45], v[36:37]
	s_delay_alu instid0(VALU_DEP_3) | instskip(NEXT) | instid1(VALU_DEP_3)
	v_add_f64 v[38:39], v[42:43], v[26:27]
	v_fma_f64 v[30:31], v[32:33], v[30:31], s[68:69]
	s_delay_alu instid0(VALU_DEP_3) | instskip(NEXT) | instid1(VALU_DEP_3)
	v_add_f64 v[44:45], v[34:35], -v[44:45]
	v_add_f64 v[40:41], v[34:35], v[38:39]
	v_add_f64 v[42:43], v[38:39], -v[42:43]
	s_delay_alu instid0(VALU_DEP_4) | instskip(NEXT) | instid1(VALU_DEP_4)
	v_fma_f64 v[30:31], v[32:33], v[30:31], s[70:71]
	v_add_f64 v[36:37], v[36:37], -v[44:45]
	s_delay_alu instid0(VALU_DEP_4) | instskip(NEXT) | instid1(VALU_DEP_4)
	v_add_f64 v[46:47], v[40:41], -v[34:35]
	v_add_f64 v[26:27], v[26:27], -v[42:43]
	s_delay_alu instid0(VALU_DEP_4) | instskip(NEXT) | instid1(VALU_DEP_3)
	v_fma_f64 v[30:31], v[32:33], v[30:31], s[72:73]
	v_add_f64 v[48:49], v[40:41], -v[46:47]
	v_add_f64 v[38:39], v[38:39], -v[46:47]
	s_delay_alu instid0(VALU_DEP_4) | instskip(NEXT) | instid1(VALU_DEP_4)
	v_add_f64 v[42:43], v[36:37], v[26:27]
	v_fma_f64 v[30:31], v[32:33], v[30:31], s[74:75]
	s_delay_alu instid0(VALU_DEP_4) | instskip(NEXT) | instid1(VALU_DEP_2)
	v_add_f64 v[34:35], v[34:35], -v[48:49]
	v_fma_f64 v[30:31], v[32:33], v[30:31], s[76:77]
	s_delay_alu instid0(VALU_DEP_2) | instskip(SKIP_1) | instid1(VALU_DEP_3)
	v_add_f64 v[34:35], v[38:39], v[34:35]
	v_add_f64 v[38:39], v[42:43], -v[36:37]
	v_fma_f64 v[30:31], v[32:33], v[30:31], s[78:79]
	s_delay_alu instid0(VALU_DEP_3) | instskip(NEXT) | instid1(VALU_DEP_3)
	v_add_f64 v[34:35], v[42:43], v[34:35]
	v_add_f64 v[42:43], v[42:43], -v[38:39]
	v_add_f64 v[26:27], v[26:27], -v[38:39]
	s_delay_alu instid0(VALU_DEP_4) | instskip(NEXT) | instid1(VALU_DEP_4)
	v_fma_f64 v[30:31], v[32:33], v[30:31], s[80:81]
	v_add_f64 v[44:45], v[40:41], v[34:35]
	s_delay_alu instid0(VALU_DEP_2) | instskip(SKIP_1) | instid1(VALU_DEP_3)
	v_mul_f64 v[30:31], v[32:33], v[30:31]
	v_add_f64 v[32:33], v[36:37], -v[42:43]
	v_add_f64 v[36:37], v[44:45], -v[40:41]
	s_delay_alu instid0(VALU_DEP_3) | instskip(NEXT) | instid1(VALU_DEP_3)
	v_fma_f64 v[28:29], v[28:29], v[30:31], v[28:29]
	v_add_f64 v[26:27], v[26:27], v[32:33]
	s_delay_alu instid0(VALU_DEP_3) | instskip(NEXT) | instid1(VALU_DEP_3)
	v_add_f64 v[30:31], v[34:35], -v[36:37]
	v_add_f64 v[32:33], -v[28:29], s[82:83]
	s_delay_alu instid0(VALU_DEP_2) | instskip(NEXT) | instid1(VALU_DEP_2)
	v_add_f64 v[26:27], v[26:27], v[30:31]
	v_cndmask_b32_e64 v29, v29, v33, s2
	s_delay_alu instid0(VALU_DEP_3) | instskip(SKIP_1) | instid1(VALU_DEP_2)
	v_cndmask_b32_e64 v28, v28, v32, s2
	v_cndmask_b32_e64 v32, 0x54442d18, v55, s3
	v_add_f64 v[30:31], -v[28:29], s[12:13]
	v_add_f64 v[26:27], v[44:45], v[26:27]
	v_and_b32_e32 v23, 0x54442d18, v18
	s_delay_alu instid0(VALU_DEP_3) | instskip(NEXT) | instid1(VALU_DEP_4)
	v_cndmask_b32_e64 v30, v28, v30, s3
	v_cndmask_b32_e64 v18, v29, v31, s3
	v_cmp_nge_f64_e64 s3, -1.0, v[24:25]
	v_dual_cndmask_b32 v26, v26, v24 :: v_dual_cndmask_b32 v27, v27, v25
	v_cmp_eq_f64_e32 vcc_lo, 0, v[7:8]
	s_delay_alu instid0(VALU_DEP_2) | instskip(SKIP_3) | instid1(VALU_DEP_4)
	v_mul_f64 v[27:28], v[26:27], 0.5
	v_cndmask_b32_e32 v29, v30, v23, vcc_lo
	v_cndmask_b32_e32 v6, v18, v6, vcc_lo
	v_cmp_ngt_f64_e32 vcc_lo, -1.0, v[24:25]
	v_cndmask_b32_e64 v23, 0, v27, s3
	v_cmp_neq_f64_e64 s3, -1.0, v[24:25]
	v_cndmask_b32_e32 v18, 0x7ff80000, v28, vcc_lo
	s_and_b32 vcc_lo, s5, s4
	v_dual_cndmask_b32 v25, v29, v32 :: v_dual_cndmask_b32 v26, v6, v5
	s_delay_alu instid0(VALU_DEP_2)
	v_cndmask_b32_e64 v24, 0xfff00000, v18, s3
.LBB192_18:                             ;   in Loop: Header=BB192_5 Depth=1
	s_or_b32 exec_lo, exec_lo, vcc_hi
.LBB192_19:                             ;   in Loop: Header=BB192_5 Depth=1
	s_delay_alu instid0(SALU_CYCLE_1)
	s_or_b32 exec_lo, exec_lo, s104
.LBB192_20:                             ;   in Loop: Header=BB192_5 Depth=1
	s_and_not1_saveexec_b32 s5, s103
	s_cbranch_execz .LBB192_22
; %bb.21:                               ;   in Loop: Header=BB192_5 Depth=1
	v_max_f64 v[23:24], |v[7:8]|, |v[7:8]|
	v_max_f64 v[25:26], |v[5:6]|, |v[5:6]|
	v_cmp_class_f64_e64 s6, v[5:6], 0x204
	v_cmp_class_f64_e64 s7, v[7:8], 0x204
	s_mov_b32 s93, s23
	s_mov_b32 s12, s82
	v_cmp_eq_f64_e64 s4, 0, v[7:8]
	s_delay_alu instid0(VALU_DEP_4) | instskip(SKIP_1) | instid1(VALU_DEP_4)
	v_max_f64 v[27:28], v[25:26], v[23:24]
	v_min_f64 v[23:24], v[25:26], v[23:24]
	s_or_b32 s8, s6, s7
	s_delay_alu instid0(VALU_DEP_2) | instskip(NEXT) | instid1(VALU_DEP_1)
	v_frexp_exp_i32_f64_e32 v18, v[27:28]
	v_sub_nc_u32_e32 v31, 0, v18
	s_delay_alu instid0(VALU_DEP_1) | instskip(SKIP_1) | instid1(VALU_DEP_2)
	v_ldexp_f64 v[29:30], |v[7:8]|, v31
	v_ldexp_f64 v[31:32], |v[5:6]|, v31
	v_mul_f64 v[29:30], v[29:30], v[29:30]
	s_delay_alu instid0(VALU_DEP_1) | instskip(NEXT) | instid1(VALU_DEP_1)
	v_fma_f64 v[29:30], v[31:32], v[31:32], v[29:30]
	v_rsq_f64_e32 v[31:32], v[29:30]
	v_cmp_eq_f64_e32 vcc_lo, 0, v[29:30]
	s_waitcnt_depctr 0xfff
	v_mul_f64 v[33:34], v[29:30], v[31:32]
	v_mul_f64 v[31:32], v[31:32], 0.5
	s_delay_alu instid0(VALU_DEP_1) | instskip(NEXT) | instid1(VALU_DEP_1)
	v_fma_f64 v[35:36], -v[31:32], v[33:34], 0.5
	v_fma_f64 v[33:34], v[33:34], v[35:36], v[33:34]
	v_fma_f64 v[31:32], v[31:32], v[35:36], v[31:32]
	s_delay_alu instid0(VALU_DEP_2) | instskip(NEXT) | instid1(VALU_DEP_1)
	v_fma_f64 v[35:36], -v[33:34], v[33:34], v[29:30]
	v_fma_f64 v[31:32], v[35:36], v[31:32], v[33:34]
	s_delay_alu instid0(VALU_DEP_1) | instskip(SKIP_1) | instid1(VALU_DEP_2)
	v_dual_cndmask_b32 v30, v32, v30 :: v_dual_cndmask_b32 v29, v31, v29
	v_div_scale_f64 v[51:52], vcc_lo, v[23:24], v[27:28], v[23:24]
	v_ldexp_f64 v[29:30], v[29:30], v18
	s_delay_alu instid0(VALU_DEP_1) | instskip(NEXT) | instid1(VALU_DEP_2)
	v_cndmask_b32_e64 v32, v30, 0x7ff00000, s8
	v_cndmask_b32_e64 v31, v29, 0, s8
	s_delay_alu instid0(VALU_DEP_1) | instskip(SKIP_1) | instid1(VALU_DEP_2)
	v_frexp_mant_f64_e32 v[33:34], v[31:32]
	v_frexp_exp_i32_f64_e32 v5, v[31:32]
	v_cmp_gt_f64_e64 s3, s[22:23], v[33:34]
	s_delay_alu instid0(VALU_DEP_1) | instskip(NEXT) | instid1(VALU_DEP_1)
	v_cndmask_b32_e64 v18, 0x3ff00000, 2.0, s3
	v_mul_f64 v[33:34], v[33:34], v[17:18]
	s_delay_alu instid0(VALU_DEP_1) | instskip(SKIP_1) | instid1(VALU_DEP_2)
	v_add_f64 v[35:36], v[33:34], 1.0
	v_add_f64 v[41:42], v[33:34], -1.0
	v_rcp_f64_e32 v[37:38], v[35:36]
	v_add_f64 v[43:44], v[35:36], -1.0
	s_delay_alu instid0(VALU_DEP_1) | instskip(SKIP_2) | instid1(VALU_DEP_1)
	v_add_f64 v[33:34], v[33:34], -v[43:44]
	s_waitcnt_depctr 0xfff
	v_fma_f64 v[39:40], -v[35:36], v[37:38], 1.0
	v_fma_f64 v[37:38], v[39:40], v[37:38], v[37:38]
	s_delay_alu instid0(VALU_DEP_1) | instskip(NEXT) | instid1(VALU_DEP_1)
	v_fma_f64 v[39:40], -v[35:36], v[37:38], 1.0
	v_fma_f64 v[37:38], v[39:40], v[37:38], v[37:38]
	v_div_scale_f64 v[39:40], null, v[27:28], v[27:28], v[23:24]
	s_delay_alu instid0(VALU_DEP_2) | instskip(NEXT) | instid1(VALU_DEP_2)
	v_mul_f64 v[25:26], v[41:42], v[37:38]
	v_rcp_f64_e32 v[47:48], v[39:40]
	s_delay_alu instid0(VALU_DEP_1) | instskip(SKIP_3) | instid1(VALU_DEP_1)
	v_mul_f64 v[45:46], v[35:36], v[25:26]
	s_waitcnt_depctr 0xfff
	v_fma_f64 v[43:44], -v[39:40], v[47:48], 1.0
	v_fma_f64 v[35:36], v[25:26], v[35:36], -v[45:46]
	v_fma_f64 v[33:34], v[25:26], v[33:34], v[35:36]
	s_delay_alu instid0(VALU_DEP_3) | instskip(NEXT) | instid1(VALU_DEP_2)
	v_fma_f64 v[35:36], v[47:48], v[43:44], v[47:48]
	v_add_f64 v[43:44], v[45:46], v[33:34]
	s_delay_alu instid0(VALU_DEP_2) | instskip(NEXT) | instid1(VALU_DEP_2)
	v_fma_f64 v[47:48], -v[39:40], v[35:36], 1.0
	v_add_f64 v[49:50], v[41:42], -v[43:44]
	s_delay_alu instid0(VALU_DEP_2) | instskip(SKIP_1) | instid1(VALU_DEP_3)
	v_fma_f64 v[35:36], v[35:36], v[47:48], v[35:36]
	v_add_f64 v[45:46], v[43:44], -v[45:46]
	v_add_f64 v[41:42], v[41:42], -v[49:50]
	s_delay_alu instid0(VALU_DEP_3) | instskip(NEXT) | instid1(VALU_DEP_3)
	v_mul_f64 v[47:48], v[51:52], v[35:36]
	v_add_f64 v[33:34], v[45:46], -v[33:34]
	s_delay_alu instid0(VALU_DEP_3) | instskip(NEXT) | instid1(VALU_DEP_3)
	v_add_f64 v[41:42], v[41:42], -v[43:44]
	v_fma_f64 v[39:40], -v[39:40], v[47:48], v[51:52]
	s_delay_alu instid0(VALU_DEP_2) | instskip(NEXT) | instid1(VALU_DEP_2)
	v_add_f64 v[33:34], v[33:34], v[41:42]
	v_div_fmas_f64 v[35:36], v[39:40], v[35:36], v[47:48]
	v_subrev_co_ci_u32_e64 v5, vcc_lo, 0, v5, s3
	v_cmp_class_f64_e64 s3, v[29:30], 0x204
	v_cmp_gt_i32_e32 vcc_lo, 0, v6
	v_add_f64 v[33:34], v[49:50], v[33:34]
	v_div_fixup_f64 v[23:24], v[35:36], v[27:28], v[23:24]
	s_delay_alu instid0(VALU_DEP_2) | instskip(NEXT) | instid1(VALU_DEP_2)
	v_mul_f64 v[27:28], v[37:38], v[33:34]
	v_mul_f64 v[33:34], v[23:24], v[23:24]
	s_delay_alu instid0(VALU_DEP_2) | instskip(NEXT) | instid1(VALU_DEP_2)
	v_add_f64 v[35:36], v[25:26], v[27:28]
	v_fma_f64 v[37:38], v[33:34], s[44:45], s[42:43]
	s_delay_alu instid0(VALU_DEP_2) | instskip(NEXT) | instid1(VALU_DEP_2)
	v_mul_f64 v[39:40], v[35:36], v[35:36]
	v_fma_f64 v[37:38], v[33:34], v[37:38], s[46:47]
	v_add_f64 v[25:26], v[35:36], -v[25:26]
	s_delay_alu instid0(VALU_DEP_3) | instskip(NEXT) | instid1(VALU_DEP_3)
	v_fma_f64 v[41:42], v[39:40], s[26:27], s[24:25]
	v_fma_f64 v[37:38], v[33:34], v[37:38], s[48:49]
	v_mul_f64 v[43:44], v[35:36], v[39:40]
	s_delay_alu instid0(VALU_DEP_4) | instskip(NEXT) | instid1(VALU_DEP_4)
	v_add_f64 v[25:26], v[27:28], -v[25:26]
	v_fma_f64 v[41:42], v[39:40], v[41:42], s[28:29]
	s_delay_alu instid0(VALU_DEP_4) | instskip(NEXT) | instid1(VALU_DEP_3)
	v_fma_f64 v[37:38], v[33:34], v[37:38], s[50:51]
	v_ldexp_f64 v[25:26], v[25:26], 1
	s_delay_alu instid0(VALU_DEP_3) | instskip(NEXT) | instid1(VALU_DEP_3)
	v_fma_f64 v[41:42], v[39:40], v[41:42], s[30:31]
	v_fma_f64 v[37:38], v[33:34], v[37:38], s[52:53]
	s_delay_alu instid0(VALU_DEP_2) | instskip(NEXT) | instid1(VALU_DEP_2)
	v_fma_f64 v[41:42], v[39:40], v[41:42], s[34:35]
	v_fma_f64 v[37:38], v[33:34], v[37:38], s[54:55]
	s_delay_alu instid0(VALU_DEP_2) | instskip(NEXT) | instid1(VALU_DEP_2)
	;; [unrolled: 3-line block ×3, first 2 shown]
	v_fma_f64 v[39:40], v[39:40], v[41:42], s[92:93]
	v_fma_f64 v[37:38], v[33:34], v[37:38], s[58:59]
	v_ldexp_f64 v[41:42], v[35:36], 1
	s_delay_alu instid0(VALU_DEP_3) | instskip(NEXT) | instid1(VALU_DEP_3)
	v_mul_f64 v[39:40], v[43:44], v[39:40]
	v_fma_f64 v[37:38], v[33:34], v[37:38], s[60:61]
	v_cvt_f64_i32_e32 v[43:44], v5
	v_ashrrev_i32_e32 v5, 31, v6
	v_cndmask_b32_e32 v6, 0x54442d18, v55, vcc_lo
	v_add_f64 v[35:36], v[41:42], v[39:40]
	v_fma_f64 v[37:38], v[33:34], v[37:38], s[62:63]
	v_mul_f64 v[45:46], v[43:44], s[38:39]
	s_delay_alu instid0(VALU_DEP_3) | instskip(NEXT) | instid1(VALU_DEP_3)
	v_add_f64 v[27:28], v[35:36], -v[41:42]
	v_fma_f64 v[37:38], v[33:34], v[37:38], s[64:65]
	s_delay_alu instid0(VALU_DEP_3) | instskip(NEXT) | instid1(VALU_DEP_3)
	v_fma_f64 v[41:42], v[43:44], s[38:39], -v[45:46]
	v_add_f64 v[27:28], v[39:40], -v[27:28]
	s_delay_alu instid0(VALU_DEP_3) | instskip(NEXT) | instid1(VALU_DEP_3)
	v_fma_f64 v[37:38], v[33:34], v[37:38], s[66:67]
	v_fma_f64 v[39:40], v[43:44], s[40:41], v[41:42]
	s_delay_alu instid0(VALU_DEP_3) | instskip(NEXT) | instid1(VALU_DEP_3)
	v_add_f64 v[25:26], v[25:26], v[27:28]
	v_fma_f64 v[27:28], v[33:34], v[37:38], s[68:69]
	s_delay_alu instid0(VALU_DEP_3) | instskip(NEXT) | instid1(VALU_DEP_3)
	v_add_f64 v[37:38], v[45:46], v[39:40]
	v_add_f64 v[41:42], v[35:36], v[25:26]
	s_delay_alu instid0(VALU_DEP_3) | instskip(NEXT) | instid1(VALU_DEP_3)
	v_fma_f64 v[27:28], v[33:34], v[27:28], s[70:71]
	v_add_f64 v[45:46], v[37:38], -v[45:46]
	s_delay_alu instid0(VALU_DEP_3) | instskip(NEXT) | instid1(VALU_DEP_3)
	v_add_f64 v[43:44], v[37:38], v[41:42]
	v_fma_f64 v[27:28], v[33:34], v[27:28], s[72:73]
	v_add_f64 v[35:36], v[41:42], -v[35:36]
	s_delay_alu instid0(VALU_DEP_4) | instskip(NEXT) | instid1(VALU_DEP_4)
	v_add_f64 v[39:40], v[39:40], -v[45:46]
	v_add_f64 v[47:48], v[43:44], -v[37:38]
	s_delay_alu instid0(VALU_DEP_4) | instskip(NEXT) | instid1(VALU_DEP_4)
	v_fma_f64 v[27:28], v[33:34], v[27:28], s[74:75]
	v_add_f64 v[25:26], v[25:26], -v[35:36]
	s_delay_alu instid0(VALU_DEP_3) | instskip(NEXT) | instid1(VALU_DEP_3)
	v_add_f64 v[49:50], v[43:44], -v[47:48]
	v_fma_f64 v[27:28], v[33:34], v[27:28], s[76:77]
	v_add_f64 v[35:36], v[41:42], -v[47:48]
	s_delay_alu instid0(VALU_DEP_4) | instskip(NEXT) | instid1(VALU_DEP_4)
	v_add_f64 v[41:42], v[39:40], v[25:26]
	v_add_f64 v[37:38], v[37:38], -v[49:50]
	s_delay_alu instid0(VALU_DEP_4) | instskip(NEXT) | instid1(VALU_DEP_2)
	v_fma_f64 v[27:28], v[33:34], v[27:28], s[78:79]
	v_add_f64 v[35:36], v[35:36], v[37:38]
	s_delay_alu instid0(VALU_DEP_2) | instskip(SKIP_1) | instid1(VALU_DEP_3)
	v_fma_f64 v[27:28], v[33:34], v[27:28], s[80:81]
	v_add_f64 v[37:38], v[41:42], -v[39:40]
	v_add_f64 v[35:36], v[41:42], v[35:36]
	s_delay_alu instid0(VALU_DEP_3) | instskip(NEXT) | instid1(VALU_DEP_3)
	v_mul_f64 v[27:28], v[33:34], v[27:28]
	v_add_f64 v[33:34], v[41:42], -v[37:38]
	v_add_f64 v[25:26], v[25:26], -v[37:38]
	s_delay_alu instid0(VALU_DEP_4) | instskip(NEXT) | instid1(VALU_DEP_4)
	v_add_f64 v[41:42], v[43:44], v[35:36]
	v_fma_f64 v[23:24], v[23:24], v[27:28], v[23:24]
	s_delay_alu instid0(VALU_DEP_4) | instskip(NEXT) | instid1(VALU_DEP_3)
	v_add_f64 v[27:28], v[39:40], -v[33:34]
	v_add_f64 v[33:34], v[41:42], -v[43:44]
	s_delay_alu instid0(VALU_DEP_3) | instskip(NEXT) | instid1(VALU_DEP_3)
	v_add_f64 v[37:38], -v[23:24], s[82:83]
	v_add_f64 v[25:26], v[25:26], v[27:28]
	s_delay_alu instid0(VALU_DEP_3) | instskip(NEXT) | instid1(VALU_DEP_3)
	v_add_f64 v[27:28], v[35:36], -v[33:34]
	v_cndmask_b32_e64 v24, v24, v38, s2
	s_delay_alu instid0(VALU_DEP_4) | instskip(NEXT) | instid1(VALU_DEP_3)
	v_cndmask_b32_e64 v23, v23, v37, s2
	v_add_f64 v[25:26], v[25:26], v[27:28]
	s_delay_alu instid0(VALU_DEP_2) | instskip(SKIP_2) | instid1(VALU_DEP_4)
	v_add_f64 v[27:28], -v[23:24], s[12:13]
	v_and_b32_e32 v18, 0x54442d18, v5
	v_and_b32_e32 v5, 0x400921fb, v5
	v_add_f64 v[25:26], v[41:42], v[25:26]
	s_delay_alu instid0(VALU_DEP_4) | instskip(SKIP_2) | instid1(VALU_DEP_3)
	v_dual_cndmask_b32 v24, v24, v28 :: v_dual_cndmask_b32 v23, v23, v27
	v_cndmask_b32_e32 v27, 0x3fe921fb, v56, vcc_lo
	v_cmp_ngt_f64_e32 vcc_lo, 0, v[31:32]
	v_cndmask_b32_e64 v5, v24, v5, s4
	s_delay_alu instid0(VALU_DEP_4) | instskip(NEXT) | instid1(VALU_DEP_4)
	v_cndmask_b32_e64 v18, v23, v18, s4
	v_bfi_b32 v27, 0x7fffffff, v27, v8
	v_cndmask_b32_e64 v26, v26, v30, s3
	v_cndmask_b32_e64 v25, v25, v29, s3
	v_cmp_nge_f64_e64 s3, 0, v[31:32]
	s_delay_alu instid0(VALU_DEP_3) | instskip(NEXT) | instid1(VALU_DEP_3)
	v_cndmask_b32_e64 v26, v26, 0x7ff00000, s8
	v_cndmask_b32_e64 v23, v25, 0, s8
	s_delay_alu instid0(VALU_DEP_2) | instskip(SKIP_2) | instid1(VALU_DEP_3)
	v_cndmask_b32_e32 v24, 0x7ff80000, v26, vcc_lo
	s_and_b32 vcc_lo, s6, s7
	v_dual_cndmask_b32 v26, v5, v27 :: v_dual_cndmask_b32 v25, v18, v6
	v_cndmask_b32_e64 v23, 0, v23, s3
	v_cmp_neq_f64_e64 s3, 0, v[31:32]
	s_delay_alu instid0(VALU_DEP_1)
	v_cndmask_b32_e64 v24, 0xfff00000, v24, s3
.LBB192_22:                             ;   in Loop: Header=BB192_5 Depth=1
	s_or_b32 exec_lo, exec_lo, s5
                                        ; implicit-def: $vgpr29_vgpr30
.LBB192_23:                             ;   in Loop: Header=BB192_5 Depth=1
	s_and_not1_saveexec_b32 s5, s99
	s_cbranch_execz .LBB192_29
; %bb.24:                               ;   in Loop: Header=BB192_5 Depth=1
                                        ; implicit-def: $vgpr23_vgpr24
                                        ; implicit-def: $vgpr25_vgpr26
	s_mov_b32 s3, exec_lo
	v_cmpx_ngt_f64_e32 s[86:87], v[29:30]
	s_xor_b32 s6, exec_lo, s3
	s_cbranch_execz .LBB192_26
; %bb.25:                               ;   in Loop: Header=BB192_5 Depth=1
	v_mul_f64 v[23:24], v[29:30], v[29:30]
	s_mov_b32 s93, s23
	s_mov_b32 s12, s82
	v_cmp_eq_f64_e64 s4, 0, v[7:8]
	v_cmp_class_f64_e64 s7, v[7:8], 0x204
	v_cmp_class_f64_e64 s8, v[5:6], 0x204
	v_cmp_gt_i32_e64 s3, 0, v6
	v_add_f64 v[25:26], v[23:24], 1.0
	s_delay_alu instid0(VALU_DEP_1) | instskip(SKIP_2) | instid1(VALU_DEP_3)
	v_frexp_mant_f64_e32 v[27:28], v[25:26]
	v_frexp_exp_i32_f64_e32 v18, v[25:26]
	v_add_f64 v[29:30], v[25:26], -1.0
	v_cmp_gt_f64_e32 vcc_lo, s[22:23], v[27:28]
	s_delay_alu instid0(VALU_DEP_2) | instskip(SKIP_2) | instid1(VALU_DEP_3)
	v_add_f64 v[27:28], v[29:30], -v[25:26]
	v_add_f64 v[29:30], v[23:24], -v[29:30]
	v_subrev_co_ci_u32_e32 v18, vcc_lo, 0, v18, vcc_lo
	v_add_f64 v[27:28], v[27:28], 1.0
	s_delay_alu instid0(VALU_DEP_2) | instskip(NEXT) | instid1(VALU_DEP_1)
	v_sub_nc_u32_e32 v33, 0, v18
	v_ldexp_f64 v[25:26], v[25:26], v33
	s_delay_alu instid0(VALU_DEP_3) | instskip(NEXT) | instid1(VALU_DEP_2)
	v_add_f64 v[27:28], v[29:30], v[27:28]
	v_add_f64 v[31:32], v[25:26], 1.0
	v_add_f64 v[37:38], v[25:26], -1.0
	s_delay_alu instid0(VALU_DEP_3) | instskip(NEXT) | instid1(VALU_DEP_3)
	v_ldexp_f64 v[27:28], v[27:28], v33
	v_add_f64 v[29:30], v[31:32], -1.0
	s_delay_alu instid0(VALU_DEP_3) | instskip(NEXT) | instid1(VALU_DEP_2)
	v_add_f64 v[39:40], v[37:38], 1.0
	v_add_f64 v[29:30], v[25:26], -v[29:30]
	s_delay_alu instid0(VALU_DEP_2) | instskip(NEXT) | instid1(VALU_DEP_2)
	v_add_f64 v[25:26], v[25:26], -v[39:40]
	v_add_f64 v[29:30], v[27:28], v[29:30]
	s_delay_alu instid0(VALU_DEP_2) | instskip(NEXT) | instid1(VALU_DEP_2)
	v_add_f64 v[25:26], v[27:28], v[25:26]
	v_add_f64 v[33:34], v[31:32], v[29:30]
	s_delay_alu instid0(VALU_DEP_2) | instskip(NEXT) | instid1(VALU_DEP_2)
	v_add_f64 v[39:40], v[37:38], v[25:26]
	v_rcp_f64_e32 v[35:36], v[33:34]
	v_add_f64 v[31:32], v[31:32], -v[33:34]
	s_delay_alu instid0(VALU_DEP_2) | instskip(NEXT) | instid1(VALU_DEP_2)
	v_add_f64 v[37:38], v[37:38], -v[39:40]
	v_add_f64 v[29:30], v[29:30], v[31:32]
	s_waitcnt_depctr 0xfff
	v_fma_f64 v[41:42], -v[33:34], v[35:36], 1.0
	v_add_f64 v[25:26], v[25:26], v[37:38]
	s_delay_alu instid0(VALU_DEP_2) | instskip(NEXT) | instid1(VALU_DEP_1)
	v_fma_f64 v[35:36], v[41:42], v[35:36], v[35:36]
	v_fma_f64 v[27:28], -v[33:34], v[35:36], 1.0
	s_delay_alu instid0(VALU_DEP_1) | instskip(NEXT) | instid1(VALU_DEP_1)
	v_fma_f64 v[27:28], v[27:28], v[35:36], v[35:36]
	v_mul_f64 v[35:36], v[39:40], v[27:28]
	s_delay_alu instid0(VALU_DEP_1) | instskip(NEXT) | instid1(VALU_DEP_1)
	v_mul_f64 v[41:42], v[33:34], v[35:36]
	v_fma_f64 v[31:32], v[35:36], v[33:34], -v[41:42]
	s_delay_alu instid0(VALU_DEP_1) | instskip(NEXT) | instid1(VALU_DEP_1)
	v_fma_f64 v[31:32], v[35:36], v[29:30], v[31:32]
	v_add_f64 v[43:44], v[41:42], v[31:32]
	s_delay_alu instid0(VALU_DEP_1) | instskip(SKIP_2) | instid1(VALU_DEP_3)
	v_add_f64 v[45:46], v[39:40], -v[43:44]
	v_add_f64 v[37:38], v[43:44], -v[41:42]
	v_max_f64 v[41:42], |v[7:8]|, |v[7:8]|
	v_add_f64 v[39:40], v[39:40], -v[45:46]
	s_delay_alu instid0(VALU_DEP_3) | instskip(NEXT) | instid1(VALU_DEP_2)
	v_add_f64 v[31:32], v[37:38], -v[31:32]
	v_add_f64 v[39:40], v[39:40], -v[43:44]
	v_max_f64 v[43:44], |v[5:6]|, |v[5:6]|
	s_delay_alu instid0(VALU_DEP_2) | instskip(NEXT) | instid1(VALU_DEP_2)
	v_add_f64 v[25:26], v[25:26], v[39:40]
	v_max_f64 v[47:48], v[43:44], v[41:42]
	v_min_f64 v[41:42], v[43:44], v[41:42]
	s_delay_alu instid0(VALU_DEP_3) | instskip(NEXT) | instid1(VALU_DEP_1)
	v_add_f64 v[25:26], v[31:32], v[25:26]
	v_add_f64 v[31:32], v[45:46], v[25:26]
	s_delay_alu instid0(VALU_DEP_1) | instskip(SKIP_1) | instid1(VALU_DEP_2)
	v_mul_f64 v[37:38], v[27:28], v[31:32]
	v_add_f64 v[45:46], v[45:46], -v[31:32]
	v_mul_f64 v[39:40], v[33:34], v[37:38]
	s_delay_alu instid0(VALU_DEP_2) | instskip(NEXT) | instid1(VALU_DEP_2)
	v_add_f64 v[25:26], v[25:26], v[45:46]
	v_fma_f64 v[33:34], v[37:38], v[33:34], -v[39:40]
	s_delay_alu instid0(VALU_DEP_1) | instskip(SKIP_1) | instid1(VALU_DEP_2)
	v_fma_f64 v[29:30], v[37:38], v[29:30], v[33:34]
	v_div_scale_f64 v[33:34], null, v[47:48], v[47:48], v[41:42]
	v_add_f64 v[43:44], v[39:40], v[29:30]
	s_delay_alu instid0(VALU_DEP_2) | instskip(NEXT) | instid1(VALU_DEP_1)
	v_rcp_f64_e32 v[49:50], v[33:34]
	v_add_f64 v[51:52], v[31:32], -v[43:44]
	v_add_f64 v[39:40], v[43:44], -v[39:40]
	s_waitcnt_depctr 0xfff
	v_fma_f64 v[53:54], -v[33:34], v[49:50], 1.0
	v_add_f64 v[31:32], v[31:32], -v[51:52]
	v_add_f64 v[29:30], v[39:40], -v[29:30]
	s_delay_alu instid0(VALU_DEP_3) | instskip(NEXT) | instid1(VALU_DEP_3)
	v_fma_f64 v[49:50], v[49:50], v[53:54], v[49:50]
	v_add_f64 v[31:32], v[31:32], -v[43:44]
	s_delay_alu instid0(VALU_DEP_2) | instskip(NEXT) | instid1(VALU_DEP_2)
	v_fma_f64 v[43:44], -v[33:34], v[49:50], 1.0
	v_add_f64 v[25:26], v[25:26], v[31:32]
	v_div_scale_f64 v[31:32], vcc_lo, v[41:42], v[47:48], v[41:42]
	s_delay_alu instid0(VALU_DEP_3) | instskip(SKIP_1) | instid1(VALU_DEP_4)
	v_fma_f64 v[39:40], v[49:50], v[43:44], v[49:50]
	v_add_f64 v[43:44], v[35:36], v[37:38]
	v_add_f64 v[25:26], v[29:30], v[25:26]
	s_delay_alu instid0(VALU_DEP_3) | instskip(NEXT) | instid1(VALU_DEP_3)
	v_mul_f64 v[29:30], v[31:32], v[39:40]
	v_add_f64 v[35:36], v[43:44], -v[35:36]
	s_delay_alu instid0(VALU_DEP_3) | instskip(NEXT) | instid1(VALU_DEP_3)
	v_add_f64 v[25:26], v[51:52], v[25:26]
	v_fma_f64 v[31:32], -v[33:34], v[29:30], v[31:32]
	s_delay_alu instid0(VALU_DEP_3) | instskip(NEXT) | instid1(VALU_DEP_3)
	v_add_f64 v[33:34], v[37:38], -v[35:36]
	v_mul_f64 v[25:26], v[27:28], v[25:26]
	s_delay_alu instid0(VALU_DEP_3) | instskip(SKIP_1) | instid1(VALU_DEP_3)
	v_div_fmas_f64 v[27:28], v[31:32], v[39:40], v[29:30]
	v_cmp_eq_f64_e32 vcc_lo, 0x7ff00000, v[23:24]
	v_add_f64 v[25:26], v[33:34], v[25:26]
	s_delay_alu instid0(VALU_DEP_3) | instskip(NEXT) | instid1(VALU_DEP_2)
	v_div_fixup_f64 v[27:28], v[27:28], v[47:48], v[41:42]
	v_add_f64 v[29:30], v[43:44], v[25:26]
	s_delay_alu instid0(VALU_DEP_2) | instskip(NEXT) | instid1(VALU_DEP_2)
	v_mul_f64 v[31:32], v[27:28], v[27:28]
	v_mul_f64 v[33:34], v[29:30], v[29:30]
	s_delay_alu instid0(VALU_DEP_2) | instskip(NEXT) | instid1(VALU_DEP_2)
	v_fma_f64 v[35:36], v[31:32], s[44:45], s[42:43]
	v_fma_f64 v[37:38], v[33:34], s[26:27], s[24:25]
	v_mul_f64 v[39:40], v[29:30], v[33:34]
	s_delay_alu instid0(VALU_DEP_3) | instskip(NEXT) | instid1(VALU_DEP_3)
	v_fma_f64 v[35:36], v[31:32], v[35:36], s[46:47]
	v_fma_f64 v[37:38], v[33:34], v[37:38], s[28:29]
	s_delay_alu instid0(VALU_DEP_2) | instskip(NEXT) | instid1(VALU_DEP_2)
	v_fma_f64 v[35:36], v[31:32], v[35:36], s[48:49]
	v_fma_f64 v[37:38], v[33:34], v[37:38], s[30:31]
	s_delay_alu instid0(VALU_DEP_2) | instskip(NEXT) | instid1(VALU_DEP_2)
	;; [unrolled: 3-line block ×4, first 2 shown]
	v_fma_f64 v[35:36], v[31:32], v[35:36], s[54:55]
	v_fma_f64 v[33:34], v[33:34], v[37:38], s[92:93]
	v_ldexp_f64 v[37:38], v[29:30], 1
	v_add_f64 v[29:30], v[29:30], -v[43:44]
	s_delay_alu instid0(VALU_DEP_4) | instskip(NEXT) | instid1(VALU_DEP_4)
	v_fma_f64 v[35:36], v[31:32], v[35:36], s[56:57]
	v_mul_f64 v[33:34], v[39:40], v[33:34]
	v_cvt_f64_i32_e32 v[39:40], v18
	s_delay_alu instid0(VALU_DEP_4) | instskip(NEXT) | instid1(VALU_DEP_4)
	v_add_f64 v[25:26], v[25:26], -v[29:30]
	v_fma_f64 v[35:36], v[31:32], v[35:36], s[58:59]
	v_ashrrev_i32_e32 v18, 31, v6
	v_add_f64 v[41:42], v[37:38], v[33:34]
	v_mul_f64 v[43:44], v[39:40], s[38:39]
	v_ldexp_f64 v[25:26], v[25:26], 1
	v_fma_f64 v[35:36], v[31:32], v[35:36], s[60:61]
	s_delay_alu instid0(VALU_DEP_4) | instskip(NEXT) | instid1(VALU_DEP_4)
	v_add_f64 v[29:30], v[41:42], -v[37:38]
	v_fma_f64 v[37:38], v[39:40], s[38:39], -v[43:44]
	s_delay_alu instid0(VALU_DEP_3) | instskip(NEXT) | instid1(VALU_DEP_3)
	v_fma_f64 v[35:36], v[31:32], v[35:36], s[62:63]
	v_add_f64 v[29:30], v[33:34], -v[29:30]
	s_delay_alu instid0(VALU_DEP_2) | instskip(NEXT) | instid1(VALU_DEP_4)
	v_fma_f64 v[33:34], v[31:32], v[35:36], s[64:65]
	v_fma_f64 v[35:36], v[39:40], s[40:41], v[37:38]
	s_delay_alu instid0(VALU_DEP_3) | instskip(NEXT) | instid1(VALU_DEP_3)
	v_add_f64 v[25:26], v[25:26], v[29:30]
	v_fma_f64 v[29:30], v[31:32], v[33:34], s[66:67]
	s_delay_alu instid0(VALU_DEP_3) | instskip(NEXT) | instid1(VALU_DEP_3)
	v_add_f64 v[33:34], v[43:44], v[35:36]
	v_add_f64 v[37:38], v[41:42], v[25:26]
	s_delay_alu instid0(VALU_DEP_3) | instskip(NEXT) | instid1(VALU_DEP_3)
	v_fma_f64 v[29:30], v[31:32], v[29:30], s[68:69]
	v_add_f64 v[43:44], v[33:34], -v[43:44]
	s_delay_alu instid0(VALU_DEP_3) | instskip(SKIP_1) | instid1(VALU_DEP_4)
	v_add_f64 v[39:40], v[33:34], v[37:38]
	v_add_f64 v[41:42], v[37:38], -v[41:42]
	v_fma_f64 v[29:30], v[31:32], v[29:30], s[70:71]
	s_delay_alu instid0(VALU_DEP_4) | instskip(NEXT) | instid1(VALU_DEP_4)
	v_add_f64 v[35:36], v[35:36], -v[43:44]
	v_add_f64 v[45:46], v[39:40], -v[33:34]
	s_delay_alu instid0(VALU_DEP_4) | instskip(NEXT) | instid1(VALU_DEP_4)
	v_add_f64 v[25:26], v[25:26], -v[41:42]
	v_fma_f64 v[29:30], v[31:32], v[29:30], s[72:73]
	s_delay_alu instid0(VALU_DEP_3) | instskip(SKIP_1) | instid1(VALU_DEP_4)
	v_add_f64 v[47:48], v[39:40], -v[45:46]
	v_add_f64 v[37:38], v[37:38], -v[45:46]
	v_add_f64 v[41:42], v[35:36], v[25:26]
	s_delay_alu instid0(VALU_DEP_4) | instskip(NEXT) | instid1(VALU_DEP_4)
	v_fma_f64 v[29:30], v[31:32], v[29:30], s[74:75]
	v_add_f64 v[33:34], v[33:34], -v[47:48]
	s_delay_alu instid0(VALU_DEP_2) | instskip(NEXT) | instid1(VALU_DEP_2)
	v_fma_f64 v[29:30], v[31:32], v[29:30], s[76:77]
	v_add_f64 v[33:34], v[37:38], v[33:34]
	v_add_f64 v[37:38], v[41:42], -v[35:36]
	s_delay_alu instid0(VALU_DEP_3) | instskip(NEXT) | instid1(VALU_DEP_3)
	v_fma_f64 v[29:30], v[31:32], v[29:30], s[78:79]
	v_add_f64 v[33:34], v[41:42], v[33:34]
	s_delay_alu instid0(VALU_DEP_3) | instskip(SKIP_1) | instid1(VALU_DEP_4)
	v_add_f64 v[41:42], v[41:42], -v[37:38]
	v_add_f64 v[25:26], v[25:26], -v[37:38]
	v_fma_f64 v[29:30], v[31:32], v[29:30], s[80:81]
	s_delay_alu instid0(VALU_DEP_4) | instskip(NEXT) | instid1(VALU_DEP_2)
	v_add_f64 v[43:44], v[39:40], v[33:34]
	v_mul_f64 v[29:30], v[31:32], v[29:30]
	v_add_f64 v[31:32], v[35:36], -v[41:42]
	s_delay_alu instid0(VALU_DEP_3) | instskip(NEXT) | instid1(VALU_DEP_3)
	v_add_f64 v[35:36], v[43:44], -v[39:40]
	v_fma_f64 v[27:28], v[27:28], v[29:30], v[27:28]
	s_delay_alu instid0(VALU_DEP_3) | instskip(NEXT) | instid1(VALU_DEP_3)
	v_add_f64 v[25:26], v[25:26], v[31:32]
	v_add_f64 v[29:30], v[33:34], -v[35:36]
	s_delay_alu instid0(VALU_DEP_3) | instskip(NEXT) | instid1(VALU_DEP_2)
	v_add_f64 v[31:32], -v[27:28], s[82:83]
	v_add_f64 v[25:26], v[25:26], v[29:30]
	s_delay_alu instid0(VALU_DEP_2) | instskip(NEXT) | instid1(VALU_DEP_3)
	v_cndmask_b32_e64 v28, v28, v32, s2
	v_cndmask_b32_e64 v27, v27, v31, s2
	;; [unrolled: 1-line block ×3, first 2 shown]
	s_delay_alu instid0(VALU_DEP_2) | instskip(SKIP_2) | instid1(VALU_DEP_3)
	v_add_f64 v[29:30], -v[27:28], s[12:13]
	v_add_f64 v[25:26], v[43:44], v[25:26]
	v_and_b32_e32 v32, 0x54442d18, v18
	v_cndmask_b32_e64 v27, v27, v29, s3
	s_delay_alu instid0(VALU_DEP_3) | instskip(NEXT) | instid1(VALU_DEP_2)
	v_cndmask_b32_e32 v5, v25, v23, vcc_lo
	v_cndmask_b32_e64 v25, v27, v32, s4
	v_cndmask_b32_e32 v6, v26, v24, vcc_lo
	s_and_b32 vcc_lo, s8, s7
	s_delay_alu instid0(VALU_DEP_2) | instskip(NEXT) | instid1(VALU_DEP_2)
	v_cndmask_b32_e32 v25, v25, v31, vcc_lo
	v_mul_f64 v[23:24], v[5:6], 0.5
	v_cndmask_b32_e64 v5, 0x3fe921fb, v56, s3
	v_and_b32_e32 v6, 0x400921fb, v18
	v_cndmask_b32_e64 v18, v28, v30, s3
                                        ; implicit-def: $vgpr29_vgpr30
	s_delay_alu instid0(VALU_DEP_3) | instskip(NEXT) | instid1(VALU_DEP_2)
	v_bfi_b32 v5, 0x7fffffff, v5, v8
	v_cndmask_b32_e64 v6, v18, v6, s4
	s_delay_alu instid0(VALU_DEP_1)
	v_cndmask_b32_e32 v26, v6, v5, vcc_lo
.LBB192_26:                             ;   in Loop: Header=BB192_5 Depth=1
	s_and_not1_saveexec_b32 s4, s6
	s_cbranch_execz .LBB192_28
; %bb.27:                               ;   in Loop: Header=BB192_5 Depth=1
	v_max_f64 v[23:24], |v[7:8]|, |v[7:8]|
	v_max_f64 v[25:26], |v[5:6]|, |v[5:6]|
	s_mov_b32 s12, s82
	v_cmp_eq_f64_e64 s3, 0, v[7:8]
	v_cmp_class_f64_e64 s6, v[7:8], 0x204
	v_cmp_class_f64_e64 s7, v[5:6], 0x204
	v_ashrrev_i32_e32 v18, 31, v6
	v_max_f64 v[27:28], v[25:26], v[23:24]
	v_min_f64 v[23:24], v[25:26], v[23:24]
	s_delay_alu instid0(VALU_DEP_1) | instskip(SKIP_1) | instid1(VALU_DEP_2)
	v_div_scale_f64 v[25:26], null, v[27:28], v[27:28], v[23:24]
	v_div_scale_f64 v[35:36], vcc_lo, v[23:24], v[27:28], v[23:24]
	v_rcp_f64_e32 v[31:32], v[25:26]
	s_waitcnt_depctr 0xfff
	v_fma_f64 v[33:34], -v[25:26], v[31:32], 1.0
	s_delay_alu instid0(VALU_DEP_1) | instskip(NEXT) | instid1(VALU_DEP_1)
	v_fma_f64 v[31:32], v[31:32], v[33:34], v[31:32]
	v_fma_f64 v[33:34], -v[25:26], v[31:32], 1.0
	s_delay_alu instid0(VALU_DEP_1) | instskip(NEXT) | instid1(VALU_DEP_1)
	v_fma_f64 v[31:32], v[31:32], v[33:34], v[31:32]
	v_mul_f64 v[33:34], v[35:36], v[31:32]
	s_delay_alu instid0(VALU_DEP_1) | instskip(NEXT) | instid1(VALU_DEP_1)
	v_fma_f64 v[25:26], -v[25:26], v[33:34], v[35:36]
	v_div_fmas_f64 v[25:26], v[25:26], v[31:32], v[33:34]
	v_cmp_gt_i32_e32 vcc_lo, 0, v6
	v_and_b32_e32 v32, 0x54442d18, v18
	v_and_b32_e32 v6, 0x400921fb, v18
	v_cndmask_b32_e32 v31, 0x54442d18, v55, vcc_lo
	v_cndmask_b32_e32 v5, 0x3fe921fb, v56, vcc_lo
	s_delay_alu instid0(VALU_DEP_1) | instskip(SKIP_1) | instid1(VALU_DEP_1)
	v_bfi_b32 v5, 0x7fffffff, v5, v8
	v_div_fixup_f64 v[23:24], v[25:26], v[27:28], v[23:24]
	v_mul_f64 v[25:26], v[23:24], v[23:24]
	s_delay_alu instid0(VALU_DEP_1) | instskip(NEXT) | instid1(VALU_DEP_1)
	v_fma_f64 v[27:28], v[25:26], s[44:45], s[42:43]
	v_fma_f64 v[27:28], v[25:26], v[27:28], s[46:47]
	s_delay_alu instid0(VALU_DEP_1) | instskip(NEXT) | instid1(VALU_DEP_1)
	v_fma_f64 v[27:28], v[25:26], v[27:28], s[48:49]
	v_fma_f64 v[27:28], v[25:26], v[27:28], s[50:51]
	;; [unrolled: 3-line block ×9, first 2 shown]
	s_delay_alu instid0(VALU_DEP_1) | instskip(NEXT) | instid1(VALU_DEP_1)
	v_fma_f64 v[27:28], v[25:26], v[27:28], s[80:81]
	v_mul_f64 v[25:26], v[25:26], v[27:28]
	s_delay_alu instid0(VALU_DEP_1) | instskip(NEXT) | instid1(VALU_DEP_1)
	v_fma_f64 v[23:24], v[23:24], v[25:26], v[23:24]
	v_add_f64 v[25:26], -v[23:24], s[82:83]
	s_delay_alu instid0(VALU_DEP_1) | instskip(NEXT) | instid1(VALU_DEP_2)
	v_cndmask_b32_e64 v26, v24, v26, s2
	v_cndmask_b32_e64 v25, v23, v25, s2
	v_mul_f64 v[23:24], v[29:30], 0.5
	s_delay_alu instid0(VALU_DEP_2) | instskip(NEXT) | instid1(VALU_DEP_2)
	v_add_f64 v[27:28], -v[25:26], s[12:13]
	v_mul_f64 v[23:24], v[29:30], v[23:24]
	s_delay_alu instid0(VALU_DEP_2) | instskip(NEXT) | instid1(VALU_DEP_1)
	v_cndmask_b32_e32 v25, v25, v27, vcc_lo
	v_cndmask_b32_e64 v25, v25, v32, s3
	s_delay_alu instid0(VALU_DEP_4) | instskip(SKIP_1) | instid1(VALU_DEP_2)
	v_cndmask_b32_e32 v18, v26, v28, vcc_lo
	s_and_b32 vcc_lo, s7, s6
	v_cndmask_b32_e32 v25, v25, v31, vcc_lo
	s_delay_alu instid0(VALU_DEP_2) | instskip(NEXT) | instid1(VALU_DEP_1)
	v_cndmask_b32_e64 v6, v18, v6, s3
	v_cndmask_b32_e32 v26, v6, v5, vcc_lo
.LBB192_28:                             ;   in Loop: Header=BB192_5 Depth=1
	s_or_b32 exec_lo, exec_lo, s4
.LBB192_29:                             ;   in Loop: Header=BB192_5 Depth=1
	s_delay_alu instid0(SALU_CYCLE_1)
	s_or_b32 exec_lo, exec_lo, s5
.LBB192_30:                             ;   in Loop: Header=BB192_5 Depth=1
	s_and_not1_saveexec_b32 s5, s98
	s_cbranch_execz .LBB192_32
; %bb.31:                               ;   in Loop: Header=BB192_5 Depth=1
	v_div_scale_f64 v[23:24], null, s[88:89], s[88:89], v[5:6]
	v_div_scale_f64 v[25:26], null, s[88:89], s[88:89], v[7:8]
	v_div_scale_f64 v[35:36], vcc_lo, v[5:6], s[88:89], v[5:6]
	v_max_f64 v[41:42], |v[5:6]|, |v[5:6]|
	s_mov_b32 s93, s23
	s_mov_b32 s12, s82
	s_delay_alu instid0(VALU_DEP_4) | instskip(NEXT) | instid1(VALU_DEP_3)
	v_rcp_f64_e32 v[27:28], v[23:24]
	v_rcp_f64_e32 v[29:30], v[25:26]
	s_waitcnt_depctr 0xfff
	v_fma_f64 v[31:32], -v[23:24], v[27:28], 1.0
	v_fma_f64 v[33:34], -v[25:26], v[29:30], 1.0
	s_delay_alu instid0(VALU_DEP_2) | instskip(NEXT) | instid1(VALU_DEP_2)
	v_fma_f64 v[27:28], v[27:28], v[31:32], v[27:28]
	v_fma_f64 v[29:30], v[29:30], v[33:34], v[29:30]
	s_delay_alu instid0(VALU_DEP_2) | instskip(NEXT) | instid1(VALU_DEP_2)
	v_fma_f64 v[31:32], -v[23:24], v[27:28], 1.0
	v_fma_f64 v[33:34], -v[25:26], v[29:30], 1.0
	s_delay_alu instid0(VALU_DEP_2) | instskip(SKIP_1) | instid1(VALU_DEP_3)
	v_fma_f64 v[27:28], v[27:28], v[31:32], v[27:28]
	v_div_scale_f64 v[31:32], s3, v[7:8], s[88:89], v[7:8]
	v_fma_f64 v[29:30], v[29:30], v[33:34], v[29:30]
	s_delay_alu instid0(VALU_DEP_3) | instskip(NEXT) | instid1(VALU_DEP_2)
	v_mul_f64 v[33:34], v[35:36], v[27:28]
	v_mul_f64 v[37:38], v[31:32], v[29:30]
	s_delay_alu instid0(VALU_DEP_2) | instskip(NEXT) | instid1(VALU_DEP_2)
	v_fma_f64 v[23:24], -v[23:24], v[33:34], v[35:36]
	v_fma_f64 v[25:26], -v[25:26], v[37:38], v[31:32]
	s_delay_alu instid0(VALU_DEP_2) | instskip(SKIP_1) | instid1(VALU_DEP_2)
	v_div_fmas_f64 v[23:24], v[23:24], v[27:28], v[33:34]
	s_mov_b32 vcc_lo, s3
	v_div_fmas_f64 v[25:26], v[25:26], v[29:30], v[37:38]
	s_delay_alu instid0(VALU_DEP_2) | instskip(NEXT) | instid1(VALU_DEP_2)
	v_div_fixup_f64 v[23:24], v[23:24], s[88:89], v[5:6]
	v_div_fixup_f64 v[25:26], v[25:26], s[88:89], v[7:8]
	s_delay_alu instid0(VALU_DEP_2) | instskip(NEXT) | instid1(VALU_DEP_2)
	v_cmp_class_f64_e64 s4, v[23:24], 0x204
	v_max_f64 v[27:28], |v[23:24]|, |v[25:26]|
	v_cmp_o_f64_e64 s3, v[23:24], v[25:26]
	v_cmp_class_f64_e64 s6, v[25:26], 0x204
	s_delay_alu instid0(VALU_DEP_3) | instskip(NEXT) | instid1(VALU_DEP_2)
	v_frexp_exp_i32_f64_e32 v18, v[27:28]
	s_or_b32 s6, s4, s6
	s_delay_alu instid0(VALU_DEP_1) | instskip(NEXT) | instid1(VALU_DEP_1)
	v_sub_nc_u32_e32 v29, 0, v18
	v_ldexp_f64 v[27:28], |v[25:26]|, v29
	v_ldexp_f64 v[29:30], |v[23:24]|, v29
	s_delay_alu instid0(VALU_DEP_2) | instskip(NEXT) | instid1(VALU_DEP_1)
	v_mul_f64 v[27:28], v[27:28], v[27:28]
	v_fma_f64 v[27:28], v[29:30], v[29:30], v[27:28]
	s_delay_alu instid0(VALU_DEP_1) | instskip(SKIP_4) | instid1(VALU_DEP_1)
	v_rsq_f64_e32 v[29:30], v[27:28]
	v_cmp_eq_f64_e32 vcc_lo, 0, v[27:28]
	s_waitcnt_depctr 0xfff
	v_mul_f64 v[31:32], v[27:28], v[29:30]
	v_mul_f64 v[29:30], v[29:30], 0.5
	v_fma_f64 v[33:34], -v[29:30], v[31:32], 0.5
	s_delay_alu instid0(VALU_DEP_1) | instskip(SKIP_1) | instid1(VALU_DEP_2)
	v_fma_f64 v[31:32], v[31:32], v[33:34], v[31:32]
	v_fma_f64 v[29:30], v[29:30], v[33:34], v[29:30]
	v_fma_f64 v[33:34], -v[31:32], v[31:32], v[27:28]
	s_delay_alu instid0(VALU_DEP_1) | instskip(NEXT) | instid1(VALU_DEP_1)
	v_fma_f64 v[29:30], v[33:34], v[29:30], v[31:32]
	v_dual_cndmask_b32 v28, v30, v28 :: v_dual_cndmask_b32 v27, v29, v27
	s_delay_alu instid0(VALU_DEP_1) | instskip(NEXT) | instid1(VALU_DEP_1)
	v_ldexp_f64 v[27:28], v[27:28], v18
	v_cndmask_b32_e64 v23, 0, v27, s3
	s_delay_alu instid0(VALU_DEP_2) | instskip(SKIP_1) | instid1(VALU_DEP_3)
	v_cndmask_b32_e64 v53, 0x7ff80000, v28, s3
	v_and_b32_e32 v28, 0x7fffffff, v28
	v_cndmask_b32_e64 v24, v23, 0, s6
	s_delay_alu instid0(VALU_DEP_3) | instskip(NEXT) | instid1(VALU_DEP_1)
	v_cndmask_b32_e64 v25, v53, 0x7ff00000, s6
	v_frexp_mant_f64_e32 v[29:30], v[24:25]
	s_delay_alu instid0(VALU_DEP_1) | instskip(NEXT) | instid1(VALU_DEP_1)
	v_cmp_gt_f64_e64 s4, s[22:23], v[29:30]
	v_cndmask_b32_e64 v18, 0x3ff00000, 2.0, s4
	s_delay_alu instid0(VALU_DEP_1) | instskip(SKIP_1) | instid1(VALU_DEP_2)
	v_mul_f64 v[29:30], v[29:30], v[17:18]
	v_frexp_exp_i32_f64_e32 v18, v[24:25]
	v_add_f64 v[31:32], v[29:30], 1.0
	v_add_f64 v[37:38], v[29:30], -1.0
	s_delay_alu instid0(VALU_DEP_2) | instskip(SKIP_1) | instid1(VALU_DEP_1)
	v_rcp_f64_e32 v[33:34], v[31:32]
	v_add_f64 v[43:44], v[31:32], -1.0
	v_add_f64 v[29:30], v[29:30], -v[43:44]
	s_waitcnt_depctr 0xfff
	v_fma_f64 v[35:36], -v[31:32], v[33:34], 1.0
	s_delay_alu instid0(VALU_DEP_1) | instskip(NEXT) | instid1(VALU_DEP_1)
	v_fma_f64 v[33:34], v[35:36], v[33:34], v[33:34]
	v_fma_f64 v[35:36], -v[31:32], v[33:34], 1.0
	s_delay_alu instid0(VALU_DEP_1) | instskip(SKIP_1) | instid1(VALU_DEP_2)
	v_fma_f64 v[33:34], v[35:36], v[33:34], v[33:34]
	v_max_f64 v[35:36], |v[7:8]|, |v[7:8]|
	v_mul_f64 v[39:40], v[37:38], v[33:34]
	s_delay_alu instid0(VALU_DEP_2) | instskip(SKIP_1) | instid1(VALU_DEP_3)
	v_max_f64 v[47:48], v[41:42], v[35:36]
	v_min_f64 v[35:36], v[41:42], v[35:36]
	v_mul_f64 v[45:46], v[31:32], v[39:40]
	s_delay_alu instid0(VALU_DEP_2) | instskip(NEXT) | instid1(VALU_DEP_2)
	v_div_scale_f64 v[41:42], null, v[47:48], v[47:48], v[35:36]
	v_fma_f64 v[31:32], v[39:40], v[31:32], -v[45:46]
	s_delay_alu instid0(VALU_DEP_1) | instskip(NEXT) | instid1(VALU_DEP_3)
	v_fma_f64 v[29:30], v[39:40], v[29:30], v[31:32]
	v_rcp_f64_e32 v[31:32], v[41:42]
	s_delay_alu instid0(VALU_DEP_1) | instskip(SKIP_4) | instid1(VALU_DEP_3)
	v_add_f64 v[43:44], v[45:46], v[29:30]
	s_waitcnt_depctr 0xfff
	v_fma_f64 v[49:50], -v[41:42], v[31:32], 1.0
	v_add_f64 v[51:52], v[37:38], -v[43:44]
	v_add_f64 v[45:46], v[43:44], -v[45:46]
	v_fma_f64 v[31:32], v[31:32], v[49:50], v[31:32]
	s_delay_alu instid0(VALU_DEP_3) | instskip(NEXT) | instid1(VALU_DEP_3)
	v_add_f64 v[37:38], v[37:38], -v[51:52]
	v_add_f64 v[29:30], v[45:46], -v[29:30]
	s_delay_alu instid0(VALU_DEP_3) | instskip(NEXT) | instid1(VALU_DEP_3)
	v_fma_f64 v[49:50], -v[41:42], v[31:32], 1.0
	v_add_f64 v[37:38], v[37:38], -v[43:44]
	v_div_scale_f64 v[43:44], vcc_lo, v[35:36], v[47:48], v[35:36]
	s_delay_alu instid0(VALU_DEP_3) | instskip(NEXT) | instid1(VALU_DEP_3)
	v_fma_f64 v[31:32], v[31:32], v[49:50], v[31:32]
	v_add_f64 v[29:30], v[29:30], v[37:38]
	s_delay_alu instid0(VALU_DEP_2) | instskip(NEXT) | instid1(VALU_DEP_2)
	v_mul_f64 v[37:38], v[43:44], v[31:32]
	v_add_f64 v[29:30], v[51:52], v[29:30]
	s_delay_alu instid0(VALU_DEP_2) | instskip(NEXT) | instid1(VALU_DEP_2)
	v_fma_f64 v[41:42], -v[41:42], v[37:38], v[43:44]
	v_mul_f64 v[29:30], v[33:34], v[29:30]
	s_delay_alu instid0(VALU_DEP_2)
	v_div_fmas_f64 v[31:32], v[41:42], v[31:32], v[37:38]
	v_subrev_co_ci_u32_e64 v18, vcc_lo, 0, v18, s4
	v_cmp_eq_f64_e32 vcc_lo, 0x7ff00000, v[27:28]
	v_cmp_class_f64_e64 s4, v[5:6], 0x204
	v_add_f64 v[33:34], v[39:40], v[29:30]
	v_div_fixup_f64 v[31:32], v[31:32], v[47:48], v[35:36]
	s_and_b32 vcc_lo, s3, vcc_lo
	v_cmp_class_f64_e64 s3, v[7:8], 0x204
	s_delay_alu instid0(VALU_DEP_3) | instskip(NEXT) | instid1(VALU_DEP_3)
	v_mul_f64 v[35:36], v[33:34], v[33:34]
	v_mul_f64 v[37:38], v[31:32], v[31:32]
	s_delay_alu instid0(VALU_DEP_2) | instskip(SKIP_1) | instid1(VALU_DEP_3)
	v_fma_f64 v[41:42], v[35:36], s[26:27], s[24:25]
	v_mul_f64 v[45:46], v[33:34], v[35:36]
	v_fma_f64 v[43:44], v[37:38], s[44:45], s[42:43]
	s_delay_alu instid0(VALU_DEP_3) | instskip(NEXT) | instid1(VALU_DEP_2)
	v_fma_f64 v[41:42], v[35:36], v[41:42], s[28:29]
	v_fma_f64 v[43:44], v[37:38], v[43:44], s[46:47]
	s_delay_alu instid0(VALU_DEP_2) | instskip(NEXT) | instid1(VALU_DEP_2)
	v_fma_f64 v[41:42], v[35:36], v[41:42], s[30:31]
	v_fma_f64 v[43:44], v[37:38], v[43:44], s[48:49]
	s_delay_alu instid0(VALU_DEP_2) | instskip(NEXT) | instid1(VALU_DEP_2)
	;; [unrolled: 3-line block ×4, first 2 shown]
	v_fma_f64 v[35:36], v[35:36], v[41:42], s[92:93]
	v_fma_f64 v[41:42], v[37:38], v[43:44], s[54:55]
	v_ldexp_f64 v[43:44], v[33:34], 1
	v_add_f64 v[33:34], v[33:34], -v[39:40]
	s_delay_alu instid0(VALU_DEP_4)
	v_mul_f64 v[35:36], v[45:46], v[35:36]
	v_cvt_f64_i32_e32 v[45:46], v18
	v_ashrrev_i32_e32 v18, 31, v6
	v_fma_f64 v[41:42], v[37:38], v[41:42], s[56:57]
	v_add_f64 v[29:30], v[29:30], -v[33:34]
	v_add_f64 v[39:40], v[43:44], v[35:36]
	v_mul_f64 v[47:48], v[45:46], s[38:39]
	s_delay_alu instid0(VALU_DEP_4) | instskip(NEXT) | instid1(VALU_DEP_4)
	v_fma_f64 v[41:42], v[37:38], v[41:42], s[58:59]
	v_ldexp_f64 v[29:30], v[29:30], 1
	s_delay_alu instid0(VALU_DEP_4) | instskip(NEXT) | instid1(VALU_DEP_4)
	v_add_f64 v[33:34], v[39:40], -v[43:44]
	v_fma_f64 v[43:44], v[45:46], s[38:39], -v[47:48]
	s_delay_alu instid0(VALU_DEP_4) | instskip(NEXT) | instid1(VALU_DEP_3)
	v_fma_f64 v[41:42], v[37:38], v[41:42], s[60:61]
	v_add_f64 v[33:34], v[35:36], -v[33:34]
	s_delay_alu instid0(VALU_DEP_2) | instskip(NEXT) | instid1(VALU_DEP_4)
	v_fma_f64 v[35:36], v[37:38], v[41:42], s[62:63]
	v_fma_f64 v[41:42], v[45:46], s[40:41], v[43:44]
	s_delay_alu instid0(VALU_DEP_3) | instskip(NEXT) | instid1(VALU_DEP_3)
	v_add_f64 v[29:30], v[29:30], v[33:34]
	v_fma_f64 v[33:34], v[37:38], v[35:36], s[64:65]
	s_delay_alu instid0(VALU_DEP_3) | instskip(NEXT) | instid1(VALU_DEP_3)
	v_add_f64 v[35:36], v[47:48], v[41:42]
	v_add_f64 v[43:44], v[39:40], v[29:30]
	s_delay_alu instid0(VALU_DEP_3) | instskip(NEXT) | instid1(VALU_DEP_3)
	v_fma_f64 v[33:34], v[37:38], v[33:34], s[66:67]
	v_add_f64 v[47:48], v[35:36], -v[47:48]
	s_delay_alu instid0(VALU_DEP_3) | instskip(SKIP_1) | instid1(VALU_DEP_4)
	v_add_f64 v[45:46], v[35:36], v[43:44]
	v_add_f64 v[39:40], v[43:44], -v[39:40]
	v_fma_f64 v[33:34], v[37:38], v[33:34], s[68:69]
	s_delay_alu instid0(VALU_DEP_4) | instskip(NEXT) | instid1(VALU_DEP_4)
	v_add_f64 v[41:42], v[41:42], -v[47:48]
	v_add_f64 v[49:50], v[45:46], -v[35:36]
	s_delay_alu instid0(VALU_DEP_4) | instskip(NEXT) | instid1(VALU_DEP_4)
	v_add_f64 v[29:30], v[29:30], -v[39:40]
	v_fma_f64 v[33:34], v[37:38], v[33:34], s[70:71]
	s_delay_alu instid0(VALU_DEP_3) | instskip(SKIP_1) | instid1(VALU_DEP_4)
	v_add_f64 v[51:52], v[45:46], -v[49:50]
	v_add_f64 v[39:40], v[43:44], -v[49:50]
	v_add_f64 v[43:44], v[41:42], v[29:30]
	s_delay_alu instid0(VALU_DEP_4) | instskip(NEXT) | instid1(VALU_DEP_4)
	v_fma_f64 v[33:34], v[37:38], v[33:34], s[72:73]
	v_add_f64 v[35:36], v[35:36], -v[51:52]
	s_delay_alu instid0(VALU_DEP_2) | instskip(NEXT) | instid1(VALU_DEP_2)
	v_fma_f64 v[33:34], v[37:38], v[33:34], s[74:75]
	v_add_f64 v[35:36], v[39:40], v[35:36]
	v_add_f64 v[39:40], v[43:44], -v[41:42]
	s_delay_alu instid0(VALU_DEP_3) | instskip(NEXT) | instid1(VALU_DEP_3)
	v_fma_f64 v[33:34], v[37:38], v[33:34], s[76:77]
	v_add_f64 v[35:36], v[43:44], v[35:36]
	s_delay_alu instid0(VALU_DEP_3) | instskip(SKIP_1) | instid1(VALU_DEP_4)
	v_add_f64 v[43:44], v[43:44], -v[39:40]
	v_add_f64 v[29:30], v[29:30], -v[39:40]
	v_fma_f64 v[33:34], v[37:38], v[33:34], s[78:79]
	s_delay_alu instid0(VALU_DEP_4) | instskip(NEXT) | instid1(VALU_DEP_4)
	v_add_f64 v[47:48], v[45:46], v[35:36]
	v_add_f64 v[39:40], v[41:42], -v[43:44]
	s_delay_alu instid0(VALU_DEP_3) | instskip(NEXT) | instid1(VALU_DEP_3)
	v_fma_f64 v[33:34], v[37:38], v[33:34], s[80:81]
	v_add_f64 v[41:42], v[47:48], -v[45:46]
	s_delay_alu instid0(VALU_DEP_3) | instskip(NEXT) | instid1(VALU_DEP_3)
	v_add_f64 v[29:30], v[29:30], v[39:40]
	v_mul_f64 v[33:34], v[37:38], v[33:34]
	s_delay_alu instid0(VALU_DEP_3) | instskip(NEXT) | instid1(VALU_DEP_2)
	v_add_f64 v[35:36], v[35:36], -v[41:42]
	v_fma_f64 v[31:32], v[31:32], v[33:34], v[31:32]
	s_delay_alu instid0(VALU_DEP_2) | instskip(NEXT) | instid1(VALU_DEP_2)
	v_add_f64 v[29:30], v[29:30], v[35:36]
	v_add_f64 v[33:34], -v[31:32], s[82:83]
	s_delay_alu instid0(VALU_DEP_2) | instskip(NEXT) | instid1(VALU_DEP_2)
	v_add_f64 v[26:27], v[47:48], v[29:30]
	v_cndmask_b32_e64 v29, v32, v34, s2
	s_delay_alu instid0(VALU_DEP_3) | instskip(SKIP_1) | instid1(VALU_DEP_2)
	v_cndmask_b32_e64 v28, v31, v33, s2
	v_cmp_eq_f64_e64 s2, 0, v[7:8]
	v_add_f64 v[30:31], -v[28:29], s[12:13]
	v_dual_cndmask_b32 v27, v27, v53 :: v_dual_cndmask_b32 v26, v26, v23
	v_and_b32_e32 v23, 0x54442d18, v18
	v_cmp_gt_i32_e32 vcc_lo, 0, v6
	s_delay_alu instid0(VALU_DEP_3) | instskip(SKIP_3) | instid1(VALU_DEP_2)
	v_add_f64 v[26:27], v[26:27], 1.0
	v_cndmask_b32_e32 v32, 0x54442d18, v55, vcc_lo
	v_cndmask_b32_e32 v28, v28, v30, vcc_lo
	;; [unrolled: 1-line block ×3, first 2 shown]
	v_cndmask_b32_e64 v28, v28, v23, s2
	v_and_b32_e32 v6, 0x400921fb, v18
	v_cndmask_b32_e32 v18, v29, v31, vcc_lo
	v_cmp_ngt_f64_e32 vcc_lo, 0, v[24:25]
	v_bfi_b32 v5, 0x7fffffff, v5, v8
	s_delay_alu instid0(VALU_DEP_3) | instskip(SKIP_3) | instid1(VALU_DEP_1)
	v_cndmask_b32_e64 v6, v18, v6, s2
	v_cmp_nge_f64_e64 s2, 0, v[24:25]
	v_cndmask_b32_e64 v18, v26, 0, s6
	v_cndmask_b32_e64 v27, v27, 0x7ff00000, s6
	v_cndmask_b32_e32 v27, 0x7ff80000, v27, vcc_lo
	s_and_b32 vcc_lo, s4, s3
	v_cndmask_b32_e32 v26, v6, v5, vcc_lo
	v_cndmask_b32_e64 v23, 0, v18, s2
	v_cmp_neq_f64_e64 s2, 0, v[24:25]
	v_cndmask_b32_e32 v25, v28, v32, vcc_lo
	s_delay_alu instid0(VALU_DEP_2)
	v_cndmask_b32_e64 v24, 0xfff00000, v27, s2
.LBB192_32:                             ;   in Loop: Header=BB192_5 Depth=1
	s_or_b32 exec_lo, exec_lo, s5
.LBB192_33:                             ;   in Loop: Header=BB192_5 Depth=1
	s_and_not1_saveexec_b32 s2, s97
	s_cbranch_execz .LBB192_39
; %bb.34:                               ;   in Loop: Header=BB192_5 Depth=1
	v_cmp_ngt_f64_e64 s3, 0x20000000, |v[5:6]|
	v_cmp_ngt_f64_e64 s4, 0x20000000, |v[7:8]|
                                        ; implicit-def: $vgpr27_vgpr28
	s_delay_alu instid0(VALU_DEP_1) | instskip(NEXT) | instid1(SALU_CYCLE_1)
	s_or_b32 s3, s3, s4
	s_and_saveexec_b32 s4, s3
	s_delay_alu instid0(SALU_CYCLE_1)
	s_xor_b32 s3, exec_lo, s4
; %bb.35:                               ;   in Loop: Header=BB192_5 Depth=1
	v_mul_f64 v[23:24], v[7:8], v[7:8]
	s_delay_alu instid0(VALU_DEP_1)
	v_fma_f64 v[27:28], v[5:6], v[5:6], v[23:24]
; %bb.36:                               ;   in Loop: Header=BB192_5 Depth=1
	s_and_not1_saveexec_b32 s3, s3
; %bb.37:                               ;   in Loop: Header=BB192_5 Depth=1
	v_mul_f64 v[23:24], v[7:8], 4.0
	v_mul_f64 v[5:6], v[5:6], 4.0
	s_delay_alu instid0(VALU_DEP_2) | instskip(NEXT) | instid1(VALU_DEP_1)
	v_mul_f64 v[23:24], v[23:24], v[23:24]
	v_fma_f64 v[5:6], v[5:6], v[5:6], v[23:24]
	s_delay_alu instid0(VALU_DEP_1)
	v_ldexp_f64 v[27:28], v[5:6], -4
; %bb.38:                               ;   in Loop: Header=BB192_5 Depth=1
	s_or_b32 exec_lo, exec_lo, s3
	s_delay_alu instid0(VALU_DEP_1) | instskip(SKIP_2) | instid1(VALU_DEP_2)
	v_frexp_mant_f64_e32 v[5:6], v[27:28]
	s_mov_b32 s93, s23
	v_frexp_exp_i32_f64_e32 v7, v[27:28]
	v_cmp_gt_f64_e32 vcc_lo, s[22:23], v[5:6]
	v_cndmask_b32_e64 v18, 0x3ff00000, 2.0, vcc_lo
	s_delay_alu instid0(VALU_DEP_3) | instskip(SKIP_1) | instid1(VALU_DEP_3)
	v_subrev_co_ci_u32_e32 v7, vcc_lo, 0, v7, vcc_lo
	v_cmp_class_f64_e64 vcc_lo, v[27:28], 0x204
	v_mul_f64 v[5:6], v[5:6], v[17:18]
	s_delay_alu instid0(VALU_DEP_1) | instskip(SKIP_1) | instid1(VALU_DEP_2)
	v_add_f64 v[23:24], v[5:6], 1.0
	v_add_f64 v[31:32], v[5:6], -1.0
	v_rcp_f64_e32 v[25:26], v[23:24]
	v_add_f64 v[33:34], v[23:24], -1.0
	s_delay_alu instid0(VALU_DEP_1) | instskip(SKIP_2) | instid1(VALU_DEP_1)
	v_add_f64 v[5:6], v[5:6], -v[33:34]
	s_waitcnt_depctr 0xfff
	v_fma_f64 v[29:30], -v[23:24], v[25:26], 1.0
	v_fma_f64 v[25:26], v[29:30], v[25:26], v[25:26]
	s_delay_alu instid0(VALU_DEP_1) | instskip(NEXT) | instid1(VALU_DEP_1)
	v_fma_f64 v[29:30], -v[23:24], v[25:26], 1.0
	v_fma_f64 v[25:26], v[29:30], v[25:26], v[25:26]
	s_delay_alu instid0(VALU_DEP_1) | instskip(NEXT) | instid1(VALU_DEP_1)
	v_mul_f64 v[29:30], v[31:32], v[25:26]
	v_mul_f64 v[35:36], v[23:24], v[29:30]
	s_delay_alu instid0(VALU_DEP_1) | instskip(NEXT) | instid1(VALU_DEP_1)
	v_fma_f64 v[23:24], v[29:30], v[23:24], -v[35:36]
	v_fma_f64 v[5:6], v[29:30], v[5:6], v[23:24]
	s_delay_alu instid0(VALU_DEP_1) | instskip(NEXT) | instid1(VALU_DEP_1)
	v_add_f64 v[23:24], v[35:36], v[5:6]
	v_add_f64 v[33:34], v[31:32], -v[23:24]
	v_add_f64 v[35:36], v[23:24], -v[35:36]
	s_delay_alu instid0(VALU_DEP_2) | instskip(NEXT) | instid1(VALU_DEP_2)
	v_add_f64 v[31:32], v[31:32], -v[33:34]
	v_add_f64 v[5:6], v[35:36], -v[5:6]
	s_delay_alu instid0(VALU_DEP_2) | instskip(NEXT) | instid1(VALU_DEP_1)
	v_add_f64 v[23:24], v[31:32], -v[23:24]
	v_add_f64 v[5:6], v[5:6], v[23:24]
	s_delay_alu instid0(VALU_DEP_1) | instskip(NEXT) | instid1(VALU_DEP_1)
	v_add_f64 v[5:6], v[33:34], v[5:6]
	v_mul_f64 v[5:6], v[25:26], v[5:6]
	s_delay_alu instid0(VALU_DEP_1) | instskip(NEXT) | instid1(VALU_DEP_1)
	v_add_f64 v[23:24], v[29:30], v[5:6]
	v_mul_f64 v[25:26], v[23:24], v[23:24]
	s_delay_alu instid0(VALU_DEP_1) | instskip(SKIP_1) | instid1(VALU_DEP_2)
	v_fma_f64 v[31:32], v[25:26], s[26:27], s[24:25]
	v_mul_f64 v[33:34], v[23:24], v[25:26]
	v_fma_f64 v[31:32], v[25:26], v[31:32], s[28:29]
	s_delay_alu instid0(VALU_DEP_1) | instskip(NEXT) | instid1(VALU_DEP_1)
	v_fma_f64 v[31:32], v[25:26], v[31:32], s[30:31]
	v_fma_f64 v[31:32], v[25:26], v[31:32], s[34:35]
	s_delay_alu instid0(VALU_DEP_1) | instskip(NEXT) | instid1(VALU_DEP_1)
	v_fma_f64 v[31:32], v[25:26], v[31:32], s[36:37]
	v_fma_f64 v[25:26], v[25:26], v[31:32], s[92:93]
	v_ldexp_f64 v[31:32], v[23:24], 1
	v_add_f64 v[23:24], v[23:24], -v[29:30]
	s_delay_alu instid0(VALU_DEP_3) | instskip(SKIP_1) | instid1(VALU_DEP_3)
	v_mul_f64 v[25:26], v[33:34], v[25:26]
	v_cvt_f64_i32_e32 v[33:34], v7
	v_add_f64 v[5:6], v[5:6], -v[23:24]
	s_delay_alu instid0(VALU_DEP_3) | instskip(NEXT) | instid1(VALU_DEP_3)
	v_add_f64 v[29:30], v[31:32], v[25:26]
	v_mul_f64 v[35:36], v[33:34], s[38:39]
	s_delay_alu instid0(VALU_DEP_3) | instskip(NEXT) | instid1(VALU_DEP_3)
	v_ldexp_f64 v[5:6], v[5:6], 1
	v_add_f64 v[23:24], v[29:30], -v[31:32]
	s_delay_alu instid0(VALU_DEP_3) | instskip(NEXT) | instid1(VALU_DEP_2)
	v_fma_f64 v[31:32], v[33:34], s[38:39], -v[35:36]
	v_add_f64 v[23:24], v[25:26], -v[23:24]
	s_delay_alu instid0(VALU_DEP_2) | instskip(NEXT) | instid1(VALU_DEP_2)
	v_fma_f64 v[25:26], v[33:34], s[40:41], v[31:32]
	v_add_f64 v[5:6], v[5:6], v[23:24]
	s_delay_alu instid0(VALU_DEP_2) | instskip(NEXT) | instid1(VALU_DEP_2)
	v_add_f64 v[23:24], v[35:36], v[25:26]
	v_add_f64 v[31:32], v[29:30], v[5:6]
	s_delay_alu instid0(VALU_DEP_2) | instskip(NEXT) | instid1(VALU_DEP_2)
	v_add_f64 v[35:36], v[23:24], -v[35:36]
	v_add_f64 v[33:34], v[23:24], v[31:32]
	v_add_f64 v[29:30], v[31:32], -v[29:30]
	s_delay_alu instid0(VALU_DEP_3) | instskip(NEXT) | instid1(VALU_DEP_3)
	v_add_f64 v[25:26], v[25:26], -v[35:36]
	v_add_f64 v[37:38], v[33:34], -v[23:24]
	s_delay_alu instid0(VALU_DEP_3) | instskip(NEXT) | instid1(VALU_DEP_2)
	v_add_f64 v[5:6], v[5:6], -v[29:30]
	v_add_f64 v[39:40], v[33:34], -v[37:38]
	;; [unrolled: 1-line block ×3, first 2 shown]
	s_delay_alu instid0(VALU_DEP_3) | instskip(NEXT) | instid1(VALU_DEP_3)
	v_add_f64 v[31:32], v[25:26], v[5:6]
	v_add_f64 v[23:24], v[23:24], -v[39:40]
	s_delay_alu instid0(VALU_DEP_1) | instskip(NEXT) | instid1(VALU_DEP_3)
	v_add_f64 v[23:24], v[29:30], v[23:24]
	v_add_f64 v[29:30], v[31:32], -v[25:26]
	s_delay_alu instid0(VALU_DEP_2) | instskip(NEXT) | instid1(VALU_DEP_2)
	v_add_f64 v[23:24], v[31:32], v[23:24]
	v_add_f64 v[31:32], v[31:32], -v[29:30]
	v_add_f64 v[5:6], v[5:6], -v[29:30]
	s_delay_alu instid0(VALU_DEP_3) | instskip(NEXT) | instid1(VALU_DEP_3)
	v_add_f64 v[35:36], v[33:34], v[23:24]
	v_add_f64 v[25:26], v[25:26], -v[31:32]
	s_delay_alu instid0(VALU_DEP_2) | instskip(NEXT) | instid1(VALU_DEP_2)
	v_add_f64 v[29:30], v[35:36], -v[33:34]
	v_add_f64 v[5:6], v[5:6], v[25:26]
	v_mov_b32_e32 v25, 0
	v_mov_b32_e32 v26, 0x7ff80000
	s_delay_alu instid0(VALU_DEP_4) | instskip(NEXT) | instid1(VALU_DEP_1)
	v_add_f64 v[23:24], v[23:24], -v[29:30]
	v_add_f64 v[5:6], v[5:6], v[23:24]
	s_delay_alu instid0(VALU_DEP_1) | instskip(NEXT) | instid1(VALU_DEP_1)
	v_add_f64 v[5:6], v[35:36], v[5:6]
	v_dual_cndmask_b32 v5, v5, v27 :: v_dual_cndmask_b32 v6, v6, v28
	v_cmp_ngt_f64_e32 vcc_lo, 0, v[27:28]
	s_delay_alu instid0(VALU_DEP_2) | instskip(SKIP_1) | instid1(VALU_DEP_4)
	v_cndmask_b32_e32 v6, 0x7ff80000, v6, vcc_lo
	v_cmp_nge_f64_e32 vcc_lo, 0, v[27:28]
	v_cndmask_b32_e32 v23, 0, v5, vcc_lo
	v_cmp_neq_f64_e32 vcc_lo, 0, v[27:28]
	s_delay_alu instid0(VALU_DEP_4)
	v_cndmask_b32_e32 v24, 0xfff00000, v6, vcc_lo
.LBB192_39:                             ;   in Loop: Header=BB192_5 Depth=1
	s_or_b32 exec_lo, exec_lo, s2
                                        ; implicit-def: $vgpr5_vgpr6
                                        ; implicit-def: $vgpr27_vgpr28
	s_delay_alu instid0(SALU_CYCLE_1)
	s_mov_b32 s2, exec_lo
	s_waitcnt vmcnt(2)
	v_cmpx_o_f64_e32 v[9:10], v[11:12]
	s_xor_b32 s97, exec_lo, s2
	s_cbranch_execz .LBB192_67
; %bb.40:                               ;   in Loop: Header=BB192_5 Depth=1
	v_cmp_lt_f64_e64 s2, |v[9:10]|, |v[11:12]|
	v_and_b32_e32 v7, 0x7fffffff, v10
	v_dual_mov_b32 v29, v11 :: v_dual_and_b32 v18, 0x7fffffff, v12
                                        ; implicit-def: $vgpr5_vgpr6
                                        ; implicit-def: $vgpr27_vgpr28
	s_mov_b32 s3, exec_lo
	s_delay_alu instid0(VALU_DEP_1) | instskip(NEXT) | instid1(VALU_DEP_2)
	v_cndmask_b32_e64 v32, v18, v7, s2
	v_cndmask_b32_e64 v31, v29, v9, s2
	s_delay_alu instid0(VALU_DEP_1)
	v_cmpx_nlt_f64_e32 s[14:15], v[31:32]
	s_xor_b32 s98, exec_lo, s3
	s_cbranch_execz .LBB192_64
; %bb.41:                               ;   in Loop: Header=BB192_5 Depth=1
	v_cndmask_b32_e64 v34, v7, v18, s2
	v_cndmask_b32_e64 v33, v9, v29, s2
                                        ; implicit-def: $vgpr5_vgpr6
                                        ; implicit-def: $vgpr27_vgpr28
	s_mov_b32 s3, exec_lo
	s_delay_alu instid0(VALU_DEP_1)
	v_cmpx_neq_f64_e32 1.0, v[33:34]
	s_xor_b32 s99, exec_lo, s3
	s_cbranch_execz .LBB192_57
; %bb.42:                               ;   in Loop: Header=BB192_5 Depth=1
	v_max_f64 v[5:6], v[31:32], v[31:32]
	v_max_f64 v[27:28], v[33:34], v[33:34]
	s_delay_alu instid0(VALU_DEP_1) | instskip(SKIP_1) | instid1(VALU_DEP_2)
	v_min_f64 v[29:30], v[27:28], v[5:6]
	v_max_f64 v[5:6], v[27:28], v[5:6]
                                        ; implicit-def: $vgpr27_vgpr28
	v_cmp_ngt_f64_e32 vcc_lo, s[18:19], v[29:30]
	s_delay_alu instid0(VALU_DEP_2) | instskip(NEXT) | instid1(VALU_DEP_1)
	v_cmp_nlt_f64_e64 s3, s[20:21], v[5:6]
                                        ; implicit-def: $vgpr5_vgpr6
	s_and_b32 s3, s3, vcc_lo
	s_delay_alu instid0(SALU_CYCLE_1) | instskip(NEXT) | instid1(SALU_CYCLE_1)
	s_and_saveexec_b32 s4, s3
	s_xor_b32 s103, exec_lo, s4
	s_cbranch_execz .LBB192_54
; %bb.43:                               ;   in Loop: Header=BB192_5 Depth=1
                                        ; implicit-def: $vgpr5_vgpr6
                                        ; implicit-def: $vgpr27_vgpr28
	s_mov_b32 s3, exec_lo
	v_cmpx_le_f64_e32 1.0, v[33:34]
	s_xor_b32 s4, exec_lo, s3
	s_cbranch_execz .LBB192_45
; %bb.44:                               ;   in Loop: Header=BB192_5 Depth=1
	v_add_f64 v[5:6], v[33:34], -1.0
	v_add_f64 v[27:28], v[33:34], 1.0
	s_mov_b32 s93, s23
	v_cmp_gt_i32_e64 s3, 0, v10
	s_mov_b32 s12, s82
	v_cmp_class_f64_e64 s6, v[9:10], 0x204
	v_cmp_class_f64_e64 s5, v[11:12], 0x204
	s_delay_alu instid0(VALU_DEP_4) | instskip(NEXT) | instid1(VALU_DEP_1)
	v_mul_f64 v[5:6], v[5:6], v[27:28]
	v_fma_f64 v[6:7], v[31:32], v[31:32], v[5:6]
	s_delay_alu instid0(VALU_DEP_1) | instskip(NEXT) | instid1(VALU_DEP_1)
	v_add_f64 v[27:28], v[6:7], 1.0
	v_frexp_mant_f64_e32 v[29:30], v[27:28]
	v_frexp_exp_i32_f64_e32 v5, v[27:28]
	v_add_f64 v[31:32], v[27:28], -1.0
	s_delay_alu instid0(VALU_DEP_3) | instskip(NEXT) | instid1(VALU_DEP_2)
	v_cmp_gt_f64_e32 vcc_lo, s[22:23], v[29:30]
	v_add_f64 v[29:30], v[31:32], -v[27:28]
	v_add_f64 v[31:32], v[6:7], -v[31:32]
	v_subrev_co_ci_u32_e32 v5, vcc_lo, 0, v5, vcc_lo
	s_delay_alu instid0(VALU_DEP_3) | instskip(NEXT) | instid1(VALU_DEP_2)
	v_add_f64 v[29:30], v[29:30], 1.0
	v_sub_nc_u32_e32 v18, 0, v5
	s_delay_alu instid0(VALU_DEP_1) | instskip(NEXT) | instid1(VALU_DEP_3)
	v_ldexp_f64 v[27:28], v[27:28], v18
	v_add_f64 v[29:30], v[31:32], v[29:30]
	s_delay_alu instid0(VALU_DEP_2) | instskip(SKIP_1) | instid1(VALU_DEP_3)
	v_add_f64 v[33:34], v[27:28], 1.0
	v_add_f64 v[39:40], v[27:28], -1.0
	v_ldexp_f64 v[29:30], v[29:30], v18
	v_cndmask_b32_e64 v18, 0x54442d18, v55, s3
	s_delay_alu instid0(VALU_DEP_4) | instskip(NEXT) | instid1(VALU_DEP_4)
	v_add_f64 v[31:32], v[33:34], -1.0
	v_add_f64 v[41:42], v[39:40], 1.0
	s_delay_alu instid0(VALU_DEP_2) | instskip(NEXT) | instid1(VALU_DEP_2)
	v_add_f64 v[31:32], v[27:28], -v[31:32]
	v_add_f64 v[27:28], v[27:28], -v[41:42]
	s_delay_alu instid0(VALU_DEP_2) | instskip(NEXT) | instid1(VALU_DEP_2)
	v_add_f64 v[31:32], v[29:30], v[31:32]
	v_add_f64 v[27:28], v[29:30], v[27:28]
	s_delay_alu instid0(VALU_DEP_2) | instskip(NEXT) | instid1(VALU_DEP_2)
	v_add_f64 v[35:36], v[33:34], v[31:32]
	v_add_f64 v[41:42], v[39:40], v[27:28]
	s_delay_alu instid0(VALU_DEP_2) | instskip(SKIP_1) | instid1(VALU_DEP_2)
	v_rcp_f64_e32 v[37:38], v[35:36]
	v_add_f64 v[33:34], v[35:36], -v[33:34]
	v_add_f64 v[39:40], v[41:42], -v[39:40]
	s_delay_alu instid0(VALU_DEP_2) | instskip(SKIP_3) | instid1(VALU_DEP_2)
	v_add_f64 v[31:32], v[31:32], -v[33:34]
	s_waitcnt_depctr 0xfff
	v_fma_f64 v[43:44], -v[35:36], v[37:38], 1.0
	v_add_f64 v[27:28], v[27:28], -v[39:40]
	v_fma_f64 v[37:38], v[43:44], v[37:38], v[37:38]
	s_delay_alu instid0(VALU_DEP_1) | instskip(NEXT) | instid1(VALU_DEP_1)
	v_fma_f64 v[29:30], -v[35:36], v[37:38], 1.0
	v_fma_f64 v[29:30], v[29:30], v[37:38], v[37:38]
	s_delay_alu instid0(VALU_DEP_1) | instskip(NEXT) | instid1(VALU_DEP_1)
	v_mul_f64 v[37:38], v[41:42], v[29:30]
	v_mul_f64 v[43:44], v[35:36], v[37:38]
	s_delay_alu instid0(VALU_DEP_1) | instskip(NEXT) | instid1(VALU_DEP_1)
	v_fma_f64 v[33:34], v[37:38], v[35:36], -v[43:44]
	v_fma_f64 v[33:34], v[37:38], v[31:32], v[33:34]
	s_delay_alu instid0(VALU_DEP_1) | instskip(NEXT) | instid1(VALU_DEP_1)
	v_add_f64 v[45:46], v[43:44], v[33:34]
	v_add_f64 v[47:48], v[41:42], -v[45:46]
	v_add_f64 v[39:40], v[45:46], -v[43:44]
	v_max_f64 v[43:44], |v[11:12]|, |v[11:12]|
	s_delay_alu instid0(VALU_DEP_3) | instskip(NEXT) | instid1(VALU_DEP_3)
	v_add_f64 v[41:42], v[41:42], -v[47:48]
	v_add_f64 v[33:34], v[39:40], -v[33:34]
	s_delay_alu instid0(VALU_DEP_2) | instskip(SKIP_2) | instid1(VALU_DEP_1)
	v_add_f64 v[41:42], v[41:42], -v[45:46]
	v_max_f64 v[45:46], |v[9:10]|, |v[9:10]|
	v_cndmask_b32_e64 v9, 0x3fe921fb, v56, s3
	v_bfi_b32 v9, 0x7fffffff, v9, v12
	s_delay_alu instid0(VALU_DEP_4) | instskip(NEXT) | instid1(VALU_DEP_4)
	v_add_f64 v[27:28], v[27:28], v[41:42]
	v_max_f64 v[49:50], v[45:46], v[43:44]
	v_min_f64 v[43:44], v[45:46], v[43:44]
	s_delay_alu instid0(VALU_DEP_3) | instskip(NEXT) | instid1(VALU_DEP_1)
	v_add_f64 v[27:28], v[33:34], v[27:28]
	v_add_f64 v[33:34], v[47:48], v[27:28]
	s_delay_alu instid0(VALU_DEP_1) | instskip(SKIP_1) | instid1(VALU_DEP_2)
	v_mul_f64 v[39:40], v[29:30], v[33:34]
	v_add_f64 v[47:48], v[47:48], -v[33:34]
	v_mul_f64 v[41:42], v[35:36], v[39:40]
	s_delay_alu instid0(VALU_DEP_2) | instskip(NEXT) | instid1(VALU_DEP_2)
	v_add_f64 v[27:28], v[27:28], v[47:48]
	v_fma_f64 v[35:36], v[39:40], v[35:36], -v[41:42]
	s_delay_alu instid0(VALU_DEP_1) | instskip(SKIP_1) | instid1(VALU_DEP_2)
	v_fma_f64 v[31:32], v[39:40], v[31:32], v[35:36]
	v_div_scale_f64 v[35:36], null, v[49:50], v[49:50], v[43:44]
	v_add_f64 v[45:46], v[41:42], v[31:32]
	s_delay_alu instid0(VALU_DEP_2) | instskip(NEXT) | instid1(VALU_DEP_1)
	v_rcp_f64_e32 v[51:52], v[35:36]
	v_add_f64 v[53:54], v[33:34], -v[45:46]
	v_add_f64 v[41:42], v[45:46], -v[41:42]
	s_waitcnt_depctr 0xfff
	v_fma_f64 v[57:58], -v[35:36], v[51:52], 1.0
	v_add_f64 v[33:34], v[33:34], -v[53:54]
	v_add_f64 v[31:32], v[41:42], -v[31:32]
	s_delay_alu instid0(VALU_DEP_3) | instskip(NEXT) | instid1(VALU_DEP_3)
	v_fma_f64 v[51:52], v[51:52], v[57:58], v[51:52]
	v_add_f64 v[33:34], v[33:34], -v[45:46]
	s_delay_alu instid0(VALU_DEP_2) | instskip(NEXT) | instid1(VALU_DEP_2)
	v_fma_f64 v[45:46], -v[35:36], v[51:52], 1.0
	v_add_f64 v[27:28], v[27:28], v[33:34]
	v_div_scale_f64 v[33:34], vcc_lo, v[43:44], v[49:50], v[43:44]
	s_delay_alu instid0(VALU_DEP_3) | instskip(SKIP_1) | instid1(VALU_DEP_4)
	v_fma_f64 v[41:42], v[51:52], v[45:46], v[51:52]
	v_add_f64 v[45:46], v[37:38], v[39:40]
	v_add_f64 v[27:28], v[31:32], v[27:28]
	s_delay_alu instid0(VALU_DEP_3) | instskip(NEXT) | instid1(VALU_DEP_3)
	v_mul_f64 v[31:32], v[33:34], v[41:42]
	v_add_f64 v[37:38], v[45:46], -v[37:38]
	s_delay_alu instid0(VALU_DEP_3) | instskip(NEXT) | instid1(VALU_DEP_3)
	v_add_f64 v[27:28], v[53:54], v[27:28]
	v_fma_f64 v[33:34], -v[35:36], v[31:32], v[33:34]
	s_delay_alu instid0(VALU_DEP_3) | instskip(NEXT) | instid1(VALU_DEP_3)
	v_add_f64 v[35:36], v[39:40], -v[37:38]
	v_mul_f64 v[27:28], v[29:30], v[27:28]
	s_delay_alu instid0(VALU_DEP_3) | instskip(SKIP_1) | instid1(VALU_DEP_3)
	v_div_fmas_f64 v[29:30], v[33:34], v[41:42], v[31:32]
	v_cmp_eq_f64_e32 vcc_lo, 0x7ff00000, v[6:7]
	v_add_f64 v[27:28], v[35:36], v[27:28]
	s_delay_alu instid0(VALU_DEP_3) | instskip(NEXT) | instid1(VALU_DEP_2)
	v_div_fixup_f64 v[29:30], v[29:30], v[49:50], v[43:44]
	v_add_f64 v[31:32], v[45:46], v[27:28]
	s_delay_alu instid0(VALU_DEP_2) | instskip(NEXT) | instid1(VALU_DEP_2)
	v_mul_f64 v[33:34], v[29:30], v[29:30]
	v_mul_f64 v[35:36], v[31:32], v[31:32]
	s_delay_alu instid0(VALU_DEP_2) | instskip(NEXT) | instid1(VALU_DEP_2)
	v_fma_f64 v[37:38], v[33:34], s[44:45], s[42:43]
	v_fma_f64 v[39:40], v[35:36], s[26:27], s[24:25]
	v_mul_f64 v[41:42], v[31:32], v[35:36]
	s_delay_alu instid0(VALU_DEP_3) | instskip(NEXT) | instid1(VALU_DEP_3)
	v_fma_f64 v[37:38], v[33:34], v[37:38], s[46:47]
	v_fma_f64 v[39:40], v[35:36], v[39:40], s[28:29]
	s_delay_alu instid0(VALU_DEP_2) | instskip(NEXT) | instid1(VALU_DEP_2)
	v_fma_f64 v[37:38], v[33:34], v[37:38], s[48:49]
	v_fma_f64 v[39:40], v[35:36], v[39:40], s[30:31]
	s_delay_alu instid0(VALU_DEP_2) | instskip(NEXT) | instid1(VALU_DEP_2)
	v_fma_f64 v[37:38], v[33:34], v[37:38], s[50:51]
	v_fma_f64 v[39:40], v[35:36], v[39:40], s[34:35]
	s_delay_alu instid0(VALU_DEP_2) | instskip(NEXT) | instid1(VALU_DEP_2)
	v_fma_f64 v[37:38], v[33:34], v[37:38], s[52:53]
	v_fma_f64 v[39:40], v[35:36], v[39:40], s[36:37]
	s_delay_alu instid0(VALU_DEP_2) | instskip(NEXT) | instid1(VALU_DEP_2)
	v_fma_f64 v[37:38], v[33:34], v[37:38], s[54:55]
	v_fma_f64 v[35:36], v[35:36], v[39:40], s[92:93]
	v_ldexp_f64 v[39:40], v[31:32], 1
	v_add_f64 v[31:32], v[31:32], -v[45:46]
	s_delay_alu instid0(VALU_DEP_4) | instskip(NEXT) | instid1(VALU_DEP_4)
	v_fma_f64 v[37:38], v[33:34], v[37:38], s[56:57]
	v_mul_f64 v[35:36], v[41:42], v[35:36]
	v_cvt_f64_i32_e32 v[41:42], v5
	s_delay_alu instid0(VALU_DEP_4) | instskip(NEXT) | instid1(VALU_DEP_4)
	v_add_f64 v[27:28], v[27:28], -v[31:32]
	v_fma_f64 v[37:38], v[33:34], v[37:38], s[58:59]
	v_ashrrev_i32_e32 v5, 31, v10
	v_add_f64 v[43:44], v[39:40], v[35:36]
	v_mul_f64 v[45:46], v[41:42], s[38:39]
	v_ldexp_f64 v[27:28], v[27:28], 1
	v_fma_f64 v[37:38], v[33:34], v[37:38], s[60:61]
	s_delay_alu instid0(VALU_DEP_4) | instskip(NEXT) | instid1(VALU_DEP_4)
	v_add_f64 v[31:32], v[43:44], -v[39:40]
	v_fma_f64 v[39:40], v[41:42], s[38:39], -v[45:46]
	s_delay_alu instid0(VALU_DEP_3) | instskip(NEXT) | instid1(VALU_DEP_3)
	v_fma_f64 v[37:38], v[33:34], v[37:38], s[62:63]
	v_add_f64 v[31:32], v[35:36], -v[31:32]
	s_delay_alu instid0(VALU_DEP_2) | instskip(NEXT) | instid1(VALU_DEP_4)
	v_fma_f64 v[35:36], v[33:34], v[37:38], s[64:65]
	v_fma_f64 v[37:38], v[41:42], s[40:41], v[39:40]
	s_delay_alu instid0(VALU_DEP_3) | instskip(NEXT) | instid1(VALU_DEP_3)
	v_add_f64 v[27:28], v[27:28], v[31:32]
	v_fma_f64 v[31:32], v[33:34], v[35:36], s[66:67]
	s_delay_alu instid0(VALU_DEP_3) | instskip(NEXT) | instid1(VALU_DEP_3)
	v_add_f64 v[35:36], v[45:46], v[37:38]
	v_add_f64 v[39:40], v[43:44], v[27:28]
	s_delay_alu instid0(VALU_DEP_3) | instskip(NEXT) | instid1(VALU_DEP_3)
	v_fma_f64 v[31:32], v[33:34], v[31:32], s[68:69]
	v_add_f64 v[45:46], v[35:36], -v[45:46]
	s_delay_alu instid0(VALU_DEP_3) | instskip(SKIP_1) | instid1(VALU_DEP_4)
	v_add_f64 v[41:42], v[35:36], v[39:40]
	v_add_f64 v[43:44], v[39:40], -v[43:44]
	v_fma_f64 v[31:32], v[33:34], v[31:32], s[70:71]
	s_delay_alu instid0(VALU_DEP_4) | instskip(NEXT) | instid1(VALU_DEP_4)
	v_add_f64 v[37:38], v[37:38], -v[45:46]
	v_add_f64 v[47:48], v[41:42], -v[35:36]
	s_delay_alu instid0(VALU_DEP_4) | instskip(NEXT) | instid1(VALU_DEP_4)
	v_add_f64 v[27:28], v[27:28], -v[43:44]
	v_fma_f64 v[31:32], v[33:34], v[31:32], s[72:73]
	s_delay_alu instid0(VALU_DEP_3) | instskip(SKIP_1) | instid1(VALU_DEP_4)
	v_add_f64 v[49:50], v[41:42], -v[47:48]
	v_add_f64 v[39:40], v[39:40], -v[47:48]
	v_add_f64 v[43:44], v[37:38], v[27:28]
	s_delay_alu instid0(VALU_DEP_4) | instskip(NEXT) | instid1(VALU_DEP_4)
	v_fma_f64 v[31:32], v[33:34], v[31:32], s[74:75]
	v_add_f64 v[35:36], v[35:36], -v[49:50]
	s_delay_alu instid0(VALU_DEP_2) | instskip(NEXT) | instid1(VALU_DEP_2)
	v_fma_f64 v[31:32], v[33:34], v[31:32], s[76:77]
	v_add_f64 v[35:36], v[39:40], v[35:36]
	v_add_f64 v[39:40], v[43:44], -v[37:38]
	s_delay_alu instid0(VALU_DEP_3) | instskip(NEXT) | instid1(VALU_DEP_3)
	v_fma_f64 v[31:32], v[33:34], v[31:32], s[78:79]
	v_add_f64 v[35:36], v[43:44], v[35:36]
	s_delay_alu instid0(VALU_DEP_3) | instskip(SKIP_1) | instid1(VALU_DEP_4)
	v_add_f64 v[43:44], v[43:44], -v[39:40]
	v_add_f64 v[27:28], v[27:28], -v[39:40]
	v_fma_f64 v[31:32], v[33:34], v[31:32], s[80:81]
	s_delay_alu instid0(VALU_DEP_4) | instskip(NEXT) | instid1(VALU_DEP_2)
	v_add_f64 v[45:46], v[41:42], v[35:36]
	v_mul_f64 v[31:32], v[33:34], v[31:32]
	v_add_f64 v[33:34], v[37:38], -v[43:44]
	s_delay_alu instid0(VALU_DEP_3) | instskip(NEXT) | instid1(VALU_DEP_3)
	v_add_f64 v[37:38], v[45:46], -v[41:42]
	v_fma_f64 v[29:30], v[29:30], v[31:32], v[29:30]
	s_delay_alu instid0(VALU_DEP_3) | instskip(NEXT) | instid1(VALU_DEP_3)
	v_add_f64 v[27:28], v[27:28], v[33:34]
	v_add_f64 v[31:32], v[35:36], -v[37:38]
	s_delay_alu instid0(VALU_DEP_3) | instskip(NEXT) | instid1(VALU_DEP_2)
	v_add_f64 v[33:34], -v[29:30], s[82:83]
	v_add_f64 v[27:28], v[27:28], v[31:32]
	s_delay_alu instid0(VALU_DEP_2) | instskip(NEXT) | instid1(VALU_DEP_3)
	v_cndmask_b32_e64 v30, v30, v34, s2
	v_cndmask_b32_e64 v29, v29, v33, s2
	s_delay_alu instid0(VALU_DEP_1) | instskip(NEXT) | instid1(VALU_DEP_4)
	v_add_f64 v[31:32], -v[29:30], s[12:13]
	v_add_f64 v[27:28], v[45:46], v[27:28]
	v_and_b32_e32 v33, 0x54442d18, v5
	v_and_b32_e32 v5, 0x400921fb, v5
	s_delay_alu instid0(VALU_DEP_4) | instskip(SKIP_4) | instid1(VALU_DEP_2)
	v_cndmask_b32_e64 v29, v29, v31, s3
	v_cndmask_b32_e64 v10, v30, v32, s3
	v_cmp_nge_f64_e64 s3, -1.0, v[6:7]
                                        ; implicit-def: $vgpr31_vgpr32
	v_dual_cndmask_b32 v28, v28, v7 :: v_dual_cndmask_b32 v27, v27, v6
	v_cmp_eq_f64_e32 vcc_lo, 0, v[11:12]
	v_mul_f64 v[27:28], v[27:28], 0.5
	v_cndmask_b32_e32 v29, v29, v33, vcc_lo
	v_cndmask_b32_e32 v5, v10, v5, vcc_lo
	v_cmp_ngt_f64_e32 vcc_lo, -1.0, v[6:7]
                                        ; implicit-def: $vgpr33_vgpr34
	s_delay_alu instid0(VALU_DEP_4) | instskip(SKIP_1) | instid1(VALU_DEP_3)
	v_cndmask_b32_e32 v10, 0x7ff80000, v28, vcc_lo
	s_and_b32 vcc_lo, s6, s5
	v_cndmask_b32_e32 v28, v5, v9, vcc_lo
	v_cndmask_b32_e64 v5, 0, v27, s3
	v_cmp_neq_f64_e64 s3, -1.0, v[6:7]
	v_cndmask_b32_e32 v27, v29, v18, vcc_lo
	s_delay_alu instid0(VALU_DEP_2)
	v_cndmask_b32_e64 v6, 0xfff00000, v10, s3
.LBB192_45:                             ;   in Loop: Header=BB192_5 Depth=1
	s_and_not1_saveexec_b32 s104, s4
	s_cbranch_execz .LBB192_53
; %bb.46:                               ;   in Loop: Header=BB192_5 Depth=1
	v_mul_f64 v[5:6], v[31:32], v[31:32]
                                        ; implicit-def: $vgpr27_vgpr28
	s_mov_b32 s3, exec_lo
	s_delay_alu instid0(VALU_DEP_1) | instskip(NEXT) | instid1(VALU_DEP_1)
	v_fma_f64 v[29:30], v[33:34], v[33:34], v[5:6]
                                        ; implicit-def: $vgpr5_vgpr6
	v_cmpx_ge_f64_e32 s[84:85], v[29:30]
	s_xor_b32 s5, exec_lo, s3
	s_cbranch_execz .LBB192_48
; %bb.47:                               ;   in Loop: Header=BB192_5 Depth=1
	v_frexp_mant_f64_e32 v[5:6], v[29:30]
	v_max_f64 v[37:38], |v[9:10]|, |v[9:10]|
	s_mov_b32 s93, s23
	v_frexp_exp_i32_f64_e32 v7, v[29:30]
	s_mov_b32 s12, s82
	v_cmp_class_f64_e64 s6, v[11:12], 0x204
	v_cmp_class_f64_e64 s7, v[9:10], 0x204
	v_cmp_neq_f64_e64 s4, 0, v[29:30]
	v_cmp_gt_f64_e64 s3, s[22:23], v[5:6]
	s_delay_alu instid0(VALU_DEP_1) | instskip(NEXT) | instid1(VALU_DEP_1)
	v_cndmask_b32_e64 v18, 0x3ff00000, 2.0, s3
	v_mul_f64 v[5:6], v[5:6], v[17:18]
	s_delay_alu instid0(VALU_DEP_1) | instskip(SKIP_1) | instid1(VALU_DEP_2)
	v_add_f64 v[27:28], v[5:6], 1.0
	v_add_f64 v[35:36], v[5:6], -1.0
	v_rcp_f64_e32 v[31:32], v[27:28]
	s_waitcnt_depctr 0xfff
	v_fma_f64 v[33:34], -v[27:28], v[31:32], 1.0
	s_delay_alu instid0(VALU_DEP_1) | instskip(NEXT) | instid1(VALU_DEP_1)
	v_fma_f64 v[31:32], v[33:34], v[31:32], v[31:32]
	v_fma_f64 v[33:34], -v[27:28], v[31:32], 1.0
	s_delay_alu instid0(VALU_DEP_1) | instskip(SKIP_1) | instid1(VALU_DEP_2)
	v_fma_f64 v[31:32], v[33:34], v[31:32], v[31:32]
	v_max_f64 v[33:34], |v[11:12]|, |v[11:12]|
	v_mul_f64 v[39:40], v[35:36], v[31:32]
	s_delay_alu instid0(VALU_DEP_2) | instskip(SKIP_2) | instid1(VALU_DEP_4)
	v_max_f64 v[41:42], v[37:38], v[33:34]
	v_min_f64 v[33:34], v[37:38], v[33:34]
	v_add_f64 v[37:38], v[27:28], -1.0
	v_mul_f64 v[43:44], v[27:28], v[39:40]
	s_delay_alu instid0(VALU_DEP_3) | instskip(NEXT) | instid1(VALU_DEP_3)
	v_div_scale_f64 v[45:46], null, v[41:42], v[41:42], v[33:34]
	v_add_f64 v[5:6], v[5:6], -v[37:38]
	v_div_scale_f64 v[51:52], vcc_lo, v[33:34], v[41:42], v[33:34]
	s_delay_alu instid0(VALU_DEP_4) | instskip(NEXT) | instid1(VALU_DEP_4)
	v_fma_f64 v[27:28], v[39:40], v[27:28], -v[43:44]
	v_rcp_f64_e32 v[37:38], v[45:46]
	s_delay_alu instid0(VALU_DEP_1) | instskip(SKIP_3) | instid1(VALU_DEP_2)
	v_fma_f64 v[5:6], v[39:40], v[5:6], v[27:28]
	s_waitcnt_depctr 0xfff
	v_fma_f64 v[27:28], -v[45:46], v[37:38], 1.0
	v_add_f64 v[47:48], v[43:44], v[5:6]
	v_fma_f64 v[27:28], v[37:38], v[27:28], v[37:38]
	s_delay_alu instid0(VALU_DEP_2) | instskip(SKIP_1) | instid1(VALU_DEP_3)
	v_add_f64 v[37:38], v[35:36], -v[47:48]
	v_add_f64 v[43:44], v[47:48], -v[43:44]
	v_fma_f64 v[49:50], -v[45:46], v[27:28], 1.0
	s_delay_alu instid0(VALU_DEP_3) | instskip(NEXT) | instid1(VALU_DEP_3)
	v_add_f64 v[35:36], v[35:36], -v[37:38]
	v_add_f64 v[5:6], v[43:44], -v[5:6]
	s_delay_alu instid0(VALU_DEP_3) | instskip(NEXT) | instid1(VALU_DEP_3)
	v_fma_f64 v[27:28], v[27:28], v[49:50], v[27:28]
	v_add_f64 v[35:36], v[35:36], -v[47:48]
	s_delay_alu instid0(VALU_DEP_2) | instskip(NEXT) | instid1(VALU_DEP_2)
	v_mul_f64 v[43:44], v[51:52], v[27:28]
	v_add_f64 v[5:6], v[5:6], v[35:36]
	s_delay_alu instid0(VALU_DEP_2) | instskip(NEXT) | instid1(VALU_DEP_2)
	v_fma_f64 v[35:36], -v[45:46], v[43:44], v[51:52]
	v_add_f64 v[5:6], v[37:38], v[5:6]
	s_delay_alu instid0(VALU_DEP_2)
	v_div_fmas_f64 v[27:28], v[35:36], v[27:28], v[43:44]
	v_subrev_co_ci_u32_e64 v7, vcc_lo, 0, v7, s3
	v_cmp_eq_f64_e64 s3, 0, v[11:12]
	v_cmp_gt_i32_e32 vcc_lo, 0, v10
	v_cndmask_b32_e32 v9, 0x3fe921fb, v56, vcc_lo
	v_cndmask_b32_e32 v18, 0x54442d18, v55, vcc_lo
	s_delay_alu instid0(VALU_DEP_2) | instskip(SKIP_2) | instid1(VALU_DEP_2)
	v_bfi_b32 v9, 0x7fffffff, v9, v12
	v_mul_f64 v[5:6], v[31:32], v[5:6]
	v_div_fixup_f64 v[27:28], v[27:28], v[41:42], v[33:34]
	v_add_f64 v[31:32], v[39:40], v[5:6]
	s_delay_alu instid0(VALU_DEP_2) | instskip(NEXT) | instid1(VALU_DEP_2)
	v_mul_f64 v[33:34], v[27:28], v[27:28]
	v_mul_f64 v[35:36], v[31:32], v[31:32]
	s_delay_alu instid0(VALU_DEP_2) | instskip(NEXT) | instid1(VALU_DEP_2)
	v_fma_f64 v[37:38], v[33:34], s[44:45], s[42:43]
	v_fma_f64 v[41:42], v[35:36], s[26:27], s[24:25]
	v_mul_f64 v[43:44], v[31:32], v[35:36]
	s_delay_alu instid0(VALU_DEP_3) | instskip(NEXT) | instid1(VALU_DEP_3)
	v_fma_f64 v[37:38], v[33:34], v[37:38], s[46:47]
	v_fma_f64 v[41:42], v[35:36], v[41:42], s[28:29]
	s_delay_alu instid0(VALU_DEP_2) | instskip(NEXT) | instid1(VALU_DEP_2)
	v_fma_f64 v[37:38], v[33:34], v[37:38], s[48:49]
	v_fma_f64 v[41:42], v[35:36], v[41:42], s[30:31]
	s_delay_alu instid0(VALU_DEP_2) | instskip(NEXT) | instid1(VALU_DEP_2)
	;; [unrolled: 3-line block ×4, first 2 shown]
	v_fma_f64 v[37:38], v[33:34], v[37:38], s[54:55]
	v_fma_f64 v[35:36], v[35:36], v[41:42], s[92:93]
	v_ldexp_f64 v[41:42], v[31:32], 1
	v_add_f64 v[31:32], v[31:32], -v[39:40]
	s_delay_alu instid0(VALU_DEP_4) | instskip(NEXT) | instid1(VALU_DEP_4)
	v_fma_f64 v[37:38], v[33:34], v[37:38], s[56:57]
	v_mul_f64 v[35:36], v[43:44], v[35:36]
	v_cvt_f64_i32_e32 v[43:44], v7
	s_delay_alu instid0(VALU_DEP_4)
	v_add_f64 v[5:6], v[5:6], -v[31:32]
	v_ashrrev_i32_e32 v7, 31, v10
	v_fma_f64 v[37:38], v[33:34], v[37:38], s[58:59]
	v_add_f64 v[39:40], v[41:42], v[35:36]
	v_mul_f64 v[45:46], v[43:44], s[38:39]
	v_ldexp_f64 v[5:6], v[5:6], 1
	s_delay_alu instid0(VALU_DEP_4) | instskip(NEXT) | instid1(VALU_DEP_4)
	v_fma_f64 v[37:38], v[33:34], v[37:38], s[60:61]
	v_add_f64 v[31:32], v[39:40], -v[41:42]
	s_delay_alu instid0(VALU_DEP_4) | instskip(NEXT) | instid1(VALU_DEP_3)
	v_fma_f64 v[41:42], v[43:44], s[38:39], -v[45:46]
	v_fma_f64 v[37:38], v[33:34], v[37:38], s[62:63]
	s_delay_alu instid0(VALU_DEP_3) | instskip(NEXT) | instid1(VALU_DEP_2)
	v_add_f64 v[31:32], v[35:36], -v[31:32]
	v_fma_f64 v[35:36], v[33:34], v[37:38], s[64:65]
	s_delay_alu instid0(VALU_DEP_4) | instskip(NEXT) | instid1(VALU_DEP_3)
	v_fma_f64 v[37:38], v[43:44], s[40:41], v[41:42]
	v_add_f64 v[5:6], v[5:6], v[31:32]
	s_delay_alu instid0(VALU_DEP_3) | instskip(NEXT) | instid1(VALU_DEP_3)
	v_fma_f64 v[31:32], v[33:34], v[35:36], s[66:67]
	v_add_f64 v[35:36], v[45:46], v[37:38]
	s_delay_alu instid0(VALU_DEP_3) | instskip(NEXT) | instid1(VALU_DEP_3)
	v_add_f64 v[41:42], v[39:40], v[5:6]
	v_fma_f64 v[31:32], v[33:34], v[31:32], s[68:69]
	s_delay_alu instid0(VALU_DEP_3) | instskip(NEXT) | instid1(VALU_DEP_3)
	v_add_f64 v[45:46], v[35:36], -v[45:46]
	v_add_f64 v[43:44], v[35:36], v[41:42]
	v_add_f64 v[39:40], v[41:42], -v[39:40]
	s_delay_alu instid0(VALU_DEP_4) | instskip(NEXT) | instid1(VALU_DEP_4)
	v_fma_f64 v[31:32], v[33:34], v[31:32], s[70:71]
	v_add_f64 v[37:38], v[37:38], -v[45:46]
	s_delay_alu instid0(VALU_DEP_4) | instskip(NEXT) | instid1(VALU_DEP_4)
	v_add_f64 v[47:48], v[43:44], -v[35:36]
	v_add_f64 v[5:6], v[5:6], -v[39:40]
	s_delay_alu instid0(VALU_DEP_4) | instskip(NEXT) | instid1(VALU_DEP_3)
	v_fma_f64 v[31:32], v[33:34], v[31:32], s[72:73]
	v_add_f64 v[49:50], v[43:44], -v[47:48]
	v_add_f64 v[39:40], v[41:42], -v[47:48]
	s_delay_alu instid0(VALU_DEP_4) | instskip(NEXT) | instid1(VALU_DEP_4)
	v_add_f64 v[41:42], v[37:38], v[5:6]
	v_fma_f64 v[31:32], v[33:34], v[31:32], s[74:75]
	s_delay_alu instid0(VALU_DEP_4) | instskip(NEXT) | instid1(VALU_DEP_2)
	v_add_f64 v[35:36], v[35:36], -v[49:50]
	v_fma_f64 v[31:32], v[33:34], v[31:32], s[76:77]
	s_delay_alu instid0(VALU_DEP_2) | instskip(SKIP_1) | instid1(VALU_DEP_3)
	v_add_f64 v[35:36], v[39:40], v[35:36]
	v_add_f64 v[39:40], v[41:42], -v[37:38]
	v_fma_f64 v[31:32], v[33:34], v[31:32], s[78:79]
	s_delay_alu instid0(VALU_DEP_3) | instskip(NEXT) | instid1(VALU_DEP_3)
	v_add_f64 v[35:36], v[41:42], v[35:36]
	v_add_f64 v[41:42], v[41:42], -v[39:40]
	v_add_f64 v[5:6], v[5:6], -v[39:40]
	s_delay_alu instid0(VALU_DEP_4) | instskip(NEXT) | instid1(VALU_DEP_4)
	v_fma_f64 v[31:32], v[33:34], v[31:32], s[80:81]
	v_add_f64 v[45:46], v[43:44], v[35:36]
	s_delay_alu instid0(VALU_DEP_2) | instskip(SKIP_1) | instid1(VALU_DEP_3)
	v_mul_f64 v[31:32], v[33:34], v[31:32]
	v_add_f64 v[33:34], v[37:38], -v[41:42]
	v_add_f64 v[37:38], v[45:46], -v[43:44]
	s_delay_alu instid0(VALU_DEP_3) | instskip(NEXT) | instid1(VALU_DEP_3)
	v_fma_f64 v[27:28], v[27:28], v[31:32], v[27:28]
	v_add_f64 v[5:6], v[5:6], v[33:34]
	s_delay_alu instid0(VALU_DEP_3) | instskip(NEXT) | instid1(VALU_DEP_3)
	v_add_f64 v[31:32], v[35:36], -v[37:38]
	v_add_f64 v[33:34], -v[27:28], s[82:83]
	s_delay_alu instid0(VALU_DEP_2) | instskip(NEXT) | instid1(VALU_DEP_2)
	v_add_f64 v[5:6], v[5:6], v[31:32]
	v_cndmask_b32_e64 v28, v28, v34, s2
	s_delay_alu instid0(VALU_DEP_3) | instskip(NEXT) | instid1(VALU_DEP_1)
	v_cndmask_b32_e64 v27, v27, v33, s2
	v_add_f64 v[31:32], -v[27:28], s[12:13]
	v_and_b32_e32 v33, 0x54442d18, v7
	v_and_b32_e32 v7, 0x400921fb, v7
	v_add_f64 v[5:6], v[45:46], v[5:6]
	s_delay_alu instid0(VALU_DEP_4) | instskip(SKIP_1) | instid1(VALU_DEP_1)
	v_dual_cndmask_b32 v10, v28, v32 :: v_dual_cndmask_b32 v27, v27, v31
	s_and_b32 vcc_lo, s7, s6
                                        ; implicit-def: $vgpr31_vgpr32
	v_cndmask_b32_e64 v7, v10, v7, s3
	s_delay_alu instid0(VALU_DEP_2) | instskip(NEXT) | instid1(VALU_DEP_2)
	v_cndmask_b32_e64 v27, v27, v33, s3
                                        ; implicit-def: $vgpr33_vgpr34
	v_cndmask_b32_e32 v28, v7, v9, vcc_lo
	s_delay_alu instid0(VALU_DEP_2) | instskip(SKIP_1) | instid1(VALU_DEP_1)
	v_cndmask_b32_e32 v27, v27, v18, vcc_lo
	v_mul_f64 v[5:6], v[5:6], 0.5
	v_cndmask_b32_e64 v6, 0xfff00000, v6, s4
	s_delay_alu instid0(VALU_DEP_2)
	v_cndmask_b32_e64 v5, 0, v5, s4
.LBB192_48:                             ;   in Loop: Header=BB192_5 Depth=1
	s_and_not1_saveexec_b32 vcc_hi, s5
	s_cbranch_execz .LBB192_52
; %bb.49:                               ;   in Loop: Header=BB192_5 Depth=1
	v_dual_mov_b32 v27, v17 :: v_dual_and_b32 v18, 0x7ffffff8, v34
	v_and_b32_e32 v28, 0x7ffffff8, v32
	s_mov_b32 s93, 0
	s_delay_alu instid0(VALU_DEP_2) | instskip(SKIP_1) | instid1(VALU_DEP_3)
	v_add_f64 v[5:6], v[33:34], -v[17:18]
	v_mov_b32_e32 v33, v17
	v_add_f64 v[29:30], v[31:32], -v[27:28]
	v_mov_b32_e32 v35, v17
	v_add_f64 v[37:38], v[17:18], v[17:18]
	v_add_f64 v[45:46], v[27:28], v[27:28]
	v_mul_f64 v[31:32], v[27:28], v[27:28]
	v_and_b32_e32 v34, -8, v6
	v_and_b32_e32 v36, -8, v30
	s_delay_alu instid0(VALU_DEP_2) | instskip(SKIP_1) | instid1(VALU_DEP_3)
	v_add_f64 v[47:48], v[5:6], -v[33:34]
	v_add_f64 v[51:52], v[33:34], v[33:34]
	v_add_f64 v[49:50], v[29:30], -v[35:36]
	v_add_f64 v[53:54], v[35:36], v[35:36]
	v_mul_f64 v[5:6], v[17:18], v[17:18]
	v_mul_f64 v[43:44], v[37:38], v[33:34]
	;; [unrolled: 1-line block ×11, first 2 shown]
.LBB192_50:                             ;   Parent Loop BB192_5 Depth=1
                                        ; =>  This Inner Loop Header: Depth=2
	v_cmp_nlt_f64_e32 vcc_lo, v[5:6], v[31:32]
	v_dual_cndmask_b32 v50, v6, v32 :: v_dual_cndmask_b32 v49, v5, v31
	v_dual_cndmask_b32 v6, v32, v6 :: v_dual_cndmask_b32 v5, v31, v5
	s_delay_alu instid0(VALU_DEP_2) | instskip(NEXT) | instid1(VALU_DEP_1)
	v_cmp_nlt_f64_e64 s3, v[49:50], v[43:44]
	v_cndmask_b32_e64 v52, v50, v44, s3
	v_cndmask_b32_e64 v51, v49, v43, s3
	;; [unrolled: 1-line block ×4, first 2 shown]
	s_and_b32 s3, vcc_lo, s3
	s_delay_alu instid0(VALU_DEP_3) | instskip(NEXT) | instid1(VALU_DEP_1)
	v_cmp_nlt_f64_e64 s4, v[51:52], v[29:30]
	v_cndmask_b32_e64 v50, v52, v30, s4
	v_cndmask_b32_e64 v49, v51, v29, s4
	v_cndmask_b32_e64 v44, v30, v52, s4
	v_cndmask_b32_e64 v43, v29, v51, s4
	s_delay_alu instid0(VALU_DEP_3) | instskip(NEXT) | instid1(VALU_DEP_1)
	v_cmp_nlt_f64_e64 s5, v[49:50], v[41:42]
	v_cndmask_b32_e64 v52, v50, v42, s5
	v_cndmask_b32_e64 v51, v49, v41, s5
	;; [unrolled: 1-line block ×4, first 2 shown]
	s_and_b32 s4, s4, s5
	s_delay_alu instid0(VALU_DEP_3) | instskip(NEXT) | instid1(VALU_DEP_1)
	v_cmp_nlt_f64_e64 s6, v[51:52], v[27:28]
	v_cndmask_b32_e64 v50, v52, v28, s6
	v_cndmask_b32_e64 v49, v51, v27, s6
	;; [unrolled: 1-line block ×4, first 2 shown]
	s_delay_alu instid0(VALU_DEP_3) | instskip(NEXT) | instid1(VALU_DEP_1)
	v_cmp_nlt_f64_e64 s7, v[49:50], v[39:40]
	v_cndmask_b32_e64 v52, v50, v40, s7
	v_cndmask_b32_e64 v51, v49, v39, s7
	v_cndmask_b32_e64 v28, v40, v50, s7
	v_cndmask_b32_e64 v27, v39, v49, s7
	s_and_b32 s5, s6, s7
	s_delay_alu instid0(VALU_DEP_3) | instskip(NEXT) | instid1(VALU_DEP_1)
	v_cmp_nlt_f64_e64 s8, v[51:52], v[37:38]
	v_cndmask_b32_e64 v50, v52, v38, s8
	v_cndmask_b32_e64 v49, v51, v37, s8
	v_cndmask_b32_e64 v40, v38, v52, s8
	v_cndmask_b32_e64 v39, v37, v51, s8
	s_and_b32 s5, s5, s8
	;; [unrolled: 7-line block ×4, first 2 shown]
	s_delay_alu instid0(VALU_DEP_3) | instskip(NEXT) | instid1(VALU_DEP_1)
	v_cmp_nlt_f64_e64 s11, v[49:50], v[45:46]
	v_cndmask_b32_e64 v52, v50, v46, s11
	v_cndmask_b32_e64 v51, v49, v45, s11
	s_and_b32 s5, s5, s11
	v_cndmask_b32_e64 v34, v46, v50, s11
	v_cndmask_b32_e64 v33, v45, v49, s11
	s_delay_alu instid0(VALU_DEP_3) | instskip(NEXT) | instid1(VALU_DEP_1)
	v_cmp_nlt_f64_e64 s12, v[51:52], v[47:48]
	v_cndmask_b32_e64 v50, v52, v48, s12
	v_cndmask_b32_e64 v49, v51, v47, s12
	s_and_b32 s5, s5, s12
	v_cndmask_b32_e64 v46, v48, v52, s12
	s_and_b32 s4, s5, s4
	v_cndmask_b32_e64 v45, v47, v51, s12
	s_and_b32 s3, s4, s3
	v_dual_mov_b32 v47, v49 :: v_dual_mov_b32 v48, v50
	s_and_b32 s3, exec_lo, s3
	s_delay_alu instid0(SALU_CYCLE_1) | instskip(NEXT) | instid1(SALU_CYCLE_1)
	s_or_b32 s93, s3, s93
	s_and_not1_b32 exec_lo, exec_lo, s93
	s_cbranch_execnz .LBB192_50
; %bb.51:                               ;   in Loop: Header=BB192_5 Depth=1
	s_or_b32 exec_lo, exec_lo, s93
	v_add_f64 v[5:6], v[5:6], -1.0
	s_mov_b32 s93, s23
	v_cmp_gt_i32_e64 s3, 0, v10
	s_mov_b32 s12, s82
	v_cmp_class_f64_e64 s5, v[9:10], 0x204
	v_cmp_class_f64_e64 s4, v[11:12], 0x204
	s_delay_alu instid0(VALU_DEP_4) | instskip(NEXT) | instid1(VALU_DEP_1)
	v_add_f64 v[5:6], v[5:6], v[31:32]
	v_add_f64 v[5:6], v[5:6], v[43:44]
	s_delay_alu instid0(VALU_DEP_1) | instskip(NEXT) | instid1(VALU_DEP_1)
	v_add_f64 v[5:6], v[5:6], v[29:30]
	v_add_f64 v[5:6], v[5:6], v[41:42]
	s_delay_alu instid0(VALU_DEP_1) | instskip(NEXT) | instid1(VALU_DEP_1)
	v_add_f64 v[5:6], v[5:6], v[27:28]
	v_add_f64 v[5:6], v[5:6], v[39:40]
	s_delay_alu instid0(VALU_DEP_1) | instskip(NEXT) | instid1(VALU_DEP_1)
	v_add_f64 v[5:6], v[5:6], v[37:38]
	v_add_f64 v[5:6], v[5:6], v[35:36]
	s_delay_alu instid0(VALU_DEP_1) | instskip(NEXT) | instid1(VALU_DEP_1)
	v_add_f64 v[5:6], v[5:6], v[33:34]
	v_add_f64 v[5:6], v[5:6], v[45:46]
	s_delay_alu instid0(VALU_DEP_1) | instskip(NEXT) | instid1(VALU_DEP_1)
	v_add_f64 v[6:7], v[49:50], v[5:6]
	v_add_f64 v[27:28], v[6:7], 1.0
	s_delay_alu instid0(VALU_DEP_1) | instskip(SKIP_2) | instid1(VALU_DEP_3)
	v_frexp_mant_f64_e32 v[29:30], v[27:28]
	v_frexp_exp_i32_f64_e32 v5, v[27:28]
	v_add_f64 v[31:32], v[27:28], -1.0
	v_cmp_gt_f64_e32 vcc_lo, s[22:23], v[29:30]
	s_delay_alu instid0(VALU_DEP_2) | instskip(SKIP_2) | instid1(VALU_DEP_3)
	v_add_f64 v[29:30], v[31:32], -v[27:28]
	v_add_f64 v[31:32], v[6:7], -v[31:32]
	v_subrev_co_ci_u32_e32 v5, vcc_lo, 0, v5, vcc_lo
	v_add_f64 v[29:30], v[29:30], 1.0
	s_delay_alu instid0(VALU_DEP_2) | instskip(NEXT) | instid1(VALU_DEP_1)
	v_sub_nc_u32_e32 v18, 0, v5
	v_ldexp_f64 v[27:28], v[27:28], v18
	s_delay_alu instid0(VALU_DEP_3) | instskip(NEXT) | instid1(VALU_DEP_2)
	v_add_f64 v[29:30], v[31:32], v[29:30]
	v_add_f64 v[33:34], v[27:28], 1.0
	v_add_f64 v[39:40], v[27:28], -1.0
	s_delay_alu instid0(VALU_DEP_3) | instskip(SKIP_1) | instid1(VALU_DEP_4)
	v_ldexp_f64 v[29:30], v[29:30], v18
	v_cndmask_b32_e64 v18, 0x54442d18, v55, s3
	v_add_f64 v[31:32], v[33:34], -1.0
	s_delay_alu instid0(VALU_DEP_4) | instskip(NEXT) | instid1(VALU_DEP_2)
	v_add_f64 v[41:42], v[39:40], 1.0
	v_add_f64 v[31:32], v[27:28], -v[31:32]
	s_delay_alu instid0(VALU_DEP_2) | instskip(NEXT) | instid1(VALU_DEP_2)
	v_add_f64 v[27:28], v[27:28], -v[41:42]
	v_add_f64 v[31:32], v[29:30], v[31:32]
	s_delay_alu instid0(VALU_DEP_2) | instskip(NEXT) | instid1(VALU_DEP_2)
	v_add_f64 v[27:28], v[29:30], v[27:28]
	v_add_f64 v[35:36], v[33:34], v[31:32]
	s_delay_alu instid0(VALU_DEP_2) | instskip(NEXT) | instid1(VALU_DEP_2)
	v_add_f64 v[41:42], v[39:40], v[27:28]
	v_rcp_f64_e32 v[37:38], v[35:36]
	v_add_f64 v[33:34], v[35:36], -v[33:34]
	s_delay_alu instid0(VALU_DEP_2) | instskip(NEXT) | instid1(VALU_DEP_2)
	v_add_f64 v[39:40], v[41:42], -v[39:40]
	v_add_f64 v[31:32], v[31:32], -v[33:34]
	s_waitcnt_depctr 0xfff
	v_fma_f64 v[43:44], -v[35:36], v[37:38], 1.0
	v_add_f64 v[27:28], v[27:28], -v[39:40]
	s_delay_alu instid0(VALU_DEP_2) | instskip(NEXT) | instid1(VALU_DEP_1)
	v_fma_f64 v[37:38], v[43:44], v[37:38], v[37:38]
	v_fma_f64 v[29:30], -v[35:36], v[37:38], 1.0
	s_delay_alu instid0(VALU_DEP_1) | instskip(NEXT) | instid1(VALU_DEP_1)
	v_fma_f64 v[29:30], v[29:30], v[37:38], v[37:38]
	v_mul_f64 v[37:38], v[41:42], v[29:30]
	s_delay_alu instid0(VALU_DEP_1) | instskip(NEXT) | instid1(VALU_DEP_1)
	v_mul_f64 v[43:44], v[35:36], v[37:38]
	v_fma_f64 v[33:34], v[37:38], v[35:36], -v[43:44]
	s_delay_alu instid0(VALU_DEP_1) | instskip(NEXT) | instid1(VALU_DEP_1)
	v_fma_f64 v[33:34], v[37:38], v[31:32], v[33:34]
	v_add_f64 v[45:46], v[43:44], v[33:34]
	s_delay_alu instid0(VALU_DEP_1) | instskip(SKIP_2) | instid1(VALU_DEP_3)
	v_add_f64 v[47:48], v[41:42], -v[45:46]
	v_add_f64 v[39:40], v[45:46], -v[43:44]
	v_max_f64 v[43:44], |v[11:12]|, |v[11:12]|
	v_add_f64 v[41:42], v[41:42], -v[47:48]
	s_delay_alu instid0(VALU_DEP_3) | instskip(NEXT) | instid1(VALU_DEP_2)
	v_add_f64 v[33:34], v[39:40], -v[33:34]
	v_add_f64 v[41:42], v[41:42], -v[45:46]
	v_max_f64 v[45:46], |v[9:10]|, |v[9:10]|
	v_cndmask_b32_e64 v9, 0x3fe921fb, v56, s3
	s_delay_alu instid0(VALU_DEP_1) | instskip(NEXT) | instid1(VALU_DEP_4)
	v_bfi_b32 v9, 0x7fffffff, v9, v12
	v_add_f64 v[27:28], v[27:28], v[41:42]
	s_delay_alu instid0(VALU_DEP_4) | instskip(SKIP_1) | instid1(VALU_DEP_3)
	v_max_f64 v[49:50], v[45:46], v[43:44]
	v_min_f64 v[43:44], v[45:46], v[43:44]
	v_add_f64 v[27:28], v[33:34], v[27:28]
	s_delay_alu instid0(VALU_DEP_1) | instskip(NEXT) | instid1(VALU_DEP_1)
	v_add_f64 v[33:34], v[47:48], v[27:28]
	v_mul_f64 v[39:40], v[29:30], v[33:34]
	v_add_f64 v[47:48], v[47:48], -v[33:34]
	s_delay_alu instid0(VALU_DEP_2) | instskip(NEXT) | instid1(VALU_DEP_2)
	v_mul_f64 v[41:42], v[35:36], v[39:40]
	v_add_f64 v[27:28], v[27:28], v[47:48]
	s_delay_alu instid0(VALU_DEP_2) | instskip(NEXT) | instid1(VALU_DEP_1)
	v_fma_f64 v[35:36], v[39:40], v[35:36], -v[41:42]
	v_fma_f64 v[31:32], v[39:40], v[31:32], v[35:36]
	v_div_scale_f64 v[35:36], null, v[49:50], v[49:50], v[43:44]
	s_delay_alu instid0(VALU_DEP_2) | instskip(NEXT) | instid1(VALU_DEP_2)
	v_add_f64 v[45:46], v[41:42], v[31:32]
	v_rcp_f64_e32 v[51:52], v[35:36]
	s_delay_alu instid0(VALU_DEP_1)
	v_add_f64 v[53:54], v[33:34], -v[45:46]
	v_add_f64 v[41:42], v[45:46], -v[41:42]
	s_waitcnt_depctr 0xfff
	v_fma_f64 v[57:58], -v[35:36], v[51:52], 1.0
	v_add_f64 v[33:34], v[33:34], -v[53:54]
	v_add_f64 v[31:32], v[41:42], -v[31:32]
	s_delay_alu instid0(VALU_DEP_3) | instskip(NEXT) | instid1(VALU_DEP_3)
	v_fma_f64 v[51:52], v[51:52], v[57:58], v[51:52]
	v_add_f64 v[33:34], v[33:34], -v[45:46]
	s_delay_alu instid0(VALU_DEP_2) | instskip(NEXT) | instid1(VALU_DEP_2)
	v_fma_f64 v[45:46], -v[35:36], v[51:52], 1.0
	v_add_f64 v[27:28], v[27:28], v[33:34]
	v_div_scale_f64 v[33:34], vcc_lo, v[43:44], v[49:50], v[43:44]
	s_delay_alu instid0(VALU_DEP_3) | instskip(SKIP_1) | instid1(VALU_DEP_4)
	v_fma_f64 v[41:42], v[51:52], v[45:46], v[51:52]
	v_add_f64 v[45:46], v[37:38], v[39:40]
	v_add_f64 v[27:28], v[31:32], v[27:28]
	s_delay_alu instid0(VALU_DEP_3) | instskip(NEXT) | instid1(VALU_DEP_3)
	v_mul_f64 v[31:32], v[33:34], v[41:42]
	v_add_f64 v[37:38], v[45:46], -v[37:38]
	s_delay_alu instid0(VALU_DEP_3) | instskip(NEXT) | instid1(VALU_DEP_3)
	v_add_f64 v[27:28], v[53:54], v[27:28]
	v_fma_f64 v[33:34], -v[35:36], v[31:32], v[33:34]
	s_delay_alu instid0(VALU_DEP_3) | instskip(NEXT) | instid1(VALU_DEP_3)
	v_add_f64 v[35:36], v[39:40], -v[37:38]
	v_mul_f64 v[27:28], v[29:30], v[27:28]
	s_delay_alu instid0(VALU_DEP_3) | instskip(SKIP_1) | instid1(VALU_DEP_3)
	v_div_fmas_f64 v[29:30], v[33:34], v[41:42], v[31:32]
	v_cmp_eq_f64_e32 vcc_lo, 0x7ff00000, v[6:7]
	v_add_f64 v[27:28], v[35:36], v[27:28]
	s_delay_alu instid0(VALU_DEP_3) | instskip(NEXT) | instid1(VALU_DEP_2)
	v_div_fixup_f64 v[29:30], v[29:30], v[49:50], v[43:44]
	v_add_f64 v[31:32], v[45:46], v[27:28]
	s_delay_alu instid0(VALU_DEP_2) | instskip(NEXT) | instid1(VALU_DEP_2)
	v_mul_f64 v[33:34], v[29:30], v[29:30]
	v_mul_f64 v[35:36], v[31:32], v[31:32]
	s_delay_alu instid0(VALU_DEP_2) | instskip(NEXT) | instid1(VALU_DEP_2)
	v_fma_f64 v[37:38], v[33:34], s[44:45], s[42:43]
	v_fma_f64 v[39:40], v[35:36], s[26:27], s[24:25]
	v_mul_f64 v[41:42], v[31:32], v[35:36]
	s_delay_alu instid0(VALU_DEP_3) | instskip(NEXT) | instid1(VALU_DEP_3)
	v_fma_f64 v[37:38], v[33:34], v[37:38], s[46:47]
	v_fma_f64 v[39:40], v[35:36], v[39:40], s[28:29]
	s_delay_alu instid0(VALU_DEP_2) | instskip(NEXT) | instid1(VALU_DEP_2)
	v_fma_f64 v[37:38], v[33:34], v[37:38], s[48:49]
	v_fma_f64 v[39:40], v[35:36], v[39:40], s[30:31]
	s_delay_alu instid0(VALU_DEP_2) | instskip(NEXT) | instid1(VALU_DEP_2)
	;; [unrolled: 3-line block ×4, first 2 shown]
	v_fma_f64 v[37:38], v[33:34], v[37:38], s[54:55]
	v_fma_f64 v[35:36], v[35:36], v[39:40], s[92:93]
	v_ldexp_f64 v[39:40], v[31:32], 1
	v_add_f64 v[31:32], v[31:32], -v[45:46]
	s_delay_alu instid0(VALU_DEP_4) | instskip(NEXT) | instid1(VALU_DEP_4)
	v_fma_f64 v[37:38], v[33:34], v[37:38], s[56:57]
	v_mul_f64 v[35:36], v[41:42], v[35:36]
	v_cvt_f64_i32_e32 v[41:42], v5
	s_delay_alu instid0(VALU_DEP_4) | instskip(NEXT) | instid1(VALU_DEP_4)
	v_add_f64 v[27:28], v[27:28], -v[31:32]
	v_fma_f64 v[37:38], v[33:34], v[37:38], s[58:59]
	v_ashrrev_i32_e32 v5, 31, v10
	v_add_f64 v[43:44], v[39:40], v[35:36]
	v_mul_f64 v[45:46], v[41:42], s[38:39]
	v_ldexp_f64 v[27:28], v[27:28], 1
	v_fma_f64 v[37:38], v[33:34], v[37:38], s[60:61]
	s_delay_alu instid0(VALU_DEP_4) | instskip(NEXT) | instid1(VALU_DEP_4)
	v_add_f64 v[31:32], v[43:44], -v[39:40]
	v_fma_f64 v[39:40], v[41:42], s[38:39], -v[45:46]
	s_delay_alu instid0(VALU_DEP_3) | instskip(NEXT) | instid1(VALU_DEP_3)
	v_fma_f64 v[37:38], v[33:34], v[37:38], s[62:63]
	v_add_f64 v[31:32], v[35:36], -v[31:32]
	s_delay_alu instid0(VALU_DEP_2) | instskip(NEXT) | instid1(VALU_DEP_4)
	v_fma_f64 v[35:36], v[33:34], v[37:38], s[64:65]
	v_fma_f64 v[37:38], v[41:42], s[40:41], v[39:40]
	s_delay_alu instid0(VALU_DEP_3) | instskip(NEXT) | instid1(VALU_DEP_3)
	v_add_f64 v[27:28], v[27:28], v[31:32]
	v_fma_f64 v[31:32], v[33:34], v[35:36], s[66:67]
	s_delay_alu instid0(VALU_DEP_3) | instskip(NEXT) | instid1(VALU_DEP_3)
	v_add_f64 v[35:36], v[45:46], v[37:38]
	v_add_f64 v[39:40], v[43:44], v[27:28]
	s_delay_alu instid0(VALU_DEP_3) | instskip(NEXT) | instid1(VALU_DEP_3)
	v_fma_f64 v[31:32], v[33:34], v[31:32], s[68:69]
	v_add_f64 v[45:46], v[35:36], -v[45:46]
	s_delay_alu instid0(VALU_DEP_3) | instskip(SKIP_1) | instid1(VALU_DEP_4)
	v_add_f64 v[41:42], v[35:36], v[39:40]
	v_add_f64 v[43:44], v[39:40], -v[43:44]
	v_fma_f64 v[31:32], v[33:34], v[31:32], s[70:71]
	s_delay_alu instid0(VALU_DEP_4) | instskip(NEXT) | instid1(VALU_DEP_4)
	v_add_f64 v[37:38], v[37:38], -v[45:46]
	v_add_f64 v[47:48], v[41:42], -v[35:36]
	s_delay_alu instid0(VALU_DEP_4) | instskip(NEXT) | instid1(VALU_DEP_4)
	v_add_f64 v[27:28], v[27:28], -v[43:44]
	v_fma_f64 v[31:32], v[33:34], v[31:32], s[72:73]
	s_delay_alu instid0(VALU_DEP_3) | instskip(SKIP_1) | instid1(VALU_DEP_4)
	v_add_f64 v[49:50], v[41:42], -v[47:48]
	v_add_f64 v[39:40], v[39:40], -v[47:48]
	v_add_f64 v[43:44], v[37:38], v[27:28]
	s_delay_alu instid0(VALU_DEP_4) | instskip(NEXT) | instid1(VALU_DEP_4)
	v_fma_f64 v[31:32], v[33:34], v[31:32], s[74:75]
	v_add_f64 v[35:36], v[35:36], -v[49:50]
	s_delay_alu instid0(VALU_DEP_2) | instskip(NEXT) | instid1(VALU_DEP_2)
	v_fma_f64 v[31:32], v[33:34], v[31:32], s[76:77]
	v_add_f64 v[35:36], v[39:40], v[35:36]
	v_add_f64 v[39:40], v[43:44], -v[37:38]
	s_delay_alu instid0(VALU_DEP_3) | instskip(NEXT) | instid1(VALU_DEP_3)
	v_fma_f64 v[31:32], v[33:34], v[31:32], s[78:79]
	v_add_f64 v[35:36], v[43:44], v[35:36]
	s_delay_alu instid0(VALU_DEP_3) | instskip(SKIP_1) | instid1(VALU_DEP_4)
	v_add_f64 v[43:44], v[43:44], -v[39:40]
	v_add_f64 v[27:28], v[27:28], -v[39:40]
	v_fma_f64 v[31:32], v[33:34], v[31:32], s[80:81]
	s_delay_alu instid0(VALU_DEP_4) | instskip(NEXT) | instid1(VALU_DEP_2)
	v_add_f64 v[45:46], v[41:42], v[35:36]
	v_mul_f64 v[31:32], v[33:34], v[31:32]
	v_add_f64 v[33:34], v[37:38], -v[43:44]
	s_delay_alu instid0(VALU_DEP_3) | instskip(NEXT) | instid1(VALU_DEP_3)
	v_add_f64 v[37:38], v[45:46], -v[41:42]
	v_fma_f64 v[29:30], v[29:30], v[31:32], v[29:30]
	s_delay_alu instid0(VALU_DEP_3) | instskip(NEXT) | instid1(VALU_DEP_3)
	v_add_f64 v[27:28], v[27:28], v[33:34]
	v_add_f64 v[31:32], v[35:36], -v[37:38]
	s_delay_alu instid0(VALU_DEP_3) | instskip(NEXT) | instid1(VALU_DEP_2)
	v_add_f64 v[33:34], -v[29:30], s[82:83]
	v_add_f64 v[27:28], v[27:28], v[31:32]
	s_delay_alu instid0(VALU_DEP_2) | instskip(NEXT) | instid1(VALU_DEP_3)
	v_cndmask_b32_e64 v30, v30, v34, s2
	v_cndmask_b32_e64 v29, v29, v33, s2
	s_delay_alu instid0(VALU_DEP_1) | instskip(NEXT) | instid1(VALU_DEP_4)
	v_add_f64 v[31:32], -v[29:30], s[12:13]
	v_add_f64 v[27:28], v[45:46], v[27:28]
	v_and_b32_e32 v33, 0x54442d18, v5
	v_and_b32_e32 v5, 0x400921fb, v5
	s_delay_alu instid0(VALU_DEP_4) | instskip(SKIP_4) | instid1(VALU_DEP_2)
	v_cndmask_b32_e64 v29, v29, v31, s3
	v_cndmask_b32_e64 v10, v30, v32, s3
	v_cmp_nge_f64_e64 s3, -1.0, v[6:7]
	v_dual_cndmask_b32 v28, v28, v7 :: v_dual_cndmask_b32 v27, v27, v6
	v_cmp_eq_f64_e32 vcc_lo, 0, v[11:12]
	v_mul_f64 v[27:28], v[27:28], 0.5
	v_cndmask_b32_e32 v29, v29, v33, vcc_lo
	v_cndmask_b32_e32 v5, v10, v5, vcc_lo
	v_cmp_ngt_f64_e32 vcc_lo, -1.0, v[6:7]
	s_delay_alu instid0(VALU_DEP_4) | instskip(SKIP_1) | instid1(VALU_DEP_3)
	v_cndmask_b32_e32 v10, 0x7ff80000, v28, vcc_lo
	s_and_b32 vcc_lo, s5, s4
	v_cndmask_b32_e32 v28, v5, v9, vcc_lo
	v_cndmask_b32_e64 v5, 0, v27, s3
	v_cmp_neq_f64_e64 s3, -1.0, v[6:7]
	v_cndmask_b32_e32 v27, v29, v18, vcc_lo
	s_delay_alu instid0(VALU_DEP_2)
	v_cndmask_b32_e64 v6, 0xfff00000, v10, s3
.LBB192_52:                             ;   in Loop: Header=BB192_5 Depth=1
	s_or_b32 exec_lo, exec_lo, vcc_hi
.LBB192_53:                             ;   in Loop: Header=BB192_5 Depth=1
	s_delay_alu instid0(SALU_CYCLE_1)
	s_or_b32 exec_lo, exec_lo, s104
.LBB192_54:                             ;   in Loop: Header=BB192_5 Depth=1
	s_and_not1_saveexec_b32 s5, s103
	s_cbranch_execz .LBB192_56
; %bb.55:                               ;   in Loop: Header=BB192_5 Depth=1
	v_max_f64 v[5:6], |v[11:12]|, |v[11:12]|
	v_max_f64 v[27:28], |v[9:10]|, |v[9:10]|
	v_cmp_class_f64_e64 s6, v[9:10], 0x204
	v_cmp_class_f64_e64 s7, v[11:12], 0x204
	s_mov_b32 s93, s23
	s_mov_b32 s12, s82
	v_cmp_eq_f64_e64 s4, 0, v[11:12]
	s_delay_alu instid0(VALU_DEP_4) | instskip(SKIP_1) | instid1(VALU_DEP_4)
	v_max_f64 v[29:30], v[27:28], v[5:6]
	v_min_f64 v[5:6], v[27:28], v[5:6]
	s_or_b32 s8, s6, s7
	s_delay_alu instid0(VALU_DEP_2) | instskip(NEXT) | instid1(VALU_DEP_1)
	v_frexp_exp_i32_f64_e32 v7, v[29:30]
	v_sub_nc_u32_e32 v18, 0, v7
	s_delay_alu instid0(VALU_DEP_1) | instskip(SKIP_1) | instid1(VALU_DEP_2)
	v_ldexp_f64 v[31:32], |v[11:12]|, v18
	v_ldexp_f64 v[33:34], |v[9:10]|, v18
	v_mul_f64 v[31:32], v[31:32], v[31:32]
	s_delay_alu instid0(VALU_DEP_1) | instskip(NEXT) | instid1(VALU_DEP_1)
	v_fma_f64 v[31:32], v[33:34], v[33:34], v[31:32]
	v_rsq_f64_e32 v[33:34], v[31:32]
	v_cmp_eq_f64_e32 vcc_lo, 0, v[31:32]
	s_waitcnt_depctr 0xfff
	v_mul_f64 v[35:36], v[31:32], v[33:34]
	v_mul_f64 v[33:34], v[33:34], 0.5
	s_delay_alu instid0(VALU_DEP_1) | instskip(NEXT) | instid1(VALU_DEP_1)
	v_fma_f64 v[37:38], -v[33:34], v[35:36], 0.5
	v_fma_f64 v[35:36], v[35:36], v[37:38], v[35:36]
	v_fma_f64 v[33:34], v[33:34], v[37:38], v[33:34]
	s_delay_alu instid0(VALU_DEP_2) | instskip(NEXT) | instid1(VALU_DEP_1)
	v_fma_f64 v[37:38], -v[35:36], v[35:36], v[31:32]
	v_fma_f64 v[33:34], v[37:38], v[33:34], v[35:36]
	s_delay_alu instid0(VALU_DEP_1) | instskip(SKIP_1) | instid1(VALU_DEP_2)
	v_dual_cndmask_b32 v32, v34, v32 :: v_dual_cndmask_b32 v31, v33, v31
	v_div_scale_f64 v[53:54], vcc_lo, v[5:6], v[29:30], v[5:6]
	v_ldexp_f64 v[31:32], v[31:32], v7
	s_delay_alu instid0(VALU_DEP_1) | instskip(NEXT) | instid1(VALU_DEP_2)
	v_cndmask_b32_e64 v34, v32, 0x7ff00000, s8
	v_cndmask_b32_e64 v33, v31, 0, s8
	s_delay_alu instid0(VALU_DEP_1) | instskip(SKIP_1) | instid1(VALU_DEP_2)
	v_frexp_mant_f64_e32 v[35:36], v[33:34]
	v_frexp_exp_i32_f64_e32 v7, v[33:34]
	v_cmp_gt_f64_e64 s3, s[22:23], v[35:36]
	s_delay_alu instid0(VALU_DEP_1) | instskip(NEXT) | instid1(VALU_DEP_1)
	v_cndmask_b32_e64 v18, 0x3ff00000, 2.0, s3
	v_mul_f64 v[35:36], v[35:36], v[17:18]
	s_delay_alu instid0(VALU_DEP_1) | instskip(SKIP_1) | instid1(VALU_DEP_2)
	v_add_f64 v[37:38], v[35:36], 1.0
	v_add_f64 v[43:44], v[35:36], -1.0
	v_rcp_f64_e32 v[39:40], v[37:38]
	v_add_f64 v[45:46], v[37:38], -1.0
	s_delay_alu instid0(VALU_DEP_1) | instskip(SKIP_2) | instid1(VALU_DEP_1)
	v_add_f64 v[35:36], v[35:36], -v[45:46]
	s_waitcnt_depctr 0xfff
	v_fma_f64 v[41:42], -v[37:38], v[39:40], 1.0
	v_fma_f64 v[39:40], v[41:42], v[39:40], v[39:40]
	s_delay_alu instid0(VALU_DEP_1) | instskip(NEXT) | instid1(VALU_DEP_1)
	v_fma_f64 v[41:42], -v[37:38], v[39:40], 1.0
	v_fma_f64 v[39:40], v[41:42], v[39:40], v[39:40]
	v_div_scale_f64 v[41:42], null, v[29:30], v[29:30], v[5:6]
	s_delay_alu instid0(VALU_DEP_2) | instskip(NEXT) | instid1(VALU_DEP_2)
	v_mul_f64 v[27:28], v[43:44], v[39:40]
	v_rcp_f64_e32 v[49:50], v[41:42]
	s_delay_alu instid0(VALU_DEP_1) | instskip(SKIP_3) | instid1(VALU_DEP_1)
	v_mul_f64 v[47:48], v[37:38], v[27:28]
	s_waitcnt_depctr 0xfff
	v_fma_f64 v[45:46], -v[41:42], v[49:50], 1.0
	v_fma_f64 v[37:38], v[27:28], v[37:38], -v[47:48]
	v_fma_f64 v[35:36], v[27:28], v[35:36], v[37:38]
	s_delay_alu instid0(VALU_DEP_3) | instskip(NEXT) | instid1(VALU_DEP_2)
	v_fma_f64 v[37:38], v[49:50], v[45:46], v[49:50]
	v_add_f64 v[45:46], v[47:48], v[35:36]
	s_delay_alu instid0(VALU_DEP_2) | instskip(NEXT) | instid1(VALU_DEP_2)
	v_fma_f64 v[49:50], -v[41:42], v[37:38], 1.0
	v_add_f64 v[51:52], v[43:44], -v[45:46]
	s_delay_alu instid0(VALU_DEP_2) | instskip(SKIP_1) | instid1(VALU_DEP_3)
	v_fma_f64 v[37:38], v[37:38], v[49:50], v[37:38]
	v_add_f64 v[47:48], v[45:46], -v[47:48]
	v_add_f64 v[43:44], v[43:44], -v[51:52]
	s_delay_alu instid0(VALU_DEP_3) | instskip(NEXT) | instid1(VALU_DEP_3)
	v_mul_f64 v[49:50], v[53:54], v[37:38]
	v_add_f64 v[35:36], v[47:48], -v[35:36]
	s_delay_alu instid0(VALU_DEP_3) | instskip(NEXT) | instid1(VALU_DEP_3)
	v_add_f64 v[43:44], v[43:44], -v[45:46]
	v_fma_f64 v[41:42], -v[41:42], v[49:50], v[53:54]
	s_delay_alu instid0(VALU_DEP_2) | instskip(NEXT) | instid1(VALU_DEP_2)
	v_add_f64 v[35:36], v[35:36], v[43:44]
	v_div_fmas_f64 v[37:38], v[41:42], v[37:38], v[49:50]
	v_subrev_co_ci_u32_e64 v7, vcc_lo, 0, v7, s3
	v_cmp_class_f64_e64 s3, v[31:32], 0x204
	v_cmp_gt_i32_e32 vcc_lo, 0, v10
	v_cndmask_b32_e32 v9, 0x54442d18, v55, vcc_lo
	v_cndmask_b32_e32 v18, 0x3fe921fb, v56, vcc_lo
	s_delay_alu instid0(VALU_DEP_1) | instskip(SKIP_2) | instid1(VALU_DEP_2)
	v_bfi_b32 v18, 0x7fffffff, v18, v12
	v_add_f64 v[35:36], v[51:52], v[35:36]
	v_div_fixup_f64 v[5:6], v[37:38], v[29:30], v[5:6]
	v_mul_f64 v[29:30], v[39:40], v[35:36]
	s_delay_alu instid0(VALU_DEP_2) | instskip(NEXT) | instid1(VALU_DEP_2)
	v_mul_f64 v[35:36], v[5:6], v[5:6]
	v_add_f64 v[37:38], v[27:28], v[29:30]
	s_delay_alu instid0(VALU_DEP_2) | instskip(NEXT) | instid1(VALU_DEP_2)
	v_fma_f64 v[39:40], v[35:36], s[44:45], s[42:43]
	v_mul_f64 v[41:42], v[37:38], v[37:38]
	s_delay_alu instid0(VALU_DEP_2) | instskip(SKIP_1) | instid1(VALU_DEP_3)
	v_fma_f64 v[39:40], v[35:36], v[39:40], s[46:47]
	v_add_f64 v[27:28], v[37:38], -v[27:28]
	v_fma_f64 v[43:44], v[41:42], s[26:27], s[24:25]
	s_delay_alu instid0(VALU_DEP_3) | instskip(SKIP_1) | instid1(VALU_DEP_4)
	v_fma_f64 v[39:40], v[35:36], v[39:40], s[48:49]
	v_mul_f64 v[45:46], v[37:38], v[41:42]
	v_add_f64 v[27:28], v[29:30], -v[27:28]
	s_delay_alu instid0(VALU_DEP_4) | instskip(NEXT) | instid1(VALU_DEP_4)
	v_fma_f64 v[43:44], v[41:42], v[43:44], s[28:29]
	v_fma_f64 v[39:40], v[35:36], v[39:40], s[50:51]
	s_delay_alu instid0(VALU_DEP_3) | instskip(NEXT) | instid1(VALU_DEP_3)
	v_ldexp_f64 v[27:28], v[27:28], 1
	v_fma_f64 v[43:44], v[41:42], v[43:44], s[30:31]
	s_delay_alu instid0(VALU_DEP_3) | instskip(NEXT) | instid1(VALU_DEP_2)
	v_fma_f64 v[39:40], v[35:36], v[39:40], s[52:53]
	v_fma_f64 v[43:44], v[41:42], v[43:44], s[34:35]
	s_delay_alu instid0(VALU_DEP_2) | instskip(NEXT) | instid1(VALU_DEP_2)
	v_fma_f64 v[39:40], v[35:36], v[39:40], s[54:55]
	v_fma_f64 v[43:44], v[41:42], v[43:44], s[36:37]
	s_delay_alu instid0(VALU_DEP_2) | instskip(NEXT) | instid1(VALU_DEP_2)
	v_fma_f64 v[39:40], v[35:36], v[39:40], s[56:57]
	v_fma_f64 v[41:42], v[41:42], v[43:44], s[92:93]
	s_delay_alu instid0(VALU_DEP_2) | instskip(SKIP_1) | instid1(VALU_DEP_3)
	v_fma_f64 v[39:40], v[35:36], v[39:40], s[58:59]
	v_ldexp_f64 v[43:44], v[37:38], 1
	v_mul_f64 v[41:42], v[45:46], v[41:42]
	s_delay_alu instid0(VALU_DEP_3) | instskip(SKIP_2) | instid1(VALU_DEP_4)
	v_fma_f64 v[39:40], v[35:36], v[39:40], s[60:61]
	v_cvt_f64_i32_e32 v[45:46], v7
	v_ashrrev_i32_e32 v7, 31, v10
	v_add_f64 v[37:38], v[43:44], v[41:42]
	s_delay_alu instid0(VALU_DEP_4) | instskip(NEXT) | instid1(VALU_DEP_4)
	v_fma_f64 v[39:40], v[35:36], v[39:40], s[62:63]
	v_mul_f64 v[47:48], v[45:46], s[38:39]
	s_delay_alu instid0(VALU_DEP_3) | instskip(NEXT) | instid1(VALU_DEP_3)
	v_add_f64 v[29:30], v[37:38], -v[43:44]
	v_fma_f64 v[39:40], v[35:36], v[39:40], s[64:65]
	s_delay_alu instid0(VALU_DEP_3) | instskip(NEXT) | instid1(VALU_DEP_3)
	v_fma_f64 v[43:44], v[45:46], s[38:39], -v[47:48]
	v_add_f64 v[29:30], v[41:42], -v[29:30]
	s_delay_alu instid0(VALU_DEP_3) | instskip(NEXT) | instid1(VALU_DEP_3)
	v_fma_f64 v[39:40], v[35:36], v[39:40], s[66:67]
	v_fma_f64 v[41:42], v[45:46], s[40:41], v[43:44]
	s_delay_alu instid0(VALU_DEP_3) | instskip(NEXT) | instid1(VALU_DEP_3)
	v_add_f64 v[27:28], v[27:28], v[29:30]
	v_fma_f64 v[29:30], v[35:36], v[39:40], s[68:69]
	s_delay_alu instid0(VALU_DEP_3) | instskip(NEXT) | instid1(VALU_DEP_3)
	v_add_f64 v[39:40], v[47:48], v[41:42]
	v_add_f64 v[43:44], v[37:38], v[27:28]
	s_delay_alu instid0(VALU_DEP_3) | instskip(NEXT) | instid1(VALU_DEP_3)
	v_fma_f64 v[29:30], v[35:36], v[29:30], s[70:71]
	v_add_f64 v[47:48], v[39:40], -v[47:48]
	s_delay_alu instid0(VALU_DEP_3) | instskip(NEXT) | instid1(VALU_DEP_3)
	v_add_f64 v[45:46], v[39:40], v[43:44]
	v_fma_f64 v[29:30], v[35:36], v[29:30], s[72:73]
	v_add_f64 v[37:38], v[43:44], -v[37:38]
	s_delay_alu instid0(VALU_DEP_4) | instskip(NEXT) | instid1(VALU_DEP_4)
	v_add_f64 v[41:42], v[41:42], -v[47:48]
	v_add_f64 v[49:50], v[45:46], -v[39:40]
	s_delay_alu instid0(VALU_DEP_4) | instskip(NEXT) | instid1(VALU_DEP_4)
	v_fma_f64 v[29:30], v[35:36], v[29:30], s[74:75]
	v_add_f64 v[27:28], v[27:28], -v[37:38]
	s_delay_alu instid0(VALU_DEP_3) | instskip(NEXT) | instid1(VALU_DEP_3)
	v_add_f64 v[51:52], v[45:46], -v[49:50]
	v_fma_f64 v[29:30], v[35:36], v[29:30], s[76:77]
	v_add_f64 v[37:38], v[43:44], -v[49:50]
	s_delay_alu instid0(VALU_DEP_4) | instskip(NEXT) | instid1(VALU_DEP_4)
	v_add_f64 v[43:44], v[41:42], v[27:28]
	v_add_f64 v[39:40], v[39:40], -v[51:52]
	s_delay_alu instid0(VALU_DEP_4) | instskip(NEXT) | instid1(VALU_DEP_2)
	v_fma_f64 v[29:30], v[35:36], v[29:30], s[78:79]
	v_add_f64 v[37:38], v[37:38], v[39:40]
	s_delay_alu instid0(VALU_DEP_2) | instskip(SKIP_1) | instid1(VALU_DEP_3)
	v_fma_f64 v[29:30], v[35:36], v[29:30], s[80:81]
	v_add_f64 v[39:40], v[43:44], -v[41:42]
	v_add_f64 v[37:38], v[43:44], v[37:38]
	s_delay_alu instid0(VALU_DEP_3) | instskip(NEXT) | instid1(VALU_DEP_3)
	v_mul_f64 v[29:30], v[35:36], v[29:30]
	v_add_f64 v[35:36], v[43:44], -v[39:40]
	v_add_f64 v[27:28], v[27:28], -v[39:40]
	s_delay_alu instid0(VALU_DEP_4) | instskip(NEXT) | instid1(VALU_DEP_4)
	v_add_f64 v[43:44], v[45:46], v[37:38]
	v_fma_f64 v[5:6], v[5:6], v[29:30], v[5:6]
	s_delay_alu instid0(VALU_DEP_4) | instskip(NEXT) | instid1(VALU_DEP_3)
	v_add_f64 v[29:30], v[41:42], -v[35:36]
	v_add_f64 v[35:36], v[43:44], -v[45:46]
	s_delay_alu instid0(VALU_DEP_3) | instskip(NEXT) | instid1(VALU_DEP_3)
	v_add_f64 v[39:40], -v[5:6], s[82:83]
	v_add_f64 v[27:28], v[27:28], v[29:30]
	s_delay_alu instid0(VALU_DEP_3) | instskip(NEXT) | instid1(VALU_DEP_3)
	v_add_f64 v[29:30], v[37:38], -v[35:36]
	v_cndmask_b32_e64 v6, v6, v40, s2
	s_delay_alu instid0(VALU_DEP_4) | instskip(NEXT) | instid1(VALU_DEP_3)
	v_cndmask_b32_e64 v5, v5, v39, s2
	v_add_f64 v[27:28], v[27:28], v[29:30]
	s_delay_alu instid0(VALU_DEP_2) | instskip(SKIP_2) | instid1(VALU_DEP_4)
	v_add_f64 v[29:30], -v[5:6], s[12:13]
	v_and_b32_e32 v10, 0x54442d18, v7
	v_and_b32_e32 v7, 0x400921fb, v7
	v_add_f64 v[27:28], v[43:44], v[27:28]
	s_delay_alu instid0(VALU_DEP_4) | instskip(SKIP_1) | instid1(VALU_DEP_2)
	v_dual_cndmask_b32 v6, v6, v30 :: v_dual_cndmask_b32 v5, v5, v29
	v_cmp_ngt_f64_e32 vcc_lo, 0, v[33:34]
	v_cndmask_b32_e64 v10, v5, v10, s4
	s_delay_alu instid0(VALU_DEP_3) | instskip(SKIP_3) | instid1(VALU_DEP_3)
	v_cndmask_b32_e64 v5, v6, v7, s4
	v_cndmask_b32_e64 v28, v28, v32, s3
	;; [unrolled: 1-line block ×3, first 2 shown]
	v_cmp_nge_f64_e64 s3, 0, v[33:34]
	v_cndmask_b32_e64 v28, v28, 0x7ff00000, s8
	s_delay_alu instid0(VALU_DEP_3) | instskip(NEXT) | instid1(VALU_DEP_2)
	v_cndmask_b32_e64 v6, v27, 0, s8
	v_cndmask_b32_e32 v7, 0x7ff80000, v28, vcc_lo
	s_and_b32 vcc_lo, s6, s7
	v_dual_cndmask_b32 v28, v5, v18 :: v_dual_cndmask_b32 v27, v10, v9
	s_delay_alu instid0(VALU_DEP_3) | instskip(SKIP_1) | instid1(VALU_DEP_1)
	v_cndmask_b32_e64 v5, 0, v6, s3
	v_cmp_neq_f64_e64 s3, 0, v[33:34]
	v_cndmask_b32_e64 v6, 0xfff00000, v7, s3
.LBB192_56:                             ;   in Loop: Header=BB192_5 Depth=1
	s_or_b32 exec_lo, exec_lo, s5
                                        ; implicit-def: $vgpr31_vgpr32
.LBB192_57:                             ;   in Loop: Header=BB192_5 Depth=1
	s_and_not1_saveexec_b32 s5, s99
	s_cbranch_execz .LBB192_63
; %bb.58:                               ;   in Loop: Header=BB192_5 Depth=1
                                        ; implicit-def: $vgpr5_vgpr6
                                        ; implicit-def: $vgpr27_vgpr28
	s_mov_b32 s3, exec_lo
	v_cmpx_ngt_f64_e32 s[86:87], v[31:32]
	s_xor_b32 s6, exec_lo, s3
	s_cbranch_execz .LBB192_60
; %bb.59:                               ;   in Loop: Header=BB192_5 Depth=1
	v_mul_f64 v[5:6], v[31:32], v[31:32]
	s_mov_b32 s93, s23
	s_mov_b32 s12, s82
	v_cmp_eq_f64_e64 s4, 0, v[11:12]
	v_cmp_class_f64_e64 s7, v[11:12], 0x204
	v_cmp_class_f64_e64 s8, v[9:10], 0x204
	v_cmp_gt_i32_e64 s3, 0, v10
	v_add_f64 v[27:28], v[5:6], 1.0
	s_delay_alu instid0(VALU_DEP_1) | instskip(SKIP_2) | instid1(VALU_DEP_3)
	v_frexp_mant_f64_e32 v[29:30], v[27:28]
	v_frexp_exp_i32_f64_e32 v7, v[27:28]
	v_add_f64 v[31:32], v[27:28], -1.0
	v_cmp_gt_f64_e32 vcc_lo, s[22:23], v[29:30]
	s_delay_alu instid0(VALU_DEP_2) | instskip(SKIP_2) | instid1(VALU_DEP_3)
	v_add_f64 v[29:30], v[31:32], -v[27:28]
	v_add_f64 v[31:32], v[5:6], -v[31:32]
	v_subrev_co_ci_u32_e32 v7, vcc_lo, 0, v7, vcc_lo
	v_add_f64 v[29:30], v[29:30], 1.0
	s_delay_alu instid0(VALU_DEP_2) | instskip(NEXT) | instid1(VALU_DEP_1)
	v_sub_nc_u32_e32 v18, 0, v7
	v_ldexp_f64 v[27:28], v[27:28], v18
	s_delay_alu instid0(VALU_DEP_3) | instskip(NEXT) | instid1(VALU_DEP_2)
	v_add_f64 v[29:30], v[31:32], v[29:30]
	v_add_f64 v[33:34], v[27:28], 1.0
	v_add_f64 v[39:40], v[27:28], -1.0
	s_delay_alu instid0(VALU_DEP_3) | instskip(SKIP_1) | instid1(VALU_DEP_4)
	v_ldexp_f64 v[29:30], v[29:30], v18
	v_cndmask_b32_e64 v18, 0x54442d18, v55, s3
	v_add_f64 v[31:32], v[33:34], -1.0
	s_delay_alu instid0(VALU_DEP_4) | instskip(NEXT) | instid1(VALU_DEP_2)
	v_add_f64 v[41:42], v[39:40], 1.0
	v_add_f64 v[31:32], v[27:28], -v[31:32]
	s_delay_alu instid0(VALU_DEP_2) | instskip(NEXT) | instid1(VALU_DEP_2)
	v_add_f64 v[27:28], v[27:28], -v[41:42]
	v_add_f64 v[31:32], v[29:30], v[31:32]
	s_delay_alu instid0(VALU_DEP_2) | instskip(NEXT) | instid1(VALU_DEP_2)
	v_add_f64 v[27:28], v[29:30], v[27:28]
	v_add_f64 v[35:36], v[33:34], v[31:32]
	s_delay_alu instid0(VALU_DEP_2) | instskip(NEXT) | instid1(VALU_DEP_2)
	v_add_f64 v[41:42], v[39:40], v[27:28]
	v_rcp_f64_e32 v[37:38], v[35:36]
	v_add_f64 v[33:34], v[33:34], -v[35:36]
	s_delay_alu instid0(VALU_DEP_2) | instskip(NEXT) | instid1(VALU_DEP_2)
	v_add_f64 v[39:40], v[39:40], -v[41:42]
	v_add_f64 v[31:32], v[31:32], v[33:34]
	s_waitcnt_depctr 0xfff
	v_fma_f64 v[43:44], -v[35:36], v[37:38], 1.0
	v_add_f64 v[27:28], v[27:28], v[39:40]
	s_delay_alu instid0(VALU_DEP_2) | instskip(NEXT) | instid1(VALU_DEP_1)
	v_fma_f64 v[37:38], v[43:44], v[37:38], v[37:38]
	v_fma_f64 v[29:30], -v[35:36], v[37:38], 1.0
	s_delay_alu instid0(VALU_DEP_1) | instskip(NEXT) | instid1(VALU_DEP_1)
	v_fma_f64 v[29:30], v[29:30], v[37:38], v[37:38]
	v_mul_f64 v[37:38], v[41:42], v[29:30]
	s_delay_alu instid0(VALU_DEP_1) | instskip(NEXT) | instid1(VALU_DEP_1)
	v_mul_f64 v[43:44], v[35:36], v[37:38]
	v_fma_f64 v[33:34], v[37:38], v[35:36], -v[43:44]
	s_delay_alu instid0(VALU_DEP_1) | instskip(NEXT) | instid1(VALU_DEP_1)
	v_fma_f64 v[33:34], v[37:38], v[31:32], v[33:34]
	v_add_f64 v[45:46], v[43:44], v[33:34]
	s_delay_alu instid0(VALU_DEP_1) | instskip(SKIP_2) | instid1(VALU_DEP_3)
	v_add_f64 v[47:48], v[41:42], -v[45:46]
	v_add_f64 v[39:40], v[45:46], -v[43:44]
	v_max_f64 v[43:44], |v[11:12]|, |v[11:12]|
	v_add_f64 v[41:42], v[41:42], -v[47:48]
	s_delay_alu instid0(VALU_DEP_3) | instskip(NEXT) | instid1(VALU_DEP_2)
	v_add_f64 v[33:34], v[39:40], -v[33:34]
	v_add_f64 v[41:42], v[41:42], -v[45:46]
	v_max_f64 v[45:46], |v[9:10]|, |v[9:10]|
	v_cndmask_b32_e64 v9, 0x3fe921fb, v56, s3
	s_delay_alu instid0(VALU_DEP_1) | instskip(NEXT) | instid1(VALU_DEP_4)
	v_bfi_b32 v9, 0x7fffffff, v9, v12
	v_add_f64 v[27:28], v[27:28], v[41:42]
	s_delay_alu instid0(VALU_DEP_4) | instskip(SKIP_1) | instid1(VALU_DEP_3)
	v_max_f64 v[49:50], v[45:46], v[43:44]
	v_min_f64 v[43:44], v[45:46], v[43:44]
	v_add_f64 v[27:28], v[33:34], v[27:28]
	s_delay_alu instid0(VALU_DEP_1) | instskip(NEXT) | instid1(VALU_DEP_1)
	v_add_f64 v[33:34], v[47:48], v[27:28]
	v_mul_f64 v[39:40], v[29:30], v[33:34]
	v_add_f64 v[47:48], v[47:48], -v[33:34]
	s_delay_alu instid0(VALU_DEP_2) | instskip(NEXT) | instid1(VALU_DEP_2)
	v_mul_f64 v[41:42], v[35:36], v[39:40]
	v_add_f64 v[27:28], v[27:28], v[47:48]
	s_delay_alu instid0(VALU_DEP_2) | instskip(NEXT) | instid1(VALU_DEP_1)
	v_fma_f64 v[35:36], v[39:40], v[35:36], -v[41:42]
	v_fma_f64 v[31:32], v[39:40], v[31:32], v[35:36]
	v_div_scale_f64 v[35:36], null, v[49:50], v[49:50], v[43:44]
	s_delay_alu instid0(VALU_DEP_2) | instskip(NEXT) | instid1(VALU_DEP_2)
	v_add_f64 v[45:46], v[41:42], v[31:32]
	v_rcp_f64_e32 v[51:52], v[35:36]
	s_delay_alu instid0(VALU_DEP_1)
	v_add_f64 v[53:54], v[33:34], -v[45:46]
	v_add_f64 v[41:42], v[45:46], -v[41:42]
	s_waitcnt_depctr 0xfff
	v_fma_f64 v[57:58], -v[35:36], v[51:52], 1.0
	v_add_f64 v[33:34], v[33:34], -v[53:54]
	v_add_f64 v[31:32], v[41:42], -v[31:32]
	s_delay_alu instid0(VALU_DEP_3) | instskip(NEXT) | instid1(VALU_DEP_3)
	v_fma_f64 v[51:52], v[51:52], v[57:58], v[51:52]
	v_add_f64 v[33:34], v[33:34], -v[45:46]
	s_delay_alu instid0(VALU_DEP_2) | instskip(NEXT) | instid1(VALU_DEP_2)
	v_fma_f64 v[45:46], -v[35:36], v[51:52], 1.0
	v_add_f64 v[27:28], v[27:28], v[33:34]
	v_div_scale_f64 v[33:34], vcc_lo, v[43:44], v[49:50], v[43:44]
	s_delay_alu instid0(VALU_DEP_3) | instskip(SKIP_1) | instid1(VALU_DEP_4)
	v_fma_f64 v[41:42], v[51:52], v[45:46], v[51:52]
	v_add_f64 v[45:46], v[37:38], v[39:40]
	v_add_f64 v[27:28], v[31:32], v[27:28]
	s_delay_alu instid0(VALU_DEP_3) | instskip(NEXT) | instid1(VALU_DEP_3)
	v_mul_f64 v[31:32], v[33:34], v[41:42]
	v_add_f64 v[37:38], v[45:46], -v[37:38]
	s_delay_alu instid0(VALU_DEP_3) | instskip(NEXT) | instid1(VALU_DEP_3)
	v_add_f64 v[27:28], v[53:54], v[27:28]
	v_fma_f64 v[33:34], -v[35:36], v[31:32], v[33:34]
	s_delay_alu instid0(VALU_DEP_3) | instskip(NEXT) | instid1(VALU_DEP_3)
	v_add_f64 v[35:36], v[39:40], -v[37:38]
	v_mul_f64 v[27:28], v[29:30], v[27:28]
	s_delay_alu instid0(VALU_DEP_3) | instskip(SKIP_1) | instid1(VALU_DEP_3)
	v_div_fmas_f64 v[29:30], v[33:34], v[41:42], v[31:32]
	v_cmp_eq_f64_e32 vcc_lo, 0x7ff00000, v[5:6]
	v_add_f64 v[27:28], v[35:36], v[27:28]
	s_delay_alu instid0(VALU_DEP_3) | instskip(NEXT) | instid1(VALU_DEP_2)
	v_div_fixup_f64 v[29:30], v[29:30], v[49:50], v[43:44]
	v_add_f64 v[31:32], v[45:46], v[27:28]
	s_delay_alu instid0(VALU_DEP_2) | instskip(NEXT) | instid1(VALU_DEP_2)
	v_mul_f64 v[33:34], v[29:30], v[29:30]
	v_mul_f64 v[35:36], v[31:32], v[31:32]
	s_delay_alu instid0(VALU_DEP_2) | instskip(NEXT) | instid1(VALU_DEP_2)
	v_fma_f64 v[37:38], v[33:34], s[44:45], s[42:43]
	v_fma_f64 v[39:40], v[35:36], s[26:27], s[24:25]
	v_mul_f64 v[41:42], v[31:32], v[35:36]
	s_delay_alu instid0(VALU_DEP_3) | instskip(NEXT) | instid1(VALU_DEP_3)
	v_fma_f64 v[37:38], v[33:34], v[37:38], s[46:47]
	v_fma_f64 v[39:40], v[35:36], v[39:40], s[28:29]
	s_delay_alu instid0(VALU_DEP_2) | instskip(NEXT) | instid1(VALU_DEP_2)
	v_fma_f64 v[37:38], v[33:34], v[37:38], s[48:49]
	v_fma_f64 v[39:40], v[35:36], v[39:40], s[30:31]
	s_delay_alu instid0(VALU_DEP_2) | instskip(NEXT) | instid1(VALU_DEP_2)
	;; [unrolled: 3-line block ×4, first 2 shown]
	v_fma_f64 v[37:38], v[33:34], v[37:38], s[54:55]
	v_fma_f64 v[35:36], v[35:36], v[39:40], s[92:93]
	v_ldexp_f64 v[39:40], v[31:32], 1
	v_add_f64 v[31:32], v[31:32], -v[45:46]
	s_delay_alu instid0(VALU_DEP_4) | instskip(NEXT) | instid1(VALU_DEP_4)
	v_fma_f64 v[37:38], v[33:34], v[37:38], s[56:57]
	v_mul_f64 v[35:36], v[41:42], v[35:36]
	v_cvt_f64_i32_e32 v[41:42], v7
	s_delay_alu instid0(VALU_DEP_4) | instskip(NEXT) | instid1(VALU_DEP_4)
	v_add_f64 v[27:28], v[27:28], -v[31:32]
	v_fma_f64 v[37:38], v[33:34], v[37:38], s[58:59]
	v_ashrrev_i32_e32 v7, 31, v10
	v_add_f64 v[43:44], v[39:40], v[35:36]
	v_mul_f64 v[45:46], v[41:42], s[38:39]
	v_ldexp_f64 v[27:28], v[27:28], 1
	v_fma_f64 v[37:38], v[33:34], v[37:38], s[60:61]
	s_delay_alu instid0(VALU_DEP_4) | instskip(NEXT) | instid1(VALU_DEP_4)
	v_add_f64 v[31:32], v[43:44], -v[39:40]
	v_fma_f64 v[39:40], v[41:42], s[38:39], -v[45:46]
	s_delay_alu instid0(VALU_DEP_3) | instskip(NEXT) | instid1(VALU_DEP_3)
	v_fma_f64 v[37:38], v[33:34], v[37:38], s[62:63]
	v_add_f64 v[31:32], v[35:36], -v[31:32]
	s_delay_alu instid0(VALU_DEP_2) | instskip(NEXT) | instid1(VALU_DEP_4)
	v_fma_f64 v[35:36], v[33:34], v[37:38], s[64:65]
	v_fma_f64 v[37:38], v[41:42], s[40:41], v[39:40]
	s_delay_alu instid0(VALU_DEP_3) | instskip(NEXT) | instid1(VALU_DEP_3)
	v_add_f64 v[27:28], v[27:28], v[31:32]
	v_fma_f64 v[31:32], v[33:34], v[35:36], s[66:67]
	s_delay_alu instid0(VALU_DEP_3) | instskip(NEXT) | instid1(VALU_DEP_3)
	v_add_f64 v[35:36], v[45:46], v[37:38]
	v_add_f64 v[39:40], v[43:44], v[27:28]
	s_delay_alu instid0(VALU_DEP_3) | instskip(NEXT) | instid1(VALU_DEP_3)
	v_fma_f64 v[31:32], v[33:34], v[31:32], s[68:69]
	v_add_f64 v[45:46], v[35:36], -v[45:46]
	s_delay_alu instid0(VALU_DEP_3) | instskip(SKIP_1) | instid1(VALU_DEP_4)
	v_add_f64 v[41:42], v[35:36], v[39:40]
	v_add_f64 v[43:44], v[39:40], -v[43:44]
	v_fma_f64 v[31:32], v[33:34], v[31:32], s[70:71]
	s_delay_alu instid0(VALU_DEP_4) | instskip(NEXT) | instid1(VALU_DEP_4)
	v_add_f64 v[37:38], v[37:38], -v[45:46]
	v_add_f64 v[47:48], v[41:42], -v[35:36]
	s_delay_alu instid0(VALU_DEP_4) | instskip(NEXT) | instid1(VALU_DEP_4)
	v_add_f64 v[27:28], v[27:28], -v[43:44]
	v_fma_f64 v[31:32], v[33:34], v[31:32], s[72:73]
	s_delay_alu instid0(VALU_DEP_3) | instskip(SKIP_1) | instid1(VALU_DEP_4)
	v_add_f64 v[49:50], v[41:42], -v[47:48]
	v_add_f64 v[39:40], v[39:40], -v[47:48]
	v_add_f64 v[43:44], v[37:38], v[27:28]
	s_delay_alu instid0(VALU_DEP_4) | instskip(NEXT) | instid1(VALU_DEP_4)
	v_fma_f64 v[31:32], v[33:34], v[31:32], s[74:75]
	v_add_f64 v[35:36], v[35:36], -v[49:50]
	s_delay_alu instid0(VALU_DEP_2) | instskip(NEXT) | instid1(VALU_DEP_2)
	v_fma_f64 v[31:32], v[33:34], v[31:32], s[76:77]
	v_add_f64 v[35:36], v[39:40], v[35:36]
	v_add_f64 v[39:40], v[43:44], -v[37:38]
	s_delay_alu instid0(VALU_DEP_3) | instskip(NEXT) | instid1(VALU_DEP_3)
	v_fma_f64 v[31:32], v[33:34], v[31:32], s[78:79]
	v_add_f64 v[35:36], v[43:44], v[35:36]
	s_delay_alu instid0(VALU_DEP_3) | instskip(SKIP_1) | instid1(VALU_DEP_4)
	v_add_f64 v[43:44], v[43:44], -v[39:40]
	v_add_f64 v[27:28], v[27:28], -v[39:40]
	v_fma_f64 v[31:32], v[33:34], v[31:32], s[80:81]
	s_delay_alu instid0(VALU_DEP_4) | instskip(NEXT) | instid1(VALU_DEP_2)
	v_add_f64 v[45:46], v[41:42], v[35:36]
	v_mul_f64 v[31:32], v[33:34], v[31:32]
	v_add_f64 v[33:34], v[37:38], -v[43:44]
	s_delay_alu instid0(VALU_DEP_3) | instskip(NEXT) | instid1(VALU_DEP_3)
	v_add_f64 v[37:38], v[45:46], -v[41:42]
	v_fma_f64 v[29:30], v[29:30], v[31:32], v[29:30]
	s_delay_alu instid0(VALU_DEP_3) | instskip(NEXT) | instid1(VALU_DEP_3)
	v_add_f64 v[27:28], v[27:28], v[33:34]
	v_add_f64 v[31:32], v[35:36], -v[37:38]
	s_delay_alu instid0(VALU_DEP_3) | instskip(NEXT) | instid1(VALU_DEP_2)
	v_add_f64 v[33:34], -v[29:30], s[82:83]
	v_add_f64 v[27:28], v[27:28], v[31:32]
	s_delay_alu instid0(VALU_DEP_2) | instskip(NEXT) | instid1(VALU_DEP_3)
	v_cndmask_b32_e64 v30, v30, v34, s2
	v_cndmask_b32_e64 v29, v29, v33, s2
	s_delay_alu instid0(VALU_DEP_1) | instskip(NEXT) | instid1(VALU_DEP_4)
	v_add_f64 v[31:32], -v[29:30], s[12:13]
	v_add_f64 v[27:28], v[45:46], v[27:28]
	v_and_b32_e32 v33, 0x54442d18, v7
	v_and_b32_e32 v7, 0x400921fb, v7
	s_delay_alu instid0(VALU_DEP_4) | instskip(SKIP_1) | instid1(VALU_DEP_1)
	v_cndmask_b32_e64 v29, v29, v31, s3
	v_cndmask_b32_e64 v10, v30, v32, s3
                                        ; implicit-def: $vgpr31_vgpr32
	v_cndmask_b32_e64 v7, v10, v7, s4
	v_dual_cndmask_b32 v6, v28, v6 :: v_dual_cndmask_b32 v5, v27, v5
	s_delay_alu instid0(VALU_DEP_4) | instskip(SKIP_1) | instid1(VALU_DEP_3)
	v_cndmask_b32_e64 v27, v29, v33, s4
	s_and_b32 vcc_lo, s8, s7
	v_cndmask_b32_e32 v28, v7, v9, vcc_lo
	s_delay_alu instid0(VALU_DEP_3) | instskip(NEXT) | instid1(VALU_DEP_3)
	v_mul_f64 v[5:6], v[5:6], 0.5
	v_cndmask_b32_e32 v27, v27, v18, vcc_lo
.LBB192_60:                             ;   in Loop: Header=BB192_5 Depth=1
	s_and_not1_saveexec_b32 s4, s6
	s_cbranch_execz .LBB192_62
; %bb.61:                               ;   in Loop: Header=BB192_5 Depth=1
	v_max_f64 v[5:6], |v[11:12]|, |v[11:12]|
	v_max_f64 v[27:28], |v[9:10]|, |v[9:10]|
	s_mov_b32 s12, s82
	v_cmp_eq_f64_e64 s3, 0, v[11:12]
	v_cmp_class_f64_e64 s6, v[11:12], 0x204
	v_cmp_class_f64_e64 s7, v[9:10], 0x204
	v_ashrrev_i32_e32 v18, 31, v10
	v_max_f64 v[29:30], v[27:28], v[5:6]
	v_min_f64 v[5:6], v[27:28], v[5:6]
	s_delay_alu instid0(VALU_DEP_1) | instskip(SKIP_1) | instid1(VALU_DEP_2)
	v_div_scale_f64 v[27:28], null, v[29:30], v[29:30], v[5:6]
	v_div_scale_f64 v[37:38], vcc_lo, v[5:6], v[29:30], v[5:6]
	v_rcp_f64_e32 v[33:34], v[27:28]
	s_waitcnt_depctr 0xfff
	v_fma_f64 v[35:36], -v[27:28], v[33:34], 1.0
	s_delay_alu instid0(VALU_DEP_1) | instskip(NEXT) | instid1(VALU_DEP_1)
	v_fma_f64 v[33:34], v[33:34], v[35:36], v[33:34]
	v_fma_f64 v[35:36], -v[27:28], v[33:34], 1.0
	s_delay_alu instid0(VALU_DEP_1) | instskip(NEXT) | instid1(VALU_DEP_1)
	v_fma_f64 v[33:34], v[33:34], v[35:36], v[33:34]
	v_mul_f64 v[35:36], v[37:38], v[33:34]
	s_delay_alu instid0(VALU_DEP_1) | instskip(NEXT) | instid1(VALU_DEP_1)
	v_fma_f64 v[27:28], -v[27:28], v[35:36], v[37:38]
	v_div_fmas_f64 v[27:28], v[27:28], v[33:34], v[35:36]
	v_cmp_gt_i32_e32 vcc_lo, 0, v10
	v_and_b32_e32 v34, 0x54442d18, v18
	v_and_b32_e32 v10, 0x400921fb, v18
	v_cndmask_b32_e32 v33, 0x54442d18, v55, vcc_lo
	v_cndmask_b32_e32 v9, 0x3fe921fb, v56, vcc_lo
	s_delay_alu instid0(VALU_DEP_1) | instskip(SKIP_1) | instid1(VALU_DEP_1)
	v_bfi_b32 v9, 0x7fffffff, v9, v12
	v_div_fixup_f64 v[5:6], v[27:28], v[29:30], v[5:6]
	v_mul_f64 v[27:28], v[5:6], v[5:6]
	s_delay_alu instid0(VALU_DEP_1) | instskip(NEXT) | instid1(VALU_DEP_1)
	v_fma_f64 v[29:30], v[27:28], s[44:45], s[42:43]
	v_fma_f64 v[29:30], v[27:28], v[29:30], s[46:47]
	s_delay_alu instid0(VALU_DEP_1) | instskip(NEXT) | instid1(VALU_DEP_1)
	v_fma_f64 v[29:30], v[27:28], v[29:30], s[48:49]
	v_fma_f64 v[29:30], v[27:28], v[29:30], s[50:51]
	s_delay_alu instid0(VALU_DEP_1) | instskip(NEXT) | instid1(VALU_DEP_1)
	v_fma_f64 v[29:30], v[27:28], v[29:30], s[52:53]
	v_fma_f64 v[29:30], v[27:28], v[29:30], s[54:55]
	s_delay_alu instid0(VALU_DEP_1) | instskip(NEXT) | instid1(VALU_DEP_1)
	v_fma_f64 v[29:30], v[27:28], v[29:30], s[56:57]
	v_fma_f64 v[29:30], v[27:28], v[29:30], s[58:59]
	s_delay_alu instid0(VALU_DEP_1) | instskip(NEXT) | instid1(VALU_DEP_1)
	v_fma_f64 v[29:30], v[27:28], v[29:30], s[60:61]
	v_fma_f64 v[29:30], v[27:28], v[29:30], s[62:63]
	s_delay_alu instid0(VALU_DEP_1) | instskip(NEXT) | instid1(VALU_DEP_1)
	v_fma_f64 v[29:30], v[27:28], v[29:30], s[64:65]
	v_fma_f64 v[29:30], v[27:28], v[29:30], s[66:67]
	s_delay_alu instid0(VALU_DEP_1) | instskip(NEXT) | instid1(VALU_DEP_1)
	v_fma_f64 v[29:30], v[27:28], v[29:30], s[68:69]
	v_fma_f64 v[29:30], v[27:28], v[29:30], s[70:71]
	s_delay_alu instid0(VALU_DEP_1) | instskip(NEXT) | instid1(VALU_DEP_1)
	v_fma_f64 v[29:30], v[27:28], v[29:30], s[72:73]
	v_fma_f64 v[29:30], v[27:28], v[29:30], s[74:75]
	s_delay_alu instid0(VALU_DEP_1) | instskip(NEXT) | instid1(VALU_DEP_1)
	v_fma_f64 v[29:30], v[27:28], v[29:30], s[76:77]
	v_fma_f64 v[29:30], v[27:28], v[29:30], s[78:79]
	s_delay_alu instid0(VALU_DEP_1) | instskip(NEXT) | instid1(VALU_DEP_1)
	v_fma_f64 v[29:30], v[27:28], v[29:30], s[80:81]
	v_mul_f64 v[27:28], v[27:28], v[29:30]
	v_mul_f64 v[29:30], v[31:32], 0.5
	s_delay_alu instid0(VALU_DEP_2) | instskip(NEXT) | instid1(VALU_DEP_1)
	v_fma_f64 v[5:6], v[5:6], v[27:28], v[5:6]
	v_add_f64 v[27:28], -v[5:6], s[82:83]
	s_delay_alu instid0(VALU_DEP_1) | instskip(NEXT) | instid1(VALU_DEP_2)
	v_cndmask_b32_e64 v7, v6, v28, s2
	v_cndmask_b32_e64 v6, v5, v27, s2
	s_delay_alu instid0(VALU_DEP_1) | instskip(NEXT) | instid1(VALU_DEP_1)
	v_add_f64 v[27:28], -v[6:7], s[12:13]
	v_cndmask_b32_e32 v27, v6, v27, vcc_lo
	v_mul_f64 v[5:6], v[31:32], v[29:30]
	s_delay_alu instid0(VALU_DEP_3) | instskip(SKIP_1) | instid1(VALU_DEP_3)
	v_cndmask_b32_e32 v7, v7, v28, vcc_lo
	s_and_b32 vcc_lo, s7, s6
	v_cndmask_b32_e64 v18, v27, v34, s3
	s_delay_alu instid0(VALU_DEP_2) | instskip(NEXT) | instid1(VALU_DEP_2)
	v_cndmask_b32_e64 v7, v7, v10, s3
	v_cndmask_b32_e32 v27, v18, v33, vcc_lo
	s_delay_alu instid0(VALU_DEP_2)
	v_cndmask_b32_e32 v28, v7, v9, vcc_lo
.LBB192_62:                             ;   in Loop: Header=BB192_5 Depth=1
	s_or_b32 exec_lo, exec_lo, s4
.LBB192_63:                             ;   in Loop: Header=BB192_5 Depth=1
	s_delay_alu instid0(SALU_CYCLE_1)
	s_or_b32 exec_lo, exec_lo, s5
.LBB192_64:                             ;   in Loop: Header=BB192_5 Depth=1
	s_and_not1_saveexec_b32 s5, s98
	s_cbranch_execz .LBB192_66
; %bb.65:                               ;   in Loop: Header=BB192_5 Depth=1
	v_div_scale_f64 v[5:6], null, s[88:89], s[88:89], v[9:10]
	v_div_scale_f64 v[27:28], null, s[88:89], s[88:89], v[11:12]
	v_div_scale_f64 v[37:38], vcc_lo, v[9:10], s[88:89], v[9:10]
	v_max_f64 v[41:42], |v[9:10]|, |v[9:10]|
	s_mov_b32 s93, s23
	s_mov_b32 s12, s82
	s_delay_alu instid0(VALU_DEP_4) | instskip(NEXT) | instid1(VALU_DEP_3)
	v_rcp_f64_e32 v[29:30], v[5:6]
	v_rcp_f64_e32 v[31:32], v[27:28]
	s_waitcnt_depctr 0xfff
	v_fma_f64 v[33:34], -v[5:6], v[29:30], 1.0
	v_fma_f64 v[35:36], -v[27:28], v[31:32], 1.0
	s_delay_alu instid0(VALU_DEP_2) | instskip(NEXT) | instid1(VALU_DEP_2)
	v_fma_f64 v[29:30], v[29:30], v[33:34], v[29:30]
	v_fma_f64 v[31:32], v[31:32], v[35:36], v[31:32]
	s_delay_alu instid0(VALU_DEP_2) | instskip(NEXT) | instid1(VALU_DEP_2)
	v_fma_f64 v[33:34], -v[5:6], v[29:30], 1.0
	v_fma_f64 v[35:36], -v[27:28], v[31:32], 1.0
	s_delay_alu instid0(VALU_DEP_2) | instskip(SKIP_1) | instid1(VALU_DEP_3)
	v_fma_f64 v[29:30], v[29:30], v[33:34], v[29:30]
	v_div_scale_f64 v[33:34], s3, v[11:12], s[88:89], v[11:12]
	v_fma_f64 v[31:32], v[31:32], v[35:36], v[31:32]
	s_delay_alu instid0(VALU_DEP_3) | instskip(NEXT) | instid1(VALU_DEP_2)
	v_mul_f64 v[35:36], v[37:38], v[29:30]
	v_mul_f64 v[39:40], v[33:34], v[31:32]
	s_delay_alu instid0(VALU_DEP_2) | instskip(NEXT) | instid1(VALU_DEP_2)
	v_fma_f64 v[5:6], -v[5:6], v[35:36], v[37:38]
	v_fma_f64 v[27:28], -v[27:28], v[39:40], v[33:34]
	s_delay_alu instid0(VALU_DEP_2) | instskip(SKIP_1) | instid1(VALU_DEP_2)
	v_div_fmas_f64 v[5:6], v[5:6], v[29:30], v[35:36]
	s_mov_b32 vcc_lo, s3
	v_div_fmas_f64 v[27:28], v[27:28], v[31:32], v[39:40]
	s_delay_alu instid0(VALU_DEP_2) | instskip(NEXT) | instid1(VALU_DEP_2)
	v_div_fixup_f64 v[5:6], v[5:6], s[88:89], v[9:10]
	v_div_fixup_f64 v[27:28], v[27:28], s[88:89], v[11:12]
	s_delay_alu instid0(VALU_DEP_2) | instskip(NEXT) | instid1(VALU_DEP_2)
	v_cmp_class_f64_e64 s4, v[5:6], 0x204
	v_max_f64 v[29:30], |v[5:6]|, |v[27:28]|
	v_cmp_o_f64_e64 s3, v[5:6], v[27:28]
	v_cmp_class_f64_e64 s6, v[27:28], 0x204
	s_delay_alu instid0(VALU_DEP_3) | instskip(NEXT) | instid1(VALU_DEP_2)
	v_frexp_exp_i32_f64_e32 v7, v[29:30]
	s_or_b32 s6, s4, s6
	s_delay_alu instid0(VALU_DEP_1) | instskip(NEXT) | instid1(VALU_DEP_1)
	v_sub_nc_u32_e32 v18, 0, v7
	v_ldexp_f64 v[29:30], |v[27:28]|, v18
	v_ldexp_f64 v[31:32], |v[5:6]|, v18
	s_delay_alu instid0(VALU_DEP_2) | instskip(NEXT) | instid1(VALU_DEP_1)
	v_mul_f64 v[29:30], v[29:30], v[29:30]
	v_fma_f64 v[29:30], v[31:32], v[31:32], v[29:30]
	s_delay_alu instid0(VALU_DEP_1) | instskip(SKIP_4) | instid1(VALU_DEP_1)
	v_rsq_f64_e32 v[31:32], v[29:30]
	v_cmp_eq_f64_e32 vcc_lo, 0, v[29:30]
	s_waitcnt_depctr 0xfff
	v_mul_f64 v[33:34], v[29:30], v[31:32]
	v_mul_f64 v[31:32], v[31:32], 0.5
	v_fma_f64 v[35:36], -v[31:32], v[33:34], 0.5
	s_delay_alu instid0(VALU_DEP_1) | instskip(SKIP_1) | instid1(VALU_DEP_2)
	v_fma_f64 v[33:34], v[33:34], v[35:36], v[33:34]
	v_fma_f64 v[31:32], v[31:32], v[35:36], v[31:32]
	v_fma_f64 v[35:36], -v[33:34], v[33:34], v[29:30]
	s_delay_alu instid0(VALU_DEP_1) | instskip(NEXT) | instid1(VALU_DEP_1)
	v_fma_f64 v[31:32], v[35:36], v[31:32], v[33:34]
	v_dual_cndmask_b32 v30, v32, v30 :: v_dual_cndmask_b32 v29, v31, v29
	s_delay_alu instid0(VALU_DEP_1) | instskip(NEXT) | instid1(VALU_DEP_1)
	v_ldexp_f64 v[29:30], v[29:30], v7
	v_cndmask_b32_e64 v5, 0, v29, s3
	s_delay_alu instid0(VALU_DEP_2) | instskip(NEXT) | instid1(VALU_DEP_2)
	v_cndmask_b32_e64 v53, 0x7ff80000, v30, s3
	v_cndmask_b32_e64 v6, v5, 0, s6
	s_delay_alu instid0(VALU_DEP_2) | instskip(NEXT) | instid1(VALU_DEP_1)
	v_cndmask_b32_e64 v7, v53, 0x7ff00000, s6
	v_frexp_mant_f64_e32 v[27:28], v[6:7]
	s_delay_alu instid0(VALU_DEP_1) | instskip(NEXT) | instid1(VALU_DEP_1)
	v_cmp_gt_f64_e64 s4, s[22:23], v[27:28]
	v_cndmask_b32_e64 v18, 0x3ff00000, 2.0, s4
	s_delay_alu instid0(VALU_DEP_1) | instskip(SKIP_1) | instid1(VALU_DEP_2)
	v_mul_f64 v[27:28], v[27:28], v[17:18]
	v_frexp_exp_i32_f64_e32 v18, v[6:7]
	v_add_f64 v[31:32], v[27:28], 1.0
	v_add_f64 v[37:38], v[27:28], -1.0
	s_delay_alu instid0(VALU_DEP_2) | instskip(SKIP_1) | instid1(VALU_DEP_1)
	v_rcp_f64_e32 v[33:34], v[31:32]
	v_add_f64 v[43:44], v[31:32], -1.0
	v_add_f64 v[27:28], v[27:28], -v[43:44]
	s_waitcnt_depctr 0xfff
	v_fma_f64 v[35:36], -v[31:32], v[33:34], 1.0
	s_delay_alu instid0(VALU_DEP_1) | instskip(NEXT) | instid1(VALU_DEP_1)
	v_fma_f64 v[33:34], v[35:36], v[33:34], v[33:34]
	v_fma_f64 v[35:36], -v[31:32], v[33:34], 1.0
	s_delay_alu instid0(VALU_DEP_1) | instskip(SKIP_1) | instid1(VALU_DEP_2)
	v_fma_f64 v[33:34], v[35:36], v[33:34], v[33:34]
	v_max_f64 v[35:36], |v[11:12]|, |v[11:12]|
	v_mul_f64 v[39:40], v[37:38], v[33:34]
	s_delay_alu instid0(VALU_DEP_2) | instskip(SKIP_1) | instid1(VALU_DEP_3)
	v_max_f64 v[47:48], v[41:42], v[35:36]
	v_min_f64 v[35:36], v[41:42], v[35:36]
	v_mul_f64 v[45:46], v[31:32], v[39:40]
	s_delay_alu instid0(VALU_DEP_2) | instskip(NEXT) | instid1(VALU_DEP_2)
	v_div_scale_f64 v[41:42], null, v[47:48], v[47:48], v[35:36]
	v_fma_f64 v[31:32], v[39:40], v[31:32], -v[45:46]
	s_delay_alu instid0(VALU_DEP_1) | instskip(NEXT) | instid1(VALU_DEP_3)
	v_fma_f64 v[27:28], v[39:40], v[27:28], v[31:32]
	v_rcp_f64_e32 v[31:32], v[41:42]
	s_delay_alu instid0(VALU_DEP_1) | instskip(SKIP_4) | instid1(VALU_DEP_3)
	v_add_f64 v[43:44], v[45:46], v[27:28]
	s_waitcnt_depctr 0xfff
	v_fma_f64 v[49:50], -v[41:42], v[31:32], 1.0
	v_add_f64 v[51:52], v[37:38], -v[43:44]
	v_add_f64 v[45:46], v[43:44], -v[45:46]
	v_fma_f64 v[31:32], v[31:32], v[49:50], v[31:32]
	s_delay_alu instid0(VALU_DEP_3) | instskip(NEXT) | instid1(VALU_DEP_3)
	v_add_f64 v[37:38], v[37:38], -v[51:52]
	v_add_f64 v[27:28], v[45:46], -v[27:28]
	s_delay_alu instid0(VALU_DEP_3) | instskip(NEXT) | instid1(VALU_DEP_3)
	v_fma_f64 v[49:50], -v[41:42], v[31:32], 1.0
	v_add_f64 v[37:38], v[37:38], -v[43:44]
	v_div_scale_f64 v[43:44], vcc_lo, v[35:36], v[47:48], v[35:36]
	s_delay_alu instid0(VALU_DEP_3) | instskip(NEXT) | instid1(VALU_DEP_3)
	v_fma_f64 v[31:32], v[31:32], v[49:50], v[31:32]
	v_add_f64 v[27:28], v[27:28], v[37:38]
	s_delay_alu instid0(VALU_DEP_2) | instskip(NEXT) | instid1(VALU_DEP_2)
	v_mul_f64 v[37:38], v[43:44], v[31:32]
	v_add_f64 v[27:28], v[51:52], v[27:28]
	s_delay_alu instid0(VALU_DEP_2) | instskip(NEXT) | instid1(VALU_DEP_2)
	v_fma_f64 v[41:42], -v[41:42], v[37:38], v[43:44]
	v_mul_f64 v[27:28], v[33:34], v[27:28]
	s_delay_alu instid0(VALU_DEP_2) | instskip(SKIP_2) | instid1(VALU_DEP_4)
	v_div_fmas_f64 v[31:32], v[41:42], v[31:32], v[37:38]
	v_subrev_co_ci_u32_e64 v18, vcc_lo, 0, v18, s4
	v_cmp_class_f64_e64 s4, v[9:10], 0x204
	v_add_f64 v[33:34], v[39:40], v[27:28]
	s_delay_alu instid0(VALU_DEP_4) | instskip(NEXT) | instid1(VALU_DEP_2)
	v_div_fixup_f64 v[31:32], v[31:32], v[47:48], v[35:36]
	v_mul_f64 v[35:36], v[33:34], v[33:34]
	s_delay_alu instid0(VALU_DEP_2) | instskip(NEXT) | instid1(VALU_DEP_2)
	v_mul_f64 v[37:38], v[31:32], v[31:32]
	v_fma_f64 v[41:42], v[35:36], s[26:27], s[24:25]
	v_mul_f64 v[45:46], v[33:34], v[35:36]
	s_delay_alu instid0(VALU_DEP_3) | instskip(NEXT) | instid1(VALU_DEP_3)
	v_fma_f64 v[43:44], v[37:38], s[44:45], s[42:43]
	v_fma_f64 v[41:42], v[35:36], v[41:42], s[28:29]
	s_delay_alu instid0(VALU_DEP_2) | instskip(NEXT) | instid1(VALU_DEP_2)
	v_fma_f64 v[43:44], v[37:38], v[43:44], s[46:47]
	v_fma_f64 v[41:42], v[35:36], v[41:42], s[30:31]
	s_delay_alu instid0(VALU_DEP_2) | instskip(NEXT) | instid1(VALU_DEP_2)
	;; [unrolled: 3-line block ×4, first 2 shown]
	v_fma_f64 v[43:44], v[37:38], v[43:44], s[52:53]
	v_fma_f64 v[35:36], v[35:36], v[41:42], s[92:93]
	s_delay_alu instid0(VALU_DEP_2) | instskip(SKIP_2) | instid1(VALU_DEP_4)
	v_fma_f64 v[41:42], v[37:38], v[43:44], s[54:55]
	v_ldexp_f64 v[43:44], v[33:34], 1
	v_add_f64 v[33:34], v[33:34], -v[39:40]
	v_mul_f64 v[35:36], v[45:46], v[35:36]
	v_cvt_f64_i32_e32 v[45:46], v18
	v_ashrrev_i32_e32 v18, 31, v10
	v_fma_f64 v[41:42], v[37:38], v[41:42], s[56:57]
	v_add_f64 v[27:28], v[27:28], -v[33:34]
	v_add_f64 v[39:40], v[43:44], v[35:36]
	v_mul_f64 v[47:48], v[45:46], s[38:39]
	s_delay_alu instid0(VALU_DEP_4) | instskip(NEXT) | instid1(VALU_DEP_4)
	v_fma_f64 v[41:42], v[37:38], v[41:42], s[58:59]
	v_ldexp_f64 v[27:28], v[27:28], 1
	s_delay_alu instid0(VALU_DEP_4) | instskip(NEXT) | instid1(VALU_DEP_4)
	v_add_f64 v[33:34], v[39:40], -v[43:44]
	v_fma_f64 v[43:44], v[45:46], s[38:39], -v[47:48]
	s_delay_alu instid0(VALU_DEP_4) | instskip(NEXT) | instid1(VALU_DEP_3)
	v_fma_f64 v[41:42], v[37:38], v[41:42], s[60:61]
	v_add_f64 v[33:34], v[35:36], -v[33:34]
	s_delay_alu instid0(VALU_DEP_2) | instskip(NEXT) | instid1(VALU_DEP_4)
	v_fma_f64 v[35:36], v[37:38], v[41:42], s[62:63]
	v_fma_f64 v[41:42], v[45:46], s[40:41], v[43:44]
	s_delay_alu instid0(VALU_DEP_3) | instskip(NEXT) | instid1(VALU_DEP_3)
	v_add_f64 v[27:28], v[27:28], v[33:34]
	v_fma_f64 v[33:34], v[37:38], v[35:36], s[64:65]
	s_delay_alu instid0(VALU_DEP_3) | instskip(NEXT) | instid1(VALU_DEP_3)
	v_add_f64 v[35:36], v[47:48], v[41:42]
	v_add_f64 v[43:44], v[39:40], v[27:28]
	s_delay_alu instid0(VALU_DEP_3) | instskip(NEXT) | instid1(VALU_DEP_3)
	v_fma_f64 v[33:34], v[37:38], v[33:34], s[66:67]
	v_add_f64 v[47:48], v[35:36], -v[47:48]
	s_delay_alu instid0(VALU_DEP_3) | instskip(SKIP_1) | instid1(VALU_DEP_4)
	v_add_f64 v[45:46], v[35:36], v[43:44]
	v_add_f64 v[39:40], v[43:44], -v[39:40]
	v_fma_f64 v[33:34], v[37:38], v[33:34], s[68:69]
	s_delay_alu instid0(VALU_DEP_4) | instskip(NEXT) | instid1(VALU_DEP_4)
	v_add_f64 v[41:42], v[41:42], -v[47:48]
	v_add_f64 v[49:50], v[45:46], -v[35:36]
	s_delay_alu instid0(VALU_DEP_4) | instskip(NEXT) | instid1(VALU_DEP_4)
	v_add_f64 v[27:28], v[27:28], -v[39:40]
	v_fma_f64 v[33:34], v[37:38], v[33:34], s[70:71]
	s_delay_alu instid0(VALU_DEP_3) | instskip(SKIP_1) | instid1(VALU_DEP_4)
	v_add_f64 v[51:52], v[45:46], -v[49:50]
	v_add_f64 v[39:40], v[43:44], -v[49:50]
	v_add_f64 v[43:44], v[41:42], v[27:28]
	s_delay_alu instid0(VALU_DEP_4) | instskip(NEXT) | instid1(VALU_DEP_4)
	v_fma_f64 v[33:34], v[37:38], v[33:34], s[72:73]
	v_add_f64 v[35:36], v[35:36], -v[51:52]
	s_delay_alu instid0(VALU_DEP_2) | instskip(NEXT) | instid1(VALU_DEP_2)
	v_fma_f64 v[33:34], v[37:38], v[33:34], s[74:75]
	v_add_f64 v[35:36], v[39:40], v[35:36]
	v_add_f64 v[39:40], v[43:44], -v[41:42]
	s_delay_alu instid0(VALU_DEP_3) | instskip(NEXT) | instid1(VALU_DEP_3)
	v_fma_f64 v[33:34], v[37:38], v[33:34], s[76:77]
	v_add_f64 v[35:36], v[43:44], v[35:36]
	s_delay_alu instid0(VALU_DEP_3) | instskip(SKIP_1) | instid1(VALU_DEP_4)
	v_add_f64 v[43:44], v[43:44], -v[39:40]
	v_add_f64 v[27:28], v[27:28], -v[39:40]
	v_fma_f64 v[33:34], v[37:38], v[33:34], s[78:79]
	s_delay_alu instid0(VALU_DEP_4) | instskip(NEXT) | instid1(VALU_DEP_4)
	v_add_f64 v[47:48], v[45:46], v[35:36]
	v_add_f64 v[39:40], v[41:42], -v[43:44]
	s_delay_alu instid0(VALU_DEP_3) | instskip(NEXT) | instid1(VALU_DEP_3)
	v_fma_f64 v[33:34], v[37:38], v[33:34], s[80:81]
	v_add_f64 v[41:42], v[47:48], -v[45:46]
	s_delay_alu instid0(VALU_DEP_3) | instskip(NEXT) | instid1(VALU_DEP_3)
	v_add_f64 v[27:28], v[27:28], v[39:40]
	v_mul_f64 v[33:34], v[37:38], v[33:34]
	s_delay_alu instid0(VALU_DEP_3) | instskip(NEXT) | instid1(VALU_DEP_2)
	v_add_f64 v[35:36], v[35:36], -v[41:42]
	v_fma_f64 v[31:32], v[31:32], v[33:34], v[31:32]
	s_delay_alu instid0(VALU_DEP_2) | instskip(NEXT) | instid1(VALU_DEP_2)
	v_add_f64 v[27:28], v[27:28], v[35:36]
	v_add_f64 v[33:34], -v[31:32], s[82:83]
	s_delay_alu instid0(VALU_DEP_2) | instskip(SKIP_1) | instid1(VALU_DEP_1)
	v_add_f64 v[27:28], v[47:48], v[27:28]
	v_and_b32_e32 v30, 0x7fffffff, v30
	v_cmp_eq_f64_e32 vcc_lo, 0x7ff00000, v[29:30]
	s_delay_alu instid0(VALU_DEP_4) | instskip(SKIP_2) | instid1(VALU_DEP_2)
	v_cndmask_b32_e64 v30, v32, v34, s2
	v_cndmask_b32_e64 v29, v31, v33, s2
	v_cmp_eq_f64_e64 s2, 0, v[11:12]
	v_add_f64 v[31:32], -v[29:30], s[12:13]
	s_and_b32 vcc_lo, s3, vcc_lo
	v_cmp_class_f64_e64 s3, v[11:12], 0x204
	v_cndmask_b32_e32 v27, v27, v5, vcc_lo
	v_dual_cndmask_b32 v28, v28, v53 :: v_dual_and_b32 v5, 0x54442d18, v18
	v_cmp_gt_i32_e32 vcc_lo, 0, v10
	v_and_b32_e32 v10, 0x400921fb, v18
	s_delay_alu instid0(VALU_DEP_3) | instskip(SKIP_3) | instid1(VALU_DEP_3)
	v_add_f64 v[27:28], v[27:28], 1.0
	v_cndmask_b32_e32 v29, v29, v31, vcc_lo
	v_cndmask_b32_e32 v33, 0x54442d18, v55, vcc_lo
	;; [unrolled: 1-line block ×3, first 2 shown]
	v_cndmask_b32_e64 v29, v29, v5, s2
	v_cndmask_b32_e32 v18, v30, v32, vcc_lo
	v_cmp_ngt_f64_e32 vcc_lo, 0, v[6:7]
	s_delay_alu instid0(VALU_DEP_4) | instskip(NEXT) | instid1(VALU_DEP_3)
	v_bfi_b32 v9, 0x7fffffff, v9, v12
	v_cndmask_b32_e64 v5, v18, v10, s2
	v_cmp_nge_f64_e64 s2, 0, v[6:7]
	v_cndmask_b32_e64 v28, v28, 0x7ff00000, s6
	v_cndmask_b32_e64 v10, v27, 0, s6
	s_delay_alu instid0(VALU_DEP_2)
	v_cndmask_b32_e32 v18, 0x7ff80000, v28, vcc_lo
	s_and_b32 vcc_lo, s4, s3
	v_cndmask_b32_e32 v27, v29, v33, vcc_lo
	v_cndmask_b32_e32 v28, v5, v9, vcc_lo
	v_cndmask_b32_e64 v5, 0, v10, s2
	v_cmp_neq_f64_e64 s2, 0, v[6:7]
	s_delay_alu instid0(VALU_DEP_1)
	v_cndmask_b32_e64 v6, 0xfff00000, v18, s2
.LBB192_66:                             ;   in Loop: Header=BB192_5 Depth=1
	s_or_b32 exec_lo, exec_lo, s5
.LBB192_67:                             ;   in Loop: Header=BB192_5 Depth=1
	s_and_not1_saveexec_b32 s2, s97
	s_cbranch_execz .LBB192_73
; %bb.68:                               ;   in Loop: Header=BB192_5 Depth=1
	v_cmp_ngt_f64_e64 s3, 0x20000000, |v[9:10]|
	v_cmp_ngt_f64_e64 s4, 0x20000000, |v[11:12]|
                                        ; implicit-def: $vgpr6_vgpr7
	s_delay_alu instid0(VALU_DEP_1) | instskip(NEXT) | instid1(SALU_CYCLE_1)
	s_or_b32 s3, s3, s4
	s_and_saveexec_b32 s4, s3
	s_delay_alu instid0(SALU_CYCLE_1)
	s_xor_b32 s3, exec_lo, s4
; %bb.69:                               ;   in Loop: Header=BB192_5 Depth=1
	v_mul_f64 v[5:6], v[11:12], v[11:12]
	s_delay_alu instid0(VALU_DEP_1)
	v_fma_f64 v[6:7], v[9:10], v[9:10], v[5:6]
; %bb.70:                               ;   in Loop: Header=BB192_5 Depth=1
	s_and_not1_saveexec_b32 s3, s3
; %bb.71:                               ;   in Loop: Header=BB192_5 Depth=1
	v_mul_f64 v[5:6], v[11:12], 4.0
	v_mul_f64 v[9:10], v[9:10], 4.0
	s_delay_alu instid0(VALU_DEP_2) | instskip(NEXT) | instid1(VALU_DEP_1)
	v_mul_f64 v[5:6], v[5:6], v[5:6]
	v_fma_f64 v[5:6], v[9:10], v[9:10], v[5:6]
	s_delay_alu instid0(VALU_DEP_1)
	v_ldexp_f64 v[6:7], v[5:6], -4
; %bb.72:                               ;   in Loop: Header=BB192_5 Depth=1
	s_or_b32 exec_lo, exec_lo, s3
	s_delay_alu instid0(VALU_DEP_1) | instskip(SKIP_2) | instid1(VALU_DEP_2)
	v_frexp_mant_f64_e32 v[9:10], v[6:7]
	s_mov_b32 s93, s23
	v_frexp_exp_i32_f64_e32 v5, v[6:7]
	v_cmp_gt_f64_e32 vcc_lo, s[22:23], v[9:10]
	v_cndmask_b32_e64 v18, 0x3ff00000, 2.0, vcc_lo
	s_delay_alu instid0(VALU_DEP_3) | instskip(SKIP_1) | instid1(VALU_DEP_3)
	v_subrev_co_ci_u32_e32 v5, vcc_lo, 0, v5, vcc_lo
	v_cmp_class_f64_e64 vcc_lo, v[6:7], 0x204
	v_mul_f64 v[9:10], v[9:10], v[17:18]
	s_delay_alu instid0(VALU_DEP_1) | instskip(SKIP_1) | instid1(VALU_DEP_2)
	v_add_f64 v[27:28], v[9:10], 1.0
	v_add_f64 v[33:34], v[9:10], -1.0
	v_rcp_f64_e32 v[29:30], v[27:28]
	v_add_f64 v[35:36], v[27:28], -1.0
	s_delay_alu instid0(VALU_DEP_1) | instskip(SKIP_2) | instid1(VALU_DEP_1)
	v_add_f64 v[9:10], v[9:10], -v[35:36]
	s_waitcnt_depctr 0xfff
	v_fma_f64 v[31:32], -v[27:28], v[29:30], 1.0
	v_fma_f64 v[29:30], v[31:32], v[29:30], v[29:30]
	s_delay_alu instid0(VALU_DEP_1) | instskip(NEXT) | instid1(VALU_DEP_1)
	v_fma_f64 v[31:32], -v[27:28], v[29:30], 1.0
	v_fma_f64 v[29:30], v[31:32], v[29:30], v[29:30]
	s_delay_alu instid0(VALU_DEP_1) | instskip(NEXT) | instid1(VALU_DEP_1)
	v_mul_f64 v[31:32], v[33:34], v[29:30]
	v_mul_f64 v[37:38], v[27:28], v[31:32]
	s_delay_alu instid0(VALU_DEP_1) | instskip(NEXT) | instid1(VALU_DEP_1)
	v_fma_f64 v[27:28], v[31:32], v[27:28], -v[37:38]
	v_fma_f64 v[9:10], v[31:32], v[9:10], v[27:28]
	s_delay_alu instid0(VALU_DEP_1) | instskip(NEXT) | instid1(VALU_DEP_1)
	v_add_f64 v[27:28], v[37:38], v[9:10]
	v_add_f64 v[35:36], v[33:34], -v[27:28]
	v_add_f64 v[37:38], v[27:28], -v[37:38]
	s_delay_alu instid0(VALU_DEP_2) | instskip(NEXT) | instid1(VALU_DEP_2)
	v_add_f64 v[33:34], v[33:34], -v[35:36]
	v_add_f64 v[9:10], v[37:38], -v[9:10]
	s_delay_alu instid0(VALU_DEP_2) | instskip(NEXT) | instid1(VALU_DEP_1)
	v_add_f64 v[27:28], v[33:34], -v[27:28]
	v_add_f64 v[9:10], v[9:10], v[27:28]
	s_delay_alu instid0(VALU_DEP_1) | instskip(NEXT) | instid1(VALU_DEP_1)
	v_add_f64 v[9:10], v[35:36], v[9:10]
	v_mul_f64 v[9:10], v[29:30], v[9:10]
	s_delay_alu instid0(VALU_DEP_1) | instskip(NEXT) | instid1(VALU_DEP_1)
	v_add_f64 v[27:28], v[31:32], v[9:10]
	v_mul_f64 v[29:30], v[27:28], v[27:28]
	s_delay_alu instid0(VALU_DEP_1) | instskip(SKIP_1) | instid1(VALU_DEP_2)
	v_fma_f64 v[33:34], v[29:30], s[26:27], s[24:25]
	v_mul_f64 v[35:36], v[27:28], v[29:30]
	v_fma_f64 v[33:34], v[29:30], v[33:34], s[28:29]
	s_delay_alu instid0(VALU_DEP_1) | instskip(NEXT) | instid1(VALU_DEP_1)
	v_fma_f64 v[33:34], v[29:30], v[33:34], s[30:31]
	v_fma_f64 v[33:34], v[29:30], v[33:34], s[34:35]
	s_delay_alu instid0(VALU_DEP_1) | instskip(NEXT) | instid1(VALU_DEP_1)
	v_fma_f64 v[33:34], v[29:30], v[33:34], s[36:37]
	v_fma_f64 v[29:30], v[29:30], v[33:34], s[92:93]
	v_ldexp_f64 v[33:34], v[27:28], 1
	v_add_f64 v[27:28], v[27:28], -v[31:32]
	s_delay_alu instid0(VALU_DEP_3) | instskip(SKIP_1) | instid1(VALU_DEP_3)
	v_mul_f64 v[29:30], v[35:36], v[29:30]
	v_cvt_f64_i32_e32 v[35:36], v5
	v_add_f64 v[9:10], v[9:10], -v[27:28]
	s_delay_alu instid0(VALU_DEP_3) | instskip(NEXT) | instid1(VALU_DEP_3)
	v_add_f64 v[31:32], v[33:34], v[29:30]
	v_mul_f64 v[37:38], v[35:36], s[38:39]
	s_delay_alu instid0(VALU_DEP_3) | instskip(NEXT) | instid1(VALU_DEP_3)
	v_ldexp_f64 v[9:10], v[9:10], 1
	v_add_f64 v[27:28], v[31:32], -v[33:34]
	s_delay_alu instid0(VALU_DEP_3) | instskip(NEXT) | instid1(VALU_DEP_2)
	v_fma_f64 v[33:34], v[35:36], s[38:39], -v[37:38]
	v_add_f64 v[27:28], v[29:30], -v[27:28]
	s_delay_alu instid0(VALU_DEP_2) | instskip(NEXT) | instid1(VALU_DEP_2)
	v_fma_f64 v[29:30], v[35:36], s[40:41], v[33:34]
	v_add_f64 v[9:10], v[9:10], v[27:28]
	s_delay_alu instid0(VALU_DEP_2) | instskip(NEXT) | instid1(VALU_DEP_2)
	v_add_f64 v[27:28], v[37:38], v[29:30]
	v_add_f64 v[33:34], v[31:32], v[9:10]
	s_delay_alu instid0(VALU_DEP_2) | instskip(NEXT) | instid1(VALU_DEP_2)
	v_add_f64 v[37:38], v[27:28], -v[37:38]
	v_add_f64 v[35:36], v[27:28], v[33:34]
	v_add_f64 v[31:32], v[33:34], -v[31:32]
	s_delay_alu instid0(VALU_DEP_3) | instskip(NEXT) | instid1(VALU_DEP_3)
	v_add_f64 v[29:30], v[29:30], -v[37:38]
	v_add_f64 v[39:40], v[35:36], -v[27:28]
	s_delay_alu instid0(VALU_DEP_3) | instskip(NEXT) | instid1(VALU_DEP_2)
	v_add_f64 v[9:10], v[9:10], -v[31:32]
	v_add_f64 v[41:42], v[35:36], -v[39:40]
	;; [unrolled: 1-line block ×3, first 2 shown]
	s_delay_alu instid0(VALU_DEP_3) | instskip(NEXT) | instid1(VALU_DEP_3)
	v_add_f64 v[33:34], v[29:30], v[9:10]
	v_add_f64 v[27:28], v[27:28], -v[41:42]
	s_delay_alu instid0(VALU_DEP_1) | instskip(NEXT) | instid1(VALU_DEP_3)
	v_add_f64 v[27:28], v[31:32], v[27:28]
	v_add_f64 v[31:32], v[33:34], -v[29:30]
	s_delay_alu instid0(VALU_DEP_2) | instskip(NEXT) | instid1(VALU_DEP_2)
	v_add_f64 v[27:28], v[33:34], v[27:28]
	v_add_f64 v[33:34], v[33:34], -v[31:32]
	v_add_f64 v[9:10], v[9:10], -v[31:32]
	s_delay_alu instid0(VALU_DEP_3) | instskip(NEXT) | instid1(VALU_DEP_3)
	v_add_f64 v[37:38], v[35:36], v[27:28]
	v_add_f64 v[29:30], v[29:30], -v[33:34]
	s_delay_alu instid0(VALU_DEP_2) | instskip(NEXT) | instid1(VALU_DEP_2)
	v_add_f64 v[31:32], v[37:38], -v[35:36]
	v_add_f64 v[9:10], v[9:10], v[29:30]
	s_delay_alu instid0(VALU_DEP_2) | instskip(NEXT) | instid1(VALU_DEP_1)
	v_add_f64 v[27:28], v[27:28], -v[31:32]
	v_add_f64 v[9:10], v[9:10], v[27:28]
	s_delay_alu instid0(VALU_DEP_1) | instskip(NEXT) | instid1(VALU_DEP_1)
	v_add_f64 v[9:10], v[37:38], v[9:10]
	v_cndmask_b32_e32 v5, v9, v6, vcc_lo
	s_delay_alu instid0(VALU_DEP_2) | instskip(SKIP_1) | instid1(VALU_DEP_2)
	v_cndmask_b32_e32 v9, v10, v7, vcc_lo
	v_cmp_ngt_f64_e32 vcc_lo, 0, v[6:7]
	v_cndmask_b32_e32 v9, 0x7ff80000, v9, vcc_lo
	v_cmp_nge_f64_e32 vcc_lo, 0, v[6:7]
	v_mov_b32_e32 v27, 0
	v_dual_mov_b32 v28, 0x7ff80000 :: v_dual_cndmask_b32 v5, 0, v5
	v_cmp_neq_f64_e32 vcc_lo, 0, v[6:7]
	v_cndmask_b32_e32 v6, 0xfff00000, v9, vcc_lo
.LBB192_73:                             ;   in Loop: Header=BB192_5 Depth=1
	s_or_b32 exec_lo, exec_lo, s2
                                        ; implicit-def: $vgpr9_vgpr10
                                        ; implicit-def: $vgpr29_vgpr30
	s_delay_alu instid0(SALU_CYCLE_1)
	s_mov_b32 s2, exec_lo
	s_waitcnt vmcnt(0)
	v_cmpx_o_f64_e32 v[13:14], v[15:16]
	s_xor_b32 s97, exec_lo, s2
	s_cbranch_execz .LBB192_101
; %bb.74:                               ;   in Loop: Header=BB192_5 Depth=1
	v_cmp_lt_f64_e64 s2, |v[13:14]|, |v[15:16]|
	v_dual_mov_b32 v18, v15 :: v_dual_and_b32 v7, 0x7fffffff, v14
	v_and_b32_e32 v11, 0x7fffffff, v16
                                        ; implicit-def: $vgpr9_vgpr10
                                        ; implicit-def: $vgpr29_vgpr30
	s_mov_b32 s3, exec_lo
	s_delay_alu instid0(VALU_DEP_1) | instskip(NEXT) | instid1(VALU_DEP_3)
	v_cndmask_b32_e64 v34, v11, v7, s2
	v_cndmask_b32_e64 v33, v18, v13, s2
	s_delay_alu instid0(VALU_DEP_1)
	v_cmpx_nlt_f64_e32 s[14:15], v[33:34]
	s_xor_b32 s98, exec_lo, s3
	s_cbranch_execz .LBB192_98
; %bb.75:                               ;   in Loop: Header=BB192_5 Depth=1
	v_cndmask_b32_e64 v36, v7, v11, s2
	v_cndmask_b32_e64 v35, v13, v18, s2
                                        ; implicit-def: $vgpr9_vgpr10
                                        ; implicit-def: $vgpr29_vgpr30
	s_mov_b32 s3, exec_lo
	s_delay_alu instid0(VALU_DEP_1)
	v_cmpx_neq_f64_e32 1.0, v[35:36]
	s_xor_b32 s99, exec_lo, s3
	s_cbranch_execz .LBB192_91
; %bb.76:                               ;   in Loop: Header=BB192_5 Depth=1
	v_max_f64 v[9:10], v[33:34], v[33:34]
	v_max_f64 v[29:30], v[35:36], v[35:36]
	s_delay_alu instid0(VALU_DEP_1) | instskip(SKIP_1) | instid1(VALU_DEP_2)
	v_min_f64 v[31:32], v[29:30], v[9:10]
	v_max_f64 v[9:10], v[29:30], v[9:10]
                                        ; implicit-def: $vgpr29_vgpr30
	v_cmp_ngt_f64_e32 vcc_lo, s[18:19], v[31:32]
	s_delay_alu instid0(VALU_DEP_2) | instskip(NEXT) | instid1(VALU_DEP_1)
	v_cmp_nlt_f64_e64 s3, s[20:21], v[9:10]
                                        ; implicit-def: $vgpr9_vgpr10
	s_and_b32 s3, s3, vcc_lo
	s_delay_alu instid0(SALU_CYCLE_1) | instskip(NEXT) | instid1(SALU_CYCLE_1)
	s_and_saveexec_b32 s4, s3
	s_xor_b32 s103, exec_lo, s4
	s_cbranch_execz .LBB192_88
; %bb.77:                               ;   in Loop: Header=BB192_5 Depth=1
                                        ; implicit-def: $vgpr9_vgpr10
                                        ; implicit-def: $vgpr29_vgpr30
	s_mov_b32 s3, exec_lo
	v_cmpx_le_f64_e32 1.0, v[35:36]
	s_xor_b32 s4, exec_lo, s3
	s_cbranch_execz .LBB192_79
; %bb.78:                               ;   in Loop: Header=BB192_5 Depth=1
	v_add_f64 v[9:10], v[35:36], -1.0
	v_add_f64 v[29:30], v[35:36], 1.0
	s_mov_b32 s93, s23
	s_mov_b32 s12, s82
	v_cmp_gt_i32_e64 s3, 0, v14
	v_cmp_class_f64_e64 s6, v[13:14], 0x204
	v_cmp_class_f64_e64 s5, v[15:16], 0x204
	s_delay_alu instid0(VALU_DEP_3) | instskip(SKIP_1) | instid1(VALU_DEP_1)
	v_cndmask_b32_e64 v18, 0x54442d18, v55, s3
	v_mul_f64 v[9:10], v[9:10], v[29:30]
	v_fma_f64 v[10:11], v[33:34], v[33:34], v[9:10]
	s_delay_alu instid0(VALU_DEP_1) | instskip(NEXT) | instid1(VALU_DEP_1)
	v_add_f64 v[29:30], v[10:11], 1.0
	v_frexp_mant_f64_e32 v[31:32], v[29:30]
	v_frexp_exp_i32_f64_e32 v7, v[29:30]
	v_add_f64 v[33:34], v[29:30], -1.0
	s_delay_alu instid0(VALU_DEP_3) | instskip(NEXT) | instid1(VALU_DEP_2)
	v_cmp_gt_f64_e32 vcc_lo, s[22:23], v[31:32]
	v_add_f64 v[31:32], v[33:34], -v[29:30]
	v_add_f64 v[33:34], v[10:11], -v[33:34]
	v_subrev_co_ci_u32_e32 v7, vcc_lo, 0, v7, vcc_lo
	s_delay_alu instid0(VALU_DEP_3) | instskip(NEXT) | instid1(VALU_DEP_2)
	v_add_f64 v[31:32], v[31:32], 1.0
	v_sub_nc_u32_e32 v9, 0, v7
	s_delay_alu instid0(VALU_DEP_1) | instskip(NEXT) | instid1(VALU_DEP_3)
	v_ldexp_f64 v[29:30], v[29:30], v9
	v_add_f64 v[31:32], v[33:34], v[31:32]
	s_delay_alu instid0(VALU_DEP_2) | instskip(SKIP_1) | instid1(VALU_DEP_3)
	v_add_f64 v[35:36], v[29:30], 1.0
	v_add_f64 v[41:42], v[29:30], -1.0
	v_ldexp_f64 v[31:32], v[31:32], v9
	s_delay_alu instid0(VALU_DEP_3) | instskip(NEXT) | instid1(VALU_DEP_3)
	v_add_f64 v[33:34], v[35:36], -1.0
	v_add_f64 v[43:44], v[41:42], 1.0
	s_delay_alu instid0(VALU_DEP_2) | instskip(NEXT) | instid1(VALU_DEP_2)
	v_add_f64 v[33:34], v[29:30], -v[33:34]
	v_add_f64 v[29:30], v[29:30], -v[43:44]
	s_delay_alu instid0(VALU_DEP_2) | instskip(NEXT) | instid1(VALU_DEP_2)
	v_add_f64 v[33:34], v[31:32], v[33:34]
	v_add_f64 v[29:30], v[31:32], v[29:30]
	s_delay_alu instid0(VALU_DEP_2) | instskip(NEXT) | instid1(VALU_DEP_2)
	v_add_f64 v[37:38], v[35:36], v[33:34]
	v_add_f64 v[43:44], v[41:42], v[29:30]
	s_delay_alu instid0(VALU_DEP_2) | instskip(SKIP_1) | instid1(VALU_DEP_2)
	v_rcp_f64_e32 v[39:40], v[37:38]
	v_add_f64 v[35:36], v[37:38], -v[35:36]
	v_add_f64 v[41:42], v[43:44], -v[41:42]
	s_delay_alu instid0(VALU_DEP_2) | instskip(SKIP_3) | instid1(VALU_DEP_2)
	v_add_f64 v[33:34], v[33:34], -v[35:36]
	s_waitcnt_depctr 0xfff
	v_fma_f64 v[45:46], -v[37:38], v[39:40], 1.0
	v_add_f64 v[29:30], v[29:30], -v[41:42]
	v_fma_f64 v[39:40], v[45:46], v[39:40], v[39:40]
	s_delay_alu instid0(VALU_DEP_1) | instskip(NEXT) | instid1(VALU_DEP_1)
	v_fma_f64 v[31:32], -v[37:38], v[39:40], 1.0
	v_fma_f64 v[31:32], v[31:32], v[39:40], v[39:40]
	s_delay_alu instid0(VALU_DEP_1) | instskip(NEXT) | instid1(VALU_DEP_1)
	v_mul_f64 v[39:40], v[43:44], v[31:32]
	v_mul_f64 v[45:46], v[37:38], v[39:40]
	s_delay_alu instid0(VALU_DEP_1) | instskip(NEXT) | instid1(VALU_DEP_1)
	v_fma_f64 v[35:36], v[39:40], v[37:38], -v[45:46]
	v_fma_f64 v[35:36], v[39:40], v[33:34], v[35:36]
	s_delay_alu instid0(VALU_DEP_1) | instskip(NEXT) | instid1(VALU_DEP_1)
	v_add_f64 v[47:48], v[45:46], v[35:36]
	v_add_f64 v[49:50], v[43:44], -v[47:48]
	v_add_f64 v[41:42], v[47:48], -v[45:46]
	v_max_f64 v[45:46], |v[15:16]|, |v[15:16]|
	s_delay_alu instid0(VALU_DEP_3) | instskip(NEXT) | instid1(VALU_DEP_3)
	v_add_f64 v[43:44], v[43:44], -v[49:50]
	v_add_f64 v[35:36], v[41:42], -v[35:36]
	s_delay_alu instid0(VALU_DEP_2) | instskip(SKIP_2) | instid1(VALU_DEP_1)
	v_add_f64 v[43:44], v[43:44], -v[47:48]
	v_max_f64 v[47:48], |v[13:14]|, |v[13:14]|
	v_cndmask_b32_e64 v13, 0x3fe921fb, v56, s3
	v_bfi_b32 v13, 0x7fffffff, v13, v16
	s_delay_alu instid0(VALU_DEP_4) | instskip(NEXT) | instid1(VALU_DEP_4)
	v_add_f64 v[29:30], v[29:30], v[43:44]
	v_max_f64 v[51:52], v[47:48], v[45:46]
	v_min_f64 v[45:46], v[47:48], v[45:46]
	s_delay_alu instid0(VALU_DEP_3) | instskip(NEXT) | instid1(VALU_DEP_1)
	v_add_f64 v[29:30], v[35:36], v[29:30]
	v_add_f64 v[35:36], v[49:50], v[29:30]
	s_delay_alu instid0(VALU_DEP_1) | instskip(SKIP_1) | instid1(VALU_DEP_2)
	v_mul_f64 v[41:42], v[31:32], v[35:36]
	v_add_f64 v[49:50], v[49:50], -v[35:36]
	v_mul_f64 v[43:44], v[37:38], v[41:42]
	s_delay_alu instid0(VALU_DEP_2) | instskip(NEXT) | instid1(VALU_DEP_2)
	v_add_f64 v[29:30], v[29:30], v[49:50]
	v_fma_f64 v[37:38], v[41:42], v[37:38], -v[43:44]
	s_delay_alu instid0(VALU_DEP_1) | instskip(SKIP_1) | instid1(VALU_DEP_2)
	v_fma_f64 v[33:34], v[41:42], v[33:34], v[37:38]
	v_div_scale_f64 v[37:38], null, v[51:52], v[51:52], v[45:46]
	v_add_f64 v[47:48], v[43:44], v[33:34]
	s_delay_alu instid0(VALU_DEP_2) | instskip(NEXT) | instid1(VALU_DEP_1)
	v_rcp_f64_e32 v[53:54], v[37:38]
	v_add_f64 v[57:58], v[35:36], -v[47:48]
	v_add_f64 v[43:44], v[47:48], -v[43:44]
	s_waitcnt_depctr 0xfff
	v_fma_f64 v[59:60], -v[37:38], v[53:54], 1.0
	v_add_f64 v[35:36], v[35:36], -v[57:58]
	v_add_f64 v[33:34], v[43:44], -v[33:34]
	s_delay_alu instid0(VALU_DEP_3) | instskip(NEXT) | instid1(VALU_DEP_3)
	v_fma_f64 v[53:54], v[53:54], v[59:60], v[53:54]
	v_add_f64 v[35:36], v[35:36], -v[47:48]
	s_delay_alu instid0(VALU_DEP_2) | instskip(NEXT) | instid1(VALU_DEP_2)
	v_fma_f64 v[47:48], -v[37:38], v[53:54], 1.0
	v_add_f64 v[29:30], v[29:30], v[35:36]
	v_div_scale_f64 v[35:36], vcc_lo, v[45:46], v[51:52], v[45:46]
	s_delay_alu instid0(VALU_DEP_3) | instskip(SKIP_1) | instid1(VALU_DEP_4)
	v_fma_f64 v[43:44], v[53:54], v[47:48], v[53:54]
	v_add_f64 v[47:48], v[39:40], v[41:42]
	v_add_f64 v[29:30], v[33:34], v[29:30]
	s_delay_alu instid0(VALU_DEP_3) | instskip(NEXT) | instid1(VALU_DEP_3)
	v_mul_f64 v[33:34], v[35:36], v[43:44]
	v_add_f64 v[39:40], v[47:48], -v[39:40]
	s_delay_alu instid0(VALU_DEP_3) | instskip(NEXT) | instid1(VALU_DEP_3)
	v_add_f64 v[29:30], v[57:58], v[29:30]
	v_fma_f64 v[35:36], -v[37:38], v[33:34], v[35:36]
	s_delay_alu instid0(VALU_DEP_3) | instskip(NEXT) | instid1(VALU_DEP_3)
	v_add_f64 v[37:38], v[41:42], -v[39:40]
	v_mul_f64 v[29:30], v[31:32], v[29:30]
	s_delay_alu instid0(VALU_DEP_3) | instskip(SKIP_1) | instid1(VALU_DEP_3)
	v_div_fmas_f64 v[31:32], v[35:36], v[43:44], v[33:34]
	v_cmp_eq_f64_e32 vcc_lo, 0x7ff00000, v[10:11]
	v_add_f64 v[29:30], v[37:38], v[29:30]
	s_delay_alu instid0(VALU_DEP_3) | instskip(NEXT) | instid1(VALU_DEP_2)
	v_div_fixup_f64 v[31:32], v[31:32], v[51:52], v[45:46]
	v_add_f64 v[33:34], v[47:48], v[29:30]
	s_delay_alu instid0(VALU_DEP_2) | instskip(NEXT) | instid1(VALU_DEP_2)
	v_mul_f64 v[35:36], v[31:32], v[31:32]
	v_mul_f64 v[37:38], v[33:34], v[33:34]
	s_delay_alu instid0(VALU_DEP_2) | instskip(NEXT) | instid1(VALU_DEP_2)
	v_fma_f64 v[39:40], v[35:36], s[44:45], s[42:43]
	v_fma_f64 v[41:42], v[37:38], s[26:27], s[24:25]
	v_mul_f64 v[43:44], v[33:34], v[37:38]
	s_delay_alu instid0(VALU_DEP_3) | instskip(NEXT) | instid1(VALU_DEP_3)
	v_fma_f64 v[39:40], v[35:36], v[39:40], s[46:47]
	v_fma_f64 v[41:42], v[37:38], v[41:42], s[28:29]
	s_delay_alu instid0(VALU_DEP_2) | instskip(NEXT) | instid1(VALU_DEP_2)
	v_fma_f64 v[39:40], v[35:36], v[39:40], s[48:49]
	v_fma_f64 v[41:42], v[37:38], v[41:42], s[30:31]
	s_delay_alu instid0(VALU_DEP_2) | instskip(NEXT) | instid1(VALU_DEP_2)
	;; [unrolled: 3-line block ×4, first 2 shown]
	v_fma_f64 v[39:40], v[35:36], v[39:40], s[54:55]
	v_fma_f64 v[37:38], v[37:38], v[41:42], s[92:93]
	v_ldexp_f64 v[41:42], v[33:34], 1
	v_add_f64 v[33:34], v[33:34], -v[47:48]
	s_delay_alu instid0(VALU_DEP_4) | instskip(NEXT) | instid1(VALU_DEP_4)
	v_fma_f64 v[39:40], v[35:36], v[39:40], s[56:57]
	v_mul_f64 v[37:38], v[43:44], v[37:38]
	v_cvt_f64_i32_e32 v[43:44], v7
	s_delay_alu instid0(VALU_DEP_4) | instskip(NEXT) | instid1(VALU_DEP_4)
	v_add_f64 v[29:30], v[29:30], -v[33:34]
	v_fma_f64 v[39:40], v[35:36], v[39:40], s[58:59]
	v_ashrrev_i32_e32 v7, 31, v14
	s_delay_alu instid0(VALU_DEP_1)
	v_and_b32_e32 v9, 0x54442d18, v7
	v_and_b32_e32 v7, 0x400921fb, v7
	v_add_f64 v[45:46], v[41:42], v[37:38]
	v_mul_f64 v[47:48], v[43:44], s[38:39]
	v_ldexp_f64 v[29:30], v[29:30], 1
	v_fma_f64 v[39:40], v[35:36], v[39:40], s[60:61]
	s_delay_alu instid0(VALU_DEP_4) | instskip(NEXT) | instid1(VALU_DEP_4)
	v_add_f64 v[33:34], v[45:46], -v[41:42]
	v_fma_f64 v[41:42], v[43:44], s[38:39], -v[47:48]
	s_delay_alu instid0(VALU_DEP_3) | instskip(NEXT) | instid1(VALU_DEP_3)
	v_fma_f64 v[39:40], v[35:36], v[39:40], s[62:63]
	v_add_f64 v[33:34], v[37:38], -v[33:34]
	s_delay_alu instid0(VALU_DEP_2) | instskip(NEXT) | instid1(VALU_DEP_4)
	v_fma_f64 v[37:38], v[35:36], v[39:40], s[64:65]
	v_fma_f64 v[39:40], v[43:44], s[40:41], v[41:42]
	s_delay_alu instid0(VALU_DEP_3) | instskip(NEXT) | instid1(VALU_DEP_3)
	v_add_f64 v[29:30], v[29:30], v[33:34]
	v_fma_f64 v[33:34], v[35:36], v[37:38], s[66:67]
	s_delay_alu instid0(VALU_DEP_3) | instskip(NEXT) | instid1(VALU_DEP_3)
	v_add_f64 v[37:38], v[47:48], v[39:40]
	v_add_f64 v[41:42], v[45:46], v[29:30]
	s_delay_alu instid0(VALU_DEP_3) | instskip(NEXT) | instid1(VALU_DEP_3)
	v_fma_f64 v[33:34], v[35:36], v[33:34], s[68:69]
	v_add_f64 v[47:48], v[37:38], -v[47:48]
	s_delay_alu instid0(VALU_DEP_3) | instskip(SKIP_1) | instid1(VALU_DEP_4)
	v_add_f64 v[43:44], v[37:38], v[41:42]
	v_add_f64 v[45:46], v[41:42], -v[45:46]
	v_fma_f64 v[33:34], v[35:36], v[33:34], s[70:71]
	s_delay_alu instid0(VALU_DEP_4) | instskip(NEXT) | instid1(VALU_DEP_4)
	v_add_f64 v[39:40], v[39:40], -v[47:48]
	v_add_f64 v[49:50], v[43:44], -v[37:38]
	s_delay_alu instid0(VALU_DEP_4) | instskip(NEXT) | instid1(VALU_DEP_4)
	v_add_f64 v[29:30], v[29:30], -v[45:46]
	v_fma_f64 v[33:34], v[35:36], v[33:34], s[72:73]
	s_delay_alu instid0(VALU_DEP_3) | instskip(SKIP_1) | instid1(VALU_DEP_4)
	v_add_f64 v[51:52], v[43:44], -v[49:50]
	v_add_f64 v[41:42], v[41:42], -v[49:50]
	v_add_f64 v[45:46], v[39:40], v[29:30]
	s_delay_alu instid0(VALU_DEP_4) | instskip(NEXT) | instid1(VALU_DEP_4)
	v_fma_f64 v[33:34], v[35:36], v[33:34], s[74:75]
	v_add_f64 v[37:38], v[37:38], -v[51:52]
	s_delay_alu instid0(VALU_DEP_2) | instskip(NEXT) | instid1(VALU_DEP_2)
	v_fma_f64 v[33:34], v[35:36], v[33:34], s[76:77]
	v_add_f64 v[37:38], v[41:42], v[37:38]
	v_add_f64 v[41:42], v[45:46], -v[39:40]
	s_delay_alu instid0(VALU_DEP_3) | instskip(NEXT) | instid1(VALU_DEP_3)
	v_fma_f64 v[33:34], v[35:36], v[33:34], s[78:79]
	v_add_f64 v[37:38], v[45:46], v[37:38]
	s_delay_alu instid0(VALU_DEP_3) | instskip(SKIP_1) | instid1(VALU_DEP_4)
	v_add_f64 v[45:46], v[45:46], -v[41:42]
	v_add_f64 v[29:30], v[29:30], -v[41:42]
	v_fma_f64 v[33:34], v[35:36], v[33:34], s[80:81]
	s_delay_alu instid0(VALU_DEP_4) | instskip(NEXT) | instid1(VALU_DEP_2)
	v_add_f64 v[47:48], v[43:44], v[37:38]
	v_mul_f64 v[33:34], v[35:36], v[33:34]
	v_add_f64 v[35:36], v[39:40], -v[45:46]
	s_delay_alu instid0(VALU_DEP_3) | instskip(NEXT) | instid1(VALU_DEP_3)
	v_add_f64 v[39:40], v[47:48], -v[43:44]
	v_fma_f64 v[31:32], v[31:32], v[33:34], v[31:32]
	s_delay_alu instid0(VALU_DEP_3) | instskip(NEXT) | instid1(VALU_DEP_3)
	v_add_f64 v[29:30], v[29:30], v[35:36]
	v_add_f64 v[33:34], v[37:38], -v[39:40]
	s_delay_alu instid0(VALU_DEP_3) | instskip(NEXT) | instid1(VALU_DEP_2)
	v_add_f64 v[35:36], -v[31:32], s[82:83]
	v_add_f64 v[29:30], v[29:30], v[33:34]
	s_delay_alu instid0(VALU_DEP_2) | instskip(NEXT) | instid1(VALU_DEP_3)
	v_cndmask_b32_e64 v32, v32, v36, s2
	v_cndmask_b32_e64 v31, v31, v35, s2
                                        ; implicit-def: $vgpr35_vgpr36
	s_delay_alu instid0(VALU_DEP_1) | instskip(NEXT) | instid1(VALU_DEP_4)
	v_add_f64 v[33:34], -v[31:32], s[12:13]
	v_add_f64 v[29:30], v[47:48], v[29:30]
	s_delay_alu instid0(VALU_DEP_2) | instskip(NEXT) | instid1(VALU_DEP_3)
	v_cndmask_b32_e64 v31, v31, v33, s3
	v_cndmask_b32_e64 v14, v32, v34, s3
	v_cmp_nge_f64_e64 s3, -1.0, v[10:11]
                                        ; implicit-def: $vgpr33_vgpr34
	s_delay_alu instid0(VALU_DEP_4) | instskip(SKIP_1) | instid1(VALU_DEP_2)
	v_dual_cndmask_b32 v30, v30, v11 :: v_dual_cndmask_b32 v29, v29, v10
	v_cmp_eq_f64_e32 vcc_lo, 0, v[15:16]
	v_mul_f64 v[29:30], v[29:30], 0.5
	v_cndmask_b32_e32 v31, v31, v9, vcc_lo
	v_cndmask_b32_e32 v7, v14, v7, vcc_lo
	v_cmp_ngt_f64_e32 vcc_lo, -1.0, v[10:11]
	s_delay_alu instid0(VALU_DEP_4)
	v_cndmask_b32_e64 v9, 0, v29, s3
	v_cmp_neq_f64_e64 s3, -1.0, v[10:11]
	v_cndmask_b32_e32 v14, 0x7ff80000, v30, vcc_lo
	s_and_b32 vcc_lo, s6, s5
	v_cndmask_b32_e32 v30, v7, v13, vcc_lo
	v_cndmask_b32_e32 v29, v31, v18, vcc_lo
	s_delay_alu instid0(VALU_DEP_3)
	v_cndmask_b32_e64 v10, 0xfff00000, v14, s3
.LBB192_79:                             ;   in Loop: Header=BB192_5 Depth=1
	s_and_not1_saveexec_b32 s104, s4
	s_cbranch_execz .LBB192_87
; %bb.80:                               ;   in Loop: Header=BB192_5 Depth=1
	v_mul_f64 v[9:10], v[33:34], v[33:34]
                                        ; implicit-def: $vgpr29_vgpr30
	s_mov_b32 s3, exec_lo
	s_delay_alu instid0(VALU_DEP_1) | instskip(NEXT) | instid1(VALU_DEP_1)
	v_fma_f64 v[31:32], v[35:36], v[35:36], v[9:10]
                                        ; implicit-def: $vgpr9_vgpr10
	v_cmpx_ge_f64_e32 s[84:85], v[31:32]
	s_xor_b32 s5, exec_lo, s3
	s_cbranch_execz .LBB192_82
; %bb.81:                               ;   in Loop: Header=BB192_5 Depth=1
	v_frexp_mant_f64_e32 v[9:10], v[31:32]
	v_max_f64 v[39:40], |v[13:14]|, |v[13:14]|
	s_mov_b32 s93, s23
	v_frexp_exp_i32_f64_e32 v7, v[31:32]
	s_mov_b32 s12, s82
	v_cmp_class_f64_e64 s6, v[15:16], 0x204
	v_cmp_class_f64_e64 s7, v[13:14], 0x204
	v_cmp_neq_f64_e64 s4, 0, v[31:32]
	v_cmp_gt_f64_e64 s3, s[22:23], v[9:10]
	s_delay_alu instid0(VALU_DEP_1) | instskip(NEXT) | instid1(VALU_DEP_1)
	v_cndmask_b32_e64 v18, 0x3ff00000, 2.0, s3
	v_mul_f64 v[9:10], v[9:10], v[17:18]
	s_delay_alu instid0(VALU_DEP_1) | instskip(SKIP_1) | instid1(VALU_DEP_2)
	v_add_f64 v[29:30], v[9:10], 1.0
	v_add_f64 v[37:38], v[9:10], -1.0
	v_rcp_f64_e32 v[33:34], v[29:30]
	s_waitcnt_depctr 0xfff
	v_fma_f64 v[35:36], -v[29:30], v[33:34], 1.0
	s_delay_alu instid0(VALU_DEP_1) | instskip(NEXT) | instid1(VALU_DEP_1)
	v_fma_f64 v[33:34], v[35:36], v[33:34], v[33:34]
	v_fma_f64 v[35:36], -v[29:30], v[33:34], 1.0
	s_delay_alu instid0(VALU_DEP_1) | instskip(SKIP_1) | instid1(VALU_DEP_2)
	v_fma_f64 v[33:34], v[35:36], v[33:34], v[33:34]
	v_max_f64 v[35:36], |v[15:16]|, |v[15:16]|
	v_mul_f64 v[41:42], v[37:38], v[33:34]
	s_delay_alu instid0(VALU_DEP_2) | instskip(SKIP_2) | instid1(VALU_DEP_4)
	v_max_f64 v[43:44], v[39:40], v[35:36]
	v_min_f64 v[35:36], v[39:40], v[35:36]
	v_add_f64 v[39:40], v[29:30], -1.0
	v_mul_f64 v[45:46], v[29:30], v[41:42]
	s_delay_alu instid0(VALU_DEP_3) | instskip(NEXT) | instid1(VALU_DEP_3)
	v_div_scale_f64 v[47:48], null, v[43:44], v[43:44], v[35:36]
	v_add_f64 v[9:10], v[9:10], -v[39:40]
	v_div_scale_f64 v[53:54], vcc_lo, v[35:36], v[43:44], v[35:36]
	s_delay_alu instid0(VALU_DEP_4) | instskip(NEXT) | instid1(VALU_DEP_4)
	v_fma_f64 v[29:30], v[41:42], v[29:30], -v[45:46]
	v_rcp_f64_e32 v[39:40], v[47:48]
	s_delay_alu instid0(VALU_DEP_1) | instskip(SKIP_3) | instid1(VALU_DEP_2)
	v_fma_f64 v[9:10], v[41:42], v[9:10], v[29:30]
	s_waitcnt_depctr 0xfff
	v_fma_f64 v[29:30], -v[47:48], v[39:40], 1.0
	v_add_f64 v[49:50], v[45:46], v[9:10]
	v_fma_f64 v[29:30], v[39:40], v[29:30], v[39:40]
	s_delay_alu instid0(VALU_DEP_2) | instskip(SKIP_1) | instid1(VALU_DEP_3)
	v_add_f64 v[39:40], v[37:38], -v[49:50]
	v_add_f64 v[45:46], v[49:50], -v[45:46]
	v_fma_f64 v[51:52], -v[47:48], v[29:30], 1.0
	s_delay_alu instid0(VALU_DEP_3) | instskip(NEXT) | instid1(VALU_DEP_3)
	v_add_f64 v[37:38], v[37:38], -v[39:40]
	v_add_f64 v[9:10], v[45:46], -v[9:10]
	s_delay_alu instid0(VALU_DEP_3) | instskip(NEXT) | instid1(VALU_DEP_3)
	v_fma_f64 v[29:30], v[29:30], v[51:52], v[29:30]
	v_add_f64 v[37:38], v[37:38], -v[49:50]
	s_delay_alu instid0(VALU_DEP_2) | instskip(NEXT) | instid1(VALU_DEP_2)
	v_mul_f64 v[45:46], v[53:54], v[29:30]
	v_add_f64 v[9:10], v[9:10], v[37:38]
	s_delay_alu instid0(VALU_DEP_2) | instskip(NEXT) | instid1(VALU_DEP_2)
	v_fma_f64 v[37:38], -v[47:48], v[45:46], v[53:54]
	v_add_f64 v[9:10], v[39:40], v[9:10]
	s_delay_alu instid0(VALU_DEP_2)
	v_div_fmas_f64 v[29:30], v[37:38], v[29:30], v[45:46]
	v_subrev_co_ci_u32_e64 v7, vcc_lo, 0, v7, s3
	v_cmp_eq_f64_e64 s3, 0, v[15:16]
	v_cmp_gt_i32_e32 vcc_lo, 0, v14
	v_cndmask_b32_e32 v13, 0x3fe921fb, v56, vcc_lo
	v_cndmask_b32_e32 v11, 0x54442d18, v55, vcc_lo
	s_delay_alu instid0(VALU_DEP_2) | instskip(SKIP_2) | instid1(VALU_DEP_2)
	v_bfi_b32 v13, 0x7fffffff, v13, v16
	v_mul_f64 v[9:10], v[33:34], v[9:10]
	v_div_fixup_f64 v[29:30], v[29:30], v[43:44], v[35:36]
	v_add_f64 v[33:34], v[41:42], v[9:10]
	s_delay_alu instid0(VALU_DEP_2) | instskip(NEXT) | instid1(VALU_DEP_2)
	v_mul_f64 v[35:36], v[29:30], v[29:30]
	v_mul_f64 v[37:38], v[33:34], v[33:34]
	s_delay_alu instid0(VALU_DEP_2) | instskip(NEXT) | instid1(VALU_DEP_2)
	v_fma_f64 v[39:40], v[35:36], s[44:45], s[42:43]
	v_fma_f64 v[43:44], v[37:38], s[26:27], s[24:25]
	v_mul_f64 v[45:46], v[33:34], v[37:38]
	s_delay_alu instid0(VALU_DEP_3) | instskip(NEXT) | instid1(VALU_DEP_3)
	v_fma_f64 v[39:40], v[35:36], v[39:40], s[46:47]
	v_fma_f64 v[43:44], v[37:38], v[43:44], s[28:29]
	s_delay_alu instid0(VALU_DEP_2) | instskip(NEXT) | instid1(VALU_DEP_2)
	v_fma_f64 v[39:40], v[35:36], v[39:40], s[48:49]
	v_fma_f64 v[43:44], v[37:38], v[43:44], s[30:31]
	s_delay_alu instid0(VALU_DEP_2) | instskip(NEXT) | instid1(VALU_DEP_2)
	;; [unrolled: 3-line block ×4, first 2 shown]
	v_fma_f64 v[39:40], v[35:36], v[39:40], s[54:55]
	v_fma_f64 v[37:38], v[37:38], v[43:44], s[92:93]
	v_ldexp_f64 v[43:44], v[33:34], 1
	v_add_f64 v[33:34], v[33:34], -v[41:42]
	s_delay_alu instid0(VALU_DEP_4) | instskip(NEXT) | instid1(VALU_DEP_4)
	v_fma_f64 v[39:40], v[35:36], v[39:40], s[56:57]
	v_mul_f64 v[37:38], v[45:46], v[37:38]
	v_cvt_f64_i32_e32 v[45:46], v7
	s_delay_alu instid0(VALU_DEP_4)
	v_add_f64 v[9:10], v[9:10], -v[33:34]
	v_ashrrev_i32_e32 v7, 31, v14
	v_fma_f64 v[39:40], v[35:36], v[39:40], s[58:59]
	v_add_f64 v[41:42], v[43:44], v[37:38]
	v_mul_f64 v[47:48], v[45:46], s[38:39]
	v_ldexp_f64 v[9:10], v[9:10], 1
	s_delay_alu instid0(VALU_DEP_4) | instskip(NEXT) | instid1(VALU_DEP_4)
	v_fma_f64 v[39:40], v[35:36], v[39:40], s[60:61]
	v_add_f64 v[33:34], v[41:42], -v[43:44]
	s_delay_alu instid0(VALU_DEP_4) | instskip(NEXT) | instid1(VALU_DEP_3)
	v_fma_f64 v[43:44], v[45:46], s[38:39], -v[47:48]
	v_fma_f64 v[39:40], v[35:36], v[39:40], s[62:63]
	s_delay_alu instid0(VALU_DEP_3) | instskip(NEXT) | instid1(VALU_DEP_2)
	v_add_f64 v[33:34], v[37:38], -v[33:34]
	v_fma_f64 v[37:38], v[35:36], v[39:40], s[64:65]
	s_delay_alu instid0(VALU_DEP_4) | instskip(NEXT) | instid1(VALU_DEP_3)
	v_fma_f64 v[39:40], v[45:46], s[40:41], v[43:44]
	v_add_f64 v[9:10], v[9:10], v[33:34]
	s_delay_alu instid0(VALU_DEP_3) | instskip(NEXT) | instid1(VALU_DEP_3)
	v_fma_f64 v[33:34], v[35:36], v[37:38], s[66:67]
	v_add_f64 v[37:38], v[47:48], v[39:40]
	s_delay_alu instid0(VALU_DEP_3) | instskip(NEXT) | instid1(VALU_DEP_3)
	v_add_f64 v[43:44], v[41:42], v[9:10]
	v_fma_f64 v[33:34], v[35:36], v[33:34], s[68:69]
	s_delay_alu instid0(VALU_DEP_3) | instskip(NEXT) | instid1(VALU_DEP_3)
	v_add_f64 v[47:48], v[37:38], -v[47:48]
	v_add_f64 v[45:46], v[37:38], v[43:44]
	v_add_f64 v[41:42], v[43:44], -v[41:42]
	s_delay_alu instid0(VALU_DEP_4) | instskip(NEXT) | instid1(VALU_DEP_4)
	v_fma_f64 v[33:34], v[35:36], v[33:34], s[70:71]
	v_add_f64 v[39:40], v[39:40], -v[47:48]
	s_delay_alu instid0(VALU_DEP_4) | instskip(NEXT) | instid1(VALU_DEP_4)
	v_add_f64 v[49:50], v[45:46], -v[37:38]
	v_add_f64 v[9:10], v[9:10], -v[41:42]
	s_delay_alu instid0(VALU_DEP_4) | instskip(NEXT) | instid1(VALU_DEP_3)
	v_fma_f64 v[33:34], v[35:36], v[33:34], s[72:73]
	v_add_f64 v[51:52], v[45:46], -v[49:50]
	v_add_f64 v[41:42], v[43:44], -v[49:50]
	s_delay_alu instid0(VALU_DEP_4) | instskip(NEXT) | instid1(VALU_DEP_4)
	v_add_f64 v[43:44], v[39:40], v[9:10]
	v_fma_f64 v[33:34], v[35:36], v[33:34], s[74:75]
	s_delay_alu instid0(VALU_DEP_4) | instskip(NEXT) | instid1(VALU_DEP_2)
	v_add_f64 v[37:38], v[37:38], -v[51:52]
	v_fma_f64 v[33:34], v[35:36], v[33:34], s[76:77]
	s_delay_alu instid0(VALU_DEP_2) | instskip(SKIP_1) | instid1(VALU_DEP_3)
	v_add_f64 v[37:38], v[41:42], v[37:38]
	v_add_f64 v[41:42], v[43:44], -v[39:40]
	v_fma_f64 v[33:34], v[35:36], v[33:34], s[78:79]
	s_delay_alu instid0(VALU_DEP_3) | instskip(NEXT) | instid1(VALU_DEP_3)
	v_add_f64 v[37:38], v[43:44], v[37:38]
	v_add_f64 v[43:44], v[43:44], -v[41:42]
	v_add_f64 v[9:10], v[9:10], -v[41:42]
	s_delay_alu instid0(VALU_DEP_4) | instskip(NEXT) | instid1(VALU_DEP_4)
	v_fma_f64 v[33:34], v[35:36], v[33:34], s[80:81]
	v_add_f64 v[47:48], v[45:46], v[37:38]
	s_delay_alu instid0(VALU_DEP_2) | instskip(SKIP_1) | instid1(VALU_DEP_3)
	v_mul_f64 v[33:34], v[35:36], v[33:34]
	v_add_f64 v[35:36], v[39:40], -v[43:44]
	v_add_f64 v[39:40], v[47:48], -v[45:46]
	s_delay_alu instid0(VALU_DEP_3) | instskip(NEXT) | instid1(VALU_DEP_3)
	v_fma_f64 v[29:30], v[29:30], v[33:34], v[29:30]
	v_add_f64 v[9:10], v[9:10], v[35:36]
	s_delay_alu instid0(VALU_DEP_3) | instskip(NEXT) | instid1(VALU_DEP_3)
	v_add_f64 v[33:34], v[37:38], -v[39:40]
	v_add_f64 v[35:36], -v[29:30], s[82:83]
	s_delay_alu instid0(VALU_DEP_2) | instskip(NEXT) | instid1(VALU_DEP_2)
	v_add_f64 v[9:10], v[9:10], v[33:34]
	v_cndmask_b32_e64 v30, v30, v36, s2
	s_delay_alu instid0(VALU_DEP_3) | instskip(NEXT) | instid1(VALU_DEP_1)
	v_cndmask_b32_e64 v29, v29, v35, s2
                                        ; implicit-def: $vgpr35_vgpr36
	v_add_f64 v[33:34], -v[29:30], s[12:13]
	v_and_b32_e32 v18, 0x54442d18, v7
	v_and_b32_e32 v7, 0x400921fb, v7
	v_add_f64 v[9:10], v[47:48], v[9:10]
	s_delay_alu instid0(VALU_DEP_4) | instskip(SKIP_1) | instid1(VALU_DEP_1)
	v_dual_cndmask_b32 v14, v30, v34 :: v_dual_cndmask_b32 v29, v29, v33
	s_and_b32 vcc_lo, s7, s6
                                        ; implicit-def: $vgpr33_vgpr34
	v_cndmask_b32_e64 v7, v14, v7, s3
	s_delay_alu instid0(VALU_DEP_2) | instskip(NEXT) | instid1(VALU_DEP_1)
	v_cndmask_b32_e64 v18, v29, v18, s3
	v_dual_cndmask_b32 v30, v7, v13 :: v_dual_cndmask_b32 v29, v18, v11
	v_mul_f64 v[9:10], v[9:10], 0.5
	s_delay_alu instid0(VALU_DEP_1) | instskip(NEXT) | instid1(VALU_DEP_2)
	v_cndmask_b32_e64 v10, 0xfff00000, v10, s4
	v_cndmask_b32_e64 v9, 0, v9, s4
.LBB192_82:                             ;   in Loop: Header=BB192_5 Depth=1
	s_and_not1_saveexec_b32 vcc_hi, s5
	s_cbranch_execz .LBB192_86
; %bb.83:                               ;   in Loop: Header=BB192_5 Depth=1
	v_dual_mov_b32 v29, v17 :: v_dual_and_b32 v18, 0x7ffffff8, v36
	v_and_b32_e32 v30, 0x7ffffff8, v34
	s_mov_b32 s93, 0
	s_delay_alu instid0(VALU_DEP_2) | instskip(SKIP_1) | instid1(VALU_DEP_3)
	v_add_f64 v[9:10], v[35:36], -v[17:18]
	v_mov_b32_e32 v35, v17
	v_add_f64 v[31:32], v[33:34], -v[29:30]
	v_mov_b32_e32 v37, v17
	v_add_f64 v[39:40], v[17:18], v[17:18]
	v_add_f64 v[47:48], v[29:30], v[29:30]
	v_mul_f64 v[33:34], v[29:30], v[29:30]
	v_and_b32_e32 v36, -8, v10
	v_and_b32_e32 v38, -8, v32
	s_delay_alu instid0(VALU_DEP_2) | instskip(SKIP_1) | instid1(VALU_DEP_3)
	v_add_f64 v[49:50], v[9:10], -v[35:36]
	v_add_f64 v[53:54], v[35:36], v[35:36]
	v_add_f64 v[51:52], v[31:32], -v[37:38]
	v_add_f64 v[57:58], v[37:38], v[37:38]
	v_mul_f64 v[9:10], v[17:18], v[17:18]
	v_mul_f64 v[45:46], v[39:40], v[35:36]
	;; [unrolled: 1-line block ×11, first 2 shown]
.LBB192_84:                             ;   Parent Loop BB192_5 Depth=1
                                        ; =>  This Inner Loop Header: Depth=2
	v_cmp_nlt_f64_e32 vcc_lo, v[9:10], v[33:34]
	v_dual_cndmask_b32 v52, v10, v34 :: v_dual_cndmask_b32 v51, v9, v33
	v_dual_cndmask_b32 v10, v34, v10 :: v_dual_cndmask_b32 v9, v33, v9
	s_delay_alu instid0(VALU_DEP_2) | instskip(NEXT) | instid1(VALU_DEP_1)
	v_cmp_nlt_f64_e64 s3, v[51:52], v[45:46]
	v_cndmask_b32_e64 v54, v52, v46, s3
	v_cndmask_b32_e64 v53, v51, v45, s3
	;; [unrolled: 1-line block ×4, first 2 shown]
	s_and_b32 s3, vcc_lo, s3
	s_delay_alu instid0(VALU_DEP_3) | instskip(NEXT) | instid1(VALU_DEP_1)
	v_cmp_nlt_f64_e64 s4, v[53:54], v[31:32]
	v_cndmask_b32_e64 v52, v54, v32, s4
	v_cndmask_b32_e64 v51, v53, v31, s4
	;; [unrolled: 1-line block ×4, first 2 shown]
	s_delay_alu instid0(VALU_DEP_3) | instskip(NEXT) | instid1(VALU_DEP_1)
	v_cmp_nlt_f64_e64 s5, v[51:52], v[43:44]
	v_cndmask_b32_e64 v54, v52, v44, s5
	v_cndmask_b32_e64 v53, v51, v43, s5
	;; [unrolled: 1-line block ×4, first 2 shown]
	s_and_b32 s4, s4, s5
	s_delay_alu instid0(VALU_DEP_3) | instskip(NEXT) | instid1(VALU_DEP_1)
	v_cmp_nlt_f64_e64 s6, v[53:54], v[29:30]
	v_cndmask_b32_e64 v52, v54, v30, s6
	v_cndmask_b32_e64 v51, v53, v29, s6
	;; [unrolled: 1-line block ×4, first 2 shown]
	s_delay_alu instid0(VALU_DEP_3) | instskip(NEXT) | instid1(VALU_DEP_1)
	v_cmp_nlt_f64_e64 s7, v[51:52], v[41:42]
	v_cndmask_b32_e64 v54, v52, v42, s7
	v_cndmask_b32_e64 v53, v51, v41, s7
	v_cndmask_b32_e64 v30, v42, v52, s7
	v_cndmask_b32_e64 v29, v41, v51, s7
	s_and_b32 s5, s6, s7
	s_delay_alu instid0(VALU_DEP_3) | instskip(NEXT) | instid1(VALU_DEP_1)
	v_cmp_nlt_f64_e64 s8, v[53:54], v[39:40]
	v_cndmask_b32_e64 v52, v54, v40, s8
	v_cndmask_b32_e64 v51, v53, v39, s8
	v_cndmask_b32_e64 v42, v40, v54, s8
	v_cndmask_b32_e64 v41, v39, v53, s8
	s_and_b32 s5, s5, s8
	;; [unrolled: 7-line block ×4, first 2 shown]
	s_delay_alu instid0(VALU_DEP_3) | instskip(NEXT) | instid1(VALU_DEP_1)
	v_cmp_nlt_f64_e64 s11, v[51:52], v[47:48]
	v_cndmask_b32_e64 v54, v52, v48, s11
	v_cndmask_b32_e64 v53, v51, v47, s11
	s_and_b32 s5, s5, s11
	v_cndmask_b32_e64 v36, v48, v52, s11
	v_cndmask_b32_e64 v35, v47, v51, s11
	s_delay_alu instid0(VALU_DEP_3) | instskip(NEXT) | instid1(VALU_DEP_1)
	v_cmp_nlt_f64_e64 s12, v[53:54], v[49:50]
	v_cndmask_b32_e64 v52, v54, v50, s12
	v_cndmask_b32_e64 v51, v53, v49, s12
	s_and_b32 s5, s5, s12
	v_cndmask_b32_e64 v48, v50, v54, s12
	s_and_b32 s4, s5, s4
	;; [unrolled: 2-line block ×3, first 2 shown]
	v_dual_mov_b32 v49, v51 :: v_dual_mov_b32 v50, v52
	s_and_b32 s3, exec_lo, s3
	s_delay_alu instid0(SALU_CYCLE_1) | instskip(NEXT) | instid1(SALU_CYCLE_1)
	s_or_b32 s93, s3, s93
	s_and_not1_b32 exec_lo, exec_lo, s93
	s_cbranch_execnz .LBB192_84
; %bb.85:                               ;   in Loop: Header=BB192_5 Depth=1
	s_or_b32 exec_lo, exec_lo, s93
	v_add_f64 v[9:10], v[9:10], -1.0
	s_mov_b32 s93, s23
	s_mov_b32 s12, s82
	v_cmp_gt_i32_e64 s3, 0, v14
	v_cmp_class_f64_e64 s5, v[13:14], 0x204
	v_cmp_class_f64_e64 s4, v[15:16], 0x204
	s_delay_alu instid0(VALU_DEP_3) | instskip(SKIP_1) | instid1(VALU_DEP_1)
	v_cndmask_b32_e64 v18, 0x54442d18, v55, s3
	v_add_f64 v[9:10], v[9:10], v[33:34]
	v_add_f64 v[9:10], v[9:10], v[45:46]
	s_delay_alu instid0(VALU_DEP_1) | instskip(NEXT) | instid1(VALU_DEP_1)
	v_add_f64 v[9:10], v[9:10], v[31:32]
	v_add_f64 v[9:10], v[9:10], v[43:44]
	s_delay_alu instid0(VALU_DEP_1) | instskip(NEXT) | instid1(VALU_DEP_1)
	;; [unrolled: 3-line block ×5, first 2 shown]
	v_add_f64 v[10:11], v[51:52], v[9:10]
	v_add_f64 v[29:30], v[10:11], 1.0
	s_delay_alu instid0(VALU_DEP_1) | instskip(SKIP_2) | instid1(VALU_DEP_3)
	v_frexp_mant_f64_e32 v[31:32], v[29:30]
	v_frexp_exp_i32_f64_e32 v7, v[29:30]
	v_add_f64 v[33:34], v[29:30], -1.0
	v_cmp_gt_f64_e32 vcc_lo, s[22:23], v[31:32]
	s_delay_alu instid0(VALU_DEP_2) | instskip(SKIP_2) | instid1(VALU_DEP_3)
	v_add_f64 v[31:32], v[33:34], -v[29:30]
	v_add_f64 v[33:34], v[10:11], -v[33:34]
	v_subrev_co_ci_u32_e32 v7, vcc_lo, 0, v7, vcc_lo
	v_add_f64 v[31:32], v[31:32], 1.0
	s_delay_alu instid0(VALU_DEP_2) | instskip(NEXT) | instid1(VALU_DEP_1)
	v_sub_nc_u32_e32 v9, 0, v7
	v_ldexp_f64 v[29:30], v[29:30], v9
	s_delay_alu instid0(VALU_DEP_3) | instskip(NEXT) | instid1(VALU_DEP_2)
	v_add_f64 v[31:32], v[33:34], v[31:32]
	v_add_f64 v[35:36], v[29:30], 1.0
	v_add_f64 v[41:42], v[29:30], -1.0
	s_delay_alu instid0(VALU_DEP_3) | instskip(NEXT) | instid1(VALU_DEP_3)
	v_ldexp_f64 v[31:32], v[31:32], v9
	v_add_f64 v[33:34], v[35:36], -1.0
	s_delay_alu instid0(VALU_DEP_3) | instskip(NEXT) | instid1(VALU_DEP_2)
	v_add_f64 v[43:44], v[41:42], 1.0
	v_add_f64 v[33:34], v[29:30], -v[33:34]
	s_delay_alu instid0(VALU_DEP_2) | instskip(NEXT) | instid1(VALU_DEP_2)
	v_add_f64 v[29:30], v[29:30], -v[43:44]
	v_add_f64 v[33:34], v[31:32], v[33:34]
	s_delay_alu instid0(VALU_DEP_2) | instskip(NEXT) | instid1(VALU_DEP_2)
	v_add_f64 v[29:30], v[31:32], v[29:30]
	v_add_f64 v[37:38], v[35:36], v[33:34]
	s_delay_alu instid0(VALU_DEP_2) | instskip(NEXT) | instid1(VALU_DEP_2)
	v_add_f64 v[43:44], v[41:42], v[29:30]
	v_rcp_f64_e32 v[39:40], v[37:38]
	v_add_f64 v[35:36], v[37:38], -v[35:36]
	s_delay_alu instid0(VALU_DEP_2) | instskip(NEXT) | instid1(VALU_DEP_2)
	v_add_f64 v[41:42], v[43:44], -v[41:42]
	v_add_f64 v[33:34], v[33:34], -v[35:36]
	s_waitcnt_depctr 0xfff
	v_fma_f64 v[45:46], -v[37:38], v[39:40], 1.0
	v_add_f64 v[29:30], v[29:30], -v[41:42]
	s_delay_alu instid0(VALU_DEP_2) | instskip(NEXT) | instid1(VALU_DEP_1)
	v_fma_f64 v[39:40], v[45:46], v[39:40], v[39:40]
	v_fma_f64 v[31:32], -v[37:38], v[39:40], 1.0
	s_delay_alu instid0(VALU_DEP_1) | instskip(NEXT) | instid1(VALU_DEP_1)
	v_fma_f64 v[31:32], v[31:32], v[39:40], v[39:40]
	v_mul_f64 v[39:40], v[43:44], v[31:32]
	s_delay_alu instid0(VALU_DEP_1) | instskip(NEXT) | instid1(VALU_DEP_1)
	v_mul_f64 v[45:46], v[37:38], v[39:40]
	v_fma_f64 v[35:36], v[39:40], v[37:38], -v[45:46]
	s_delay_alu instid0(VALU_DEP_1) | instskip(NEXT) | instid1(VALU_DEP_1)
	v_fma_f64 v[35:36], v[39:40], v[33:34], v[35:36]
	v_add_f64 v[47:48], v[45:46], v[35:36]
	s_delay_alu instid0(VALU_DEP_1) | instskip(SKIP_2) | instid1(VALU_DEP_3)
	v_add_f64 v[49:50], v[43:44], -v[47:48]
	v_add_f64 v[41:42], v[47:48], -v[45:46]
	v_max_f64 v[45:46], |v[15:16]|, |v[15:16]|
	v_add_f64 v[43:44], v[43:44], -v[49:50]
	s_delay_alu instid0(VALU_DEP_3) | instskip(NEXT) | instid1(VALU_DEP_2)
	v_add_f64 v[35:36], v[41:42], -v[35:36]
	v_add_f64 v[43:44], v[43:44], -v[47:48]
	v_max_f64 v[47:48], |v[13:14]|, |v[13:14]|
	v_cndmask_b32_e64 v13, 0x3fe921fb, v56, s3
	s_delay_alu instid0(VALU_DEP_1) | instskip(NEXT) | instid1(VALU_DEP_4)
	v_bfi_b32 v13, 0x7fffffff, v13, v16
	v_add_f64 v[29:30], v[29:30], v[43:44]
	s_delay_alu instid0(VALU_DEP_4) | instskip(SKIP_1) | instid1(VALU_DEP_3)
	v_max_f64 v[51:52], v[47:48], v[45:46]
	v_min_f64 v[45:46], v[47:48], v[45:46]
	v_add_f64 v[29:30], v[35:36], v[29:30]
	s_delay_alu instid0(VALU_DEP_1) | instskip(NEXT) | instid1(VALU_DEP_1)
	v_add_f64 v[35:36], v[49:50], v[29:30]
	v_mul_f64 v[41:42], v[31:32], v[35:36]
	v_add_f64 v[49:50], v[49:50], -v[35:36]
	s_delay_alu instid0(VALU_DEP_2) | instskip(NEXT) | instid1(VALU_DEP_2)
	v_mul_f64 v[43:44], v[37:38], v[41:42]
	v_add_f64 v[29:30], v[29:30], v[49:50]
	s_delay_alu instid0(VALU_DEP_2) | instskip(NEXT) | instid1(VALU_DEP_1)
	v_fma_f64 v[37:38], v[41:42], v[37:38], -v[43:44]
	v_fma_f64 v[33:34], v[41:42], v[33:34], v[37:38]
	v_div_scale_f64 v[37:38], null, v[51:52], v[51:52], v[45:46]
	s_delay_alu instid0(VALU_DEP_2) | instskip(NEXT) | instid1(VALU_DEP_2)
	v_add_f64 v[47:48], v[43:44], v[33:34]
	v_rcp_f64_e32 v[53:54], v[37:38]
	s_delay_alu instid0(VALU_DEP_1)
	v_add_f64 v[57:58], v[35:36], -v[47:48]
	v_add_f64 v[43:44], v[47:48], -v[43:44]
	s_waitcnt_depctr 0xfff
	v_fma_f64 v[59:60], -v[37:38], v[53:54], 1.0
	v_add_f64 v[35:36], v[35:36], -v[57:58]
	v_add_f64 v[33:34], v[43:44], -v[33:34]
	s_delay_alu instid0(VALU_DEP_3) | instskip(NEXT) | instid1(VALU_DEP_3)
	v_fma_f64 v[53:54], v[53:54], v[59:60], v[53:54]
	v_add_f64 v[35:36], v[35:36], -v[47:48]
	s_delay_alu instid0(VALU_DEP_2) | instskip(NEXT) | instid1(VALU_DEP_2)
	v_fma_f64 v[47:48], -v[37:38], v[53:54], 1.0
	v_add_f64 v[29:30], v[29:30], v[35:36]
	v_div_scale_f64 v[35:36], vcc_lo, v[45:46], v[51:52], v[45:46]
	s_delay_alu instid0(VALU_DEP_3) | instskip(SKIP_1) | instid1(VALU_DEP_4)
	v_fma_f64 v[43:44], v[53:54], v[47:48], v[53:54]
	v_add_f64 v[47:48], v[39:40], v[41:42]
	v_add_f64 v[29:30], v[33:34], v[29:30]
	s_delay_alu instid0(VALU_DEP_3) | instskip(NEXT) | instid1(VALU_DEP_3)
	v_mul_f64 v[33:34], v[35:36], v[43:44]
	v_add_f64 v[39:40], v[47:48], -v[39:40]
	s_delay_alu instid0(VALU_DEP_3) | instskip(NEXT) | instid1(VALU_DEP_3)
	v_add_f64 v[29:30], v[57:58], v[29:30]
	v_fma_f64 v[35:36], -v[37:38], v[33:34], v[35:36]
	s_delay_alu instid0(VALU_DEP_3) | instskip(NEXT) | instid1(VALU_DEP_3)
	v_add_f64 v[37:38], v[41:42], -v[39:40]
	v_mul_f64 v[29:30], v[31:32], v[29:30]
	s_delay_alu instid0(VALU_DEP_3) | instskip(SKIP_1) | instid1(VALU_DEP_3)
	v_div_fmas_f64 v[31:32], v[35:36], v[43:44], v[33:34]
	v_cmp_eq_f64_e32 vcc_lo, 0x7ff00000, v[10:11]
	v_add_f64 v[29:30], v[37:38], v[29:30]
	s_delay_alu instid0(VALU_DEP_3) | instskip(NEXT) | instid1(VALU_DEP_2)
	v_div_fixup_f64 v[31:32], v[31:32], v[51:52], v[45:46]
	v_add_f64 v[33:34], v[47:48], v[29:30]
	s_delay_alu instid0(VALU_DEP_2) | instskip(NEXT) | instid1(VALU_DEP_2)
	v_mul_f64 v[35:36], v[31:32], v[31:32]
	v_mul_f64 v[37:38], v[33:34], v[33:34]
	s_delay_alu instid0(VALU_DEP_2) | instskip(NEXT) | instid1(VALU_DEP_2)
	v_fma_f64 v[39:40], v[35:36], s[44:45], s[42:43]
	v_fma_f64 v[41:42], v[37:38], s[26:27], s[24:25]
	v_mul_f64 v[43:44], v[33:34], v[37:38]
	s_delay_alu instid0(VALU_DEP_3) | instskip(NEXT) | instid1(VALU_DEP_3)
	v_fma_f64 v[39:40], v[35:36], v[39:40], s[46:47]
	v_fma_f64 v[41:42], v[37:38], v[41:42], s[28:29]
	s_delay_alu instid0(VALU_DEP_2) | instskip(NEXT) | instid1(VALU_DEP_2)
	v_fma_f64 v[39:40], v[35:36], v[39:40], s[48:49]
	v_fma_f64 v[41:42], v[37:38], v[41:42], s[30:31]
	s_delay_alu instid0(VALU_DEP_2) | instskip(NEXT) | instid1(VALU_DEP_2)
	;; [unrolled: 3-line block ×4, first 2 shown]
	v_fma_f64 v[39:40], v[35:36], v[39:40], s[54:55]
	v_fma_f64 v[37:38], v[37:38], v[41:42], s[92:93]
	v_ldexp_f64 v[41:42], v[33:34], 1
	v_add_f64 v[33:34], v[33:34], -v[47:48]
	s_delay_alu instid0(VALU_DEP_4) | instskip(NEXT) | instid1(VALU_DEP_4)
	v_fma_f64 v[39:40], v[35:36], v[39:40], s[56:57]
	v_mul_f64 v[37:38], v[43:44], v[37:38]
	v_cvt_f64_i32_e32 v[43:44], v7
	s_delay_alu instid0(VALU_DEP_4) | instskip(NEXT) | instid1(VALU_DEP_4)
	v_add_f64 v[29:30], v[29:30], -v[33:34]
	v_fma_f64 v[39:40], v[35:36], v[39:40], s[58:59]
	v_ashrrev_i32_e32 v7, 31, v14
	s_delay_alu instid0(VALU_DEP_1)
	v_and_b32_e32 v9, 0x54442d18, v7
	v_and_b32_e32 v7, 0x400921fb, v7
	v_add_f64 v[45:46], v[41:42], v[37:38]
	v_mul_f64 v[47:48], v[43:44], s[38:39]
	v_ldexp_f64 v[29:30], v[29:30], 1
	v_fma_f64 v[39:40], v[35:36], v[39:40], s[60:61]
	s_delay_alu instid0(VALU_DEP_4) | instskip(NEXT) | instid1(VALU_DEP_4)
	v_add_f64 v[33:34], v[45:46], -v[41:42]
	v_fma_f64 v[41:42], v[43:44], s[38:39], -v[47:48]
	s_delay_alu instid0(VALU_DEP_3) | instskip(NEXT) | instid1(VALU_DEP_3)
	v_fma_f64 v[39:40], v[35:36], v[39:40], s[62:63]
	v_add_f64 v[33:34], v[37:38], -v[33:34]
	s_delay_alu instid0(VALU_DEP_2) | instskip(NEXT) | instid1(VALU_DEP_4)
	v_fma_f64 v[37:38], v[35:36], v[39:40], s[64:65]
	v_fma_f64 v[39:40], v[43:44], s[40:41], v[41:42]
	s_delay_alu instid0(VALU_DEP_3) | instskip(NEXT) | instid1(VALU_DEP_3)
	v_add_f64 v[29:30], v[29:30], v[33:34]
	v_fma_f64 v[33:34], v[35:36], v[37:38], s[66:67]
	s_delay_alu instid0(VALU_DEP_3) | instskip(NEXT) | instid1(VALU_DEP_3)
	v_add_f64 v[37:38], v[47:48], v[39:40]
	v_add_f64 v[41:42], v[45:46], v[29:30]
	s_delay_alu instid0(VALU_DEP_3) | instskip(NEXT) | instid1(VALU_DEP_3)
	v_fma_f64 v[33:34], v[35:36], v[33:34], s[68:69]
	v_add_f64 v[47:48], v[37:38], -v[47:48]
	s_delay_alu instid0(VALU_DEP_3) | instskip(SKIP_1) | instid1(VALU_DEP_4)
	v_add_f64 v[43:44], v[37:38], v[41:42]
	v_add_f64 v[45:46], v[41:42], -v[45:46]
	v_fma_f64 v[33:34], v[35:36], v[33:34], s[70:71]
	s_delay_alu instid0(VALU_DEP_4) | instskip(NEXT) | instid1(VALU_DEP_4)
	v_add_f64 v[39:40], v[39:40], -v[47:48]
	v_add_f64 v[49:50], v[43:44], -v[37:38]
	s_delay_alu instid0(VALU_DEP_4) | instskip(NEXT) | instid1(VALU_DEP_4)
	v_add_f64 v[29:30], v[29:30], -v[45:46]
	v_fma_f64 v[33:34], v[35:36], v[33:34], s[72:73]
	s_delay_alu instid0(VALU_DEP_3) | instskip(SKIP_1) | instid1(VALU_DEP_4)
	v_add_f64 v[51:52], v[43:44], -v[49:50]
	v_add_f64 v[41:42], v[41:42], -v[49:50]
	v_add_f64 v[45:46], v[39:40], v[29:30]
	s_delay_alu instid0(VALU_DEP_4) | instskip(NEXT) | instid1(VALU_DEP_4)
	v_fma_f64 v[33:34], v[35:36], v[33:34], s[74:75]
	v_add_f64 v[37:38], v[37:38], -v[51:52]
	s_delay_alu instid0(VALU_DEP_2) | instskip(NEXT) | instid1(VALU_DEP_2)
	v_fma_f64 v[33:34], v[35:36], v[33:34], s[76:77]
	v_add_f64 v[37:38], v[41:42], v[37:38]
	v_add_f64 v[41:42], v[45:46], -v[39:40]
	s_delay_alu instid0(VALU_DEP_3) | instskip(NEXT) | instid1(VALU_DEP_3)
	v_fma_f64 v[33:34], v[35:36], v[33:34], s[78:79]
	v_add_f64 v[37:38], v[45:46], v[37:38]
	s_delay_alu instid0(VALU_DEP_3) | instskip(SKIP_1) | instid1(VALU_DEP_4)
	v_add_f64 v[45:46], v[45:46], -v[41:42]
	v_add_f64 v[29:30], v[29:30], -v[41:42]
	v_fma_f64 v[33:34], v[35:36], v[33:34], s[80:81]
	s_delay_alu instid0(VALU_DEP_4) | instskip(NEXT) | instid1(VALU_DEP_2)
	v_add_f64 v[47:48], v[43:44], v[37:38]
	v_mul_f64 v[33:34], v[35:36], v[33:34]
	v_add_f64 v[35:36], v[39:40], -v[45:46]
	s_delay_alu instid0(VALU_DEP_3) | instskip(NEXT) | instid1(VALU_DEP_3)
	v_add_f64 v[39:40], v[47:48], -v[43:44]
	v_fma_f64 v[31:32], v[31:32], v[33:34], v[31:32]
	s_delay_alu instid0(VALU_DEP_3) | instskip(NEXT) | instid1(VALU_DEP_3)
	v_add_f64 v[29:30], v[29:30], v[35:36]
	v_add_f64 v[33:34], v[37:38], -v[39:40]
	s_delay_alu instid0(VALU_DEP_3) | instskip(NEXT) | instid1(VALU_DEP_2)
	v_add_f64 v[35:36], -v[31:32], s[82:83]
	v_add_f64 v[29:30], v[29:30], v[33:34]
	s_delay_alu instid0(VALU_DEP_2) | instskip(NEXT) | instid1(VALU_DEP_3)
	v_cndmask_b32_e64 v32, v32, v36, s2
	v_cndmask_b32_e64 v31, v31, v35, s2
	s_delay_alu instid0(VALU_DEP_1) | instskip(NEXT) | instid1(VALU_DEP_4)
	v_add_f64 v[33:34], -v[31:32], s[12:13]
	v_add_f64 v[29:30], v[47:48], v[29:30]
	s_delay_alu instid0(VALU_DEP_2) | instskip(NEXT) | instid1(VALU_DEP_3)
	v_cndmask_b32_e64 v31, v31, v33, s3
	v_cndmask_b32_e64 v14, v32, v34, s3
	v_cmp_nge_f64_e64 s3, -1.0, v[10:11]
	s_delay_alu instid0(VALU_DEP_4) | instskip(SKIP_1) | instid1(VALU_DEP_2)
	v_dual_cndmask_b32 v30, v30, v11 :: v_dual_cndmask_b32 v29, v29, v10
	v_cmp_eq_f64_e32 vcc_lo, 0, v[15:16]
	v_mul_f64 v[29:30], v[29:30], 0.5
	v_cndmask_b32_e32 v31, v31, v9, vcc_lo
	v_cndmask_b32_e32 v7, v14, v7, vcc_lo
	v_cmp_ngt_f64_e32 vcc_lo, -1.0, v[10:11]
	s_delay_alu instid0(VALU_DEP_4)
	v_cndmask_b32_e64 v9, 0, v29, s3
	v_cmp_neq_f64_e64 s3, -1.0, v[10:11]
	v_cndmask_b32_e32 v14, 0x7ff80000, v30, vcc_lo
	s_and_b32 vcc_lo, s5, s4
	v_cndmask_b32_e32 v30, v7, v13, vcc_lo
	v_cndmask_b32_e32 v29, v31, v18, vcc_lo
	s_delay_alu instid0(VALU_DEP_3)
	v_cndmask_b32_e64 v10, 0xfff00000, v14, s3
.LBB192_86:                             ;   in Loop: Header=BB192_5 Depth=1
	s_or_b32 exec_lo, exec_lo, vcc_hi
.LBB192_87:                             ;   in Loop: Header=BB192_5 Depth=1
	s_delay_alu instid0(SALU_CYCLE_1)
	s_or_b32 exec_lo, exec_lo, s104
.LBB192_88:                             ;   in Loop: Header=BB192_5 Depth=1
	s_and_not1_saveexec_b32 s5, s103
	s_cbranch_execz .LBB192_90
; %bb.89:                               ;   in Loop: Header=BB192_5 Depth=1
	v_max_f64 v[9:10], |v[15:16]|, |v[15:16]|
	v_max_f64 v[29:30], |v[13:14]|, |v[13:14]|
	v_cmp_class_f64_e64 s6, v[13:14], 0x204
	v_cmp_class_f64_e64 s7, v[15:16], 0x204
	s_mov_b32 s93, s23
	s_mov_b32 s12, s82
	v_cmp_eq_f64_e64 s4, 0, v[15:16]
	s_delay_alu instid0(VALU_DEP_4) | instskip(SKIP_1) | instid1(VALU_DEP_4)
	v_max_f64 v[31:32], v[29:30], v[9:10]
	v_min_f64 v[9:10], v[29:30], v[9:10]
	s_or_b32 s8, s6, s7
	s_delay_alu instid0(VALU_DEP_2) | instskip(NEXT) | instid1(VALU_DEP_1)
	v_frexp_exp_i32_f64_e32 v7, v[31:32]
	v_sub_nc_u32_e32 v11, 0, v7
	s_delay_alu instid0(VALU_DEP_1) | instskip(SKIP_1) | instid1(VALU_DEP_2)
	v_ldexp_f64 v[33:34], |v[15:16]|, v11
	v_ldexp_f64 v[35:36], |v[13:14]|, v11
	v_mul_f64 v[33:34], v[33:34], v[33:34]
	s_delay_alu instid0(VALU_DEP_1) | instskip(NEXT) | instid1(VALU_DEP_1)
	v_fma_f64 v[33:34], v[35:36], v[35:36], v[33:34]
	v_rsq_f64_e32 v[35:36], v[33:34]
	v_cmp_eq_f64_e32 vcc_lo, 0, v[33:34]
	s_waitcnt_depctr 0xfff
	v_mul_f64 v[37:38], v[33:34], v[35:36]
	v_mul_f64 v[35:36], v[35:36], 0.5
	s_delay_alu instid0(VALU_DEP_1) | instskip(NEXT) | instid1(VALU_DEP_1)
	v_fma_f64 v[39:40], -v[35:36], v[37:38], 0.5
	v_fma_f64 v[37:38], v[37:38], v[39:40], v[37:38]
	v_fma_f64 v[35:36], v[35:36], v[39:40], v[35:36]
	s_delay_alu instid0(VALU_DEP_2) | instskip(NEXT) | instid1(VALU_DEP_1)
	v_fma_f64 v[39:40], -v[37:38], v[37:38], v[33:34]
	v_fma_f64 v[35:36], v[39:40], v[35:36], v[37:38]
	s_delay_alu instid0(VALU_DEP_1) | instskip(SKIP_1) | instid1(VALU_DEP_2)
	v_dual_cndmask_b32 v34, v36, v34 :: v_dual_cndmask_b32 v33, v35, v33
	v_div_scale_f64 v[57:58], vcc_lo, v[9:10], v[31:32], v[9:10]
	v_ldexp_f64 v[33:34], v[33:34], v7
	s_delay_alu instid0(VALU_DEP_1) | instskip(NEXT) | instid1(VALU_DEP_2)
	v_cndmask_b32_e64 v36, v34, 0x7ff00000, s8
	v_cndmask_b32_e64 v35, v33, 0, s8
	s_delay_alu instid0(VALU_DEP_1) | instskip(SKIP_1) | instid1(VALU_DEP_2)
	v_frexp_mant_f64_e32 v[37:38], v[35:36]
	v_frexp_exp_i32_f64_e32 v7, v[35:36]
	v_cmp_gt_f64_e64 s3, s[22:23], v[37:38]
	s_delay_alu instid0(VALU_DEP_1) | instskip(NEXT) | instid1(VALU_DEP_1)
	v_cndmask_b32_e64 v18, 0x3ff00000, 2.0, s3
	v_mul_f64 v[37:38], v[37:38], v[17:18]
	s_delay_alu instid0(VALU_DEP_1) | instskip(SKIP_1) | instid1(VALU_DEP_2)
	v_add_f64 v[39:40], v[37:38], 1.0
	v_add_f64 v[45:46], v[37:38], -1.0
	v_rcp_f64_e32 v[41:42], v[39:40]
	v_add_f64 v[47:48], v[39:40], -1.0
	s_delay_alu instid0(VALU_DEP_1) | instskip(SKIP_2) | instid1(VALU_DEP_1)
	v_add_f64 v[37:38], v[37:38], -v[47:48]
	s_waitcnt_depctr 0xfff
	v_fma_f64 v[43:44], -v[39:40], v[41:42], 1.0
	v_fma_f64 v[41:42], v[43:44], v[41:42], v[41:42]
	s_delay_alu instid0(VALU_DEP_1) | instskip(NEXT) | instid1(VALU_DEP_1)
	v_fma_f64 v[43:44], -v[39:40], v[41:42], 1.0
	v_fma_f64 v[41:42], v[43:44], v[41:42], v[41:42]
	v_div_scale_f64 v[43:44], null, v[31:32], v[31:32], v[9:10]
	s_delay_alu instid0(VALU_DEP_2) | instskip(NEXT) | instid1(VALU_DEP_2)
	v_mul_f64 v[29:30], v[45:46], v[41:42]
	v_rcp_f64_e32 v[51:52], v[43:44]
	s_delay_alu instid0(VALU_DEP_1) | instskip(SKIP_3) | instid1(VALU_DEP_1)
	v_mul_f64 v[49:50], v[39:40], v[29:30]
	s_waitcnt_depctr 0xfff
	v_fma_f64 v[47:48], -v[43:44], v[51:52], 1.0
	v_fma_f64 v[39:40], v[29:30], v[39:40], -v[49:50]
	v_fma_f64 v[37:38], v[29:30], v[37:38], v[39:40]
	s_delay_alu instid0(VALU_DEP_3) | instskip(NEXT) | instid1(VALU_DEP_2)
	v_fma_f64 v[39:40], v[51:52], v[47:48], v[51:52]
	v_add_f64 v[47:48], v[49:50], v[37:38]
	s_delay_alu instid0(VALU_DEP_2) | instskip(NEXT) | instid1(VALU_DEP_2)
	v_fma_f64 v[51:52], -v[43:44], v[39:40], 1.0
	v_add_f64 v[53:54], v[45:46], -v[47:48]
	s_delay_alu instid0(VALU_DEP_2) | instskip(SKIP_1) | instid1(VALU_DEP_3)
	v_fma_f64 v[39:40], v[39:40], v[51:52], v[39:40]
	v_add_f64 v[49:50], v[47:48], -v[49:50]
	v_add_f64 v[45:46], v[45:46], -v[53:54]
	s_delay_alu instid0(VALU_DEP_3) | instskip(NEXT) | instid1(VALU_DEP_3)
	v_mul_f64 v[51:52], v[57:58], v[39:40]
	v_add_f64 v[37:38], v[49:50], -v[37:38]
	s_delay_alu instid0(VALU_DEP_3) | instskip(NEXT) | instid1(VALU_DEP_3)
	v_add_f64 v[45:46], v[45:46], -v[47:48]
	v_fma_f64 v[43:44], -v[43:44], v[51:52], v[57:58]
	s_delay_alu instid0(VALU_DEP_2) | instskip(NEXT) | instid1(VALU_DEP_2)
	v_add_f64 v[37:38], v[37:38], v[45:46]
	v_div_fmas_f64 v[39:40], v[43:44], v[39:40], v[51:52]
	v_subrev_co_ci_u32_e64 v7, vcc_lo, 0, v7, s3
	v_cmp_class_f64_e64 s3, v[33:34], 0x204
	v_cmp_gt_i32_e32 vcc_lo, 0, v14
	v_cndmask_b32_e32 v11, 0x54442d18, v55, vcc_lo
	v_add_f64 v[37:38], v[53:54], v[37:38]
	v_div_fixup_f64 v[9:10], v[39:40], v[31:32], v[9:10]
	s_delay_alu instid0(VALU_DEP_2) | instskip(NEXT) | instid1(VALU_DEP_2)
	v_mul_f64 v[31:32], v[41:42], v[37:38]
	v_mul_f64 v[37:38], v[9:10], v[9:10]
	s_delay_alu instid0(VALU_DEP_2) | instskip(NEXT) | instid1(VALU_DEP_2)
	v_add_f64 v[39:40], v[29:30], v[31:32]
	v_fma_f64 v[41:42], v[37:38], s[44:45], s[42:43]
	s_delay_alu instid0(VALU_DEP_2) | instskip(NEXT) | instid1(VALU_DEP_2)
	v_mul_f64 v[43:44], v[39:40], v[39:40]
	v_fma_f64 v[41:42], v[37:38], v[41:42], s[46:47]
	v_add_f64 v[29:30], v[39:40], -v[29:30]
	s_delay_alu instid0(VALU_DEP_3) | instskip(NEXT) | instid1(VALU_DEP_3)
	v_fma_f64 v[45:46], v[43:44], s[26:27], s[24:25]
	v_fma_f64 v[41:42], v[37:38], v[41:42], s[48:49]
	v_mul_f64 v[47:48], v[39:40], v[43:44]
	s_delay_alu instid0(VALU_DEP_4) | instskip(NEXT) | instid1(VALU_DEP_4)
	v_add_f64 v[29:30], v[31:32], -v[29:30]
	v_fma_f64 v[45:46], v[43:44], v[45:46], s[28:29]
	s_delay_alu instid0(VALU_DEP_4) | instskip(NEXT) | instid1(VALU_DEP_3)
	v_fma_f64 v[41:42], v[37:38], v[41:42], s[50:51]
	v_ldexp_f64 v[29:30], v[29:30], 1
	s_delay_alu instid0(VALU_DEP_3) | instskip(NEXT) | instid1(VALU_DEP_3)
	v_fma_f64 v[45:46], v[43:44], v[45:46], s[30:31]
	v_fma_f64 v[41:42], v[37:38], v[41:42], s[52:53]
	s_delay_alu instid0(VALU_DEP_2) | instskip(NEXT) | instid1(VALU_DEP_2)
	v_fma_f64 v[45:46], v[43:44], v[45:46], s[34:35]
	v_fma_f64 v[41:42], v[37:38], v[41:42], s[54:55]
	s_delay_alu instid0(VALU_DEP_2) | instskip(NEXT) | instid1(VALU_DEP_2)
	v_fma_f64 v[45:46], v[43:44], v[45:46], s[36:37]
	v_fma_f64 v[41:42], v[37:38], v[41:42], s[56:57]
	s_delay_alu instid0(VALU_DEP_2) | instskip(NEXT) | instid1(VALU_DEP_2)
	v_fma_f64 v[43:44], v[43:44], v[45:46], s[92:93]
	v_fma_f64 v[41:42], v[37:38], v[41:42], s[58:59]
	v_ldexp_f64 v[45:46], v[39:40], 1
	s_delay_alu instid0(VALU_DEP_3) | instskip(NEXT) | instid1(VALU_DEP_3)
	v_mul_f64 v[43:44], v[47:48], v[43:44]
	v_fma_f64 v[41:42], v[37:38], v[41:42], s[60:61]
	v_cvt_f64_i32_e32 v[47:48], v7
	v_ashrrev_i32_e32 v7, 31, v14
	v_cndmask_b32_e32 v14, 0x3fe921fb, v56, vcc_lo
	s_delay_alu instid0(VALU_DEP_1) | instskip(SKIP_3) | instid1(VALU_DEP_3)
	v_bfi_b32 v14, 0x7fffffff, v14, v16
	v_add_f64 v[39:40], v[45:46], v[43:44]
	v_fma_f64 v[41:42], v[37:38], v[41:42], s[62:63]
	v_mul_f64 v[49:50], v[47:48], s[38:39]
	v_add_f64 v[31:32], v[39:40], -v[45:46]
	s_delay_alu instid0(VALU_DEP_3) | instskip(NEXT) | instid1(VALU_DEP_3)
	v_fma_f64 v[41:42], v[37:38], v[41:42], s[64:65]
	v_fma_f64 v[45:46], v[47:48], s[38:39], -v[49:50]
	s_delay_alu instid0(VALU_DEP_3) | instskip(NEXT) | instid1(VALU_DEP_3)
	v_add_f64 v[31:32], v[43:44], -v[31:32]
	v_fma_f64 v[41:42], v[37:38], v[41:42], s[66:67]
	s_delay_alu instid0(VALU_DEP_3) | instskip(NEXT) | instid1(VALU_DEP_3)
	v_fma_f64 v[43:44], v[47:48], s[40:41], v[45:46]
	v_add_f64 v[29:30], v[29:30], v[31:32]
	s_delay_alu instid0(VALU_DEP_3) | instskip(NEXT) | instid1(VALU_DEP_3)
	v_fma_f64 v[31:32], v[37:38], v[41:42], s[68:69]
	v_add_f64 v[41:42], v[49:50], v[43:44]
	s_delay_alu instid0(VALU_DEP_3) | instskip(NEXT) | instid1(VALU_DEP_3)
	v_add_f64 v[45:46], v[39:40], v[29:30]
	v_fma_f64 v[31:32], v[37:38], v[31:32], s[70:71]
	s_delay_alu instid0(VALU_DEP_3) | instskip(NEXT) | instid1(VALU_DEP_3)
	v_add_f64 v[49:50], v[41:42], -v[49:50]
	v_add_f64 v[47:48], v[41:42], v[45:46]
	s_delay_alu instid0(VALU_DEP_3) | instskip(SKIP_1) | instid1(VALU_DEP_4)
	v_fma_f64 v[31:32], v[37:38], v[31:32], s[72:73]
	v_add_f64 v[39:40], v[45:46], -v[39:40]
	v_add_f64 v[43:44], v[43:44], -v[49:50]
	s_delay_alu instid0(VALU_DEP_4) | instskip(NEXT) | instid1(VALU_DEP_4)
	v_add_f64 v[51:52], v[47:48], -v[41:42]
	v_fma_f64 v[31:32], v[37:38], v[31:32], s[74:75]
	s_delay_alu instid0(VALU_DEP_4) | instskip(NEXT) | instid1(VALU_DEP_3)
	v_add_f64 v[29:30], v[29:30], -v[39:40]
	v_add_f64 v[53:54], v[47:48], -v[51:52]
	s_delay_alu instid0(VALU_DEP_3) | instskip(SKIP_1) | instid1(VALU_DEP_4)
	v_fma_f64 v[31:32], v[37:38], v[31:32], s[76:77]
	v_add_f64 v[39:40], v[45:46], -v[51:52]
	v_add_f64 v[45:46], v[43:44], v[29:30]
	s_delay_alu instid0(VALU_DEP_4) | instskip(NEXT) | instid1(VALU_DEP_4)
	v_add_f64 v[41:42], v[41:42], -v[53:54]
	v_fma_f64 v[31:32], v[37:38], v[31:32], s[78:79]
	s_delay_alu instid0(VALU_DEP_2) | instskip(NEXT) | instid1(VALU_DEP_2)
	v_add_f64 v[39:40], v[39:40], v[41:42]
	v_fma_f64 v[31:32], v[37:38], v[31:32], s[80:81]
	v_add_f64 v[41:42], v[45:46], -v[43:44]
	s_delay_alu instid0(VALU_DEP_3) | instskip(NEXT) | instid1(VALU_DEP_3)
	v_add_f64 v[39:40], v[45:46], v[39:40]
	v_mul_f64 v[31:32], v[37:38], v[31:32]
	s_delay_alu instid0(VALU_DEP_3) | instskip(SKIP_1) | instid1(VALU_DEP_4)
	v_add_f64 v[37:38], v[45:46], -v[41:42]
	v_add_f64 v[29:30], v[29:30], -v[41:42]
	v_add_f64 v[45:46], v[47:48], v[39:40]
	s_delay_alu instid0(VALU_DEP_4) | instskip(NEXT) | instid1(VALU_DEP_4)
	v_fma_f64 v[9:10], v[9:10], v[31:32], v[9:10]
	v_add_f64 v[31:32], v[43:44], -v[37:38]
	s_delay_alu instid0(VALU_DEP_3) | instskip(NEXT) | instid1(VALU_DEP_3)
	v_add_f64 v[37:38], v[45:46], -v[47:48]
	v_add_f64 v[41:42], -v[9:10], s[82:83]
	s_delay_alu instid0(VALU_DEP_3) | instskip(NEXT) | instid1(VALU_DEP_3)
	v_add_f64 v[29:30], v[29:30], v[31:32]
	v_add_f64 v[31:32], v[39:40], -v[37:38]
	s_delay_alu instid0(VALU_DEP_3) | instskip(NEXT) | instid1(VALU_DEP_4)
	v_cndmask_b32_e64 v10, v10, v42, s2
	v_cndmask_b32_e64 v9, v9, v41, s2
	s_delay_alu instid0(VALU_DEP_3) | instskip(NEXT) | instid1(VALU_DEP_2)
	v_add_f64 v[29:30], v[29:30], v[31:32]
	v_add_f64 v[31:32], -v[9:10], s[12:13]
	v_and_b32_e32 v13, 0x54442d18, v7
	v_and_b32_e32 v7, 0x400921fb, v7
	s_delay_alu instid0(VALU_DEP_4) | instskip(NEXT) | instid1(VALU_DEP_4)
	v_add_f64 v[29:30], v[45:46], v[29:30]
	v_cndmask_b32_e32 v10, v10, v32, vcc_lo
	s_delay_alu instid0(VALU_DEP_1)
	v_cndmask_b32_e64 v7, v10, v7, s4
	v_cndmask_b32_e32 v9, v9, v31, vcc_lo
	v_cmp_ngt_f64_e32 vcc_lo, 0, v[35:36]
	v_cndmask_b32_e64 v18, v30, v34, s3
	v_cndmask_b32_e64 v29, v29, v33, s3
	v_cmp_nge_f64_e64 s3, 0, v[35:36]
	s_delay_alu instid0(VALU_DEP_3) | instskip(NEXT) | instid1(VALU_DEP_1)
	v_cndmask_b32_e64 v18, v18, 0x7ff00000, s8
	v_cndmask_b32_e32 v10, 0x7ff80000, v18, vcc_lo
	s_and_b32 vcc_lo, s6, s7
	v_cndmask_b32_e32 v30, v7, v14, vcc_lo
	v_cndmask_b32_e64 v13, v9, v13, s4
	v_cndmask_b32_e64 v9, v29, 0, s8
	s_delay_alu instid0(VALU_DEP_2) | instskip(NEXT) | instid1(VALU_DEP_2)
	v_cndmask_b32_e32 v29, v13, v11, vcc_lo
	v_cndmask_b32_e64 v9, 0, v9, s3
	v_cmp_neq_f64_e64 s3, 0, v[35:36]
	s_delay_alu instid0(VALU_DEP_1)
	v_cndmask_b32_e64 v10, 0xfff00000, v10, s3
.LBB192_90:                             ;   in Loop: Header=BB192_5 Depth=1
	s_or_b32 exec_lo, exec_lo, s5
                                        ; implicit-def: $vgpr33_vgpr34
.LBB192_91:                             ;   in Loop: Header=BB192_5 Depth=1
	s_and_not1_saveexec_b32 s5, s99
	s_cbranch_execz .LBB192_97
; %bb.92:                               ;   in Loop: Header=BB192_5 Depth=1
                                        ; implicit-def: $vgpr9_vgpr10
                                        ; implicit-def: $vgpr29_vgpr30
	s_mov_b32 s3, exec_lo
	v_cmpx_ngt_f64_e32 s[86:87], v[33:34]
	s_xor_b32 s6, exec_lo, s3
	s_cbranch_execz .LBB192_94
; %bb.93:                               ;   in Loop: Header=BB192_5 Depth=1
	v_mul_f64 v[9:10], v[33:34], v[33:34]
	s_mov_b32 s93, s23
	s_mov_b32 s12, s82
	v_cmp_eq_f64_e64 s4, 0, v[15:16]
	v_cmp_class_f64_e64 s7, v[15:16], 0x204
	v_cmp_class_f64_e64 s8, v[13:14], 0x204
	v_cmp_gt_i32_e64 s3, 0, v14
	v_add_f64 v[29:30], v[9:10], 1.0
	s_delay_alu instid0(VALU_DEP_1) | instskip(SKIP_2) | instid1(VALU_DEP_3)
	v_frexp_mant_f64_e32 v[31:32], v[29:30]
	v_frexp_exp_i32_f64_e32 v7, v[29:30]
	v_add_f64 v[33:34], v[29:30], -1.0
	v_cmp_gt_f64_e32 vcc_lo, s[22:23], v[31:32]
	s_delay_alu instid0(VALU_DEP_2) | instskip(SKIP_2) | instid1(VALU_DEP_3)
	v_add_f64 v[31:32], v[33:34], -v[29:30]
	v_add_f64 v[33:34], v[9:10], -v[33:34]
	v_subrev_co_ci_u32_e32 v7, vcc_lo, 0, v7, vcc_lo
	v_add_f64 v[31:32], v[31:32], 1.0
	s_delay_alu instid0(VALU_DEP_2) | instskip(NEXT) | instid1(VALU_DEP_1)
	v_sub_nc_u32_e32 v11, 0, v7
	v_ldexp_f64 v[29:30], v[29:30], v11
	s_delay_alu instid0(VALU_DEP_3) | instskip(NEXT) | instid1(VALU_DEP_2)
	v_add_f64 v[31:32], v[33:34], v[31:32]
	v_add_f64 v[35:36], v[29:30], 1.0
	v_add_f64 v[41:42], v[29:30], -1.0
	s_delay_alu instid0(VALU_DEP_3) | instskip(SKIP_1) | instid1(VALU_DEP_4)
	v_ldexp_f64 v[31:32], v[31:32], v11
	v_cndmask_b32_e64 v11, 0x54442d18, v55, s3
	v_add_f64 v[33:34], v[35:36], -1.0
	s_delay_alu instid0(VALU_DEP_4) | instskip(NEXT) | instid1(VALU_DEP_2)
	v_add_f64 v[43:44], v[41:42], 1.0
	v_add_f64 v[33:34], v[29:30], -v[33:34]
	s_delay_alu instid0(VALU_DEP_2) | instskip(NEXT) | instid1(VALU_DEP_2)
	v_add_f64 v[29:30], v[29:30], -v[43:44]
	v_add_f64 v[33:34], v[31:32], v[33:34]
	s_delay_alu instid0(VALU_DEP_2) | instskip(NEXT) | instid1(VALU_DEP_2)
	v_add_f64 v[29:30], v[31:32], v[29:30]
	v_add_f64 v[37:38], v[35:36], v[33:34]
	s_delay_alu instid0(VALU_DEP_2) | instskip(NEXT) | instid1(VALU_DEP_2)
	v_add_f64 v[43:44], v[41:42], v[29:30]
	v_rcp_f64_e32 v[39:40], v[37:38]
	v_add_f64 v[35:36], v[35:36], -v[37:38]
	s_delay_alu instid0(VALU_DEP_2) | instskip(NEXT) | instid1(VALU_DEP_2)
	v_add_f64 v[41:42], v[41:42], -v[43:44]
	v_add_f64 v[33:34], v[33:34], v[35:36]
	s_waitcnt_depctr 0xfff
	v_fma_f64 v[45:46], -v[37:38], v[39:40], 1.0
	v_add_f64 v[29:30], v[29:30], v[41:42]
	s_delay_alu instid0(VALU_DEP_2) | instskip(NEXT) | instid1(VALU_DEP_1)
	v_fma_f64 v[39:40], v[45:46], v[39:40], v[39:40]
	v_fma_f64 v[31:32], -v[37:38], v[39:40], 1.0
	s_delay_alu instid0(VALU_DEP_1) | instskip(NEXT) | instid1(VALU_DEP_1)
	v_fma_f64 v[31:32], v[31:32], v[39:40], v[39:40]
	v_mul_f64 v[39:40], v[43:44], v[31:32]
	s_delay_alu instid0(VALU_DEP_1) | instskip(NEXT) | instid1(VALU_DEP_1)
	v_mul_f64 v[45:46], v[37:38], v[39:40]
	v_fma_f64 v[35:36], v[39:40], v[37:38], -v[45:46]
	s_delay_alu instid0(VALU_DEP_1) | instskip(NEXT) | instid1(VALU_DEP_1)
	v_fma_f64 v[35:36], v[39:40], v[33:34], v[35:36]
	v_add_f64 v[47:48], v[45:46], v[35:36]
	s_delay_alu instid0(VALU_DEP_1) | instskip(SKIP_2) | instid1(VALU_DEP_3)
	v_add_f64 v[49:50], v[43:44], -v[47:48]
	v_add_f64 v[41:42], v[47:48], -v[45:46]
	v_max_f64 v[45:46], |v[15:16]|, |v[15:16]|
	v_add_f64 v[43:44], v[43:44], -v[49:50]
	s_delay_alu instid0(VALU_DEP_3) | instskip(NEXT) | instid1(VALU_DEP_2)
	v_add_f64 v[35:36], v[41:42], -v[35:36]
	v_add_f64 v[43:44], v[43:44], -v[47:48]
	v_max_f64 v[47:48], |v[13:14]|, |v[13:14]|
	v_cndmask_b32_e64 v13, 0x3fe921fb, v56, s3
	s_delay_alu instid0(VALU_DEP_1) | instskip(NEXT) | instid1(VALU_DEP_4)
	v_bfi_b32 v13, 0x7fffffff, v13, v16
	v_add_f64 v[29:30], v[29:30], v[43:44]
	s_delay_alu instid0(VALU_DEP_4) | instskip(SKIP_1) | instid1(VALU_DEP_3)
	v_max_f64 v[51:52], v[47:48], v[45:46]
	v_min_f64 v[45:46], v[47:48], v[45:46]
	v_add_f64 v[29:30], v[35:36], v[29:30]
	s_delay_alu instid0(VALU_DEP_1) | instskip(NEXT) | instid1(VALU_DEP_1)
	v_add_f64 v[35:36], v[49:50], v[29:30]
	v_mul_f64 v[41:42], v[31:32], v[35:36]
	v_add_f64 v[49:50], v[49:50], -v[35:36]
	s_delay_alu instid0(VALU_DEP_2) | instskip(NEXT) | instid1(VALU_DEP_2)
	v_mul_f64 v[43:44], v[37:38], v[41:42]
	v_add_f64 v[29:30], v[29:30], v[49:50]
	s_delay_alu instid0(VALU_DEP_2) | instskip(NEXT) | instid1(VALU_DEP_1)
	v_fma_f64 v[37:38], v[41:42], v[37:38], -v[43:44]
	v_fma_f64 v[33:34], v[41:42], v[33:34], v[37:38]
	v_div_scale_f64 v[37:38], null, v[51:52], v[51:52], v[45:46]
	s_delay_alu instid0(VALU_DEP_2) | instskip(NEXT) | instid1(VALU_DEP_2)
	v_add_f64 v[47:48], v[43:44], v[33:34]
	v_rcp_f64_e32 v[53:54], v[37:38]
	s_delay_alu instid0(VALU_DEP_1)
	v_add_f64 v[57:58], v[35:36], -v[47:48]
	v_add_f64 v[43:44], v[47:48], -v[43:44]
	s_waitcnt_depctr 0xfff
	v_fma_f64 v[59:60], -v[37:38], v[53:54], 1.0
	v_add_f64 v[35:36], v[35:36], -v[57:58]
	v_add_f64 v[33:34], v[43:44], -v[33:34]
	s_delay_alu instid0(VALU_DEP_3) | instskip(NEXT) | instid1(VALU_DEP_3)
	v_fma_f64 v[53:54], v[53:54], v[59:60], v[53:54]
	v_add_f64 v[35:36], v[35:36], -v[47:48]
	s_delay_alu instid0(VALU_DEP_2) | instskip(NEXT) | instid1(VALU_DEP_2)
	v_fma_f64 v[47:48], -v[37:38], v[53:54], 1.0
	v_add_f64 v[29:30], v[29:30], v[35:36]
	v_div_scale_f64 v[35:36], vcc_lo, v[45:46], v[51:52], v[45:46]
	s_delay_alu instid0(VALU_DEP_3) | instskip(SKIP_1) | instid1(VALU_DEP_4)
	v_fma_f64 v[43:44], v[53:54], v[47:48], v[53:54]
	v_add_f64 v[47:48], v[39:40], v[41:42]
	v_add_f64 v[29:30], v[33:34], v[29:30]
	s_delay_alu instid0(VALU_DEP_3) | instskip(NEXT) | instid1(VALU_DEP_3)
	v_mul_f64 v[33:34], v[35:36], v[43:44]
	v_add_f64 v[39:40], v[47:48], -v[39:40]
	s_delay_alu instid0(VALU_DEP_3) | instskip(NEXT) | instid1(VALU_DEP_3)
	v_add_f64 v[29:30], v[57:58], v[29:30]
	v_fma_f64 v[35:36], -v[37:38], v[33:34], v[35:36]
	s_delay_alu instid0(VALU_DEP_3) | instskip(NEXT) | instid1(VALU_DEP_3)
	v_add_f64 v[37:38], v[41:42], -v[39:40]
	v_mul_f64 v[29:30], v[31:32], v[29:30]
	s_delay_alu instid0(VALU_DEP_3) | instskip(SKIP_1) | instid1(VALU_DEP_3)
	v_div_fmas_f64 v[31:32], v[35:36], v[43:44], v[33:34]
	v_cmp_eq_f64_e32 vcc_lo, 0x7ff00000, v[9:10]
	v_add_f64 v[29:30], v[37:38], v[29:30]
	s_delay_alu instid0(VALU_DEP_3) | instskip(NEXT) | instid1(VALU_DEP_2)
	v_div_fixup_f64 v[31:32], v[31:32], v[51:52], v[45:46]
	v_add_f64 v[33:34], v[47:48], v[29:30]
	s_delay_alu instid0(VALU_DEP_2) | instskip(NEXT) | instid1(VALU_DEP_2)
	v_mul_f64 v[35:36], v[31:32], v[31:32]
	v_mul_f64 v[37:38], v[33:34], v[33:34]
	s_delay_alu instid0(VALU_DEP_2) | instskip(NEXT) | instid1(VALU_DEP_2)
	v_fma_f64 v[39:40], v[35:36], s[44:45], s[42:43]
	v_fma_f64 v[41:42], v[37:38], s[26:27], s[24:25]
	v_mul_f64 v[43:44], v[33:34], v[37:38]
	s_delay_alu instid0(VALU_DEP_3) | instskip(NEXT) | instid1(VALU_DEP_3)
	v_fma_f64 v[39:40], v[35:36], v[39:40], s[46:47]
	v_fma_f64 v[41:42], v[37:38], v[41:42], s[28:29]
	s_delay_alu instid0(VALU_DEP_2) | instskip(NEXT) | instid1(VALU_DEP_2)
	v_fma_f64 v[39:40], v[35:36], v[39:40], s[48:49]
	v_fma_f64 v[41:42], v[37:38], v[41:42], s[30:31]
	s_delay_alu instid0(VALU_DEP_2) | instskip(NEXT) | instid1(VALU_DEP_2)
	;; [unrolled: 3-line block ×4, first 2 shown]
	v_fma_f64 v[39:40], v[35:36], v[39:40], s[54:55]
	v_fma_f64 v[37:38], v[37:38], v[41:42], s[92:93]
	v_ldexp_f64 v[41:42], v[33:34], 1
	v_add_f64 v[33:34], v[33:34], -v[47:48]
	s_delay_alu instid0(VALU_DEP_4) | instskip(NEXT) | instid1(VALU_DEP_4)
	v_fma_f64 v[39:40], v[35:36], v[39:40], s[56:57]
	v_mul_f64 v[37:38], v[43:44], v[37:38]
	v_cvt_f64_i32_e32 v[43:44], v7
	s_delay_alu instid0(VALU_DEP_4) | instskip(NEXT) | instid1(VALU_DEP_4)
	v_add_f64 v[29:30], v[29:30], -v[33:34]
	v_fma_f64 v[39:40], v[35:36], v[39:40], s[58:59]
	v_ashrrev_i32_e32 v7, 31, v14
	v_add_f64 v[45:46], v[41:42], v[37:38]
	v_mul_f64 v[47:48], v[43:44], s[38:39]
	v_ldexp_f64 v[29:30], v[29:30], 1
	v_fma_f64 v[39:40], v[35:36], v[39:40], s[60:61]
	s_delay_alu instid0(VALU_DEP_4) | instskip(NEXT) | instid1(VALU_DEP_4)
	v_add_f64 v[33:34], v[45:46], -v[41:42]
	v_fma_f64 v[41:42], v[43:44], s[38:39], -v[47:48]
	s_delay_alu instid0(VALU_DEP_3) | instskip(NEXT) | instid1(VALU_DEP_3)
	v_fma_f64 v[39:40], v[35:36], v[39:40], s[62:63]
	v_add_f64 v[33:34], v[37:38], -v[33:34]
	s_delay_alu instid0(VALU_DEP_2) | instskip(NEXT) | instid1(VALU_DEP_4)
	v_fma_f64 v[37:38], v[35:36], v[39:40], s[64:65]
	v_fma_f64 v[39:40], v[43:44], s[40:41], v[41:42]
	s_delay_alu instid0(VALU_DEP_3) | instskip(NEXT) | instid1(VALU_DEP_3)
	v_add_f64 v[29:30], v[29:30], v[33:34]
	v_fma_f64 v[33:34], v[35:36], v[37:38], s[66:67]
	s_delay_alu instid0(VALU_DEP_3) | instskip(NEXT) | instid1(VALU_DEP_3)
	v_add_f64 v[37:38], v[47:48], v[39:40]
	v_add_f64 v[41:42], v[45:46], v[29:30]
	s_delay_alu instid0(VALU_DEP_3) | instskip(NEXT) | instid1(VALU_DEP_3)
	v_fma_f64 v[33:34], v[35:36], v[33:34], s[68:69]
	v_add_f64 v[47:48], v[37:38], -v[47:48]
	s_delay_alu instid0(VALU_DEP_3) | instskip(SKIP_1) | instid1(VALU_DEP_4)
	v_add_f64 v[43:44], v[37:38], v[41:42]
	v_add_f64 v[45:46], v[41:42], -v[45:46]
	v_fma_f64 v[33:34], v[35:36], v[33:34], s[70:71]
	s_delay_alu instid0(VALU_DEP_4) | instskip(NEXT) | instid1(VALU_DEP_4)
	v_add_f64 v[39:40], v[39:40], -v[47:48]
	v_add_f64 v[49:50], v[43:44], -v[37:38]
	s_delay_alu instid0(VALU_DEP_4) | instskip(NEXT) | instid1(VALU_DEP_4)
	v_add_f64 v[29:30], v[29:30], -v[45:46]
	v_fma_f64 v[33:34], v[35:36], v[33:34], s[72:73]
	s_delay_alu instid0(VALU_DEP_3) | instskip(SKIP_1) | instid1(VALU_DEP_4)
	v_add_f64 v[51:52], v[43:44], -v[49:50]
	v_add_f64 v[41:42], v[41:42], -v[49:50]
	v_add_f64 v[45:46], v[39:40], v[29:30]
	s_delay_alu instid0(VALU_DEP_4) | instskip(NEXT) | instid1(VALU_DEP_4)
	v_fma_f64 v[33:34], v[35:36], v[33:34], s[74:75]
	v_add_f64 v[37:38], v[37:38], -v[51:52]
	s_delay_alu instid0(VALU_DEP_2) | instskip(NEXT) | instid1(VALU_DEP_2)
	v_fma_f64 v[33:34], v[35:36], v[33:34], s[76:77]
	v_add_f64 v[37:38], v[41:42], v[37:38]
	v_add_f64 v[41:42], v[45:46], -v[39:40]
	s_delay_alu instid0(VALU_DEP_3) | instskip(NEXT) | instid1(VALU_DEP_3)
	v_fma_f64 v[33:34], v[35:36], v[33:34], s[78:79]
	v_add_f64 v[37:38], v[45:46], v[37:38]
	s_delay_alu instid0(VALU_DEP_3) | instskip(SKIP_1) | instid1(VALU_DEP_4)
	v_add_f64 v[45:46], v[45:46], -v[41:42]
	v_add_f64 v[29:30], v[29:30], -v[41:42]
	v_fma_f64 v[33:34], v[35:36], v[33:34], s[80:81]
	s_delay_alu instid0(VALU_DEP_4) | instskip(NEXT) | instid1(VALU_DEP_2)
	v_add_f64 v[47:48], v[43:44], v[37:38]
	v_mul_f64 v[33:34], v[35:36], v[33:34]
	v_add_f64 v[35:36], v[39:40], -v[45:46]
	s_delay_alu instid0(VALU_DEP_3) | instskip(NEXT) | instid1(VALU_DEP_3)
	v_add_f64 v[39:40], v[47:48], -v[43:44]
	v_fma_f64 v[31:32], v[31:32], v[33:34], v[31:32]
	s_delay_alu instid0(VALU_DEP_3) | instskip(NEXT) | instid1(VALU_DEP_3)
	v_add_f64 v[29:30], v[29:30], v[35:36]
	v_add_f64 v[33:34], v[37:38], -v[39:40]
	s_delay_alu instid0(VALU_DEP_3) | instskip(NEXT) | instid1(VALU_DEP_2)
	v_add_f64 v[35:36], -v[31:32], s[82:83]
	v_add_f64 v[29:30], v[29:30], v[33:34]
	s_delay_alu instid0(VALU_DEP_2) | instskip(NEXT) | instid1(VALU_DEP_3)
	v_cndmask_b32_e64 v32, v32, v36, s2
	v_cndmask_b32_e64 v31, v31, v35, s2
	s_delay_alu instid0(VALU_DEP_1) | instskip(NEXT) | instid1(VALU_DEP_4)
	v_add_f64 v[33:34], -v[31:32], s[12:13]
	v_add_f64 v[29:30], v[47:48], v[29:30]
	v_and_b32_e32 v18, 0x54442d18, v7
	v_and_b32_e32 v7, 0x400921fb, v7
	s_delay_alu instid0(VALU_DEP_4) | instskip(SKIP_1) | instid1(VALU_DEP_1)
	v_cndmask_b32_e64 v31, v31, v33, s3
	v_cndmask_b32_e64 v14, v32, v34, s3
                                        ; implicit-def: $vgpr33_vgpr34
	v_cndmask_b32_e64 v7, v14, v7, s4
	v_dual_cndmask_b32 v9, v29, v9 :: v_dual_cndmask_b32 v10, v30, v10
	s_delay_alu instid0(VALU_DEP_4) | instskip(SKIP_1) | instid1(VALU_DEP_3)
	v_cndmask_b32_e64 v18, v31, v18, s4
	s_and_b32 vcc_lo, s8, s7
	v_cndmask_b32_e32 v30, v7, v13, vcc_lo
	s_delay_alu instid0(VALU_DEP_3) | instskip(NEXT) | instid1(VALU_DEP_3)
	v_mul_f64 v[9:10], v[9:10], 0.5
	v_cndmask_b32_e32 v29, v18, v11, vcc_lo
.LBB192_94:                             ;   in Loop: Header=BB192_5 Depth=1
	s_and_not1_saveexec_b32 s4, s6
	s_cbranch_execz .LBB192_96
; %bb.95:                               ;   in Loop: Header=BB192_5 Depth=1
	v_max_f64 v[9:10], |v[15:16]|, |v[15:16]|
	v_max_f64 v[29:30], |v[13:14]|, |v[13:14]|
	s_mov_b32 s12, s82
	v_cmp_class_f64_e64 s6, v[15:16], 0x204
	v_cmp_class_f64_e64 s7, v[13:14], 0x204
	v_cmp_eq_f64_e64 s3, 0, v[15:16]
	v_ashrrev_i32_e32 v7, 31, v14
	v_max_f64 v[31:32], v[29:30], v[9:10]
	v_min_f64 v[9:10], v[29:30], v[9:10]
	s_delay_alu instid0(VALU_DEP_1) | instskip(SKIP_1) | instid1(VALU_DEP_2)
	v_div_scale_f64 v[29:30], null, v[31:32], v[31:32], v[9:10]
	v_div_scale_f64 v[39:40], vcc_lo, v[9:10], v[31:32], v[9:10]
	v_rcp_f64_e32 v[35:36], v[29:30]
	s_waitcnt_depctr 0xfff
	v_fma_f64 v[37:38], -v[29:30], v[35:36], 1.0
	s_delay_alu instid0(VALU_DEP_1) | instskip(NEXT) | instid1(VALU_DEP_1)
	v_fma_f64 v[35:36], v[35:36], v[37:38], v[35:36]
	v_fma_f64 v[37:38], -v[29:30], v[35:36], 1.0
	s_delay_alu instid0(VALU_DEP_1) | instskip(NEXT) | instid1(VALU_DEP_1)
	v_fma_f64 v[35:36], v[35:36], v[37:38], v[35:36]
	v_mul_f64 v[37:38], v[39:40], v[35:36]
	s_delay_alu instid0(VALU_DEP_1) | instskip(NEXT) | instid1(VALU_DEP_1)
	v_fma_f64 v[29:30], -v[29:30], v[37:38], v[39:40]
	v_div_fmas_f64 v[29:30], v[29:30], v[35:36], v[37:38]
	v_cmp_gt_i32_e32 vcc_lo, 0, v14
	v_cndmask_b32_e32 v13, 0x3fe921fb, v56, vcc_lo
	v_cndmask_b32_e32 v18, 0x54442d18, v55, vcc_lo
	s_delay_alu instid0(VALU_DEP_2) | instskip(SKIP_1) | instid1(VALU_DEP_1)
	v_bfi_b32 v13, 0x7fffffff, v13, v16
	v_div_fixup_f64 v[9:10], v[29:30], v[31:32], v[9:10]
	v_mul_f64 v[29:30], v[9:10], v[9:10]
	s_delay_alu instid0(VALU_DEP_1) | instskip(NEXT) | instid1(VALU_DEP_1)
	v_fma_f64 v[31:32], v[29:30], s[44:45], s[42:43]
	v_fma_f64 v[31:32], v[29:30], v[31:32], s[46:47]
	s_delay_alu instid0(VALU_DEP_1) | instskip(NEXT) | instid1(VALU_DEP_1)
	v_fma_f64 v[31:32], v[29:30], v[31:32], s[48:49]
	v_fma_f64 v[31:32], v[29:30], v[31:32], s[50:51]
	;; [unrolled: 3-line block ×9, first 2 shown]
	s_delay_alu instid0(VALU_DEP_1) | instskip(NEXT) | instid1(VALU_DEP_1)
	v_fma_f64 v[31:32], v[29:30], v[31:32], s[80:81]
	v_mul_f64 v[29:30], v[29:30], v[31:32]
	v_mul_f64 v[31:32], v[33:34], 0.5
	s_delay_alu instid0(VALU_DEP_2) | instskip(NEXT) | instid1(VALU_DEP_1)
	v_fma_f64 v[9:10], v[9:10], v[29:30], v[9:10]
	v_add_f64 v[29:30], -v[9:10], s[82:83]
	s_delay_alu instid0(VALU_DEP_1) | instskip(NEXT) | instid1(VALU_DEP_2)
	v_cndmask_b32_e64 v11, v10, v30, s2
	v_cndmask_b32_e64 v10, v9, v29, s2
	s_delay_alu instid0(VALU_DEP_1) | instskip(NEXT) | instid1(VALU_DEP_1)
	v_add_f64 v[29:30], -v[10:11], s[12:13]
	v_cndmask_b32_e32 v29, v10, v29, vcc_lo
	v_mul_f64 v[9:10], v[33:34], v[31:32]
	s_delay_alu instid0(VALU_DEP_3) | instskip(SKIP_3) | instid1(VALU_DEP_1)
	v_cndmask_b32_e32 v11, v11, v30, vcc_lo
	s_and_b32 vcc_lo, s7, s6
	v_and_b32_e32 v35, 0x54442d18, v7
	v_and_b32_e32 v7, 0x400921fb, v7
	v_cndmask_b32_e64 v7, v11, v7, s3
	s_delay_alu instid0(VALU_DEP_1) | instskip(NEXT) | instid1(VALU_DEP_4)
	v_cndmask_b32_e32 v30, v7, v13, vcc_lo
	v_cndmask_b32_e64 v14, v29, v35, s3
	s_delay_alu instid0(VALU_DEP_1)
	v_cndmask_b32_e32 v29, v14, v18, vcc_lo
.LBB192_96:                             ;   in Loop: Header=BB192_5 Depth=1
	s_or_b32 exec_lo, exec_lo, s4
.LBB192_97:                             ;   in Loop: Header=BB192_5 Depth=1
	s_delay_alu instid0(SALU_CYCLE_1)
	s_or_b32 exec_lo, exec_lo, s5
.LBB192_98:                             ;   in Loop: Header=BB192_5 Depth=1
	s_and_not1_saveexec_b32 s5, s98
	s_cbranch_execz .LBB192_100
; %bb.99:                               ;   in Loop: Header=BB192_5 Depth=1
	v_div_scale_f64 v[9:10], null, s[88:89], s[88:89], v[13:14]
	v_div_scale_f64 v[29:30], null, s[88:89], s[88:89], v[15:16]
	v_div_scale_f64 v[39:40], vcc_lo, v[13:14], s[88:89], v[13:14]
	v_max_f64 v[43:44], |v[13:14]|, |v[13:14]|
	s_mov_b32 s93, s23
	s_mov_b32 s12, s82
	s_delay_alu instid0(VALU_DEP_4) | instskip(NEXT) | instid1(VALU_DEP_3)
	v_rcp_f64_e32 v[31:32], v[9:10]
	v_rcp_f64_e32 v[33:34], v[29:30]
	s_waitcnt_depctr 0xfff
	v_fma_f64 v[35:36], -v[9:10], v[31:32], 1.0
	v_fma_f64 v[37:38], -v[29:30], v[33:34], 1.0
	s_delay_alu instid0(VALU_DEP_2) | instskip(NEXT) | instid1(VALU_DEP_2)
	v_fma_f64 v[31:32], v[31:32], v[35:36], v[31:32]
	v_fma_f64 v[33:34], v[33:34], v[37:38], v[33:34]
	s_delay_alu instid0(VALU_DEP_2) | instskip(NEXT) | instid1(VALU_DEP_2)
	v_fma_f64 v[35:36], -v[9:10], v[31:32], 1.0
	v_fma_f64 v[37:38], -v[29:30], v[33:34], 1.0
	s_delay_alu instid0(VALU_DEP_2) | instskip(SKIP_1) | instid1(VALU_DEP_3)
	v_fma_f64 v[31:32], v[31:32], v[35:36], v[31:32]
	v_div_scale_f64 v[35:36], s3, v[15:16], s[88:89], v[15:16]
	v_fma_f64 v[33:34], v[33:34], v[37:38], v[33:34]
	s_delay_alu instid0(VALU_DEP_3) | instskip(NEXT) | instid1(VALU_DEP_2)
	v_mul_f64 v[37:38], v[39:40], v[31:32]
	v_mul_f64 v[41:42], v[35:36], v[33:34]
	s_delay_alu instid0(VALU_DEP_2) | instskip(NEXT) | instid1(VALU_DEP_2)
	v_fma_f64 v[9:10], -v[9:10], v[37:38], v[39:40]
	v_fma_f64 v[29:30], -v[29:30], v[41:42], v[35:36]
	s_delay_alu instid0(VALU_DEP_2) | instskip(SKIP_1) | instid1(VALU_DEP_2)
	v_div_fmas_f64 v[9:10], v[9:10], v[31:32], v[37:38]
	s_mov_b32 vcc_lo, s3
	v_div_fmas_f64 v[29:30], v[29:30], v[33:34], v[41:42]
	s_delay_alu instid0(VALU_DEP_2) | instskip(NEXT) | instid1(VALU_DEP_2)
	v_div_fixup_f64 v[9:10], v[9:10], s[88:89], v[13:14]
	v_div_fixup_f64 v[29:30], v[29:30], s[88:89], v[15:16]
	s_delay_alu instid0(VALU_DEP_2) | instskip(NEXT) | instid1(VALU_DEP_2)
	v_cmp_class_f64_e64 s4, v[9:10], 0x204
	v_max_f64 v[31:32], |v[9:10]|, |v[29:30]|
	v_cmp_o_f64_e64 s3, v[9:10], v[29:30]
	v_cmp_class_f64_e64 s6, v[29:30], 0x204
	s_delay_alu instid0(VALU_DEP_3) | instskip(NEXT) | instid1(VALU_DEP_2)
	v_frexp_exp_i32_f64_e32 v7, v[31:32]
	s_or_b32 s6, s4, s6
	s_delay_alu instid0(VALU_DEP_1) | instskip(NEXT) | instid1(VALU_DEP_1)
	v_sub_nc_u32_e32 v11, 0, v7
	v_ldexp_f64 v[31:32], |v[29:30]|, v11
	v_ldexp_f64 v[33:34], |v[9:10]|, v11
	s_delay_alu instid0(VALU_DEP_2) | instskip(NEXT) | instid1(VALU_DEP_1)
	v_mul_f64 v[31:32], v[31:32], v[31:32]
	v_fma_f64 v[31:32], v[33:34], v[33:34], v[31:32]
	s_delay_alu instid0(VALU_DEP_1) | instskip(SKIP_4) | instid1(VALU_DEP_1)
	v_rsq_f64_e32 v[33:34], v[31:32]
	v_cmp_eq_f64_e32 vcc_lo, 0, v[31:32]
	s_waitcnt_depctr 0xfff
	v_mul_f64 v[35:36], v[31:32], v[33:34]
	v_mul_f64 v[33:34], v[33:34], 0.5
	v_fma_f64 v[37:38], -v[33:34], v[35:36], 0.5
	s_delay_alu instid0(VALU_DEP_1) | instskip(SKIP_1) | instid1(VALU_DEP_2)
	v_fma_f64 v[35:36], v[35:36], v[37:38], v[35:36]
	v_fma_f64 v[33:34], v[33:34], v[37:38], v[33:34]
	v_fma_f64 v[37:38], -v[35:36], v[35:36], v[31:32]
	s_delay_alu instid0(VALU_DEP_1) | instskip(NEXT) | instid1(VALU_DEP_1)
	v_fma_f64 v[33:34], v[37:38], v[33:34], v[35:36]
	v_dual_cndmask_b32 v32, v34, v32 :: v_dual_cndmask_b32 v31, v33, v31
	s_delay_alu instid0(VALU_DEP_1) | instskip(NEXT) | instid1(VALU_DEP_1)
	v_ldexp_f64 v[31:32], v[31:32], v7
	v_cndmask_b32_e64 v7, 0, v31, s3
	s_delay_alu instid0(VALU_DEP_2) | instskip(NEXT) | instid1(VALU_DEP_2)
	v_cndmask_b32_e64 v9, 0x7ff80000, v32, s3
	v_cndmask_b32_e64 v10, v7, 0, s6
	s_delay_alu instid0(VALU_DEP_2) | instskip(NEXT) | instid1(VALU_DEP_1)
	v_cndmask_b32_e64 v11, v9, 0x7ff00000, s6
	v_frexp_mant_f64_e32 v[29:30], v[10:11]
	s_delay_alu instid0(VALU_DEP_1) | instskip(NEXT) | instid1(VALU_DEP_1)
	v_cmp_gt_f64_e64 s4, s[22:23], v[29:30]
	v_cndmask_b32_e64 v18, 0x3ff00000, 2.0, s4
	s_delay_alu instid0(VALU_DEP_1) | instskip(SKIP_1) | instid1(VALU_DEP_2)
	v_mul_f64 v[29:30], v[29:30], v[17:18]
	v_frexp_exp_i32_f64_e32 v18, v[10:11]
	v_add_f64 v[33:34], v[29:30], 1.0
	v_add_f64 v[39:40], v[29:30], -1.0
	s_delay_alu instid0(VALU_DEP_2) | instskip(SKIP_1) | instid1(VALU_DEP_1)
	v_rcp_f64_e32 v[35:36], v[33:34]
	v_add_f64 v[45:46], v[33:34], -1.0
	v_add_f64 v[29:30], v[29:30], -v[45:46]
	s_waitcnt_depctr 0xfff
	v_fma_f64 v[37:38], -v[33:34], v[35:36], 1.0
	s_delay_alu instid0(VALU_DEP_1) | instskip(NEXT) | instid1(VALU_DEP_1)
	v_fma_f64 v[35:36], v[37:38], v[35:36], v[35:36]
	v_fma_f64 v[37:38], -v[33:34], v[35:36], 1.0
	s_delay_alu instid0(VALU_DEP_1) | instskip(SKIP_1) | instid1(VALU_DEP_2)
	v_fma_f64 v[35:36], v[37:38], v[35:36], v[35:36]
	v_max_f64 v[37:38], |v[15:16]|, |v[15:16]|
	v_mul_f64 v[41:42], v[39:40], v[35:36]
	s_delay_alu instid0(VALU_DEP_2) | instskip(SKIP_1) | instid1(VALU_DEP_3)
	v_max_f64 v[49:50], v[43:44], v[37:38]
	v_min_f64 v[37:38], v[43:44], v[37:38]
	v_mul_f64 v[47:48], v[33:34], v[41:42]
	s_delay_alu instid0(VALU_DEP_2) | instskip(NEXT) | instid1(VALU_DEP_2)
	v_div_scale_f64 v[43:44], null, v[49:50], v[49:50], v[37:38]
	v_fma_f64 v[33:34], v[41:42], v[33:34], -v[47:48]
	s_delay_alu instid0(VALU_DEP_1) | instskip(NEXT) | instid1(VALU_DEP_3)
	v_fma_f64 v[29:30], v[41:42], v[29:30], v[33:34]
	v_rcp_f64_e32 v[33:34], v[43:44]
	s_delay_alu instid0(VALU_DEP_1) | instskip(SKIP_4) | instid1(VALU_DEP_3)
	v_add_f64 v[45:46], v[47:48], v[29:30]
	s_waitcnt_depctr 0xfff
	v_fma_f64 v[51:52], -v[43:44], v[33:34], 1.0
	v_add_f64 v[53:54], v[39:40], -v[45:46]
	v_add_f64 v[47:48], v[45:46], -v[47:48]
	v_fma_f64 v[33:34], v[33:34], v[51:52], v[33:34]
	s_delay_alu instid0(VALU_DEP_3) | instskip(NEXT) | instid1(VALU_DEP_3)
	v_add_f64 v[39:40], v[39:40], -v[53:54]
	v_add_f64 v[29:30], v[47:48], -v[29:30]
	s_delay_alu instid0(VALU_DEP_3) | instskip(NEXT) | instid1(VALU_DEP_3)
	v_fma_f64 v[51:52], -v[43:44], v[33:34], 1.0
	v_add_f64 v[39:40], v[39:40], -v[45:46]
	v_div_scale_f64 v[45:46], vcc_lo, v[37:38], v[49:50], v[37:38]
	s_delay_alu instid0(VALU_DEP_3) | instskip(NEXT) | instid1(VALU_DEP_3)
	v_fma_f64 v[33:34], v[33:34], v[51:52], v[33:34]
	v_add_f64 v[29:30], v[29:30], v[39:40]
	s_delay_alu instid0(VALU_DEP_2) | instskip(NEXT) | instid1(VALU_DEP_2)
	v_mul_f64 v[39:40], v[45:46], v[33:34]
	v_add_f64 v[29:30], v[53:54], v[29:30]
	s_delay_alu instid0(VALU_DEP_2) | instskip(NEXT) | instid1(VALU_DEP_2)
	v_fma_f64 v[43:44], -v[43:44], v[39:40], v[45:46]
	v_mul_f64 v[29:30], v[35:36], v[29:30]
	s_delay_alu instid0(VALU_DEP_2) | instskip(SKIP_2) | instid1(VALU_DEP_4)
	v_div_fmas_f64 v[33:34], v[43:44], v[33:34], v[39:40]
	v_subrev_co_ci_u32_e64 v18, vcc_lo, 0, v18, s4
	v_cmp_class_f64_e64 s4, v[13:14], 0x204
	v_add_f64 v[35:36], v[41:42], v[29:30]
	s_delay_alu instid0(VALU_DEP_4) | instskip(NEXT) | instid1(VALU_DEP_2)
	v_div_fixup_f64 v[33:34], v[33:34], v[49:50], v[37:38]
	v_mul_f64 v[37:38], v[35:36], v[35:36]
	s_delay_alu instid0(VALU_DEP_2) | instskip(NEXT) | instid1(VALU_DEP_2)
	v_mul_f64 v[39:40], v[33:34], v[33:34]
	v_fma_f64 v[43:44], v[37:38], s[26:27], s[24:25]
	v_mul_f64 v[47:48], v[35:36], v[37:38]
	s_delay_alu instid0(VALU_DEP_3) | instskip(NEXT) | instid1(VALU_DEP_3)
	v_fma_f64 v[45:46], v[39:40], s[44:45], s[42:43]
	v_fma_f64 v[43:44], v[37:38], v[43:44], s[28:29]
	s_delay_alu instid0(VALU_DEP_2) | instskip(NEXT) | instid1(VALU_DEP_2)
	v_fma_f64 v[45:46], v[39:40], v[45:46], s[46:47]
	v_fma_f64 v[43:44], v[37:38], v[43:44], s[30:31]
	s_delay_alu instid0(VALU_DEP_2) | instskip(NEXT) | instid1(VALU_DEP_2)
	;; [unrolled: 3-line block ×4, first 2 shown]
	v_fma_f64 v[45:46], v[39:40], v[45:46], s[52:53]
	v_fma_f64 v[37:38], v[37:38], v[43:44], s[92:93]
	s_delay_alu instid0(VALU_DEP_2) | instskip(SKIP_2) | instid1(VALU_DEP_4)
	v_fma_f64 v[43:44], v[39:40], v[45:46], s[54:55]
	v_ldexp_f64 v[45:46], v[35:36], 1
	v_add_f64 v[35:36], v[35:36], -v[41:42]
	v_mul_f64 v[37:38], v[47:48], v[37:38]
	v_cvt_f64_i32_e32 v[47:48], v18
	v_ashrrev_i32_e32 v18, 31, v14
	v_fma_f64 v[43:44], v[39:40], v[43:44], s[56:57]
	v_add_f64 v[29:30], v[29:30], -v[35:36]
	v_add_f64 v[41:42], v[45:46], v[37:38]
	v_mul_f64 v[49:50], v[47:48], s[38:39]
	s_delay_alu instid0(VALU_DEP_4) | instskip(NEXT) | instid1(VALU_DEP_4)
	v_fma_f64 v[43:44], v[39:40], v[43:44], s[58:59]
	v_ldexp_f64 v[29:30], v[29:30], 1
	s_delay_alu instid0(VALU_DEP_4) | instskip(NEXT) | instid1(VALU_DEP_4)
	v_add_f64 v[35:36], v[41:42], -v[45:46]
	v_fma_f64 v[45:46], v[47:48], s[38:39], -v[49:50]
	s_delay_alu instid0(VALU_DEP_4) | instskip(NEXT) | instid1(VALU_DEP_3)
	v_fma_f64 v[43:44], v[39:40], v[43:44], s[60:61]
	v_add_f64 v[35:36], v[37:38], -v[35:36]
	s_delay_alu instid0(VALU_DEP_2) | instskip(NEXT) | instid1(VALU_DEP_4)
	v_fma_f64 v[37:38], v[39:40], v[43:44], s[62:63]
	v_fma_f64 v[43:44], v[47:48], s[40:41], v[45:46]
	s_delay_alu instid0(VALU_DEP_3) | instskip(NEXT) | instid1(VALU_DEP_3)
	v_add_f64 v[29:30], v[29:30], v[35:36]
	v_fma_f64 v[35:36], v[39:40], v[37:38], s[64:65]
	s_delay_alu instid0(VALU_DEP_3) | instskip(NEXT) | instid1(VALU_DEP_3)
	v_add_f64 v[37:38], v[49:50], v[43:44]
	v_add_f64 v[45:46], v[41:42], v[29:30]
	s_delay_alu instid0(VALU_DEP_3) | instskip(NEXT) | instid1(VALU_DEP_3)
	v_fma_f64 v[35:36], v[39:40], v[35:36], s[66:67]
	v_add_f64 v[49:50], v[37:38], -v[49:50]
	s_delay_alu instid0(VALU_DEP_3) | instskip(SKIP_1) | instid1(VALU_DEP_4)
	v_add_f64 v[47:48], v[37:38], v[45:46]
	v_add_f64 v[41:42], v[45:46], -v[41:42]
	v_fma_f64 v[35:36], v[39:40], v[35:36], s[68:69]
	s_delay_alu instid0(VALU_DEP_4) | instskip(NEXT) | instid1(VALU_DEP_4)
	v_add_f64 v[43:44], v[43:44], -v[49:50]
	v_add_f64 v[51:52], v[47:48], -v[37:38]
	s_delay_alu instid0(VALU_DEP_4) | instskip(NEXT) | instid1(VALU_DEP_4)
	v_add_f64 v[29:30], v[29:30], -v[41:42]
	v_fma_f64 v[35:36], v[39:40], v[35:36], s[70:71]
	s_delay_alu instid0(VALU_DEP_3) | instskip(SKIP_1) | instid1(VALU_DEP_4)
	v_add_f64 v[53:54], v[47:48], -v[51:52]
	v_add_f64 v[41:42], v[45:46], -v[51:52]
	v_add_f64 v[45:46], v[43:44], v[29:30]
	s_delay_alu instid0(VALU_DEP_4) | instskip(NEXT) | instid1(VALU_DEP_4)
	v_fma_f64 v[35:36], v[39:40], v[35:36], s[72:73]
	v_add_f64 v[37:38], v[37:38], -v[53:54]
	s_delay_alu instid0(VALU_DEP_2) | instskip(NEXT) | instid1(VALU_DEP_2)
	v_fma_f64 v[35:36], v[39:40], v[35:36], s[74:75]
	v_add_f64 v[37:38], v[41:42], v[37:38]
	v_add_f64 v[41:42], v[45:46], -v[43:44]
	s_delay_alu instid0(VALU_DEP_3) | instskip(NEXT) | instid1(VALU_DEP_3)
	v_fma_f64 v[35:36], v[39:40], v[35:36], s[76:77]
	v_add_f64 v[37:38], v[45:46], v[37:38]
	s_delay_alu instid0(VALU_DEP_3) | instskip(SKIP_1) | instid1(VALU_DEP_4)
	v_add_f64 v[45:46], v[45:46], -v[41:42]
	v_add_f64 v[29:30], v[29:30], -v[41:42]
	v_fma_f64 v[35:36], v[39:40], v[35:36], s[78:79]
	s_delay_alu instid0(VALU_DEP_4) | instskip(NEXT) | instid1(VALU_DEP_4)
	v_add_f64 v[49:50], v[47:48], v[37:38]
	v_add_f64 v[41:42], v[43:44], -v[45:46]
	s_delay_alu instid0(VALU_DEP_3) | instskip(NEXT) | instid1(VALU_DEP_3)
	v_fma_f64 v[35:36], v[39:40], v[35:36], s[80:81]
	v_add_f64 v[43:44], v[49:50], -v[47:48]
	s_delay_alu instid0(VALU_DEP_3) | instskip(NEXT) | instid1(VALU_DEP_3)
	v_add_f64 v[29:30], v[29:30], v[41:42]
	v_mul_f64 v[35:36], v[39:40], v[35:36]
	s_delay_alu instid0(VALU_DEP_3) | instskip(NEXT) | instid1(VALU_DEP_2)
	v_add_f64 v[37:38], v[37:38], -v[43:44]
	v_fma_f64 v[33:34], v[33:34], v[35:36], v[33:34]
	s_delay_alu instid0(VALU_DEP_2) | instskip(NEXT) | instid1(VALU_DEP_2)
	v_add_f64 v[29:30], v[29:30], v[37:38]
	v_add_f64 v[35:36], -v[33:34], s[82:83]
	s_delay_alu instid0(VALU_DEP_2) | instskip(SKIP_1) | instid1(VALU_DEP_1)
	v_add_f64 v[29:30], v[49:50], v[29:30]
	v_and_b32_e32 v32, 0x7fffffff, v32
	v_cmp_eq_f64_e32 vcc_lo, 0x7ff00000, v[31:32]
	s_delay_alu instid0(VALU_DEP_4) | instskip(SKIP_2) | instid1(VALU_DEP_2)
	v_cndmask_b32_e64 v32, v34, v36, s2
	v_cndmask_b32_e64 v31, v33, v35, s2
	v_cmp_eq_f64_e64 s2, 0, v[15:16]
	v_add_f64 v[33:34], -v[31:32], s[12:13]
	s_and_b32 vcc_lo, s3, vcc_lo
	v_cmp_class_f64_e64 s3, v[15:16], 0x204
	v_dual_cndmask_b32 v29, v29, v7 :: v_dual_cndmask_b32 v30, v30, v9
	v_and_b32_e32 v9, 0x54442d18, v18
	v_cmp_gt_i32_e32 vcc_lo, 0, v14
	v_and_b32_e32 v14, 0x400921fb, v18
	s_delay_alu instid0(VALU_DEP_4) | instskip(SKIP_3) | instid1(VALU_DEP_3)
	v_add_f64 v[29:30], v[29:30], 1.0
	v_cndmask_b32_e32 v31, v31, v33, vcc_lo
	v_cndmask_b32_e32 v7, 0x54442d18, v55, vcc_lo
	;; [unrolled: 1-line block ×3, first 2 shown]
	v_cndmask_b32_e64 v31, v31, v9, s2
	v_cndmask_b32_e32 v18, v32, v34, vcc_lo
	v_cmp_ngt_f64_e32 vcc_lo, 0, v[10:11]
	s_delay_alu instid0(VALU_DEP_4) | instskip(NEXT) | instid1(VALU_DEP_3)
	v_bfi_b32 v13, 0x7fffffff, v13, v16
	v_cndmask_b32_e64 v9, v18, v14, s2
	v_cmp_nge_f64_e64 s2, 0, v[10:11]
	v_cndmask_b32_e64 v30, v30, 0x7ff00000, s6
	v_cndmask_b32_e64 v14, v29, 0, s6
	s_delay_alu instid0(VALU_DEP_2) | instskip(SKIP_2) | instid1(VALU_DEP_3)
	v_cndmask_b32_e32 v18, 0x7ff80000, v30, vcc_lo
	s_and_b32 vcc_lo, s4, s3
	v_dual_cndmask_b32 v29, v31, v7 :: v_dual_cndmask_b32 v30, v9, v13
	v_cndmask_b32_e64 v9, 0, v14, s2
	v_cmp_neq_f64_e64 s2, 0, v[10:11]
	s_delay_alu instid0(VALU_DEP_1)
	v_cndmask_b32_e64 v10, 0xfff00000, v18, s2
.LBB192_100:                            ;   in Loop: Header=BB192_5 Depth=1
	s_or_b32 exec_lo, exec_lo, s5
.LBB192_101:                            ;   in Loop: Header=BB192_5 Depth=1
	s_and_not1_saveexec_b32 s2, s97
	s_cbranch_execz .LBB192_107
; %bb.102:                              ;   in Loop: Header=BB192_5 Depth=1
	v_cmp_ngt_f64_e64 s3, 0x20000000, |v[13:14]|
	v_cmp_ngt_f64_e64 s4, 0x20000000, |v[15:16]|
                                        ; implicit-def: $vgpr10_vgpr11
	s_delay_alu instid0(VALU_DEP_1) | instskip(NEXT) | instid1(SALU_CYCLE_1)
	s_or_b32 s3, s3, s4
	s_and_saveexec_b32 s4, s3
	s_delay_alu instid0(SALU_CYCLE_1)
	s_xor_b32 s3, exec_lo, s4
; %bb.103:                              ;   in Loop: Header=BB192_5 Depth=1
	v_mul_f64 v[9:10], v[15:16], v[15:16]
	s_delay_alu instid0(VALU_DEP_1)
	v_fma_f64 v[10:11], v[13:14], v[13:14], v[9:10]
; %bb.104:                              ;   in Loop: Header=BB192_5 Depth=1
	s_and_not1_saveexec_b32 s3, s3
; %bb.105:                              ;   in Loop: Header=BB192_5 Depth=1
	v_mul_f64 v[9:10], v[15:16], 4.0
	v_mul_f64 v[13:14], v[13:14], 4.0
	s_delay_alu instid0(VALU_DEP_2) | instskip(NEXT) | instid1(VALU_DEP_1)
	v_mul_f64 v[9:10], v[9:10], v[9:10]
	v_fma_f64 v[9:10], v[13:14], v[13:14], v[9:10]
	s_delay_alu instid0(VALU_DEP_1)
	v_ldexp_f64 v[10:11], v[9:10], -4
; %bb.106:                              ;   in Loop: Header=BB192_5 Depth=1
	s_or_b32 exec_lo, exec_lo, s3
	s_delay_alu instid0(VALU_DEP_1) | instskip(SKIP_2) | instid1(VALU_DEP_2)
	v_frexp_mant_f64_e32 v[13:14], v[10:11]
	s_mov_b32 s93, s23
	v_frexp_exp_i32_f64_e32 v7, v[10:11]
	v_cmp_gt_f64_e32 vcc_lo, s[22:23], v[13:14]
	v_cndmask_b32_e64 v18, 0x3ff00000, 2.0, vcc_lo
	s_delay_alu instid0(VALU_DEP_3) | instskip(SKIP_1) | instid1(VALU_DEP_3)
	v_subrev_co_ci_u32_e32 v7, vcc_lo, 0, v7, vcc_lo
	v_cmp_class_f64_e64 vcc_lo, v[10:11], 0x204
	v_mul_f64 v[13:14], v[13:14], v[17:18]
	s_delay_alu instid0(VALU_DEP_1) | instskip(SKIP_1) | instid1(VALU_DEP_2)
	v_add_f64 v[29:30], v[13:14], 1.0
	v_add_f64 v[35:36], v[13:14], -1.0
	v_rcp_f64_e32 v[31:32], v[29:30]
	v_add_f64 v[37:38], v[29:30], -1.0
	s_delay_alu instid0(VALU_DEP_1) | instskip(SKIP_2) | instid1(VALU_DEP_1)
	v_add_f64 v[13:14], v[13:14], -v[37:38]
	s_waitcnt_depctr 0xfff
	v_fma_f64 v[33:34], -v[29:30], v[31:32], 1.0
	v_fma_f64 v[31:32], v[33:34], v[31:32], v[31:32]
	s_delay_alu instid0(VALU_DEP_1) | instskip(NEXT) | instid1(VALU_DEP_1)
	v_fma_f64 v[33:34], -v[29:30], v[31:32], 1.0
	v_fma_f64 v[31:32], v[33:34], v[31:32], v[31:32]
	s_delay_alu instid0(VALU_DEP_1) | instskip(NEXT) | instid1(VALU_DEP_1)
	v_mul_f64 v[33:34], v[35:36], v[31:32]
	v_mul_f64 v[39:40], v[29:30], v[33:34]
	s_delay_alu instid0(VALU_DEP_1) | instskip(NEXT) | instid1(VALU_DEP_1)
	v_fma_f64 v[29:30], v[33:34], v[29:30], -v[39:40]
	v_fma_f64 v[13:14], v[33:34], v[13:14], v[29:30]
	s_delay_alu instid0(VALU_DEP_1) | instskip(NEXT) | instid1(VALU_DEP_1)
	v_add_f64 v[29:30], v[39:40], v[13:14]
	v_add_f64 v[37:38], v[35:36], -v[29:30]
	v_add_f64 v[39:40], v[29:30], -v[39:40]
	s_delay_alu instid0(VALU_DEP_2) | instskip(NEXT) | instid1(VALU_DEP_2)
	v_add_f64 v[35:36], v[35:36], -v[37:38]
	v_add_f64 v[13:14], v[39:40], -v[13:14]
	s_delay_alu instid0(VALU_DEP_2) | instskip(NEXT) | instid1(VALU_DEP_1)
	v_add_f64 v[29:30], v[35:36], -v[29:30]
	v_add_f64 v[13:14], v[13:14], v[29:30]
	s_delay_alu instid0(VALU_DEP_1) | instskip(NEXT) | instid1(VALU_DEP_1)
	v_add_f64 v[13:14], v[37:38], v[13:14]
	v_mul_f64 v[13:14], v[31:32], v[13:14]
	s_delay_alu instid0(VALU_DEP_1) | instskip(NEXT) | instid1(VALU_DEP_1)
	v_add_f64 v[29:30], v[33:34], v[13:14]
	v_mul_f64 v[31:32], v[29:30], v[29:30]
	s_delay_alu instid0(VALU_DEP_1) | instskip(SKIP_1) | instid1(VALU_DEP_2)
	v_fma_f64 v[35:36], v[31:32], s[26:27], s[24:25]
	v_mul_f64 v[37:38], v[29:30], v[31:32]
	v_fma_f64 v[35:36], v[31:32], v[35:36], s[28:29]
	s_delay_alu instid0(VALU_DEP_1) | instskip(NEXT) | instid1(VALU_DEP_1)
	v_fma_f64 v[35:36], v[31:32], v[35:36], s[30:31]
	v_fma_f64 v[35:36], v[31:32], v[35:36], s[34:35]
	s_delay_alu instid0(VALU_DEP_1) | instskip(NEXT) | instid1(VALU_DEP_1)
	v_fma_f64 v[35:36], v[31:32], v[35:36], s[36:37]
	v_fma_f64 v[31:32], v[31:32], v[35:36], s[92:93]
	v_ldexp_f64 v[35:36], v[29:30], 1
	v_add_f64 v[29:30], v[29:30], -v[33:34]
	s_delay_alu instid0(VALU_DEP_3) | instskip(SKIP_1) | instid1(VALU_DEP_3)
	v_mul_f64 v[31:32], v[37:38], v[31:32]
	v_cvt_f64_i32_e32 v[37:38], v7
	v_add_f64 v[13:14], v[13:14], -v[29:30]
	s_delay_alu instid0(VALU_DEP_3) | instskip(NEXT) | instid1(VALU_DEP_3)
	v_add_f64 v[33:34], v[35:36], v[31:32]
	v_mul_f64 v[39:40], v[37:38], s[38:39]
	s_delay_alu instid0(VALU_DEP_3) | instskip(NEXT) | instid1(VALU_DEP_3)
	v_ldexp_f64 v[13:14], v[13:14], 1
	v_add_f64 v[29:30], v[33:34], -v[35:36]
	s_delay_alu instid0(VALU_DEP_3) | instskip(NEXT) | instid1(VALU_DEP_2)
	v_fma_f64 v[35:36], v[37:38], s[38:39], -v[39:40]
	v_add_f64 v[29:30], v[31:32], -v[29:30]
	s_delay_alu instid0(VALU_DEP_2) | instskip(NEXT) | instid1(VALU_DEP_2)
	v_fma_f64 v[31:32], v[37:38], s[40:41], v[35:36]
	v_add_f64 v[13:14], v[13:14], v[29:30]
	s_delay_alu instid0(VALU_DEP_2) | instskip(NEXT) | instid1(VALU_DEP_2)
	v_add_f64 v[29:30], v[39:40], v[31:32]
	v_add_f64 v[35:36], v[33:34], v[13:14]
	s_delay_alu instid0(VALU_DEP_2) | instskip(NEXT) | instid1(VALU_DEP_2)
	v_add_f64 v[39:40], v[29:30], -v[39:40]
	v_add_f64 v[37:38], v[29:30], v[35:36]
	v_add_f64 v[33:34], v[35:36], -v[33:34]
	s_delay_alu instid0(VALU_DEP_3) | instskip(NEXT) | instid1(VALU_DEP_3)
	v_add_f64 v[31:32], v[31:32], -v[39:40]
	v_add_f64 v[41:42], v[37:38], -v[29:30]
	s_delay_alu instid0(VALU_DEP_3) | instskip(NEXT) | instid1(VALU_DEP_2)
	v_add_f64 v[13:14], v[13:14], -v[33:34]
	v_add_f64 v[43:44], v[37:38], -v[41:42]
	;; [unrolled: 1-line block ×3, first 2 shown]
	s_delay_alu instid0(VALU_DEP_3) | instskip(NEXT) | instid1(VALU_DEP_3)
	v_add_f64 v[35:36], v[31:32], v[13:14]
	v_add_f64 v[29:30], v[29:30], -v[43:44]
	s_delay_alu instid0(VALU_DEP_1) | instskip(NEXT) | instid1(VALU_DEP_3)
	v_add_f64 v[29:30], v[33:34], v[29:30]
	v_add_f64 v[33:34], v[35:36], -v[31:32]
	s_delay_alu instid0(VALU_DEP_2) | instskip(NEXT) | instid1(VALU_DEP_2)
	v_add_f64 v[29:30], v[35:36], v[29:30]
	v_add_f64 v[35:36], v[35:36], -v[33:34]
	v_add_f64 v[13:14], v[13:14], -v[33:34]
	s_delay_alu instid0(VALU_DEP_3) | instskip(NEXT) | instid1(VALU_DEP_3)
	v_add_f64 v[39:40], v[37:38], v[29:30]
	v_add_f64 v[31:32], v[31:32], -v[35:36]
	s_delay_alu instid0(VALU_DEP_2) | instskip(NEXT) | instid1(VALU_DEP_2)
	v_add_f64 v[33:34], v[39:40], -v[37:38]
	v_add_f64 v[13:14], v[13:14], v[31:32]
	s_delay_alu instid0(VALU_DEP_2) | instskip(NEXT) | instid1(VALU_DEP_1)
	v_add_f64 v[29:30], v[29:30], -v[33:34]
	v_add_f64 v[13:14], v[13:14], v[29:30]
	s_delay_alu instid0(VALU_DEP_1) | instskip(NEXT) | instid1(VALU_DEP_1)
	v_add_f64 v[13:14], v[39:40], v[13:14]
	v_cndmask_b32_e32 v7, v13, v10, vcc_lo
	s_delay_alu instid0(VALU_DEP_2) | instskip(SKIP_1) | instid1(VALU_DEP_2)
	v_cndmask_b32_e32 v9, v14, v11, vcc_lo
	v_cmp_ngt_f64_e32 vcc_lo, 0, v[10:11]
	v_cndmask_b32_e32 v13, 0x7ff80000, v9, vcc_lo
	v_cmp_nge_f64_e32 vcc_lo, 0, v[10:11]
	v_mov_b32_e32 v29, 0
	v_dual_mov_b32 v30, 0x7ff80000 :: v_dual_cndmask_b32 v9, 0, v7
	v_cmp_neq_f64_e32 vcc_lo, 0, v[10:11]
	v_cndmask_b32_e32 v10, 0xfff00000, v13, vcc_lo
.LBB192_107:                            ;   in Loop: Header=BB192_5 Depth=1
	s_or_b32 exec_lo, exec_lo, s2
                                        ; implicit-def: $vgpr13_vgpr14
                                        ; implicit-def: $vgpr31_vgpr32
	s_delay_alu instid0(SALU_CYCLE_1)
	s_mov_b32 s2, exec_lo
	v_cmpx_o_f64_e32 v[1:2], v[3:4]
	s_xor_b32 s97, exec_lo, s2
	s_cbranch_execz .LBB192_135
; %bb.108:                              ;   in Loop: Header=BB192_5 Depth=1
	v_cmp_lt_f64_e64 s2, |v[1:2]|, |v[3:4]|
	v_and_b32_e32 v7, 0x7fffffff, v2
	v_and_b32_e32 v11, 0x7fffffff, v4
	v_mov_b32_e32 v15, v3
                                        ; implicit-def: $vgpr13_vgpr14
                                        ; implicit-def: $vgpr31_vgpr32
	s_mov_b32 s3, exec_lo
	s_delay_alu instid0(VALU_DEP_2) | instskip(NEXT) | instid1(VALU_DEP_2)
	v_cndmask_b32_e64 v36, v11, v7, s2
	v_cndmask_b32_e64 v35, v15, v1, s2
	s_delay_alu instid0(VALU_DEP_1)
	v_cmpx_nlt_f64_e32 s[14:15], v[35:36]
	s_xor_b32 s98, exec_lo, s3
	s_cbranch_execz .LBB192_132
; %bb.109:                              ;   in Loop: Header=BB192_5 Depth=1
	v_cndmask_b32_e64 v38, v7, v11, s2
	v_cndmask_b32_e64 v37, v1, v15, s2
                                        ; implicit-def: $vgpr13_vgpr14
                                        ; implicit-def: $vgpr31_vgpr32
	s_mov_b32 s3, exec_lo
	s_delay_alu instid0(VALU_DEP_1)
	v_cmpx_neq_f64_e32 1.0, v[37:38]
	s_xor_b32 s99, exec_lo, s3
	s_cbranch_execz .LBB192_125
; %bb.110:                              ;   in Loop: Header=BB192_5 Depth=1
	v_max_f64 v[13:14], v[35:36], v[35:36]
	v_max_f64 v[31:32], v[37:38], v[37:38]
	s_delay_alu instid0(VALU_DEP_1) | instskip(SKIP_1) | instid1(VALU_DEP_2)
	v_min_f64 v[33:34], v[31:32], v[13:14]
	v_max_f64 v[13:14], v[31:32], v[13:14]
                                        ; implicit-def: $vgpr31_vgpr32
	v_cmp_ngt_f64_e32 vcc_lo, s[18:19], v[33:34]
	s_delay_alu instid0(VALU_DEP_2) | instskip(NEXT) | instid1(VALU_DEP_1)
	v_cmp_nlt_f64_e64 s3, s[20:21], v[13:14]
                                        ; implicit-def: $vgpr13_vgpr14
	s_and_b32 s3, s3, vcc_lo
	s_delay_alu instid0(SALU_CYCLE_1) | instskip(NEXT) | instid1(SALU_CYCLE_1)
	s_and_saveexec_b32 s4, s3
	s_xor_b32 s103, exec_lo, s4
	s_cbranch_execz .LBB192_122
; %bb.111:                              ;   in Loop: Header=BB192_5 Depth=1
                                        ; implicit-def: $vgpr13_vgpr14
                                        ; implicit-def: $vgpr31_vgpr32
	s_mov_b32 s3, exec_lo
	v_cmpx_le_f64_e32 1.0, v[37:38]
	s_xor_b32 s4, exec_lo, s3
	s_cbranch_execz .LBB192_113
; %bb.112:                              ;   in Loop: Header=BB192_5 Depth=1
	v_add_f64 v[13:14], v[37:38], -1.0
	v_add_f64 v[31:32], v[37:38], 1.0
	s_mov_b32 s93, s23
	s_mov_b32 s12, s82
	v_cmp_gt_i32_e64 s3, 0, v2
	v_cmp_class_f64_e64 s6, v[1:2], 0x204
	v_cmp_class_f64_e64 s5, v[3:4], 0x204
	s_delay_alu instid0(VALU_DEP_4) | instskip(NEXT) | instid1(VALU_DEP_1)
	v_mul_f64 v[13:14], v[13:14], v[31:32]
	v_fma_f64 v[14:15], v[35:36], v[35:36], v[13:14]
	s_delay_alu instid0(VALU_DEP_1) | instskip(NEXT) | instid1(VALU_DEP_1)
	v_add_f64 v[31:32], v[14:15], 1.0
	v_frexp_mant_f64_e32 v[33:34], v[31:32]
	v_frexp_exp_i32_f64_e32 v7, v[31:32]
	v_add_f64 v[35:36], v[31:32], -1.0
	s_delay_alu instid0(VALU_DEP_3) | instskip(NEXT) | instid1(VALU_DEP_2)
	v_cmp_gt_f64_e32 vcc_lo, s[22:23], v[33:34]
	v_add_f64 v[33:34], v[35:36], -v[31:32]
	v_add_f64 v[35:36], v[14:15], -v[35:36]
	v_subrev_co_ci_u32_e32 v7, vcc_lo, 0, v7, vcc_lo
	s_delay_alu instid0(VALU_DEP_3) | instskip(NEXT) | instid1(VALU_DEP_2)
	v_add_f64 v[33:34], v[33:34], 1.0
	v_sub_nc_u32_e32 v11, 0, v7
	s_delay_alu instid0(VALU_DEP_1) | instskip(NEXT) | instid1(VALU_DEP_3)
	v_ldexp_f64 v[31:32], v[31:32], v11
	v_add_f64 v[33:34], v[35:36], v[33:34]
	s_delay_alu instid0(VALU_DEP_2) | instskip(SKIP_1) | instid1(VALU_DEP_3)
	v_add_f64 v[37:38], v[31:32], 1.0
	v_add_f64 v[43:44], v[31:32], -1.0
	v_ldexp_f64 v[33:34], v[33:34], v11
	v_cndmask_b32_e64 v11, 0x54442d18, v55, s3
	s_delay_alu instid0(VALU_DEP_4) | instskip(NEXT) | instid1(VALU_DEP_4)
	v_add_f64 v[35:36], v[37:38], -1.0
	v_add_f64 v[45:46], v[43:44], 1.0
	s_delay_alu instid0(VALU_DEP_2) | instskip(NEXT) | instid1(VALU_DEP_2)
	v_add_f64 v[35:36], v[31:32], -v[35:36]
	v_add_f64 v[31:32], v[31:32], -v[45:46]
	s_delay_alu instid0(VALU_DEP_2) | instskip(NEXT) | instid1(VALU_DEP_2)
	v_add_f64 v[35:36], v[33:34], v[35:36]
	v_add_f64 v[31:32], v[33:34], v[31:32]
	s_delay_alu instid0(VALU_DEP_2) | instskip(NEXT) | instid1(VALU_DEP_2)
	v_add_f64 v[39:40], v[37:38], v[35:36]
	v_add_f64 v[45:46], v[43:44], v[31:32]
	s_delay_alu instid0(VALU_DEP_2) | instskip(SKIP_1) | instid1(VALU_DEP_2)
	v_rcp_f64_e32 v[41:42], v[39:40]
	v_add_f64 v[37:38], v[39:40], -v[37:38]
	v_add_f64 v[43:44], v[45:46], -v[43:44]
	s_delay_alu instid0(VALU_DEP_2) | instskip(SKIP_3) | instid1(VALU_DEP_2)
	v_add_f64 v[35:36], v[35:36], -v[37:38]
	s_waitcnt_depctr 0xfff
	v_fma_f64 v[47:48], -v[39:40], v[41:42], 1.0
	v_add_f64 v[31:32], v[31:32], -v[43:44]
	v_fma_f64 v[41:42], v[47:48], v[41:42], v[41:42]
	s_delay_alu instid0(VALU_DEP_1) | instskip(NEXT) | instid1(VALU_DEP_1)
	v_fma_f64 v[33:34], -v[39:40], v[41:42], 1.0
	v_fma_f64 v[33:34], v[33:34], v[41:42], v[41:42]
	s_delay_alu instid0(VALU_DEP_1) | instskip(NEXT) | instid1(VALU_DEP_1)
	v_mul_f64 v[41:42], v[45:46], v[33:34]
	v_mul_f64 v[47:48], v[39:40], v[41:42]
	s_delay_alu instid0(VALU_DEP_1) | instskip(NEXT) | instid1(VALU_DEP_1)
	v_fma_f64 v[37:38], v[41:42], v[39:40], -v[47:48]
	v_fma_f64 v[37:38], v[41:42], v[35:36], v[37:38]
	s_delay_alu instid0(VALU_DEP_1) | instskip(NEXT) | instid1(VALU_DEP_1)
	v_add_f64 v[49:50], v[47:48], v[37:38]
	v_add_f64 v[51:52], v[45:46], -v[49:50]
	v_add_f64 v[43:44], v[49:50], -v[47:48]
	v_max_f64 v[47:48], |v[3:4]|, |v[3:4]|
	s_delay_alu instid0(VALU_DEP_3) | instskip(NEXT) | instid1(VALU_DEP_3)
	v_add_f64 v[45:46], v[45:46], -v[51:52]
	v_add_f64 v[37:38], v[43:44], -v[37:38]
	s_delay_alu instid0(VALU_DEP_2) | instskip(SKIP_2) | instid1(VALU_DEP_1)
	v_add_f64 v[45:46], v[45:46], -v[49:50]
	v_max_f64 v[49:50], |v[1:2]|, |v[1:2]|
	v_cndmask_b32_e64 v1, 0x3fe921fb, v56, s3
	v_bfi_b32 v1, 0x7fffffff, v1, v4
	s_delay_alu instid0(VALU_DEP_4) | instskip(NEXT) | instid1(VALU_DEP_4)
	v_add_f64 v[31:32], v[31:32], v[45:46]
	v_max_f64 v[53:54], v[49:50], v[47:48]
	v_min_f64 v[47:48], v[49:50], v[47:48]
	s_delay_alu instid0(VALU_DEP_3) | instskip(NEXT) | instid1(VALU_DEP_1)
	v_add_f64 v[31:32], v[37:38], v[31:32]
	v_add_f64 v[37:38], v[51:52], v[31:32]
	s_delay_alu instid0(VALU_DEP_1) | instskip(SKIP_1) | instid1(VALU_DEP_2)
	v_mul_f64 v[43:44], v[33:34], v[37:38]
	v_add_f64 v[51:52], v[51:52], -v[37:38]
	v_mul_f64 v[45:46], v[39:40], v[43:44]
	s_delay_alu instid0(VALU_DEP_2) | instskip(NEXT) | instid1(VALU_DEP_2)
	v_add_f64 v[31:32], v[31:32], v[51:52]
	v_fma_f64 v[39:40], v[43:44], v[39:40], -v[45:46]
	s_delay_alu instid0(VALU_DEP_1) | instskip(SKIP_1) | instid1(VALU_DEP_2)
	v_fma_f64 v[35:36], v[43:44], v[35:36], v[39:40]
	v_div_scale_f64 v[39:40], null, v[53:54], v[53:54], v[47:48]
	v_add_f64 v[49:50], v[45:46], v[35:36]
	s_delay_alu instid0(VALU_DEP_2) | instskip(NEXT) | instid1(VALU_DEP_1)
	v_rcp_f64_e32 v[57:58], v[39:40]
	v_add_f64 v[59:60], v[37:38], -v[49:50]
	v_add_f64 v[45:46], v[49:50], -v[45:46]
	s_waitcnt_depctr 0xfff
	v_fma_f64 v[61:62], -v[39:40], v[57:58], 1.0
	v_add_f64 v[37:38], v[37:38], -v[59:60]
	v_add_f64 v[35:36], v[45:46], -v[35:36]
	s_delay_alu instid0(VALU_DEP_3) | instskip(NEXT) | instid1(VALU_DEP_3)
	v_fma_f64 v[57:58], v[57:58], v[61:62], v[57:58]
	v_add_f64 v[37:38], v[37:38], -v[49:50]
	s_delay_alu instid0(VALU_DEP_2) | instskip(NEXT) | instid1(VALU_DEP_2)
	v_fma_f64 v[49:50], -v[39:40], v[57:58], 1.0
	v_add_f64 v[31:32], v[31:32], v[37:38]
	v_div_scale_f64 v[37:38], vcc_lo, v[47:48], v[53:54], v[47:48]
	s_delay_alu instid0(VALU_DEP_3) | instskip(SKIP_1) | instid1(VALU_DEP_4)
	v_fma_f64 v[45:46], v[57:58], v[49:50], v[57:58]
	v_add_f64 v[49:50], v[41:42], v[43:44]
	v_add_f64 v[31:32], v[35:36], v[31:32]
	s_delay_alu instid0(VALU_DEP_3) | instskip(NEXT) | instid1(VALU_DEP_3)
	v_mul_f64 v[35:36], v[37:38], v[45:46]
	v_add_f64 v[41:42], v[49:50], -v[41:42]
	s_delay_alu instid0(VALU_DEP_3) | instskip(NEXT) | instid1(VALU_DEP_3)
	v_add_f64 v[31:32], v[59:60], v[31:32]
	v_fma_f64 v[37:38], -v[39:40], v[35:36], v[37:38]
	s_delay_alu instid0(VALU_DEP_3) | instskip(NEXT) | instid1(VALU_DEP_3)
	v_add_f64 v[39:40], v[43:44], -v[41:42]
	v_mul_f64 v[31:32], v[33:34], v[31:32]
	s_delay_alu instid0(VALU_DEP_3) | instskip(SKIP_1) | instid1(VALU_DEP_3)
	v_div_fmas_f64 v[33:34], v[37:38], v[45:46], v[35:36]
	v_cmp_eq_f64_e32 vcc_lo, 0x7ff00000, v[14:15]
	v_add_f64 v[31:32], v[39:40], v[31:32]
	s_delay_alu instid0(VALU_DEP_3) | instskip(NEXT) | instid1(VALU_DEP_2)
	v_div_fixup_f64 v[33:34], v[33:34], v[53:54], v[47:48]
	v_add_f64 v[35:36], v[49:50], v[31:32]
	s_delay_alu instid0(VALU_DEP_2) | instskip(NEXT) | instid1(VALU_DEP_2)
	v_mul_f64 v[37:38], v[33:34], v[33:34]
	v_mul_f64 v[39:40], v[35:36], v[35:36]
	s_delay_alu instid0(VALU_DEP_2) | instskip(NEXT) | instid1(VALU_DEP_2)
	v_fma_f64 v[41:42], v[37:38], s[44:45], s[42:43]
	v_fma_f64 v[43:44], v[39:40], s[26:27], s[24:25]
	v_mul_f64 v[45:46], v[35:36], v[39:40]
	s_delay_alu instid0(VALU_DEP_3) | instskip(NEXT) | instid1(VALU_DEP_3)
	v_fma_f64 v[41:42], v[37:38], v[41:42], s[46:47]
	v_fma_f64 v[43:44], v[39:40], v[43:44], s[28:29]
	s_delay_alu instid0(VALU_DEP_2) | instskip(NEXT) | instid1(VALU_DEP_2)
	v_fma_f64 v[41:42], v[37:38], v[41:42], s[48:49]
	v_fma_f64 v[43:44], v[39:40], v[43:44], s[30:31]
	s_delay_alu instid0(VALU_DEP_2) | instskip(NEXT) | instid1(VALU_DEP_2)
	;; [unrolled: 3-line block ×4, first 2 shown]
	v_fma_f64 v[41:42], v[37:38], v[41:42], s[54:55]
	v_fma_f64 v[39:40], v[39:40], v[43:44], s[92:93]
	v_ldexp_f64 v[43:44], v[35:36], 1
	v_add_f64 v[35:36], v[35:36], -v[49:50]
	s_delay_alu instid0(VALU_DEP_4) | instskip(NEXT) | instid1(VALU_DEP_4)
	v_fma_f64 v[41:42], v[37:38], v[41:42], s[56:57]
	v_mul_f64 v[39:40], v[45:46], v[39:40]
	v_cvt_f64_i32_e32 v[45:46], v7
	s_delay_alu instid0(VALU_DEP_4) | instskip(NEXT) | instid1(VALU_DEP_4)
	v_add_f64 v[31:32], v[31:32], -v[35:36]
	v_fma_f64 v[41:42], v[37:38], v[41:42], s[58:59]
	v_ashrrev_i32_e32 v7, 31, v2
	s_delay_alu instid0(VALU_DEP_1) | instskip(SKIP_4) | instid1(VALU_DEP_4)
	v_and_b32_e32 v2, 0x400921fb, v7
	v_add_f64 v[47:48], v[43:44], v[39:40]
	v_mul_f64 v[49:50], v[45:46], s[38:39]
	v_ldexp_f64 v[31:32], v[31:32], 1
	v_fma_f64 v[41:42], v[37:38], v[41:42], s[60:61]
	v_add_f64 v[35:36], v[47:48], -v[43:44]
	s_delay_alu instid0(VALU_DEP_4) | instskip(NEXT) | instid1(VALU_DEP_3)
	v_fma_f64 v[43:44], v[45:46], s[38:39], -v[49:50]
	v_fma_f64 v[41:42], v[37:38], v[41:42], s[62:63]
	s_delay_alu instid0(VALU_DEP_3) | instskip(NEXT) | instid1(VALU_DEP_2)
	v_add_f64 v[35:36], v[39:40], -v[35:36]
	v_fma_f64 v[39:40], v[37:38], v[41:42], s[64:65]
	s_delay_alu instid0(VALU_DEP_4) | instskip(NEXT) | instid1(VALU_DEP_3)
	v_fma_f64 v[41:42], v[45:46], s[40:41], v[43:44]
	v_add_f64 v[31:32], v[31:32], v[35:36]
	s_delay_alu instid0(VALU_DEP_3) | instskip(NEXT) | instid1(VALU_DEP_3)
	v_fma_f64 v[35:36], v[37:38], v[39:40], s[66:67]
	v_add_f64 v[39:40], v[49:50], v[41:42]
	s_delay_alu instid0(VALU_DEP_3) | instskip(NEXT) | instid1(VALU_DEP_3)
	v_add_f64 v[43:44], v[47:48], v[31:32]
	v_fma_f64 v[35:36], v[37:38], v[35:36], s[68:69]
	s_delay_alu instid0(VALU_DEP_3) | instskip(NEXT) | instid1(VALU_DEP_3)
	v_add_f64 v[49:50], v[39:40], -v[49:50]
	v_add_f64 v[45:46], v[39:40], v[43:44]
	v_add_f64 v[47:48], v[43:44], -v[47:48]
	s_delay_alu instid0(VALU_DEP_4) | instskip(NEXT) | instid1(VALU_DEP_4)
	v_fma_f64 v[35:36], v[37:38], v[35:36], s[70:71]
	v_add_f64 v[41:42], v[41:42], -v[49:50]
	s_delay_alu instid0(VALU_DEP_4) | instskip(NEXT) | instid1(VALU_DEP_4)
	v_add_f64 v[51:52], v[45:46], -v[39:40]
	v_add_f64 v[31:32], v[31:32], -v[47:48]
	s_delay_alu instid0(VALU_DEP_4) | instskip(NEXT) | instid1(VALU_DEP_3)
	v_fma_f64 v[35:36], v[37:38], v[35:36], s[72:73]
	v_add_f64 v[53:54], v[45:46], -v[51:52]
	v_add_f64 v[43:44], v[43:44], -v[51:52]
	s_delay_alu instid0(VALU_DEP_4) | instskip(NEXT) | instid1(VALU_DEP_4)
	v_add_f64 v[47:48], v[41:42], v[31:32]
	v_fma_f64 v[35:36], v[37:38], v[35:36], s[74:75]
	s_delay_alu instid0(VALU_DEP_4) | instskip(NEXT) | instid1(VALU_DEP_2)
	v_add_f64 v[39:40], v[39:40], -v[53:54]
	v_fma_f64 v[35:36], v[37:38], v[35:36], s[76:77]
	s_delay_alu instid0(VALU_DEP_2) | instskip(SKIP_1) | instid1(VALU_DEP_3)
	v_add_f64 v[39:40], v[43:44], v[39:40]
	v_add_f64 v[43:44], v[47:48], -v[41:42]
	v_fma_f64 v[35:36], v[37:38], v[35:36], s[78:79]
	s_delay_alu instid0(VALU_DEP_3) | instskip(NEXT) | instid1(VALU_DEP_3)
	v_add_f64 v[39:40], v[47:48], v[39:40]
	v_add_f64 v[47:48], v[47:48], -v[43:44]
	v_add_f64 v[31:32], v[31:32], -v[43:44]
	s_delay_alu instid0(VALU_DEP_4) | instskip(NEXT) | instid1(VALU_DEP_4)
	v_fma_f64 v[35:36], v[37:38], v[35:36], s[80:81]
	v_add_f64 v[49:50], v[45:46], v[39:40]
	s_delay_alu instid0(VALU_DEP_2) | instskip(SKIP_1) | instid1(VALU_DEP_3)
	v_mul_f64 v[35:36], v[37:38], v[35:36]
	v_add_f64 v[37:38], v[41:42], -v[47:48]
	v_add_f64 v[41:42], v[49:50], -v[45:46]
	s_delay_alu instid0(VALU_DEP_3) | instskip(NEXT) | instid1(VALU_DEP_3)
	v_fma_f64 v[33:34], v[33:34], v[35:36], v[33:34]
	v_add_f64 v[31:32], v[31:32], v[37:38]
	s_delay_alu instid0(VALU_DEP_3) | instskip(NEXT) | instid1(VALU_DEP_3)
	v_add_f64 v[35:36], v[39:40], -v[41:42]
	v_add_f64 v[37:38], -v[33:34], s[82:83]
	s_delay_alu instid0(VALU_DEP_2) | instskip(NEXT) | instid1(VALU_DEP_2)
	v_add_f64 v[31:32], v[31:32], v[35:36]
	v_cndmask_b32_e64 v34, v34, v38, s2
	s_delay_alu instid0(VALU_DEP_3) | instskip(NEXT) | instid1(VALU_DEP_1)
	v_cndmask_b32_e64 v33, v33, v37, s2
                                        ; implicit-def: $vgpr37_vgpr38
	v_add_f64 v[35:36], -v[33:34], s[12:13]
	s_delay_alu instid0(VALU_DEP_4) | instskip(NEXT) | instid1(VALU_DEP_2)
	v_add_f64 v[31:32], v[49:50], v[31:32]
	v_cndmask_b32_e64 v18, v33, v35, s3
	s_delay_alu instid0(VALU_DEP_2)
	v_dual_cndmask_b32 v32, v32, v15 :: v_dual_cndmask_b32 v31, v31, v14
	v_cmp_eq_f64_e32 vcc_lo, 0, v[3:4]
	v_and_b32_e32 v13, 0x54442d18, v7
	v_cndmask_b32_e64 v7, v34, v36, s3
	v_cmp_nge_f64_e64 s3, -1.0, v[14:15]
	v_mul_f64 v[31:32], v[31:32], 0.5
                                        ; implicit-def: $vgpr35_vgpr36
	s_delay_alu instid0(VALU_DEP_3) | instskip(SKIP_2) | instid1(VALU_DEP_4)
	v_cndmask_b32_e32 v2, v7, v2, vcc_lo
	v_cndmask_b32_e32 v18, v18, v13, vcc_lo
	v_cmp_ngt_f64_e32 vcc_lo, -1.0, v[14:15]
	v_cndmask_b32_e64 v13, 0, v31, s3
	v_cmp_neq_f64_e64 s3, -1.0, v[14:15]
	v_cndmask_b32_e32 v7, 0x7ff80000, v32, vcc_lo
	s_and_b32 vcc_lo, s6, s5
	v_cndmask_b32_e32 v32, v2, v1, vcc_lo
	v_cndmask_b32_e32 v31, v18, v11, vcc_lo
	s_delay_alu instid0(VALU_DEP_3)
	v_cndmask_b32_e64 v14, 0xfff00000, v7, s3
.LBB192_113:                            ;   in Loop: Header=BB192_5 Depth=1
	s_and_not1_saveexec_b32 s104, s4
	s_cbranch_execz .LBB192_121
; %bb.114:                              ;   in Loop: Header=BB192_5 Depth=1
	v_mul_f64 v[13:14], v[35:36], v[35:36]
                                        ; implicit-def: $vgpr31_vgpr32
	s_mov_b32 s3, exec_lo
	s_delay_alu instid0(VALU_DEP_1) | instskip(NEXT) | instid1(VALU_DEP_1)
	v_fma_f64 v[33:34], v[37:38], v[37:38], v[13:14]
                                        ; implicit-def: $vgpr13_vgpr14
	v_cmpx_ge_f64_e32 s[84:85], v[33:34]
	s_xor_b32 s5, exec_lo, s3
	s_cbranch_execz .LBB192_116
; %bb.115:                              ;   in Loop: Header=BB192_5 Depth=1
	v_frexp_mant_f64_e32 v[13:14], v[33:34]
	v_max_f64 v[41:42], |v[1:2]|, |v[1:2]|
	s_mov_b32 s93, s23
	v_frexp_exp_i32_f64_e32 v7, v[33:34]
	s_mov_b32 s12, s82
	v_cmp_class_f64_e64 s6, v[3:4], 0x204
	v_cmp_class_f64_e64 s7, v[1:2], 0x204
	v_cmp_neq_f64_e64 s4, 0, v[33:34]
	v_cmp_gt_f64_e64 s3, s[22:23], v[13:14]
	s_delay_alu instid0(VALU_DEP_1) | instskip(NEXT) | instid1(VALU_DEP_1)
	v_cndmask_b32_e64 v18, 0x3ff00000, 2.0, s3
	v_mul_f64 v[13:14], v[13:14], v[17:18]
	s_delay_alu instid0(VALU_DEP_1) | instskip(SKIP_1) | instid1(VALU_DEP_2)
	v_add_f64 v[31:32], v[13:14], 1.0
	v_add_f64 v[39:40], v[13:14], -1.0
	v_rcp_f64_e32 v[35:36], v[31:32]
	s_waitcnt_depctr 0xfff
	v_fma_f64 v[37:38], -v[31:32], v[35:36], 1.0
	s_delay_alu instid0(VALU_DEP_1) | instskip(NEXT) | instid1(VALU_DEP_1)
	v_fma_f64 v[35:36], v[37:38], v[35:36], v[35:36]
	v_fma_f64 v[37:38], -v[31:32], v[35:36], 1.0
	s_delay_alu instid0(VALU_DEP_1) | instskip(SKIP_1) | instid1(VALU_DEP_2)
	v_fma_f64 v[35:36], v[37:38], v[35:36], v[35:36]
	v_max_f64 v[37:38], |v[3:4]|, |v[3:4]|
	v_mul_f64 v[43:44], v[39:40], v[35:36]
	s_delay_alu instid0(VALU_DEP_2) | instskip(SKIP_2) | instid1(VALU_DEP_4)
	v_max_f64 v[45:46], v[41:42], v[37:38]
	v_min_f64 v[37:38], v[41:42], v[37:38]
	v_add_f64 v[41:42], v[31:32], -1.0
	v_mul_f64 v[47:48], v[31:32], v[43:44]
	s_delay_alu instid0(VALU_DEP_3) | instskip(NEXT) | instid1(VALU_DEP_3)
	v_div_scale_f64 v[49:50], null, v[45:46], v[45:46], v[37:38]
	v_add_f64 v[13:14], v[13:14], -v[41:42]
	v_div_scale_f64 v[57:58], vcc_lo, v[37:38], v[45:46], v[37:38]
	s_delay_alu instid0(VALU_DEP_4) | instskip(NEXT) | instid1(VALU_DEP_4)
	v_fma_f64 v[31:32], v[43:44], v[31:32], -v[47:48]
	v_rcp_f64_e32 v[41:42], v[49:50]
	s_delay_alu instid0(VALU_DEP_1) | instskip(SKIP_3) | instid1(VALU_DEP_2)
	v_fma_f64 v[13:14], v[43:44], v[13:14], v[31:32]
	s_waitcnt_depctr 0xfff
	v_fma_f64 v[31:32], -v[49:50], v[41:42], 1.0
	v_add_f64 v[51:52], v[47:48], v[13:14]
	v_fma_f64 v[31:32], v[41:42], v[31:32], v[41:42]
	s_delay_alu instid0(VALU_DEP_2) | instskip(SKIP_1) | instid1(VALU_DEP_3)
	v_add_f64 v[41:42], v[39:40], -v[51:52]
	v_add_f64 v[47:48], v[51:52], -v[47:48]
	v_fma_f64 v[53:54], -v[49:50], v[31:32], 1.0
	s_delay_alu instid0(VALU_DEP_3) | instskip(NEXT) | instid1(VALU_DEP_3)
	v_add_f64 v[39:40], v[39:40], -v[41:42]
	v_add_f64 v[13:14], v[47:48], -v[13:14]
	s_delay_alu instid0(VALU_DEP_3) | instskip(NEXT) | instid1(VALU_DEP_3)
	v_fma_f64 v[31:32], v[31:32], v[53:54], v[31:32]
	v_add_f64 v[39:40], v[39:40], -v[51:52]
	s_delay_alu instid0(VALU_DEP_2) | instskip(NEXT) | instid1(VALU_DEP_2)
	v_mul_f64 v[47:48], v[57:58], v[31:32]
	v_add_f64 v[13:14], v[13:14], v[39:40]
	s_delay_alu instid0(VALU_DEP_2) | instskip(NEXT) | instid1(VALU_DEP_2)
	v_fma_f64 v[39:40], -v[49:50], v[47:48], v[57:58]
	v_add_f64 v[13:14], v[41:42], v[13:14]
	s_delay_alu instid0(VALU_DEP_2)
	v_div_fmas_f64 v[31:32], v[39:40], v[31:32], v[47:48]
	v_subrev_co_ci_u32_e64 v7, vcc_lo, 0, v7, s3
	v_cmp_eq_f64_e64 s3, 0, v[3:4]
	v_cmp_gt_i32_e32 vcc_lo, 0, v2
	v_cndmask_b32_e32 v11, 0x54442d18, v55, vcc_lo
	v_mul_f64 v[13:14], v[35:36], v[13:14]
	v_div_fixup_f64 v[31:32], v[31:32], v[45:46], v[37:38]
	s_delay_alu instid0(VALU_DEP_2) | instskip(NEXT) | instid1(VALU_DEP_2)
	v_add_f64 v[35:36], v[43:44], v[13:14]
	v_mul_f64 v[37:38], v[31:32], v[31:32]
	s_delay_alu instid0(VALU_DEP_2) | instskip(NEXT) | instid1(VALU_DEP_2)
	v_mul_f64 v[39:40], v[35:36], v[35:36]
	v_fma_f64 v[41:42], v[37:38], s[44:45], s[42:43]
	s_delay_alu instid0(VALU_DEP_2) | instskip(SKIP_1) | instid1(VALU_DEP_3)
	v_fma_f64 v[45:46], v[39:40], s[26:27], s[24:25]
	v_mul_f64 v[47:48], v[35:36], v[39:40]
	v_fma_f64 v[41:42], v[37:38], v[41:42], s[46:47]
	s_delay_alu instid0(VALU_DEP_3) | instskip(NEXT) | instid1(VALU_DEP_2)
	v_fma_f64 v[45:46], v[39:40], v[45:46], s[28:29]
	v_fma_f64 v[41:42], v[37:38], v[41:42], s[48:49]
	s_delay_alu instid0(VALU_DEP_2) | instskip(NEXT) | instid1(VALU_DEP_2)
	v_fma_f64 v[45:46], v[39:40], v[45:46], s[30:31]
	v_fma_f64 v[41:42], v[37:38], v[41:42], s[50:51]
	s_delay_alu instid0(VALU_DEP_2) | instskip(NEXT) | instid1(VALU_DEP_2)
	v_fma_f64 v[45:46], v[39:40], v[45:46], s[34:35]
	v_fma_f64 v[41:42], v[37:38], v[41:42], s[52:53]
	s_delay_alu instid0(VALU_DEP_2) | instskip(NEXT) | instid1(VALU_DEP_2)
	v_fma_f64 v[45:46], v[39:40], v[45:46], s[36:37]
	v_fma_f64 v[41:42], v[37:38], v[41:42], s[54:55]
	s_delay_alu instid0(VALU_DEP_2) | instskip(SKIP_2) | instid1(VALU_DEP_4)
	v_fma_f64 v[39:40], v[39:40], v[45:46], s[92:93]
	v_ldexp_f64 v[45:46], v[35:36], 1
	v_add_f64 v[35:36], v[35:36], -v[43:44]
	v_fma_f64 v[41:42], v[37:38], v[41:42], s[56:57]
	s_delay_alu instid0(VALU_DEP_4) | instskip(SKIP_1) | instid1(VALU_DEP_4)
	v_mul_f64 v[39:40], v[47:48], v[39:40]
	v_cvt_f64_i32_e32 v[47:48], v7
	v_add_f64 v[13:14], v[13:14], -v[35:36]
	v_ashrrev_i32_e32 v7, 31, v2
	v_fma_f64 v[41:42], v[37:38], v[41:42], s[58:59]
	v_add_f64 v[43:44], v[45:46], v[39:40]
	v_mul_f64 v[49:50], v[47:48], s[38:39]
	v_ldexp_f64 v[13:14], v[13:14], 1
	s_delay_alu instid0(VALU_DEP_4) | instskip(NEXT) | instid1(VALU_DEP_4)
	v_fma_f64 v[41:42], v[37:38], v[41:42], s[60:61]
	v_add_f64 v[35:36], v[43:44], -v[45:46]
	s_delay_alu instid0(VALU_DEP_4) | instskip(NEXT) | instid1(VALU_DEP_3)
	v_fma_f64 v[45:46], v[47:48], s[38:39], -v[49:50]
	v_fma_f64 v[41:42], v[37:38], v[41:42], s[62:63]
	s_delay_alu instid0(VALU_DEP_3) | instskip(NEXT) | instid1(VALU_DEP_2)
	v_add_f64 v[35:36], v[39:40], -v[35:36]
	v_fma_f64 v[39:40], v[37:38], v[41:42], s[64:65]
	s_delay_alu instid0(VALU_DEP_4) | instskip(NEXT) | instid1(VALU_DEP_3)
	v_fma_f64 v[41:42], v[47:48], s[40:41], v[45:46]
	v_add_f64 v[13:14], v[13:14], v[35:36]
	s_delay_alu instid0(VALU_DEP_3) | instskip(NEXT) | instid1(VALU_DEP_3)
	v_fma_f64 v[35:36], v[37:38], v[39:40], s[66:67]
	v_add_f64 v[39:40], v[49:50], v[41:42]
	s_delay_alu instid0(VALU_DEP_3) | instskip(NEXT) | instid1(VALU_DEP_3)
	v_add_f64 v[45:46], v[43:44], v[13:14]
	v_fma_f64 v[35:36], v[37:38], v[35:36], s[68:69]
	s_delay_alu instid0(VALU_DEP_3) | instskip(NEXT) | instid1(VALU_DEP_3)
	v_add_f64 v[49:50], v[39:40], -v[49:50]
	v_add_f64 v[47:48], v[39:40], v[45:46]
	v_add_f64 v[43:44], v[45:46], -v[43:44]
	s_delay_alu instid0(VALU_DEP_4) | instskip(NEXT) | instid1(VALU_DEP_4)
	v_fma_f64 v[35:36], v[37:38], v[35:36], s[70:71]
	v_add_f64 v[41:42], v[41:42], -v[49:50]
	s_delay_alu instid0(VALU_DEP_4) | instskip(NEXT) | instid1(VALU_DEP_4)
	v_add_f64 v[51:52], v[47:48], -v[39:40]
	v_add_f64 v[13:14], v[13:14], -v[43:44]
	s_delay_alu instid0(VALU_DEP_4) | instskip(NEXT) | instid1(VALU_DEP_3)
	v_fma_f64 v[35:36], v[37:38], v[35:36], s[72:73]
	v_add_f64 v[53:54], v[47:48], -v[51:52]
	v_add_f64 v[43:44], v[45:46], -v[51:52]
	s_delay_alu instid0(VALU_DEP_4) | instskip(NEXT) | instid1(VALU_DEP_4)
	v_add_f64 v[45:46], v[41:42], v[13:14]
	v_fma_f64 v[35:36], v[37:38], v[35:36], s[74:75]
	s_delay_alu instid0(VALU_DEP_4) | instskip(NEXT) | instid1(VALU_DEP_2)
	v_add_f64 v[39:40], v[39:40], -v[53:54]
	v_fma_f64 v[35:36], v[37:38], v[35:36], s[76:77]
	s_delay_alu instid0(VALU_DEP_2) | instskip(SKIP_1) | instid1(VALU_DEP_3)
	v_add_f64 v[39:40], v[43:44], v[39:40]
	v_add_f64 v[43:44], v[45:46], -v[41:42]
	v_fma_f64 v[35:36], v[37:38], v[35:36], s[78:79]
	s_delay_alu instid0(VALU_DEP_3) | instskip(NEXT) | instid1(VALU_DEP_3)
	v_add_f64 v[39:40], v[45:46], v[39:40]
	v_add_f64 v[45:46], v[45:46], -v[43:44]
	v_add_f64 v[13:14], v[13:14], -v[43:44]
	s_delay_alu instid0(VALU_DEP_4) | instskip(NEXT) | instid1(VALU_DEP_4)
	v_fma_f64 v[35:36], v[37:38], v[35:36], s[80:81]
	v_add_f64 v[49:50], v[47:48], v[39:40]
	s_delay_alu instid0(VALU_DEP_2) | instskip(SKIP_1) | instid1(VALU_DEP_3)
	v_mul_f64 v[35:36], v[37:38], v[35:36]
	v_add_f64 v[37:38], v[41:42], -v[45:46]
	v_add_f64 v[41:42], v[49:50], -v[47:48]
	s_delay_alu instid0(VALU_DEP_3) | instskip(NEXT) | instid1(VALU_DEP_3)
	v_fma_f64 v[31:32], v[31:32], v[35:36], v[31:32]
	v_add_f64 v[13:14], v[13:14], v[37:38]
	s_delay_alu instid0(VALU_DEP_3) | instskip(NEXT) | instid1(VALU_DEP_3)
	v_add_f64 v[35:36], v[39:40], -v[41:42]
	v_add_f64 v[37:38], -v[31:32], s[82:83]
	s_delay_alu instid0(VALU_DEP_2) | instskip(NEXT) | instid1(VALU_DEP_2)
	v_add_f64 v[13:14], v[13:14], v[35:36]
	v_cndmask_b32_e64 v32, v32, v38, s2
	s_delay_alu instid0(VALU_DEP_3) | instskip(NEXT) | instid1(VALU_DEP_1)
	v_cndmask_b32_e64 v31, v31, v37, s2
                                        ; implicit-def: $vgpr37_vgpr38
	v_add_f64 v[35:36], -v[31:32], s[12:13]
	v_and_b32_e32 v15, 0x54442d18, v7
	v_and_b32_e32 v7, 0x400921fb, v7
	v_add_f64 v[13:14], v[49:50], v[13:14]
	s_delay_alu instid0(VALU_DEP_4) | instskip(NEXT) | instid1(VALU_DEP_2)
	v_cndmask_b32_e32 v18, v31, v35, vcc_lo
	v_mul_f64 v[1:2], v[13:14], 0.5
	v_cndmask_b32_e32 v14, v32, v36, vcc_lo
	v_cndmask_b32_e32 v13, 0x3fe921fb, v56, vcc_lo
	s_delay_alu instid0(VALU_DEP_4) | instskip(SKIP_1) | instid1(VALU_DEP_3)
	v_cndmask_b32_e64 v15, v18, v15, s3
	s_and_b32 vcc_lo, s7, s6
                                        ; implicit-def: $vgpr35_vgpr36
	v_cndmask_b32_e64 v7, v14, v7, s3
	s_delay_alu instid0(VALU_DEP_3) | instskip(NEXT) | instid1(VALU_DEP_3)
	v_bfi_b32 v13, 0x7fffffff, v13, v4
	v_cndmask_b32_e32 v31, v15, v11, vcc_lo
	s_delay_alu instid0(VALU_DEP_2)
	v_cndmask_b32_e32 v32, v7, v13, vcc_lo
	v_cndmask_b32_e64 v14, 0xfff00000, v2, s4
	v_cndmask_b32_e64 v13, 0, v1, s4
.LBB192_116:                            ;   in Loop: Header=BB192_5 Depth=1
	s_and_not1_saveexec_b32 vcc_hi, s5
	s_cbranch_execz .LBB192_120
; %bb.117:                              ;   in Loop: Header=BB192_5 Depth=1
	v_dual_mov_b32 v31, v17 :: v_dual_and_b32 v18, 0x7ffffff8, v38
	v_and_b32_e32 v32, 0x7ffffff8, v36
	s_mov_b32 s93, 0
	s_delay_alu instid0(VALU_DEP_2) | instskip(SKIP_1) | instid1(VALU_DEP_3)
	v_add_f64 v[13:14], v[37:38], -v[17:18]
	v_mov_b32_e32 v37, v17
	v_add_f64 v[33:34], v[35:36], -v[31:32]
	v_mov_b32_e32 v39, v17
	v_add_f64 v[41:42], v[17:18], v[17:18]
	v_add_f64 v[49:50], v[31:32], v[31:32]
	v_mul_f64 v[35:36], v[31:32], v[31:32]
	v_and_b32_e32 v38, -8, v14
	v_and_b32_e32 v40, -8, v34
	s_delay_alu instid0(VALU_DEP_2) | instskip(SKIP_1) | instid1(VALU_DEP_3)
	v_add_f64 v[51:52], v[13:14], -v[37:38]
	v_add_f64 v[57:58], v[37:38], v[37:38]
	v_add_f64 v[53:54], v[33:34], -v[39:40]
	v_add_f64 v[59:60], v[39:40], v[39:40]
	v_mul_f64 v[13:14], v[17:18], v[17:18]
	v_mul_f64 v[47:48], v[41:42], v[37:38]
	;; [unrolled: 1-line block ×11, first 2 shown]
.LBB192_118:                            ;   Parent Loop BB192_5 Depth=1
                                        ; =>  This Inner Loop Header: Depth=2
	v_cmp_nlt_f64_e32 vcc_lo, v[13:14], v[35:36]
	v_dual_cndmask_b32 v54, v14, v36 :: v_dual_cndmask_b32 v53, v13, v35
	v_dual_cndmask_b32 v14, v36, v14 :: v_dual_cndmask_b32 v13, v35, v13
	s_delay_alu instid0(VALU_DEP_2) | instskip(NEXT) | instid1(VALU_DEP_1)
	v_cmp_nlt_f64_e64 s3, v[53:54], v[47:48]
	v_cndmask_b32_e64 v58, v54, v48, s3
	v_cndmask_b32_e64 v57, v53, v47, s3
	;; [unrolled: 1-line block ×4, first 2 shown]
	s_and_b32 s3, vcc_lo, s3
	s_delay_alu instid0(VALU_DEP_3) | instskip(NEXT) | instid1(VALU_DEP_1)
	v_cmp_nlt_f64_e64 s4, v[57:58], v[33:34]
	v_cndmask_b32_e64 v54, v58, v34, s4
	v_cndmask_b32_e64 v53, v57, v33, s4
	;; [unrolled: 1-line block ×4, first 2 shown]
	s_delay_alu instid0(VALU_DEP_3) | instskip(NEXT) | instid1(VALU_DEP_1)
	v_cmp_nlt_f64_e64 s5, v[53:54], v[45:46]
	v_cndmask_b32_e64 v58, v54, v46, s5
	v_cndmask_b32_e64 v57, v53, v45, s5
	;; [unrolled: 1-line block ×4, first 2 shown]
	s_and_b32 s4, s4, s5
	s_delay_alu instid0(VALU_DEP_3) | instskip(NEXT) | instid1(VALU_DEP_1)
	v_cmp_nlt_f64_e64 s6, v[57:58], v[31:32]
	v_cndmask_b32_e64 v54, v58, v32, s6
	v_cndmask_b32_e64 v53, v57, v31, s6
	;; [unrolled: 1-line block ×4, first 2 shown]
	s_delay_alu instid0(VALU_DEP_3) | instskip(NEXT) | instid1(VALU_DEP_1)
	v_cmp_nlt_f64_e64 s7, v[53:54], v[43:44]
	v_cndmask_b32_e64 v58, v54, v44, s7
	v_cndmask_b32_e64 v57, v53, v43, s7
	v_cndmask_b32_e64 v32, v44, v54, s7
	v_cndmask_b32_e64 v31, v43, v53, s7
	s_and_b32 s5, s6, s7
	s_delay_alu instid0(VALU_DEP_3) | instskip(NEXT) | instid1(VALU_DEP_1)
	v_cmp_nlt_f64_e64 s8, v[57:58], v[41:42]
	v_cndmask_b32_e64 v54, v58, v42, s8
	v_cndmask_b32_e64 v53, v57, v41, s8
	v_cndmask_b32_e64 v44, v42, v58, s8
	v_cndmask_b32_e64 v43, v41, v57, s8
	s_and_b32 s5, s5, s8
	s_delay_alu instid0(VALU_DEP_3) | instskip(NEXT) | instid1(VALU_DEP_1)
	v_cmp_nlt_f64_e64 s9, v[53:54], v[39:40]
	v_cndmask_b32_e64 v58, v54, v40, s9
	v_cndmask_b32_e64 v57, v53, v39, s9
	v_cndmask_b32_e64 v42, v40, v54, s9
	v_cndmask_b32_e64 v41, v39, v53, s9
	s_and_b32 s5, s5, s9
	s_delay_alu instid0(VALU_DEP_3) | instskip(NEXT) | instid1(VALU_DEP_1)
	v_cmp_nlt_f64_e64 s10, v[57:58], v[37:38]
	v_cndmask_b32_e64 v54, v58, v38, s10
	v_cndmask_b32_e64 v53, v57, v37, s10
	v_cndmask_b32_e64 v40, v38, v58, s10
	v_cndmask_b32_e64 v39, v37, v57, s10
	s_and_b32 s5, s5, s10
	s_delay_alu instid0(VALU_DEP_3) | instskip(NEXT) | instid1(VALU_DEP_1)
	v_cmp_nlt_f64_e64 s11, v[53:54], v[49:50]
	v_cndmask_b32_e64 v58, v54, v50, s11
	v_cndmask_b32_e64 v57, v53, v49, s11
	s_and_b32 s5, s5, s11
	v_cndmask_b32_e64 v38, v50, v54, s11
	v_cndmask_b32_e64 v37, v49, v53, s11
	s_delay_alu instid0(VALU_DEP_3) | instskip(NEXT) | instid1(VALU_DEP_1)
	v_cmp_nlt_f64_e64 s12, v[57:58], v[51:52]
	v_cndmask_b32_e64 v54, v58, v52, s12
	v_cndmask_b32_e64 v53, v57, v51, s12
	s_and_b32 s5, s5, s12
	v_cndmask_b32_e64 v50, v52, v58, s12
	s_and_b32 s4, s5, s4
	;; [unrolled: 2-line block ×3, first 2 shown]
	v_dual_mov_b32 v51, v53 :: v_dual_mov_b32 v52, v54
	s_and_b32 s3, exec_lo, s3
	s_delay_alu instid0(SALU_CYCLE_1) | instskip(NEXT) | instid1(SALU_CYCLE_1)
	s_or_b32 s93, s3, s93
	s_and_not1_b32 exec_lo, exec_lo, s93
	s_cbranch_execnz .LBB192_118
; %bb.119:                              ;   in Loop: Header=BB192_5 Depth=1
	s_or_b32 exec_lo, exec_lo, s93
	v_add_f64 v[13:14], v[13:14], -1.0
	s_mov_b32 s93, s23
	s_mov_b32 s12, s82
	v_cmp_gt_i32_e64 s3, 0, v2
	v_cmp_class_f64_e64 s5, v[1:2], 0x204
	v_cmp_class_f64_e64 s4, v[3:4], 0x204
	s_delay_alu instid0(VALU_DEP_4) | instskip(NEXT) | instid1(VALU_DEP_1)
	v_add_f64 v[13:14], v[13:14], v[35:36]
	v_add_f64 v[13:14], v[13:14], v[47:48]
	s_delay_alu instid0(VALU_DEP_1) | instskip(NEXT) | instid1(VALU_DEP_1)
	v_add_f64 v[13:14], v[13:14], v[33:34]
	v_add_f64 v[13:14], v[13:14], v[45:46]
	s_delay_alu instid0(VALU_DEP_1) | instskip(NEXT) | instid1(VALU_DEP_1)
	;; [unrolled: 3-line block ×5, first 2 shown]
	v_add_f64 v[14:15], v[53:54], v[13:14]
	v_add_f64 v[31:32], v[14:15], 1.0
	s_delay_alu instid0(VALU_DEP_1) | instskip(SKIP_2) | instid1(VALU_DEP_3)
	v_frexp_mant_f64_e32 v[33:34], v[31:32]
	v_frexp_exp_i32_f64_e32 v7, v[31:32]
	v_add_f64 v[35:36], v[31:32], -1.0
	v_cmp_gt_f64_e32 vcc_lo, s[22:23], v[33:34]
	s_delay_alu instid0(VALU_DEP_2) | instskip(SKIP_2) | instid1(VALU_DEP_3)
	v_add_f64 v[33:34], v[35:36], -v[31:32]
	v_add_f64 v[35:36], v[14:15], -v[35:36]
	v_subrev_co_ci_u32_e32 v7, vcc_lo, 0, v7, vcc_lo
	v_add_f64 v[33:34], v[33:34], 1.0
	s_delay_alu instid0(VALU_DEP_2) | instskip(NEXT) | instid1(VALU_DEP_1)
	v_sub_nc_u32_e32 v11, 0, v7
	v_ldexp_f64 v[31:32], v[31:32], v11
	s_delay_alu instid0(VALU_DEP_3) | instskip(NEXT) | instid1(VALU_DEP_2)
	v_add_f64 v[33:34], v[35:36], v[33:34]
	v_add_f64 v[37:38], v[31:32], 1.0
	v_add_f64 v[43:44], v[31:32], -1.0
	s_delay_alu instid0(VALU_DEP_3) | instskip(SKIP_1) | instid1(VALU_DEP_4)
	v_ldexp_f64 v[33:34], v[33:34], v11
	v_cndmask_b32_e64 v11, 0x54442d18, v55, s3
	v_add_f64 v[35:36], v[37:38], -1.0
	s_delay_alu instid0(VALU_DEP_4) | instskip(NEXT) | instid1(VALU_DEP_2)
	v_add_f64 v[45:46], v[43:44], 1.0
	v_add_f64 v[35:36], v[31:32], -v[35:36]
	s_delay_alu instid0(VALU_DEP_2) | instskip(NEXT) | instid1(VALU_DEP_2)
	v_add_f64 v[31:32], v[31:32], -v[45:46]
	v_add_f64 v[35:36], v[33:34], v[35:36]
	s_delay_alu instid0(VALU_DEP_2) | instskip(NEXT) | instid1(VALU_DEP_2)
	v_add_f64 v[31:32], v[33:34], v[31:32]
	v_add_f64 v[39:40], v[37:38], v[35:36]
	s_delay_alu instid0(VALU_DEP_2) | instskip(NEXT) | instid1(VALU_DEP_2)
	v_add_f64 v[45:46], v[43:44], v[31:32]
	v_rcp_f64_e32 v[41:42], v[39:40]
	v_add_f64 v[37:38], v[39:40], -v[37:38]
	s_delay_alu instid0(VALU_DEP_2) | instskip(NEXT) | instid1(VALU_DEP_2)
	v_add_f64 v[43:44], v[45:46], -v[43:44]
	v_add_f64 v[35:36], v[35:36], -v[37:38]
	s_waitcnt_depctr 0xfff
	v_fma_f64 v[47:48], -v[39:40], v[41:42], 1.0
	v_add_f64 v[31:32], v[31:32], -v[43:44]
	s_delay_alu instid0(VALU_DEP_2) | instskip(NEXT) | instid1(VALU_DEP_1)
	v_fma_f64 v[41:42], v[47:48], v[41:42], v[41:42]
	v_fma_f64 v[33:34], -v[39:40], v[41:42], 1.0
	s_delay_alu instid0(VALU_DEP_1) | instskip(NEXT) | instid1(VALU_DEP_1)
	v_fma_f64 v[33:34], v[33:34], v[41:42], v[41:42]
	v_mul_f64 v[41:42], v[45:46], v[33:34]
	s_delay_alu instid0(VALU_DEP_1) | instskip(NEXT) | instid1(VALU_DEP_1)
	v_mul_f64 v[47:48], v[39:40], v[41:42]
	v_fma_f64 v[37:38], v[41:42], v[39:40], -v[47:48]
	s_delay_alu instid0(VALU_DEP_1) | instskip(NEXT) | instid1(VALU_DEP_1)
	v_fma_f64 v[37:38], v[41:42], v[35:36], v[37:38]
	v_add_f64 v[49:50], v[47:48], v[37:38]
	s_delay_alu instid0(VALU_DEP_1) | instskip(SKIP_2) | instid1(VALU_DEP_3)
	v_add_f64 v[51:52], v[45:46], -v[49:50]
	v_add_f64 v[43:44], v[49:50], -v[47:48]
	v_max_f64 v[47:48], |v[3:4]|, |v[3:4]|
	v_add_f64 v[45:46], v[45:46], -v[51:52]
	s_delay_alu instid0(VALU_DEP_3) | instskip(NEXT) | instid1(VALU_DEP_2)
	v_add_f64 v[37:38], v[43:44], -v[37:38]
	v_add_f64 v[45:46], v[45:46], -v[49:50]
	v_max_f64 v[49:50], |v[1:2]|, |v[1:2]|
	v_cndmask_b32_e64 v1, 0x3fe921fb, v56, s3
	s_delay_alu instid0(VALU_DEP_1) | instskip(NEXT) | instid1(VALU_DEP_4)
	v_bfi_b32 v1, 0x7fffffff, v1, v4
	v_add_f64 v[31:32], v[31:32], v[45:46]
	s_delay_alu instid0(VALU_DEP_4) | instskip(SKIP_1) | instid1(VALU_DEP_3)
	v_max_f64 v[53:54], v[49:50], v[47:48]
	v_min_f64 v[47:48], v[49:50], v[47:48]
	v_add_f64 v[31:32], v[37:38], v[31:32]
	s_delay_alu instid0(VALU_DEP_1) | instskip(NEXT) | instid1(VALU_DEP_1)
	v_add_f64 v[37:38], v[51:52], v[31:32]
	v_mul_f64 v[43:44], v[33:34], v[37:38]
	v_add_f64 v[51:52], v[51:52], -v[37:38]
	s_delay_alu instid0(VALU_DEP_2) | instskip(NEXT) | instid1(VALU_DEP_2)
	v_mul_f64 v[45:46], v[39:40], v[43:44]
	v_add_f64 v[31:32], v[31:32], v[51:52]
	s_delay_alu instid0(VALU_DEP_2) | instskip(NEXT) | instid1(VALU_DEP_1)
	v_fma_f64 v[39:40], v[43:44], v[39:40], -v[45:46]
	v_fma_f64 v[35:36], v[43:44], v[35:36], v[39:40]
	v_div_scale_f64 v[39:40], null, v[53:54], v[53:54], v[47:48]
	s_delay_alu instid0(VALU_DEP_2) | instskip(NEXT) | instid1(VALU_DEP_2)
	v_add_f64 v[49:50], v[45:46], v[35:36]
	v_rcp_f64_e32 v[57:58], v[39:40]
	s_delay_alu instid0(VALU_DEP_1)
	v_add_f64 v[59:60], v[37:38], -v[49:50]
	v_add_f64 v[45:46], v[49:50], -v[45:46]
	s_waitcnt_depctr 0xfff
	v_fma_f64 v[61:62], -v[39:40], v[57:58], 1.0
	v_add_f64 v[37:38], v[37:38], -v[59:60]
	v_add_f64 v[35:36], v[45:46], -v[35:36]
	s_delay_alu instid0(VALU_DEP_3) | instskip(NEXT) | instid1(VALU_DEP_3)
	v_fma_f64 v[57:58], v[57:58], v[61:62], v[57:58]
	v_add_f64 v[37:38], v[37:38], -v[49:50]
	s_delay_alu instid0(VALU_DEP_2) | instskip(NEXT) | instid1(VALU_DEP_2)
	v_fma_f64 v[49:50], -v[39:40], v[57:58], 1.0
	v_add_f64 v[31:32], v[31:32], v[37:38]
	v_div_scale_f64 v[37:38], vcc_lo, v[47:48], v[53:54], v[47:48]
	s_delay_alu instid0(VALU_DEP_3) | instskip(SKIP_1) | instid1(VALU_DEP_4)
	v_fma_f64 v[45:46], v[57:58], v[49:50], v[57:58]
	v_add_f64 v[49:50], v[41:42], v[43:44]
	v_add_f64 v[31:32], v[35:36], v[31:32]
	s_delay_alu instid0(VALU_DEP_3) | instskip(NEXT) | instid1(VALU_DEP_3)
	v_mul_f64 v[35:36], v[37:38], v[45:46]
	v_add_f64 v[41:42], v[49:50], -v[41:42]
	s_delay_alu instid0(VALU_DEP_3) | instskip(NEXT) | instid1(VALU_DEP_3)
	v_add_f64 v[31:32], v[59:60], v[31:32]
	v_fma_f64 v[37:38], -v[39:40], v[35:36], v[37:38]
	s_delay_alu instid0(VALU_DEP_3) | instskip(NEXT) | instid1(VALU_DEP_3)
	v_add_f64 v[39:40], v[43:44], -v[41:42]
	v_mul_f64 v[31:32], v[33:34], v[31:32]
	s_delay_alu instid0(VALU_DEP_3) | instskip(SKIP_1) | instid1(VALU_DEP_3)
	v_div_fmas_f64 v[33:34], v[37:38], v[45:46], v[35:36]
	v_cmp_eq_f64_e32 vcc_lo, 0x7ff00000, v[14:15]
	v_add_f64 v[31:32], v[39:40], v[31:32]
	s_delay_alu instid0(VALU_DEP_3) | instskip(NEXT) | instid1(VALU_DEP_2)
	v_div_fixup_f64 v[33:34], v[33:34], v[53:54], v[47:48]
	v_add_f64 v[35:36], v[49:50], v[31:32]
	s_delay_alu instid0(VALU_DEP_2) | instskip(NEXT) | instid1(VALU_DEP_2)
	v_mul_f64 v[37:38], v[33:34], v[33:34]
	v_mul_f64 v[39:40], v[35:36], v[35:36]
	s_delay_alu instid0(VALU_DEP_2) | instskip(NEXT) | instid1(VALU_DEP_2)
	v_fma_f64 v[41:42], v[37:38], s[44:45], s[42:43]
	v_fma_f64 v[43:44], v[39:40], s[26:27], s[24:25]
	v_mul_f64 v[45:46], v[35:36], v[39:40]
	s_delay_alu instid0(VALU_DEP_3) | instskip(NEXT) | instid1(VALU_DEP_3)
	v_fma_f64 v[41:42], v[37:38], v[41:42], s[46:47]
	v_fma_f64 v[43:44], v[39:40], v[43:44], s[28:29]
	s_delay_alu instid0(VALU_DEP_2) | instskip(NEXT) | instid1(VALU_DEP_2)
	v_fma_f64 v[41:42], v[37:38], v[41:42], s[48:49]
	v_fma_f64 v[43:44], v[39:40], v[43:44], s[30:31]
	s_delay_alu instid0(VALU_DEP_2) | instskip(NEXT) | instid1(VALU_DEP_2)
	;; [unrolled: 3-line block ×4, first 2 shown]
	v_fma_f64 v[41:42], v[37:38], v[41:42], s[54:55]
	v_fma_f64 v[39:40], v[39:40], v[43:44], s[92:93]
	v_ldexp_f64 v[43:44], v[35:36], 1
	v_add_f64 v[35:36], v[35:36], -v[49:50]
	s_delay_alu instid0(VALU_DEP_4) | instskip(NEXT) | instid1(VALU_DEP_4)
	v_fma_f64 v[41:42], v[37:38], v[41:42], s[56:57]
	v_mul_f64 v[39:40], v[45:46], v[39:40]
	v_cvt_f64_i32_e32 v[45:46], v7
	s_delay_alu instid0(VALU_DEP_4) | instskip(NEXT) | instid1(VALU_DEP_4)
	v_add_f64 v[31:32], v[31:32], -v[35:36]
	v_fma_f64 v[41:42], v[37:38], v[41:42], s[58:59]
	v_ashrrev_i32_e32 v7, 31, v2
	s_delay_alu instid0(VALU_DEP_1) | instskip(SKIP_4) | instid1(VALU_DEP_4)
	v_and_b32_e32 v2, 0x400921fb, v7
	v_add_f64 v[47:48], v[43:44], v[39:40]
	v_mul_f64 v[49:50], v[45:46], s[38:39]
	v_ldexp_f64 v[31:32], v[31:32], 1
	v_fma_f64 v[41:42], v[37:38], v[41:42], s[60:61]
	v_add_f64 v[35:36], v[47:48], -v[43:44]
	s_delay_alu instid0(VALU_DEP_4) | instskip(NEXT) | instid1(VALU_DEP_3)
	v_fma_f64 v[43:44], v[45:46], s[38:39], -v[49:50]
	v_fma_f64 v[41:42], v[37:38], v[41:42], s[62:63]
	s_delay_alu instid0(VALU_DEP_3) | instskip(NEXT) | instid1(VALU_DEP_2)
	v_add_f64 v[35:36], v[39:40], -v[35:36]
	v_fma_f64 v[39:40], v[37:38], v[41:42], s[64:65]
	s_delay_alu instid0(VALU_DEP_4) | instskip(NEXT) | instid1(VALU_DEP_3)
	v_fma_f64 v[41:42], v[45:46], s[40:41], v[43:44]
	v_add_f64 v[31:32], v[31:32], v[35:36]
	s_delay_alu instid0(VALU_DEP_3) | instskip(NEXT) | instid1(VALU_DEP_3)
	v_fma_f64 v[35:36], v[37:38], v[39:40], s[66:67]
	v_add_f64 v[39:40], v[49:50], v[41:42]
	s_delay_alu instid0(VALU_DEP_3) | instskip(NEXT) | instid1(VALU_DEP_3)
	v_add_f64 v[43:44], v[47:48], v[31:32]
	v_fma_f64 v[35:36], v[37:38], v[35:36], s[68:69]
	s_delay_alu instid0(VALU_DEP_3) | instskip(NEXT) | instid1(VALU_DEP_3)
	v_add_f64 v[49:50], v[39:40], -v[49:50]
	v_add_f64 v[45:46], v[39:40], v[43:44]
	v_add_f64 v[47:48], v[43:44], -v[47:48]
	s_delay_alu instid0(VALU_DEP_4) | instskip(NEXT) | instid1(VALU_DEP_4)
	v_fma_f64 v[35:36], v[37:38], v[35:36], s[70:71]
	v_add_f64 v[41:42], v[41:42], -v[49:50]
	s_delay_alu instid0(VALU_DEP_4) | instskip(NEXT) | instid1(VALU_DEP_4)
	v_add_f64 v[51:52], v[45:46], -v[39:40]
	v_add_f64 v[31:32], v[31:32], -v[47:48]
	s_delay_alu instid0(VALU_DEP_4) | instskip(NEXT) | instid1(VALU_DEP_3)
	v_fma_f64 v[35:36], v[37:38], v[35:36], s[72:73]
	v_add_f64 v[53:54], v[45:46], -v[51:52]
	v_add_f64 v[43:44], v[43:44], -v[51:52]
	s_delay_alu instid0(VALU_DEP_4) | instskip(NEXT) | instid1(VALU_DEP_4)
	v_add_f64 v[47:48], v[41:42], v[31:32]
	v_fma_f64 v[35:36], v[37:38], v[35:36], s[74:75]
	s_delay_alu instid0(VALU_DEP_4) | instskip(NEXT) | instid1(VALU_DEP_2)
	v_add_f64 v[39:40], v[39:40], -v[53:54]
	v_fma_f64 v[35:36], v[37:38], v[35:36], s[76:77]
	s_delay_alu instid0(VALU_DEP_2) | instskip(SKIP_1) | instid1(VALU_DEP_3)
	v_add_f64 v[39:40], v[43:44], v[39:40]
	v_add_f64 v[43:44], v[47:48], -v[41:42]
	v_fma_f64 v[35:36], v[37:38], v[35:36], s[78:79]
	s_delay_alu instid0(VALU_DEP_3) | instskip(NEXT) | instid1(VALU_DEP_3)
	v_add_f64 v[39:40], v[47:48], v[39:40]
	v_add_f64 v[47:48], v[47:48], -v[43:44]
	v_add_f64 v[31:32], v[31:32], -v[43:44]
	s_delay_alu instid0(VALU_DEP_4) | instskip(NEXT) | instid1(VALU_DEP_4)
	v_fma_f64 v[35:36], v[37:38], v[35:36], s[80:81]
	v_add_f64 v[49:50], v[45:46], v[39:40]
	s_delay_alu instid0(VALU_DEP_2) | instskip(SKIP_1) | instid1(VALU_DEP_3)
	v_mul_f64 v[35:36], v[37:38], v[35:36]
	v_add_f64 v[37:38], v[41:42], -v[47:48]
	v_add_f64 v[41:42], v[49:50], -v[45:46]
	s_delay_alu instid0(VALU_DEP_3) | instskip(NEXT) | instid1(VALU_DEP_3)
	v_fma_f64 v[33:34], v[33:34], v[35:36], v[33:34]
	v_add_f64 v[31:32], v[31:32], v[37:38]
	s_delay_alu instid0(VALU_DEP_3) | instskip(NEXT) | instid1(VALU_DEP_3)
	v_add_f64 v[35:36], v[39:40], -v[41:42]
	v_add_f64 v[37:38], -v[33:34], s[82:83]
	s_delay_alu instid0(VALU_DEP_2) | instskip(NEXT) | instid1(VALU_DEP_2)
	v_add_f64 v[31:32], v[31:32], v[35:36]
	v_cndmask_b32_e64 v34, v34, v38, s2
	s_delay_alu instid0(VALU_DEP_3) | instskip(NEXT) | instid1(VALU_DEP_1)
	v_cndmask_b32_e64 v33, v33, v37, s2
	v_add_f64 v[35:36], -v[33:34], s[12:13]
	s_delay_alu instid0(VALU_DEP_4) | instskip(NEXT) | instid1(VALU_DEP_2)
	v_add_f64 v[31:32], v[49:50], v[31:32]
	v_cndmask_b32_e64 v18, v33, v35, s3
	s_delay_alu instid0(VALU_DEP_2)
	v_dual_cndmask_b32 v32, v32, v15 :: v_dual_cndmask_b32 v31, v31, v14
	v_cmp_eq_f64_e32 vcc_lo, 0, v[3:4]
	v_and_b32_e32 v13, 0x54442d18, v7
	v_cndmask_b32_e64 v7, v34, v36, s3
	v_cmp_nge_f64_e64 s3, -1.0, v[14:15]
	v_mul_f64 v[31:32], v[31:32], 0.5
	s_delay_alu instid0(VALU_DEP_3) | instskip(SKIP_2) | instid1(VALU_DEP_4)
	v_cndmask_b32_e32 v2, v7, v2, vcc_lo
	v_cndmask_b32_e32 v18, v18, v13, vcc_lo
	v_cmp_ngt_f64_e32 vcc_lo, -1.0, v[14:15]
	v_cndmask_b32_e64 v13, 0, v31, s3
	v_cmp_neq_f64_e64 s3, -1.0, v[14:15]
	v_cndmask_b32_e32 v7, 0x7ff80000, v32, vcc_lo
	s_and_b32 vcc_lo, s5, s4
	v_cndmask_b32_e32 v32, v2, v1, vcc_lo
	v_cndmask_b32_e32 v31, v18, v11, vcc_lo
	s_delay_alu instid0(VALU_DEP_3)
	v_cndmask_b32_e64 v14, 0xfff00000, v7, s3
.LBB192_120:                            ;   in Loop: Header=BB192_5 Depth=1
	s_or_b32 exec_lo, exec_lo, vcc_hi
.LBB192_121:                            ;   in Loop: Header=BB192_5 Depth=1
	s_delay_alu instid0(SALU_CYCLE_1)
	s_or_b32 exec_lo, exec_lo, s104
.LBB192_122:                            ;   in Loop: Header=BB192_5 Depth=1
	s_and_not1_saveexec_b32 s5, s103
	s_cbranch_execz .LBB192_124
; %bb.123:                              ;   in Loop: Header=BB192_5 Depth=1
	v_max_f64 v[13:14], |v[3:4]|, |v[3:4]|
	v_max_f64 v[31:32], |v[1:2]|, |v[1:2]|
	v_cmp_class_f64_e64 s6, v[1:2], 0x204
	v_cmp_class_f64_e64 s7, v[3:4], 0x204
	s_mov_b32 s93, s23
	s_mov_b32 s12, s82
	v_cmp_eq_f64_e64 s4, 0, v[3:4]
	s_delay_alu instid0(VALU_DEP_4) | instskip(SKIP_1) | instid1(VALU_DEP_4)
	v_max_f64 v[33:34], v[31:32], v[13:14]
	v_min_f64 v[13:14], v[31:32], v[13:14]
	s_or_b32 s8, s6, s7
	s_delay_alu instid0(VALU_DEP_2) | instskip(NEXT) | instid1(VALU_DEP_1)
	v_frexp_exp_i32_f64_e32 v7, v[33:34]
	v_sub_nc_u32_e32 v11, 0, v7
	s_delay_alu instid0(VALU_DEP_1) | instskip(SKIP_1) | instid1(VALU_DEP_2)
	v_ldexp_f64 v[35:36], |v[3:4]|, v11
	v_ldexp_f64 v[37:38], |v[1:2]|, v11
	v_mul_f64 v[35:36], v[35:36], v[35:36]
	s_delay_alu instid0(VALU_DEP_1) | instskip(NEXT) | instid1(VALU_DEP_1)
	v_fma_f64 v[35:36], v[37:38], v[37:38], v[35:36]
	v_rsq_f64_e32 v[37:38], v[35:36]
	v_cmp_eq_f64_e32 vcc_lo, 0, v[35:36]
	s_waitcnt_depctr 0xfff
	v_mul_f64 v[39:40], v[35:36], v[37:38]
	v_mul_f64 v[37:38], v[37:38], 0.5
	s_delay_alu instid0(VALU_DEP_1) | instskip(NEXT) | instid1(VALU_DEP_1)
	v_fma_f64 v[41:42], -v[37:38], v[39:40], 0.5
	v_fma_f64 v[39:40], v[39:40], v[41:42], v[39:40]
	v_fma_f64 v[37:38], v[37:38], v[41:42], v[37:38]
	s_delay_alu instid0(VALU_DEP_2) | instskip(NEXT) | instid1(VALU_DEP_1)
	v_fma_f64 v[41:42], -v[39:40], v[39:40], v[35:36]
	v_fma_f64 v[37:38], v[41:42], v[37:38], v[39:40]
	s_delay_alu instid0(VALU_DEP_1) | instskip(SKIP_1) | instid1(VALU_DEP_2)
	v_dual_cndmask_b32 v36, v38, v36 :: v_dual_cndmask_b32 v35, v37, v35
	v_div_scale_f64 v[59:60], vcc_lo, v[13:14], v[33:34], v[13:14]
	v_ldexp_f64 v[35:36], v[35:36], v7
	s_delay_alu instid0(VALU_DEP_1) | instskip(NEXT) | instid1(VALU_DEP_2)
	v_cndmask_b32_e64 v38, v36, 0x7ff00000, s8
	v_cndmask_b32_e64 v37, v35, 0, s8
	s_delay_alu instid0(VALU_DEP_1) | instskip(SKIP_1) | instid1(VALU_DEP_2)
	v_frexp_mant_f64_e32 v[39:40], v[37:38]
	v_frexp_exp_i32_f64_e32 v1, v[37:38]
	v_cmp_gt_f64_e64 s3, s[22:23], v[39:40]
	s_delay_alu instid0(VALU_DEP_1) | instskip(NEXT) | instid1(VALU_DEP_1)
	v_cndmask_b32_e64 v18, 0x3ff00000, 2.0, s3
	v_mul_f64 v[39:40], v[39:40], v[17:18]
	s_delay_alu instid0(VALU_DEP_1) | instskip(SKIP_1) | instid1(VALU_DEP_2)
	v_add_f64 v[41:42], v[39:40], 1.0
	v_add_f64 v[47:48], v[39:40], -1.0
	v_rcp_f64_e32 v[43:44], v[41:42]
	v_add_f64 v[49:50], v[41:42], -1.0
	s_delay_alu instid0(VALU_DEP_1) | instskip(SKIP_2) | instid1(VALU_DEP_1)
	v_add_f64 v[39:40], v[39:40], -v[49:50]
	s_waitcnt_depctr 0xfff
	v_fma_f64 v[45:46], -v[41:42], v[43:44], 1.0
	v_fma_f64 v[43:44], v[45:46], v[43:44], v[43:44]
	s_delay_alu instid0(VALU_DEP_1) | instskip(NEXT) | instid1(VALU_DEP_1)
	v_fma_f64 v[45:46], -v[41:42], v[43:44], 1.0
	v_fma_f64 v[43:44], v[45:46], v[43:44], v[43:44]
	v_div_scale_f64 v[45:46], null, v[33:34], v[33:34], v[13:14]
	s_delay_alu instid0(VALU_DEP_2) | instskip(NEXT) | instid1(VALU_DEP_2)
	v_mul_f64 v[31:32], v[47:48], v[43:44]
	v_rcp_f64_e32 v[53:54], v[45:46]
	s_delay_alu instid0(VALU_DEP_1) | instskip(SKIP_3) | instid1(VALU_DEP_1)
	v_mul_f64 v[51:52], v[41:42], v[31:32]
	s_waitcnt_depctr 0xfff
	v_fma_f64 v[49:50], -v[45:46], v[53:54], 1.0
	v_fma_f64 v[41:42], v[31:32], v[41:42], -v[51:52]
	v_fma_f64 v[39:40], v[31:32], v[39:40], v[41:42]
	s_delay_alu instid0(VALU_DEP_3) | instskip(NEXT) | instid1(VALU_DEP_2)
	v_fma_f64 v[41:42], v[53:54], v[49:50], v[53:54]
	v_add_f64 v[49:50], v[51:52], v[39:40]
	s_delay_alu instid0(VALU_DEP_2) | instskip(NEXT) | instid1(VALU_DEP_2)
	v_fma_f64 v[53:54], -v[45:46], v[41:42], 1.0
	v_add_f64 v[57:58], v[47:48], -v[49:50]
	s_delay_alu instid0(VALU_DEP_2) | instskip(SKIP_1) | instid1(VALU_DEP_3)
	v_fma_f64 v[41:42], v[41:42], v[53:54], v[41:42]
	v_add_f64 v[51:52], v[49:50], -v[51:52]
	v_add_f64 v[47:48], v[47:48], -v[57:58]
	s_delay_alu instid0(VALU_DEP_3) | instskip(NEXT) | instid1(VALU_DEP_3)
	v_mul_f64 v[53:54], v[59:60], v[41:42]
	v_add_f64 v[39:40], v[51:52], -v[39:40]
	s_delay_alu instid0(VALU_DEP_3) | instskip(NEXT) | instid1(VALU_DEP_3)
	v_add_f64 v[47:48], v[47:48], -v[49:50]
	v_fma_f64 v[45:46], -v[45:46], v[53:54], v[59:60]
	s_delay_alu instid0(VALU_DEP_2) | instskip(NEXT) | instid1(VALU_DEP_2)
	v_add_f64 v[39:40], v[39:40], v[47:48]
	v_div_fmas_f64 v[41:42], v[45:46], v[41:42], v[53:54]
	v_subrev_co_ci_u32_e64 v1, vcc_lo, 0, v1, s3
	v_cmp_class_f64_e64 s3, v[35:36], 0x204
	v_cmp_gt_i32_e32 vcc_lo, 0, v2
	v_add_f64 v[39:40], v[57:58], v[39:40]
	v_div_fixup_f64 v[13:14], v[41:42], v[33:34], v[13:14]
	s_delay_alu instid0(VALU_DEP_2) | instskip(NEXT) | instid1(VALU_DEP_2)
	v_mul_f64 v[33:34], v[43:44], v[39:40]
	v_mul_f64 v[39:40], v[13:14], v[13:14]
	s_delay_alu instid0(VALU_DEP_2) | instskip(NEXT) | instid1(VALU_DEP_2)
	v_add_f64 v[41:42], v[31:32], v[33:34]
	v_fma_f64 v[43:44], v[39:40], s[44:45], s[42:43]
	s_delay_alu instid0(VALU_DEP_2) | instskip(NEXT) | instid1(VALU_DEP_2)
	v_mul_f64 v[45:46], v[41:42], v[41:42]
	v_fma_f64 v[43:44], v[39:40], v[43:44], s[46:47]
	v_add_f64 v[31:32], v[41:42], -v[31:32]
	s_delay_alu instid0(VALU_DEP_3) | instskip(NEXT) | instid1(VALU_DEP_3)
	v_fma_f64 v[47:48], v[45:46], s[26:27], s[24:25]
	v_fma_f64 v[43:44], v[39:40], v[43:44], s[48:49]
	v_mul_f64 v[49:50], v[41:42], v[45:46]
	s_delay_alu instid0(VALU_DEP_4) | instskip(NEXT) | instid1(VALU_DEP_4)
	v_add_f64 v[31:32], v[33:34], -v[31:32]
	v_fma_f64 v[47:48], v[45:46], v[47:48], s[28:29]
	s_delay_alu instid0(VALU_DEP_4) | instskip(NEXT) | instid1(VALU_DEP_3)
	v_fma_f64 v[43:44], v[39:40], v[43:44], s[50:51]
	v_ldexp_f64 v[31:32], v[31:32], 1
	s_delay_alu instid0(VALU_DEP_3) | instskip(NEXT) | instid1(VALU_DEP_3)
	v_fma_f64 v[47:48], v[45:46], v[47:48], s[30:31]
	v_fma_f64 v[43:44], v[39:40], v[43:44], s[52:53]
	s_delay_alu instid0(VALU_DEP_2) | instskip(NEXT) | instid1(VALU_DEP_2)
	v_fma_f64 v[47:48], v[45:46], v[47:48], s[34:35]
	v_fma_f64 v[43:44], v[39:40], v[43:44], s[54:55]
	s_delay_alu instid0(VALU_DEP_2) | instskip(NEXT) | instid1(VALU_DEP_2)
	v_fma_f64 v[47:48], v[45:46], v[47:48], s[36:37]
	v_fma_f64 v[43:44], v[39:40], v[43:44], s[56:57]
	s_delay_alu instid0(VALU_DEP_2) | instskip(NEXT) | instid1(VALU_DEP_2)
	v_fma_f64 v[45:46], v[45:46], v[47:48], s[92:93]
	v_fma_f64 v[43:44], v[39:40], v[43:44], s[58:59]
	v_ldexp_f64 v[47:48], v[41:42], 1
	s_delay_alu instid0(VALU_DEP_3) | instskip(NEXT) | instid1(VALU_DEP_3)
	v_mul_f64 v[45:46], v[49:50], v[45:46]
	v_fma_f64 v[43:44], v[39:40], v[43:44], s[60:61]
	v_cvt_f64_i32_e32 v[49:50], v1
	v_ashrrev_i32_e32 v1, 31, v2
	s_delay_alu instid0(VALU_DEP_1) | instskip(SKIP_4) | instid1(VALU_DEP_3)
	v_dual_cndmask_b32 v2, 0x54442d18, v55 :: v_dual_and_b32 v7, 0x54442d18, v1
	v_and_b32_e32 v1, 0x400921fb, v1
	v_add_f64 v[41:42], v[47:48], v[45:46]
	v_fma_f64 v[43:44], v[39:40], v[43:44], s[62:63]
	v_mul_f64 v[51:52], v[49:50], s[38:39]
	v_add_f64 v[33:34], v[41:42], -v[47:48]
	s_delay_alu instid0(VALU_DEP_3) | instskip(NEXT) | instid1(VALU_DEP_3)
	v_fma_f64 v[43:44], v[39:40], v[43:44], s[64:65]
	v_fma_f64 v[47:48], v[49:50], s[38:39], -v[51:52]
	s_delay_alu instid0(VALU_DEP_3) | instskip(NEXT) | instid1(VALU_DEP_3)
	v_add_f64 v[33:34], v[45:46], -v[33:34]
	v_fma_f64 v[43:44], v[39:40], v[43:44], s[66:67]
	s_delay_alu instid0(VALU_DEP_3) | instskip(NEXT) | instid1(VALU_DEP_3)
	v_fma_f64 v[45:46], v[49:50], s[40:41], v[47:48]
	v_add_f64 v[31:32], v[31:32], v[33:34]
	s_delay_alu instid0(VALU_DEP_3) | instskip(NEXT) | instid1(VALU_DEP_3)
	v_fma_f64 v[33:34], v[39:40], v[43:44], s[68:69]
	v_add_f64 v[43:44], v[51:52], v[45:46]
	s_delay_alu instid0(VALU_DEP_3) | instskip(NEXT) | instid1(VALU_DEP_3)
	v_add_f64 v[47:48], v[41:42], v[31:32]
	v_fma_f64 v[33:34], v[39:40], v[33:34], s[70:71]
	s_delay_alu instid0(VALU_DEP_3) | instskip(NEXT) | instid1(VALU_DEP_3)
	v_add_f64 v[51:52], v[43:44], -v[51:52]
	v_add_f64 v[49:50], v[43:44], v[47:48]
	s_delay_alu instid0(VALU_DEP_3) | instskip(SKIP_1) | instid1(VALU_DEP_4)
	v_fma_f64 v[33:34], v[39:40], v[33:34], s[72:73]
	v_add_f64 v[41:42], v[47:48], -v[41:42]
	v_add_f64 v[45:46], v[45:46], -v[51:52]
	s_delay_alu instid0(VALU_DEP_4) | instskip(NEXT) | instid1(VALU_DEP_4)
	v_add_f64 v[53:54], v[49:50], -v[43:44]
	v_fma_f64 v[33:34], v[39:40], v[33:34], s[74:75]
	s_delay_alu instid0(VALU_DEP_4) | instskip(NEXT) | instid1(VALU_DEP_3)
	v_add_f64 v[31:32], v[31:32], -v[41:42]
	v_add_f64 v[57:58], v[49:50], -v[53:54]
	s_delay_alu instid0(VALU_DEP_3) | instskip(SKIP_1) | instid1(VALU_DEP_4)
	v_fma_f64 v[33:34], v[39:40], v[33:34], s[76:77]
	v_add_f64 v[41:42], v[47:48], -v[53:54]
	v_add_f64 v[47:48], v[45:46], v[31:32]
	s_delay_alu instid0(VALU_DEP_4) | instskip(NEXT) | instid1(VALU_DEP_4)
	v_add_f64 v[43:44], v[43:44], -v[57:58]
	v_fma_f64 v[33:34], v[39:40], v[33:34], s[78:79]
	s_delay_alu instid0(VALU_DEP_2) | instskip(NEXT) | instid1(VALU_DEP_2)
	v_add_f64 v[41:42], v[41:42], v[43:44]
	v_fma_f64 v[33:34], v[39:40], v[33:34], s[80:81]
	v_add_f64 v[43:44], v[47:48], -v[45:46]
	s_delay_alu instid0(VALU_DEP_3) | instskip(NEXT) | instid1(VALU_DEP_3)
	v_add_f64 v[41:42], v[47:48], v[41:42]
	v_mul_f64 v[33:34], v[39:40], v[33:34]
	s_delay_alu instid0(VALU_DEP_3) | instskip(SKIP_1) | instid1(VALU_DEP_4)
	v_add_f64 v[39:40], v[47:48], -v[43:44]
	v_add_f64 v[31:32], v[31:32], -v[43:44]
	v_add_f64 v[47:48], v[49:50], v[41:42]
	s_delay_alu instid0(VALU_DEP_4) | instskip(NEXT) | instid1(VALU_DEP_4)
	v_fma_f64 v[13:14], v[13:14], v[33:34], v[13:14]
	v_add_f64 v[33:34], v[45:46], -v[39:40]
	s_delay_alu instid0(VALU_DEP_3) | instskip(NEXT) | instid1(VALU_DEP_3)
	v_add_f64 v[39:40], v[47:48], -v[49:50]
	v_add_f64 v[43:44], -v[13:14], s[82:83]
	s_delay_alu instid0(VALU_DEP_3) | instskip(NEXT) | instid1(VALU_DEP_3)
	v_add_f64 v[31:32], v[31:32], v[33:34]
	v_add_f64 v[33:34], v[41:42], -v[39:40]
	s_delay_alu instid0(VALU_DEP_3) | instskip(NEXT) | instid1(VALU_DEP_4)
	v_cndmask_b32_e64 v14, v14, v44, s2
	v_cndmask_b32_e64 v13, v13, v43, s2
	s_delay_alu instid0(VALU_DEP_3) | instskip(NEXT) | instid1(VALU_DEP_2)
	v_add_f64 v[31:32], v[31:32], v[33:34]
	v_add_f64 v[33:34], -v[13:14], s[12:13]
	s_delay_alu instid0(VALU_DEP_2) | instskip(NEXT) | instid1(VALU_DEP_2)
	v_add_f64 v[31:32], v[47:48], v[31:32]
	v_dual_cndmask_b32 v11, v13, v33 :: v_dual_cndmask_b32 v14, v14, v34
	v_cndmask_b32_e32 v13, 0x3fe921fb, v56, vcc_lo
	v_cmp_ngt_f64_e32 vcc_lo, 0, v[37:38]
	s_delay_alu instid0(VALU_DEP_3) | instskip(NEXT) | instid1(VALU_DEP_4)
	v_cndmask_b32_e64 v7, v11, v7, s4
	v_cndmask_b32_e64 v1, v14, v1, s4
	s_delay_alu instid0(VALU_DEP_4) | instskip(SKIP_3) | instid1(VALU_DEP_3)
	v_bfi_b32 v13, 0x7fffffff, v13, v4
	v_cndmask_b32_e64 v15, v32, v36, s3
	v_cndmask_b32_e64 v18, v31, v35, s3
	v_cmp_nge_f64_e64 s3, 0, v[37:38]
	v_cndmask_b32_e64 v15, v15, 0x7ff00000, s8
	s_delay_alu instid0(VALU_DEP_3) | instskip(NEXT) | instid1(VALU_DEP_2)
	v_cndmask_b32_e64 v11, v18, 0, s8
	v_cndmask_b32_e32 v14, 0x7ff80000, v15, vcc_lo
	s_and_b32 vcc_lo, s6, s7
	v_dual_cndmask_b32 v32, v1, v13 :: v_dual_cndmask_b32 v31, v7, v2
	s_delay_alu instid0(VALU_DEP_3) | instskip(SKIP_1) | instid1(VALU_DEP_1)
	v_cndmask_b32_e64 v13, 0, v11, s3
	v_cmp_neq_f64_e64 s3, 0, v[37:38]
	v_cndmask_b32_e64 v14, 0xfff00000, v14, s3
.LBB192_124:                            ;   in Loop: Header=BB192_5 Depth=1
	s_or_b32 exec_lo, exec_lo, s5
                                        ; implicit-def: $vgpr35_vgpr36
.LBB192_125:                            ;   in Loop: Header=BB192_5 Depth=1
	s_and_not1_saveexec_b32 s5, s99
	s_cbranch_execz .LBB192_131
; %bb.126:                              ;   in Loop: Header=BB192_5 Depth=1
                                        ; implicit-def: $vgpr13_vgpr14
                                        ; implicit-def: $vgpr31_vgpr32
	s_mov_b32 s3, exec_lo
	v_cmpx_ngt_f64_e32 s[86:87], v[35:36]
	s_xor_b32 s6, exec_lo, s3
	s_cbranch_execz .LBB192_128
; %bb.127:                              ;   in Loop: Header=BB192_5 Depth=1
	v_mul_f64 v[13:14], v[35:36], v[35:36]
	s_mov_b32 s93, s23
	s_mov_b32 s12, s82
	v_cmp_eq_f64_e64 s4, 0, v[3:4]
	v_cmp_class_f64_e64 s7, v[3:4], 0x204
	v_cmp_class_f64_e64 s8, v[1:2], 0x204
	v_cmp_gt_i32_e64 s3, 0, v2
	v_add_f64 v[31:32], v[13:14], 1.0
	s_delay_alu instid0(VALU_DEP_1) | instskip(SKIP_2) | instid1(VALU_DEP_3)
	v_frexp_mant_f64_e32 v[33:34], v[31:32]
	v_frexp_exp_i32_f64_e32 v7, v[31:32]
	v_add_f64 v[35:36], v[31:32], -1.0
	v_cmp_gt_f64_e32 vcc_lo, s[22:23], v[33:34]
	s_delay_alu instid0(VALU_DEP_2) | instskip(SKIP_2) | instid1(VALU_DEP_3)
	v_add_f64 v[33:34], v[35:36], -v[31:32]
	v_add_f64 v[35:36], v[13:14], -v[35:36]
	v_subrev_co_ci_u32_e32 v7, vcc_lo, 0, v7, vcc_lo
	v_add_f64 v[33:34], v[33:34], 1.0
	s_delay_alu instid0(VALU_DEP_2) | instskip(NEXT) | instid1(VALU_DEP_1)
	v_sub_nc_u32_e32 v11, 0, v7
	v_ldexp_f64 v[31:32], v[31:32], v11
	s_delay_alu instid0(VALU_DEP_3) | instskip(NEXT) | instid1(VALU_DEP_2)
	v_add_f64 v[33:34], v[35:36], v[33:34]
	v_add_f64 v[37:38], v[31:32], 1.0
	v_add_f64 v[43:44], v[31:32], -1.0
	s_delay_alu instid0(VALU_DEP_3) | instskip(SKIP_1) | instid1(VALU_DEP_4)
	v_ldexp_f64 v[33:34], v[33:34], v11
	v_cndmask_b32_e64 v11, 0x54442d18, v55, s3
	v_add_f64 v[35:36], v[37:38], -1.0
	s_delay_alu instid0(VALU_DEP_4) | instskip(NEXT) | instid1(VALU_DEP_2)
	v_add_f64 v[45:46], v[43:44], 1.0
	v_add_f64 v[35:36], v[31:32], -v[35:36]
	s_delay_alu instid0(VALU_DEP_2) | instskip(NEXT) | instid1(VALU_DEP_2)
	v_add_f64 v[31:32], v[31:32], -v[45:46]
	v_add_f64 v[35:36], v[33:34], v[35:36]
	s_delay_alu instid0(VALU_DEP_2) | instskip(NEXT) | instid1(VALU_DEP_2)
	v_add_f64 v[31:32], v[33:34], v[31:32]
	v_add_f64 v[39:40], v[37:38], v[35:36]
	s_delay_alu instid0(VALU_DEP_2) | instskip(NEXT) | instid1(VALU_DEP_2)
	v_add_f64 v[45:46], v[43:44], v[31:32]
	v_rcp_f64_e32 v[41:42], v[39:40]
	v_add_f64 v[37:38], v[37:38], -v[39:40]
	s_delay_alu instid0(VALU_DEP_2) | instskip(NEXT) | instid1(VALU_DEP_2)
	v_add_f64 v[43:44], v[43:44], -v[45:46]
	v_add_f64 v[35:36], v[35:36], v[37:38]
	s_waitcnt_depctr 0xfff
	v_fma_f64 v[47:48], -v[39:40], v[41:42], 1.0
	v_add_f64 v[31:32], v[31:32], v[43:44]
	s_delay_alu instid0(VALU_DEP_2) | instskip(NEXT) | instid1(VALU_DEP_1)
	v_fma_f64 v[41:42], v[47:48], v[41:42], v[41:42]
	v_fma_f64 v[33:34], -v[39:40], v[41:42], 1.0
	s_delay_alu instid0(VALU_DEP_1) | instskip(NEXT) | instid1(VALU_DEP_1)
	v_fma_f64 v[33:34], v[33:34], v[41:42], v[41:42]
	v_mul_f64 v[41:42], v[45:46], v[33:34]
	s_delay_alu instid0(VALU_DEP_1) | instskip(NEXT) | instid1(VALU_DEP_1)
	v_mul_f64 v[47:48], v[39:40], v[41:42]
	v_fma_f64 v[37:38], v[41:42], v[39:40], -v[47:48]
	s_delay_alu instid0(VALU_DEP_1) | instskip(NEXT) | instid1(VALU_DEP_1)
	v_fma_f64 v[37:38], v[41:42], v[35:36], v[37:38]
	v_add_f64 v[49:50], v[47:48], v[37:38]
	s_delay_alu instid0(VALU_DEP_1) | instskip(SKIP_2) | instid1(VALU_DEP_3)
	v_add_f64 v[51:52], v[45:46], -v[49:50]
	v_add_f64 v[43:44], v[49:50], -v[47:48]
	v_max_f64 v[47:48], |v[3:4]|, |v[3:4]|
	v_add_f64 v[45:46], v[45:46], -v[51:52]
	s_delay_alu instid0(VALU_DEP_3) | instskip(NEXT) | instid1(VALU_DEP_2)
	v_add_f64 v[37:38], v[43:44], -v[37:38]
	v_add_f64 v[45:46], v[45:46], -v[49:50]
	v_max_f64 v[49:50], |v[1:2]|, |v[1:2]|
	s_delay_alu instid0(VALU_DEP_2) | instskip(NEXT) | instid1(VALU_DEP_2)
	v_add_f64 v[31:32], v[31:32], v[45:46]
	v_max_f64 v[53:54], v[49:50], v[47:48]
	v_min_f64 v[47:48], v[49:50], v[47:48]
	s_delay_alu instid0(VALU_DEP_3) | instskip(NEXT) | instid1(VALU_DEP_1)
	v_add_f64 v[31:32], v[37:38], v[31:32]
	v_add_f64 v[37:38], v[51:52], v[31:32]
	s_delay_alu instid0(VALU_DEP_1) | instskip(SKIP_1) | instid1(VALU_DEP_2)
	v_mul_f64 v[43:44], v[33:34], v[37:38]
	v_add_f64 v[51:52], v[51:52], -v[37:38]
	v_mul_f64 v[45:46], v[39:40], v[43:44]
	s_delay_alu instid0(VALU_DEP_2) | instskip(NEXT) | instid1(VALU_DEP_2)
	v_add_f64 v[31:32], v[31:32], v[51:52]
	v_fma_f64 v[39:40], v[43:44], v[39:40], -v[45:46]
	s_delay_alu instid0(VALU_DEP_1) | instskip(SKIP_1) | instid1(VALU_DEP_2)
	v_fma_f64 v[35:36], v[43:44], v[35:36], v[39:40]
	v_div_scale_f64 v[39:40], null, v[53:54], v[53:54], v[47:48]
	v_add_f64 v[49:50], v[45:46], v[35:36]
	s_delay_alu instid0(VALU_DEP_2) | instskip(NEXT) | instid1(VALU_DEP_1)
	v_rcp_f64_e32 v[57:58], v[39:40]
	v_add_f64 v[59:60], v[37:38], -v[49:50]
	v_add_f64 v[45:46], v[49:50], -v[45:46]
	s_waitcnt_depctr 0xfff
	v_fma_f64 v[61:62], -v[39:40], v[57:58], 1.0
	v_add_f64 v[37:38], v[37:38], -v[59:60]
	v_add_f64 v[35:36], v[45:46], -v[35:36]
	s_delay_alu instid0(VALU_DEP_3) | instskip(NEXT) | instid1(VALU_DEP_3)
	v_fma_f64 v[57:58], v[57:58], v[61:62], v[57:58]
	v_add_f64 v[37:38], v[37:38], -v[49:50]
	s_delay_alu instid0(VALU_DEP_2) | instskip(NEXT) | instid1(VALU_DEP_2)
	v_fma_f64 v[49:50], -v[39:40], v[57:58], 1.0
	v_add_f64 v[31:32], v[31:32], v[37:38]
	v_div_scale_f64 v[37:38], vcc_lo, v[47:48], v[53:54], v[47:48]
	s_delay_alu instid0(VALU_DEP_3) | instskip(SKIP_1) | instid1(VALU_DEP_4)
	v_fma_f64 v[45:46], v[57:58], v[49:50], v[57:58]
	v_add_f64 v[49:50], v[41:42], v[43:44]
	v_add_f64 v[31:32], v[35:36], v[31:32]
	s_delay_alu instid0(VALU_DEP_3) | instskip(NEXT) | instid1(VALU_DEP_3)
	v_mul_f64 v[35:36], v[37:38], v[45:46]
	v_add_f64 v[41:42], v[49:50], -v[41:42]
	s_delay_alu instid0(VALU_DEP_3) | instskip(NEXT) | instid1(VALU_DEP_3)
	v_add_f64 v[31:32], v[59:60], v[31:32]
	v_fma_f64 v[37:38], -v[39:40], v[35:36], v[37:38]
	s_delay_alu instid0(VALU_DEP_3) | instskip(NEXT) | instid1(VALU_DEP_3)
	v_add_f64 v[39:40], v[43:44], -v[41:42]
	v_mul_f64 v[31:32], v[33:34], v[31:32]
	s_delay_alu instid0(VALU_DEP_3) | instskip(SKIP_1) | instid1(VALU_DEP_3)
	v_div_fmas_f64 v[33:34], v[37:38], v[45:46], v[35:36]
	v_cmp_eq_f64_e32 vcc_lo, 0x7ff00000, v[13:14]
	v_add_f64 v[31:32], v[39:40], v[31:32]
	s_delay_alu instid0(VALU_DEP_3) | instskip(NEXT) | instid1(VALU_DEP_2)
	v_div_fixup_f64 v[33:34], v[33:34], v[53:54], v[47:48]
	v_add_f64 v[35:36], v[49:50], v[31:32]
	s_delay_alu instid0(VALU_DEP_2) | instskip(NEXT) | instid1(VALU_DEP_2)
	v_mul_f64 v[37:38], v[33:34], v[33:34]
	v_mul_f64 v[39:40], v[35:36], v[35:36]
	s_delay_alu instid0(VALU_DEP_2) | instskip(NEXT) | instid1(VALU_DEP_2)
	v_fma_f64 v[41:42], v[37:38], s[44:45], s[42:43]
	v_fma_f64 v[43:44], v[39:40], s[26:27], s[24:25]
	v_mul_f64 v[45:46], v[35:36], v[39:40]
	s_delay_alu instid0(VALU_DEP_3) | instskip(NEXT) | instid1(VALU_DEP_3)
	v_fma_f64 v[41:42], v[37:38], v[41:42], s[46:47]
	v_fma_f64 v[43:44], v[39:40], v[43:44], s[28:29]
	s_delay_alu instid0(VALU_DEP_2) | instskip(NEXT) | instid1(VALU_DEP_2)
	v_fma_f64 v[41:42], v[37:38], v[41:42], s[48:49]
	v_fma_f64 v[43:44], v[39:40], v[43:44], s[30:31]
	s_delay_alu instid0(VALU_DEP_2) | instskip(NEXT) | instid1(VALU_DEP_2)
	;; [unrolled: 3-line block ×4, first 2 shown]
	v_fma_f64 v[41:42], v[37:38], v[41:42], s[54:55]
	v_fma_f64 v[39:40], v[39:40], v[43:44], s[92:93]
	v_ldexp_f64 v[43:44], v[35:36], 1
	v_add_f64 v[35:36], v[35:36], -v[49:50]
	s_delay_alu instid0(VALU_DEP_4) | instskip(NEXT) | instid1(VALU_DEP_4)
	v_fma_f64 v[41:42], v[37:38], v[41:42], s[56:57]
	v_mul_f64 v[39:40], v[45:46], v[39:40]
	v_cvt_f64_i32_e32 v[45:46], v7
	s_delay_alu instid0(VALU_DEP_4) | instskip(NEXT) | instid1(VALU_DEP_4)
	v_add_f64 v[31:32], v[31:32], -v[35:36]
	v_fma_f64 v[41:42], v[37:38], v[41:42], s[58:59]
	v_ashrrev_i32_e32 v7, 31, v2
	v_add_f64 v[47:48], v[43:44], v[39:40]
	v_mul_f64 v[49:50], v[45:46], s[38:39]
	v_ldexp_f64 v[31:32], v[31:32], 1
	v_fma_f64 v[41:42], v[37:38], v[41:42], s[60:61]
	s_delay_alu instid0(VALU_DEP_4) | instskip(NEXT) | instid1(VALU_DEP_4)
	v_add_f64 v[35:36], v[47:48], -v[43:44]
	v_fma_f64 v[43:44], v[45:46], s[38:39], -v[49:50]
	s_delay_alu instid0(VALU_DEP_3) | instskip(NEXT) | instid1(VALU_DEP_3)
	v_fma_f64 v[41:42], v[37:38], v[41:42], s[62:63]
	v_add_f64 v[35:36], v[39:40], -v[35:36]
	s_delay_alu instid0(VALU_DEP_2) | instskip(NEXT) | instid1(VALU_DEP_4)
	v_fma_f64 v[39:40], v[37:38], v[41:42], s[64:65]
	v_fma_f64 v[41:42], v[45:46], s[40:41], v[43:44]
	s_delay_alu instid0(VALU_DEP_3) | instskip(NEXT) | instid1(VALU_DEP_3)
	v_add_f64 v[31:32], v[31:32], v[35:36]
	v_fma_f64 v[35:36], v[37:38], v[39:40], s[66:67]
	s_delay_alu instid0(VALU_DEP_3) | instskip(NEXT) | instid1(VALU_DEP_3)
	v_add_f64 v[39:40], v[49:50], v[41:42]
	v_add_f64 v[43:44], v[47:48], v[31:32]
	s_delay_alu instid0(VALU_DEP_3) | instskip(NEXT) | instid1(VALU_DEP_3)
	v_fma_f64 v[35:36], v[37:38], v[35:36], s[68:69]
	v_add_f64 v[49:50], v[39:40], -v[49:50]
	s_delay_alu instid0(VALU_DEP_3) | instskip(SKIP_1) | instid1(VALU_DEP_4)
	v_add_f64 v[45:46], v[39:40], v[43:44]
	v_add_f64 v[47:48], v[43:44], -v[47:48]
	v_fma_f64 v[35:36], v[37:38], v[35:36], s[70:71]
	s_delay_alu instid0(VALU_DEP_4) | instskip(NEXT) | instid1(VALU_DEP_4)
	v_add_f64 v[41:42], v[41:42], -v[49:50]
	v_add_f64 v[51:52], v[45:46], -v[39:40]
	s_delay_alu instid0(VALU_DEP_4) | instskip(NEXT) | instid1(VALU_DEP_4)
	v_add_f64 v[31:32], v[31:32], -v[47:48]
	v_fma_f64 v[35:36], v[37:38], v[35:36], s[72:73]
	s_delay_alu instid0(VALU_DEP_3) | instskip(SKIP_1) | instid1(VALU_DEP_4)
	v_add_f64 v[53:54], v[45:46], -v[51:52]
	v_add_f64 v[43:44], v[43:44], -v[51:52]
	v_add_f64 v[47:48], v[41:42], v[31:32]
	s_delay_alu instid0(VALU_DEP_4) | instskip(NEXT) | instid1(VALU_DEP_4)
	v_fma_f64 v[35:36], v[37:38], v[35:36], s[74:75]
	v_add_f64 v[39:40], v[39:40], -v[53:54]
	s_delay_alu instid0(VALU_DEP_2) | instskip(NEXT) | instid1(VALU_DEP_2)
	v_fma_f64 v[35:36], v[37:38], v[35:36], s[76:77]
	v_add_f64 v[39:40], v[43:44], v[39:40]
	v_add_f64 v[43:44], v[47:48], -v[41:42]
	s_delay_alu instid0(VALU_DEP_3) | instskip(NEXT) | instid1(VALU_DEP_3)
	v_fma_f64 v[35:36], v[37:38], v[35:36], s[78:79]
	v_add_f64 v[39:40], v[47:48], v[39:40]
	s_delay_alu instid0(VALU_DEP_3) | instskip(SKIP_1) | instid1(VALU_DEP_4)
	v_add_f64 v[47:48], v[47:48], -v[43:44]
	v_add_f64 v[31:32], v[31:32], -v[43:44]
	v_fma_f64 v[35:36], v[37:38], v[35:36], s[80:81]
	s_delay_alu instid0(VALU_DEP_4) | instskip(NEXT) | instid1(VALU_DEP_2)
	v_add_f64 v[49:50], v[45:46], v[39:40]
	v_mul_f64 v[35:36], v[37:38], v[35:36]
	v_add_f64 v[37:38], v[41:42], -v[47:48]
	s_delay_alu instid0(VALU_DEP_3) | instskip(NEXT) | instid1(VALU_DEP_3)
	v_add_f64 v[41:42], v[49:50], -v[45:46]
	v_fma_f64 v[33:34], v[33:34], v[35:36], v[33:34]
	s_delay_alu instid0(VALU_DEP_3) | instskip(NEXT) | instid1(VALU_DEP_3)
	v_add_f64 v[31:32], v[31:32], v[37:38]
	v_add_f64 v[35:36], v[39:40], -v[41:42]
	s_delay_alu instid0(VALU_DEP_3) | instskip(NEXT) | instid1(VALU_DEP_2)
	v_add_f64 v[37:38], -v[33:34], s[82:83]
	v_add_f64 v[31:32], v[31:32], v[35:36]
	s_delay_alu instid0(VALU_DEP_2) | instskip(NEXT) | instid1(VALU_DEP_3)
	v_cndmask_b32_e64 v34, v34, v38, s2
	v_cndmask_b32_e64 v33, v33, v37, s2
	s_delay_alu instid0(VALU_DEP_1) | instskip(NEXT) | instid1(VALU_DEP_4)
	v_add_f64 v[35:36], -v[33:34], s[12:13]
	v_add_f64 v[31:32], v[49:50], v[31:32]
	v_and_b32_e32 v15, 0x54442d18, v7
	s_delay_alu instid0(VALU_DEP_3) | instskip(NEXT) | instid1(VALU_DEP_3)
	v_cndmask_b32_e64 v18, v33, v35, s3
	v_dual_cndmask_b32 v2, v32, v14 :: v_dual_cndmask_b32 v1, v31, v13
	s_delay_alu instid0(VALU_DEP_2) | instskip(SKIP_1) | instid1(VALU_DEP_2)
	v_cndmask_b32_e64 v15, v18, v15, s4
	s_and_b32 vcc_lo, s8, s7
	v_mul_f64 v[13:14], v[1:2], 0.5
	v_and_b32_e32 v2, 0x400921fb, v7
	v_cndmask_b32_e64 v1, 0x3fe921fb, v56, s3
	v_cndmask_b32_e64 v7, v34, v36, s3
                                        ; implicit-def: $vgpr35_vgpr36
	v_cndmask_b32_e32 v31, v15, v11, vcc_lo
	s_delay_alu instid0(VALU_DEP_3) | instskip(NEXT) | instid1(VALU_DEP_3)
	v_bfi_b32 v1, 0x7fffffff, v1, v4
	v_cndmask_b32_e64 v2, v7, v2, s4
	s_delay_alu instid0(VALU_DEP_1)
	v_cndmask_b32_e32 v32, v2, v1, vcc_lo
.LBB192_128:                            ;   in Loop: Header=BB192_5 Depth=1
	s_and_not1_saveexec_b32 s4, s6
	s_cbranch_execz .LBB192_130
; %bb.129:                              ;   in Loop: Header=BB192_5 Depth=1
	v_max_f64 v[13:14], |v[3:4]|, |v[3:4]|
	v_max_f64 v[31:32], |v[1:2]|, |v[1:2]|
	s_mov_b32 s12, s82
	v_cmp_eq_f64_e64 s3, 0, v[3:4]
	v_cmp_class_f64_e64 s6, v[3:4], 0x204
	v_cmp_class_f64_e64 s7, v[1:2], 0x204
	v_ashrrev_i32_e32 v7, 31, v2
	v_max_f64 v[33:34], v[31:32], v[13:14]
	v_min_f64 v[13:14], v[31:32], v[13:14]
	s_delay_alu instid0(VALU_DEP_1) | instskip(SKIP_1) | instid1(VALU_DEP_2)
	v_div_scale_f64 v[31:32], null, v[33:34], v[33:34], v[13:14]
	v_div_scale_f64 v[41:42], vcc_lo, v[13:14], v[33:34], v[13:14]
	v_rcp_f64_e32 v[37:38], v[31:32]
	s_waitcnt_depctr 0xfff
	v_fma_f64 v[39:40], -v[31:32], v[37:38], 1.0
	s_delay_alu instid0(VALU_DEP_1) | instskip(NEXT) | instid1(VALU_DEP_1)
	v_fma_f64 v[37:38], v[37:38], v[39:40], v[37:38]
	v_fma_f64 v[39:40], -v[31:32], v[37:38], 1.0
	s_delay_alu instid0(VALU_DEP_1) | instskip(NEXT) | instid1(VALU_DEP_1)
	v_fma_f64 v[37:38], v[37:38], v[39:40], v[37:38]
	v_mul_f64 v[39:40], v[41:42], v[37:38]
	s_delay_alu instid0(VALU_DEP_1) | instskip(NEXT) | instid1(VALU_DEP_1)
	v_fma_f64 v[31:32], -v[31:32], v[39:40], v[41:42]
	v_div_fmas_f64 v[31:32], v[31:32], v[37:38], v[39:40]
	v_cmp_gt_i32_e32 vcc_lo, 0, v2
	v_and_b32_e32 v2, 0x400921fb, v7
	v_cndmask_b32_e32 v1, 0x3fe921fb, v56, vcc_lo
	v_cndmask_b32_e32 v11, 0x54442d18, v55, vcc_lo
	s_delay_alu instid0(VALU_DEP_2) | instskip(SKIP_1) | instid1(VALU_DEP_1)
	v_bfi_b32 v1, 0x7fffffff, v1, v4
	v_div_fixup_f64 v[13:14], v[31:32], v[33:34], v[13:14]
	v_mul_f64 v[31:32], v[13:14], v[13:14]
	s_delay_alu instid0(VALU_DEP_1) | instskip(NEXT) | instid1(VALU_DEP_1)
	v_fma_f64 v[33:34], v[31:32], s[44:45], s[42:43]
	v_fma_f64 v[33:34], v[31:32], v[33:34], s[46:47]
	s_delay_alu instid0(VALU_DEP_1) | instskip(NEXT) | instid1(VALU_DEP_1)
	v_fma_f64 v[33:34], v[31:32], v[33:34], s[48:49]
	v_fma_f64 v[33:34], v[31:32], v[33:34], s[50:51]
	;; [unrolled: 3-line block ×9, first 2 shown]
	s_delay_alu instid0(VALU_DEP_1) | instskip(NEXT) | instid1(VALU_DEP_1)
	v_fma_f64 v[33:34], v[31:32], v[33:34], s[80:81]
	v_mul_f64 v[31:32], v[31:32], v[33:34]
	v_mul_f64 v[33:34], v[35:36], 0.5
	s_delay_alu instid0(VALU_DEP_2) | instskip(NEXT) | instid1(VALU_DEP_1)
	v_fma_f64 v[13:14], v[13:14], v[31:32], v[13:14]
	v_add_f64 v[31:32], -v[13:14], s[82:83]
	s_delay_alu instid0(VALU_DEP_1) | instskip(NEXT) | instid1(VALU_DEP_2)
	v_cndmask_b32_e64 v15, v14, v32, s2
	v_cndmask_b32_e64 v14, v13, v31, s2
	s_delay_alu instid0(VALU_DEP_1) | instskip(NEXT) | instid1(VALU_DEP_1)
	v_add_f64 v[31:32], -v[14:15], s[12:13]
	v_dual_cndmask_b32 v7, v15, v32 :: v_dual_and_b32 v18, 0x54442d18, v7
	s_delay_alu instid0(VALU_DEP_2) | instskip(SKIP_2) | instid1(VALU_DEP_3)
	v_cndmask_b32_e32 v31, v14, v31, vcc_lo
	v_mul_f64 v[13:14], v[35:36], v[33:34]
	s_and_b32 vcc_lo, s7, s6
	v_cndmask_b32_e64 v2, v7, v2, s3
	s_delay_alu instid0(VALU_DEP_3) | instskip(NEXT) | instid1(VALU_DEP_1)
	v_cndmask_b32_e64 v15, v31, v18, s3
	v_dual_cndmask_b32 v32, v2, v1 :: v_dual_cndmask_b32 v31, v15, v11
.LBB192_130:                            ;   in Loop: Header=BB192_5 Depth=1
	s_or_b32 exec_lo, exec_lo, s4
.LBB192_131:                            ;   in Loop: Header=BB192_5 Depth=1
	s_delay_alu instid0(SALU_CYCLE_1)
	s_or_b32 exec_lo, exec_lo, s5
.LBB192_132:                            ;   in Loop: Header=BB192_5 Depth=1
	s_and_not1_saveexec_b32 s5, s98
	s_cbranch_execz .LBB192_134
; %bb.133:                              ;   in Loop: Header=BB192_5 Depth=1
	v_div_scale_f64 v[13:14], null, s[88:89], s[88:89], v[1:2]
	v_div_scale_f64 v[31:32], null, s[88:89], s[88:89], v[3:4]
	v_div_scale_f64 v[41:42], vcc_lo, v[1:2], s[88:89], v[1:2]
	v_max_f64 v[45:46], |v[1:2]|, |v[1:2]|
	s_mov_b32 s93, s23
	s_mov_b32 s12, s82
	s_delay_alu instid0(VALU_DEP_4) | instskip(NEXT) | instid1(VALU_DEP_3)
	v_rcp_f64_e32 v[33:34], v[13:14]
	v_rcp_f64_e32 v[35:36], v[31:32]
	s_waitcnt_depctr 0xfff
	v_fma_f64 v[37:38], -v[13:14], v[33:34], 1.0
	v_fma_f64 v[39:40], -v[31:32], v[35:36], 1.0
	s_delay_alu instid0(VALU_DEP_2) | instskip(NEXT) | instid1(VALU_DEP_2)
	v_fma_f64 v[33:34], v[33:34], v[37:38], v[33:34]
	v_fma_f64 v[35:36], v[35:36], v[39:40], v[35:36]
	s_delay_alu instid0(VALU_DEP_2) | instskip(NEXT) | instid1(VALU_DEP_2)
	v_fma_f64 v[37:38], -v[13:14], v[33:34], 1.0
	v_fma_f64 v[39:40], -v[31:32], v[35:36], 1.0
	s_delay_alu instid0(VALU_DEP_2) | instskip(SKIP_1) | instid1(VALU_DEP_3)
	v_fma_f64 v[33:34], v[33:34], v[37:38], v[33:34]
	v_div_scale_f64 v[37:38], s3, v[3:4], s[88:89], v[3:4]
	v_fma_f64 v[35:36], v[35:36], v[39:40], v[35:36]
	s_delay_alu instid0(VALU_DEP_3) | instskip(NEXT) | instid1(VALU_DEP_2)
	v_mul_f64 v[39:40], v[41:42], v[33:34]
	v_mul_f64 v[43:44], v[37:38], v[35:36]
	s_delay_alu instid0(VALU_DEP_2) | instskip(NEXT) | instid1(VALU_DEP_2)
	v_fma_f64 v[13:14], -v[13:14], v[39:40], v[41:42]
	v_fma_f64 v[31:32], -v[31:32], v[43:44], v[37:38]
	s_delay_alu instid0(VALU_DEP_2) | instskip(SKIP_1) | instid1(VALU_DEP_2)
	v_div_fmas_f64 v[13:14], v[13:14], v[33:34], v[39:40]
	s_mov_b32 vcc_lo, s3
	v_div_fmas_f64 v[31:32], v[31:32], v[35:36], v[43:44]
	s_delay_alu instid0(VALU_DEP_2) | instskip(NEXT) | instid1(VALU_DEP_2)
	v_div_fixup_f64 v[13:14], v[13:14], s[88:89], v[1:2]
	v_div_fixup_f64 v[31:32], v[31:32], s[88:89], v[3:4]
	s_delay_alu instid0(VALU_DEP_2) | instskip(NEXT) | instid1(VALU_DEP_2)
	v_cmp_class_f64_e64 s4, v[13:14], 0x204
	v_max_f64 v[33:34], |v[13:14]|, |v[31:32]|
	v_cmp_o_f64_e64 s3, v[13:14], v[31:32]
	v_cmp_class_f64_e64 s6, v[31:32], 0x204
	s_delay_alu instid0(VALU_DEP_3) | instskip(NEXT) | instid1(VALU_DEP_2)
	v_frexp_exp_i32_f64_e32 v7, v[33:34]
	s_or_b32 s6, s4, s6
	s_delay_alu instid0(VALU_DEP_1) | instskip(NEXT) | instid1(VALU_DEP_1)
	v_sub_nc_u32_e32 v11, 0, v7
	v_ldexp_f64 v[33:34], |v[31:32]|, v11
	v_ldexp_f64 v[35:36], |v[13:14]|, v11
	s_delay_alu instid0(VALU_DEP_2) | instskip(NEXT) | instid1(VALU_DEP_1)
	v_mul_f64 v[33:34], v[33:34], v[33:34]
	v_fma_f64 v[33:34], v[35:36], v[35:36], v[33:34]
	s_delay_alu instid0(VALU_DEP_1) | instskip(SKIP_4) | instid1(VALU_DEP_1)
	v_rsq_f64_e32 v[35:36], v[33:34]
	v_cmp_eq_f64_e32 vcc_lo, 0, v[33:34]
	s_waitcnt_depctr 0xfff
	v_mul_f64 v[37:38], v[33:34], v[35:36]
	v_mul_f64 v[35:36], v[35:36], 0.5
	v_fma_f64 v[39:40], -v[35:36], v[37:38], 0.5
	s_delay_alu instid0(VALU_DEP_1) | instskip(SKIP_1) | instid1(VALU_DEP_2)
	v_fma_f64 v[37:38], v[37:38], v[39:40], v[37:38]
	v_fma_f64 v[35:36], v[35:36], v[39:40], v[35:36]
	v_fma_f64 v[39:40], -v[37:38], v[37:38], v[33:34]
	s_delay_alu instid0(VALU_DEP_1) | instskip(NEXT) | instid1(VALU_DEP_1)
	v_fma_f64 v[35:36], v[39:40], v[35:36], v[37:38]
	v_dual_cndmask_b32 v34, v36, v34 :: v_dual_cndmask_b32 v33, v35, v33
	s_delay_alu instid0(VALU_DEP_1) | instskip(NEXT) | instid1(VALU_DEP_1)
	v_ldexp_f64 v[33:34], v[33:34], v7
	v_cndmask_b32_e64 v7, 0, v33, s3
	s_delay_alu instid0(VALU_DEP_2) | instskip(NEXT) | instid1(VALU_DEP_2)
	v_cndmask_b32_e64 v11, 0x7ff80000, v34, s3
	v_cndmask_b32_e64 v14, v7, 0, s6
	s_delay_alu instid0(VALU_DEP_2) | instskip(NEXT) | instid1(VALU_DEP_1)
	v_cndmask_b32_e64 v15, v11, 0x7ff00000, s6
	v_frexp_mant_f64_e32 v[31:32], v[14:15]
	v_frexp_exp_i32_f64_e32 v13, v[14:15]
	s_delay_alu instid0(VALU_DEP_2) | instskip(NEXT) | instid1(VALU_DEP_1)
	v_cmp_gt_f64_e64 s4, s[22:23], v[31:32]
	v_cndmask_b32_e64 v18, 0x3ff00000, 2.0, s4
	s_delay_alu instid0(VALU_DEP_1) | instskip(NEXT) | instid1(VALU_DEP_1)
	v_mul_f64 v[31:32], v[31:32], v[17:18]
	v_add_f64 v[35:36], v[31:32], 1.0
	v_add_f64 v[41:42], v[31:32], -1.0
	s_delay_alu instid0(VALU_DEP_2) | instskip(SKIP_1) | instid1(VALU_DEP_1)
	v_rcp_f64_e32 v[37:38], v[35:36]
	v_add_f64 v[47:48], v[35:36], -1.0
	v_add_f64 v[31:32], v[31:32], -v[47:48]
	s_waitcnt_depctr 0xfff
	v_fma_f64 v[39:40], -v[35:36], v[37:38], 1.0
	s_delay_alu instid0(VALU_DEP_1) | instskip(NEXT) | instid1(VALU_DEP_1)
	v_fma_f64 v[37:38], v[39:40], v[37:38], v[37:38]
	v_fma_f64 v[39:40], -v[35:36], v[37:38], 1.0
	s_delay_alu instid0(VALU_DEP_1) | instskip(SKIP_1) | instid1(VALU_DEP_2)
	v_fma_f64 v[37:38], v[39:40], v[37:38], v[37:38]
	v_max_f64 v[39:40], |v[3:4]|, |v[3:4]|
	v_mul_f64 v[43:44], v[41:42], v[37:38]
	s_delay_alu instid0(VALU_DEP_2) | instskip(SKIP_1) | instid1(VALU_DEP_3)
	v_max_f64 v[51:52], v[45:46], v[39:40]
	v_min_f64 v[39:40], v[45:46], v[39:40]
	v_mul_f64 v[49:50], v[35:36], v[43:44]
	s_delay_alu instid0(VALU_DEP_2) | instskip(NEXT) | instid1(VALU_DEP_2)
	v_div_scale_f64 v[45:46], null, v[51:52], v[51:52], v[39:40]
	v_fma_f64 v[35:36], v[43:44], v[35:36], -v[49:50]
	s_delay_alu instid0(VALU_DEP_1) | instskip(NEXT) | instid1(VALU_DEP_3)
	v_fma_f64 v[31:32], v[43:44], v[31:32], v[35:36]
	v_rcp_f64_e32 v[35:36], v[45:46]
	s_delay_alu instid0(VALU_DEP_1) | instskip(SKIP_4) | instid1(VALU_DEP_3)
	v_add_f64 v[47:48], v[49:50], v[31:32]
	s_waitcnt_depctr 0xfff
	v_fma_f64 v[53:54], -v[45:46], v[35:36], 1.0
	v_add_f64 v[57:58], v[41:42], -v[47:48]
	v_add_f64 v[49:50], v[47:48], -v[49:50]
	v_fma_f64 v[35:36], v[35:36], v[53:54], v[35:36]
	s_delay_alu instid0(VALU_DEP_3) | instskip(NEXT) | instid1(VALU_DEP_3)
	v_add_f64 v[41:42], v[41:42], -v[57:58]
	v_add_f64 v[31:32], v[49:50], -v[31:32]
	s_delay_alu instid0(VALU_DEP_3) | instskip(NEXT) | instid1(VALU_DEP_3)
	v_fma_f64 v[53:54], -v[45:46], v[35:36], 1.0
	v_add_f64 v[41:42], v[41:42], -v[47:48]
	v_div_scale_f64 v[47:48], vcc_lo, v[39:40], v[51:52], v[39:40]
	s_delay_alu instid0(VALU_DEP_3) | instskip(NEXT) | instid1(VALU_DEP_3)
	v_fma_f64 v[35:36], v[35:36], v[53:54], v[35:36]
	v_add_f64 v[31:32], v[31:32], v[41:42]
	s_delay_alu instid0(VALU_DEP_2) | instskip(NEXT) | instid1(VALU_DEP_2)
	v_mul_f64 v[41:42], v[47:48], v[35:36]
	v_add_f64 v[31:32], v[57:58], v[31:32]
	s_delay_alu instid0(VALU_DEP_2) | instskip(NEXT) | instid1(VALU_DEP_2)
	v_fma_f64 v[45:46], -v[45:46], v[41:42], v[47:48]
	v_mul_f64 v[31:32], v[37:38], v[31:32]
	s_delay_alu instid0(VALU_DEP_2) | instskip(SKIP_2) | instid1(VALU_DEP_4)
	v_div_fmas_f64 v[35:36], v[45:46], v[35:36], v[41:42]
	v_subrev_co_ci_u32_e64 v13, vcc_lo, 0, v13, s4
	v_cmp_class_f64_e64 s4, v[1:2], 0x204
	v_add_f64 v[37:38], v[43:44], v[31:32]
	s_delay_alu instid0(VALU_DEP_4) | instskip(NEXT) | instid1(VALU_DEP_2)
	v_div_fixup_f64 v[35:36], v[35:36], v[51:52], v[39:40]
	v_mul_f64 v[39:40], v[37:38], v[37:38]
	s_delay_alu instid0(VALU_DEP_2) | instskip(NEXT) | instid1(VALU_DEP_2)
	v_mul_f64 v[41:42], v[35:36], v[35:36]
	v_fma_f64 v[45:46], v[39:40], s[26:27], s[24:25]
	v_mul_f64 v[49:50], v[37:38], v[39:40]
	s_delay_alu instid0(VALU_DEP_3) | instskip(NEXT) | instid1(VALU_DEP_3)
	v_fma_f64 v[47:48], v[41:42], s[44:45], s[42:43]
	v_fma_f64 v[45:46], v[39:40], v[45:46], s[28:29]
	s_delay_alu instid0(VALU_DEP_2) | instskip(NEXT) | instid1(VALU_DEP_2)
	v_fma_f64 v[47:48], v[41:42], v[47:48], s[46:47]
	v_fma_f64 v[45:46], v[39:40], v[45:46], s[30:31]
	s_delay_alu instid0(VALU_DEP_2) | instskip(NEXT) | instid1(VALU_DEP_2)
	;; [unrolled: 3-line block ×4, first 2 shown]
	v_fma_f64 v[47:48], v[41:42], v[47:48], s[52:53]
	v_fma_f64 v[39:40], v[39:40], v[45:46], s[92:93]
	s_delay_alu instid0(VALU_DEP_2) | instskip(SKIP_2) | instid1(VALU_DEP_4)
	v_fma_f64 v[45:46], v[41:42], v[47:48], s[54:55]
	v_ldexp_f64 v[47:48], v[37:38], 1
	v_add_f64 v[37:38], v[37:38], -v[43:44]
	v_mul_f64 v[39:40], v[49:50], v[39:40]
	v_cvt_f64_i32_e32 v[49:50], v13
	v_ashrrev_i32_e32 v13, 31, v2
	v_fma_f64 v[45:46], v[41:42], v[45:46], s[56:57]
	v_add_f64 v[31:32], v[31:32], -v[37:38]
	v_add_f64 v[43:44], v[47:48], v[39:40]
	v_mul_f64 v[51:52], v[49:50], s[38:39]
	s_delay_alu instid0(VALU_DEP_4) | instskip(NEXT) | instid1(VALU_DEP_4)
	v_fma_f64 v[45:46], v[41:42], v[45:46], s[58:59]
	v_ldexp_f64 v[31:32], v[31:32], 1
	s_delay_alu instid0(VALU_DEP_4) | instskip(NEXT) | instid1(VALU_DEP_4)
	v_add_f64 v[37:38], v[43:44], -v[47:48]
	v_fma_f64 v[47:48], v[49:50], s[38:39], -v[51:52]
	s_delay_alu instid0(VALU_DEP_4) | instskip(NEXT) | instid1(VALU_DEP_3)
	v_fma_f64 v[45:46], v[41:42], v[45:46], s[60:61]
	v_add_f64 v[37:38], v[39:40], -v[37:38]
	s_delay_alu instid0(VALU_DEP_2) | instskip(NEXT) | instid1(VALU_DEP_4)
	v_fma_f64 v[39:40], v[41:42], v[45:46], s[62:63]
	v_fma_f64 v[45:46], v[49:50], s[40:41], v[47:48]
	s_delay_alu instid0(VALU_DEP_3) | instskip(NEXT) | instid1(VALU_DEP_3)
	v_add_f64 v[31:32], v[31:32], v[37:38]
	v_fma_f64 v[37:38], v[41:42], v[39:40], s[64:65]
	s_delay_alu instid0(VALU_DEP_3) | instskip(NEXT) | instid1(VALU_DEP_3)
	v_add_f64 v[39:40], v[51:52], v[45:46]
	v_add_f64 v[47:48], v[43:44], v[31:32]
	s_delay_alu instid0(VALU_DEP_3) | instskip(NEXT) | instid1(VALU_DEP_3)
	v_fma_f64 v[37:38], v[41:42], v[37:38], s[66:67]
	v_add_f64 v[51:52], v[39:40], -v[51:52]
	s_delay_alu instid0(VALU_DEP_3) | instskip(SKIP_1) | instid1(VALU_DEP_4)
	v_add_f64 v[49:50], v[39:40], v[47:48]
	v_add_f64 v[43:44], v[47:48], -v[43:44]
	v_fma_f64 v[37:38], v[41:42], v[37:38], s[68:69]
	s_delay_alu instid0(VALU_DEP_4) | instskip(NEXT) | instid1(VALU_DEP_4)
	v_add_f64 v[45:46], v[45:46], -v[51:52]
	v_add_f64 v[53:54], v[49:50], -v[39:40]
	s_delay_alu instid0(VALU_DEP_4) | instskip(NEXT) | instid1(VALU_DEP_4)
	v_add_f64 v[31:32], v[31:32], -v[43:44]
	v_fma_f64 v[37:38], v[41:42], v[37:38], s[70:71]
	s_delay_alu instid0(VALU_DEP_3) | instskip(SKIP_1) | instid1(VALU_DEP_4)
	v_add_f64 v[57:58], v[49:50], -v[53:54]
	v_add_f64 v[43:44], v[47:48], -v[53:54]
	v_add_f64 v[47:48], v[45:46], v[31:32]
	s_delay_alu instid0(VALU_DEP_4) | instskip(NEXT) | instid1(VALU_DEP_4)
	v_fma_f64 v[37:38], v[41:42], v[37:38], s[72:73]
	v_add_f64 v[39:40], v[39:40], -v[57:58]
	s_delay_alu instid0(VALU_DEP_2) | instskip(NEXT) | instid1(VALU_DEP_2)
	v_fma_f64 v[37:38], v[41:42], v[37:38], s[74:75]
	v_add_f64 v[39:40], v[43:44], v[39:40]
	v_add_f64 v[43:44], v[47:48], -v[45:46]
	s_delay_alu instid0(VALU_DEP_3) | instskip(NEXT) | instid1(VALU_DEP_3)
	v_fma_f64 v[37:38], v[41:42], v[37:38], s[76:77]
	v_add_f64 v[39:40], v[47:48], v[39:40]
	s_delay_alu instid0(VALU_DEP_3) | instskip(SKIP_1) | instid1(VALU_DEP_4)
	v_add_f64 v[47:48], v[47:48], -v[43:44]
	v_add_f64 v[31:32], v[31:32], -v[43:44]
	v_fma_f64 v[37:38], v[41:42], v[37:38], s[78:79]
	s_delay_alu instid0(VALU_DEP_4) | instskip(NEXT) | instid1(VALU_DEP_4)
	v_add_f64 v[51:52], v[49:50], v[39:40]
	v_add_f64 v[43:44], v[45:46], -v[47:48]
	s_delay_alu instid0(VALU_DEP_3) | instskip(NEXT) | instid1(VALU_DEP_3)
	v_fma_f64 v[37:38], v[41:42], v[37:38], s[80:81]
	v_add_f64 v[45:46], v[51:52], -v[49:50]
	s_delay_alu instid0(VALU_DEP_3) | instskip(NEXT) | instid1(VALU_DEP_3)
	v_add_f64 v[31:32], v[31:32], v[43:44]
	v_mul_f64 v[37:38], v[41:42], v[37:38]
	s_delay_alu instid0(VALU_DEP_3) | instskip(NEXT) | instid1(VALU_DEP_2)
	v_add_f64 v[39:40], v[39:40], -v[45:46]
	v_fma_f64 v[35:36], v[35:36], v[37:38], v[35:36]
	s_delay_alu instid0(VALU_DEP_2) | instskip(NEXT) | instid1(VALU_DEP_2)
	v_add_f64 v[31:32], v[31:32], v[39:40]
	v_add_f64 v[37:38], -v[35:36], s[82:83]
	s_delay_alu instid0(VALU_DEP_2) | instskip(SKIP_1) | instid1(VALU_DEP_1)
	v_add_f64 v[31:32], v[51:52], v[31:32]
	v_and_b32_e32 v34, 0x7fffffff, v34
	v_cmp_eq_f64_e32 vcc_lo, 0x7ff00000, v[33:34]
	s_delay_alu instid0(VALU_DEP_4) | instskip(SKIP_2) | instid1(VALU_DEP_2)
	v_cndmask_b32_e64 v34, v36, v38, s2
	v_cndmask_b32_e64 v33, v35, v37, s2
	v_cmp_eq_f64_e64 s2, 0, v[3:4]
	v_add_f64 v[35:36], -v[33:34], s[12:13]
	s_and_b32 vcc_lo, s3, vcc_lo
	v_cmp_class_f64_e64 s3, v[3:4], 0x204
	v_cndmask_b32_e32 v31, v31, v7, vcc_lo
	v_dual_cndmask_b32 v32, v32, v11 :: v_dual_and_b32 v11, 0x54442d18, v13
	v_cmp_gt_i32_e32 vcc_lo, 0, v2
	s_delay_alu instid0(VALU_DEP_2)
	v_add_f64 v[31:32], v[31:32], 1.0
	v_cndmask_b32_e32 v7, 0x54442d18, v55, vcc_lo
	v_cndmask_b32_e32 v18, v33, v35, vcc_lo
	v_dual_cndmask_b32 v13, v34, v36 :: v_dual_and_b32 v2, 0x400921fb, v13
	v_cndmask_b32_e32 v1, 0x3fe921fb, v56, vcc_lo
	v_cmp_ngt_f64_e32 vcc_lo, 0, v[14:15]
	s_delay_alu instid0(VALU_DEP_4) | instskip(NEXT) | instid1(VALU_DEP_4)
	v_cndmask_b32_e64 v11, v18, v11, s2
	v_cndmask_b32_e64 v2, v13, v2, s2
	v_cmp_nge_f64_e64 s2, 0, v[14:15]
	v_bfi_b32 v1, 0x7fffffff, v1, v4
	v_cndmask_b32_e64 v13, v31, 0, s6
	v_cndmask_b32_e64 v32, v32, 0x7ff00000, s6
	s_delay_alu instid0(VALU_DEP_1)
	v_cndmask_b32_e32 v18, 0x7ff80000, v32, vcc_lo
	s_and_b32 vcc_lo, s4, s3
	v_cndmask_b32_e32 v31, v11, v7, vcc_lo
	v_cndmask_b32_e64 v13, 0, v13, s2
	v_cmp_neq_f64_e64 s2, 0, v[14:15]
	v_cndmask_b32_e32 v32, v2, v1, vcc_lo
	s_delay_alu instid0(VALU_DEP_2)
	v_cndmask_b32_e64 v14, 0xfff00000, v18, s2
.LBB192_134:                            ;   in Loop: Header=BB192_5 Depth=1
	s_or_b32 exec_lo, exec_lo, s5
.LBB192_135:                            ;   in Loop: Header=BB192_5 Depth=1
	s_and_not1_saveexec_b32 s2, s97
	s_cbranch_execz .LBB192_4
; %bb.136:                              ;   in Loop: Header=BB192_5 Depth=1
	v_cmp_ngt_f64_e64 s3, 0x20000000, |v[1:2]|
	v_cmp_ngt_f64_e64 s4, 0x20000000, |v[3:4]|
                                        ; implicit-def: $vgpr14_vgpr15
	s_delay_alu instid0(VALU_DEP_1) | instskip(NEXT) | instid1(SALU_CYCLE_1)
	s_or_b32 s3, s3, s4
	s_and_saveexec_b32 s4, s3
	s_delay_alu instid0(SALU_CYCLE_1)
	s_xor_b32 s3, exec_lo, s4
; %bb.137:                              ;   in Loop: Header=BB192_5 Depth=1
	v_mul_f64 v[13:14], v[3:4], v[3:4]
	s_delay_alu instid0(VALU_DEP_1)
	v_fma_f64 v[14:15], v[1:2], v[1:2], v[13:14]
; %bb.138:                              ;   in Loop: Header=BB192_5 Depth=1
	s_and_not1_saveexec_b32 s3, s3
	s_cbranch_execz .LBB192_3
; %bb.139:                              ;   in Loop: Header=BB192_5 Depth=1
	v_mul_f64 v[13:14], v[3:4], 4.0
	v_mul_f64 v[1:2], v[1:2], 4.0
	s_delay_alu instid0(VALU_DEP_2) | instskip(NEXT) | instid1(VALU_DEP_1)
	v_mul_f64 v[13:14], v[13:14], v[13:14]
	v_fma_f64 v[1:2], v[1:2], v[1:2], v[13:14]
	s_delay_alu instid0(VALU_DEP_1)
	v_ldexp_f64 v[14:15], v[1:2], -4
	s_branch .LBB192_3
.LBB192_140:
	s_or_b32 exec_lo, exec_lo, s94
	s_mov_b32 s2, 0
.LBB192_141:
	s_delay_alu instid0(SALU_CYCLE_1)
	s_and_not1_b32 vcc_lo, exec_lo, s2
	s_cbranch_vccnz .LBB192_297
; %bb.142:
	v_cmp_lt_i64_e64 s2, s[16:17], 1
	s_delay_alu instid0(VALU_DEP_1)
	s_and_b32 vcc_lo, exec_lo, s2
	s_cbranch_vccnz .LBB192_297
; %bb.143:
	s_load_b32 s0, s[0:1], 0xc5c
	v_cmp_gt_u64_e64 s1, 0x10000, s[16:17]
	v_dual_mov_b32 v17, 0 :: v_dual_mov_b32 v60, 0x4002d97c
	v_mov_b32_e32 v59, 0x7f3321d2
	s_mov_b32 s18, 0x85ebc8a0
	s_mov_b32 s12, 0x4ad4b81f
	;; [unrolled: 1-line block ×15, first 2 shown]
	s_waitcnt lgkmcnt(0)
	s_and_b32 s103, s0, 0xffff
	s_and_b32 s0, s1, exec_lo
	s_mov_b32 s54, 0xa595c56f
	s_mov_b32 s56, 0xa57d9582
	;; [unrolled: 1-line block ×24, first 2 shown]
	s_cselect_b32 s31, s17, 0
	s_cselect_b32 s30, s16, 0x10000
	s_lshl_b32 s104, s103, 1
	s_mul_i32 vcc_hi, s103, 3
	s_lshl_b32 s88, s103, 2
	s_mov_b32 s35, 0x3fc7474d
	s_mov_b32 s37, 0x3fcc71c0
	;; [unrolled: 1-line block ×29, first 2 shown]
	s_mov_b64 s[96:97], 0
	s_mov_b32 s98, 0x55555780
	s_mov_b32 s15, 0x400921fb
	s_branch .LBB192_145
.LBB192_144:                            ;   in Loop: Header=BB192_145 Depth=1
	s_or_b32 exec_lo, exec_lo, s0
	s_add_u32 s96, s96, s88
	s_addc_u32 s97, s97, 0
	s_delay_alu instid0(SALU_CYCLE_1) | instskip(SKIP_1) | instid1(VALU_DEP_1)
	v_cmp_ge_i64_e64 s0, s[96:97], s[16:17]
	v_cmp_lt_u64_e64 s1, 0xffff, s[96:97]
	s_or_b32 s0, s0, s1
	s_delay_alu instid0(SALU_CYCLE_1)
	s_and_b32 vcc_lo, exec_lo, s0
	s_cbranch_vccnz .LBB192_297
.LBB192_145:                            ; =>This Loop Header: Depth=1
                                        ;     Child Loop BB192_164 Depth 2
                                        ;     Child Loop BB192_198 Depth 2
	;; [unrolled: 1-line block ×4, first 2 shown]
	v_add_co_u32 v19, s0, s96, v0
	s_delay_alu instid0(VALU_DEP_1) | instskip(SKIP_2) | instid1(VALU_DEP_3)
	v_add_co_ci_u32_e64 v20, null, s97, 0, s0
	v_mov_b32_e32 v3, 0
	v_mov_b32_e32 v4, 0
	v_cmp_gt_u64_e64 s0, s[30:31], v[19:20]
	s_delay_alu instid0(VALU_DEP_2) | instskip(SKIP_1) | instid1(VALU_DEP_3)
	v_dual_mov_b32 v12, v4 :: v_dual_mov_b32 v11, v3
	v_dual_mov_b32 v10, v4 :: v_dual_mov_b32 v9, v3
	s_and_saveexec_b32 s1, s0
	s_cbranch_execz .LBB192_147
; %bb.146:                              ;   in Loop: Header=BB192_145 Depth=1
	v_lshlrev_b64 v[1:2], 4, v[19:20]
	s_delay_alu instid0(VALU_DEP_1) | instskip(NEXT) | instid1(VALU_DEP_2)
	v_add_co_u32 v1, vcc_lo, s33, v1
	v_add_co_ci_u32_e32 v2, vcc_lo, s100, v2, vcc_lo
	global_load_b128 v[9:12], v[1:2], off
.LBB192_147:                            ;   in Loop: Header=BB192_145 Depth=1
	s_or_b32 exec_lo, exec_lo, s1
	v_add_co_u32 v21, vcc_lo, v19, s103
	v_add_co_ci_u32_e32 v22, vcc_lo, 0, v20, vcc_lo
	v_dual_mov_b32 v1, v3 :: v_dual_mov_b32 v2, v4
	s_delay_alu instid0(VALU_DEP_2) | instskip(NEXT) | instid1(VALU_DEP_1)
	v_cmp_gt_u64_e64 s1, s[30:31], v[21:22]
	s_and_saveexec_b32 s2, s1
	s_cbranch_execz .LBB192_149
; %bb.148:                              ;   in Loop: Header=BB192_145 Depth=1
	v_lshlrev_b64 v[1:2], 4, v[21:22]
	s_delay_alu instid0(VALU_DEP_1) | instskip(NEXT) | instid1(VALU_DEP_2)
	v_add_co_u32 v1, vcc_lo, s33, v1
	v_add_co_ci_u32_e32 v2, vcc_lo, s100, v2, vcc_lo
	global_load_b128 v[1:4], v[1:2], off
.LBB192_149:                            ;   in Loop: Header=BB192_145 Depth=1
	s_or_b32 exec_lo, exec_lo, s2
	v_add_co_u32 v23, vcc_lo, v19, s104
	v_add_co_ci_u32_e32 v24, vcc_lo, 0, v20, vcc_lo
	v_mov_b32_e32 v7, 0
	v_mov_b32_e32 v8, 0
	s_delay_alu instid0(VALU_DEP_3) | instskip(NEXT) | instid1(VALU_DEP_2)
	v_cmp_gt_u64_e64 s2, s[30:31], v[23:24]
	v_dual_mov_b32 v16, v8 :: v_dual_mov_b32 v15, v7
	v_dual_mov_b32 v14, v8 :: v_dual_mov_b32 v13, v7
	s_delay_alu instid0(VALU_DEP_3)
	s_and_saveexec_b32 s3, s2
	s_cbranch_execz .LBB192_151
; %bb.150:                              ;   in Loop: Header=BB192_145 Depth=1
	v_lshlrev_b64 v[5:6], 4, v[23:24]
	s_delay_alu instid0(VALU_DEP_1) | instskip(NEXT) | instid1(VALU_DEP_2)
	v_add_co_u32 v5, vcc_lo, s33, v5
	v_add_co_ci_u32_e32 v6, vcc_lo, s100, v6, vcc_lo
	global_load_b128 v[13:16], v[5:6], off
.LBB192_151:                            ;   in Loop: Header=BB192_145 Depth=1
	s_or_b32 exec_lo, exec_lo, s3
	v_add_co_u32 v25, vcc_lo, v19, vcc_hi
	v_add_co_ci_u32_e32 v26, vcc_lo, 0, v20, vcc_lo
	v_dual_mov_b32 v5, v7 :: v_dual_mov_b32 v6, v8
	s_delay_alu instid0(VALU_DEP_2) | instskip(NEXT) | instid1(VALU_DEP_1)
	v_cmp_gt_u64_e64 s3, s[30:31], v[25:26]
	s_and_saveexec_b32 s4, s3
	s_cbranch_execz .LBB192_153
; %bb.152:                              ;   in Loop: Header=BB192_145 Depth=1
	v_lshlrev_b64 v[5:6], 4, v[25:26]
	s_delay_alu instid0(VALU_DEP_1) | instskip(NEXT) | instid1(VALU_DEP_2)
	v_add_co_u32 v5, vcc_lo, s33, v5
	v_add_co_ci_u32_e32 v6, vcc_lo, s100, v6, vcc_lo
	global_load_b128 v[5:8], v[5:6], off
.LBB192_153:                            ;   in Loop: Header=BB192_145 Depth=1
	s_or_b32 exec_lo, exec_lo, s4
                                        ; implicit-def: $vgpr27_vgpr28
                                        ; implicit-def: $vgpr29_vgpr30
	s_delay_alu instid0(SALU_CYCLE_1)
	s_mov_b32 s4, exec_lo
	s_waitcnt vmcnt(0)
	v_cmpx_o_f64_e32 v[9:10], v[11:12]
	s_xor_b32 s89, exec_lo, s4
	s_cbranch_execz .LBB192_181
; %bb.154:                              ;   in Loop: Header=BB192_145 Depth=1
	v_cmp_lt_f64_e64 s4, |v[9:10]|, |v[11:12]|
	v_and_b32_e32 v18, 0x7fffffff, v10
	v_dual_mov_b32 v32, v11 :: v_dual_and_b32 v31, 0x7fffffff, v12
                                        ; implicit-def: $vgpr27_vgpr28
                                        ; implicit-def: $vgpr29_vgpr30
	s_mov_b32 s5, exec_lo
	s_delay_alu instid0(VALU_DEP_1) | instskip(NEXT) | instid1(VALU_DEP_2)
	v_cndmask_b32_e64 v34, v31, v18, s4
	v_cndmask_b32_e64 v33, v32, v9, s4
	s_delay_alu instid0(VALU_DEP_1)
	v_cmpx_nlt_f64_e32 s[18:19], v[33:34]
	s_xor_b32 s20, exec_lo, s5
	s_cbranch_execz .LBB192_178
; %bb.155:                              ;   in Loop: Header=BB192_145 Depth=1
	v_cndmask_b32_e64 v36, v18, v31, s4
	v_cndmask_b32_e64 v35, v9, v32, s4
                                        ; implicit-def: $vgpr27_vgpr28
                                        ; implicit-def: $vgpr29_vgpr30
	s_mov_b32 s5, exec_lo
	s_delay_alu instid0(VALU_DEP_1)
	v_cmpx_neq_f64_e32 1.0, v[35:36]
	s_xor_b32 s21, exec_lo, s5
	s_cbranch_execz .LBB192_171
; %bb.156:                              ;   in Loop: Header=BB192_145 Depth=1
	v_max_f64 v[27:28], v[33:34], v[33:34]
	v_max_f64 v[29:30], v[35:36], v[35:36]
	s_mov_b32 s6, 0xc57e649a
	s_mov_b32 s7, 0x4a511b0e
	s_delay_alu instid0(VALU_DEP_1) | instskip(SKIP_1) | instid1(VALU_DEP_2)
	v_min_f64 v[31:32], v[29:30], v[27:28]
	v_max_f64 v[27:28], v[29:30], v[27:28]
                                        ; implicit-def: $vgpr29_vgpr30
	v_cmp_ngt_f64_e32 vcc_lo, s[12:13], v[31:32]
	s_delay_alu instid0(VALU_DEP_2) | instskip(NEXT) | instid1(VALU_DEP_1)
	v_cmp_nlt_f64_e64 s5, s[6:7], v[27:28]
                                        ; implicit-def: $vgpr27_vgpr28
	s_and_b32 s5, s5, vcc_lo
	s_delay_alu instid0(SALU_CYCLE_1) | instskip(NEXT) | instid1(SALU_CYCLE_1)
	s_and_saveexec_b32 s6, s5
	s_xor_b32 s22, exec_lo, s6
	s_cbranch_execz .LBB192_168
; %bb.157:                              ;   in Loop: Header=BB192_145 Depth=1
                                        ; implicit-def: $vgpr27_vgpr28
                                        ; implicit-def: $vgpr29_vgpr30
	s_mov_b32 s5, exec_lo
	v_cmpx_le_f64_e32 1.0, v[35:36]
	s_xor_b32 s6, exec_lo, s5
	s_cbranch_execz .LBB192_159
; %bb.158:                              ;   in Loop: Header=BB192_145 Depth=1
	v_add_f64 v[27:28], v[35:36], -1.0
	v_add_f64 v[29:30], v[35:36], 1.0
	s_mov_b32 s99, s25
	s_mov_b32 s14, s86
	v_cmp_gt_i32_e64 s5, 0, v10
	v_cmp_class_f64_e64 s8, v[9:10], 0x204
	v_cmp_class_f64_e64 s7, v[11:12], 0x204
	s_delay_alu instid0(VALU_DEP_4) | instskip(NEXT) | instid1(VALU_DEP_1)
	v_mul_f64 v[27:28], v[27:28], v[29:30]
	v_fma_f64 v[28:29], v[33:34], v[33:34], v[27:28]
	s_delay_alu instid0(VALU_DEP_1) | instskip(NEXT) | instid1(VALU_DEP_1)
	v_add_f64 v[30:31], v[28:29], 1.0
	v_frexp_mant_f64_e32 v[32:33], v[30:31]
	v_frexp_exp_i32_f64_e32 v18, v[30:31]
	v_add_f64 v[34:35], v[30:31], -1.0
	s_delay_alu instid0(VALU_DEP_3) | instskip(NEXT) | instid1(VALU_DEP_2)
	v_cmp_gt_f64_e32 vcc_lo, s[24:25], v[32:33]
	v_add_f64 v[32:33], v[34:35], -v[30:31]
	v_add_f64 v[34:35], v[28:29], -v[34:35]
	v_subrev_co_ci_u32_e32 v18, vcc_lo, 0, v18, vcc_lo
	s_delay_alu instid0(VALU_DEP_3) | instskip(NEXT) | instid1(VALU_DEP_2)
	v_add_f64 v[32:33], v[32:33], 1.0
	v_sub_nc_u32_e32 v27, 0, v18
	s_delay_alu instid0(VALU_DEP_1) | instskip(NEXT) | instid1(VALU_DEP_3)
	v_ldexp_f64 v[30:31], v[30:31], v27
	v_add_f64 v[32:33], v[34:35], v[32:33]
	s_delay_alu instid0(VALU_DEP_2) | instskip(SKIP_1) | instid1(VALU_DEP_3)
	v_add_f64 v[36:37], v[30:31], 1.0
	v_add_f64 v[42:43], v[30:31], -1.0
	v_ldexp_f64 v[32:33], v[32:33], v27
	s_delay_alu instid0(VALU_DEP_3) | instskip(NEXT) | instid1(VALU_DEP_3)
	v_add_f64 v[34:35], v[36:37], -1.0
	v_add_f64 v[44:45], v[42:43], 1.0
	s_delay_alu instid0(VALU_DEP_2) | instskip(NEXT) | instid1(VALU_DEP_2)
	v_add_f64 v[34:35], v[30:31], -v[34:35]
	v_add_f64 v[30:31], v[30:31], -v[44:45]
	s_delay_alu instid0(VALU_DEP_2) | instskip(NEXT) | instid1(VALU_DEP_2)
	v_add_f64 v[34:35], v[32:33], v[34:35]
	v_add_f64 v[30:31], v[32:33], v[30:31]
	s_delay_alu instid0(VALU_DEP_2) | instskip(NEXT) | instid1(VALU_DEP_2)
	v_add_f64 v[38:39], v[36:37], v[34:35]
	v_add_f64 v[44:45], v[42:43], v[30:31]
	s_delay_alu instid0(VALU_DEP_2) | instskip(SKIP_1) | instid1(VALU_DEP_2)
	v_rcp_f64_e32 v[40:41], v[38:39]
	v_add_f64 v[36:37], v[38:39], -v[36:37]
	v_add_f64 v[42:43], v[44:45], -v[42:43]
	s_delay_alu instid0(VALU_DEP_2) | instskip(SKIP_3) | instid1(VALU_DEP_2)
	v_add_f64 v[34:35], v[34:35], -v[36:37]
	s_waitcnt_depctr 0xfff
	v_fma_f64 v[46:47], -v[38:39], v[40:41], 1.0
	v_add_f64 v[30:31], v[30:31], -v[42:43]
	v_fma_f64 v[40:41], v[46:47], v[40:41], v[40:41]
	s_delay_alu instid0(VALU_DEP_1) | instskip(NEXT) | instid1(VALU_DEP_1)
	v_fma_f64 v[32:33], -v[38:39], v[40:41], 1.0
	v_fma_f64 v[32:33], v[32:33], v[40:41], v[40:41]
	s_delay_alu instid0(VALU_DEP_1) | instskip(NEXT) | instid1(VALU_DEP_1)
	v_mul_f64 v[40:41], v[44:45], v[32:33]
	v_mul_f64 v[46:47], v[38:39], v[40:41]
	s_delay_alu instid0(VALU_DEP_1) | instskip(NEXT) | instid1(VALU_DEP_1)
	v_fma_f64 v[36:37], v[40:41], v[38:39], -v[46:47]
	v_fma_f64 v[36:37], v[40:41], v[34:35], v[36:37]
	s_delay_alu instid0(VALU_DEP_1) | instskip(NEXT) | instid1(VALU_DEP_1)
	v_add_f64 v[48:49], v[46:47], v[36:37]
	v_add_f64 v[50:51], v[44:45], -v[48:49]
	v_add_f64 v[42:43], v[48:49], -v[46:47]
	v_max_f64 v[46:47], |v[11:12]|, |v[11:12]|
	s_delay_alu instid0(VALU_DEP_3) | instskip(NEXT) | instid1(VALU_DEP_3)
	v_add_f64 v[44:45], v[44:45], -v[50:51]
	v_add_f64 v[36:37], v[42:43], -v[36:37]
	s_delay_alu instid0(VALU_DEP_2) | instskip(SKIP_2) | instid1(VALU_DEP_1)
	v_add_f64 v[44:45], v[44:45], -v[48:49]
	v_max_f64 v[48:49], |v[9:10]|, |v[9:10]|
	v_cndmask_b32_e64 v9, 0x3fe921fb, v60, s5
	v_bfi_b32 v9, 0x7fffffff, v9, v12
	s_delay_alu instid0(VALU_DEP_4) | instskip(NEXT) | instid1(VALU_DEP_4)
	v_add_f64 v[30:31], v[30:31], v[44:45]
	v_max_f64 v[52:53], v[48:49], v[46:47]
	v_min_f64 v[46:47], v[48:49], v[46:47]
	s_delay_alu instid0(VALU_DEP_3) | instskip(NEXT) | instid1(VALU_DEP_1)
	v_add_f64 v[30:31], v[36:37], v[30:31]
	v_add_f64 v[36:37], v[50:51], v[30:31]
	s_delay_alu instid0(VALU_DEP_1) | instskip(SKIP_1) | instid1(VALU_DEP_2)
	v_mul_f64 v[42:43], v[32:33], v[36:37]
	v_add_f64 v[50:51], v[50:51], -v[36:37]
	v_mul_f64 v[44:45], v[38:39], v[42:43]
	s_delay_alu instid0(VALU_DEP_2) | instskip(NEXT) | instid1(VALU_DEP_2)
	v_add_f64 v[30:31], v[30:31], v[50:51]
	v_fma_f64 v[38:39], v[42:43], v[38:39], -v[44:45]
	s_delay_alu instid0(VALU_DEP_1) | instskip(SKIP_1) | instid1(VALU_DEP_2)
	v_fma_f64 v[34:35], v[42:43], v[34:35], v[38:39]
	v_div_scale_f64 v[38:39], null, v[52:53], v[52:53], v[46:47]
	v_add_f64 v[48:49], v[44:45], v[34:35]
	s_delay_alu instid0(VALU_DEP_2) | instskip(NEXT) | instid1(VALU_DEP_1)
	v_rcp_f64_e32 v[54:55], v[38:39]
	v_add_f64 v[56:57], v[36:37], -v[48:49]
	v_add_f64 v[44:45], v[48:49], -v[44:45]
	s_waitcnt_depctr 0xfff
	v_fma_f64 v[61:62], -v[38:39], v[54:55], 1.0
	v_add_f64 v[36:37], v[36:37], -v[56:57]
	v_add_f64 v[34:35], v[44:45], -v[34:35]
	s_delay_alu instid0(VALU_DEP_3) | instskip(NEXT) | instid1(VALU_DEP_3)
	v_fma_f64 v[54:55], v[54:55], v[61:62], v[54:55]
	v_add_f64 v[36:37], v[36:37], -v[48:49]
	s_delay_alu instid0(VALU_DEP_2) | instskip(NEXT) | instid1(VALU_DEP_2)
	v_fma_f64 v[48:49], -v[38:39], v[54:55], 1.0
	v_add_f64 v[30:31], v[30:31], v[36:37]
	v_div_scale_f64 v[36:37], vcc_lo, v[46:47], v[52:53], v[46:47]
	s_delay_alu instid0(VALU_DEP_3) | instskip(SKIP_1) | instid1(VALU_DEP_4)
	v_fma_f64 v[44:45], v[54:55], v[48:49], v[54:55]
	v_add_f64 v[48:49], v[40:41], v[42:43]
	v_add_f64 v[30:31], v[34:35], v[30:31]
	s_delay_alu instid0(VALU_DEP_3) | instskip(NEXT) | instid1(VALU_DEP_3)
	v_mul_f64 v[34:35], v[36:37], v[44:45]
	v_add_f64 v[40:41], v[48:49], -v[40:41]
	s_delay_alu instid0(VALU_DEP_3) | instskip(NEXT) | instid1(VALU_DEP_3)
	v_add_f64 v[30:31], v[56:57], v[30:31]
	v_fma_f64 v[36:37], -v[38:39], v[34:35], v[36:37]
	s_delay_alu instid0(VALU_DEP_3) | instskip(NEXT) | instid1(VALU_DEP_3)
	v_add_f64 v[38:39], v[42:43], -v[40:41]
	v_mul_f64 v[30:31], v[32:33], v[30:31]
	s_delay_alu instid0(VALU_DEP_3) | instskip(SKIP_1) | instid1(VALU_DEP_3)
	v_div_fmas_f64 v[32:33], v[36:37], v[44:45], v[34:35]
	v_cmp_eq_f64_e32 vcc_lo, 0x7ff00000, v[28:29]
	v_add_f64 v[30:31], v[38:39], v[30:31]
	s_delay_alu instid0(VALU_DEP_3) | instskip(NEXT) | instid1(VALU_DEP_2)
	v_div_fixup_f64 v[32:33], v[32:33], v[52:53], v[46:47]
	v_add_f64 v[34:35], v[48:49], v[30:31]
	s_delay_alu instid0(VALU_DEP_2) | instskip(NEXT) | instid1(VALU_DEP_2)
	v_mul_f64 v[36:37], v[32:33], v[32:33]
	v_mul_f64 v[38:39], v[34:35], v[34:35]
	s_delay_alu instid0(VALU_DEP_2) | instskip(NEXT) | instid1(VALU_DEP_2)
	v_fma_f64 v[40:41], v[36:37], s[48:49], s[46:47]
	v_fma_f64 v[42:43], v[38:39], s[28:29], s[26:27]
	v_mul_f64 v[44:45], v[34:35], v[38:39]
	s_delay_alu instid0(VALU_DEP_3) | instskip(NEXT) | instid1(VALU_DEP_3)
	v_fma_f64 v[40:41], v[36:37], v[40:41], s[50:51]
	v_fma_f64 v[42:43], v[38:39], v[42:43], s[34:35]
	s_delay_alu instid0(VALU_DEP_2) | instskip(NEXT) | instid1(VALU_DEP_2)
	v_fma_f64 v[40:41], v[36:37], v[40:41], s[52:53]
	v_fma_f64 v[42:43], v[38:39], v[42:43], s[36:37]
	s_delay_alu instid0(VALU_DEP_2) | instskip(NEXT) | instid1(VALU_DEP_2)
	;; [unrolled: 3-line block ×4, first 2 shown]
	v_fma_f64 v[40:41], v[36:37], v[40:41], s[58:59]
	v_fma_f64 v[38:39], v[38:39], v[42:43], s[98:99]
	v_ldexp_f64 v[42:43], v[34:35], 1
	v_add_f64 v[34:35], v[34:35], -v[48:49]
	s_delay_alu instid0(VALU_DEP_4) | instskip(NEXT) | instid1(VALU_DEP_4)
	v_fma_f64 v[40:41], v[36:37], v[40:41], s[60:61]
	v_mul_f64 v[38:39], v[44:45], v[38:39]
	v_cvt_f64_i32_e32 v[44:45], v18
	s_delay_alu instid0(VALU_DEP_4) | instskip(NEXT) | instid1(VALU_DEP_4)
	v_add_f64 v[30:31], v[30:31], -v[34:35]
	v_fma_f64 v[40:41], v[36:37], v[40:41], s[62:63]
	v_ashrrev_i32_e32 v18, 31, v10
	s_delay_alu instid0(VALU_DEP_1) | instskip(SKIP_4) | instid1(VALU_DEP_4)
	v_and_b32_e32 v10, 0x400921fb, v18
	v_add_f64 v[46:47], v[42:43], v[38:39]
	v_mul_f64 v[48:49], v[44:45], s[42:43]
	v_ldexp_f64 v[30:31], v[30:31], 1
	v_fma_f64 v[40:41], v[36:37], v[40:41], s[64:65]
	v_add_f64 v[34:35], v[46:47], -v[42:43]
	s_delay_alu instid0(VALU_DEP_4) | instskip(NEXT) | instid1(VALU_DEP_3)
	v_fma_f64 v[42:43], v[44:45], s[42:43], -v[48:49]
	v_fma_f64 v[40:41], v[36:37], v[40:41], s[66:67]
	s_delay_alu instid0(VALU_DEP_3) | instskip(NEXT) | instid1(VALU_DEP_2)
	v_add_f64 v[34:35], v[38:39], -v[34:35]
	v_fma_f64 v[38:39], v[36:37], v[40:41], s[68:69]
	s_delay_alu instid0(VALU_DEP_4) | instskip(NEXT) | instid1(VALU_DEP_3)
	v_fma_f64 v[40:41], v[44:45], s[44:45], v[42:43]
	v_add_f64 v[30:31], v[30:31], v[34:35]
	s_delay_alu instid0(VALU_DEP_3) | instskip(NEXT) | instid1(VALU_DEP_3)
	v_fma_f64 v[34:35], v[36:37], v[38:39], s[70:71]
	v_add_f64 v[38:39], v[48:49], v[40:41]
	s_delay_alu instid0(VALU_DEP_3) | instskip(NEXT) | instid1(VALU_DEP_3)
	v_add_f64 v[42:43], v[46:47], v[30:31]
	v_fma_f64 v[34:35], v[36:37], v[34:35], s[72:73]
	s_delay_alu instid0(VALU_DEP_3) | instskip(NEXT) | instid1(VALU_DEP_3)
	v_add_f64 v[48:49], v[38:39], -v[48:49]
	v_add_f64 v[44:45], v[38:39], v[42:43]
	v_add_f64 v[46:47], v[42:43], -v[46:47]
	s_delay_alu instid0(VALU_DEP_4) | instskip(NEXT) | instid1(VALU_DEP_4)
	v_fma_f64 v[34:35], v[36:37], v[34:35], s[74:75]
	v_add_f64 v[40:41], v[40:41], -v[48:49]
	s_delay_alu instid0(VALU_DEP_4) | instskip(NEXT) | instid1(VALU_DEP_4)
	v_add_f64 v[50:51], v[44:45], -v[38:39]
	v_add_f64 v[30:31], v[30:31], -v[46:47]
	s_delay_alu instid0(VALU_DEP_4) | instskip(NEXT) | instid1(VALU_DEP_3)
	v_fma_f64 v[34:35], v[36:37], v[34:35], s[76:77]
	v_add_f64 v[52:53], v[44:45], -v[50:51]
	v_add_f64 v[42:43], v[42:43], -v[50:51]
	s_delay_alu instid0(VALU_DEP_4) | instskip(NEXT) | instid1(VALU_DEP_4)
	v_add_f64 v[46:47], v[40:41], v[30:31]
	v_fma_f64 v[34:35], v[36:37], v[34:35], s[78:79]
	s_delay_alu instid0(VALU_DEP_4) | instskip(NEXT) | instid1(VALU_DEP_2)
	v_add_f64 v[38:39], v[38:39], -v[52:53]
	v_fma_f64 v[34:35], v[36:37], v[34:35], s[80:81]
	s_delay_alu instid0(VALU_DEP_2) | instskip(SKIP_1) | instid1(VALU_DEP_3)
	v_add_f64 v[38:39], v[42:43], v[38:39]
	v_add_f64 v[42:43], v[46:47], -v[40:41]
	v_fma_f64 v[34:35], v[36:37], v[34:35], s[82:83]
	s_delay_alu instid0(VALU_DEP_3) | instskip(NEXT) | instid1(VALU_DEP_3)
	v_add_f64 v[38:39], v[46:47], v[38:39]
	v_add_f64 v[46:47], v[46:47], -v[42:43]
	v_add_f64 v[30:31], v[30:31], -v[42:43]
	s_delay_alu instid0(VALU_DEP_4) | instskip(NEXT) | instid1(VALU_DEP_4)
	v_fma_f64 v[34:35], v[36:37], v[34:35], s[84:85]
	v_add_f64 v[48:49], v[44:45], v[38:39]
	s_delay_alu instid0(VALU_DEP_2) | instskip(SKIP_1) | instid1(VALU_DEP_3)
	v_mul_f64 v[34:35], v[36:37], v[34:35]
	v_add_f64 v[36:37], v[40:41], -v[46:47]
	v_add_f64 v[40:41], v[48:49], -v[44:45]
	s_delay_alu instid0(VALU_DEP_3) | instskip(NEXT) | instid1(VALU_DEP_3)
	v_fma_f64 v[32:33], v[32:33], v[34:35], v[32:33]
	v_add_f64 v[30:31], v[30:31], v[36:37]
	s_delay_alu instid0(VALU_DEP_3) | instskip(NEXT) | instid1(VALU_DEP_3)
	v_add_f64 v[34:35], v[38:39], -v[40:41]
	v_add_f64 v[36:37], -v[32:33], s[86:87]
	s_delay_alu instid0(VALU_DEP_2) | instskip(NEXT) | instid1(VALU_DEP_2)
	v_add_f64 v[30:31], v[30:31], v[34:35]
	v_cndmask_b32_e64 v33, v33, v37, s4
	s_delay_alu instid0(VALU_DEP_3) | instskip(SKIP_1) | instid1(VALU_DEP_2)
	v_cndmask_b32_e64 v32, v32, v36, s4
	v_cndmask_b32_e64 v36, 0x54442d18, v59, s5
	v_add_f64 v[34:35], -v[32:33], s[14:15]
	v_add_f64 v[30:31], v[48:49], v[30:31]
	v_and_b32_e32 v27, 0x54442d18, v18
	s_delay_alu instid0(VALU_DEP_3) | instskip(NEXT) | instid1(VALU_DEP_4)
	v_cndmask_b32_e64 v34, v32, v34, s5
	v_cndmask_b32_e64 v18, v33, v35, s5
	v_cmp_nge_f64_e64 s5, -1.0, v[28:29]
	v_dual_cndmask_b32 v30, v30, v28 :: v_dual_cndmask_b32 v31, v31, v29
	v_cmp_eq_f64_e32 vcc_lo, 0, v[11:12]
	s_delay_alu instid0(VALU_DEP_2) | instskip(SKIP_3) | instid1(VALU_DEP_4)
	v_mul_f64 v[31:32], v[30:31], 0.5
	v_cndmask_b32_e32 v33, v34, v27, vcc_lo
	v_cndmask_b32_e32 v10, v18, v10, vcc_lo
	v_cmp_ngt_f64_e32 vcc_lo, -1.0, v[28:29]
	v_cndmask_b32_e64 v27, 0, v31, s5
	v_cmp_neq_f64_e64 s5, -1.0, v[28:29]
	v_cndmask_b32_e32 v18, 0x7ff80000, v32, vcc_lo
	s_and_b32 vcc_lo, s7, s8
	v_dual_cndmask_b32 v29, v33, v36 :: v_dual_cndmask_b32 v30, v10, v9
	s_delay_alu instid0(VALU_DEP_2)
	v_cndmask_b32_e64 v28, 0xfff00000, v18, s5
                                        ; implicit-def: $vgpr33_vgpr34
                                        ; implicit-def: $vgpr35_vgpr36
.LBB192_159:                            ;   in Loop: Header=BB192_145 Depth=1
	s_and_not1_saveexec_b32 s23, s6
	s_cbranch_execz .LBB192_167
; %bb.160:                              ;   in Loop: Header=BB192_145 Depth=1
	v_mul_f64 v[27:28], v[33:34], v[33:34]
	s_mov_b32 s6, 0x66666666
	s_mov_b32 s7, 0x3fe66666
                                        ; implicit-def: $vgpr29_vgpr30
	s_mov_b32 s5, exec_lo
	s_delay_alu instid0(VALU_DEP_1) | instskip(NEXT) | instid1(VALU_DEP_1)
	v_fma_f64 v[31:32], v[35:36], v[35:36], v[27:28]
                                        ; implicit-def: $vgpr27_vgpr28
	v_cmpx_ge_f64_e32 s[6:7], v[31:32]
	s_xor_b32 s7, exec_lo, s5
	s_cbranch_execz .LBB192_162
; %bb.161:                              ;   in Loop: Header=BB192_145 Depth=1
	v_frexp_mant_f64_e32 v[27:28], v[31:32]
	v_max_f64 v[39:40], |v[9:10]|, |v[9:10]|
	s_mov_b32 s99, s25
	s_mov_b32 s14, s86
	v_cmp_class_f64_e64 s8, v[11:12], 0x204
	v_cmp_class_f64_e64 s9, v[9:10], 0x204
	v_cmp_neq_f64_e64 s6, 0, v[31:32]
	v_cmp_gt_f64_e64 s5, s[24:25], v[27:28]
	s_delay_alu instid0(VALU_DEP_1) | instskip(NEXT) | instid1(VALU_DEP_1)
	v_cndmask_b32_e64 v18, 0x3ff00000, 2.0, s5
	v_mul_f64 v[27:28], v[27:28], v[17:18]
	v_frexp_exp_i32_f64_e32 v18, v[31:32]
	s_delay_alu instid0(VALU_DEP_2) | instskip(SKIP_1) | instid1(VALU_DEP_2)
	v_add_f64 v[29:30], v[27:28], 1.0
	v_add_f64 v[37:38], v[27:28], -1.0
	v_rcp_f64_e32 v[33:34], v[29:30]
	s_waitcnt_depctr 0xfff
	v_fma_f64 v[35:36], -v[29:30], v[33:34], 1.0
	s_delay_alu instid0(VALU_DEP_1) | instskip(NEXT) | instid1(VALU_DEP_1)
	v_fma_f64 v[33:34], v[35:36], v[33:34], v[33:34]
	v_fma_f64 v[35:36], -v[29:30], v[33:34], 1.0
	s_delay_alu instid0(VALU_DEP_1) | instskip(SKIP_1) | instid1(VALU_DEP_2)
	v_fma_f64 v[33:34], v[35:36], v[33:34], v[33:34]
	v_max_f64 v[35:36], |v[11:12]|, |v[11:12]|
	v_mul_f64 v[41:42], v[37:38], v[33:34]
	s_delay_alu instid0(VALU_DEP_2) | instskip(SKIP_2) | instid1(VALU_DEP_4)
	v_max_f64 v[43:44], v[39:40], v[35:36]
	v_min_f64 v[35:36], v[39:40], v[35:36]
	v_add_f64 v[39:40], v[29:30], -1.0
	v_mul_f64 v[45:46], v[29:30], v[41:42]
	s_delay_alu instid0(VALU_DEP_3) | instskip(NEXT) | instid1(VALU_DEP_3)
	v_div_scale_f64 v[47:48], null, v[43:44], v[43:44], v[35:36]
	v_add_f64 v[27:28], v[27:28], -v[39:40]
	v_div_scale_f64 v[53:54], vcc_lo, v[35:36], v[43:44], v[35:36]
	s_delay_alu instid0(VALU_DEP_4) | instskip(NEXT) | instid1(VALU_DEP_4)
	v_fma_f64 v[29:30], v[41:42], v[29:30], -v[45:46]
	v_rcp_f64_e32 v[39:40], v[47:48]
	s_delay_alu instid0(VALU_DEP_1) | instskip(SKIP_3) | instid1(VALU_DEP_2)
	v_fma_f64 v[27:28], v[41:42], v[27:28], v[29:30]
	s_waitcnt_depctr 0xfff
	v_fma_f64 v[29:30], -v[47:48], v[39:40], 1.0
	v_add_f64 v[49:50], v[45:46], v[27:28]
	v_fma_f64 v[29:30], v[39:40], v[29:30], v[39:40]
	s_delay_alu instid0(VALU_DEP_2) | instskip(SKIP_1) | instid1(VALU_DEP_3)
	v_add_f64 v[39:40], v[37:38], -v[49:50]
	v_add_f64 v[45:46], v[49:50], -v[45:46]
	v_fma_f64 v[51:52], -v[47:48], v[29:30], 1.0
	s_delay_alu instid0(VALU_DEP_3) | instskip(NEXT) | instid1(VALU_DEP_3)
	v_add_f64 v[37:38], v[37:38], -v[39:40]
	v_add_f64 v[27:28], v[45:46], -v[27:28]
	s_delay_alu instid0(VALU_DEP_3) | instskip(NEXT) | instid1(VALU_DEP_3)
	v_fma_f64 v[29:30], v[29:30], v[51:52], v[29:30]
	v_add_f64 v[37:38], v[37:38], -v[49:50]
	s_delay_alu instid0(VALU_DEP_2) | instskip(NEXT) | instid1(VALU_DEP_2)
	v_mul_f64 v[45:46], v[53:54], v[29:30]
	v_add_f64 v[27:28], v[27:28], v[37:38]
	s_delay_alu instid0(VALU_DEP_2) | instskip(NEXT) | instid1(VALU_DEP_2)
	v_fma_f64 v[37:38], -v[47:48], v[45:46], v[53:54]
	v_add_f64 v[27:28], v[39:40], v[27:28]
	s_delay_alu instid0(VALU_DEP_2)
	v_div_fmas_f64 v[29:30], v[37:38], v[29:30], v[45:46]
	v_subrev_co_ci_u32_e64 v18, vcc_lo, 0, v18, s5
	v_cmp_eq_f64_e64 s5, 0, v[11:12]
	v_cmp_gt_i32_e32 vcc_lo, 0, v10
	v_mul_f64 v[27:28], v[33:34], v[27:28]
	v_div_fixup_f64 v[29:30], v[29:30], v[43:44], v[35:36]
	s_delay_alu instid0(VALU_DEP_2) | instskip(NEXT) | instid1(VALU_DEP_2)
	v_add_f64 v[33:34], v[41:42], v[27:28]
	v_mul_f64 v[35:36], v[29:30], v[29:30]
	s_delay_alu instid0(VALU_DEP_2) | instskip(NEXT) | instid1(VALU_DEP_2)
	v_mul_f64 v[37:38], v[33:34], v[33:34]
	v_fma_f64 v[39:40], v[35:36], s[48:49], s[46:47]
	s_delay_alu instid0(VALU_DEP_2) | instskip(SKIP_1) | instid1(VALU_DEP_3)
	v_fma_f64 v[43:44], v[37:38], s[28:29], s[26:27]
	v_mul_f64 v[45:46], v[33:34], v[37:38]
	v_fma_f64 v[39:40], v[35:36], v[39:40], s[50:51]
	s_delay_alu instid0(VALU_DEP_3) | instskip(NEXT) | instid1(VALU_DEP_2)
	v_fma_f64 v[43:44], v[37:38], v[43:44], s[34:35]
	v_fma_f64 v[39:40], v[35:36], v[39:40], s[52:53]
	s_delay_alu instid0(VALU_DEP_2) | instskip(NEXT) | instid1(VALU_DEP_2)
	v_fma_f64 v[43:44], v[37:38], v[43:44], s[36:37]
	v_fma_f64 v[39:40], v[35:36], v[39:40], s[54:55]
	s_delay_alu instid0(VALU_DEP_2) | instskip(NEXT) | instid1(VALU_DEP_2)
	;; [unrolled: 3-line block ×3, first 2 shown]
	v_fma_f64 v[43:44], v[37:38], v[43:44], s[40:41]
	v_fma_f64 v[39:40], v[35:36], v[39:40], s[58:59]
	s_delay_alu instid0(VALU_DEP_2) | instskip(SKIP_2) | instid1(VALU_DEP_4)
	v_fma_f64 v[37:38], v[37:38], v[43:44], s[98:99]
	v_ldexp_f64 v[43:44], v[33:34], 1
	v_add_f64 v[33:34], v[33:34], -v[41:42]
	v_fma_f64 v[39:40], v[35:36], v[39:40], s[60:61]
	s_delay_alu instid0(VALU_DEP_4) | instskip(SKIP_1) | instid1(VALU_DEP_4)
	v_mul_f64 v[37:38], v[45:46], v[37:38]
	v_cvt_f64_i32_e32 v[45:46], v18
	v_add_f64 v[27:28], v[27:28], -v[33:34]
	v_ashrrev_i32_e32 v18, 31, v10
	v_fma_f64 v[39:40], v[35:36], v[39:40], s[62:63]
	v_add_f64 v[41:42], v[43:44], v[37:38]
	v_mul_f64 v[47:48], v[45:46], s[42:43]
	v_ldexp_f64 v[27:28], v[27:28], 1
	s_delay_alu instid0(VALU_DEP_4) | instskip(NEXT) | instid1(VALU_DEP_4)
	v_fma_f64 v[39:40], v[35:36], v[39:40], s[64:65]
	v_add_f64 v[33:34], v[41:42], -v[43:44]
	s_delay_alu instid0(VALU_DEP_4) | instskip(NEXT) | instid1(VALU_DEP_3)
	v_fma_f64 v[43:44], v[45:46], s[42:43], -v[47:48]
	v_fma_f64 v[39:40], v[35:36], v[39:40], s[66:67]
	s_delay_alu instid0(VALU_DEP_3) | instskip(NEXT) | instid1(VALU_DEP_2)
	v_add_f64 v[33:34], v[37:38], -v[33:34]
	v_fma_f64 v[37:38], v[35:36], v[39:40], s[68:69]
	s_delay_alu instid0(VALU_DEP_4) | instskip(NEXT) | instid1(VALU_DEP_3)
	v_fma_f64 v[39:40], v[45:46], s[44:45], v[43:44]
	v_add_f64 v[27:28], v[27:28], v[33:34]
	s_delay_alu instid0(VALU_DEP_3) | instskip(NEXT) | instid1(VALU_DEP_3)
	v_fma_f64 v[33:34], v[35:36], v[37:38], s[70:71]
	v_add_f64 v[37:38], v[47:48], v[39:40]
	s_delay_alu instid0(VALU_DEP_3) | instskip(NEXT) | instid1(VALU_DEP_3)
	v_add_f64 v[43:44], v[41:42], v[27:28]
	v_fma_f64 v[33:34], v[35:36], v[33:34], s[72:73]
	s_delay_alu instid0(VALU_DEP_3) | instskip(NEXT) | instid1(VALU_DEP_3)
	v_add_f64 v[47:48], v[37:38], -v[47:48]
	v_add_f64 v[45:46], v[37:38], v[43:44]
	v_add_f64 v[41:42], v[43:44], -v[41:42]
	s_delay_alu instid0(VALU_DEP_4) | instskip(NEXT) | instid1(VALU_DEP_4)
	v_fma_f64 v[33:34], v[35:36], v[33:34], s[74:75]
	v_add_f64 v[39:40], v[39:40], -v[47:48]
	s_delay_alu instid0(VALU_DEP_4) | instskip(NEXT) | instid1(VALU_DEP_4)
	v_add_f64 v[49:50], v[45:46], -v[37:38]
	v_add_f64 v[27:28], v[27:28], -v[41:42]
	s_delay_alu instid0(VALU_DEP_4) | instskip(NEXT) | instid1(VALU_DEP_3)
	v_fma_f64 v[33:34], v[35:36], v[33:34], s[76:77]
	v_add_f64 v[51:52], v[45:46], -v[49:50]
	v_add_f64 v[41:42], v[43:44], -v[49:50]
	s_delay_alu instid0(VALU_DEP_4) | instskip(NEXT) | instid1(VALU_DEP_4)
	v_add_f64 v[43:44], v[39:40], v[27:28]
	v_fma_f64 v[33:34], v[35:36], v[33:34], s[78:79]
	s_delay_alu instid0(VALU_DEP_4) | instskip(NEXT) | instid1(VALU_DEP_2)
	v_add_f64 v[37:38], v[37:38], -v[51:52]
	v_fma_f64 v[33:34], v[35:36], v[33:34], s[80:81]
	s_delay_alu instid0(VALU_DEP_2) | instskip(SKIP_1) | instid1(VALU_DEP_3)
	v_add_f64 v[37:38], v[41:42], v[37:38]
	v_add_f64 v[41:42], v[43:44], -v[39:40]
	v_fma_f64 v[33:34], v[35:36], v[33:34], s[82:83]
	s_delay_alu instid0(VALU_DEP_3) | instskip(NEXT) | instid1(VALU_DEP_3)
	v_add_f64 v[37:38], v[43:44], v[37:38]
	v_add_f64 v[43:44], v[43:44], -v[41:42]
	v_add_f64 v[27:28], v[27:28], -v[41:42]
	s_delay_alu instid0(VALU_DEP_4) | instskip(NEXT) | instid1(VALU_DEP_4)
	v_fma_f64 v[33:34], v[35:36], v[33:34], s[84:85]
	v_add_f64 v[47:48], v[45:46], v[37:38]
	s_delay_alu instid0(VALU_DEP_2) | instskip(SKIP_1) | instid1(VALU_DEP_3)
	v_mul_f64 v[33:34], v[35:36], v[33:34]
	v_add_f64 v[35:36], v[39:40], -v[43:44]
	v_add_f64 v[39:40], v[47:48], -v[45:46]
	s_delay_alu instid0(VALU_DEP_3) | instskip(NEXT) | instid1(VALU_DEP_3)
	v_fma_f64 v[29:30], v[29:30], v[33:34], v[29:30]
	v_add_f64 v[27:28], v[27:28], v[35:36]
	s_delay_alu instid0(VALU_DEP_3) | instskip(NEXT) | instid1(VALU_DEP_3)
	v_add_f64 v[33:34], v[37:38], -v[39:40]
	v_add_f64 v[35:36], -v[29:30], s[86:87]
	s_delay_alu instid0(VALU_DEP_2) | instskip(NEXT) | instid1(VALU_DEP_2)
	v_add_f64 v[27:28], v[27:28], v[33:34]
	v_cndmask_b32_e64 v30, v30, v36, s4
	s_delay_alu instid0(VALU_DEP_3) | instskip(SKIP_2) | instid1(VALU_DEP_3)
	v_cndmask_b32_e64 v29, v29, v35, s4
	v_dual_cndmask_b32 v35, 0x54442d18, v59 :: v_dual_and_b32 v36, 0x54442d18, v18
	v_and_b32_e32 v18, 0x400921fb, v18
	v_add_f64 v[33:34], -v[29:30], s[14:15]
	v_add_f64 v[27:28], v[47:48], v[27:28]
	s_delay_alu instid0(VALU_DEP_2) | instskip(NEXT) | instid1(VALU_DEP_1)
	v_cndmask_b32_e32 v29, v29, v33, vcc_lo
	v_cndmask_b32_e64 v29, v29, v36, s5
	s_delay_alu instid0(VALU_DEP_3) | instskip(SKIP_4) | instid1(VALU_DEP_3)
	v_mul_f64 v[9:10], v[27:28], 0.5
	v_cndmask_b32_e32 v27, 0x3fe921fb, v60, vcc_lo
	v_cndmask_b32_e32 v28, v30, v34, vcc_lo
	s_and_b32 vcc_lo, s8, s9
                                        ; implicit-def: $vgpr33_vgpr34
	v_cndmask_b32_e32 v29, v29, v35, vcc_lo
	v_bfi_b32 v27, 0x7fffffff, v27, v12
	s_delay_alu instid0(VALU_DEP_3) | instskip(NEXT) | instid1(VALU_DEP_1)
	v_cndmask_b32_e64 v18, v28, v18, s5
                                        ; implicit-def: $vgpr35_vgpr36
	v_cndmask_b32_e32 v30, v18, v27, vcc_lo
	v_cndmask_b32_e64 v28, 0xfff00000, v10, s6
	v_cndmask_b32_e64 v27, 0, v9, s6
.LBB192_162:                            ;   in Loop: Header=BB192_145 Depth=1
	s_and_not1_saveexec_b32 s90, s7
	s_cbranch_execz .LBB192_166
; %bb.163:                              ;   in Loop: Header=BB192_145 Depth=1
	v_dual_mov_b32 v29, v17 :: v_dual_and_b32 v18, 0x7ffffff8, v36
	v_and_b32_e32 v30, 0x7ffffff8, v34
	s_mov_b32 s91, 0
	s_delay_alu instid0(VALU_DEP_2) | instskip(SKIP_1) | instid1(VALU_DEP_3)
	v_add_f64 v[27:28], v[35:36], -v[17:18]
	v_mov_b32_e32 v35, v17
	v_add_f64 v[31:32], v[33:34], -v[29:30]
	v_mov_b32_e32 v37, v17
	v_add_f64 v[39:40], v[17:18], v[17:18]
	v_add_f64 v[47:48], v[29:30], v[29:30]
	v_mul_f64 v[33:34], v[29:30], v[29:30]
	v_and_b32_e32 v36, -8, v28
	v_and_b32_e32 v38, -8, v32
	s_delay_alu instid0(VALU_DEP_2) | instskip(SKIP_1) | instid1(VALU_DEP_3)
	v_add_f64 v[49:50], v[27:28], -v[35:36]
	v_add_f64 v[53:54], v[35:36], v[35:36]
	v_add_f64 v[51:52], v[31:32], -v[37:38]
	v_add_f64 v[55:56], v[37:38], v[37:38]
	v_mul_f64 v[27:28], v[17:18], v[17:18]
	v_mul_f64 v[45:46], v[39:40], v[35:36]
	;; [unrolled: 1-line block ×11, first 2 shown]
.LBB192_164:                            ;   Parent Loop BB192_145 Depth=1
                                        ; =>  This Inner Loop Header: Depth=2
	v_cmp_nlt_f64_e32 vcc_lo, v[27:28], v[33:34]
	v_dual_cndmask_b32 v52, v28, v34 :: v_dual_cndmask_b32 v51, v27, v33
	v_dual_cndmask_b32 v28, v34, v28 :: v_dual_cndmask_b32 v27, v33, v27
	s_delay_alu instid0(VALU_DEP_2) | instskip(NEXT) | instid1(VALU_DEP_1)
	v_cmp_nlt_f64_e64 s5, v[51:52], v[45:46]
	v_cndmask_b32_e64 v54, v52, v46, s5
	v_cndmask_b32_e64 v53, v51, v45, s5
	;; [unrolled: 1-line block ×4, first 2 shown]
	s_and_b32 s5, vcc_lo, s5
	s_delay_alu instid0(VALU_DEP_3) | instskip(NEXT) | instid1(VALU_DEP_1)
	v_cmp_nlt_f64_e64 s6, v[53:54], v[31:32]
	v_cndmask_b32_e64 v52, v54, v32, s6
	v_cndmask_b32_e64 v51, v53, v31, s6
	;; [unrolled: 1-line block ×4, first 2 shown]
	s_delay_alu instid0(VALU_DEP_3) | instskip(NEXT) | instid1(VALU_DEP_1)
	v_cmp_nlt_f64_e64 s7, v[51:52], v[43:44]
	v_cndmask_b32_e64 v54, v52, v44, s7
	v_cndmask_b32_e64 v53, v51, v43, s7
	;; [unrolled: 1-line block ×4, first 2 shown]
	s_and_b32 s6, s6, s7
	s_delay_alu instid0(VALU_DEP_3) | instskip(NEXT) | instid1(VALU_DEP_1)
	v_cmp_nlt_f64_e64 s8, v[53:54], v[29:30]
	v_cndmask_b32_e64 v52, v54, v30, s8
	v_cndmask_b32_e64 v51, v53, v29, s8
	;; [unrolled: 1-line block ×4, first 2 shown]
	s_delay_alu instid0(VALU_DEP_3) | instskip(NEXT) | instid1(VALU_DEP_1)
	v_cmp_nlt_f64_e64 s9, v[51:52], v[41:42]
	v_cndmask_b32_e64 v54, v52, v42, s9
	v_cndmask_b32_e64 v53, v51, v41, s9
	v_cndmask_b32_e64 v30, v42, v52, s9
	v_cndmask_b32_e64 v29, v41, v51, s9
	s_and_b32 s7, s8, s9
	s_delay_alu instid0(VALU_DEP_3) | instskip(NEXT) | instid1(VALU_DEP_1)
	v_cmp_nlt_f64_e64 s10, v[53:54], v[39:40]
	v_cndmask_b32_e64 v52, v54, v40, s10
	v_cndmask_b32_e64 v51, v53, v39, s10
	v_cndmask_b32_e64 v42, v40, v54, s10
	v_cndmask_b32_e64 v41, v39, v53, s10
	s_and_b32 s7, s7, s10
	;; [unrolled: 7-line block ×4, first 2 shown]
	s_delay_alu instid0(VALU_DEP_3) | instskip(NEXT) | instid1(VALU_DEP_1)
	v_cmp_nlt_f64_e64 s13, v[51:52], v[47:48]
	v_cndmask_b32_e64 v54, v52, v48, s13
	v_cndmask_b32_e64 v53, v51, v47, s13
	s_and_b32 s7, s7, s13
	v_cndmask_b32_e64 v36, v48, v52, s13
	v_cndmask_b32_e64 v35, v47, v51, s13
	s_delay_alu instid0(VALU_DEP_3) | instskip(NEXT) | instid1(VALU_DEP_1)
	v_cmp_nlt_f64_e64 s14, v[53:54], v[49:50]
	v_cndmask_b32_e64 v52, v54, v50, s14
	v_cndmask_b32_e64 v51, v53, v49, s14
	s_and_b32 s7, s7, s14
	v_cndmask_b32_e64 v48, v50, v54, s14
	s_and_b32 s6, s7, s6
	;; [unrolled: 2-line block ×3, first 2 shown]
	v_dual_mov_b32 v49, v51 :: v_dual_mov_b32 v50, v52
	s_and_b32 s5, exec_lo, s5
	s_delay_alu instid0(SALU_CYCLE_1) | instskip(NEXT) | instid1(SALU_CYCLE_1)
	s_or_b32 s91, s5, s91
	s_and_not1_b32 exec_lo, exec_lo, s91
	s_cbranch_execnz .LBB192_164
; %bb.165:                              ;   in Loop: Header=BB192_145 Depth=1
	s_or_b32 exec_lo, exec_lo, s91
	v_add_f64 v[27:28], v[27:28], -1.0
	s_mov_b32 s99, s25
	s_mov_b32 s14, s86
	v_cmp_gt_i32_e64 s5, 0, v10
	v_cmp_class_f64_e64 s7, v[9:10], 0x204
	v_cmp_class_f64_e64 s6, v[11:12], 0x204
	s_mov_b32 s12, 0x4ad4b81f
	s_mov_b32 s13, 0x358dee7a
	s_delay_alu instid0(VALU_DEP_4) | instskip(NEXT) | instid1(VALU_DEP_1)
	v_add_f64 v[27:28], v[27:28], v[33:34]
	v_add_f64 v[27:28], v[27:28], v[45:46]
	s_delay_alu instid0(VALU_DEP_1) | instskip(NEXT) | instid1(VALU_DEP_1)
	v_add_f64 v[27:28], v[27:28], v[31:32]
	v_add_f64 v[27:28], v[27:28], v[43:44]
	s_delay_alu instid0(VALU_DEP_1) | instskip(NEXT) | instid1(VALU_DEP_1)
	;; [unrolled: 3-line block ×5, first 2 shown]
	v_add_f64 v[28:29], v[51:52], v[27:28]
	v_add_f64 v[30:31], v[28:29], 1.0
	s_delay_alu instid0(VALU_DEP_1) | instskip(SKIP_2) | instid1(VALU_DEP_3)
	v_frexp_mant_f64_e32 v[32:33], v[30:31]
	v_frexp_exp_i32_f64_e32 v18, v[30:31]
	v_add_f64 v[34:35], v[30:31], -1.0
	v_cmp_gt_f64_e32 vcc_lo, s[24:25], v[32:33]
	s_delay_alu instid0(VALU_DEP_2) | instskip(SKIP_2) | instid1(VALU_DEP_3)
	v_add_f64 v[32:33], v[34:35], -v[30:31]
	v_add_f64 v[34:35], v[28:29], -v[34:35]
	v_subrev_co_ci_u32_e32 v18, vcc_lo, 0, v18, vcc_lo
	v_add_f64 v[32:33], v[32:33], 1.0
	s_delay_alu instid0(VALU_DEP_2) | instskip(NEXT) | instid1(VALU_DEP_1)
	v_sub_nc_u32_e32 v27, 0, v18
	v_ldexp_f64 v[30:31], v[30:31], v27
	s_delay_alu instid0(VALU_DEP_3) | instskip(NEXT) | instid1(VALU_DEP_2)
	v_add_f64 v[32:33], v[34:35], v[32:33]
	v_add_f64 v[36:37], v[30:31], 1.0
	v_add_f64 v[42:43], v[30:31], -1.0
	s_delay_alu instid0(VALU_DEP_3) | instskip(NEXT) | instid1(VALU_DEP_3)
	v_ldexp_f64 v[32:33], v[32:33], v27
	v_add_f64 v[34:35], v[36:37], -1.0
	s_delay_alu instid0(VALU_DEP_3) | instskip(NEXT) | instid1(VALU_DEP_2)
	v_add_f64 v[44:45], v[42:43], 1.0
	v_add_f64 v[34:35], v[30:31], -v[34:35]
	s_delay_alu instid0(VALU_DEP_2) | instskip(NEXT) | instid1(VALU_DEP_2)
	v_add_f64 v[30:31], v[30:31], -v[44:45]
	v_add_f64 v[34:35], v[32:33], v[34:35]
	s_delay_alu instid0(VALU_DEP_2) | instskip(NEXT) | instid1(VALU_DEP_2)
	v_add_f64 v[30:31], v[32:33], v[30:31]
	v_add_f64 v[38:39], v[36:37], v[34:35]
	s_delay_alu instid0(VALU_DEP_2) | instskip(NEXT) | instid1(VALU_DEP_2)
	v_add_f64 v[44:45], v[42:43], v[30:31]
	v_rcp_f64_e32 v[40:41], v[38:39]
	v_add_f64 v[36:37], v[38:39], -v[36:37]
	s_delay_alu instid0(VALU_DEP_2) | instskip(NEXT) | instid1(VALU_DEP_2)
	v_add_f64 v[42:43], v[44:45], -v[42:43]
	v_add_f64 v[34:35], v[34:35], -v[36:37]
	s_waitcnt_depctr 0xfff
	v_fma_f64 v[46:47], -v[38:39], v[40:41], 1.0
	v_add_f64 v[30:31], v[30:31], -v[42:43]
	s_delay_alu instid0(VALU_DEP_2) | instskip(NEXT) | instid1(VALU_DEP_1)
	v_fma_f64 v[40:41], v[46:47], v[40:41], v[40:41]
	v_fma_f64 v[32:33], -v[38:39], v[40:41], 1.0
	s_delay_alu instid0(VALU_DEP_1) | instskip(NEXT) | instid1(VALU_DEP_1)
	v_fma_f64 v[32:33], v[32:33], v[40:41], v[40:41]
	v_mul_f64 v[40:41], v[44:45], v[32:33]
	s_delay_alu instid0(VALU_DEP_1) | instskip(NEXT) | instid1(VALU_DEP_1)
	v_mul_f64 v[46:47], v[38:39], v[40:41]
	v_fma_f64 v[36:37], v[40:41], v[38:39], -v[46:47]
	s_delay_alu instid0(VALU_DEP_1) | instskip(NEXT) | instid1(VALU_DEP_1)
	v_fma_f64 v[36:37], v[40:41], v[34:35], v[36:37]
	v_add_f64 v[48:49], v[46:47], v[36:37]
	s_delay_alu instid0(VALU_DEP_1) | instskip(SKIP_2) | instid1(VALU_DEP_3)
	v_add_f64 v[50:51], v[44:45], -v[48:49]
	v_add_f64 v[42:43], v[48:49], -v[46:47]
	v_max_f64 v[46:47], |v[11:12]|, |v[11:12]|
	v_add_f64 v[44:45], v[44:45], -v[50:51]
	s_delay_alu instid0(VALU_DEP_3) | instskip(NEXT) | instid1(VALU_DEP_2)
	v_add_f64 v[36:37], v[42:43], -v[36:37]
	v_add_f64 v[44:45], v[44:45], -v[48:49]
	v_max_f64 v[48:49], |v[9:10]|, |v[9:10]|
	v_cndmask_b32_e64 v9, 0x3fe921fb, v60, s5
	s_delay_alu instid0(VALU_DEP_1) | instskip(NEXT) | instid1(VALU_DEP_4)
	v_bfi_b32 v9, 0x7fffffff, v9, v12
	v_add_f64 v[30:31], v[30:31], v[44:45]
	s_delay_alu instid0(VALU_DEP_4) | instskip(SKIP_1) | instid1(VALU_DEP_3)
	v_max_f64 v[52:53], v[48:49], v[46:47]
	v_min_f64 v[46:47], v[48:49], v[46:47]
	v_add_f64 v[30:31], v[36:37], v[30:31]
	s_delay_alu instid0(VALU_DEP_1) | instskip(NEXT) | instid1(VALU_DEP_1)
	v_add_f64 v[36:37], v[50:51], v[30:31]
	v_mul_f64 v[42:43], v[32:33], v[36:37]
	v_add_f64 v[50:51], v[50:51], -v[36:37]
	s_delay_alu instid0(VALU_DEP_2) | instskip(NEXT) | instid1(VALU_DEP_2)
	v_mul_f64 v[44:45], v[38:39], v[42:43]
	v_add_f64 v[30:31], v[30:31], v[50:51]
	s_delay_alu instid0(VALU_DEP_2) | instskip(NEXT) | instid1(VALU_DEP_1)
	v_fma_f64 v[38:39], v[42:43], v[38:39], -v[44:45]
	v_fma_f64 v[34:35], v[42:43], v[34:35], v[38:39]
	v_div_scale_f64 v[38:39], null, v[52:53], v[52:53], v[46:47]
	s_delay_alu instid0(VALU_DEP_2) | instskip(NEXT) | instid1(VALU_DEP_2)
	v_add_f64 v[48:49], v[44:45], v[34:35]
	v_rcp_f64_e32 v[54:55], v[38:39]
	s_delay_alu instid0(VALU_DEP_1)
	v_add_f64 v[56:57], v[36:37], -v[48:49]
	v_add_f64 v[44:45], v[48:49], -v[44:45]
	s_waitcnt_depctr 0xfff
	v_fma_f64 v[61:62], -v[38:39], v[54:55], 1.0
	v_add_f64 v[36:37], v[36:37], -v[56:57]
	v_add_f64 v[34:35], v[44:45], -v[34:35]
	s_delay_alu instid0(VALU_DEP_3) | instskip(NEXT) | instid1(VALU_DEP_3)
	v_fma_f64 v[54:55], v[54:55], v[61:62], v[54:55]
	v_add_f64 v[36:37], v[36:37], -v[48:49]
	s_delay_alu instid0(VALU_DEP_2) | instskip(NEXT) | instid1(VALU_DEP_2)
	v_fma_f64 v[48:49], -v[38:39], v[54:55], 1.0
	v_add_f64 v[30:31], v[30:31], v[36:37]
	v_div_scale_f64 v[36:37], vcc_lo, v[46:47], v[52:53], v[46:47]
	s_delay_alu instid0(VALU_DEP_3) | instskip(SKIP_1) | instid1(VALU_DEP_4)
	v_fma_f64 v[44:45], v[54:55], v[48:49], v[54:55]
	v_add_f64 v[48:49], v[40:41], v[42:43]
	v_add_f64 v[30:31], v[34:35], v[30:31]
	s_delay_alu instid0(VALU_DEP_3) | instskip(NEXT) | instid1(VALU_DEP_3)
	v_mul_f64 v[34:35], v[36:37], v[44:45]
	v_add_f64 v[40:41], v[48:49], -v[40:41]
	s_delay_alu instid0(VALU_DEP_3) | instskip(NEXT) | instid1(VALU_DEP_3)
	v_add_f64 v[30:31], v[56:57], v[30:31]
	v_fma_f64 v[36:37], -v[38:39], v[34:35], v[36:37]
	s_delay_alu instid0(VALU_DEP_3) | instskip(NEXT) | instid1(VALU_DEP_3)
	v_add_f64 v[38:39], v[42:43], -v[40:41]
	v_mul_f64 v[30:31], v[32:33], v[30:31]
	s_delay_alu instid0(VALU_DEP_3) | instskip(SKIP_1) | instid1(VALU_DEP_3)
	v_div_fmas_f64 v[32:33], v[36:37], v[44:45], v[34:35]
	v_cmp_eq_f64_e32 vcc_lo, 0x7ff00000, v[28:29]
	v_add_f64 v[30:31], v[38:39], v[30:31]
	s_delay_alu instid0(VALU_DEP_3) | instskip(NEXT) | instid1(VALU_DEP_2)
	v_div_fixup_f64 v[32:33], v[32:33], v[52:53], v[46:47]
	v_add_f64 v[34:35], v[48:49], v[30:31]
	s_delay_alu instid0(VALU_DEP_2) | instskip(NEXT) | instid1(VALU_DEP_2)
	v_mul_f64 v[36:37], v[32:33], v[32:33]
	v_mul_f64 v[38:39], v[34:35], v[34:35]
	s_delay_alu instid0(VALU_DEP_2) | instskip(NEXT) | instid1(VALU_DEP_2)
	v_fma_f64 v[40:41], v[36:37], s[48:49], s[46:47]
	v_fma_f64 v[42:43], v[38:39], s[28:29], s[26:27]
	v_mul_f64 v[44:45], v[34:35], v[38:39]
	s_delay_alu instid0(VALU_DEP_3) | instskip(NEXT) | instid1(VALU_DEP_3)
	v_fma_f64 v[40:41], v[36:37], v[40:41], s[50:51]
	v_fma_f64 v[42:43], v[38:39], v[42:43], s[34:35]
	s_delay_alu instid0(VALU_DEP_2) | instskip(NEXT) | instid1(VALU_DEP_2)
	v_fma_f64 v[40:41], v[36:37], v[40:41], s[52:53]
	v_fma_f64 v[42:43], v[38:39], v[42:43], s[36:37]
	s_delay_alu instid0(VALU_DEP_2) | instskip(NEXT) | instid1(VALU_DEP_2)
	;; [unrolled: 3-line block ×4, first 2 shown]
	v_fma_f64 v[40:41], v[36:37], v[40:41], s[58:59]
	v_fma_f64 v[38:39], v[38:39], v[42:43], s[98:99]
	v_ldexp_f64 v[42:43], v[34:35], 1
	v_add_f64 v[34:35], v[34:35], -v[48:49]
	s_delay_alu instid0(VALU_DEP_4) | instskip(NEXT) | instid1(VALU_DEP_4)
	v_fma_f64 v[40:41], v[36:37], v[40:41], s[60:61]
	v_mul_f64 v[38:39], v[44:45], v[38:39]
	v_cvt_f64_i32_e32 v[44:45], v18
	s_delay_alu instid0(VALU_DEP_4) | instskip(NEXT) | instid1(VALU_DEP_4)
	v_add_f64 v[30:31], v[30:31], -v[34:35]
	v_fma_f64 v[40:41], v[36:37], v[40:41], s[62:63]
	v_ashrrev_i32_e32 v18, 31, v10
	s_delay_alu instid0(VALU_DEP_1) | instskip(SKIP_4) | instid1(VALU_DEP_4)
	v_and_b32_e32 v10, 0x400921fb, v18
	v_add_f64 v[46:47], v[42:43], v[38:39]
	v_mul_f64 v[48:49], v[44:45], s[42:43]
	v_ldexp_f64 v[30:31], v[30:31], 1
	v_fma_f64 v[40:41], v[36:37], v[40:41], s[64:65]
	v_add_f64 v[34:35], v[46:47], -v[42:43]
	s_delay_alu instid0(VALU_DEP_4) | instskip(NEXT) | instid1(VALU_DEP_3)
	v_fma_f64 v[42:43], v[44:45], s[42:43], -v[48:49]
	v_fma_f64 v[40:41], v[36:37], v[40:41], s[66:67]
	s_delay_alu instid0(VALU_DEP_3) | instskip(NEXT) | instid1(VALU_DEP_2)
	v_add_f64 v[34:35], v[38:39], -v[34:35]
	v_fma_f64 v[38:39], v[36:37], v[40:41], s[68:69]
	s_delay_alu instid0(VALU_DEP_4) | instskip(NEXT) | instid1(VALU_DEP_3)
	v_fma_f64 v[40:41], v[44:45], s[44:45], v[42:43]
	v_add_f64 v[30:31], v[30:31], v[34:35]
	s_delay_alu instid0(VALU_DEP_3) | instskip(NEXT) | instid1(VALU_DEP_3)
	v_fma_f64 v[34:35], v[36:37], v[38:39], s[70:71]
	v_add_f64 v[38:39], v[48:49], v[40:41]
	s_delay_alu instid0(VALU_DEP_3) | instskip(NEXT) | instid1(VALU_DEP_3)
	v_add_f64 v[42:43], v[46:47], v[30:31]
	v_fma_f64 v[34:35], v[36:37], v[34:35], s[72:73]
	s_delay_alu instid0(VALU_DEP_3) | instskip(NEXT) | instid1(VALU_DEP_3)
	v_add_f64 v[48:49], v[38:39], -v[48:49]
	v_add_f64 v[44:45], v[38:39], v[42:43]
	v_add_f64 v[46:47], v[42:43], -v[46:47]
	s_delay_alu instid0(VALU_DEP_4) | instskip(NEXT) | instid1(VALU_DEP_4)
	v_fma_f64 v[34:35], v[36:37], v[34:35], s[74:75]
	v_add_f64 v[40:41], v[40:41], -v[48:49]
	s_delay_alu instid0(VALU_DEP_4) | instskip(NEXT) | instid1(VALU_DEP_4)
	v_add_f64 v[50:51], v[44:45], -v[38:39]
	v_add_f64 v[30:31], v[30:31], -v[46:47]
	s_delay_alu instid0(VALU_DEP_4) | instskip(NEXT) | instid1(VALU_DEP_3)
	v_fma_f64 v[34:35], v[36:37], v[34:35], s[76:77]
	v_add_f64 v[52:53], v[44:45], -v[50:51]
	v_add_f64 v[42:43], v[42:43], -v[50:51]
	s_delay_alu instid0(VALU_DEP_4) | instskip(NEXT) | instid1(VALU_DEP_4)
	v_add_f64 v[46:47], v[40:41], v[30:31]
	v_fma_f64 v[34:35], v[36:37], v[34:35], s[78:79]
	s_delay_alu instid0(VALU_DEP_4) | instskip(NEXT) | instid1(VALU_DEP_2)
	v_add_f64 v[38:39], v[38:39], -v[52:53]
	v_fma_f64 v[34:35], v[36:37], v[34:35], s[80:81]
	s_delay_alu instid0(VALU_DEP_2) | instskip(SKIP_1) | instid1(VALU_DEP_3)
	v_add_f64 v[38:39], v[42:43], v[38:39]
	v_add_f64 v[42:43], v[46:47], -v[40:41]
	v_fma_f64 v[34:35], v[36:37], v[34:35], s[82:83]
	s_delay_alu instid0(VALU_DEP_3) | instskip(NEXT) | instid1(VALU_DEP_3)
	v_add_f64 v[38:39], v[46:47], v[38:39]
	v_add_f64 v[46:47], v[46:47], -v[42:43]
	v_add_f64 v[30:31], v[30:31], -v[42:43]
	s_delay_alu instid0(VALU_DEP_4) | instskip(NEXT) | instid1(VALU_DEP_4)
	v_fma_f64 v[34:35], v[36:37], v[34:35], s[84:85]
	v_add_f64 v[48:49], v[44:45], v[38:39]
	s_delay_alu instid0(VALU_DEP_2) | instskip(SKIP_1) | instid1(VALU_DEP_3)
	v_mul_f64 v[34:35], v[36:37], v[34:35]
	v_add_f64 v[36:37], v[40:41], -v[46:47]
	v_add_f64 v[40:41], v[48:49], -v[44:45]
	s_delay_alu instid0(VALU_DEP_3) | instskip(NEXT) | instid1(VALU_DEP_3)
	v_fma_f64 v[32:33], v[32:33], v[34:35], v[32:33]
	v_add_f64 v[30:31], v[30:31], v[36:37]
	s_delay_alu instid0(VALU_DEP_3) | instskip(NEXT) | instid1(VALU_DEP_3)
	v_add_f64 v[34:35], v[38:39], -v[40:41]
	v_add_f64 v[36:37], -v[32:33], s[86:87]
	s_delay_alu instid0(VALU_DEP_2) | instskip(NEXT) | instid1(VALU_DEP_2)
	v_add_f64 v[30:31], v[30:31], v[34:35]
	v_cndmask_b32_e64 v33, v33, v37, s4
	s_delay_alu instid0(VALU_DEP_3) | instskip(SKIP_1) | instid1(VALU_DEP_2)
	v_cndmask_b32_e64 v32, v32, v36, s4
	v_cndmask_b32_e64 v36, 0x54442d18, v59, s5
	v_add_f64 v[34:35], -v[32:33], s[14:15]
	v_add_f64 v[30:31], v[48:49], v[30:31]
	v_and_b32_e32 v27, 0x54442d18, v18
	s_delay_alu instid0(VALU_DEP_3) | instskip(NEXT) | instid1(VALU_DEP_4)
	v_cndmask_b32_e64 v34, v32, v34, s5
	v_cndmask_b32_e64 v18, v33, v35, s5
	v_cmp_nge_f64_e64 s5, -1.0, v[28:29]
	v_dual_cndmask_b32 v30, v30, v28 :: v_dual_cndmask_b32 v31, v31, v29
	v_cmp_eq_f64_e32 vcc_lo, 0, v[11:12]
	s_delay_alu instid0(VALU_DEP_2) | instskip(SKIP_3) | instid1(VALU_DEP_4)
	v_mul_f64 v[31:32], v[30:31], 0.5
	v_cndmask_b32_e32 v33, v34, v27, vcc_lo
	v_cndmask_b32_e32 v10, v18, v10, vcc_lo
	v_cmp_ngt_f64_e32 vcc_lo, -1.0, v[28:29]
	v_cndmask_b32_e64 v27, 0, v31, s5
	v_cmp_neq_f64_e64 s5, -1.0, v[28:29]
	v_cndmask_b32_e32 v18, 0x7ff80000, v32, vcc_lo
	s_and_b32 vcc_lo, s6, s7
	v_dual_cndmask_b32 v29, v33, v36 :: v_dual_cndmask_b32 v30, v10, v9
	s_delay_alu instid0(VALU_DEP_2)
	v_cndmask_b32_e64 v28, 0xfff00000, v18, s5
.LBB192_166:                            ;   in Loop: Header=BB192_145 Depth=1
	s_or_b32 exec_lo, exec_lo, s90
.LBB192_167:                            ;   in Loop: Header=BB192_145 Depth=1
	s_delay_alu instid0(SALU_CYCLE_1)
	s_or_b32 exec_lo, exec_lo, s23
.LBB192_168:                            ;   in Loop: Header=BB192_145 Depth=1
	s_and_not1_saveexec_b32 s7, s22
	s_cbranch_execz .LBB192_170
; %bb.169:                              ;   in Loop: Header=BB192_145 Depth=1
	v_max_f64 v[27:28], |v[11:12]|, |v[11:12]|
	v_max_f64 v[29:30], |v[9:10]|, |v[9:10]|
	v_cmp_class_f64_e64 s8, v[9:10], 0x204
	v_cmp_class_f64_e64 s9, v[11:12], 0x204
	s_mov_b32 s99, s25
	s_mov_b32 s14, s86
	v_cmp_eq_f64_e64 s6, 0, v[11:12]
	s_delay_alu instid0(VALU_DEP_4) | instskip(SKIP_1) | instid1(VALU_DEP_4)
	v_max_f64 v[31:32], v[29:30], v[27:28]
	v_min_f64 v[27:28], v[29:30], v[27:28]
	s_or_b32 s10, s9, s8
	s_delay_alu instid0(VALU_DEP_2) | instskip(NEXT) | instid1(VALU_DEP_1)
	v_frexp_exp_i32_f64_e32 v18, v[31:32]
	v_sub_nc_u32_e32 v35, 0, v18
	s_delay_alu instid0(VALU_DEP_1) | instskip(SKIP_1) | instid1(VALU_DEP_2)
	v_ldexp_f64 v[33:34], |v[11:12]|, v35
	v_ldexp_f64 v[35:36], |v[9:10]|, v35
	v_mul_f64 v[33:34], v[33:34], v[33:34]
	s_delay_alu instid0(VALU_DEP_1) | instskip(NEXT) | instid1(VALU_DEP_1)
	v_fma_f64 v[33:34], v[35:36], v[35:36], v[33:34]
	v_rsq_f64_e32 v[35:36], v[33:34]
	v_cmp_eq_f64_e32 vcc_lo, 0, v[33:34]
	s_waitcnt_depctr 0xfff
	v_mul_f64 v[37:38], v[33:34], v[35:36]
	v_mul_f64 v[35:36], v[35:36], 0.5
	s_delay_alu instid0(VALU_DEP_1) | instskip(NEXT) | instid1(VALU_DEP_1)
	v_fma_f64 v[39:40], -v[35:36], v[37:38], 0.5
	v_fma_f64 v[37:38], v[37:38], v[39:40], v[37:38]
	v_fma_f64 v[35:36], v[35:36], v[39:40], v[35:36]
	s_delay_alu instid0(VALU_DEP_2) | instskip(NEXT) | instid1(VALU_DEP_1)
	v_fma_f64 v[39:40], -v[37:38], v[37:38], v[33:34]
	v_fma_f64 v[35:36], v[39:40], v[35:36], v[37:38]
	s_delay_alu instid0(VALU_DEP_1) | instskip(SKIP_1) | instid1(VALU_DEP_2)
	v_dual_cndmask_b32 v34, v36, v34 :: v_dual_cndmask_b32 v33, v35, v33
	v_div_scale_f64 v[55:56], vcc_lo, v[27:28], v[31:32], v[27:28]
	v_ldexp_f64 v[33:34], v[33:34], v18
	s_delay_alu instid0(VALU_DEP_1) | instskip(NEXT) | instid1(VALU_DEP_2)
	v_cndmask_b32_e64 v36, v34, 0x7ff00000, s10
	v_cndmask_b32_e64 v35, v33, 0, s10
	s_delay_alu instid0(VALU_DEP_1) | instskip(SKIP_1) | instid1(VALU_DEP_2)
	v_frexp_mant_f64_e32 v[37:38], v[35:36]
	v_frexp_exp_i32_f64_e32 v9, v[35:36]
	v_cmp_gt_f64_e64 s5, s[24:25], v[37:38]
	s_delay_alu instid0(VALU_DEP_1) | instskip(NEXT) | instid1(VALU_DEP_1)
	v_cndmask_b32_e64 v18, 0x3ff00000, 2.0, s5
	v_mul_f64 v[37:38], v[37:38], v[17:18]
	s_delay_alu instid0(VALU_DEP_1) | instskip(SKIP_1) | instid1(VALU_DEP_2)
	v_add_f64 v[39:40], v[37:38], 1.0
	v_add_f64 v[45:46], v[37:38], -1.0
	v_rcp_f64_e32 v[41:42], v[39:40]
	v_add_f64 v[47:48], v[39:40], -1.0
	s_delay_alu instid0(VALU_DEP_1) | instskip(SKIP_2) | instid1(VALU_DEP_1)
	v_add_f64 v[37:38], v[37:38], -v[47:48]
	s_waitcnt_depctr 0xfff
	v_fma_f64 v[43:44], -v[39:40], v[41:42], 1.0
	v_fma_f64 v[41:42], v[43:44], v[41:42], v[41:42]
	s_delay_alu instid0(VALU_DEP_1) | instskip(NEXT) | instid1(VALU_DEP_1)
	v_fma_f64 v[43:44], -v[39:40], v[41:42], 1.0
	v_fma_f64 v[41:42], v[43:44], v[41:42], v[41:42]
	v_div_scale_f64 v[43:44], null, v[31:32], v[31:32], v[27:28]
	s_delay_alu instid0(VALU_DEP_2) | instskip(NEXT) | instid1(VALU_DEP_2)
	v_mul_f64 v[29:30], v[45:46], v[41:42]
	v_rcp_f64_e32 v[51:52], v[43:44]
	s_delay_alu instid0(VALU_DEP_1) | instskip(SKIP_3) | instid1(VALU_DEP_1)
	v_mul_f64 v[49:50], v[39:40], v[29:30]
	s_waitcnt_depctr 0xfff
	v_fma_f64 v[47:48], -v[43:44], v[51:52], 1.0
	v_fma_f64 v[39:40], v[29:30], v[39:40], -v[49:50]
	v_fma_f64 v[37:38], v[29:30], v[37:38], v[39:40]
	s_delay_alu instid0(VALU_DEP_3) | instskip(NEXT) | instid1(VALU_DEP_2)
	v_fma_f64 v[39:40], v[51:52], v[47:48], v[51:52]
	v_add_f64 v[47:48], v[49:50], v[37:38]
	s_delay_alu instid0(VALU_DEP_2) | instskip(NEXT) | instid1(VALU_DEP_2)
	v_fma_f64 v[51:52], -v[43:44], v[39:40], 1.0
	v_add_f64 v[53:54], v[45:46], -v[47:48]
	s_delay_alu instid0(VALU_DEP_2) | instskip(SKIP_1) | instid1(VALU_DEP_3)
	v_fma_f64 v[39:40], v[39:40], v[51:52], v[39:40]
	v_add_f64 v[49:50], v[47:48], -v[49:50]
	v_add_f64 v[45:46], v[45:46], -v[53:54]
	s_delay_alu instid0(VALU_DEP_3) | instskip(NEXT) | instid1(VALU_DEP_3)
	v_mul_f64 v[51:52], v[55:56], v[39:40]
	v_add_f64 v[37:38], v[49:50], -v[37:38]
	s_delay_alu instid0(VALU_DEP_3) | instskip(NEXT) | instid1(VALU_DEP_3)
	v_add_f64 v[45:46], v[45:46], -v[47:48]
	v_fma_f64 v[43:44], -v[43:44], v[51:52], v[55:56]
	s_delay_alu instid0(VALU_DEP_2) | instskip(NEXT) | instid1(VALU_DEP_2)
	v_add_f64 v[37:38], v[37:38], v[45:46]
	v_div_fmas_f64 v[39:40], v[43:44], v[39:40], v[51:52]
	v_subrev_co_ci_u32_e64 v9, vcc_lo, 0, v9, s5
	v_cmp_class_f64_e64 s5, v[33:34], 0x204
	v_cmp_gt_i32_e32 vcc_lo, 0, v10
	v_add_f64 v[37:38], v[53:54], v[37:38]
	v_div_fixup_f64 v[27:28], v[39:40], v[31:32], v[27:28]
	s_delay_alu instid0(VALU_DEP_2) | instskip(NEXT) | instid1(VALU_DEP_2)
	v_mul_f64 v[31:32], v[41:42], v[37:38]
	v_mul_f64 v[37:38], v[27:28], v[27:28]
	s_delay_alu instid0(VALU_DEP_2) | instskip(NEXT) | instid1(VALU_DEP_2)
	v_add_f64 v[39:40], v[29:30], v[31:32]
	v_fma_f64 v[41:42], v[37:38], s[48:49], s[46:47]
	s_delay_alu instid0(VALU_DEP_2) | instskip(NEXT) | instid1(VALU_DEP_2)
	v_mul_f64 v[43:44], v[39:40], v[39:40]
	v_fma_f64 v[41:42], v[37:38], v[41:42], s[50:51]
	v_add_f64 v[29:30], v[39:40], -v[29:30]
	s_delay_alu instid0(VALU_DEP_3) | instskip(NEXT) | instid1(VALU_DEP_3)
	v_fma_f64 v[45:46], v[43:44], s[28:29], s[26:27]
	v_fma_f64 v[41:42], v[37:38], v[41:42], s[52:53]
	v_mul_f64 v[47:48], v[39:40], v[43:44]
	s_delay_alu instid0(VALU_DEP_4) | instskip(NEXT) | instid1(VALU_DEP_4)
	v_add_f64 v[29:30], v[31:32], -v[29:30]
	v_fma_f64 v[45:46], v[43:44], v[45:46], s[34:35]
	s_delay_alu instid0(VALU_DEP_4) | instskip(NEXT) | instid1(VALU_DEP_3)
	v_fma_f64 v[41:42], v[37:38], v[41:42], s[54:55]
	v_ldexp_f64 v[29:30], v[29:30], 1
	s_delay_alu instid0(VALU_DEP_3) | instskip(NEXT) | instid1(VALU_DEP_3)
	v_fma_f64 v[45:46], v[43:44], v[45:46], s[36:37]
	v_fma_f64 v[41:42], v[37:38], v[41:42], s[56:57]
	s_delay_alu instid0(VALU_DEP_2) | instskip(NEXT) | instid1(VALU_DEP_2)
	v_fma_f64 v[45:46], v[43:44], v[45:46], s[38:39]
	v_fma_f64 v[41:42], v[37:38], v[41:42], s[58:59]
	s_delay_alu instid0(VALU_DEP_2) | instskip(NEXT) | instid1(VALU_DEP_2)
	;; [unrolled: 3-line block ×3, first 2 shown]
	v_fma_f64 v[43:44], v[43:44], v[45:46], s[98:99]
	v_fma_f64 v[41:42], v[37:38], v[41:42], s[62:63]
	v_ldexp_f64 v[45:46], v[39:40], 1
	s_delay_alu instid0(VALU_DEP_3) | instskip(NEXT) | instid1(VALU_DEP_3)
	v_mul_f64 v[43:44], v[47:48], v[43:44]
	v_fma_f64 v[41:42], v[37:38], v[41:42], s[64:65]
	v_cvt_f64_i32_e32 v[47:48], v9
	v_ashrrev_i32_e32 v9, 31, v10
	v_cndmask_b32_e32 v10, 0x54442d18, v59, vcc_lo
	v_add_f64 v[39:40], v[45:46], v[43:44]
	v_fma_f64 v[41:42], v[37:38], v[41:42], s[66:67]
	v_mul_f64 v[49:50], v[47:48], s[42:43]
	s_delay_alu instid0(VALU_DEP_3) | instskip(NEXT) | instid1(VALU_DEP_3)
	v_add_f64 v[31:32], v[39:40], -v[45:46]
	v_fma_f64 v[41:42], v[37:38], v[41:42], s[68:69]
	s_delay_alu instid0(VALU_DEP_3) | instskip(NEXT) | instid1(VALU_DEP_3)
	v_fma_f64 v[45:46], v[47:48], s[42:43], -v[49:50]
	v_add_f64 v[31:32], v[43:44], -v[31:32]
	s_delay_alu instid0(VALU_DEP_3) | instskip(NEXT) | instid1(VALU_DEP_3)
	v_fma_f64 v[41:42], v[37:38], v[41:42], s[70:71]
	v_fma_f64 v[43:44], v[47:48], s[44:45], v[45:46]
	s_delay_alu instid0(VALU_DEP_3) | instskip(NEXT) | instid1(VALU_DEP_3)
	v_add_f64 v[29:30], v[29:30], v[31:32]
	v_fma_f64 v[31:32], v[37:38], v[41:42], s[72:73]
	s_delay_alu instid0(VALU_DEP_3) | instskip(NEXT) | instid1(VALU_DEP_3)
	v_add_f64 v[41:42], v[49:50], v[43:44]
	v_add_f64 v[45:46], v[39:40], v[29:30]
	s_delay_alu instid0(VALU_DEP_3) | instskip(NEXT) | instid1(VALU_DEP_3)
	v_fma_f64 v[31:32], v[37:38], v[31:32], s[74:75]
	v_add_f64 v[49:50], v[41:42], -v[49:50]
	s_delay_alu instid0(VALU_DEP_3) | instskip(NEXT) | instid1(VALU_DEP_3)
	v_add_f64 v[47:48], v[41:42], v[45:46]
	v_fma_f64 v[31:32], v[37:38], v[31:32], s[76:77]
	v_add_f64 v[39:40], v[45:46], -v[39:40]
	s_delay_alu instid0(VALU_DEP_4) | instskip(NEXT) | instid1(VALU_DEP_4)
	v_add_f64 v[43:44], v[43:44], -v[49:50]
	v_add_f64 v[51:52], v[47:48], -v[41:42]
	s_delay_alu instid0(VALU_DEP_4) | instskip(NEXT) | instid1(VALU_DEP_4)
	v_fma_f64 v[31:32], v[37:38], v[31:32], s[78:79]
	v_add_f64 v[29:30], v[29:30], -v[39:40]
	s_delay_alu instid0(VALU_DEP_3) | instskip(NEXT) | instid1(VALU_DEP_3)
	v_add_f64 v[53:54], v[47:48], -v[51:52]
	v_fma_f64 v[31:32], v[37:38], v[31:32], s[80:81]
	v_add_f64 v[39:40], v[45:46], -v[51:52]
	s_delay_alu instid0(VALU_DEP_4) | instskip(NEXT) | instid1(VALU_DEP_4)
	v_add_f64 v[45:46], v[43:44], v[29:30]
	v_add_f64 v[41:42], v[41:42], -v[53:54]
	s_delay_alu instid0(VALU_DEP_4) | instskip(NEXT) | instid1(VALU_DEP_2)
	v_fma_f64 v[31:32], v[37:38], v[31:32], s[82:83]
	v_add_f64 v[39:40], v[39:40], v[41:42]
	s_delay_alu instid0(VALU_DEP_2) | instskip(SKIP_1) | instid1(VALU_DEP_3)
	v_fma_f64 v[31:32], v[37:38], v[31:32], s[84:85]
	v_add_f64 v[41:42], v[45:46], -v[43:44]
	v_add_f64 v[39:40], v[45:46], v[39:40]
	s_delay_alu instid0(VALU_DEP_3) | instskip(NEXT) | instid1(VALU_DEP_3)
	v_mul_f64 v[31:32], v[37:38], v[31:32]
	v_add_f64 v[37:38], v[45:46], -v[41:42]
	v_add_f64 v[29:30], v[29:30], -v[41:42]
	s_delay_alu instid0(VALU_DEP_4) | instskip(NEXT) | instid1(VALU_DEP_4)
	v_add_f64 v[45:46], v[47:48], v[39:40]
	v_fma_f64 v[27:28], v[27:28], v[31:32], v[27:28]
	s_delay_alu instid0(VALU_DEP_4) | instskip(NEXT) | instid1(VALU_DEP_3)
	v_add_f64 v[31:32], v[43:44], -v[37:38]
	v_add_f64 v[37:38], v[45:46], -v[47:48]
	s_delay_alu instid0(VALU_DEP_3) | instskip(NEXT) | instid1(VALU_DEP_3)
	v_add_f64 v[41:42], -v[27:28], s[86:87]
	v_add_f64 v[29:30], v[29:30], v[31:32]
	s_delay_alu instid0(VALU_DEP_3) | instskip(NEXT) | instid1(VALU_DEP_3)
	v_add_f64 v[31:32], v[39:40], -v[37:38]
	v_cndmask_b32_e64 v28, v28, v42, s4
	s_delay_alu instid0(VALU_DEP_4) | instskip(NEXT) | instid1(VALU_DEP_3)
	v_cndmask_b32_e64 v27, v27, v41, s4
	v_add_f64 v[29:30], v[29:30], v[31:32]
	s_delay_alu instid0(VALU_DEP_2) | instskip(SKIP_2) | instid1(VALU_DEP_4)
	v_add_f64 v[31:32], -v[27:28], s[14:15]
	v_and_b32_e32 v18, 0x54442d18, v9
	v_and_b32_e32 v9, 0x400921fb, v9
	v_add_f64 v[29:30], v[45:46], v[29:30]
	s_delay_alu instid0(VALU_DEP_4) | instskip(SKIP_2) | instid1(VALU_DEP_3)
	v_dual_cndmask_b32 v28, v28, v32 :: v_dual_cndmask_b32 v27, v27, v31
	v_cndmask_b32_e32 v31, 0x3fe921fb, v60, vcc_lo
	v_cmp_ngt_f64_e32 vcc_lo, 0, v[35:36]
	v_cndmask_b32_e64 v9, v28, v9, s6
	s_delay_alu instid0(VALU_DEP_4) | instskip(NEXT) | instid1(VALU_DEP_4)
	v_cndmask_b32_e64 v18, v27, v18, s6
	v_bfi_b32 v31, 0x7fffffff, v31, v12
	v_cndmask_b32_e64 v30, v30, v34, s5
	v_cndmask_b32_e64 v29, v29, v33, s5
	v_cmp_nge_f64_e64 s5, 0, v[35:36]
	s_delay_alu instid0(VALU_DEP_3) | instskip(NEXT) | instid1(VALU_DEP_3)
	v_cndmask_b32_e64 v30, v30, 0x7ff00000, s10
	v_cndmask_b32_e64 v27, v29, 0, s10
	s_delay_alu instid0(VALU_DEP_2) | instskip(SKIP_2) | instid1(VALU_DEP_3)
	v_cndmask_b32_e32 v28, 0x7ff80000, v30, vcc_lo
	s_and_b32 vcc_lo, s9, s8
	v_dual_cndmask_b32 v30, v9, v31 :: v_dual_cndmask_b32 v29, v18, v10
	v_cndmask_b32_e64 v27, 0, v27, s5
	v_cmp_neq_f64_e64 s5, 0, v[35:36]
	s_delay_alu instid0(VALU_DEP_1)
	v_cndmask_b32_e64 v28, 0xfff00000, v28, s5
.LBB192_170:                            ;   in Loop: Header=BB192_145 Depth=1
	s_or_b32 exec_lo, exec_lo, s7
                                        ; implicit-def: $vgpr33_vgpr34
.LBB192_171:                            ;   in Loop: Header=BB192_145 Depth=1
	s_and_not1_saveexec_b32 s7, s21
	s_cbranch_execz .LBB192_177
; %bb.172:                              ;   in Loop: Header=BB192_145 Depth=1
	s_mov_b32 s8, 0x6a3f9475
	s_mov_b32 s9, 0x20ca2fe7
                                        ; implicit-def: $vgpr27_vgpr28
                                        ; implicit-def: $vgpr29_vgpr30
	s_mov_b32 s5, exec_lo
	v_cmpx_ngt_f64_e32 s[8:9], v[33:34]
	s_xor_b32 s8, exec_lo, s5
	s_cbranch_execz .LBB192_174
; %bb.173:                              ;   in Loop: Header=BB192_145 Depth=1
	v_mul_f64 v[27:28], v[33:34], v[33:34]
	s_mov_b32 s99, s25
	s_mov_b32 s14, s86
	v_cmp_eq_f64_e64 s6, 0, v[11:12]
	v_cmp_class_f64_e64 s9, v[11:12], 0x204
	v_cmp_class_f64_e64 s10, v[9:10], 0x204
	v_cmp_gt_i32_e64 s5, 0, v10
	v_add_f64 v[29:30], v[27:28], 1.0
	s_delay_alu instid0(VALU_DEP_1) | instskip(SKIP_2) | instid1(VALU_DEP_3)
	v_frexp_mant_f64_e32 v[31:32], v[29:30]
	v_frexp_exp_i32_f64_e32 v18, v[29:30]
	v_add_f64 v[33:34], v[29:30], -1.0
	v_cmp_gt_f64_e32 vcc_lo, s[24:25], v[31:32]
	s_delay_alu instid0(VALU_DEP_2) | instskip(SKIP_2) | instid1(VALU_DEP_3)
	v_add_f64 v[31:32], v[33:34], -v[29:30]
	v_add_f64 v[33:34], v[27:28], -v[33:34]
	v_subrev_co_ci_u32_e32 v18, vcc_lo, 0, v18, vcc_lo
	v_add_f64 v[31:32], v[31:32], 1.0
	s_delay_alu instid0(VALU_DEP_2) | instskip(NEXT) | instid1(VALU_DEP_1)
	v_sub_nc_u32_e32 v37, 0, v18
	v_ldexp_f64 v[29:30], v[29:30], v37
	s_delay_alu instid0(VALU_DEP_3) | instskip(NEXT) | instid1(VALU_DEP_2)
	v_add_f64 v[31:32], v[33:34], v[31:32]
	v_add_f64 v[35:36], v[29:30], 1.0
	v_add_f64 v[41:42], v[29:30], -1.0
	s_delay_alu instid0(VALU_DEP_3) | instskip(NEXT) | instid1(VALU_DEP_3)
	v_ldexp_f64 v[31:32], v[31:32], v37
	v_add_f64 v[33:34], v[35:36], -1.0
	s_delay_alu instid0(VALU_DEP_3) | instskip(NEXT) | instid1(VALU_DEP_2)
	v_add_f64 v[43:44], v[41:42], 1.0
	v_add_f64 v[33:34], v[29:30], -v[33:34]
	s_delay_alu instid0(VALU_DEP_2) | instskip(NEXT) | instid1(VALU_DEP_2)
	v_add_f64 v[29:30], v[29:30], -v[43:44]
	v_add_f64 v[33:34], v[31:32], v[33:34]
	s_delay_alu instid0(VALU_DEP_2) | instskip(NEXT) | instid1(VALU_DEP_2)
	v_add_f64 v[29:30], v[31:32], v[29:30]
	v_add_f64 v[37:38], v[35:36], v[33:34]
	s_delay_alu instid0(VALU_DEP_2) | instskip(NEXT) | instid1(VALU_DEP_2)
	v_add_f64 v[43:44], v[41:42], v[29:30]
	v_rcp_f64_e32 v[39:40], v[37:38]
	v_add_f64 v[35:36], v[35:36], -v[37:38]
	s_delay_alu instid0(VALU_DEP_2) | instskip(NEXT) | instid1(VALU_DEP_2)
	v_add_f64 v[41:42], v[41:42], -v[43:44]
	v_add_f64 v[33:34], v[33:34], v[35:36]
	s_waitcnt_depctr 0xfff
	v_fma_f64 v[45:46], -v[37:38], v[39:40], 1.0
	v_add_f64 v[29:30], v[29:30], v[41:42]
	s_delay_alu instid0(VALU_DEP_2) | instskip(NEXT) | instid1(VALU_DEP_1)
	v_fma_f64 v[39:40], v[45:46], v[39:40], v[39:40]
	v_fma_f64 v[31:32], -v[37:38], v[39:40], 1.0
	s_delay_alu instid0(VALU_DEP_1) | instskip(NEXT) | instid1(VALU_DEP_1)
	v_fma_f64 v[31:32], v[31:32], v[39:40], v[39:40]
	v_mul_f64 v[39:40], v[43:44], v[31:32]
	s_delay_alu instid0(VALU_DEP_1) | instskip(NEXT) | instid1(VALU_DEP_1)
	v_mul_f64 v[45:46], v[37:38], v[39:40]
	v_fma_f64 v[35:36], v[39:40], v[37:38], -v[45:46]
	s_delay_alu instid0(VALU_DEP_1) | instskip(NEXT) | instid1(VALU_DEP_1)
	v_fma_f64 v[35:36], v[39:40], v[33:34], v[35:36]
	v_add_f64 v[47:48], v[45:46], v[35:36]
	s_delay_alu instid0(VALU_DEP_1) | instskip(SKIP_2) | instid1(VALU_DEP_3)
	v_add_f64 v[49:50], v[43:44], -v[47:48]
	v_add_f64 v[41:42], v[47:48], -v[45:46]
	v_max_f64 v[45:46], |v[11:12]|, |v[11:12]|
	v_add_f64 v[43:44], v[43:44], -v[49:50]
	s_delay_alu instid0(VALU_DEP_3) | instskip(NEXT) | instid1(VALU_DEP_2)
	v_add_f64 v[35:36], v[41:42], -v[35:36]
	v_add_f64 v[43:44], v[43:44], -v[47:48]
	v_max_f64 v[47:48], |v[9:10]|, |v[9:10]|
	s_delay_alu instid0(VALU_DEP_2) | instskip(NEXT) | instid1(VALU_DEP_2)
	v_add_f64 v[29:30], v[29:30], v[43:44]
	v_max_f64 v[51:52], v[47:48], v[45:46]
	v_min_f64 v[45:46], v[47:48], v[45:46]
	s_delay_alu instid0(VALU_DEP_3) | instskip(NEXT) | instid1(VALU_DEP_1)
	v_add_f64 v[29:30], v[35:36], v[29:30]
	v_add_f64 v[35:36], v[49:50], v[29:30]
	s_delay_alu instid0(VALU_DEP_1) | instskip(SKIP_1) | instid1(VALU_DEP_2)
	v_mul_f64 v[41:42], v[31:32], v[35:36]
	v_add_f64 v[49:50], v[49:50], -v[35:36]
	v_mul_f64 v[43:44], v[37:38], v[41:42]
	s_delay_alu instid0(VALU_DEP_2) | instskip(NEXT) | instid1(VALU_DEP_2)
	v_add_f64 v[29:30], v[29:30], v[49:50]
	v_fma_f64 v[37:38], v[41:42], v[37:38], -v[43:44]
	s_delay_alu instid0(VALU_DEP_1) | instskip(SKIP_1) | instid1(VALU_DEP_2)
	v_fma_f64 v[33:34], v[41:42], v[33:34], v[37:38]
	v_div_scale_f64 v[37:38], null, v[51:52], v[51:52], v[45:46]
	v_add_f64 v[47:48], v[43:44], v[33:34]
	s_delay_alu instid0(VALU_DEP_2) | instskip(NEXT) | instid1(VALU_DEP_1)
	v_rcp_f64_e32 v[53:54], v[37:38]
	v_add_f64 v[55:56], v[35:36], -v[47:48]
	v_add_f64 v[43:44], v[47:48], -v[43:44]
	s_waitcnt_depctr 0xfff
	v_fma_f64 v[57:58], -v[37:38], v[53:54], 1.0
	v_add_f64 v[35:36], v[35:36], -v[55:56]
	v_add_f64 v[33:34], v[43:44], -v[33:34]
	s_delay_alu instid0(VALU_DEP_3) | instskip(NEXT) | instid1(VALU_DEP_3)
	v_fma_f64 v[53:54], v[53:54], v[57:58], v[53:54]
	v_add_f64 v[35:36], v[35:36], -v[47:48]
	s_delay_alu instid0(VALU_DEP_2) | instskip(NEXT) | instid1(VALU_DEP_2)
	v_fma_f64 v[47:48], -v[37:38], v[53:54], 1.0
	v_add_f64 v[29:30], v[29:30], v[35:36]
	v_div_scale_f64 v[35:36], vcc_lo, v[45:46], v[51:52], v[45:46]
	s_delay_alu instid0(VALU_DEP_3) | instskip(SKIP_1) | instid1(VALU_DEP_4)
	v_fma_f64 v[43:44], v[53:54], v[47:48], v[53:54]
	v_add_f64 v[47:48], v[39:40], v[41:42]
	v_add_f64 v[29:30], v[33:34], v[29:30]
	s_delay_alu instid0(VALU_DEP_3) | instskip(NEXT) | instid1(VALU_DEP_3)
	v_mul_f64 v[33:34], v[35:36], v[43:44]
	v_add_f64 v[39:40], v[47:48], -v[39:40]
	s_delay_alu instid0(VALU_DEP_3) | instskip(NEXT) | instid1(VALU_DEP_3)
	v_add_f64 v[29:30], v[55:56], v[29:30]
	v_fma_f64 v[35:36], -v[37:38], v[33:34], v[35:36]
	s_delay_alu instid0(VALU_DEP_3) | instskip(NEXT) | instid1(VALU_DEP_3)
	v_add_f64 v[37:38], v[41:42], -v[39:40]
	v_mul_f64 v[29:30], v[31:32], v[29:30]
	s_delay_alu instid0(VALU_DEP_3) | instskip(SKIP_1) | instid1(VALU_DEP_3)
	v_div_fmas_f64 v[31:32], v[35:36], v[43:44], v[33:34]
	v_cmp_eq_f64_e32 vcc_lo, 0x7ff00000, v[27:28]
	v_add_f64 v[29:30], v[37:38], v[29:30]
	s_delay_alu instid0(VALU_DEP_3) | instskip(NEXT) | instid1(VALU_DEP_2)
	v_div_fixup_f64 v[31:32], v[31:32], v[51:52], v[45:46]
	v_add_f64 v[33:34], v[47:48], v[29:30]
	s_delay_alu instid0(VALU_DEP_2) | instskip(NEXT) | instid1(VALU_DEP_2)
	v_mul_f64 v[35:36], v[31:32], v[31:32]
	v_mul_f64 v[37:38], v[33:34], v[33:34]
	s_delay_alu instid0(VALU_DEP_2) | instskip(NEXT) | instid1(VALU_DEP_2)
	v_fma_f64 v[39:40], v[35:36], s[48:49], s[46:47]
	v_fma_f64 v[41:42], v[37:38], s[28:29], s[26:27]
	v_mul_f64 v[43:44], v[33:34], v[37:38]
	s_delay_alu instid0(VALU_DEP_3) | instskip(NEXT) | instid1(VALU_DEP_3)
	v_fma_f64 v[39:40], v[35:36], v[39:40], s[50:51]
	v_fma_f64 v[41:42], v[37:38], v[41:42], s[34:35]
	s_delay_alu instid0(VALU_DEP_2) | instskip(NEXT) | instid1(VALU_DEP_2)
	v_fma_f64 v[39:40], v[35:36], v[39:40], s[52:53]
	v_fma_f64 v[41:42], v[37:38], v[41:42], s[36:37]
	s_delay_alu instid0(VALU_DEP_2) | instskip(NEXT) | instid1(VALU_DEP_2)
	;; [unrolled: 3-line block ×4, first 2 shown]
	v_fma_f64 v[39:40], v[35:36], v[39:40], s[58:59]
	v_fma_f64 v[37:38], v[37:38], v[41:42], s[98:99]
	v_ldexp_f64 v[41:42], v[33:34], 1
	v_add_f64 v[33:34], v[33:34], -v[47:48]
	s_delay_alu instid0(VALU_DEP_4) | instskip(NEXT) | instid1(VALU_DEP_4)
	v_fma_f64 v[39:40], v[35:36], v[39:40], s[60:61]
	v_mul_f64 v[37:38], v[43:44], v[37:38]
	v_cvt_f64_i32_e32 v[43:44], v18
	s_delay_alu instid0(VALU_DEP_4) | instskip(NEXT) | instid1(VALU_DEP_4)
	v_add_f64 v[29:30], v[29:30], -v[33:34]
	v_fma_f64 v[39:40], v[35:36], v[39:40], s[62:63]
	v_ashrrev_i32_e32 v18, 31, v10
	v_add_f64 v[45:46], v[41:42], v[37:38]
	v_mul_f64 v[47:48], v[43:44], s[42:43]
	v_ldexp_f64 v[29:30], v[29:30], 1
	v_fma_f64 v[39:40], v[35:36], v[39:40], s[64:65]
	s_delay_alu instid0(VALU_DEP_4) | instskip(NEXT) | instid1(VALU_DEP_4)
	v_add_f64 v[33:34], v[45:46], -v[41:42]
	v_fma_f64 v[41:42], v[43:44], s[42:43], -v[47:48]
	s_delay_alu instid0(VALU_DEP_3) | instskip(NEXT) | instid1(VALU_DEP_3)
	v_fma_f64 v[39:40], v[35:36], v[39:40], s[66:67]
	v_add_f64 v[33:34], v[37:38], -v[33:34]
	s_delay_alu instid0(VALU_DEP_2) | instskip(NEXT) | instid1(VALU_DEP_4)
	v_fma_f64 v[37:38], v[35:36], v[39:40], s[68:69]
	v_fma_f64 v[39:40], v[43:44], s[44:45], v[41:42]
	s_delay_alu instid0(VALU_DEP_3) | instskip(NEXT) | instid1(VALU_DEP_3)
	v_add_f64 v[29:30], v[29:30], v[33:34]
	v_fma_f64 v[33:34], v[35:36], v[37:38], s[70:71]
	s_delay_alu instid0(VALU_DEP_3) | instskip(NEXT) | instid1(VALU_DEP_3)
	v_add_f64 v[37:38], v[47:48], v[39:40]
	v_add_f64 v[41:42], v[45:46], v[29:30]
	s_delay_alu instid0(VALU_DEP_3) | instskip(NEXT) | instid1(VALU_DEP_3)
	v_fma_f64 v[33:34], v[35:36], v[33:34], s[72:73]
	v_add_f64 v[47:48], v[37:38], -v[47:48]
	s_delay_alu instid0(VALU_DEP_3) | instskip(SKIP_1) | instid1(VALU_DEP_4)
	v_add_f64 v[43:44], v[37:38], v[41:42]
	v_add_f64 v[45:46], v[41:42], -v[45:46]
	v_fma_f64 v[33:34], v[35:36], v[33:34], s[74:75]
	s_delay_alu instid0(VALU_DEP_4) | instskip(NEXT) | instid1(VALU_DEP_4)
	v_add_f64 v[39:40], v[39:40], -v[47:48]
	v_add_f64 v[49:50], v[43:44], -v[37:38]
	s_delay_alu instid0(VALU_DEP_4) | instskip(NEXT) | instid1(VALU_DEP_4)
	v_add_f64 v[29:30], v[29:30], -v[45:46]
	v_fma_f64 v[33:34], v[35:36], v[33:34], s[76:77]
	s_delay_alu instid0(VALU_DEP_3) | instskip(SKIP_1) | instid1(VALU_DEP_4)
	v_add_f64 v[51:52], v[43:44], -v[49:50]
	v_add_f64 v[41:42], v[41:42], -v[49:50]
	v_add_f64 v[45:46], v[39:40], v[29:30]
	s_delay_alu instid0(VALU_DEP_4) | instskip(NEXT) | instid1(VALU_DEP_4)
	v_fma_f64 v[33:34], v[35:36], v[33:34], s[78:79]
	v_add_f64 v[37:38], v[37:38], -v[51:52]
	s_delay_alu instid0(VALU_DEP_2) | instskip(NEXT) | instid1(VALU_DEP_2)
	v_fma_f64 v[33:34], v[35:36], v[33:34], s[80:81]
	v_add_f64 v[37:38], v[41:42], v[37:38]
	v_add_f64 v[41:42], v[45:46], -v[39:40]
	s_delay_alu instid0(VALU_DEP_3) | instskip(NEXT) | instid1(VALU_DEP_3)
	v_fma_f64 v[33:34], v[35:36], v[33:34], s[82:83]
	v_add_f64 v[37:38], v[45:46], v[37:38]
	s_delay_alu instid0(VALU_DEP_3) | instskip(SKIP_1) | instid1(VALU_DEP_4)
	v_add_f64 v[45:46], v[45:46], -v[41:42]
	v_add_f64 v[29:30], v[29:30], -v[41:42]
	v_fma_f64 v[33:34], v[35:36], v[33:34], s[84:85]
	s_delay_alu instid0(VALU_DEP_4) | instskip(NEXT) | instid1(VALU_DEP_2)
	v_add_f64 v[47:48], v[43:44], v[37:38]
	v_mul_f64 v[33:34], v[35:36], v[33:34]
	v_add_f64 v[35:36], v[39:40], -v[45:46]
	s_delay_alu instid0(VALU_DEP_3) | instskip(NEXT) | instid1(VALU_DEP_3)
	v_add_f64 v[39:40], v[47:48], -v[43:44]
	v_fma_f64 v[31:32], v[31:32], v[33:34], v[31:32]
	s_delay_alu instid0(VALU_DEP_3) | instskip(NEXT) | instid1(VALU_DEP_3)
	v_add_f64 v[29:30], v[29:30], v[35:36]
	v_add_f64 v[33:34], v[37:38], -v[39:40]
	s_delay_alu instid0(VALU_DEP_3) | instskip(NEXT) | instid1(VALU_DEP_2)
	v_add_f64 v[35:36], -v[31:32], s[86:87]
	v_add_f64 v[29:30], v[29:30], v[33:34]
	s_delay_alu instid0(VALU_DEP_2) | instskip(NEXT) | instid1(VALU_DEP_3)
	v_cndmask_b32_e64 v32, v32, v36, s4
	v_cndmask_b32_e64 v31, v31, v35, s4
	;; [unrolled: 1-line block ×3, first 2 shown]
	s_delay_alu instid0(VALU_DEP_2) | instskip(SKIP_2) | instid1(VALU_DEP_3)
	v_add_f64 v[33:34], -v[31:32], s[14:15]
	v_add_f64 v[29:30], v[47:48], v[29:30]
	v_and_b32_e32 v36, 0x54442d18, v18
	v_cndmask_b32_e64 v31, v31, v33, s5
	s_delay_alu instid0(VALU_DEP_3) | instskip(NEXT) | instid1(VALU_DEP_2)
	v_cndmask_b32_e32 v9, v29, v27, vcc_lo
	v_cndmask_b32_e64 v29, v31, v36, s6
	v_cndmask_b32_e32 v10, v30, v28, vcc_lo
	s_and_b32 vcc_lo, s9, s10
	s_delay_alu instid0(VALU_DEP_2) | instskip(NEXT) | instid1(VALU_DEP_2)
	v_cndmask_b32_e32 v29, v29, v35, vcc_lo
	v_mul_f64 v[27:28], v[9:10], 0.5
	v_cndmask_b32_e64 v9, 0x3fe921fb, v60, s5
	v_and_b32_e32 v10, 0x400921fb, v18
	v_cndmask_b32_e64 v18, v32, v34, s5
                                        ; implicit-def: $vgpr33_vgpr34
	s_delay_alu instid0(VALU_DEP_3) | instskip(NEXT) | instid1(VALU_DEP_2)
	v_bfi_b32 v9, 0x7fffffff, v9, v12
	v_cndmask_b32_e64 v10, v18, v10, s6
	s_delay_alu instid0(VALU_DEP_1)
	v_cndmask_b32_e32 v30, v10, v9, vcc_lo
.LBB192_174:                            ;   in Loop: Header=BB192_145 Depth=1
	s_and_not1_saveexec_b32 s6, s8
	s_cbranch_execz .LBB192_176
; %bb.175:                              ;   in Loop: Header=BB192_145 Depth=1
	v_max_f64 v[27:28], |v[11:12]|, |v[11:12]|
	v_max_f64 v[29:30], |v[9:10]|, |v[9:10]|
	s_mov_b32 s14, s86
	v_cmp_eq_f64_e64 s5, 0, v[11:12]
	v_cmp_class_f64_e64 s8, v[11:12], 0x204
	v_cmp_class_f64_e64 s9, v[9:10], 0x204
	v_ashrrev_i32_e32 v18, 31, v10
	v_max_f64 v[31:32], v[29:30], v[27:28]
	v_min_f64 v[27:28], v[29:30], v[27:28]
	s_delay_alu instid0(VALU_DEP_1) | instskip(SKIP_1) | instid1(VALU_DEP_2)
	v_div_scale_f64 v[29:30], null, v[31:32], v[31:32], v[27:28]
	v_div_scale_f64 v[39:40], vcc_lo, v[27:28], v[31:32], v[27:28]
	v_rcp_f64_e32 v[35:36], v[29:30]
	s_waitcnt_depctr 0xfff
	v_fma_f64 v[37:38], -v[29:30], v[35:36], 1.0
	s_delay_alu instid0(VALU_DEP_1) | instskip(NEXT) | instid1(VALU_DEP_1)
	v_fma_f64 v[35:36], v[35:36], v[37:38], v[35:36]
	v_fma_f64 v[37:38], -v[29:30], v[35:36], 1.0
	s_delay_alu instid0(VALU_DEP_1) | instskip(NEXT) | instid1(VALU_DEP_1)
	v_fma_f64 v[35:36], v[35:36], v[37:38], v[35:36]
	v_mul_f64 v[37:38], v[39:40], v[35:36]
	s_delay_alu instid0(VALU_DEP_1) | instskip(NEXT) | instid1(VALU_DEP_1)
	v_fma_f64 v[29:30], -v[29:30], v[37:38], v[39:40]
	v_div_fmas_f64 v[29:30], v[29:30], v[35:36], v[37:38]
	v_cmp_gt_i32_e32 vcc_lo, 0, v10
	v_and_b32_e32 v36, 0x54442d18, v18
	v_and_b32_e32 v10, 0x400921fb, v18
	v_cndmask_b32_e32 v35, 0x54442d18, v59, vcc_lo
	v_cndmask_b32_e32 v9, 0x3fe921fb, v60, vcc_lo
	s_delay_alu instid0(VALU_DEP_1) | instskip(SKIP_1) | instid1(VALU_DEP_1)
	v_bfi_b32 v9, 0x7fffffff, v9, v12
	v_div_fixup_f64 v[27:28], v[29:30], v[31:32], v[27:28]
	v_mul_f64 v[29:30], v[27:28], v[27:28]
	s_delay_alu instid0(VALU_DEP_1) | instskip(NEXT) | instid1(VALU_DEP_1)
	v_fma_f64 v[31:32], v[29:30], s[48:49], s[46:47]
	v_fma_f64 v[31:32], v[29:30], v[31:32], s[50:51]
	s_delay_alu instid0(VALU_DEP_1) | instskip(NEXT) | instid1(VALU_DEP_1)
	v_fma_f64 v[31:32], v[29:30], v[31:32], s[52:53]
	v_fma_f64 v[31:32], v[29:30], v[31:32], s[54:55]
	;; [unrolled: 3-line block ×9, first 2 shown]
	s_delay_alu instid0(VALU_DEP_1) | instskip(NEXT) | instid1(VALU_DEP_1)
	v_fma_f64 v[31:32], v[29:30], v[31:32], s[84:85]
	v_mul_f64 v[29:30], v[29:30], v[31:32]
	s_delay_alu instid0(VALU_DEP_1) | instskip(NEXT) | instid1(VALU_DEP_1)
	v_fma_f64 v[27:28], v[27:28], v[29:30], v[27:28]
	v_add_f64 v[29:30], -v[27:28], s[86:87]
	s_delay_alu instid0(VALU_DEP_1) | instskip(NEXT) | instid1(VALU_DEP_2)
	v_cndmask_b32_e64 v30, v28, v30, s4
	v_cndmask_b32_e64 v29, v27, v29, s4
	v_mul_f64 v[27:28], v[33:34], 0.5
	s_delay_alu instid0(VALU_DEP_2) | instskip(NEXT) | instid1(VALU_DEP_2)
	v_add_f64 v[31:32], -v[29:30], s[14:15]
	v_mul_f64 v[27:28], v[33:34], v[27:28]
	s_delay_alu instid0(VALU_DEP_2) | instskip(NEXT) | instid1(VALU_DEP_1)
	v_cndmask_b32_e32 v29, v29, v31, vcc_lo
	v_cndmask_b32_e64 v29, v29, v36, s5
	s_delay_alu instid0(VALU_DEP_4) | instskip(SKIP_1) | instid1(VALU_DEP_2)
	v_cndmask_b32_e32 v18, v30, v32, vcc_lo
	s_and_b32 vcc_lo, s8, s9
	v_cndmask_b32_e32 v29, v29, v35, vcc_lo
	s_delay_alu instid0(VALU_DEP_2) | instskip(NEXT) | instid1(VALU_DEP_1)
	v_cndmask_b32_e64 v10, v18, v10, s5
	v_cndmask_b32_e32 v30, v10, v9, vcc_lo
.LBB192_176:                            ;   in Loop: Header=BB192_145 Depth=1
	s_or_b32 exec_lo, exec_lo, s6
.LBB192_177:                            ;   in Loop: Header=BB192_145 Depth=1
	s_delay_alu instid0(SALU_CYCLE_1)
	s_or_b32 exec_lo, exec_lo, s7
.LBB192_178:                            ;   in Loop: Header=BB192_145 Depth=1
	s_and_not1_saveexec_b32 s7, s20
	s_cbranch_execz .LBB192_180
; %bb.179:                              ;   in Loop: Header=BB192_145 Depth=1
	v_div_scale_f64 v[27:28], null, s[92:93], s[92:93], v[9:10]
	v_div_scale_f64 v[29:30], null, s[92:93], s[92:93], v[11:12]
	v_div_scale_f64 v[39:40], vcc_lo, v[9:10], s[92:93], v[9:10]
	v_max_f64 v[45:46], |v[9:10]|, |v[9:10]|
	s_mov_b32 s99, s25
	s_mov_b32 s14, s86
	s_delay_alu instid0(VALU_DEP_4) | instskip(NEXT) | instid1(VALU_DEP_3)
	v_rcp_f64_e32 v[31:32], v[27:28]
	v_rcp_f64_e32 v[33:34], v[29:30]
	s_waitcnt_depctr 0xfff
	v_fma_f64 v[35:36], -v[27:28], v[31:32], 1.0
	v_fma_f64 v[37:38], -v[29:30], v[33:34], 1.0
	s_delay_alu instid0(VALU_DEP_2) | instskip(NEXT) | instid1(VALU_DEP_2)
	v_fma_f64 v[31:32], v[31:32], v[35:36], v[31:32]
	v_fma_f64 v[33:34], v[33:34], v[37:38], v[33:34]
	s_delay_alu instid0(VALU_DEP_2) | instskip(NEXT) | instid1(VALU_DEP_2)
	v_fma_f64 v[35:36], -v[27:28], v[31:32], 1.0
	v_fma_f64 v[37:38], -v[29:30], v[33:34], 1.0
	s_delay_alu instid0(VALU_DEP_2) | instskip(SKIP_1) | instid1(VALU_DEP_3)
	v_fma_f64 v[31:32], v[31:32], v[35:36], v[31:32]
	v_div_scale_f64 v[35:36], s5, v[11:12], s[92:93], v[11:12]
	v_fma_f64 v[33:34], v[33:34], v[37:38], v[33:34]
	s_delay_alu instid0(VALU_DEP_3) | instskip(NEXT) | instid1(VALU_DEP_2)
	v_mul_f64 v[37:38], v[39:40], v[31:32]
	v_mul_f64 v[41:42], v[35:36], v[33:34]
	s_delay_alu instid0(VALU_DEP_2) | instskip(NEXT) | instid1(VALU_DEP_2)
	v_fma_f64 v[27:28], -v[27:28], v[37:38], v[39:40]
	v_fma_f64 v[29:30], -v[29:30], v[41:42], v[35:36]
	s_delay_alu instid0(VALU_DEP_2) | instskip(SKIP_1) | instid1(VALU_DEP_2)
	v_div_fmas_f64 v[27:28], v[27:28], v[31:32], v[37:38]
	s_mov_b32 vcc_lo, s5
	v_div_fmas_f64 v[29:30], v[29:30], v[33:34], v[41:42]
	s_delay_alu instid0(VALU_DEP_2) | instskip(NEXT) | instid1(VALU_DEP_2)
	v_div_fixup_f64 v[27:28], v[27:28], s[92:93], v[9:10]
	v_div_fixup_f64 v[29:30], v[29:30], s[92:93], v[11:12]
	s_delay_alu instid0(VALU_DEP_2) | instskip(NEXT) | instid1(VALU_DEP_2)
	v_cmp_class_f64_e64 s6, v[27:28], 0x204
	v_max_f64 v[31:32], |v[27:28]|, |v[29:30]|
	v_cmp_o_f64_e64 s5, v[27:28], v[29:30]
	v_cmp_class_f64_e64 s8, v[29:30], 0x204
	s_delay_alu instid0(VALU_DEP_3) | instskip(NEXT) | instid1(VALU_DEP_2)
	v_frexp_exp_i32_f64_e32 v18, v[31:32]
	s_or_b32 s8, s8, s6
	s_delay_alu instid0(VALU_DEP_1) | instskip(NEXT) | instid1(VALU_DEP_1)
	v_sub_nc_u32_e32 v33, 0, v18
	v_ldexp_f64 v[31:32], |v[29:30]|, v33
	v_ldexp_f64 v[33:34], |v[27:28]|, v33
	s_delay_alu instid0(VALU_DEP_2) | instskip(NEXT) | instid1(VALU_DEP_1)
	v_mul_f64 v[31:32], v[31:32], v[31:32]
	v_fma_f64 v[31:32], v[33:34], v[33:34], v[31:32]
	s_delay_alu instid0(VALU_DEP_1) | instskip(SKIP_4) | instid1(VALU_DEP_1)
	v_rsq_f64_e32 v[33:34], v[31:32]
	v_cmp_eq_f64_e32 vcc_lo, 0, v[31:32]
	s_waitcnt_depctr 0xfff
	v_mul_f64 v[35:36], v[31:32], v[33:34]
	v_mul_f64 v[33:34], v[33:34], 0.5
	v_fma_f64 v[37:38], -v[33:34], v[35:36], 0.5
	s_delay_alu instid0(VALU_DEP_1) | instskip(SKIP_1) | instid1(VALU_DEP_2)
	v_fma_f64 v[35:36], v[35:36], v[37:38], v[35:36]
	v_fma_f64 v[33:34], v[33:34], v[37:38], v[33:34]
	v_fma_f64 v[37:38], -v[35:36], v[35:36], v[31:32]
	s_delay_alu instid0(VALU_DEP_1) | instskip(NEXT) | instid1(VALU_DEP_1)
	v_fma_f64 v[33:34], v[37:38], v[33:34], v[35:36]
	v_dual_cndmask_b32 v32, v34, v32 :: v_dual_cndmask_b32 v31, v33, v31
	s_delay_alu instid0(VALU_DEP_1) | instskip(NEXT) | instid1(VALU_DEP_1)
	v_ldexp_f64 v[31:32], v[31:32], v18
	v_cndmask_b32_e64 v27, 0, v31, s5
	s_delay_alu instid0(VALU_DEP_2) | instskip(SKIP_1) | instid1(VALU_DEP_3)
	v_cndmask_b32_e64 v57, 0x7ff80000, v32, s5
	v_and_b32_e32 v32, 0x7fffffff, v32
	v_cndmask_b32_e64 v28, v27, 0, s8
	s_delay_alu instid0(VALU_DEP_3) | instskip(NEXT) | instid1(VALU_DEP_1)
	v_cndmask_b32_e64 v29, v57, 0x7ff00000, s8
	v_frexp_mant_f64_e32 v[33:34], v[28:29]
	s_delay_alu instid0(VALU_DEP_1) | instskip(NEXT) | instid1(VALU_DEP_1)
	v_cmp_gt_f64_e64 s6, s[24:25], v[33:34]
	v_cndmask_b32_e64 v18, 0x3ff00000, 2.0, s6
	s_delay_alu instid0(VALU_DEP_1) | instskip(SKIP_1) | instid1(VALU_DEP_2)
	v_mul_f64 v[33:34], v[33:34], v[17:18]
	v_frexp_exp_i32_f64_e32 v18, v[28:29]
	v_add_f64 v[35:36], v[33:34], 1.0
	v_add_f64 v[41:42], v[33:34], -1.0
	s_delay_alu instid0(VALU_DEP_2) | instskip(SKIP_1) | instid1(VALU_DEP_1)
	v_rcp_f64_e32 v[37:38], v[35:36]
	v_add_f64 v[47:48], v[35:36], -1.0
	v_add_f64 v[33:34], v[33:34], -v[47:48]
	s_waitcnt_depctr 0xfff
	v_fma_f64 v[39:40], -v[35:36], v[37:38], 1.0
	s_delay_alu instid0(VALU_DEP_1) | instskip(NEXT) | instid1(VALU_DEP_1)
	v_fma_f64 v[37:38], v[39:40], v[37:38], v[37:38]
	v_fma_f64 v[39:40], -v[35:36], v[37:38], 1.0
	s_delay_alu instid0(VALU_DEP_1) | instskip(SKIP_1) | instid1(VALU_DEP_2)
	v_fma_f64 v[37:38], v[39:40], v[37:38], v[37:38]
	v_max_f64 v[39:40], |v[11:12]|, |v[11:12]|
	v_mul_f64 v[43:44], v[41:42], v[37:38]
	s_delay_alu instid0(VALU_DEP_2) | instskip(SKIP_1) | instid1(VALU_DEP_3)
	v_max_f64 v[51:52], v[45:46], v[39:40]
	v_min_f64 v[39:40], v[45:46], v[39:40]
	v_mul_f64 v[49:50], v[35:36], v[43:44]
	s_delay_alu instid0(VALU_DEP_2) | instskip(NEXT) | instid1(VALU_DEP_2)
	v_div_scale_f64 v[45:46], null, v[51:52], v[51:52], v[39:40]
	v_fma_f64 v[35:36], v[43:44], v[35:36], -v[49:50]
	s_delay_alu instid0(VALU_DEP_1) | instskip(NEXT) | instid1(VALU_DEP_3)
	v_fma_f64 v[33:34], v[43:44], v[33:34], v[35:36]
	v_rcp_f64_e32 v[35:36], v[45:46]
	s_delay_alu instid0(VALU_DEP_1) | instskip(SKIP_4) | instid1(VALU_DEP_3)
	v_add_f64 v[47:48], v[49:50], v[33:34]
	s_waitcnt_depctr 0xfff
	v_fma_f64 v[53:54], -v[45:46], v[35:36], 1.0
	v_add_f64 v[55:56], v[41:42], -v[47:48]
	v_add_f64 v[49:50], v[47:48], -v[49:50]
	v_fma_f64 v[35:36], v[35:36], v[53:54], v[35:36]
	s_delay_alu instid0(VALU_DEP_3) | instskip(NEXT) | instid1(VALU_DEP_3)
	v_add_f64 v[41:42], v[41:42], -v[55:56]
	v_add_f64 v[33:34], v[49:50], -v[33:34]
	s_delay_alu instid0(VALU_DEP_3) | instskip(NEXT) | instid1(VALU_DEP_3)
	v_fma_f64 v[53:54], -v[45:46], v[35:36], 1.0
	v_add_f64 v[41:42], v[41:42], -v[47:48]
	v_div_scale_f64 v[47:48], vcc_lo, v[39:40], v[51:52], v[39:40]
	s_delay_alu instid0(VALU_DEP_3) | instskip(NEXT) | instid1(VALU_DEP_3)
	v_fma_f64 v[35:36], v[35:36], v[53:54], v[35:36]
	v_add_f64 v[33:34], v[33:34], v[41:42]
	s_delay_alu instid0(VALU_DEP_2) | instskip(NEXT) | instid1(VALU_DEP_2)
	v_mul_f64 v[41:42], v[47:48], v[35:36]
	v_add_f64 v[33:34], v[55:56], v[33:34]
	s_delay_alu instid0(VALU_DEP_2) | instskip(NEXT) | instid1(VALU_DEP_2)
	v_fma_f64 v[45:46], -v[45:46], v[41:42], v[47:48]
	v_mul_f64 v[33:34], v[37:38], v[33:34]
	s_delay_alu instid0(VALU_DEP_2)
	v_div_fmas_f64 v[35:36], v[45:46], v[35:36], v[41:42]
	v_subrev_co_ci_u32_e64 v18, vcc_lo, 0, v18, s6
	v_cmp_eq_f64_e32 vcc_lo, 0x7ff00000, v[31:32]
	v_cmp_class_f64_e64 s6, v[9:10], 0x204
	v_add_f64 v[37:38], v[43:44], v[33:34]
	v_div_fixup_f64 v[35:36], v[35:36], v[51:52], v[39:40]
	s_and_b32 vcc_lo, s5, vcc_lo
	v_cmp_class_f64_e64 s5, v[11:12], 0x204
	s_delay_alu instid0(VALU_DEP_3) | instskip(NEXT) | instid1(VALU_DEP_3)
	v_mul_f64 v[39:40], v[37:38], v[37:38]
	v_mul_f64 v[41:42], v[35:36], v[35:36]
	s_delay_alu instid0(VALU_DEP_2) | instskip(SKIP_1) | instid1(VALU_DEP_3)
	v_fma_f64 v[45:46], v[39:40], s[28:29], s[26:27]
	v_mul_f64 v[49:50], v[37:38], v[39:40]
	v_fma_f64 v[47:48], v[41:42], s[48:49], s[46:47]
	s_delay_alu instid0(VALU_DEP_3) | instskip(NEXT) | instid1(VALU_DEP_2)
	v_fma_f64 v[45:46], v[39:40], v[45:46], s[34:35]
	v_fma_f64 v[47:48], v[41:42], v[47:48], s[50:51]
	s_delay_alu instid0(VALU_DEP_2) | instskip(NEXT) | instid1(VALU_DEP_2)
	v_fma_f64 v[45:46], v[39:40], v[45:46], s[36:37]
	v_fma_f64 v[47:48], v[41:42], v[47:48], s[52:53]
	s_delay_alu instid0(VALU_DEP_2) | instskip(NEXT) | instid1(VALU_DEP_2)
	;; [unrolled: 3-line block ×4, first 2 shown]
	v_fma_f64 v[39:40], v[39:40], v[45:46], s[98:99]
	v_fma_f64 v[45:46], v[41:42], v[47:48], s[58:59]
	v_ldexp_f64 v[47:48], v[37:38], 1
	v_add_f64 v[37:38], v[37:38], -v[43:44]
	s_delay_alu instid0(VALU_DEP_4)
	v_mul_f64 v[39:40], v[49:50], v[39:40]
	v_cvt_f64_i32_e32 v[49:50], v18
	v_ashrrev_i32_e32 v18, 31, v10
	v_fma_f64 v[45:46], v[41:42], v[45:46], s[60:61]
	v_add_f64 v[33:34], v[33:34], -v[37:38]
	v_add_f64 v[43:44], v[47:48], v[39:40]
	v_mul_f64 v[51:52], v[49:50], s[42:43]
	s_delay_alu instid0(VALU_DEP_4) | instskip(NEXT) | instid1(VALU_DEP_4)
	v_fma_f64 v[45:46], v[41:42], v[45:46], s[62:63]
	v_ldexp_f64 v[33:34], v[33:34], 1
	s_delay_alu instid0(VALU_DEP_4) | instskip(NEXT) | instid1(VALU_DEP_4)
	v_add_f64 v[37:38], v[43:44], -v[47:48]
	v_fma_f64 v[47:48], v[49:50], s[42:43], -v[51:52]
	s_delay_alu instid0(VALU_DEP_4) | instskip(NEXT) | instid1(VALU_DEP_3)
	v_fma_f64 v[45:46], v[41:42], v[45:46], s[64:65]
	v_add_f64 v[37:38], v[39:40], -v[37:38]
	s_delay_alu instid0(VALU_DEP_2) | instskip(NEXT) | instid1(VALU_DEP_4)
	v_fma_f64 v[39:40], v[41:42], v[45:46], s[66:67]
	v_fma_f64 v[45:46], v[49:50], s[44:45], v[47:48]
	s_delay_alu instid0(VALU_DEP_3) | instskip(NEXT) | instid1(VALU_DEP_3)
	v_add_f64 v[33:34], v[33:34], v[37:38]
	v_fma_f64 v[37:38], v[41:42], v[39:40], s[68:69]
	s_delay_alu instid0(VALU_DEP_3) | instskip(NEXT) | instid1(VALU_DEP_3)
	v_add_f64 v[39:40], v[51:52], v[45:46]
	v_add_f64 v[47:48], v[43:44], v[33:34]
	s_delay_alu instid0(VALU_DEP_3) | instskip(NEXT) | instid1(VALU_DEP_3)
	v_fma_f64 v[37:38], v[41:42], v[37:38], s[70:71]
	v_add_f64 v[51:52], v[39:40], -v[51:52]
	s_delay_alu instid0(VALU_DEP_3) | instskip(SKIP_1) | instid1(VALU_DEP_4)
	v_add_f64 v[49:50], v[39:40], v[47:48]
	v_add_f64 v[43:44], v[47:48], -v[43:44]
	v_fma_f64 v[37:38], v[41:42], v[37:38], s[72:73]
	s_delay_alu instid0(VALU_DEP_4) | instskip(NEXT) | instid1(VALU_DEP_4)
	v_add_f64 v[45:46], v[45:46], -v[51:52]
	v_add_f64 v[53:54], v[49:50], -v[39:40]
	s_delay_alu instid0(VALU_DEP_4) | instskip(NEXT) | instid1(VALU_DEP_4)
	v_add_f64 v[33:34], v[33:34], -v[43:44]
	v_fma_f64 v[37:38], v[41:42], v[37:38], s[74:75]
	s_delay_alu instid0(VALU_DEP_3) | instskip(SKIP_1) | instid1(VALU_DEP_4)
	v_add_f64 v[55:56], v[49:50], -v[53:54]
	v_add_f64 v[43:44], v[47:48], -v[53:54]
	v_add_f64 v[47:48], v[45:46], v[33:34]
	s_delay_alu instid0(VALU_DEP_4) | instskip(NEXT) | instid1(VALU_DEP_4)
	v_fma_f64 v[37:38], v[41:42], v[37:38], s[76:77]
	v_add_f64 v[39:40], v[39:40], -v[55:56]
	s_delay_alu instid0(VALU_DEP_2) | instskip(NEXT) | instid1(VALU_DEP_2)
	v_fma_f64 v[37:38], v[41:42], v[37:38], s[78:79]
	v_add_f64 v[39:40], v[43:44], v[39:40]
	v_add_f64 v[43:44], v[47:48], -v[45:46]
	s_delay_alu instid0(VALU_DEP_3) | instskip(NEXT) | instid1(VALU_DEP_3)
	v_fma_f64 v[37:38], v[41:42], v[37:38], s[80:81]
	v_add_f64 v[39:40], v[47:48], v[39:40]
	s_delay_alu instid0(VALU_DEP_3) | instskip(SKIP_1) | instid1(VALU_DEP_4)
	v_add_f64 v[47:48], v[47:48], -v[43:44]
	v_add_f64 v[33:34], v[33:34], -v[43:44]
	v_fma_f64 v[37:38], v[41:42], v[37:38], s[82:83]
	s_delay_alu instid0(VALU_DEP_4) | instskip(NEXT) | instid1(VALU_DEP_4)
	v_add_f64 v[51:52], v[49:50], v[39:40]
	v_add_f64 v[43:44], v[45:46], -v[47:48]
	s_delay_alu instid0(VALU_DEP_3) | instskip(NEXT) | instid1(VALU_DEP_3)
	v_fma_f64 v[37:38], v[41:42], v[37:38], s[84:85]
	v_add_f64 v[45:46], v[51:52], -v[49:50]
	s_delay_alu instid0(VALU_DEP_3) | instskip(NEXT) | instid1(VALU_DEP_3)
	v_add_f64 v[33:34], v[33:34], v[43:44]
	v_mul_f64 v[37:38], v[41:42], v[37:38]
	s_delay_alu instid0(VALU_DEP_3) | instskip(NEXT) | instid1(VALU_DEP_2)
	v_add_f64 v[39:40], v[39:40], -v[45:46]
	v_fma_f64 v[35:36], v[35:36], v[37:38], v[35:36]
	s_delay_alu instid0(VALU_DEP_2) | instskip(NEXT) | instid1(VALU_DEP_2)
	v_add_f64 v[33:34], v[33:34], v[39:40]
	v_add_f64 v[37:38], -v[35:36], s[86:87]
	s_delay_alu instid0(VALU_DEP_2) | instskip(NEXT) | instid1(VALU_DEP_2)
	v_add_f64 v[30:31], v[51:52], v[33:34]
	v_cndmask_b32_e64 v33, v36, v38, s4
	s_delay_alu instid0(VALU_DEP_3) | instskip(SKIP_1) | instid1(VALU_DEP_2)
	v_cndmask_b32_e64 v32, v35, v37, s4
	v_cmp_eq_f64_e64 s4, 0, v[11:12]
	v_add_f64 v[34:35], -v[32:33], s[14:15]
	v_dual_cndmask_b32 v31, v31, v57 :: v_dual_cndmask_b32 v30, v30, v27
	v_and_b32_e32 v27, 0x54442d18, v18
	v_cmp_gt_i32_e32 vcc_lo, 0, v10
	s_delay_alu instid0(VALU_DEP_3) | instskip(SKIP_3) | instid1(VALU_DEP_2)
	v_add_f64 v[30:31], v[30:31], 1.0
	v_cndmask_b32_e32 v36, 0x54442d18, v59, vcc_lo
	v_cndmask_b32_e32 v32, v32, v34, vcc_lo
	;; [unrolled: 1-line block ×3, first 2 shown]
	v_cndmask_b32_e64 v32, v32, v27, s4
	v_and_b32_e32 v10, 0x400921fb, v18
	v_cndmask_b32_e32 v18, v33, v35, vcc_lo
	v_cmp_ngt_f64_e32 vcc_lo, 0, v[28:29]
	v_bfi_b32 v9, 0x7fffffff, v9, v12
	s_delay_alu instid0(VALU_DEP_3) | instskip(SKIP_3) | instid1(VALU_DEP_1)
	v_cndmask_b32_e64 v10, v18, v10, s4
	v_cmp_nge_f64_e64 s4, 0, v[28:29]
	v_cndmask_b32_e64 v18, v30, 0, s8
	v_cndmask_b32_e64 v31, v31, 0x7ff00000, s8
	v_cndmask_b32_e32 v31, 0x7ff80000, v31, vcc_lo
	s_and_b32 vcc_lo, s5, s6
	v_cndmask_b32_e32 v30, v10, v9, vcc_lo
	v_cndmask_b32_e64 v27, 0, v18, s4
	v_cmp_neq_f64_e64 s4, 0, v[28:29]
	v_cndmask_b32_e32 v29, v32, v36, vcc_lo
	s_delay_alu instid0(VALU_DEP_2)
	v_cndmask_b32_e64 v28, 0xfff00000, v31, s4
.LBB192_180:                            ;   in Loop: Header=BB192_145 Depth=1
	s_or_b32 exec_lo, exec_lo, s7
.LBB192_181:                            ;   in Loop: Header=BB192_145 Depth=1
	s_and_not1_saveexec_b32 s4, s89
	s_cbranch_execz .LBB192_187
; %bb.182:                              ;   in Loop: Header=BB192_145 Depth=1
	v_cmp_ngt_f64_e64 s5, 0x20000000, |v[9:10]|
	v_cmp_ngt_f64_e64 s6, 0x20000000, |v[11:12]|
                                        ; implicit-def: $vgpr31_vgpr32
	s_delay_alu instid0(VALU_DEP_1) | instskip(NEXT) | instid1(SALU_CYCLE_1)
	s_or_b32 s5, s6, s5
	s_and_saveexec_b32 s6, s5
	s_delay_alu instid0(SALU_CYCLE_1)
	s_xor_b32 s5, exec_lo, s6
; %bb.183:                              ;   in Loop: Header=BB192_145 Depth=1
	v_mul_f64 v[9:10], v[9:10], v[9:10]
	s_delay_alu instid0(VALU_DEP_1)
	v_fma_f64 v[31:32], v[11:12], v[11:12], v[9:10]
; %bb.184:                              ;   in Loop: Header=BB192_145 Depth=1
	s_and_not1_saveexec_b32 s5, s5
; %bb.185:                              ;   in Loop: Header=BB192_145 Depth=1
	v_mul_f64 v[9:10], v[9:10], 4.0
	v_mul_f64 v[27:28], v[11:12], 4.0
	s_delay_alu instid0(VALU_DEP_2) | instskip(NEXT) | instid1(VALU_DEP_1)
	v_mul_f64 v[9:10], v[9:10], v[9:10]
	v_fma_f64 v[9:10], v[27:28], v[27:28], v[9:10]
	s_delay_alu instid0(VALU_DEP_1)
	v_ldexp_f64 v[31:32], v[9:10], -4
; %bb.186:                              ;   in Loop: Header=BB192_145 Depth=1
	s_or_b32 exec_lo, exec_lo, s5
	s_delay_alu instid0(VALU_DEP_1) | instskip(SKIP_2) | instid1(VALU_DEP_2)
	v_frexp_mant_f64_e32 v[9:10], v[31:32]
	s_mov_b32 s99, s25
	v_frexp_exp_i32_f64_e32 v11, v[31:32]
	v_cmp_gt_f64_e32 vcc_lo, s[24:25], v[9:10]
	v_cndmask_b32_e64 v18, 0x3ff00000, 2.0, vcc_lo
	s_delay_alu instid0(VALU_DEP_3) | instskip(SKIP_1) | instid1(VALU_DEP_3)
	v_subrev_co_ci_u32_e32 v11, vcc_lo, 0, v11, vcc_lo
	v_cmp_class_f64_e64 vcc_lo, v[31:32], 0x204
	v_mul_f64 v[9:10], v[9:10], v[17:18]
	s_delay_alu instid0(VALU_DEP_1) | instskip(SKIP_1) | instid1(VALU_DEP_2)
	v_add_f64 v[27:28], v[9:10], 1.0
	v_add_f64 v[35:36], v[9:10], -1.0
	v_rcp_f64_e32 v[29:30], v[27:28]
	v_add_f64 v[37:38], v[27:28], -1.0
	s_delay_alu instid0(VALU_DEP_1) | instskip(SKIP_2) | instid1(VALU_DEP_1)
	v_add_f64 v[9:10], v[9:10], -v[37:38]
	s_waitcnt_depctr 0xfff
	v_fma_f64 v[33:34], -v[27:28], v[29:30], 1.0
	v_fma_f64 v[29:30], v[33:34], v[29:30], v[29:30]
	s_delay_alu instid0(VALU_DEP_1) | instskip(NEXT) | instid1(VALU_DEP_1)
	v_fma_f64 v[33:34], -v[27:28], v[29:30], 1.0
	v_fma_f64 v[29:30], v[33:34], v[29:30], v[29:30]
	s_delay_alu instid0(VALU_DEP_1) | instskip(NEXT) | instid1(VALU_DEP_1)
	v_mul_f64 v[33:34], v[35:36], v[29:30]
	v_mul_f64 v[39:40], v[27:28], v[33:34]
	s_delay_alu instid0(VALU_DEP_1) | instskip(NEXT) | instid1(VALU_DEP_1)
	v_fma_f64 v[27:28], v[33:34], v[27:28], -v[39:40]
	v_fma_f64 v[9:10], v[33:34], v[9:10], v[27:28]
	s_delay_alu instid0(VALU_DEP_1) | instskip(NEXT) | instid1(VALU_DEP_1)
	v_add_f64 v[27:28], v[39:40], v[9:10]
	v_add_f64 v[37:38], v[35:36], -v[27:28]
	v_add_f64 v[39:40], v[27:28], -v[39:40]
	s_delay_alu instid0(VALU_DEP_2) | instskip(NEXT) | instid1(VALU_DEP_2)
	v_add_f64 v[35:36], v[35:36], -v[37:38]
	v_add_f64 v[9:10], v[39:40], -v[9:10]
	s_delay_alu instid0(VALU_DEP_2) | instskip(NEXT) | instid1(VALU_DEP_1)
	v_add_f64 v[27:28], v[35:36], -v[27:28]
	v_add_f64 v[9:10], v[9:10], v[27:28]
	s_delay_alu instid0(VALU_DEP_1) | instskip(NEXT) | instid1(VALU_DEP_1)
	v_add_f64 v[9:10], v[37:38], v[9:10]
	v_mul_f64 v[9:10], v[29:30], v[9:10]
	s_delay_alu instid0(VALU_DEP_1) | instskip(NEXT) | instid1(VALU_DEP_1)
	v_add_f64 v[27:28], v[33:34], v[9:10]
	v_mul_f64 v[29:30], v[27:28], v[27:28]
	s_delay_alu instid0(VALU_DEP_1) | instskip(SKIP_1) | instid1(VALU_DEP_2)
	v_fma_f64 v[35:36], v[29:30], s[28:29], s[26:27]
	v_mul_f64 v[37:38], v[27:28], v[29:30]
	v_fma_f64 v[35:36], v[29:30], v[35:36], s[34:35]
	s_delay_alu instid0(VALU_DEP_1) | instskip(NEXT) | instid1(VALU_DEP_1)
	v_fma_f64 v[35:36], v[29:30], v[35:36], s[36:37]
	v_fma_f64 v[35:36], v[29:30], v[35:36], s[38:39]
	s_delay_alu instid0(VALU_DEP_1) | instskip(NEXT) | instid1(VALU_DEP_1)
	v_fma_f64 v[35:36], v[29:30], v[35:36], s[40:41]
	v_fma_f64 v[29:30], v[29:30], v[35:36], s[98:99]
	v_ldexp_f64 v[35:36], v[27:28], 1
	v_add_f64 v[27:28], v[27:28], -v[33:34]
	s_delay_alu instid0(VALU_DEP_3) | instskip(SKIP_1) | instid1(VALU_DEP_3)
	v_mul_f64 v[29:30], v[37:38], v[29:30]
	v_cvt_f64_i32_e32 v[37:38], v11
	v_add_f64 v[9:10], v[9:10], -v[27:28]
	s_delay_alu instid0(VALU_DEP_3) | instskip(NEXT) | instid1(VALU_DEP_3)
	v_add_f64 v[33:34], v[35:36], v[29:30]
	v_mul_f64 v[39:40], v[37:38], s[42:43]
	s_delay_alu instid0(VALU_DEP_3) | instskip(NEXT) | instid1(VALU_DEP_3)
	v_ldexp_f64 v[9:10], v[9:10], 1
	v_add_f64 v[27:28], v[33:34], -v[35:36]
	s_delay_alu instid0(VALU_DEP_3) | instskip(NEXT) | instid1(VALU_DEP_2)
	v_fma_f64 v[35:36], v[37:38], s[42:43], -v[39:40]
	v_add_f64 v[27:28], v[29:30], -v[27:28]
	s_delay_alu instid0(VALU_DEP_2) | instskip(NEXT) | instid1(VALU_DEP_2)
	v_fma_f64 v[29:30], v[37:38], s[44:45], v[35:36]
	v_add_f64 v[9:10], v[9:10], v[27:28]
	s_delay_alu instid0(VALU_DEP_2) | instskip(NEXT) | instid1(VALU_DEP_2)
	v_add_f64 v[27:28], v[39:40], v[29:30]
	v_add_f64 v[35:36], v[33:34], v[9:10]
	s_delay_alu instid0(VALU_DEP_2) | instskip(NEXT) | instid1(VALU_DEP_2)
	v_add_f64 v[39:40], v[27:28], -v[39:40]
	v_add_f64 v[37:38], v[27:28], v[35:36]
	v_add_f64 v[33:34], v[35:36], -v[33:34]
	s_delay_alu instid0(VALU_DEP_3) | instskip(NEXT) | instid1(VALU_DEP_3)
	v_add_f64 v[29:30], v[29:30], -v[39:40]
	v_add_f64 v[41:42], v[37:38], -v[27:28]
	s_delay_alu instid0(VALU_DEP_3) | instskip(NEXT) | instid1(VALU_DEP_2)
	v_add_f64 v[9:10], v[9:10], -v[33:34]
	v_add_f64 v[43:44], v[37:38], -v[41:42]
	v_add_f64 v[33:34], v[35:36], -v[41:42]
	s_delay_alu instid0(VALU_DEP_3) | instskip(NEXT) | instid1(VALU_DEP_3)
	v_add_f64 v[35:36], v[29:30], v[9:10]
	v_add_f64 v[27:28], v[27:28], -v[43:44]
	s_delay_alu instid0(VALU_DEP_1) | instskip(NEXT) | instid1(VALU_DEP_3)
	v_add_f64 v[27:28], v[33:34], v[27:28]
	v_add_f64 v[33:34], v[35:36], -v[29:30]
	s_delay_alu instid0(VALU_DEP_2) | instskip(NEXT) | instid1(VALU_DEP_2)
	v_add_f64 v[27:28], v[35:36], v[27:28]
	v_add_f64 v[35:36], v[35:36], -v[33:34]
	v_add_f64 v[9:10], v[9:10], -v[33:34]
	s_delay_alu instid0(VALU_DEP_3) | instskip(NEXT) | instid1(VALU_DEP_3)
	v_add_f64 v[39:40], v[37:38], v[27:28]
	v_add_f64 v[29:30], v[29:30], -v[35:36]
	s_delay_alu instid0(VALU_DEP_2) | instskip(NEXT) | instid1(VALU_DEP_2)
	v_add_f64 v[33:34], v[39:40], -v[37:38]
	v_add_f64 v[9:10], v[9:10], v[29:30]
	v_mov_b32_e32 v29, 0
	v_mov_b32_e32 v30, 0x7ff80000
	s_delay_alu instid0(VALU_DEP_4) | instskip(NEXT) | instid1(VALU_DEP_1)
	v_add_f64 v[27:28], v[27:28], -v[33:34]
	v_add_f64 v[9:10], v[9:10], v[27:28]
	s_delay_alu instid0(VALU_DEP_1) | instskip(NEXT) | instid1(VALU_DEP_1)
	v_add_f64 v[9:10], v[39:40], v[9:10]
	v_dual_cndmask_b32 v9, v9, v31 :: v_dual_cndmask_b32 v10, v10, v32
	v_cmp_ngt_f64_e32 vcc_lo, 0, v[31:32]
	s_delay_alu instid0(VALU_DEP_2) | instskip(SKIP_1) | instid1(VALU_DEP_4)
	v_cndmask_b32_e32 v10, 0x7ff80000, v10, vcc_lo
	v_cmp_nge_f64_e32 vcc_lo, 0, v[31:32]
	v_cndmask_b32_e32 v27, 0, v9, vcc_lo
	v_cmp_neq_f64_e32 vcc_lo, 0, v[31:32]
	s_delay_alu instid0(VALU_DEP_4)
	v_cndmask_b32_e32 v28, 0xfff00000, v10, vcc_lo
.LBB192_187:                            ;   in Loop: Header=BB192_145 Depth=1
	s_or_b32 exec_lo, exec_lo, s4
                                        ; implicit-def: $vgpr9_vgpr10
                                        ; implicit-def: $vgpr31_vgpr32
	s_delay_alu instid0(SALU_CYCLE_1)
	s_mov_b32 s4, exec_lo
	v_cmpx_o_f64_e32 v[1:2], v[3:4]
	s_xor_b32 s89, exec_lo, s4
	s_cbranch_execz .LBB192_215
; %bb.188:                              ;   in Loop: Header=BB192_145 Depth=1
	v_cmp_lt_f64_e64 s4, |v[1:2]|, |v[3:4]|
	v_and_b32_e32 v11, 0x7fffffff, v2
	v_dual_mov_b32 v33, v3 :: v_dual_and_b32 v18, 0x7fffffff, v4
                                        ; implicit-def: $vgpr9_vgpr10
                                        ; implicit-def: $vgpr31_vgpr32
	s_mov_b32 s5, exec_lo
	s_delay_alu instid0(VALU_DEP_1) | instskip(NEXT) | instid1(VALU_DEP_2)
	v_cndmask_b32_e64 v36, v18, v11, s4
	v_cndmask_b32_e64 v35, v33, v1, s4
	s_delay_alu instid0(VALU_DEP_1)
	v_cmpx_nlt_f64_e32 s[18:19], v[35:36]
	s_xor_b32 s20, exec_lo, s5
	s_cbranch_execz .LBB192_212
; %bb.189:                              ;   in Loop: Header=BB192_145 Depth=1
	v_cndmask_b32_e64 v38, v11, v18, s4
	v_cndmask_b32_e64 v37, v1, v33, s4
                                        ; implicit-def: $vgpr9_vgpr10
                                        ; implicit-def: $vgpr31_vgpr32
	s_mov_b32 s5, exec_lo
	s_delay_alu instid0(VALU_DEP_1)
	v_cmpx_neq_f64_e32 1.0, v[37:38]
	s_xor_b32 s21, exec_lo, s5
	s_cbranch_execz .LBB192_205
; %bb.190:                              ;   in Loop: Header=BB192_145 Depth=1
	v_max_f64 v[9:10], v[35:36], v[35:36]
	v_max_f64 v[31:32], v[37:38], v[37:38]
	s_mov_b32 s6, 0xc57e649a
	s_mov_b32 s7, 0x4a511b0e
	s_delay_alu instid0(VALU_DEP_1) | instskip(SKIP_1) | instid1(VALU_DEP_2)
	v_min_f64 v[33:34], v[31:32], v[9:10]
	v_max_f64 v[9:10], v[31:32], v[9:10]
                                        ; implicit-def: $vgpr31_vgpr32
	v_cmp_ngt_f64_e32 vcc_lo, s[12:13], v[33:34]
	s_delay_alu instid0(VALU_DEP_2) | instskip(NEXT) | instid1(VALU_DEP_1)
	v_cmp_nlt_f64_e64 s5, s[6:7], v[9:10]
                                        ; implicit-def: $vgpr9_vgpr10
	s_and_b32 s5, s5, vcc_lo
	s_delay_alu instid0(SALU_CYCLE_1) | instskip(NEXT) | instid1(SALU_CYCLE_1)
	s_and_saveexec_b32 s6, s5
	s_xor_b32 s22, exec_lo, s6
	s_cbranch_execz .LBB192_202
; %bb.191:                              ;   in Loop: Header=BB192_145 Depth=1
                                        ; implicit-def: $vgpr9_vgpr10
                                        ; implicit-def: $vgpr31_vgpr32
	s_mov_b32 s5, exec_lo
	v_cmpx_le_f64_e32 1.0, v[37:38]
	s_xor_b32 s6, exec_lo, s5
	s_cbranch_execz .LBB192_193
; %bb.192:                              ;   in Loop: Header=BB192_145 Depth=1
	v_add_f64 v[9:10], v[37:38], -1.0
	v_add_f64 v[31:32], v[37:38], 1.0
	s_mov_b32 s99, s25
	s_mov_b32 s14, s86
	v_cmp_gt_i32_e64 s5, 0, v2
	v_cmp_class_f64_e64 s8, v[1:2], 0x204
	v_cmp_class_f64_e64 s7, v[3:4], 0x204
	s_delay_alu instid0(VALU_DEP_4) | instskip(NEXT) | instid1(VALU_DEP_1)
	v_mul_f64 v[9:10], v[9:10], v[31:32]
	v_fma_f64 v[10:11], v[35:36], v[35:36], v[9:10]
	s_delay_alu instid0(VALU_DEP_1) | instskip(NEXT) | instid1(VALU_DEP_1)
	v_add_f64 v[31:32], v[10:11], 1.0
	v_frexp_mant_f64_e32 v[33:34], v[31:32]
	v_frexp_exp_i32_f64_e32 v9, v[31:32]
	v_add_f64 v[35:36], v[31:32], -1.0
	s_delay_alu instid0(VALU_DEP_3) | instskip(NEXT) | instid1(VALU_DEP_2)
	v_cmp_gt_f64_e32 vcc_lo, s[24:25], v[33:34]
	v_add_f64 v[33:34], v[35:36], -v[31:32]
	v_add_f64 v[35:36], v[10:11], -v[35:36]
	v_subrev_co_ci_u32_e32 v9, vcc_lo, 0, v9, vcc_lo
	s_delay_alu instid0(VALU_DEP_3) | instskip(NEXT) | instid1(VALU_DEP_2)
	v_add_f64 v[33:34], v[33:34], 1.0
	v_sub_nc_u32_e32 v18, 0, v9
	s_delay_alu instid0(VALU_DEP_1) | instskip(NEXT) | instid1(VALU_DEP_3)
	v_ldexp_f64 v[31:32], v[31:32], v18
	v_add_f64 v[33:34], v[35:36], v[33:34]
	s_delay_alu instid0(VALU_DEP_2) | instskip(SKIP_1) | instid1(VALU_DEP_3)
	v_add_f64 v[37:38], v[31:32], 1.0
	v_add_f64 v[43:44], v[31:32], -1.0
	v_ldexp_f64 v[33:34], v[33:34], v18
	v_cndmask_b32_e64 v18, 0x54442d18, v59, s5
	s_delay_alu instid0(VALU_DEP_4) | instskip(NEXT) | instid1(VALU_DEP_4)
	v_add_f64 v[35:36], v[37:38], -1.0
	v_add_f64 v[45:46], v[43:44], 1.0
	s_delay_alu instid0(VALU_DEP_2) | instskip(NEXT) | instid1(VALU_DEP_2)
	v_add_f64 v[35:36], v[31:32], -v[35:36]
	v_add_f64 v[31:32], v[31:32], -v[45:46]
	s_delay_alu instid0(VALU_DEP_2) | instskip(NEXT) | instid1(VALU_DEP_2)
	v_add_f64 v[35:36], v[33:34], v[35:36]
	v_add_f64 v[31:32], v[33:34], v[31:32]
	s_delay_alu instid0(VALU_DEP_2) | instskip(NEXT) | instid1(VALU_DEP_2)
	v_add_f64 v[39:40], v[37:38], v[35:36]
	v_add_f64 v[45:46], v[43:44], v[31:32]
	s_delay_alu instid0(VALU_DEP_2) | instskip(SKIP_1) | instid1(VALU_DEP_2)
	v_rcp_f64_e32 v[41:42], v[39:40]
	v_add_f64 v[37:38], v[39:40], -v[37:38]
	v_add_f64 v[43:44], v[45:46], -v[43:44]
	s_delay_alu instid0(VALU_DEP_2) | instskip(SKIP_3) | instid1(VALU_DEP_2)
	v_add_f64 v[35:36], v[35:36], -v[37:38]
	s_waitcnt_depctr 0xfff
	v_fma_f64 v[47:48], -v[39:40], v[41:42], 1.0
	v_add_f64 v[31:32], v[31:32], -v[43:44]
	v_fma_f64 v[41:42], v[47:48], v[41:42], v[41:42]
	s_delay_alu instid0(VALU_DEP_1) | instskip(NEXT) | instid1(VALU_DEP_1)
	v_fma_f64 v[33:34], -v[39:40], v[41:42], 1.0
	v_fma_f64 v[33:34], v[33:34], v[41:42], v[41:42]
	s_delay_alu instid0(VALU_DEP_1) | instskip(NEXT) | instid1(VALU_DEP_1)
	v_mul_f64 v[41:42], v[45:46], v[33:34]
	v_mul_f64 v[47:48], v[39:40], v[41:42]
	s_delay_alu instid0(VALU_DEP_1) | instskip(NEXT) | instid1(VALU_DEP_1)
	v_fma_f64 v[37:38], v[41:42], v[39:40], -v[47:48]
	v_fma_f64 v[37:38], v[41:42], v[35:36], v[37:38]
	s_delay_alu instid0(VALU_DEP_1) | instskip(NEXT) | instid1(VALU_DEP_1)
	v_add_f64 v[49:50], v[47:48], v[37:38]
	v_add_f64 v[51:52], v[45:46], -v[49:50]
	v_add_f64 v[43:44], v[49:50], -v[47:48]
	v_max_f64 v[47:48], |v[3:4]|, |v[3:4]|
	s_delay_alu instid0(VALU_DEP_3) | instskip(NEXT) | instid1(VALU_DEP_3)
	v_add_f64 v[45:46], v[45:46], -v[51:52]
	v_add_f64 v[37:38], v[43:44], -v[37:38]
	s_delay_alu instid0(VALU_DEP_2) | instskip(SKIP_2) | instid1(VALU_DEP_1)
	v_add_f64 v[45:46], v[45:46], -v[49:50]
	v_max_f64 v[49:50], |v[1:2]|, |v[1:2]|
	v_cndmask_b32_e64 v1, 0x3fe921fb, v60, s5
	v_bfi_b32 v1, 0x7fffffff, v1, v4
	s_delay_alu instid0(VALU_DEP_4) | instskip(NEXT) | instid1(VALU_DEP_4)
	v_add_f64 v[31:32], v[31:32], v[45:46]
	v_max_f64 v[53:54], v[49:50], v[47:48]
	v_min_f64 v[47:48], v[49:50], v[47:48]
	s_delay_alu instid0(VALU_DEP_3) | instskip(NEXT) | instid1(VALU_DEP_1)
	v_add_f64 v[31:32], v[37:38], v[31:32]
	v_add_f64 v[37:38], v[51:52], v[31:32]
	s_delay_alu instid0(VALU_DEP_1) | instskip(SKIP_1) | instid1(VALU_DEP_2)
	v_mul_f64 v[43:44], v[33:34], v[37:38]
	v_add_f64 v[51:52], v[51:52], -v[37:38]
	v_mul_f64 v[45:46], v[39:40], v[43:44]
	s_delay_alu instid0(VALU_DEP_2) | instskip(NEXT) | instid1(VALU_DEP_2)
	v_add_f64 v[31:32], v[31:32], v[51:52]
	v_fma_f64 v[39:40], v[43:44], v[39:40], -v[45:46]
	s_delay_alu instid0(VALU_DEP_1) | instskip(SKIP_1) | instid1(VALU_DEP_2)
	v_fma_f64 v[35:36], v[43:44], v[35:36], v[39:40]
	v_div_scale_f64 v[39:40], null, v[53:54], v[53:54], v[47:48]
	v_add_f64 v[49:50], v[45:46], v[35:36]
	s_delay_alu instid0(VALU_DEP_2) | instskip(NEXT) | instid1(VALU_DEP_1)
	v_rcp_f64_e32 v[55:56], v[39:40]
	v_add_f64 v[57:58], v[37:38], -v[49:50]
	v_add_f64 v[45:46], v[49:50], -v[45:46]
	s_waitcnt_depctr 0xfff
	v_fma_f64 v[61:62], -v[39:40], v[55:56], 1.0
	v_add_f64 v[37:38], v[37:38], -v[57:58]
	v_add_f64 v[35:36], v[45:46], -v[35:36]
	s_delay_alu instid0(VALU_DEP_3) | instskip(NEXT) | instid1(VALU_DEP_3)
	v_fma_f64 v[55:56], v[55:56], v[61:62], v[55:56]
	v_add_f64 v[37:38], v[37:38], -v[49:50]
	s_delay_alu instid0(VALU_DEP_2) | instskip(NEXT) | instid1(VALU_DEP_2)
	v_fma_f64 v[49:50], -v[39:40], v[55:56], 1.0
	v_add_f64 v[31:32], v[31:32], v[37:38]
	v_div_scale_f64 v[37:38], vcc_lo, v[47:48], v[53:54], v[47:48]
	s_delay_alu instid0(VALU_DEP_3) | instskip(SKIP_1) | instid1(VALU_DEP_4)
	v_fma_f64 v[45:46], v[55:56], v[49:50], v[55:56]
	v_add_f64 v[49:50], v[41:42], v[43:44]
	v_add_f64 v[31:32], v[35:36], v[31:32]
	s_delay_alu instid0(VALU_DEP_3) | instskip(NEXT) | instid1(VALU_DEP_3)
	v_mul_f64 v[35:36], v[37:38], v[45:46]
	v_add_f64 v[41:42], v[49:50], -v[41:42]
	s_delay_alu instid0(VALU_DEP_3) | instskip(NEXT) | instid1(VALU_DEP_3)
	v_add_f64 v[31:32], v[57:58], v[31:32]
	v_fma_f64 v[37:38], -v[39:40], v[35:36], v[37:38]
	s_delay_alu instid0(VALU_DEP_3) | instskip(NEXT) | instid1(VALU_DEP_3)
	v_add_f64 v[39:40], v[43:44], -v[41:42]
	v_mul_f64 v[31:32], v[33:34], v[31:32]
	s_delay_alu instid0(VALU_DEP_3) | instskip(SKIP_1) | instid1(VALU_DEP_3)
	v_div_fmas_f64 v[33:34], v[37:38], v[45:46], v[35:36]
	v_cmp_eq_f64_e32 vcc_lo, 0x7ff00000, v[10:11]
	v_add_f64 v[31:32], v[39:40], v[31:32]
	s_delay_alu instid0(VALU_DEP_3) | instskip(NEXT) | instid1(VALU_DEP_2)
	v_div_fixup_f64 v[33:34], v[33:34], v[53:54], v[47:48]
	v_add_f64 v[35:36], v[49:50], v[31:32]
	s_delay_alu instid0(VALU_DEP_2) | instskip(NEXT) | instid1(VALU_DEP_2)
	v_mul_f64 v[37:38], v[33:34], v[33:34]
	v_mul_f64 v[39:40], v[35:36], v[35:36]
	s_delay_alu instid0(VALU_DEP_2) | instskip(NEXT) | instid1(VALU_DEP_2)
	v_fma_f64 v[41:42], v[37:38], s[48:49], s[46:47]
	v_fma_f64 v[43:44], v[39:40], s[28:29], s[26:27]
	v_mul_f64 v[45:46], v[35:36], v[39:40]
	s_delay_alu instid0(VALU_DEP_3) | instskip(NEXT) | instid1(VALU_DEP_3)
	v_fma_f64 v[41:42], v[37:38], v[41:42], s[50:51]
	v_fma_f64 v[43:44], v[39:40], v[43:44], s[34:35]
	s_delay_alu instid0(VALU_DEP_2) | instskip(NEXT) | instid1(VALU_DEP_2)
	v_fma_f64 v[41:42], v[37:38], v[41:42], s[52:53]
	v_fma_f64 v[43:44], v[39:40], v[43:44], s[36:37]
	s_delay_alu instid0(VALU_DEP_2) | instskip(NEXT) | instid1(VALU_DEP_2)
	;; [unrolled: 3-line block ×4, first 2 shown]
	v_fma_f64 v[41:42], v[37:38], v[41:42], s[58:59]
	v_fma_f64 v[39:40], v[39:40], v[43:44], s[98:99]
	v_ldexp_f64 v[43:44], v[35:36], 1
	v_add_f64 v[35:36], v[35:36], -v[49:50]
	s_delay_alu instid0(VALU_DEP_4) | instskip(NEXT) | instid1(VALU_DEP_4)
	v_fma_f64 v[41:42], v[37:38], v[41:42], s[60:61]
	v_mul_f64 v[39:40], v[45:46], v[39:40]
	v_cvt_f64_i32_e32 v[45:46], v9
	s_delay_alu instid0(VALU_DEP_4) | instskip(NEXT) | instid1(VALU_DEP_4)
	v_add_f64 v[31:32], v[31:32], -v[35:36]
	v_fma_f64 v[41:42], v[37:38], v[41:42], s[62:63]
	v_ashrrev_i32_e32 v9, 31, v2
	s_delay_alu instid0(VALU_DEP_1) | instskip(SKIP_4) | instid1(VALU_DEP_4)
	v_and_b32_e32 v2, 0x400921fb, v9
	v_add_f64 v[47:48], v[43:44], v[39:40]
	v_mul_f64 v[49:50], v[45:46], s[42:43]
	v_ldexp_f64 v[31:32], v[31:32], 1
	v_fma_f64 v[41:42], v[37:38], v[41:42], s[64:65]
	v_add_f64 v[35:36], v[47:48], -v[43:44]
	s_delay_alu instid0(VALU_DEP_4) | instskip(NEXT) | instid1(VALU_DEP_3)
	v_fma_f64 v[43:44], v[45:46], s[42:43], -v[49:50]
	v_fma_f64 v[41:42], v[37:38], v[41:42], s[66:67]
	s_delay_alu instid0(VALU_DEP_3) | instskip(NEXT) | instid1(VALU_DEP_2)
	v_add_f64 v[35:36], v[39:40], -v[35:36]
	v_fma_f64 v[39:40], v[37:38], v[41:42], s[68:69]
	s_delay_alu instid0(VALU_DEP_4) | instskip(NEXT) | instid1(VALU_DEP_3)
	v_fma_f64 v[41:42], v[45:46], s[44:45], v[43:44]
	v_add_f64 v[31:32], v[31:32], v[35:36]
	s_delay_alu instid0(VALU_DEP_3) | instskip(NEXT) | instid1(VALU_DEP_3)
	v_fma_f64 v[35:36], v[37:38], v[39:40], s[70:71]
	v_add_f64 v[39:40], v[49:50], v[41:42]
	s_delay_alu instid0(VALU_DEP_3) | instskip(NEXT) | instid1(VALU_DEP_3)
	v_add_f64 v[43:44], v[47:48], v[31:32]
	v_fma_f64 v[35:36], v[37:38], v[35:36], s[72:73]
	s_delay_alu instid0(VALU_DEP_3) | instskip(NEXT) | instid1(VALU_DEP_3)
	v_add_f64 v[49:50], v[39:40], -v[49:50]
	v_add_f64 v[45:46], v[39:40], v[43:44]
	v_add_f64 v[47:48], v[43:44], -v[47:48]
	s_delay_alu instid0(VALU_DEP_4) | instskip(NEXT) | instid1(VALU_DEP_4)
	v_fma_f64 v[35:36], v[37:38], v[35:36], s[74:75]
	v_add_f64 v[41:42], v[41:42], -v[49:50]
	s_delay_alu instid0(VALU_DEP_4) | instskip(NEXT) | instid1(VALU_DEP_4)
	v_add_f64 v[51:52], v[45:46], -v[39:40]
	v_add_f64 v[31:32], v[31:32], -v[47:48]
	s_delay_alu instid0(VALU_DEP_4) | instskip(NEXT) | instid1(VALU_DEP_3)
	v_fma_f64 v[35:36], v[37:38], v[35:36], s[76:77]
	v_add_f64 v[53:54], v[45:46], -v[51:52]
	v_add_f64 v[43:44], v[43:44], -v[51:52]
	s_delay_alu instid0(VALU_DEP_4) | instskip(NEXT) | instid1(VALU_DEP_4)
	v_add_f64 v[47:48], v[41:42], v[31:32]
	v_fma_f64 v[35:36], v[37:38], v[35:36], s[78:79]
	s_delay_alu instid0(VALU_DEP_4) | instskip(NEXT) | instid1(VALU_DEP_2)
	v_add_f64 v[39:40], v[39:40], -v[53:54]
	v_fma_f64 v[35:36], v[37:38], v[35:36], s[80:81]
	s_delay_alu instid0(VALU_DEP_2) | instskip(SKIP_1) | instid1(VALU_DEP_3)
	v_add_f64 v[39:40], v[43:44], v[39:40]
	v_add_f64 v[43:44], v[47:48], -v[41:42]
	v_fma_f64 v[35:36], v[37:38], v[35:36], s[82:83]
	s_delay_alu instid0(VALU_DEP_3) | instskip(NEXT) | instid1(VALU_DEP_3)
	v_add_f64 v[39:40], v[47:48], v[39:40]
	v_add_f64 v[47:48], v[47:48], -v[43:44]
	v_add_f64 v[31:32], v[31:32], -v[43:44]
	s_delay_alu instid0(VALU_DEP_4) | instskip(NEXT) | instid1(VALU_DEP_4)
	v_fma_f64 v[35:36], v[37:38], v[35:36], s[84:85]
	v_add_f64 v[49:50], v[45:46], v[39:40]
	s_delay_alu instid0(VALU_DEP_2) | instskip(SKIP_1) | instid1(VALU_DEP_3)
	v_mul_f64 v[35:36], v[37:38], v[35:36]
	v_add_f64 v[37:38], v[41:42], -v[47:48]
	v_add_f64 v[41:42], v[49:50], -v[45:46]
	s_delay_alu instid0(VALU_DEP_3) | instskip(NEXT) | instid1(VALU_DEP_3)
	v_fma_f64 v[33:34], v[33:34], v[35:36], v[33:34]
	v_add_f64 v[31:32], v[31:32], v[37:38]
	s_delay_alu instid0(VALU_DEP_3) | instskip(NEXT) | instid1(VALU_DEP_3)
	v_add_f64 v[35:36], v[39:40], -v[41:42]
	v_add_f64 v[37:38], -v[33:34], s[86:87]
	s_delay_alu instid0(VALU_DEP_2) | instskip(NEXT) | instid1(VALU_DEP_2)
	v_add_f64 v[31:32], v[31:32], v[35:36]
	v_cndmask_b32_e64 v34, v34, v38, s4
	s_delay_alu instid0(VALU_DEP_3) | instskip(NEXT) | instid1(VALU_DEP_1)
	v_cndmask_b32_e64 v33, v33, v37, s4
	v_add_f64 v[35:36], -v[33:34], s[14:15]
	s_delay_alu instid0(VALU_DEP_4) | instskip(SKIP_1) | instid1(VALU_DEP_3)
	v_add_f64 v[31:32], v[49:50], v[31:32]
	v_and_b32_e32 v37, 0x54442d18, v9
	v_cndmask_b32_e64 v33, v33, v35, s5
	s_delay_alu instid0(VALU_DEP_4) | instskip(SKIP_3) | instid1(VALU_DEP_2)
	v_cndmask_b32_e64 v9, v34, v36, s5
	v_cmp_nge_f64_e64 s5, -1.0, v[10:11]
                                        ; implicit-def: $vgpr35_vgpr36
	v_dual_cndmask_b32 v32, v32, v11 :: v_dual_cndmask_b32 v31, v31, v10
	v_cmp_eq_f64_e32 vcc_lo, 0, v[3:4]
	v_mul_f64 v[31:32], v[31:32], 0.5
	v_cndmask_b32_e32 v33, v33, v37, vcc_lo
	v_cndmask_b32_e32 v2, v9, v2, vcc_lo
	v_cmp_ngt_f64_e32 vcc_lo, -1.0, v[10:11]
                                        ; implicit-def: $vgpr37_vgpr38
	s_delay_alu instid0(VALU_DEP_4) | instskip(SKIP_4) | instid1(VALU_DEP_2)
	v_cndmask_b32_e64 v9, 0, v31, s5
	v_cmp_neq_f64_e64 s5, -1.0, v[10:11]
	v_cndmask_b32_e32 v34, 0x7ff80000, v32, vcc_lo
	s_and_b32 vcc_lo, s7, s8
	v_dual_cndmask_b32 v32, v2, v1 :: v_dual_cndmask_b32 v31, v33, v18
	v_cndmask_b32_e64 v10, 0xfff00000, v34, s5
.LBB192_193:                            ;   in Loop: Header=BB192_145 Depth=1
	s_and_not1_saveexec_b32 s23, s6
	s_cbranch_execz .LBB192_201
; %bb.194:                              ;   in Loop: Header=BB192_145 Depth=1
	v_mul_f64 v[9:10], v[35:36], v[35:36]
	s_mov_b32 s6, 0x66666666
	s_mov_b32 s7, 0x3fe66666
                                        ; implicit-def: $vgpr31_vgpr32
	s_mov_b32 s5, exec_lo
	s_delay_alu instid0(VALU_DEP_1) | instskip(NEXT) | instid1(VALU_DEP_1)
	v_fma_f64 v[33:34], v[37:38], v[37:38], v[9:10]
                                        ; implicit-def: $vgpr9_vgpr10
	v_cmpx_ge_f64_e32 s[6:7], v[33:34]
	s_xor_b32 s7, exec_lo, s5
	s_cbranch_execz .LBB192_196
; %bb.195:                              ;   in Loop: Header=BB192_145 Depth=1
	v_frexp_mant_f64_e32 v[9:10], v[33:34]
	v_max_f64 v[41:42], |v[1:2]|, |v[1:2]|
	s_mov_b32 s99, s25
	v_frexp_exp_i32_f64_e32 v11, v[33:34]
	s_mov_b32 s14, s86
	v_cmp_class_f64_e64 s8, v[3:4], 0x204
	v_cmp_class_f64_e64 s9, v[1:2], 0x204
	v_cmp_neq_f64_e64 s6, 0, v[33:34]
	v_cmp_gt_f64_e64 s5, s[24:25], v[9:10]
	s_delay_alu instid0(VALU_DEP_1) | instskip(NEXT) | instid1(VALU_DEP_1)
	v_cndmask_b32_e64 v18, 0x3ff00000, 2.0, s5
	v_mul_f64 v[9:10], v[9:10], v[17:18]
	s_delay_alu instid0(VALU_DEP_1) | instskip(SKIP_1) | instid1(VALU_DEP_2)
	v_add_f64 v[31:32], v[9:10], 1.0
	v_add_f64 v[39:40], v[9:10], -1.0
	v_rcp_f64_e32 v[35:36], v[31:32]
	s_waitcnt_depctr 0xfff
	v_fma_f64 v[37:38], -v[31:32], v[35:36], 1.0
	s_delay_alu instid0(VALU_DEP_1) | instskip(NEXT) | instid1(VALU_DEP_1)
	v_fma_f64 v[35:36], v[37:38], v[35:36], v[35:36]
	v_fma_f64 v[37:38], -v[31:32], v[35:36], 1.0
	s_delay_alu instid0(VALU_DEP_1) | instskip(SKIP_1) | instid1(VALU_DEP_2)
	v_fma_f64 v[35:36], v[37:38], v[35:36], v[35:36]
	v_max_f64 v[37:38], |v[3:4]|, |v[3:4]|
	v_mul_f64 v[43:44], v[39:40], v[35:36]
	s_delay_alu instid0(VALU_DEP_2) | instskip(SKIP_2) | instid1(VALU_DEP_4)
	v_max_f64 v[45:46], v[41:42], v[37:38]
	v_min_f64 v[37:38], v[41:42], v[37:38]
	v_add_f64 v[41:42], v[31:32], -1.0
	v_mul_f64 v[47:48], v[31:32], v[43:44]
	s_delay_alu instid0(VALU_DEP_3) | instskip(NEXT) | instid1(VALU_DEP_3)
	v_div_scale_f64 v[49:50], null, v[45:46], v[45:46], v[37:38]
	v_add_f64 v[9:10], v[9:10], -v[41:42]
	v_div_scale_f64 v[55:56], vcc_lo, v[37:38], v[45:46], v[37:38]
	s_delay_alu instid0(VALU_DEP_4) | instskip(NEXT) | instid1(VALU_DEP_4)
	v_fma_f64 v[31:32], v[43:44], v[31:32], -v[47:48]
	v_rcp_f64_e32 v[41:42], v[49:50]
	s_delay_alu instid0(VALU_DEP_1) | instskip(SKIP_3) | instid1(VALU_DEP_2)
	v_fma_f64 v[9:10], v[43:44], v[9:10], v[31:32]
	s_waitcnt_depctr 0xfff
	v_fma_f64 v[31:32], -v[49:50], v[41:42], 1.0
	v_add_f64 v[51:52], v[47:48], v[9:10]
	v_fma_f64 v[31:32], v[41:42], v[31:32], v[41:42]
	s_delay_alu instid0(VALU_DEP_2) | instskip(SKIP_1) | instid1(VALU_DEP_3)
	v_add_f64 v[41:42], v[39:40], -v[51:52]
	v_add_f64 v[47:48], v[51:52], -v[47:48]
	v_fma_f64 v[53:54], -v[49:50], v[31:32], 1.0
	s_delay_alu instid0(VALU_DEP_3) | instskip(NEXT) | instid1(VALU_DEP_3)
	v_add_f64 v[39:40], v[39:40], -v[41:42]
	v_add_f64 v[9:10], v[47:48], -v[9:10]
	s_delay_alu instid0(VALU_DEP_3) | instskip(NEXT) | instid1(VALU_DEP_3)
	v_fma_f64 v[31:32], v[31:32], v[53:54], v[31:32]
	v_add_f64 v[39:40], v[39:40], -v[51:52]
	s_delay_alu instid0(VALU_DEP_2) | instskip(NEXT) | instid1(VALU_DEP_2)
	v_mul_f64 v[47:48], v[55:56], v[31:32]
	v_add_f64 v[9:10], v[9:10], v[39:40]
	s_delay_alu instid0(VALU_DEP_2) | instskip(NEXT) | instid1(VALU_DEP_2)
	v_fma_f64 v[39:40], -v[49:50], v[47:48], v[55:56]
	v_add_f64 v[9:10], v[41:42], v[9:10]
	s_delay_alu instid0(VALU_DEP_2)
	v_div_fmas_f64 v[31:32], v[39:40], v[31:32], v[47:48]
	v_subrev_co_ci_u32_e64 v11, vcc_lo, 0, v11, s5
	v_cmp_eq_f64_e64 s5, 0, v[3:4]
	v_cmp_gt_i32_e32 vcc_lo, 0, v2
	v_cndmask_b32_e32 v18, 0x54442d18, v59, vcc_lo
	v_mul_f64 v[9:10], v[35:36], v[9:10]
	v_div_fixup_f64 v[31:32], v[31:32], v[45:46], v[37:38]
	s_delay_alu instid0(VALU_DEP_2) | instskip(NEXT) | instid1(VALU_DEP_2)
	v_add_f64 v[35:36], v[43:44], v[9:10]
	v_mul_f64 v[37:38], v[31:32], v[31:32]
	s_delay_alu instid0(VALU_DEP_2) | instskip(NEXT) | instid1(VALU_DEP_2)
	v_mul_f64 v[39:40], v[35:36], v[35:36]
	v_fma_f64 v[41:42], v[37:38], s[48:49], s[46:47]
	s_delay_alu instid0(VALU_DEP_2) | instskip(SKIP_1) | instid1(VALU_DEP_3)
	v_fma_f64 v[45:46], v[39:40], s[28:29], s[26:27]
	v_mul_f64 v[47:48], v[35:36], v[39:40]
	v_fma_f64 v[41:42], v[37:38], v[41:42], s[50:51]
	s_delay_alu instid0(VALU_DEP_3) | instskip(NEXT) | instid1(VALU_DEP_2)
	v_fma_f64 v[45:46], v[39:40], v[45:46], s[34:35]
	v_fma_f64 v[41:42], v[37:38], v[41:42], s[52:53]
	s_delay_alu instid0(VALU_DEP_2) | instskip(NEXT) | instid1(VALU_DEP_2)
	v_fma_f64 v[45:46], v[39:40], v[45:46], s[36:37]
	v_fma_f64 v[41:42], v[37:38], v[41:42], s[54:55]
	s_delay_alu instid0(VALU_DEP_2) | instskip(NEXT) | instid1(VALU_DEP_2)
	;; [unrolled: 3-line block ×3, first 2 shown]
	v_fma_f64 v[45:46], v[39:40], v[45:46], s[40:41]
	v_fma_f64 v[41:42], v[37:38], v[41:42], s[58:59]
	s_delay_alu instid0(VALU_DEP_2) | instskip(SKIP_2) | instid1(VALU_DEP_4)
	v_fma_f64 v[39:40], v[39:40], v[45:46], s[98:99]
	v_ldexp_f64 v[45:46], v[35:36], 1
	v_add_f64 v[35:36], v[35:36], -v[43:44]
	v_fma_f64 v[41:42], v[37:38], v[41:42], s[60:61]
	s_delay_alu instid0(VALU_DEP_4) | instskip(SKIP_1) | instid1(VALU_DEP_4)
	v_mul_f64 v[39:40], v[47:48], v[39:40]
	v_cvt_f64_i32_e32 v[47:48], v11
	v_add_f64 v[9:10], v[9:10], -v[35:36]
	v_ashrrev_i32_e32 v11, 31, v2
	v_fma_f64 v[41:42], v[37:38], v[41:42], s[62:63]
	v_add_f64 v[43:44], v[45:46], v[39:40]
	v_mul_f64 v[49:50], v[47:48], s[42:43]
	v_ldexp_f64 v[9:10], v[9:10], 1
	s_delay_alu instid0(VALU_DEP_4) | instskip(NEXT) | instid1(VALU_DEP_4)
	v_fma_f64 v[41:42], v[37:38], v[41:42], s[64:65]
	v_add_f64 v[35:36], v[43:44], -v[45:46]
	s_delay_alu instid0(VALU_DEP_4) | instskip(NEXT) | instid1(VALU_DEP_3)
	v_fma_f64 v[45:46], v[47:48], s[42:43], -v[49:50]
	v_fma_f64 v[41:42], v[37:38], v[41:42], s[66:67]
	s_delay_alu instid0(VALU_DEP_3) | instskip(NEXT) | instid1(VALU_DEP_2)
	v_add_f64 v[35:36], v[39:40], -v[35:36]
	v_fma_f64 v[39:40], v[37:38], v[41:42], s[68:69]
	s_delay_alu instid0(VALU_DEP_4) | instskip(NEXT) | instid1(VALU_DEP_3)
	v_fma_f64 v[41:42], v[47:48], s[44:45], v[45:46]
	v_add_f64 v[9:10], v[9:10], v[35:36]
	s_delay_alu instid0(VALU_DEP_3) | instskip(NEXT) | instid1(VALU_DEP_3)
	v_fma_f64 v[35:36], v[37:38], v[39:40], s[70:71]
	v_add_f64 v[39:40], v[49:50], v[41:42]
	s_delay_alu instid0(VALU_DEP_3) | instskip(NEXT) | instid1(VALU_DEP_3)
	v_add_f64 v[45:46], v[43:44], v[9:10]
	v_fma_f64 v[35:36], v[37:38], v[35:36], s[72:73]
	s_delay_alu instid0(VALU_DEP_3) | instskip(NEXT) | instid1(VALU_DEP_3)
	v_add_f64 v[49:50], v[39:40], -v[49:50]
	v_add_f64 v[47:48], v[39:40], v[45:46]
	v_add_f64 v[43:44], v[45:46], -v[43:44]
	s_delay_alu instid0(VALU_DEP_4) | instskip(NEXT) | instid1(VALU_DEP_4)
	v_fma_f64 v[35:36], v[37:38], v[35:36], s[74:75]
	v_add_f64 v[41:42], v[41:42], -v[49:50]
	s_delay_alu instid0(VALU_DEP_4) | instskip(NEXT) | instid1(VALU_DEP_4)
	v_add_f64 v[51:52], v[47:48], -v[39:40]
	v_add_f64 v[9:10], v[9:10], -v[43:44]
	s_delay_alu instid0(VALU_DEP_4) | instskip(NEXT) | instid1(VALU_DEP_3)
	v_fma_f64 v[35:36], v[37:38], v[35:36], s[76:77]
	v_add_f64 v[53:54], v[47:48], -v[51:52]
	v_add_f64 v[43:44], v[45:46], -v[51:52]
	s_delay_alu instid0(VALU_DEP_4) | instskip(NEXT) | instid1(VALU_DEP_4)
	v_add_f64 v[45:46], v[41:42], v[9:10]
	v_fma_f64 v[35:36], v[37:38], v[35:36], s[78:79]
	s_delay_alu instid0(VALU_DEP_4) | instskip(NEXT) | instid1(VALU_DEP_2)
	v_add_f64 v[39:40], v[39:40], -v[53:54]
	v_fma_f64 v[35:36], v[37:38], v[35:36], s[80:81]
	s_delay_alu instid0(VALU_DEP_2) | instskip(SKIP_1) | instid1(VALU_DEP_3)
	v_add_f64 v[39:40], v[43:44], v[39:40]
	v_add_f64 v[43:44], v[45:46], -v[41:42]
	v_fma_f64 v[35:36], v[37:38], v[35:36], s[82:83]
	s_delay_alu instid0(VALU_DEP_3) | instskip(NEXT) | instid1(VALU_DEP_3)
	v_add_f64 v[39:40], v[45:46], v[39:40]
	v_add_f64 v[45:46], v[45:46], -v[43:44]
	v_add_f64 v[9:10], v[9:10], -v[43:44]
	s_delay_alu instid0(VALU_DEP_4) | instskip(NEXT) | instid1(VALU_DEP_4)
	v_fma_f64 v[35:36], v[37:38], v[35:36], s[84:85]
	v_add_f64 v[49:50], v[47:48], v[39:40]
	s_delay_alu instid0(VALU_DEP_2) | instskip(SKIP_1) | instid1(VALU_DEP_3)
	v_mul_f64 v[35:36], v[37:38], v[35:36]
	v_add_f64 v[37:38], v[41:42], -v[45:46]
	v_add_f64 v[41:42], v[49:50], -v[47:48]
	s_delay_alu instid0(VALU_DEP_3) | instskip(NEXT) | instid1(VALU_DEP_3)
	v_fma_f64 v[31:32], v[31:32], v[35:36], v[31:32]
	v_add_f64 v[9:10], v[9:10], v[37:38]
	s_delay_alu instid0(VALU_DEP_3) | instskip(NEXT) | instid1(VALU_DEP_3)
	v_add_f64 v[35:36], v[39:40], -v[41:42]
	v_add_f64 v[37:38], -v[31:32], s[86:87]
	s_delay_alu instid0(VALU_DEP_2) | instskip(NEXT) | instid1(VALU_DEP_2)
	v_add_f64 v[9:10], v[9:10], v[35:36]
	v_cndmask_b32_e64 v32, v32, v38, s4
	s_delay_alu instid0(VALU_DEP_3) | instskip(NEXT) | instid1(VALU_DEP_1)
	v_cndmask_b32_e64 v31, v31, v37, s4
	v_add_f64 v[35:36], -v[31:32], s[14:15]
	s_delay_alu instid0(VALU_DEP_4) | instskip(NEXT) | instid1(VALU_DEP_2)
	v_add_f64 v[9:10], v[49:50], v[9:10]
	v_cndmask_b32_e32 v31, v31, v35, vcc_lo
	s_delay_alu instid0(VALU_DEP_2) | instskip(SKIP_2) | instid1(VALU_DEP_2)
	v_mul_f64 v[1:2], v[9:10], 0.5
	v_cndmask_b32_e32 v9, 0x3fe921fb, v60, vcc_lo
	v_and_b32_e32 v10, 0x400921fb, v11
	v_bfi_b32 v9, 0x7fffffff, v9, v4
	v_and_b32_e32 v37, 0x54442d18, v11
	v_cndmask_b32_e32 v11, v32, v36, vcc_lo
	s_and_b32 vcc_lo, s8, s9
                                        ; implicit-def: $vgpr35_vgpr36
	s_delay_alu instid0(VALU_DEP_1) | instskip(NEXT) | instid1(VALU_DEP_1)
	v_cndmask_b32_e64 v10, v11, v10, s5
	v_cndmask_b32_e32 v32, v10, v9, vcc_lo
	v_cndmask_b32_e64 v31, v31, v37, s5
                                        ; implicit-def: $vgpr37_vgpr38
	s_delay_alu instid0(VALU_DEP_1)
	v_cndmask_b32_e32 v31, v31, v18, vcc_lo
	v_cndmask_b32_e64 v10, 0xfff00000, v2, s6
	v_cndmask_b32_e64 v9, 0, v1, s6
.LBB192_196:                            ;   in Loop: Header=BB192_145 Depth=1
	s_and_not1_saveexec_b32 s90, s7
	s_cbranch_execz .LBB192_200
; %bb.197:                              ;   in Loop: Header=BB192_145 Depth=1
	v_dual_mov_b32 v31, v17 :: v_dual_and_b32 v18, 0x7ffffff8, v38
	v_and_b32_e32 v32, 0x7ffffff8, v36
	s_mov_b32 s91, 0
	s_delay_alu instid0(VALU_DEP_2) | instskip(SKIP_1) | instid1(VALU_DEP_3)
	v_add_f64 v[9:10], v[37:38], -v[17:18]
	v_mov_b32_e32 v37, v17
	v_add_f64 v[33:34], v[35:36], -v[31:32]
	v_mov_b32_e32 v39, v17
	v_add_f64 v[41:42], v[17:18], v[17:18]
	v_add_f64 v[49:50], v[31:32], v[31:32]
	v_mul_f64 v[35:36], v[31:32], v[31:32]
	v_and_b32_e32 v38, -8, v10
	v_and_b32_e32 v40, -8, v34
	s_delay_alu instid0(VALU_DEP_2) | instskip(SKIP_1) | instid1(VALU_DEP_3)
	v_add_f64 v[51:52], v[9:10], -v[37:38]
	v_add_f64 v[55:56], v[37:38], v[37:38]
	v_add_f64 v[53:54], v[33:34], -v[39:40]
	v_add_f64 v[57:58], v[39:40], v[39:40]
	v_mul_f64 v[9:10], v[17:18], v[17:18]
	v_mul_f64 v[47:48], v[41:42], v[37:38]
	;; [unrolled: 1-line block ×11, first 2 shown]
.LBB192_198:                            ;   Parent Loop BB192_145 Depth=1
                                        ; =>  This Inner Loop Header: Depth=2
	v_cmp_nlt_f64_e32 vcc_lo, v[9:10], v[35:36]
	v_dual_cndmask_b32 v54, v10, v36 :: v_dual_cndmask_b32 v53, v9, v35
	v_dual_cndmask_b32 v10, v36, v10 :: v_dual_cndmask_b32 v9, v35, v9
	s_delay_alu instid0(VALU_DEP_2) | instskip(NEXT) | instid1(VALU_DEP_1)
	v_cmp_nlt_f64_e64 s5, v[53:54], v[47:48]
	v_cndmask_b32_e64 v56, v54, v48, s5
	v_cndmask_b32_e64 v55, v53, v47, s5
	;; [unrolled: 1-line block ×4, first 2 shown]
	s_and_b32 s5, vcc_lo, s5
	s_delay_alu instid0(VALU_DEP_3) | instskip(NEXT) | instid1(VALU_DEP_1)
	v_cmp_nlt_f64_e64 s6, v[55:56], v[33:34]
	v_cndmask_b32_e64 v54, v56, v34, s6
	v_cndmask_b32_e64 v53, v55, v33, s6
	;; [unrolled: 1-line block ×4, first 2 shown]
	s_delay_alu instid0(VALU_DEP_3) | instskip(NEXT) | instid1(VALU_DEP_1)
	v_cmp_nlt_f64_e64 s7, v[53:54], v[45:46]
	v_cndmask_b32_e64 v56, v54, v46, s7
	v_cndmask_b32_e64 v55, v53, v45, s7
	;; [unrolled: 1-line block ×4, first 2 shown]
	s_and_b32 s6, s6, s7
	s_delay_alu instid0(VALU_DEP_3) | instskip(NEXT) | instid1(VALU_DEP_1)
	v_cmp_nlt_f64_e64 s8, v[55:56], v[31:32]
	v_cndmask_b32_e64 v54, v56, v32, s8
	v_cndmask_b32_e64 v53, v55, v31, s8
	;; [unrolled: 1-line block ×4, first 2 shown]
	s_delay_alu instid0(VALU_DEP_3) | instskip(NEXT) | instid1(VALU_DEP_1)
	v_cmp_nlt_f64_e64 s9, v[53:54], v[43:44]
	v_cndmask_b32_e64 v56, v54, v44, s9
	v_cndmask_b32_e64 v55, v53, v43, s9
	v_cndmask_b32_e64 v32, v44, v54, s9
	v_cndmask_b32_e64 v31, v43, v53, s9
	s_and_b32 s7, s8, s9
	s_delay_alu instid0(VALU_DEP_3) | instskip(NEXT) | instid1(VALU_DEP_1)
	v_cmp_nlt_f64_e64 s10, v[55:56], v[41:42]
	v_cndmask_b32_e64 v54, v56, v42, s10
	v_cndmask_b32_e64 v53, v55, v41, s10
	v_cndmask_b32_e64 v44, v42, v56, s10
	v_cndmask_b32_e64 v43, v41, v55, s10
	s_and_b32 s7, s7, s10
	;; [unrolled: 7-line block ×4, first 2 shown]
	s_delay_alu instid0(VALU_DEP_3) | instskip(NEXT) | instid1(VALU_DEP_1)
	v_cmp_nlt_f64_e64 s13, v[53:54], v[49:50]
	v_cndmask_b32_e64 v56, v54, v50, s13
	v_cndmask_b32_e64 v55, v53, v49, s13
	s_and_b32 s7, s7, s13
	v_cndmask_b32_e64 v38, v50, v54, s13
	v_cndmask_b32_e64 v37, v49, v53, s13
	s_delay_alu instid0(VALU_DEP_3) | instskip(NEXT) | instid1(VALU_DEP_1)
	v_cmp_nlt_f64_e64 s14, v[55:56], v[51:52]
	v_cndmask_b32_e64 v54, v56, v52, s14
	v_cndmask_b32_e64 v53, v55, v51, s14
	s_and_b32 s7, s7, s14
	v_cndmask_b32_e64 v50, v52, v56, s14
	s_and_b32 s6, s7, s6
	;; [unrolled: 2-line block ×3, first 2 shown]
	v_dual_mov_b32 v51, v53 :: v_dual_mov_b32 v52, v54
	s_and_b32 s5, exec_lo, s5
	s_delay_alu instid0(SALU_CYCLE_1) | instskip(NEXT) | instid1(SALU_CYCLE_1)
	s_or_b32 s91, s5, s91
	s_and_not1_b32 exec_lo, exec_lo, s91
	s_cbranch_execnz .LBB192_198
; %bb.199:                              ;   in Loop: Header=BB192_145 Depth=1
	s_or_b32 exec_lo, exec_lo, s91
	v_add_f64 v[9:10], v[9:10], -1.0
	s_mov_b32 s99, s25
	s_mov_b32 s14, s86
	v_cmp_gt_i32_e64 s5, 0, v2
	v_cmp_class_f64_e64 s7, v[1:2], 0x204
	v_cmp_class_f64_e64 s6, v[3:4], 0x204
	s_mov_b32 s12, 0x4ad4b81f
	s_mov_b32 s13, 0x358dee7a
	s_delay_alu instid0(VALU_DEP_4) | instskip(NEXT) | instid1(VALU_DEP_1)
	v_add_f64 v[9:10], v[9:10], v[35:36]
	v_add_f64 v[9:10], v[9:10], v[47:48]
	s_delay_alu instid0(VALU_DEP_1) | instskip(NEXT) | instid1(VALU_DEP_1)
	v_add_f64 v[9:10], v[9:10], v[33:34]
	v_add_f64 v[9:10], v[9:10], v[45:46]
	s_delay_alu instid0(VALU_DEP_1) | instskip(NEXT) | instid1(VALU_DEP_1)
	;; [unrolled: 3-line block ×5, first 2 shown]
	v_add_f64 v[10:11], v[53:54], v[9:10]
	v_add_f64 v[31:32], v[10:11], 1.0
	s_delay_alu instid0(VALU_DEP_1) | instskip(SKIP_2) | instid1(VALU_DEP_3)
	v_frexp_mant_f64_e32 v[33:34], v[31:32]
	v_frexp_exp_i32_f64_e32 v9, v[31:32]
	v_add_f64 v[35:36], v[31:32], -1.0
	v_cmp_gt_f64_e32 vcc_lo, s[24:25], v[33:34]
	s_delay_alu instid0(VALU_DEP_2) | instskip(SKIP_2) | instid1(VALU_DEP_3)
	v_add_f64 v[33:34], v[35:36], -v[31:32]
	v_add_f64 v[35:36], v[10:11], -v[35:36]
	v_subrev_co_ci_u32_e32 v9, vcc_lo, 0, v9, vcc_lo
	v_add_f64 v[33:34], v[33:34], 1.0
	s_delay_alu instid0(VALU_DEP_2) | instskip(NEXT) | instid1(VALU_DEP_1)
	v_sub_nc_u32_e32 v18, 0, v9
	v_ldexp_f64 v[31:32], v[31:32], v18
	s_delay_alu instid0(VALU_DEP_3) | instskip(NEXT) | instid1(VALU_DEP_2)
	v_add_f64 v[33:34], v[35:36], v[33:34]
	v_add_f64 v[37:38], v[31:32], 1.0
	v_add_f64 v[43:44], v[31:32], -1.0
	s_delay_alu instid0(VALU_DEP_3) | instskip(SKIP_1) | instid1(VALU_DEP_4)
	v_ldexp_f64 v[33:34], v[33:34], v18
	v_cndmask_b32_e64 v18, 0x54442d18, v59, s5
	v_add_f64 v[35:36], v[37:38], -1.0
	s_delay_alu instid0(VALU_DEP_4) | instskip(NEXT) | instid1(VALU_DEP_2)
	v_add_f64 v[45:46], v[43:44], 1.0
	v_add_f64 v[35:36], v[31:32], -v[35:36]
	s_delay_alu instid0(VALU_DEP_2) | instskip(NEXT) | instid1(VALU_DEP_2)
	v_add_f64 v[31:32], v[31:32], -v[45:46]
	v_add_f64 v[35:36], v[33:34], v[35:36]
	s_delay_alu instid0(VALU_DEP_2) | instskip(NEXT) | instid1(VALU_DEP_2)
	v_add_f64 v[31:32], v[33:34], v[31:32]
	v_add_f64 v[39:40], v[37:38], v[35:36]
	s_delay_alu instid0(VALU_DEP_2) | instskip(NEXT) | instid1(VALU_DEP_2)
	v_add_f64 v[45:46], v[43:44], v[31:32]
	v_rcp_f64_e32 v[41:42], v[39:40]
	v_add_f64 v[37:38], v[39:40], -v[37:38]
	s_delay_alu instid0(VALU_DEP_2) | instskip(NEXT) | instid1(VALU_DEP_2)
	v_add_f64 v[43:44], v[45:46], -v[43:44]
	v_add_f64 v[35:36], v[35:36], -v[37:38]
	s_waitcnt_depctr 0xfff
	v_fma_f64 v[47:48], -v[39:40], v[41:42], 1.0
	v_add_f64 v[31:32], v[31:32], -v[43:44]
	s_delay_alu instid0(VALU_DEP_2) | instskip(NEXT) | instid1(VALU_DEP_1)
	v_fma_f64 v[41:42], v[47:48], v[41:42], v[41:42]
	v_fma_f64 v[33:34], -v[39:40], v[41:42], 1.0
	s_delay_alu instid0(VALU_DEP_1) | instskip(NEXT) | instid1(VALU_DEP_1)
	v_fma_f64 v[33:34], v[33:34], v[41:42], v[41:42]
	v_mul_f64 v[41:42], v[45:46], v[33:34]
	s_delay_alu instid0(VALU_DEP_1) | instskip(NEXT) | instid1(VALU_DEP_1)
	v_mul_f64 v[47:48], v[39:40], v[41:42]
	v_fma_f64 v[37:38], v[41:42], v[39:40], -v[47:48]
	s_delay_alu instid0(VALU_DEP_1) | instskip(NEXT) | instid1(VALU_DEP_1)
	v_fma_f64 v[37:38], v[41:42], v[35:36], v[37:38]
	v_add_f64 v[49:50], v[47:48], v[37:38]
	s_delay_alu instid0(VALU_DEP_1) | instskip(SKIP_2) | instid1(VALU_DEP_3)
	v_add_f64 v[51:52], v[45:46], -v[49:50]
	v_add_f64 v[43:44], v[49:50], -v[47:48]
	v_max_f64 v[47:48], |v[3:4]|, |v[3:4]|
	v_add_f64 v[45:46], v[45:46], -v[51:52]
	s_delay_alu instid0(VALU_DEP_3) | instskip(NEXT) | instid1(VALU_DEP_2)
	v_add_f64 v[37:38], v[43:44], -v[37:38]
	v_add_f64 v[45:46], v[45:46], -v[49:50]
	v_max_f64 v[49:50], |v[1:2]|, |v[1:2]|
	v_cndmask_b32_e64 v1, 0x3fe921fb, v60, s5
	s_delay_alu instid0(VALU_DEP_1) | instskip(NEXT) | instid1(VALU_DEP_4)
	v_bfi_b32 v1, 0x7fffffff, v1, v4
	v_add_f64 v[31:32], v[31:32], v[45:46]
	s_delay_alu instid0(VALU_DEP_4) | instskip(SKIP_1) | instid1(VALU_DEP_3)
	v_max_f64 v[53:54], v[49:50], v[47:48]
	v_min_f64 v[47:48], v[49:50], v[47:48]
	v_add_f64 v[31:32], v[37:38], v[31:32]
	s_delay_alu instid0(VALU_DEP_1) | instskip(NEXT) | instid1(VALU_DEP_1)
	v_add_f64 v[37:38], v[51:52], v[31:32]
	v_mul_f64 v[43:44], v[33:34], v[37:38]
	v_add_f64 v[51:52], v[51:52], -v[37:38]
	s_delay_alu instid0(VALU_DEP_2) | instskip(NEXT) | instid1(VALU_DEP_2)
	v_mul_f64 v[45:46], v[39:40], v[43:44]
	v_add_f64 v[31:32], v[31:32], v[51:52]
	s_delay_alu instid0(VALU_DEP_2) | instskip(NEXT) | instid1(VALU_DEP_1)
	v_fma_f64 v[39:40], v[43:44], v[39:40], -v[45:46]
	v_fma_f64 v[35:36], v[43:44], v[35:36], v[39:40]
	v_div_scale_f64 v[39:40], null, v[53:54], v[53:54], v[47:48]
	s_delay_alu instid0(VALU_DEP_2) | instskip(NEXT) | instid1(VALU_DEP_2)
	v_add_f64 v[49:50], v[45:46], v[35:36]
	v_rcp_f64_e32 v[55:56], v[39:40]
	s_delay_alu instid0(VALU_DEP_1)
	v_add_f64 v[57:58], v[37:38], -v[49:50]
	v_add_f64 v[45:46], v[49:50], -v[45:46]
	s_waitcnt_depctr 0xfff
	v_fma_f64 v[61:62], -v[39:40], v[55:56], 1.0
	v_add_f64 v[37:38], v[37:38], -v[57:58]
	v_add_f64 v[35:36], v[45:46], -v[35:36]
	s_delay_alu instid0(VALU_DEP_3) | instskip(NEXT) | instid1(VALU_DEP_3)
	v_fma_f64 v[55:56], v[55:56], v[61:62], v[55:56]
	v_add_f64 v[37:38], v[37:38], -v[49:50]
	s_delay_alu instid0(VALU_DEP_2) | instskip(NEXT) | instid1(VALU_DEP_2)
	v_fma_f64 v[49:50], -v[39:40], v[55:56], 1.0
	v_add_f64 v[31:32], v[31:32], v[37:38]
	v_div_scale_f64 v[37:38], vcc_lo, v[47:48], v[53:54], v[47:48]
	s_delay_alu instid0(VALU_DEP_3) | instskip(SKIP_1) | instid1(VALU_DEP_4)
	v_fma_f64 v[45:46], v[55:56], v[49:50], v[55:56]
	v_add_f64 v[49:50], v[41:42], v[43:44]
	v_add_f64 v[31:32], v[35:36], v[31:32]
	s_delay_alu instid0(VALU_DEP_3) | instskip(NEXT) | instid1(VALU_DEP_3)
	v_mul_f64 v[35:36], v[37:38], v[45:46]
	v_add_f64 v[41:42], v[49:50], -v[41:42]
	s_delay_alu instid0(VALU_DEP_3) | instskip(NEXT) | instid1(VALU_DEP_3)
	v_add_f64 v[31:32], v[57:58], v[31:32]
	v_fma_f64 v[37:38], -v[39:40], v[35:36], v[37:38]
	s_delay_alu instid0(VALU_DEP_3) | instskip(NEXT) | instid1(VALU_DEP_3)
	v_add_f64 v[39:40], v[43:44], -v[41:42]
	v_mul_f64 v[31:32], v[33:34], v[31:32]
	s_delay_alu instid0(VALU_DEP_3) | instskip(SKIP_1) | instid1(VALU_DEP_3)
	v_div_fmas_f64 v[33:34], v[37:38], v[45:46], v[35:36]
	v_cmp_eq_f64_e32 vcc_lo, 0x7ff00000, v[10:11]
	v_add_f64 v[31:32], v[39:40], v[31:32]
	s_delay_alu instid0(VALU_DEP_3) | instskip(NEXT) | instid1(VALU_DEP_2)
	v_div_fixup_f64 v[33:34], v[33:34], v[53:54], v[47:48]
	v_add_f64 v[35:36], v[49:50], v[31:32]
	s_delay_alu instid0(VALU_DEP_2) | instskip(NEXT) | instid1(VALU_DEP_2)
	v_mul_f64 v[37:38], v[33:34], v[33:34]
	v_mul_f64 v[39:40], v[35:36], v[35:36]
	s_delay_alu instid0(VALU_DEP_2) | instskip(NEXT) | instid1(VALU_DEP_2)
	v_fma_f64 v[41:42], v[37:38], s[48:49], s[46:47]
	v_fma_f64 v[43:44], v[39:40], s[28:29], s[26:27]
	v_mul_f64 v[45:46], v[35:36], v[39:40]
	s_delay_alu instid0(VALU_DEP_3) | instskip(NEXT) | instid1(VALU_DEP_3)
	v_fma_f64 v[41:42], v[37:38], v[41:42], s[50:51]
	v_fma_f64 v[43:44], v[39:40], v[43:44], s[34:35]
	s_delay_alu instid0(VALU_DEP_2) | instskip(NEXT) | instid1(VALU_DEP_2)
	v_fma_f64 v[41:42], v[37:38], v[41:42], s[52:53]
	v_fma_f64 v[43:44], v[39:40], v[43:44], s[36:37]
	s_delay_alu instid0(VALU_DEP_2) | instskip(NEXT) | instid1(VALU_DEP_2)
	;; [unrolled: 3-line block ×4, first 2 shown]
	v_fma_f64 v[41:42], v[37:38], v[41:42], s[58:59]
	v_fma_f64 v[39:40], v[39:40], v[43:44], s[98:99]
	v_ldexp_f64 v[43:44], v[35:36], 1
	v_add_f64 v[35:36], v[35:36], -v[49:50]
	s_delay_alu instid0(VALU_DEP_4) | instskip(NEXT) | instid1(VALU_DEP_4)
	v_fma_f64 v[41:42], v[37:38], v[41:42], s[60:61]
	v_mul_f64 v[39:40], v[45:46], v[39:40]
	v_cvt_f64_i32_e32 v[45:46], v9
	s_delay_alu instid0(VALU_DEP_4) | instskip(NEXT) | instid1(VALU_DEP_4)
	v_add_f64 v[31:32], v[31:32], -v[35:36]
	v_fma_f64 v[41:42], v[37:38], v[41:42], s[62:63]
	v_ashrrev_i32_e32 v9, 31, v2
	s_delay_alu instid0(VALU_DEP_1) | instskip(SKIP_4) | instid1(VALU_DEP_4)
	v_and_b32_e32 v2, 0x400921fb, v9
	v_add_f64 v[47:48], v[43:44], v[39:40]
	v_mul_f64 v[49:50], v[45:46], s[42:43]
	v_ldexp_f64 v[31:32], v[31:32], 1
	v_fma_f64 v[41:42], v[37:38], v[41:42], s[64:65]
	v_add_f64 v[35:36], v[47:48], -v[43:44]
	s_delay_alu instid0(VALU_DEP_4) | instskip(NEXT) | instid1(VALU_DEP_3)
	v_fma_f64 v[43:44], v[45:46], s[42:43], -v[49:50]
	v_fma_f64 v[41:42], v[37:38], v[41:42], s[66:67]
	s_delay_alu instid0(VALU_DEP_3) | instskip(NEXT) | instid1(VALU_DEP_2)
	v_add_f64 v[35:36], v[39:40], -v[35:36]
	v_fma_f64 v[39:40], v[37:38], v[41:42], s[68:69]
	s_delay_alu instid0(VALU_DEP_4) | instskip(NEXT) | instid1(VALU_DEP_3)
	v_fma_f64 v[41:42], v[45:46], s[44:45], v[43:44]
	v_add_f64 v[31:32], v[31:32], v[35:36]
	s_delay_alu instid0(VALU_DEP_3) | instskip(NEXT) | instid1(VALU_DEP_3)
	v_fma_f64 v[35:36], v[37:38], v[39:40], s[70:71]
	v_add_f64 v[39:40], v[49:50], v[41:42]
	s_delay_alu instid0(VALU_DEP_3) | instskip(NEXT) | instid1(VALU_DEP_3)
	v_add_f64 v[43:44], v[47:48], v[31:32]
	v_fma_f64 v[35:36], v[37:38], v[35:36], s[72:73]
	s_delay_alu instid0(VALU_DEP_3) | instskip(NEXT) | instid1(VALU_DEP_3)
	v_add_f64 v[49:50], v[39:40], -v[49:50]
	v_add_f64 v[45:46], v[39:40], v[43:44]
	v_add_f64 v[47:48], v[43:44], -v[47:48]
	s_delay_alu instid0(VALU_DEP_4) | instskip(NEXT) | instid1(VALU_DEP_4)
	v_fma_f64 v[35:36], v[37:38], v[35:36], s[74:75]
	v_add_f64 v[41:42], v[41:42], -v[49:50]
	s_delay_alu instid0(VALU_DEP_4) | instskip(NEXT) | instid1(VALU_DEP_4)
	v_add_f64 v[51:52], v[45:46], -v[39:40]
	v_add_f64 v[31:32], v[31:32], -v[47:48]
	s_delay_alu instid0(VALU_DEP_4) | instskip(NEXT) | instid1(VALU_DEP_3)
	v_fma_f64 v[35:36], v[37:38], v[35:36], s[76:77]
	v_add_f64 v[53:54], v[45:46], -v[51:52]
	v_add_f64 v[43:44], v[43:44], -v[51:52]
	s_delay_alu instid0(VALU_DEP_4) | instskip(NEXT) | instid1(VALU_DEP_4)
	v_add_f64 v[47:48], v[41:42], v[31:32]
	v_fma_f64 v[35:36], v[37:38], v[35:36], s[78:79]
	s_delay_alu instid0(VALU_DEP_4) | instskip(NEXT) | instid1(VALU_DEP_2)
	v_add_f64 v[39:40], v[39:40], -v[53:54]
	v_fma_f64 v[35:36], v[37:38], v[35:36], s[80:81]
	s_delay_alu instid0(VALU_DEP_2) | instskip(SKIP_1) | instid1(VALU_DEP_3)
	v_add_f64 v[39:40], v[43:44], v[39:40]
	v_add_f64 v[43:44], v[47:48], -v[41:42]
	v_fma_f64 v[35:36], v[37:38], v[35:36], s[82:83]
	s_delay_alu instid0(VALU_DEP_3) | instskip(NEXT) | instid1(VALU_DEP_3)
	v_add_f64 v[39:40], v[47:48], v[39:40]
	v_add_f64 v[47:48], v[47:48], -v[43:44]
	v_add_f64 v[31:32], v[31:32], -v[43:44]
	s_delay_alu instid0(VALU_DEP_4) | instskip(NEXT) | instid1(VALU_DEP_4)
	v_fma_f64 v[35:36], v[37:38], v[35:36], s[84:85]
	v_add_f64 v[49:50], v[45:46], v[39:40]
	s_delay_alu instid0(VALU_DEP_2) | instskip(SKIP_1) | instid1(VALU_DEP_3)
	v_mul_f64 v[35:36], v[37:38], v[35:36]
	v_add_f64 v[37:38], v[41:42], -v[47:48]
	v_add_f64 v[41:42], v[49:50], -v[45:46]
	s_delay_alu instid0(VALU_DEP_3) | instskip(NEXT) | instid1(VALU_DEP_3)
	v_fma_f64 v[33:34], v[33:34], v[35:36], v[33:34]
	v_add_f64 v[31:32], v[31:32], v[37:38]
	s_delay_alu instid0(VALU_DEP_3) | instskip(NEXT) | instid1(VALU_DEP_3)
	v_add_f64 v[35:36], v[39:40], -v[41:42]
	v_add_f64 v[37:38], -v[33:34], s[86:87]
	s_delay_alu instid0(VALU_DEP_2) | instskip(NEXT) | instid1(VALU_DEP_2)
	v_add_f64 v[31:32], v[31:32], v[35:36]
	v_cndmask_b32_e64 v34, v34, v38, s4
	s_delay_alu instid0(VALU_DEP_3) | instskip(NEXT) | instid1(VALU_DEP_1)
	v_cndmask_b32_e64 v33, v33, v37, s4
	v_add_f64 v[35:36], -v[33:34], s[14:15]
	s_delay_alu instid0(VALU_DEP_4) | instskip(SKIP_1) | instid1(VALU_DEP_3)
	v_add_f64 v[31:32], v[49:50], v[31:32]
	v_and_b32_e32 v37, 0x54442d18, v9
	v_cndmask_b32_e64 v33, v33, v35, s5
	s_delay_alu instid0(VALU_DEP_4) | instskip(SKIP_3) | instid1(VALU_DEP_2)
	v_cndmask_b32_e64 v9, v34, v36, s5
	v_cmp_nge_f64_e64 s5, -1.0, v[10:11]
	v_dual_cndmask_b32 v32, v32, v11 :: v_dual_cndmask_b32 v31, v31, v10
	v_cmp_eq_f64_e32 vcc_lo, 0, v[3:4]
	v_mul_f64 v[31:32], v[31:32], 0.5
	v_cndmask_b32_e32 v33, v33, v37, vcc_lo
	v_cndmask_b32_e32 v2, v9, v2, vcc_lo
	v_cmp_ngt_f64_e32 vcc_lo, -1.0, v[10:11]
	s_delay_alu instid0(VALU_DEP_4) | instskip(SKIP_4) | instid1(VALU_DEP_2)
	v_cndmask_b32_e64 v9, 0, v31, s5
	v_cmp_neq_f64_e64 s5, -1.0, v[10:11]
	v_cndmask_b32_e32 v34, 0x7ff80000, v32, vcc_lo
	s_and_b32 vcc_lo, s6, s7
	v_dual_cndmask_b32 v32, v2, v1 :: v_dual_cndmask_b32 v31, v33, v18
	v_cndmask_b32_e64 v10, 0xfff00000, v34, s5
.LBB192_200:                            ;   in Loop: Header=BB192_145 Depth=1
	s_or_b32 exec_lo, exec_lo, s90
.LBB192_201:                            ;   in Loop: Header=BB192_145 Depth=1
	s_delay_alu instid0(SALU_CYCLE_1)
	s_or_b32 exec_lo, exec_lo, s23
.LBB192_202:                            ;   in Loop: Header=BB192_145 Depth=1
	s_and_not1_saveexec_b32 s7, s22
	s_cbranch_execz .LBB192_204
; %bb.203:                              ;   in Loop: Header=BB192_145 Depth=1
	v_max_f64 v[9:10], |v[3:4]|, |v[3:4]|
	v_max_f64 v[31:32], |v[1:2]|, |v[1:2]|
	v_cmp_class_f64_e64 s8, v[1:2], 0x204
	v_cmp_class_f64_e64 s9, v[3:4], 0x204
	s_mov_b32 s99, s25
	s_mov_b32 s14, s86
	v_cmp_eq_f64_e64 s6, 0, v[3:4]
	s_delay_alu instid0(VALU_DEP_4) | instskip(SKIP_1) | instid1(VALU_DEP_4)
	v_max_f64 v[33:34], v[31:32], v[9:10]
	v_min_f64 v[9:10], v[31:32], v[9:10]
	s_or_b32 s10, s9, s8
	s_delay_alu instid0(VALU_DEP_2) | instskip(NEXT) | instid1(VALU_DEP_1)
	v_frexp_exp_i32_f64_e32 v11, v[33:34]
	v_sub_nc_u32_e32 v18, 0, v11
	s_delay_alu instid0(VALU_DEP_1) | instskip(SKIP_1) | instid1(VALU_DEP_2)
	v_ldexp_f64 v[35:36], |v[3:4]|, v18
	v_ldexp_f64 v[37:38], |v[1:2]|, v18
	v_mul_f64 v[35:36], v[35:36], v[35:36]
	s_delay_alu instid0(VALU_DEP_1) | instskip(NEXT) | instid1(VALU_DEP_1)
	v_fma_f64 v[35:36], v[37:38], v[37:38], v[35:36]
	v_rsq_f64_e32 v[37:38], v[35:36]
	v_cmp_eq_f64_e32 vcc_lo, 0, v[35:36]
	s_waitcnt_depctr 0xfff
	v_mul_f64 v[39:40], v[35:36], v[37:38]
	v_mul_f64 v[37:38], v[37:38], 0.5
	s_delay_alu instid0(VALU_DEP_1) | instskip(NEXT) | instid1(VALU_DEP_1)
	v_fma_f64 v[41:42], -v[37:38], v[39:40], 0.5
	v_fma_f64 v[39:40], v[39:40], v[41:42], v[39:40]
	v_fma_f64 v[37:38], v[37:38], v[41:42], v[37:38]
	s_delay_alu instid0(VALU_DEP_2) | instskip(NEXT) | instid1(VALU_DEP_1)
	v_fma_f64 v[41:42], -v[39:40], v[39:40], v[35:36]
	v_fma_f64 v[37:38], v[41:42], v[37:38], v[39:40]
	s_delay_alu instid0(VALU_DEP_1) | instskip(SKIP_1) | instid1(VALU_DEP_2)
	v_dual_cndmask_b32 v36, v38, v36 :: v_dual_cndmask_b32 v35, v37, v35
	v_div_scale_f64 v[57:58], vcc_lo, v[9:10], v[33:34], v[9:10]
	v_ldexp_f64 v[35:36], v[35:36], v11
	s_delay_alu instid0(VALU_DEP_1) | instskip(NEXT) | instid1(VALU_DEP_2)
	v_cndmask_b32_e64 v38, v36, 0x7ff00000, s10
	v_cndmask_b32_e64 v37, v35, 0, s10
	s_delay_alu instid0(VALU_DEP_1) | instskip(SKIP_1) | instid1(VALU_DEP_2)
	v_frexp_mant_f64_e32 v[39:40], v[37:38]
	v_frexp_exp_i32_f64_e32 v1, v[37:38]
	v_cmp_gt_f64_e64 s5, s[24:25], v[39:40]
	s_delay_alu instid0(VALU_DEP_1) | instskip(NEXT) | instid1(VALU_DEP_1)
	v_cndmask_b32_e64 v18, 0x3ff00000, 2.0, s5
	v_mul_f64 v[39:40], v[39:40], v[17:18]
	s_delay_alu instid0(VALU_DEP_1) | instskip(SKIP_1) | instid1(VALU_DEP_2)
	v_add_f64 v[41:42], v[39:40], 1.0
	v_add_f64 v[47:48], v[39:40], -1.0
	v_rcp_f64_e32 v[43:44], v[41:42]
	v_add_f64 v[49:50], v[41:42], -1.0
	s_delay_alu instid0(VALU_DEP_1) | instskip(SKIP_2) | instid1(VALU_DEP_1)
	v_add_f64 v[39:40], v[39:40], -v[49:50]
	s_waitcnt_depctr 0xfff
	v_fma_f64 v[45:46], -v[41:42], v[43:44], 1.0
	v_fma_f64 v[43:44], v[45:46], v[43:44], v[43:44]
	s_delay_alu instid0(VALU_DEP_1) | instskip(NEXT) | instid1(VALU_DEP_1)
	v_fma_f64 v[45:46], -v[41:42], v[43:44], 1.0
	v_fma_f64 v[43:44], v[45:46], v[43:44], v[43:44]
	v_div_scale_f64 v[45:46], null, v[33:34], v[33:34], v[9:10]
	s_delay_alu instid0(VALU_DEP_2) | instskip(NEXT) | instid1(VALU_DEP_2)
	v_mul_f64 v[31:32], v[47:48], v[43:44]
	v_rcp_f64_e32 v[53:54], v[45:46]
	s_delay_alu instid0(VALU_DEP_1) | instskip(SKIP_3) | instid1(VALU_DEP_1)
	v_mul_f64 v[51:52], v[41:42], v[31:32]
	s_waitcnt_depctr 0xfff
	v_fma_f64 v[49:50], -v[45:46], v[53:54], 1.0
	v_fma_f64 v[41:42], v[31:32], v[41:42], -v[51:52]
	v_fma_f64 v[39:40], v[31:32], v[39:40], v[41:42]
	s_delay_alu instid0(VALU_DEP_3) | instskip(NEXT) | instid1(VALU_DEP_2)
	v_fma_f64 v[41:42], v[53:54], v[49:50], v[53:54]
	v_add_f64 v[49:50], v[51:52], v[39:40]
	s_delay_alu instid0(VALU_DEP_2) | instskip(NEXT) | instid1(VALU_DEP_2)
	v_fma_f64 v[53:54], -v[45:46], v[41:42], 1.0
	v_add_f64 v[55:56], v[47:48], -v[49:50]
	s_delay_alu instid0(VALU_DEP_2) | instskip(SKIP_1) | instid1(VALU_DEP_3)
	v_fma_f64 v[41:42], v[41:42], v[53:54], v[41:42]
	v_add_f64 v[51:52], v[49:50], -v[51:52]
	v_add_f64 v[47:48], v[47:48], -v[55:56]
	s_delay_alu instid0(VALU_DEP_3) | instskip(NEXT) | instid1(VALU_DEP_3)
	v_mul_f64 v[53:54], v[57:58], v[41:42]
	v_add_f64 v[39:40], v[51:52], -v[39:40]
	s_delay_alu instid0(VALU_DEP_3) | instskip(NEXT) | instid1(VALU_DEP_3)
	v_add_f64 v[47:48], v[47:48], -v[49:50]
	v_fma_f64 v[45:46], -v[45:46], v[53:54], v[57:58]
	s_delay_alu instid0(VALU_DEP_2) | instskip(NEXT) | instid1(VALU_DEP_2)
	v_add_f64 v[39:40], v[39:40], v[47:48]
	v_div_fmas_f64 v[41:42], v[45:46], v[41:42], v[53:54]
	v_subrev_co_ci_u32_e64 v1, vcc_lo, 0, v1, s5
	v_cmp_class_f64_e64 s5, v[35:36], 0x204
	v_cmp_gt_i32_e32 vcc_lo, 0, v2
	v_cndmask_b32_e32 v18, 0x3fe921fb, v60, vcc_lo
	s_delay_alu instid0(VALU_DEP_1) | instskip(SKIP_2) | instid1(VALU_DEP_2)
	v_bfi_b32 v18, 0x7fffffff, v18, v4
	v_add_f64 v[39:40], v[55:56], v[39:40]
	v_div_fixup_f64 v[9:10], v[41:42], v[33:34], v[9:10]
	v_mul_f64 v[33:34], v[43:44], v[39:40]
	s_delay_alu instid0(VALU_DEP_2) | instskip(NEXT) | instid1(VALU_DEP_2)
	v_mul_f64 v[39:40], v[9:10], v[9:10]
	v_add_f64 v[41:42], v[31:32], v[33:34]
	s_delay_alu instid0(VALU_DEP_2) | instskip(NEXT) | instid1(VALU_DEP_2)
	v_fma_f64 v[43:44], v[39:40], s[48:49], s[46:47]
	v_mul_f64 v[45:46], v[41:42], v[41:42]
	s_delay_alu instid0(VALU_DEP_2) | instskip(SKIP_1) | instid1(VALU_DEP_3)
	v_fma_f64 v[43:44], v[39:40], v[43:44], s[50:51]
	v_add_f64 v[31:32], v[41:42], -v[31:32]
	v_fma_f64 v[47:48], v[45:46], s[28:29], s[26:27]
	s_delay_alu instid0(VALU_DEP_3) | instskip(SKIP_1) | instid1(VALU_DEP_4)
	v_fma_f64 v[43:44], v[39:40], v[43:44], s[52:53]
	v_mul_f64 v[49:50], v[41:42], v[45:46]
	v_add_f64 v[31:32], v[33:34], -v[31:32]
	s_delay_alu instid0(VALU_DEP_4) | instskip(NEXT) | instid1(VALU_DEP_4)
	v_fma_f64 v[47:48], v[45:46], v[47:48], s[34:35]
	v_fma_f64 v[43:44], v[39:40], v[43:44], s[54:55]
	s_delay_alu instid0(VALU_DEP_3) | instskip(NEXT) | instid1(VALU_DEP_3)
	v_ldexp_f64 v[31:32], v[31:32], 1
	v_fma_f64 v[47:48], v[45:46], v[47:48], s[36:37]
	s_delay_alu instid0(VALU_DEP_3) | instskip(NEXT) | instid1(VALU_DEP_2)
	v_fma_f64 v[43:44], v[39:40], v[43:44], s[56:57]
	v_fma_f64 v[47:48], v[45:46], v[47:48], s[38:39]
	s_delay_alu instid0(VALU_DEP_2) | instskip(NEXT) | instid1(VALU_DEP_2)
	v_fma_f64 v[43:44], v[39:40], v[43:44], s[58:59]
	v_fma_f64 v[47:48], v[45:46], v[47:48], s[40:41]
	s_delay_alu instid0(VALU_DEP_2) | instskip(NEXT) | instid1(VALU_DEP_2)
	v_fma_f64 v[43:44], v[39:40], v[43:44], s[60:61]
	v_fma_f64 v[45:46], v[45:46], v[47:48], s[98:99]
	s_delay_alu instid0(VALU_DEP_2) | instskip(SKIP_1) | instid1(VALU_DEP_3)
	v_fma_f64 v[43:44], v[39:40], v[43:44], s[62:63]
	v_ldexp_f64 v[47:48], v[41:42], 1
	v_mul_f64 v[45:46], v[49:50], v[45:46]
	s_delay_alu instid0(VALU_DEP_3) | instskip(SKIP_2) | instid1(VALU_DEP_1)
	v_fma_f64 v[43:44], v[39:40], v[43:44], s[64:65]
	v_cvt_f64_i32_e32 v[49:50], v1
	v_ashrrev_i32_e32 v1, 31, v2
	v_dual_cndmask_b32 v2, 0x54442d18, v59 :: v_dual_and_b32 v11, 0x54442d18, v1
	v_and_b32_e32 v1, 0x400921fb, v1
	v_add_f64 v[41:42], v[47:48], v[45:46]
	v_fma_f64 v[43:44], v[39:40], v[43:44], s[66:67]
	v_mul_f64 v[51:52], v[49:50], s[42:43]
	s_delay_alu instid0(VALU_DEP_3) | instskip(NEXT) | instid1(VALU_DEP_3)
	v_add_f64 v[33:34], v[41:42], -v[47:48]
	v_fma_f64 v[43:44], v[39:40], v[43:44], s[68:69]
	s_delay_alu instid0(VALU_DEP_3) | instskip(NEXT) | instid1(VALU_DEP_3)
	v_fma_f64 v[47:48], v[49:50], s[42:43], -v[51:52]
	v_add_f64 v[33:34], v[45:46], -v[33:34]
	s_delay_alu instid0(VALU_DEP_3) | instskip(NEXT) | instid1(VALU_DEP_3)
	v_fma_f64 v[43:44], v[39:40], v[43:44], s[70:71]
	v_fma_f64 v[45:46], v[49:50], s[44:45], v[47:48]
	s_delay_alu instid0(VALU_DEP_3) | instskip(NEXT) | instid1(VALU_DEP_3)
	v_add_f64 v[31:32], v[31:32], v[33:34]
	v_fma_f64 v[33:34], v[39:40], v[43:44], s[72:73]
	s_delay_alu instid0(VALU_DEP_3) | instskip(NEXT) | instid1(VALU_DEP_3)
	v_add_f64 v[43:44], v[51:52], v[45:46]
	v_add_f64 v[47:48], v[41:42], v[31:32]
	s_delay_alu instid0(VALU_DEP_3) | instskip(NEXT) | instid1(VALU_DEP_3)
	v_fma_f64 v[33:34], v[39:40], v[33:34], s[74:75]
	v_add_f64 v[51:52], v[43:44], -v[51:52]
	s_delay_alu instid0(VALU_DEP_3) | instskip(NEXT) | instid1(VALU_DEP_3)
	v_add_f64 v[49:50], v[43:44], v[47:48]
	v_fma_f64 v[33:34], v[39:40], v[33:34], s[76:77]
	v_add_f64 v[41:42], v[47:48], -v[41:42]
	s_delay_alu instid0(VALU_DEP_4) | instskip(NEXT) | instid1(VALU_DEP_4)
	v_add_f64 v[45:46], v[45:46], -v[51:52]
	v_add_f64 v[53:54], v[49:50], -v[43:44]
	s_delay_alu instid0(VALU_DEP_4) | instskip(NEXT) | instid1(VALU_DEP_4)
	v_fma_f64 v[33:34], v[39:40], v[33:34], s[78:79]
	v_add_f64 v[31:32], v[31:32], -v[41:42]
	s_delay_alu instid0(VALU_DEP_3) | instskip(NEXT) | instid1(VALU_DEP_3)
	v_add_f64 v[55:56], v[49:50], -v[53:54]
	v_fma_f64 v[33:34], v[39:40], v[33:34], s[80:81]
	v_add_f64 v[41:42], v[47:48], -v[53:54]
	s_delay_alu instid0(VALU_DEP_4) | instskip(NEXT) | instid1(VALU_DEP_4)
	v_add_f64 v[47:48], v[45:46], v[31:32]
	v_add_f64 v[43:44], v[43:44], -v[55:56]
	s_delay_alu instid0(VALU_DEP_4) | instskip(NEXT) | instid1(VALU_DEP_2)
	v_fma_f64 v[33:34], v[39:40], v[33:34], s[82:83]
	v_add_f64 v[41:42], v[41:42], v[43:44]
	s_delay_alu instid0(VALU_DEP_2) | instskip(SKIP_1) | instid1(VALU_DEP_3)
	v_fma_f64 v[33:34], v[39:40], v[33:34], s[84:85]
	v_add_f64 v[43:44], v[47:48], -v[45:46]
	v_add_f64 v[41:42], v[47:48], v[41:42]
	s_delay_alu instid0(VALU_DEP_3) | instskip(NEXT) | instid1(VALU_DEP_3)
	v_mul_f64 v[33:34], v[39:40], v[33:34]
	v_add_f64 v[39:40], v[47:48], -v[43:44]
	v_add_f64 v[31:32], v[31:32], -v[43:44]
	s_delay_alu instid0(VALU_DEP_4) | instskip(NEXT) | instid1(VALU_DEP_4)
	v_add_f64 v[47:48], v[49:50], v[41:42]
	v_fma_f64 v[9:10], v[9:10], v[33:34], v[9:10]
	s_delay_alu instid0(VALU_DEP_4) | instskip(NEXT) | instid1(VALU_DEP_3)
	v_add_f64 v[33:34], v[45:46], -v[39:40]
	v_add_f64 v[39:40], v[47:48], -v[49:50]
	s_delay_alu instid0(VALU_DEP_3) | instskip(NEXT) | instid1(VALU_DEP_3)
	v_add_f64 v[43:44], -v[9:10], s[86:87]
	v_add_f64 v[31:32], v[31:32], v[33:34]
	s_delay_alu instid0(VALU_DEP_3) | instskip(NEXT) | instid1(VALU_DEP_3)
	v_add_f64 v[33:34], v[41:42], -v[39:40]
	v_cndmask_b32_e64 v10, v10, v44, s4
	s_delay_alu instid0(VALU_DEP_4) | instskip(NEXT) | instid1(VALU_DEP_3)
	v_cndmask_b32_e64 v9, v9, v43, s4
	v_add_f64 v[31:32], v[31:32], v[33:34]
	s_delay_alu instid0(VALU_DEP_2) | instskip(NEXT) | instid1(VALU_DEP_2)
	v_add_f64 v[33:34], -v[9:10], s[14:15]
	v_add_f64 v[31:32], v[47:48], v[31:32]
	s_delay_alu instid0(VALU_DEP_2) | instskip(SKIP_1) | instid1(VALU_DEP_2)
	v_dual_cndmask_b32 v9, v9, v33 :: v_dual_cndmask_b32 v10, v10, v34
	v_cmp_ngt_f64_e32 vcc_lo, 0, v[37:38]
	v_cndmask_b32_e64 v11, v9, v11, s6
	s_delay_alu instid0(VALU_DEP_3) | instskip(SKIP_3) | instid1(VALU_DEP_3)
	v_cndmask_b32_e64 v1, v10, v1, s6
	v_cndmask_b32_e64 v32, v32, v36, s5
	;; [unrolled: 1-line block ×3, first 2 shown]
	v_cmp_nge_f64_e64 s5, 0, v[37:38]
	v_cndmask_b32_e64 v32, v32, 0x7ff00000, s10
	s_delay_alu instid0(VALU_DEP_3) | instskip(NEXT) | instid1(VALU_DEP_2)
	v_cndmask_b32_e64 v9, v31, 0, s10
	v_cndmask_b32_e32 v10, 0x7ff80000, v32, vcc_lo
	s_and_b32 vcc_lo, s9, s8
	v_cndmask_b32_e32 v32, v1, v18, vcc_lo
	v_cndmask_b32_e32 v31, v11, v2, vcc_lo
	v_cndmask_b32_e64 v9, 0, v9, s5
	v_cmp_neq_f64_e64 s5, 0, v[37:38]
	s_delay_alu instid0(VALU_DEP_1)
	v_cndmask_b32_e64 v10, 0xfff00000, v10, s5
.LBB192_204:                            ;   in Loop: Header=BB192_145 Depth=1
	s_or_b32 exec_lo, exec_lo, s7
                                        ; implicit-def: $vgpr35_vgpr36
.LBB192_205:                            ;   in Loop: Header=BB192_145 Depth=1
	s_and_not1_saveexec_b32 s7, s21
	s_cbranch_execz .LBB192_211
; %bb.206:                              ;   in Loop: Header=BB192_145 Depth=1
	s_mov_b32 s8, 0x6a3f9475
	s_mov_b32 s9, 0x20ca2fe7
                                        ; implicit-def: $vgpr9_vgpr10
                                        ; implicit-def: $vgpr31_vgpr32
	s_mov_b32 s5, exec_lo
	v_cmpx_ngt_f64_e32 s[8:9], v[35:36]
	s_xor_b32 s8, exec_lo, s5
	s_cbranch_execz .LBB192_208
; %bb.207:                              ;   in Loop: Header=BB192_145 Depth=1
	v_mul_f64 v[9:10], v[35:36], v[35:36]
	s_mov_b32 s99, s25
	s_mov_b32 s14, s86
	v_cmp_eq_f64_e64 s6, 0, v[3:4]
	v_cmp_class_f64_e64 s9, v[3:4], 0x204
	v_cmp_class_f64_e64 s10, v[1:2], 0x204
	v_cmp_gt_i32_e64 s5, 0, v2
	v_add_f64 v[31:32], v[9:10], 1.0
	s_delay_alu instid0(VALU_DEP_1) | instskip(SKIP_2) | instid1(VALU_DEP_3)
	v_frexp_mant_f64_e32 v[33:34], v[31:32]
	v_frexp_exp_i32_f64_e32 v11, v[31:32]
	v_add_f64 v[35:36], v[31:32], -1.0
	v_cmp_gt_f64_e32 vcc_lo, s[24:25], v[33:34]
	s_delay_alu instid0(VALU_DEP_2) | instskip(SKIP_2) | instid1(VALU_DEP_3)
	v_add_f64 v[33:34], v[35:36], -v[31:32]
	v_add_f64 v[35:36], v[9:10], -v[35:36]
	v_subrev_co_ci_u32_e32 v11, vcc_lo, 0, v11, vcc_lo
	v_add_f64 v[33:34], v[33:34], 1.0
	s_delay_alu instid0(VALU_DEP_2) | instskip(NEXT) | instid1(VALU_DEP_1)
	v_sub_nc_u32_e32 v18, 0, v11
	v_ldexp_f64 v[31:32], v[31:32], v18
	s_delay_alu instid0(VALU_DEP_3) | instskip(NEXT) | instid1(VALU_DEP_2)
	v_add_f64 v[33:34], v[35:36], v[33:34]
	v_add_f64 v[37:38], v[31:32], 1.0
	v_add_f64 v[43:44], v[31:32], -1.0
	s_delay_alu instid0(VALU_DEP_3) | instskip(SKIP_1) | instid1(VALU_DEP_4)
	v_ldexp_f64 v[33:34], v[33:34], v18
	v_cndmask_b32_e64 v18, 0x54442d18, v59, s5
	v_add_f64 v[35:36], v[37:38], -1.0
	s_delay_alu instid0(VALU_DEP_4) | instskip(NEXT) | instid1(VALU_DEP_2)
	v_add_f64 v[45:46], v[43:44], 1.0
	v_add_f64 v[35:36], v[31:32], -v[35:36]
	s_delay_alu instid0(VALU_DEP_2) | instskip(NEXT) | instid1(VALU_DEP_2)
	v_add_f64 v[31:32], v[31:32], -v[45:46]
	v_add_f64 v[35:36], v[33:34], v[35:36]
	s_delay_alu instid0(VALU_DEP_2) | instskip(NEXT) | instid1(VALU_DEP_2)
	v_add_f64 v[31:32], v[33:34], v[31:32]
	v_add_f64 v[39:40], v[37:38], v[35:36]
	s_delay_alu instid0(VALU_DEP_2) | instskip(NEXT) | instid1(VALU_DEP_2)
	v_add_f64 v[45:46], v[43:44], v[31:32]
	v_rcp_f64_e32 v[41:42], v[39:40]
	v_add_f64 v[37:38], v[37:38], -v[39:40]
	s_delay_alu instid0(VALU_DEP_2) | instskip(NEXT) | instid1(VALU_DEP_2)
	v_add_f64 v[43:44], v[43:44], -v[45:46]
	v_add_f64 v[35:36], v[35:36], v[37:38]
	s_waitcnt_depctr 0xfff
	v_fma_f64 v[47:48], -v[39:40], v[41:42], 1.0
	v_add_f64 v[31:32], v[31:32], v[43:44]
	s_delay_alu instid0(VALU_DEP_2) | instskip(NEXT) | instid1(VALU_DEP_1)
	v_fma_f64 v[41:42], v[47:48], v[41:42], v[41:42]
	v_fma_f64 v[33:34], -v[39:40], v[41:42], 1.0
	s_delay_alu instid0(VALU_DEP_1) | instskip(NEXT) | instid1(VALU_DEP_1)
	v_fma_f64 v[33:34], v[33:34], v[41:42], v[41:42]
	v_mul_f64 v[41:42], v[45:46], v[33:34]
	s_delay_alu instid0(VALU_DEP_1) | instskip(NEXT) | instid1(VALU_DEP_1)
	v_mul_f64 v[47:48], v[39:40], v[41:42]
	v_fma_f64 v[37:38], v[41:42], v[39:40], -v[47:48]
	s_delay_alu instid0(VALU_DEP_1) | instskip(NEXT) | instid1(VALU_DEP_1)
	v_fma_f64 v[37:38], v[41:42], v[35:36], v[37:38]
	v_add_f64 v[49:50], v[47:48], v[37:38]
	s_delay_alu instid0(VALU_DEP_1) | instskip(SKIP_2) | instid1(VALU_DEP_3)
	v_add_f64 v[51:52], v[45:46], -v[49:50]
	v_add_f64 v[43:44], v[49:50], -v[47:48]
	v_max_f64 v[47:48], |v[3:4]|, |v[3:4]|
	v_add_f64 v[45:46], v[45:46], -v[51:52]
	s_delay_alu instid0(VALU_DEP_3) | instskip(NEXT) | instid1(VALU_DEP_2)
	v_add_f64 v[37:38], v[43:44], -v[37:38]
	v_add_f64 v[45:46], v[45:46], -v[49:50]
	v_max_f64 v[49:50], |v[1:2]|, |v[1:2]|
	s_delay_alu instid0(VALU_DEP_2) | instskip(NEXT) | instid1(VALU_DEP_2)
	v_add_f64 v[31:32], v[31:32], v[45:46]
	v_max_f64 v[53:54], v[49:50], v[47:48]
	v_min_f64 v[47:48], v[49:50], v[47:48]
	s_delay_alu instid0(VALU_DEP_3) | instskip(NEXT) | instid1(VALU_DEP_1)
	v_add_f64 v[31:32], v[37:38], v[31:32]
	v_add_f64 v[37:38], v[51:52], v[31:32]
	s_delay_alu instid0(VALU_DEP_1) | instskip(SKIP_1) | instid1(VALU_DEP_2)
	v_mul_f64 v[43:44], v[33:34], v[37:38]
	v_add_f64 v[51:52], v[51:52], -v[37:38]
	v_mul_f64 v[45:46], v[39:40], v[43:44]
	s_delay_alu instid0(VALU_DEP_2) | instskip(NEXT) | instid1(VALU_DEP_2)
	v_add_f64 v[31:32], v[31:32], v[51:52]
	v_fma_f64 v[39:40], v[43:44], v[39:40], -v[45:46]
	s_delay_alu instid0(VALU_DEP_1) | instskip(SKIP_1) | instid1(VALU_DEP_2)
	v_fma_f64 v[35:36], v[43:44], v[35:36], v[39:40]
	v_div_scale_f64 v[39:40], null, v[53:54], v[53:54], v[47:48]
	v_add_f64 v[49:50], v[45:46], v[35:36]
	s_delay_alu instid0(VALU_DEP_2) | instskip(NEXT) | instid1(VALU_DEP_1)
	v_rcp_f64_e32 v[55:56], v[39:40]
	v_add_f64 v[57:58], v[37:38], -v[49:50]
	v_add_f64 v[45:46], v[49:50], -v[45:46]
	s_waitcnt_depctr 0xfff
	v_fma_f64 v[61:62], -v[39:40], v[55:56], 1.0
	v_add_f64 v[37:38], v[37:38], -v[57:58]
	v_add_f64 v[35:36], v[45:46], -v[35:36]
	s_delay_alu instid0(VALU_DEP_3) | instskip(NEXT) | instid1(VALU_DEP_3)
	v_fma_f64 v[55:56], v[55:56], v[61:62], v[55:56]
	v_add_f64 v[37:38], v[37:38], -v[49:50]
	s_delay_alu instid0(VALU_DEP_2) | instskip(NEXT) | instid1(VALU_DEP_2)
	v_fma_f64 v[49:50], -v[39:40], v[55:56], 1.0
	v_add_f64 v[31:32], v[31:32], v[37:38]
	v_div_scale_f64 v[37:38], vcc_lo, v[47:48], v[53:54], v[47:48]
	s_delay_alu instid0(VALU_DEP_3) | instskip(SKIP_1) | instid1(VALU_DEP_4)
	v_fma_f64 v[45:46], v[55:56], v[49:50], v[55:56]
	v_add_f64 v[49:50], v[41:42], v[43:44]
	v_add_f64 v[31:32], v[35:36], v[31:32]
	s_delay_alu instid0(VALU_DEP_3) | instskip(NEXT) | instid1(VALU_DEP_3)
	v_mul_f64 v[35:36], v[37:38], v[45:46]
	v_add_f64 v[41:42], v[49:50], -v[41:42]
	s_delay_alu instid0(VALU_DEP_3) | instskip(NEXT) | instid1(VALU_DEP_3)
	v_add_f64 v[31:32], v[57:58], v[31:32]
	v_fma_f64 v[37:38], -v[39:40], v[35:36], v[37:38]
	s_delay_alu instid0(VALU_DEP_3) | instskip(NEXT) | instid1(VALU_DEP_3)
	v_add_f64 v[39:40], v[43:44], -v[41:42]
	v_mul_f64 v[31:32], v[33:34], v[31:32]
	s_delay_alu instid0(VALU_DEP_3) | instskip(SKIP_1) | instid1(VALU_DEP_3)
	v_div_fmas_f64 v[33:34], v[37:38], v[45:46], v[35:36]
	v_cmp_eq_f64_e32 vcc_lo, 0x7ff00000, v[9:10]
	v_add_f64 v[31:32], v[39:40], v[31:32]
	s_delay_alu instid0(VALU_DEP_3) | instskip(NEXT) | instid1(VALU_DEP_2)
	v_div_fixup_f64 v[33:34], v[33:34], v[53:54], v[47:48]
	v_add_f64 v[35:36], v[49:50], v[31:32]
	s_delay_alu instid0(VALU_DEP_2) | instskip(NEXT) | instid1(VALU_DEP_2)
	v_mul_f64 v[37:38], v[33:34], v[33:34]
	v_mul_f64 v[39:40], v[35:36], v[35:36]
	s_delay_alu instid0(VALU_DEP_2) | instskip(NEXT) | instid1(VALU_DEP_2)
	v_fma_f64 v[41:42], v[37:38], s[48:49], s[46:47]
	v_fma_f64 v[43:44], v[39:40], s[28:29], s[26:27]
	v_mul_f64 v[45:46], v[35:36], v[39:40]
	s_delay_alu instid0(VALU_DEP_3) | instskip(NEXT) | instid1(VALU_DEP_3)
	v_fma_f64 v[41:42], v[37:38], v[41:42], s[50:51]
	v_fma_f64 v[43:44], v[39:40], v[43:44], s[34:35]
	s_delay_alu instid0(VALU_DEP_2) | instskip(NEXT) | instid1(VALU_DEP_2)
	v_fma_f64 v[41:42], v[37:38], v[41:42], s[52:53]
	v_fma_f64 v[43:44], v[39:40], v[43:44], s[36:37]
	s_delay_alu instid0(VALU_DEP_2) | instskip(NEXT) | instid1(VALU_DEP_2)
	;; [unrolled: 3-line block ×4, first 2 shown]
	v_fma_f64 v[41:42], v[37:38], v[41:42], s[58:59]
	v_fma_f64 v[39:40], v[39:40], v[43:44], s[98:99]
	v_ldexp_f64 v[43:44], v[35:36], 1
	v_add_f64 v[35:36], v[35:36], -v[49:50]
	s_delay_alu instid0(VALU_DEP_4) | instskip(NEXT) | instid1(VALU_DEP_4)
	v_fma_f64 v[41:42], v[37:38], v[41:42], s[60:61]
	v_mul_f64 v[39:40], v[45:46], v[39:40]
	v_cvt_f64_i32_e32 v[45:46], v11
	s_delay_alu instid0(VALU_DEP_4) | instskip(NEXT) | instid1(VALU_DEP_4)
	v_add_f64 v[31:32], v[31:32], -v[35:36]
	v_fma_f64 v[41:42], v[37:38], v[41:42], s[62:63]
	v_ashrrev_i32_e32 v11, 31, v2
	v_add_f64 v[47:48], v[43:44], v[39:40]
	v_mul_f64 v[49:50], v[45:46], s[42:43]
	v_ldexp_f64 v[31:32], v[31:32], 1
	v_fma_f64 v[41:42], v[37:38], v[41:42], s[64:65]
	s_delay_alu instid0(VALU_DEP_4) | instskip(NEXT) | instid1(VALU_DEP_4)
	v_add_f64 v[35:36], v[47:48], -v[43:44]
	v_fma_f64 v[43:44], v[45:46], s[42:43], -v[49:50]
	s_delay_alu instid0(VALU_DEP_3) | instskip(NEXT) | instid1(VALU_DEP_3)
	v_fma_f64 v[41:42], v[37:38], v[41:42], s[66:67]
	v_add_f64 v[35:36], v[39:40], -v[35:36]
	s_delay_alu instid0(VALU_DEP_2) | instskip(NEXT) | instid1(VALU_DEP_4)
	v_fma_f64 v[39:40], v[37:38], v[41:42], s[68:69]
	v_fma_f64 v[41:42], v[45:46], s[44:45], v[43:44]
	s_delay_alu instid0(VALU_DEP_3) | instskip(NEXT) | instid1(VALU_DEP_3)
	v_add_f64 v[31:32], v[31:32], v[35:36]
	v_fma_f64 v[35:36], v[37:38], v[39:40], s[70:71]
	s_delay_alu instid0(VALU_DEP_3) | instskip(NEXT) | instid1(VALU_DEP_3)
	v_add_f64 v[39:40], v[49:50], v[41:42]
	v_add_f64 v[43:44], v[47:48], v[31:32]
	s_delay_alu instid0(VALU_DEP_3) | instskip(NEXT) | instid1(VALU_DEP_3)
	v_fma_f64 v[35:36], v[37:38], v[35:36], s[72:73]
	v_add_f64 v[49:50], v[39:40], -v[49:50]
	s_delay_alu instid0(VALU_DEP_3) | instskip(SKIP_1) | instid1(VALU_DEP_4)
	v_add_f64 v[45:46], v[39:40], v[43:44]
	v_add_f64 v[47:48], v[43:44], -v[47:48]
	v_fma_f64 v[35:36], v[37:38], v[35:36], s[74:75]
	s_delay_alu instid0(VALU_DEP_4) | instskip(NEXT) | instid1(VALU_DEP_4)
	v_add_f64 v[41:42], v[41:42], -v[49:50]
	v_add_f64 v[51:52], v[45:46], -v[39:40]
	s_delay_alu instid0(VALU_DEP_4) | instskip(NEXT) | instid1(VALU_DEP_4)
	v_add_f64 v[31:32], v[31:32], -v[47:48]
	v_fma_f64 v[35:36], v[37:38], v[35:36], s[76:77]
	s_delay_alu instid0(VALU_DEP_3) | instskip(SKIP_1) | instid1(VALU_DEP_4)
	v_add_f64 v[53:54], v[45:46], -v[51:52]
	v_add_f64 v[43:44], v[43:44], -v[51:52]
	v_add_f64 v[47:48], v[41:42], v[31:32]
	s_delay_alu instid0(VALU_DEP_4) | instskip(NEXT) | instid1(VALU_DEP_4)
	v_fma_f64 v[35:36], v[37:38], v[35:36], s[78:79]
	v_add_f64 v[39:40], v[39:40], -v[53:54]
	s_delay_alu instid0(VALU_DEP_2) | instskip(NEXT) | instid1(VALU_DEP_2)
	v_fma_f64 v[35:36], v[37:38], v[35:36], s[80:81]
	v_add_f64 v[39:40], v[43:44], v[39:40]
	v_add_f64 v[43:44], v[47:48], -v[41:42]
	s_delay_alu instid0(VALU_DEP_3) | instskip(NEXT) | instid1(VALU_DEP_3)
	v_fma_f64 v[35:36], v[37:38], v[35:36], s[82:83]
	v_add_f64 v[39:40], v[47:48], v[39:40]
	s_delay_alu instid0(VALU_DEP_3) | instskip(SKIP_1) | instid1(VALU_DEP_4)
	v_add_f64 v[47:48], v[47:48], -v[43:44]
	v_add_f64 v[31:32], v[31:32], -v[43:44]
	v_fma_f64 v[35:36], v[37:38], v[35:36], s[84:85]
	s_delay_alu instid0(VALU_DEP_4) | instskip(NEXT) | instid1(VALU_DEP_2)
	v_add_f64 v[49:50], v[45:46], v[39:40]
	v_mul_f64 v[35:36], v[37:38], v[35:36]
	v_add_f64 v[37:38], v[41:42], -v[47:48]
	s_delay_alu instid0(VALU_DEP_3) | instskip(NEXT) | instid1(VALU_DEP_3)
	v_add_f64 v[41:42], v[49:50], -v[45:46]
	v_fma_f64 v[33:34], v[33:34], v[35:36], v[33:34]
	s_delay_alu instid0(VALU_DEP_3) | instskip(NEXT) | instid1(VALU_DEP_3)
	v_add_f64 v[31:32], v[31:32], v[37:38]
	v_add_f64 v[35:36], v[39:40], -v[41:42]
	s_delay_alu instid0(VALU_DEP_3) | instskip(NEXT) | instid1(VALU_DEP_2)
	v_add_f64 v[37:38], -v[33:34], s[86:87]
	v_add_f64 v[31:32], v[31:32], v[35:36]
	s_delay_alu instid0(VALU_DEP_2) | instskip(NEXT) | instid1(VALU_DEP_3)
	v_cndmask_b32_e64 v34, v34, v38, s4
	v_cndmask_b32_e64 v33, v33, v37, s4
	s_delay_alu instid0(VALU_DEP_1) | instskip(NEXT) | instid1(VALU_DEP_4)
	v_add_f64 v[35:36], -v[33:34], s[14:15]
	v_add_f64 v[31:32], v[49:50], v[31:32]
	v_and_b32_e32 v37, 0x54442d18, v11
	s_delay_alu instid0(VALU_DEP_3) | instskip(NEXT) | instid1(VALU_DEP_3)
	v_cndmask_b32_e64 v33, v33, v35, s5
	v_dual_cndmask_b32 v2, v32, v10 :: v_dual_cndmask_b32 v1, v31, v9
	s_delay_alu instid0(VALU_DEP_2) | instskip(SKIP_1) | instid1(VALU_DEP_2)
	v_cndmask_b32_e64 v31, v33, v37, s6
	s_and_b32 vcc_lo, s9, s10
	v_mul_f64 v[9:10], v[1:2], 0.5
	v_and_b32_e32 v2, 0x400921fb, v11
	v_cndmask_b32_e64 v1, 0x3fe921fb, v60, s5
	v_cndmask_b32_e64 v11, v34, v36, s5
                                        ; implicit-def: $vgpr35_vgpr36
	v_cndmask_b32_e32 v31, v31, v18, vcc_lo
	s_delay_alu instid0(VALU_DEP_3) | instskip(NEXT) | instid1(VALU_DEP_3)
	v_bfi_b32 v1, 0x7fffffff, v1, v4
	v_cndmask_b32_e64 v2, v11, v2, s6
	s_delay_alu instid0(VALU_DEP_1)
	v_cndmask_b32_e32 v32, v2, v1, vcc_lo
.LBB192_208:                            ;   in Loop: Header=BB192_145 Depth=1
	s_and_not1_saveexec_b32 s6, s8
	s_cbranch_execz .LBB192_210
; %bb.209:                              ;   in Loop: Header=BB192_145 Depth=1
	v_max_f64 v[9:10], |v[3:4]|, |v[3:4]|
	v_max_f64 v[31:32], |v[1:2]|, |v[1:2]|
	s_mov_b32 s14, s86
	v_cmp_eq_f64_e64 s5, 0, v[3:4]
	v_cmp_class_f64_e64 s8, v[3:4], 0x204
	v_cmp_class_f64_e64 s9, v[1:2], 0x204
	v_ashrrev_i32_e32 v18, 31, v2
	v_max_f64 v[33:34], v[31:32], v[9:10]
	v_min_f64 v[9:10], v[31:32], v[9:10]
	s_delay_alu instid0(VALU_DEP_1) | instskip(SKIP_1) | instid1(VALU_DEP_2)
	v_div_scale_f64 v[31:32], null, v[33:34], v[33:34], v[9:10]
	v_div_scale_f64 v[41:42], vcc_lo, v[9:10], v[33:34], v[9:10]
	v_rcp_f64_e32 v[37:38], v[31:32]
	s_waitcnt_depctr 0xfff
	v_fma_f64 v[39:40], -v[31:32], v[37:38], 1.0
	s_delay_alu instid0(VALU_DEP_1) | instskip(NEXT) | instid1(VALU_DEP_1)
	v_fma_f64 v[37:38], v[37:38], v[39:40], v[37:38]
	v_fma_f64 v[39:40], -v[31:32], v[37:38], 1.0
	s_delay_alu instid0(VALU_DEP_1) | instskip(NEXT) | instid1(VALU_DEP_1)
	v_fma_f64 v[37:38], v[37:38], v[39:40], v[37:38]
	v_mul_f64 v[39:40], v[41:42], v[37:38]
	s_delay_alu instid0(VALU_DEP_1) | instskip(NEXT) | instid1(VALU_DEP_1)
	v_fma_f64 v[31:32], -v[31:32], v[39:40], v[41:42]
	v_div_fmas_f64 v[31:32], v[31:32], v[37:38], v[39:40]
	v_cmp_gt_i32_e32 vcc_lo, 0, v2
	v_and_b32_e32 v38, 0x54442d18, v18
	v_and_b32_e32 v2, 0x400921fb, v18
	v_cndmask_b32_e32 v1, 0x3fe921fb, v60, vcc_lo
	v_cndmask_b32_e32 v37, 0x54442d18, v59, vcc_lo
	s_delay_alu instid0(VALU_DEP_2) | instskip(SKIP_1) | instid1(VALU_DEP_1)
	v_bfi_b32 v1, 0x7fffffff, v1, v4
	v_div_fixup_f64 v[9:10], v[31:32], v[33:34], v[9:10]
	v_mul_f64 v[31:32], v[9:10], v[9:10]
	s_delay_alu instid0(VALU_DEP_1) | instskip(NEXT) | instid1(VALU_DEP_1)
	v_fma_f64 v[33:34], v[31:32], s[48:49], s[46:47]
	v_fma_f64 v[33:34], v[31:32], v[33:34], s[50:51]
	s_delay_alu instid0(VALU_DEP_1) | instskip(NEXT) | instid1(VALU_DEP_1)
	v_fma_f64 v[33:34], v[31:32], v[33:34], s[52:53]
	v_fma_f64 v[33:34], v[31:32], v[33:34], s[54:55]
	;; [unrolled: 3-line block ×9, first 2 shown]
	s_delay_alu instid0(VALU_DEP_1) | instskip(NEXT) | instid1(VALU_DEP_1)
	v_fma_f64 v[33:34], v[31:32], v[33:34], s[84:85]
	v_mul_f64 v[31:32], v[31:32], v[33:34]
	v_mul_f64 v[33:34], v[35:36], 0.5
	s_delay_alu instid0(VALU_DEP_2) | instskip(NEXT) | instid1(VALU_DEP_1)
	v_fma_f64 v[9:10], v[9:10], v[31:32], v[9:10]
	v_add_f64 v[31:32], -v[9:10], s[86:87]
	s_delay_alu instid0(VALU_DEP_1) | instskip(NEXT) | instid1(VALU_DEP_2)
	v_cndmask_b32_e64 v11, v10, v32, s4
	v_cndmask_b32_e64 v10, v9, v31, s4
	s_delay_alu instid0(VALU_DEP_1) | instskip(NEXT) | instid1(VALU_DEP_1)
	v_add_f64 v[31:32], -v[10:11], s[14:15]
	v_cndmask_b32_e32 v31, v10, v31, vcc_lo
	v_mul_f64 v[9:10], v[35:36], v[33:34]
	s_delay_alu instid0(VALU_DEP_3) | instskip(SKIP_1) | instid1(VALU_DEP_3)
	v_cndmask_b32_e32 v11, v11, v32, vcc_lo
	s_and_b32 vcc_lo, s8, s9
	v_cndmask_b32_e64 v18, v31, v38, s5
	s_delay_alu instid0(VALU_DEP_2) | instskip(NEXT) | instid1(VALU_DEP_2)
	v_cndmask_b32_e64 v2, v11, v2, s5
	v_cndmask_b32_e32 v31, v18, v37, vcc_lo
	s_delay_alu instid0(VALU_DEP_2)
	v_cndmask_b32_e32 v32, v2, v1, vcc_lo
.LBB192_210:                            ;   in Loop: Header=BB192_145 Depth=1
	s_or_b32 exec_lo, exec_lo, s6
.LBB192_211:                            ;   in Loop: Header=BB192_145 Depth=1
	s_delay_alu instid0(SALU_CYCLE_1)
	s_or_b32 exec_lo, exec_lo, s7
.LBB192_212:                            ;   in Loop: Header=BB192_145 Depth=1
	s_and_not1_saveexec_b32 s7, s20
	s_cbranch_execz .LBB192_214
; %bb.213:                              ;   in Loop: Header=BB192_145 Depth=1
	v_div_scale_f64 v[9:10], null, s[92:93], s[92:93], v[1:2]
	v_div_scale_f64 v[31:32], null, s[92:93], s[92:93], v[3:4]
	v_div_scale_f64 v[41:42], vcc_lo, v[1:2], s[92:93], v[1:2]
	v_max_f64 v[45:46], |v[1:2]|, |v[1:2]|
	s_mov_b32 s99, s25
	s_mov_b32 s14, s86
	s_delay_alu instid0(VALU_DEP_4) | instskip(NEXT) | instid1(VALU_DEP_3)
	v_rcp_f64_e32 v[33:34], v[9:10]
	v_rcp_f64_e32 v[35:36], v[31:32]
	s_waitcnt_depctr 0xfff
	v_fma_f64 v[37:38], -v[9:10], v[33:34], 1.0
	v_fma_f64 v[39:40], -v[31:32], v[35:36], 1.0
	s_delay_alu instid0(VALU_DEP_2) | instskip(NEXT) | instid1(VALU_DEP_2)
	v_fma_f64 v[33:34], v[33:34], v[37:38], v[33:34]
	v_fma_f64 v[35:36], v[35:36], v[39:40], v[35:36]
	s_delay_alu instid0(VALU_DEP_2) | instskip(NEXT) | instid1(VALU_DEP_2)
	v_fma_f64 v[37:38], -v[9:10], v[33:34], 1.0
	v_fma_f64 v[39:40], -v[31:32], v[35:36], 1.0
	s_delay_alu instid0(VALU_DEP_2) | instskip(SKIP_1) | instid1(VALU_DEP_3)
	v_fma_f64 v[33:34], v[33:34], v[37:38], v[33:34]
	v_div_scale_f64 v[37:38], s5, v[3:4], s[92:93], v[3:4]
	v_fma_f64 v[35:36], v[35:36], v[39:40], v[35:36]
	s_delay_alu instid0(VALU_DEP_3) | instskip(NEXT) | instid1(VALU_DEP_2)
	v_mul_f64 v[39:40], v[41:42], v[33:34]
	v_mul_f64 v[43:44], v[37:38], v[35:36]
	s_delay_alu instid0(VALU_DEP_2) | instskip(NEXT) | instid1(VALU_DEP_2)
	v_fma_f64 v[9:10], -v[9:10], v[39:40], v[41:42]
	v_fma_f64 v[31:32], -v[31:32], v[43:44], v[37:38]
	s_delay_alu instid0(VALU_DEP_2) | instskip(SKIP_1) | instid1(VALU_DEP_2)
	v_div_fmas_f64 v[9:10], v[9:10], v[33:34], v[39:40]
	s_mov_b32 vcc_lo, s5
	v_div_fmas_f64 v[31:32], v[31:32], v[35:36], v[43:44]
	s_delay_alu instid0(VALU_DEP_2) | instskip(NEXT) | instid1(VALU_DEP_2)
	v_div_fixup_f64 v[9:10], v[9:10], s[92:93], v[1:2]
	v_div_fixup_f64 v[31:32], v[31:32], s[92:93], v[3:4]
	s_delay_alu instid0(VALU_DEP_2) | instskip(NEXT) | instid1(VALU_DEP_2)
	v_cmp_class_f64_e64 s6, v[9:10], 0x204
	v_max_f64 v[33:34], |v[9:10]|, |v[31:32]|
	v_cmp_o_f64_e64 s5, v[9:10], v[31:32]
	v_cmp_class_f64_e64 s8, v[31:32], 0x204
	s_delay_alu instid0(VALU_DEP_3) | instskip(NEXT) | instid1(VALU_DEP_2)
	v_frexp_exp_i32_f64_e32 v11, v[33:34]
	s_or_b32 s8, s8, s6
	s_delay_alu instid0(VALU_DEP_1) | instskip(NEXT) | instid1(VALU_DEP_1)
	v_sub_nc_u32_e32 v18, 0, v11
	v_ldexp_f64 v[33:34], |v[31:32]|, v18
	v_ldexp_f64 v[35:36], |v[9:10]|, v18
	s_delay_alu instid0(VALU_DEP_2) | instskip(NEXT) | instid1(VALU_DEP_1)
	v_mul_f64 v[33:34], v[33:34], v[33:34]
	v_fma_f64 v[33:34], v[35:36], v[35:36], v[33:34]
	s_delay_alu instid0(VALU_DEP_1) | instskip(SKIP_4) | instid1(VALU_DEP_1)
	v_rsq_f64_e32 v[35:36], v[33:34]
	v_cmp_eq_f64_e32 vcc_lo, 0, v[33:34]
	s_waitcnt_depctr 0xfff
	v_mul_f64 v[37:38], v[33:34], v[35:36]
	v_mul_f64 v[35:36], v[35:36], 0.5
	v_fma_f64 v[39:40], -v[35:36], v[37:38], 0.5
	s_delay_alu instid0(VALU_DEP_1) | instskip(SKIP_1) | instid1(VALU_DEP_2)
	v_fma_f64 v[37:38], v[37:38], v[39:40], v[37:38]
	v_fma_f64 v[35:36], v[35:36], v[39:40], v[35:36]
	v_fma_f64 v[39:40], -v[37:38], v[37:38], v[33:34]
	s_delay_alu instid0(VALU_DEP_1) | instskip(NEXT) | instid1(VALU_DEP_1)
	v_fma_f64 v[35:36], v[39:40], v[35:36], v[37:38]
	v_dual_cndmask_b32 v34, v36, v34 :: v_dual_cndmask_b32 v33, v35, v33
	s_delay_alu instid0(VALU_DEP_1) | instskip(NEXT) | instid1(VALU_DEP_1)
	v_ldexp_f64 v[33:34], v[33:34], v11
	v_cndmask_b32_e64 v9, 0, v33, s5
	s_delay_alu instid0(VALU_DEP_2) | instskip(NEXT) | instid1(VALU_DEP_2)
	v_cndmask_b32_e64 v57, 0x7ff80000, v34, s5
	v_cndmask_b32_e64 v10, v9, 0, s8
	s_delay_alu instid0(VALU_DEP_2) | instskip(NEXT) | instid1(VALU_DEP_1)
	v_cndmask_b32_e64 v11, v57, 0x7ff00000, s8
	v_frexp_mant_f64_e32 v[31:32], v[10:11]
	s_delay_alu instid0(VALU_DEP_1) | instskip(NEXT) | instid1(VALU_DEP_1)
	v_cmp_gt_f64_e64 s6, s[24:25], v[31:32]
	v_cndmask_b32_e64 v18, 0x3ff00000, 2.0, s6
	s_delay_alu instid0(VALU_DEP_1) | instskip(SKIP_1) | instid1(VALU_DEP_2)
	v_mul_f64 v[31:32], v[31:32], v[17:18]
	v_frexp_exp_i32_f64_e32 v18, v[10:11]
	v_add_f64 v[35:36], v[31:32], 1.0
	v_add_f64 v[41:42], v[31:32], -1.0
	s_delay_alu instid0(VALU_DEP_2) | instskip(SKIP_1) | instid1(VALU_DEP_1)
	v_rcp_f64_e32 v[37:38], v[35:36]
	v_add_f64 v[47:48], v[35:36], -1.0
	v_add_f64 v[31:32], v[31:32], -v[47:48]
	s_waitcnt_depctr 0xfff
	v_fma_f64 v[39:40], -v[35:36], v[37:38], 1.0
	s_delay_alu instid0(VALU_DEP_1) | instskip(NEXT) | instid1(VALU_DEP_1)
	v_fma_f64 v[37:38], v[39:40], v[37:38], v[37:38]
	v_fma_f64 v[39:40], -v[35:36], v[37:38], 1.0
	s_delay_alu instid0(VALU_DEP_1) | instskip(SKIP_1) | instid1(VALU_DEP_2)
	v_fma_f64 v[37:38], v[39:40], v[37:38], v[37:38]
	v_max_f64 v[39:40], |v[3:4]|, |v[3:4]|
	v_mul_f64 v[43:44], v[41:42], v[37:38]
	s_delay_alu instid0(VALU_DEP_2) | instskip(SKIP_1) | instid1(VALU_DEP_3)
	v_max_f64 v[51:52], v[45:46], v[39:40]
	v_min_f64 v[39:40], v[45:46], v[39:40]
	v_mul_f64 v[49:50], v[35:36], v[43:44]
	s_delay_alu instid0(VALU_DEP_2) | instskip(NEXT) | instid1(VALU_DEP_2)
	v_div_scale_f64 v[45:46], null, v[51:52], v[51:52], v[39:40]
	v_fma_f64 v[35:36], v[43:44], v[35:36], -v[49:50]
	s_delay_alu instid0(VALU_DEP_1) | instskip(NEXT) | instid1(VALU_DEP_3)
	v_fma_f64 v[31:32], v[43:44], v[31:32], v[35:36]
	v_rcp_f64_e32 v[35:36], v[45:46]
	s_delay_alu instid0(VALU_DEP_1) | instskip(SKIP_4) | instid1(VALU_DEP_3)
	v_add_f64 v[47:48], v[49:50], v[31:32]
	s_waitcnt_depctr 0xfff
	v_fma_f64 v[53:54], -v[45:46], v[35:36], 1.0
	v_add_f64 v[55:56], v[41:42], -v[47:48]
	v_add_f64 v[49:50], v[47:48], -v[49:50]
	v_fma_f64 v[35:36], v[35:36], v[53:54], v[35:36]
	s_delay_alu instid0(VALU_DEP_3) | instskip(NEXT) | instid1(VALU_DEP_3)
	v_add_f64 v[41:42], v[41:42], -v[55:56]
	v_add_f64 v[31:32], v[49:50], -v[31:32]
	s_delay_alu instid0(VALU_DEP_3) | instskip(NEXT) | instid1(VALU_DEP_3)
	v_fma_f64 v[53:54], -v[45:46], v[35:36], 1.0
	v_add_f64 v[41:42], v[41:42], -v[47:48]
	v_div_scale_f64 v[47:48], vcc_lo, v[39:40], v[51:52], v[39:40]
	s_delay_alu instid0(VALU_DEP_3) | instskip(NEXT) | instid1(VALU_DEP_3)
	v_fma_f64 v[35:36], v[35:36], v[53:54], v[35:36]
	v_add_f64 v[31:32], v[31:32], v[41:42]
	s_delay_alu instid0(VALU_DEP_2) | instskip(NEXT) | instid1(VALU_DEP_2)
	v_mul_f64 v[41:42], v[47:48], v[35:36]
	v_add_f64 v[31:32], v[55:56], v[31:32]
	s_delay_alu instid0(VALU_DEP_2) | instskip(NEXT) | instid1(VALU_DEP_2)
	v_fma_f64 v[45:46], -v[45:46], v[41:42], v[47:48]
	v_mul_f64 v[31:32], v[37:38], v[31:32]
	s_delay_alu instid0(VALU_DEP_2) | instskip(SKIP_2) | instid1(VALU_DEP_4)
	v_div_fmas_f64 v[35:36], v[45:46], v[35:36], v[41:42]
	v_subrev_co_ci_u32_e64 v18, vcc_lo, 0, v18, s6
	v_cmp_class_f64_e64 s6, v[1:2], 0x204
	v_add_f64 v[37:38], v[43:44], v[31:32]
	s_delay_alu instid0(VALU_DEP_4) | instskip(NEXT) | instid1(VALU_DEP_2)
	v_div_fixup_f64 v[35:36], v[35:36], v[51:52], v[39:40]
	v_mul_f64 v[39:40], v[37:38], v[37:38]
	s_delay_alu instid0(VALU_DEP_2) | instskip(NEXT) | instid1(VALU_DEP_2)
	v_mul_f64 v[41:42], v[35:36], v[35:36]
	v_fma_f64 v[45:46], v[39:40], s[28:29], s[26:27]
	v_mul_f64 v[49:50], v[37:38], v[39:40]
	s_delay_alu instid0(VALU_DEP_3) | instskip(NEXT) | instid1(VALU_DEP_3)
	v_fma_f64 v[47:48], v[41:42], s[48:49], s[46:47]
	v_fma_f64 v[45:46], v[39:40], v[45:46], s[34:35]
	s_delay_alu instid0(VALU_DEP_2) | instskip(NEXT) | instid1(VALU_DEP_2)
	v_fma_f64 v[47:48], v[41:42], v[47:48], s[50:51]
	v_fma_f64 v[45:46], v[39:40], v[45:46], s[36:37]
	s_delay_alu instid0(VALU_DEP_2) | instskip(NEXT) | instid1(VALU_DEP_2)
	;; [unrolled: 3-line block ×4, first 2 shown]
	v_fma_f64 v[47:48], v[41:42], v[47:48], s[56:57]
	v_fma_f64 v[39:40], v[39:40], v[45:46], s[98:99]
	s_delay_alu instid0(VALU_DEP_2) | instskip(SKIP_2) | instid1(VALU_DEP_4)
	v_fma_f64 v[45:46], v[41:42], v[47:48], s[58:59]
	v_ldexp_f64 v[47:48], v[37:38], 1
	v_add_f64 v[37:38], v[37:38], -v[43:44]
	v_mul_f64 v[39:40], v[49:50], v[39:40]
	v_cvt_f64_i32_e32 v[49:50], v18
	v_ashrrev_i32_e32 v18, 31, v2
	v_fma_f64 v[45:46], v[41:42], v[45:46], s[60:61]
	v_add_f64 v[31:32], v[31:32], -v[37:38]
	v_add_f64 v[43:44], v[47:48], v[39:40]
	v_mul_f64 v[51:52], v[49:50], s[42:43]
	s_delay_alu instid0(VALU_DEP_4) | instskip(NEXT) | instid1(VALU_DEP_4)
	v_fma_f64 v[45:46], v[41:42], v[45:46], s[62:63]
	v_ldexp_f64 v[31:32], v[31:32], 1
	s_delay_alu instid0(VALU_DEP_4) | instskip(NEXT) | instid1(VALU_DEP_4)
	v_add_f64 v[37:38], v[43:44], -v[47:48]
	v_fma_f64 v[47:48], v[49:50], s[42:43], -v[51:52]
	s_delay_alu instid0(VALU_DEP_4) | instskip(NEXT) | instid1(VALU_DEP_3)
	v_fma_f64 v[45:46], v[41:42], v[45:46], s[64:65]
	v_add_f64 v[37:38], v[39:40], -v[37:38]
	s_delay_alu instid0(VALU_DEP_2) | instskip(NEXT) | instid1(VALU_DEP_4)
	v_fma_f64 v[39:40], v[41:42], v[45:46], s[66:67]
	v_fma_f64 v[45:46], v[49:50], s[44:45], v[47:48]
	s_delay_alu instid0(VALU_DEP_3) | instskip(NEXT) | instid1(VALU_DEP_3)
	v_add_f64 v[31:32], v[31:32], v[37:38]
	v_fma_f64 v[37:38], v[41:42], v[39:40], s[68:69]
	s_delay_alu instid0(VALU_DEP_3) | instskip(NEXT) | instid1(VALU_DEP_3)
	v_add_f64 v[39:40], v[51:52], v[45:46]
	v_add_f64 v[47:48], v[43:44], v[31:32]
	s_delay_alu instid0(VALU_DEP_3) | instskip(NEXT) | instid1(VALU_DEP_3)
	v_fma_f64 v[37:38], v[41:42], v[37:38], s[70:71]
	v_add_f64 v[51:52], v[39:40], -v[51:52]
	s_delay_alu instid0(VALU_DEP_3) | instskip(SKIP_1) | instid1(VALU_DEP_4)
	v_add_f64 v[49:50], v[39:40], v[47:48]
	v_add_f64 v[43:44], v[47:48], -v[43:44]
	v_fma_f64 v[37:38], v[41:42], v[37:38], s[72:73]
	s_delay_alu instid0(VALU_DEP_4) | instskip(NEXT) | instid1(VALU_DEP_4)
	v_add_f64 v[45:46], v[45:46], -v[51:52]
	v_add_f64 v[53:54], v[49:50], -v[39:40]
	s_delay_alu instid0(VALU_DEP_4) | instskip(NEXT) | instid1(VALU_DEP_4)
	v_add_f64 v[31:32], v[31:32], -v[43:44]
	v_fma_f64 v[37:38], v[41:42], v[37:38], s[74:75]
	s_delay_alu instid0(VALU_DEP_3) | instskip(SKIP_1) | instid1(VALU_DEP_4)
	v_add_f64 v[55:56], v[49:50], -v[53:54]
	v_add_f64 v[43:44], v[47:48], -v[53:54]
	v_add_f64 v[47:48], v[45:46], v[31:32]
	s_delay_alu instid0(VALU_DEP_4) | instskip(NEXT) | instid1(VALU_DEP_4)
	v_fma_f64 v[37:38], v[41:42], v[37:38], s[76:77]
	v_add_f64 v[39:40], v[39:40], -v[55:56]
	s_delay_alu instid0(VALU_DEP_2) | instskip(NEXT) | instid1(VALU_DEP_2)
	v_fma_f64 v[37:38], v[41:42], v[37:38], s[78:79]
	v_add_f64 v[39:40], v[43:44], v[39:40]
	v_add_f64 v[43:44], v[47:48], -v[45:46]
	s_delay_alu instid0(VALU_DEP_3) | instskip(NEXT) | instid1(VALU_DEP_3)
	v_fma_f64 v[37:38], v[41:42], v[37:38], s[80:81]
	v_add_f64 v[39:40], v[47:48], v[39:40]
	s_delay_alu instid0(VALU_DEP_3) | instskip(SKIP_1) | instid1(VALU_DEP_4)
	v_add_f64 v[47:48], v[47:48], -v[43:44]
	v_add_f64 v[31:32], v[31:32], -v[43:44]
	v_fma_f64 v[37:38], v[41:42], v[37:38], s[82:83]
	s_delay_alu instid0(VALU_DEP_4) | instskip(NEXT) | instid1(VALU_DEP_4)
	v_add_f64 v[51:52], v[49:50], v[39:40]
	v_add_f64 v[43:44], v[45:46], -v[47:48]
	s_delay_alu instid0(VALU_DEP_3) | instskip(NEXT) | instid1(VALU_DEP_3)
	v_fma_f64 v[37:38], v[41:42], v[37:38], s[84:85]
	v_add_f64 v[45:46], v[51:52], -v[49:50]
	s_delay_alu instid0(VALU_DEP_3) | instskip(NEXT) | instid1(VALU_DEP_3)
	v_add_f64 v[31:32], v[31:32], v[43:44]
	v_mul_f64 v[37:38], v[41:42], v[37:38]
	s_delay_alu instid0(VALU_DEP_3) | instskip(NEXT) | instid1(VALU_DEP_2)
	v_add_f64 v[39:40], v[39:40], -v[45:46]
	v_fma_f64 v[35:36], v[35:36], v[37:38], v[35:36]
	s_delay_alu instid0(VALU_DEP_2) | instskip(NEXT) | instid1(VALU_DEP_2)
	v_add_f64 v[31:32], v[31:32], v[39:40]
	v_add_f64 v[37:38], -v[35:36], s[86:87]
	s_delay_alu instid0(VALU_DEP_2) | instskip(SKIP_1) | instid1(VALU_DEP_1)
	v_add_f64 v[31:32], v[51:52], v[31:32]
	v_and_b32_e32 v34, 0x7fffffff, v34
	v_cmp_eq_f64_e32 vcc_lo, 0x7ff00000, v[33:34]
	s_delay_alu instid0(VALU_DEP_4) | instskip(SKIP_2) | instid1(VALU_DEP_2)
	v_cndmask_b32_e64 v34, v36, v38, s4
	v_cndmask_b32_e64 v33, v35, v37, s4
	v_cmp_eq_f64_e64 s4, 0, v[3:4]
	v_add_f64 v[35:36], -v[33:34], s[14:15]
	s_and_b32 vcc_lo, s5, vcc_lo
	v_cmp_class_f64_e64 s5, v[3:4], 0x204
	v_cndmask_b32_e32 v31, v31, v9, vcc_lo
	v_dual_cndmask_b32 v32, v32, v57 :: v_dual_and_b32 v9, 0x54442d18, v18
	v_cmp_gt_i32_e32 vcc_lo, 0, v2
	v_and_b32_e32 v2, 0x400921fb, v18
	s_delay_alu instid0(VALU_DEP_3) | instskip(SKIP_3) | instid1(VALU_DEP_3)
	v_add_f64 v[31:32], v[31:32], 1.0
	v_cndmask_b32_e32 v33, v33, v35, vcc_lo
	v_cndmask_b32_e32 v37, 0x54442d18, v59, vcc_lo
	;; [unrolled: 1-line block ×3, first 2 shown]
	v_cndmask_b32_e64 v33, v33, v9, s4
	v_cndmask_b32_e32 v18, v34, v36, vcc_lo
	v_cmp_ngt_f64_e32 vcc_lo, 0, v[10:11]
	s_delay_alu instid0(VALU_DEP_4) | instskip(NEXT) | instid1(VALU_DEP_3)
	v_bfi_b32 v1, 0x7fffffff, v1, v4
	v_cndmask_b32_e64 v2, v18, v2, s4
	v_cmp_nge_f64_e64 s4, 0, v[10:11]
	v_cndmask_b32_e64 v9, v31, 0, s8
	v_cndmask_b32_e64 v32, v32, 0x7ff00000, s8
	s_delay_alu instid0(VALU_DEP_1)
	v_cndmask_b32_e32 v18, 0x7ff80000, v32, vcc_lo
	s_and_b32 vcc_lo, s5, s6
	v_cndmask_b32_e32 v31, v33, v37, vcc_lo
	v_cndmask_b32_e32 v32, v2, v1, vcc_lo
	v_cndmask_b32_e64 v9, 0, v9, s4
	v_cmp_neq_f64_e64 s4, 0, v[10:11]
	s_delay_alu instid0(VALU_DEP_1)
	v_cndmask_b32_e64 v10, 0xfff00000, v18, s4
.LBB192_214:                            ;   in Loop: Header=BB192_145 Depth=1
	s_or_b32 exec_lo, exec_lo, s7
.LBB192_215:                            ;   in Loop: Header=BB192_145 Depth=1
	s_and_not1_saveexec_b32 s4, s89
	s_cbranch_execz .LBB192_221
; %bb.216:                              ;   in Loop: Header=BB192_145 Depth=1
	v_cmp_ngt_f64_e64 s5, 0x20000000, |v[1:2]|
	v_cmp_ngt_f64_e64 s6, 0x20000000, |v[3:4]|
                                        ; implicit-def: $vgpr10_vgpr11
	s_delay_alu instid0(VALU_DEP_1) | instskip(NEXT) | instid1(SALU_CYCLE_1)
	s_or_b32 s5, s6, s5
	s_and_saveexec_b32 s6, s5
	s_delay_alu instid0(SALU_CYCLE_1)
	s_xor_b32 s5, exec_lo, s6
; %bb.217:                              ;   in Loop: Header=BB192_145 Depth=1
	v_mul_f64 v[1:2], v[1:2], v[1:2]
	s_delay_alu instid0(VALU_DEP_1)
	v_fma_f64 v[10:11], v[3:4], v[3:4], v[1:2]
; %bb.218:                              ;   in Loop: Header=BB192_145 Depth=1
	s_and_not1_saveexec_b32 s5, s5
; %bb.219:                              ;   in Loop: Header=BB192_145 Depth=1
	v_mul_f64 v[1:2], v[1:2], 4.0
	v_mul_f64 v[9:10], v[3:4], 4.0
	s_delay_alu instid0(VALU_DEP_2) | instskip(NEXT) | instid1(VALU_DEP_1)
	v_mul_f64 v[1:2], v[1:2], v[1:2]
	v_fma_f64 v[1:2], v[9:10], v[9:10], v[1:2]
	s_delay_alu instid0(VALU_DEP_1)
	v_ldexp_f64 v[10:11], v[1:2], -4
; %bb.220:                              ;   in Loop: Header=BB192_145 Depth=1
	s_or_b32 exec_lo, exec_lo, s5
	s_delay_alu instid0(VALU_DEP_1) | instskip(SKIP_2) | instid1(VALU_DEP_2)
	v_frexp_mant_f64_e32 v[1:2], v[10:11]
	s_mov_b32 s99, s25
	v_frexp_exp_i32_f64_e32 v3, v[10:11]
	v_cmp_gt_f64_e32 vcc_lo, s[24:25], v[1:2]
	v_cndmask_b32_e64 v18, 0x3ff00000, 2.0, vcc_lo
	s_delay_alu instid0(VALU_DEP_3) | instskip(SKIP_1) | instid1(VALU_DEP_3)
	v_subrev_co_ci_u32_e32 v3, vcc_lo, 0, v3, vcc_lo
	v_cmp_class_f64_e64 vcc_lo, v[10:11], 0x204
	v_mul_f64 v[1:2], v[1:2], v[17:18]
	s_delay_alu instid0(VALU_DEP_1) | instskip(SKIP_1) | instid1(VALU_DEP_2)
	v_add_f64 v[31:32], v[1:2], 1.0
	v_add_f64 v[37:38], v[1:2], -1.0
	v_rcp_f64_e32 v[33:34], v[31:32]
	v_add_f64 v[39:40], v[31:32], -1.0
	s_delay_alu instid0(VALU_DEP_1) | instskip(SKIP_2) | instid1(VALU_DEP_1)
	v_add_f64 v[1:2], v[1:2], -v[39:40]
	s_waitcnt_depctr 0xfff
	v_fma_f64 v[35:36], -v[31:32], v[33:34], 1.0
	v_fma_f64 v[33:34], v[35:36], v[33:34], v[33:34]
	s_delay_alu instid0(VALU_DEP_1) | instskip(NEXT) | instid1(VALU_DEP_1)
	v_fma_f64 v[35:36], -v[31:32], v[33:34], 1.0
	v_fma_f64 v[33:34], v[35:36], v[33:34], v[33:34]
	s_delay_alu instid0(VALU_DEP_1) | instskip(NEXT) | instid1(VALU_DEP_1)
	v_mul_f64 v[35:36], v[37:38], v[33:34]
	v_mul_f64 v[41:42], v[31:32], v[35:36]
	s_delay_alu instid0(VALU_DEP_1) | instskip(NEXT) | instid1(VALU_DEP_1)
	v_fma_f64 v[31:32], v[35:36], v[31:32], -v[41:42]
	v_fma_f64 v[1:2], v[35:36], v[1:2], v[31:32]
	s_delay_alu instid0(VALU_DEP_1) | instskip(NEXT) | instid1(VALU_DEP_1)
	v_add_f64 v[31:32], v[41:42], v[1:2]
	v_add_f64 v[39:40], v[37:38], -v[31:32]
	v_add_f64 v[41:42], v[31:32], -v[41:42]
	s_delay_alu instid0(VALU_DEP_2) | instskip(NEXT) | instid1(VALU_DEP_2)
	v_add_f64 v[37:38], v[37:38], -v[39:40]
	v_add_f64 v[1:2], v[41:42], -v[1:2]
	s_delay_alu instid0(VALU_DEP_2) | instskip(NEXT) | instid1(VALU_DEP_1)
	v_add_f64 v[31:32], v[37:38], -v[31:32]
	v_add_f64 v[1:2], v[1:2], v[31:32]
	s_delay_alu instid0(VALU_DEP_1) | instskip(NEXT) | instid1(VALU_DEP_1)
	v_add_f64 v[1:2], v[39:40], v[1:2]
	v_mul_f64 v[1:2], v[33:34], v[1:2]
	s_delay_alu instid0(VALU_DEP_1) | instskip(NEXT) | instid1(VALU_DEP_1)
	v_add_f64 v[31:32], v[35:36], v[1:2]
	v_mul_f64 v[33:34], v[31:32], v[31:32]
	s_delay_alu instid0(VALU_DEP_1) | instskip(SKIP_1) | instid1(VALU_DEP_2)
	v_fma_f64 v[37:38], v[33:34], s[28:29], s[26:27]
	v_mul_f64 v[39:40], v[31:32], v[33:34]
	v_fma_f64 v[37:38], v[33:34], v[37:38], s[34:35]
	s_delay_alu instid0(VALU_DEP_1) | instskip(NEXT) | instid1(VALU_DEP_1)
	v_fma_f64 v[37:38], v[33:34], v[37:38], s[36:37]
	v_fma_f64 v[37:38], v[33:34], v[37:38], s[38:39]
	s_delay_alu instid0(VALU_DEP_1) | instskip(NEXT) | instid1(VALU_DEP_1)
	v_fma_f64 v[37:38], v[33:34], v[37:38], s[40:41]
	v_fma_f64 v[33:34], v[33:34], v[37:38], s[98:99]
	v_ldexp_f64 v[37:38], v[31:32], 1
	v_add_f64 v[31:32], v[31:32], -v[35:36]
	s_delay_alu instid0(VALU_DEP_3) | instskip(SKIP_1) | instid1(VALU_DEP_3)
	v_mul_f64 v[33:34], v[39:40], v[33:34]
	v_cvt_f64_i32_e32 v[39:40], v3
	v_add_f64 v[1:2], v[1:2], -v[31:32]
	s_delay_alu instid0(VALU_DEP_3) | instskip(NEXT) | instid1(VALU_DEP_3)
	v_add_f64 v[35:36], v[37:38], v[33:34]
	v_mul_f64 v[41:42], v[39:40], s[42:43]
	s_delay_alu instid0(VALU_DEP_3) | instskip(NEXT) | instid1(VALU_DEP_3)
	v_ldexp_f64 v[1:2], v[1:2], 1
	v_add_f64 v[31:32], v[35:36], -v[37:38]
	s_delay_alu instid0(VALU_DEP_3) | instskip(NEXT) | instid1(VALU_DEP_2)
	v_fma_f64 v[37:38], v[39:40], s[42:43], -v[41:42]
	v_add_f64 v[31:32], v[33:34], -v[31:32]
	s_delay_alu instid0(VALU_DEP_2) | instskip(NEXT) | instid1(VALU_DEP_2)
	v_fma_f64 v[33:34], v[39:40], s[44:45], v[37:38]
	v_add_f64 v[1:2], v[1:2], v[31:32]
	s_delay_alu instid0(VALU_DEP_2) | instskip(NEXT) | instid1(VALU_DEP_2)
	v_add_f64 v[31:32], v[41:42], v[33:34]
	v_add_f64 v[37:38], v[35:36], v[1:2]
	s_delay_alu instid0(VALU_DEP_2) | instskip(NEXT) | instid1(VALU_DEP_2)
	v_add_f64 v[41:42], v[31:32], -v[41:42]
	v_add_f64 v[39:40], v[31:32], v[37:38]
	v_add_f64 v[35:36], v[37:38], -v[35:36]
	s_delay_alu instid0(VALU_DEP_3) | instskip(NEXT) | instid1(VALU_DEP_3)
	v_add_f64 v[33:34], v[33:34], -v[41:42]
	v_add_f64 v[43:44], v[39:40], -v[31:32]
	s_delay_alu instid0(VALU_DEP_3) | instskip(NEXT) | instid1(VALU_DEP_2)
	v_add_f64 v[1:2], v[1:2], -v[35:36]
	v_add_f64 v[45:46], v[39:40], -v[43:44]
	;; [unrolled: 1-line block ×3, first 2 shown]
	s_delay_alu instid0(VALU_DEP_3) | instskip(NEXT) | instid1(VALU_DEP_3)
	v_add_f64 v[37:38], v[33:34], v[1:2]
	v_add_f64 v[31:32], v[31:32], -v[45:46]
	s_delay_alu instid0(VALU_DEP_1) | instskip(NEXT) | instid1(VALU_DEP_3)
	v_add_f64 v[31:32], v[35:36], v[31:32]
	v_add_f64 v[35:36], v[37:38], -v[33:34]
	s_delay_alu instid0(VALU_DEP_2) | instskip(NEXT) | instid1(VALU_DEP_2)
	v_add_f64 v[31:32], v[37:38], v[31:32]
	v_add_f64 v[37:38], v[37:38], -v[35:36]
	v_add_f64 v[1:2], v[1:2], -v[35:36]
	s_delay_alu instid0(VALU_DEP_3) | instskip(NEXT) | instid1(VALU_DEP_3)
	v_add_f64 v[41:42], v[39:40], v[31:32]
	v_add_f64 v[33:34], v[33:34], -v[37:38]
	s_delay_alu instid0(VALU_DEP_2) | instskip(NEXT) | instid1(VALU_DEP_2)
	v_add_f64 v[35:36], v[41:42], -v[39:40]
	v_add_f64 v[1:2], v[1:2], v[33:34]
	s_delay_alu instid0(VALU_DEP_2) | instskip(NEXT) | instid1(VALU_DEP_1)
	v_add_f64 v[31:32], v[31:32], -v[35:36]
	v_add_f64 v[1:2], v[1:2], v[31:32]
	v_mov_b32_e32 v31, 0
	v_mov_b32_e32 v32, 0x7ff80000
	s_delay_alu instid0(VALU_DEP_3) | instskip(NEXT) | instid1(VALU_DEP_1)
	v_add_f64 v[1:2], v[41:42], v[1:2]
	v_dual_cndmask_b32 v1, v1, v10 :: v_dual_cndmask_b32 v2, v2, v11
	v_cmp_ngt_f64_e32 vcc_lo, 0, v[10:11]
	s_delay_alu instid0(VALU_DEP_2) | instskip(SKIP_1) | instid1(VALU_DEP_4)
	v_cndmask_b32_e32 v2, 0x7ff80000, v2, vcc_lo
	v_cmp_nge_f64_e32 vcc_lo, 0, v[10:11]
	v_cndmask_b32_e32 v9, 0, v1, vcc_lo
	v_cmp_neq_f64_e32 vcc_lo, 0, v[10:11]
	s_delay_alu instid0(VALU_DEP_4)
	v_cndmask_b32_e32 v10, 0xfff00000, v2, vcc_lo
.LBB192_221:                            ;   in Loop: Header=BB192_145 Depth=1
	s_or_b32 exec_lo, exec_lo, s4
                                        ; implicit-def: $vgpr1_vgpr2
                                        ; implicit-def: $vgpr33_vgpr34
	s_delay_alu instid0(SALU_CYCLE_1)
	s_mov_b32 s4, exec_lo
	v_cmpx_o_f64_e32 v[13:14], v[15:16]
	s_xor_b32 s89, exec_lo, s4
	s_cbranch_execz .LBB192_249
; %bb.222:                              ;   in Loop: Header=BB192_145 Depth=1
	v_cmp_lt_f64_e64 s4, |v[13:14]|, |v[15:16]|
	v_dual_mov_b32 v18, v15 :: v_dual_and_b32 v3, 0x7fffffff, v14
	v_and_b32_e32 v11, 0x7fffffff, v16
                                        ; implicit-def: $vgpr1_vgpr2
                                        ; implicit-def: $vgpr33_vgpr34
	s_mov_b32 s5, exec_lo
	s_delay_alu instid0(VALU_DEP_1) | instskip(NEXT) | instid1(VALU_DEP_3)
	v_cndmask_b32_e64 v38, v11, v3, s4
	v_cndmask_b32_e64 v37, v18, v13, s4
	s_delay_alu instid0(VALU_DEP_1)
	v_cmpx_nlt_f64_e32 s[18:19], v[37:38]
	s_xor_b32 s20, exec_lo, s5
	s_cbranch_execz .LBB192_246
; %bb.223:                              ;   in Loop: Header=BB192_145 Depth=1
	v_cndmask_b32_e64 v40, v3, v11, s4
	v_cndmask_b32_e64 v39, v13, v18, s4
                                        ; implicit-def: $vgpr1_vgpr2
                                        ; implicit-def: $vgpr33_vgpr34
	s_mov_b32 s5, exec_lo
	s_delay_alu instid0(VALU_DEP_1)
	v_cmpx_neq_f64_e32 1.0, v[39:40]
	s_xor_b32 s21, exec_lo, s5
	s_cbranch_execz .LBB192_239
; %bb.224:                              ;   in Loop: Header=BB192_145 Depth=1
	v_max_f64 v[1:2], v[37:38], v[37:38]
	v_max_f64 v[33:34], v[39:40], v[39:40]
	s_mov_b32 s6, 0xc57e649a
	s_mov_b32 s7, 0x4a511b0e
	s_delay_alu instid0(VALU_DEP_1) | instskip(SKIP_1) | instid1(VALU_DEP_2)
	v_min_f64 v[35:36], v[33:34], v[1:2]
	v_max_f64 v[1:2], v[33:34], v[1:2]
                                        ; implicit-def: $vgpr33_vgpr34
	v_cmp_ngt_f64_e32 vcc_lo, s[12:13], v[35:36]
	s_delay_alu instid0(VALU_DEP_2) | instskip(NEXT) | instid1(VALU_DEP_1)
	v_cmp_nlt_f64_e64 s5, s[6:7], v[1:2]
                                        ; implicit-def: $vgpr1_vgpr2
	s_and_b32 s5, s5, vcc_lo
	s_delay_alu instid0(SALU_CYCLE_1) | instskip(NEXT) | instid1(SALU_CYCLE_1)
	s_and_saveexec_b32 s6, s5
	s_xor_b32 s22, exec_lo, s6
	s_cbranch_execz .LBB192_236
; %bb.225:                              ;   in Loop: Header=BB192_145 Depth=1
                                        ; implicit-def: $vgpr1_vgpr2
                                        ; implicit-def: $vgpr33_vgpr34
	s_mov_b32 s5, exec_lo
	v_cmpx_le_f64_e32 1.0, v[39:40]
	s_xor_b32 s6, exec_lo, s5
	s_cbranch_execz .LBB192_227
; %bb.226:                              ;   in Loop: Header=BB192_145 Depth=1
	v_add_f64 v[1:2], v[39:40], -1.0
	v_add_f64 v[33:34], v[39:40], 1.0
	s_mov_b32 s99, s25
	s_mov_b32 s14, s86
	v_cmp_gt_i32_e64 s5, 0, v14
	v_cmp_class_f64_e64 s8, v[13:14], 0x204
	v_cmp_class_f64_e64 s7, v[15:16], 0x204
	s_delay_alu instid0(VALU_DEP_4) | instskip(NEXT) | instid1(VALU_DEP_1)
	v_mul_f64 v[1:2], v[1:2], v[33:34]
	v_fma_f64 v[2:3], v[37:38], v[37:38], v[1:2]
	s_delay_alu instid0(VALU_DEP_1) | instskip(NEXT) | instid1(VALU_DEP_1)
	v_add_f64 v[33:34], v[2:3], 1.0
	v_frexp_mant_f64_e32 v[35:36], v[33:34]
	v_frexp_exp_i32_f64_e32 v1, v[33:34]
	v_add_f64 v[37:38], v[33:34], -1.0
	s_delay_alu instid0(VALU_DEP_3) | instskip(NEXT) | instid1(VALU_DEP_2)
	v_cmp_gt_f64_e32 vcc_lo, s[24:25], v[35:36]
	v_add_f64 v[35:36], v[37:38], -v[33:34]
	v_add_f64 v[37:38], v[2:3], -v[37:38]
	v_subrev_co_ci_u32_e32 v1, vcc_lo, 0, v1, vcc_lo
	s_delay_alu instid0(VALU_DEP_3) | instskip(NEXT) | instid1(VALU_DEP_2)
	v_add_f64 v[35:36], v[35:36], 1.0
	v_sub_nc_u32_e32 v11, 0, v1
	s_delay_alu instid0(VALU_DEP_1) | instskip(NEXT) | instid1(VALU_DEP_3)
	v_ldexp_f64 v[33:34], v[33:34], v11
	v_add_f64 v[35:36], v[37:38], v[35:36]
	s_delay_alu instid0(VALU_DEP_2) | instskip(SKIP_1) | instid1(VALU_DEP_3)
	v_add_f64 v[39:40], v[33:34], 1.0
	v_add_f64 v[45:46], v[33:34], -1.0
	v_ldexp_f64 v[35:36], v[35:36], v11
	v_cndmask_b32_e64 v11, 0x54442d18, v59, s5
	s_delay_alu instid0(VALU_DEP_4) | instskip(NEXT) | instid1(VALU_DEP_4)
	v_add_f64 v[37:38], v[39:40], -1.0
	v_add_f64 v[47:48], v[45:46], 1.0
	s_delay_alu instid0(VALU_DEP_2) | instskip(NEXT) | instid1(VALU_DEP_2)
	v_add_f64 v[37:38], v[33:34], -v[37:38]
	v_add_f64 v[33:34], v[33:34], -v[47:48]
	s_delay_alu instid0(VALU_DEP_2) | instskip(NEXT) | instid1(VALU_DEP_2)
	v_add_f64 v[37:38], v[35:36], v[37:38]
	v_add_f64 v[33:34], v[35:36], v[33:34]
	s_delay_alu instid0(VALU_DEP_2) | instskip(NEXT) | instid1(VALU_DEP_2)
	v_add_f64 v[41:42], v[39:40], v[37:38]
	v_add_f64 v[47:48], v[45:46], v[33:34]
	s_delay_alu instid0(VALU_DEP_2) | instskip(SKIP_1) | instid1(VALU_DEP_2)
	v_rcp_f64_e32 v[43:44], v[41:42]
	v_add_f64 v[39:40], v[41:42], -v[39:40]
	v_add_f64 v[45:46], v[47:48], -v[45:46]
	s_delay_alu instid0(VALU_DEP_2) | instskip(SKIP_3) | instid1(VALU_DEP_2)
	v_add_f64 v[37:38], v[37:38], -v[39:40]
	s_waitcnt_depctr 0xfff
	v_fma_f64 v[49:50], -v[41:42], v[43:44], 1.0
	v_add_f64 v[33:34], v[33:34], -v[45:46]
	v_fma_f64 v[43:44], v[49:50], v[43:44], v[43:44]
	s_delay_alu instid0(VALU_DEP_1) | instskip(NEXT) | instid1(VALU_DEP_1)
	v_fma_f64 v[35:36], -v[41:42], v[43:44], 1.0
	v_fma_f64 v[35:36], v[35:36], v[43:44], v[43:44]
	s_delay_alu instid0(VALU_DEP_1) | instskip(NEXT) | instid1(VALU_DEP_1)
	v_mul_f64 v[43:44], v[47:48], v[35:36]
	v_mul_f64 v[49:50], v[41:42], v[43:44]
	s_delay_alu instid0(VALU_DEP_1) | instskip(NEXT) | instid1(VALU_DEP_1)
	v_fma_f64 v[39:40], v[43:44], v[41:42], -v[49:50]
	v_fma_f64 v[39:40], v[43:44], v[37:38], v[39:40]
	s_delay_alu instid0(VALU_DEP_1) | instskip(NEXT) | instid1(VALU_DEP_1)
	v_add_f64 v[51:52], v[49:50], v[39:40]
	v_add_f64 v[53:54], v[47:48], -v[51:52]
	v_add_f64 v[45:46], v[51:52], -v[49:50]
	v_max_f64 v[49:50], |v[15:16]|, |v[15:16]|
	s_delay_alu instid0(VALU_DEP_3) | instskip(NEXT) | instid1(VALU_DEP_3)
	v_add_f64 v[47:48], v[47:48], -v[53:54]
	v_add_f64 v[39:40], v[45:46], -v[39:40]
	s_delay_alu instid0(VALU_DEP_2) | instskip(SKIP_2) | instid1(VALU_DEP_1)
	v_add_f64 v[47:48], v[47:48], -v[51:52]
	v_max_f64 v[51:52], |v[13:14]|, |v[13:14]|
	v_cndmask_b32_e64 v13, 0x3fe921fb, v60, s5
	v_bfi_b32 v13, 0x7fffffff, v13, v16
	s_delay_alu instid0(VALU_DEP_4) | instskip(NEXT) | instid1(VALU_DEP_4)
	v_add_f64 v[33:34], v[33:34], v[47:48]
	v_max_f64 v[55:56], v[51:52], v[49:50]
	v_min_f64 v[49:50], v[51:52], v[49:50]
	s_delay_alu instid0(VALU_DEP_3) | instskip(NEXT) | instid1(VALU_DEP_1)
	v_add_f64 v[33:34], v[39:40], v[33:34]
	v_add_f64 v[39:40], v[53:54], v[33:34]
	s_delay_alu instid0(VALU_DEP_1) | instskip(SKIP_1) | instid1(VALU_DEP_2)
	v_mul_f64 v[45:46], v[35:36], v[39:40]
	v_add_f64 v[53:54], v[53:54], -v[39:40]
	v_mul_f64 v[47:48], v[41:42], v[45:46]
	s_delay_alu instid0(VALU_DEP_2) | instskip(NEXT) | instid1(VALU_DEP_2)
	v_add_f64 v[33:34], v[33:34], v[53:54]
	v_fma_f64 v[41:42], v[45:46], v[41:42], -v[47:48]
	s_delay_alu instid0(VALU_DEP_1) | instskip(SKIP_1) | instid1(VALU_DEP_2)
	v_fma_f64 v[37:38], v[45:46], v[37:38], v[41:42]
	v_div_scale_f64 v[41:42], null, v[55:56], v[55:56], v[49:50]
	v_add_f64 v[51:52], v[47:48], v[37:38]
	s_delay_alu instid0(VALU_DEP_2) | instskip(NEXT) | instid1(VALU_DEP_1)
	v_rcp_f64_e32 v[57:58], v[41:42]
	v_add_f64 v[61:62], v[39:40], -v[51:52]
	v_add_f64 v[47:48], v[51:52], -v[47:48]
	s_waitcnt_depctr 0xfff
	v_fma_f64 v[63:64], -v[41:42], v[57:58], 1.0
	v_add_f64 v[39:40], v[39:40], -v[61:62]
	v_add_f64 v[37:38], v[47:48], -v[37:38]
	s_delay_alu instid0(VALU_DEP_3) | instskip(NEXT) | instid1(VALU_DEP_3)
	v_fma_f64 v[57:58], v[57:58], v[63:64], v[57:58]
	v_add_f64 v[39:40], v[39:40], -v[51:52]
	s_delay_alu instid0(VALU_DEP_2) | instskip(NEXT) | instid1(VALU_DEP_2)
	v_fma_f64 v[51:52], -v[41:42], v[57:58], 1.0
	v_add_f64 v[33:34], v[33:34], v[39:40]
	v_div_scale_f64 v[39:40], vcc_lo, v[49:50], v[55:56], v[49:50]
	s_delay_alu instid0(VALU_DEP_3) | instskip(SKIP_1) | instid1(VALU_DEP_4)
	v_fma_f64 v[47:48], v[57:58], v[51:52], v[57:58]
	v_add_f64 v[51:52], v[43:44], v[45:46]
	v_add_f64 v[33:34], v[37:38], v[33:34]
	s_delay_alu instid0(VALU_DEP_3) | instskip(NEXT) | instid1(VALU_DEP_3)
	v_mul_f64 v[37:38], v[39:40], v[47:48]
	v_add_f64 v[43:44], v[51:52], -v[43:44]
	s_delay_alu instid0(VALU_DEP_3) | instskip(NEXT) | instid1(VALU_DEP_3)
	v_add_f64 v[33:34], v[61:62], v[33:34]
	v_fma_f64 v[39:40], -v[41:42], v[37:38], v[39:40]
	s_delay_alu instid0(VALU_DEP_3) | instskip(NEXT) | instid1(VALU_DEP_3)
	v_add_f64 v[41:42], v[45:46], -v[43:44]
	v_mul_f64 v[33:34], v[35:36], v[33:34]
	s_delay_alu instid0(VALU_DEP_3) | instskip(SKIP_1) | instid1(VALU_DEP_3)
	v_div_fmas_f64 v[35:36], v[39:40], v[47:48], v[37:38]
	v_cmp_eq_f64_e32 vcc_lo, 0x7ff00000, v[2:3]
	v_add_f64 v[33:34], v[41:42], v[33:34]
	s_delay_alu instid0(VALU_DEP_3) | instskip(NEXT) | instid1(VALU_DEP_2)
	v_div_fixup_f64 v[35:36], v[35:36], v[55:56], v[49:50]
	v_add_f64 v[37:38], v[51:52], v[33:34]
	s_delay_alu instid0(VALU_DEP_2) | instskip(NEXT) | instid1(VALU_DEP_2)
	v_mul_f64 v[39:40], v[35:36], v[35:36]
	v_mul_f64 v[41:42], v[37:38], v[37:38]
	s_delay_alu instid0(VALU_DEP_2) | instskip(NEXT) | instid1(VALU_DEP_2)
	v_fma_f64 v[43:44], v[39:40], s[48:49], s[46:47]
	v_fma_f64 v[45:46], v[41:42], s[28:29], s[26:27]
	v_mul_f64 v[47:48], v[37:38], v[41:42]
	s_delay_alu instid0(VALU_DEP_3) | instskip(NEXT) | instid1(VALU_DEP_3)
	v_fma_f64 v[43:44], v[39:40], v[43:44], s[50:51]
	v_fma_f64 v[45:46], v[41:42], v[45:46], s[34:35]
	s_delay_alu instid0(VALU_DEP_2) | instskip(NEXT) | instid1(VALU_DEP_2)
	v_fma_f64 v[43:44], v[39:40], v[43:44], s[52:53]
	v_fma_f64 v[45:46], v[41:42], v[45:46], s[36:37]
	s_delay_alu instid0(VALU_DEP_2) | instskip(NEXT) | instid1(VALU_DEP_2)
	v_fma_f64 v[43:44], v[39:40], v[43:44], s[54:55]
	v_fma_f64 v[45:46], v[41:42], v[45:46], s[38:39]
	s_delay_alu instid0(VALU_DEP_2) | instskip(NEXT) | instid1(VALU_DEP_2)
	v_fma_f64 v[43:44], v[39:40], v[43:44], s[56:57]
	v_fma_f64 v[45:46], v[41:42], v[45:46], s[40:41]
	s_delay_alu instid0(VALU_DEP_2) | instskip(NEXT) | instid1(VALU_DEP_2)
	v_fma_f64 v[43:44], v[39:40], v[43:44], s[58:59]
	v_fma_f64 v[41:42], v[41:42], v[45:46], s[98:99]
	v_ldexp_f64 v[45:46], v[37:38], 1
	v_add_f64 v[37:38], v[37:38], -v[51:52]
	s_delay_alu instid0(VALU_DEP_4) | instskip(NEXT) | instid1(VALU_DEP_4)
	v_fma_f64 v[43:44], v[39:40], v[43:44], s[60:61]
	v_mul_f64 v[41:42], v[47:48], v[41:42]
	v_cvt_f64_i32_e32 v[47:48], v1
	s_delay_alu instid0(VALU_DEP_4) | instskip(NEXT) | instid1(VALU_DEP_4)
	v_add_f64 v[33:34], v[33:34], -v[37:38]
	v_fma_f64 v[43:44], v[39:40], v[43:44], s[62:63]
	v_ashrrev_i32_e32 v1, 31, v14
	v_add_f64 v[49:50], v[45:46], v[41:42]
	v_mul_f64 v[51:52], v[47:48], s[42:43]
	v_ldexp_f64 v[33:34], v[33:34], 1
	v_fma_f64 v[43:44], v[39:40], v[43:44], s[64:65]
	s_delay_alu instid0(VALU_DEP_4) | instskip(NEXT) | instid1(VALU_DEP_4)
	v_add_f64 v[37:38], v[49:50], -v[45:46]
	v_fma_f64 v[45:46], v[47:48], s[42:43], -v[51:52]
	s_delay_alu instid0(VALU_DEP_3) | instskip(NEXT) | instid1(VALU_DEP_3)
	v_fma_f64 v[43:44], v[39:40], v[43:44], s[66:67]
	v_add_f64 v[37:38], v[41:42], -v[37:38]
	s_delay_alu instid0(VALU_DEP_2) | instskip(NEXT) | instid1(VALU_DEP_4)
	v_fma_f64 v[41:42], v[39:40], v[43:44], s[68:69]
	v_fma_f64 v[43:44], v[47:48], s[44:45], v[45:46]
	s_delay_alu instid0(VALU_DEP_3) | instskip(NEXT) | instid1(VALU_DEP_3)
	v_add_f64 v[33:34], v[33:34], v[37:38]
	v_fma_f64 v[37:38], v[39:40], v[41:42], s[70:71]
	s_delay_alu instid0(VALU_DEP_3) | instskip(NEXT) | instid1(VALU_DEP_3)
	v_add_f64 v[41:42], v[51:52], v[43:44]
	v_add_f64 v[45:46], v[49:50], v[33:34]
	s_delay_alu instid0(VALU_DEP_3) | instskip(NEXT) | instid1(VALU_DEP_3)
	v_fma_f64 v[37:38], v[39:40], v[37:38], s[72:73]
	v_add_f64 v[51:52], v[41:42], -v[51:52]
	s_delay_alu instid0(VALU_DEP_3) | instskip(SKIP_1) | instid1(VALU_DEP_4)
	v_add_f64 v[47:48], v[41:42], v[45:46]
	v_add_f64 v[49:50], v[45:46], -v[49:50]
	v_fma_f64 v[37:38], v[39:40], v[37:38], s[74:75]
	s_delay_alu instid0(VALU_DEP_4) | instskip(NEXT) | instid1(VALU_DEP_4)
	v_add_f64 v[43:44], v[43:44], -v[51:52]
	v_add_f64 v[53:54], v[47:48], -v[41:42]
	s_delay_alu instid0(VALU_DEP_4) | instskip(NEXT) | instid1(VALU_DEP_4)
	v_add_f64 v[33:34], v[33:34], -v[49:50]
	v_fma_f64 v[37:38], v[39:40], v[37:38], s[76:77]
	s_delay_alu instid0(VALU_DEP_3) | instskip(SKIP_1) | instid1(VALU_DEP_4)
	v_add_f64 v[55:56], v[47:48], -v[53:54]
	v_add_f64 v[45:46], v[45:46], -v[53:54]
	v_add_f64 v[49:50], v[43:44], v[33:34]
	s_delay_alu instid0(VALU_DEP_4) | instskip(NEXT) | instid1(VALU_DEP_4)
	v_fma_f64 v[37:38], v[39:40], v[37:38], s[78:79]
	v_add_f64 v[41:42], v[41:42], -v[55:56]
	s_delay_alu instid0(VALU_DEP_2) | instskip(NEXT) | instid1(VALU_DEP_2)
	v_fma_f64 v[37:38], v[39:40], v[37:38], s[80:81]
	v_add_f64 v[41:42], v[45:46], v[41:42]
	v_add_f64 v[45:46], v[49:50], -v[43:44]
	s_delay_alu instid0(VALU_DEP_3) | instskip(NEXT) | instid1(VALU_DEP_3)
	v_fma_f64 v[37:38], v[39:40], v[37:38], s[82:83]
	v_add_f64 v[41:42], v[49:50], v[41:42]
	s_delay_alu instid0(VALU_DEP_3) | instskip(SKIP_1) | instid1(VALU_DEP_4)
	v_add_f64 v[49:50], v[49:50], -v[45:46]
	v_add_f64 v[33:34], v[33:34], -v[45:46]
	v_fma_f64 v[37:38], v[39:40], v[37:38], s[84:85]
	s_delay_alu instid0(VALU_DEP_4) | instskip(NEXT) | instid1(VALU_DEP_2)
	v_add_f64 v[51:52], v[47:48], v[41:42]
	v_mul_f64 v[37:38], v[39:40], v[37:38]
	v_add_f64 v[39:40], v[43:44], -v[49:50]
	s_delay_alu instid0(VALU_DEP_3) | instskip(NEXT) | instid1(VALU_DEP_3)
	v_add_f64 v[43:44], v[51:52], -v[47:48]
	v_fma_f64 v[35:36], v[35:36], v[37:38], v[35:36]
	s_delay_alu instid0(VALU_DEP_3) | instskip(NEXT) | instid1(VALU_DEP_3)
	v_add_f64 v[33:34], v[33:34], v[39:40]
	v_add_f64 v[37:38], v[41:42], -v[43:44]
	s_delay_alu instid0(VALU_DEP_3) | instskip(NEXT) | instid1(VALU_DEP_2)
	v_add_f64 v[39:40], -v[35:36], s[86:87]
	v_add_f64 v[33:34], v[33:34], v[37:38]
	s_delay_alu instid0(VALU_DEP_2) | instskip(NEXT) | instid1(VALU_DEP_3)
	v_cndmask_b32_e64 v36, v36, v40, s4
	v_cndmask_b32_e64 v35, v35, v39, s4
                                        ; implicit-def: $vgpr39_vgpr40
	s_delay_alu instid0(VALU_DEP_1) | instskip(NEXT) | instid1(VALU_DEP_4)
	v_add_f64 v[37:38], -v[35:36], s[14:15]
	v_add_f64 v[33:34], v[51:52], v[33:34]
	v_and_b32_e32 v18, 0x54442d18, v1
	v_and_b32_e32 v1, 0x400921fb, v1
	s_delay_alu instid0(VALU_DEP_4) | instskip(SKIP_4) | instid1(VALU_DEP_2)
	v_cndmask_b32_e64 v35, v35, v37, s5
	v_cndmask_b32_e64 v14, v36, v38, s5
	v_cmp_nge_f64_e64 s5, -1.0, v[2:3]
                                        ; implicit-def: $vgpr37_vgpr38
	v_dual_cndmask_b32 v33, v33, v2 :: v_dual_cndmask_b32 v34, v34, v3
	v_cmp_eq_f64_e32 vcc_lo, 0, v[15:16]
	v_mul_f64 v[33:34], v[33:34], 0.5
	v_dual_cndmask_b32 v18, v35, v18 :: v_dual_cndmask_b32 v1, v14, v1
	v_cmp_ngt_f64_e32 vcc_lo, -1.0, v[2:3]
	s_delay_alu instid0(VALU_DEP_3) | instskip(SKIP_1) | instid1(VALU_DEP_3)
	v_cndmask_b32_e32 v14, 0x7ff80000, v34, vcc_lo
	s_and_b32 vcc_lo, s7, s8
	v_cndmask_b32_e32 v34, v1, v13, vcc_lo
	v_cndmask_b32_e64 v1, 0, v33, s5
	v_cndmask_b32_e32 v33, v18, v11, vcc_lo
	v_cmp_neq_f64_e64 s5, -1.0, v[2:3]
	s_delay_alu instid0(VALU_DEP_1)
	v_cndmask_b32_e64 v2, 0xfff00000, v14, s5
.LBB192_227:                            ;   in Loop: Header=BB192_145 Depth=1
	s_and_not1_saveexec_b32 s23, s6
	s_cbranch_execz .LBB192_235
; %bb.228:                              ;   in Loop: Header=BB192_145 Depth=1
	v_mul_f64 v[1:2], v[37:38], v[37:38]
	s_mov_b32 s6, 0x66666666
	s_mov_b32 s7, 0x3fe66666
                                        ; implicit-def: $vgpr33_vgpr34
	s_mov_b32 s5, exec_lo
	s_delay_alu instid0(VALU_DEP_1) | instskip(NEXT) | instid1(VALU_DEP_1)
	v_fma_f64 v[35:36], v[39:40], v[39:40], v[1:2]
                                        ; implicit-def: $vgpr1_vgpr2
	v_cmpx_ge_f64_e32 s[6:7], v[35:36]
	s_xor_b32 s7, exec_lo, s5
	s_cbranch_execz .LBB192_230
; %bb.229:                              ;   in Loop: Header=BB192_145 Depth=1
	v_frexp_mant_f64_e32 v[1:2], v[35:36]
	v_max_f64 v[43:44], |v[13:14]|, |v[13:14]|
	s_mov_b32 s99, s25
	v_frexp_exp_i32_f64_e32 v3, v[35:36]
	s_mov_b32 s14, s86
	v_cmp_class_f64_e64 s8, v[15:16], 0x204
	v_cmp_class_f64_e64 s9, v[13:14], 0x204
	v_cmp_neq_f64_e64 s6, 0, v[35:36]
	v_cmp_gt_f64_e64 s5, s[24:25], v[1:2]
	s_delay_alu instid0(VALU_DEP_1) | instskip(NEXT) | instid1(VALU_DEP_1)
	v_cndmask_b32_e64 v18, 0x3ff00000, 2.0, s5
	v_mul_f64 v[1:2], v[1:2], v[17:18]
	s_delay_alu instid0(VALU_DEP_1) | instskip(SKIP_1) | instid1(VALU_DEP_2)
	v_add_f64 v[33:34], v[1:2], 1.0
	v_add_f64 v[41:42], v[1:2], -1.0
	v_rcp_f64_e32 v[37:38], v[33:34]
	s_waitcnt_depctr 0xfff
	v_fma_f64 v[39:40], -v[33:34], v[37:38], 1.0
	s_delay_alu instid0(VALU_DEP_1) | instskip(NEXT) | instid1(VALU_DEP_1)
	v_fma_f64 v[37:38], v[39:40], v[37:38], v[37:38]
	v_fma_f64 v[39:40], -v[33:34], v[37:38], 1.0
	s_delay_alu instid0(VALU_DEP_1) | instskip(SKIP_1) | instid1(VALU_DEP_2)
	v_fma_f64 v[37:38], v[39:40], v[37:38], v[37:38]
	v_max_f64 v[39:40], |v[15:16]|, |v[15:16]|
	v_mul_f64 v[45:46], v[41:42], v[37:38]
	s_delay_alu instid0(VALU_DEP_2) | instskip(SKIP_2) | instid1(VALU_DEP_4)
	v_max_f64 v[47:48], v[43:44], v[39:40]
	v_min_f64 v[39:40], v[43:44], v[39:40]
	v_add_f64 v[43:44], v[33:34], -1.0
	v_mul_f64 v[49:50], v[33:34], v[45:46]
	s_delay_alu instid0(VALU_DEP_3) | instskip(NEXT) | instid1(VALU_DEP_3)
	v_div_scale_f64 v[51:52], null, v[47:48], v[47:48], v[39:40]
	v_add_f64 v[1:2], v[1:2], -v[43:44]
	v_div_scale_f64 v[57:58], vcc_lo, v[39:40], v[47:48], v[39:40]
	s_delay_alu instid0(VALU_DEP_4) | instskip(NEXT) | instid1(VALU_DEP_4)
	v_fma_f64 v[33:34], v[45:46], v[33:34], -v[49:50]
	v_rcp_f64_e32 v[43:44], v[51:52]
	s_delay_alu instid0(VALU_DEP_1) | instskip(SKIP_3) | instid1(VALU_DEP_2)
	v_fma_f64 v[1:2], v[45:46], v[1:2], v[33:34]
	s_waitcnt_depctr 0xfff
	v_fma_f64 v[33:34], -v[51:52], v[43:44], 1.0
	v_add_f64 v[53:54], v[49:50], v[1:2]
	v_fma_f64 v[33:34], v[43:44], v[33:34], v[43:44]
	s_delay_alu instid0(VALU_DEP_2) | instskip(SKIP_1) | instid1(VALU_DEP_3)
	v_add_f64 v[43:44], v[41:42], -v[53:54]
	v_add_f64 v[49:50], v[53:54], -v[49:50]
	v_fma_f64 v[55:56], -v[51:52], v[33:34], 1.0
	s_delay_alu instid0(VALU_DEP_3) | instskip(NEXT) | instid1(VALU_DEP_3)
	v_add_f64 v[41:42], v[41:42], -v[43:44]
	v_add_f64 v[1:2], v[49:50], -v[1:2]
	s_delay_alu instid0(VALU_DEP_3) | instskip(NEXT) | instid1(VALU_DEP_3)
	v_fma_f64 v[33:34], v[33:34], v[55:56], v[33:34]
	v_add_f64 v[41:42], v[41:42], -v[53:54]
	s_delay_alu instid0(VALU_DEP_2) | instskip(NEXT) | instid1(VALU_DEP_2)
	v_mul_f64 v[49:50], v[57:58], v[33:34]
	v_add_f64 v[1:2], v[1:2], v[41:42]
	s_delay_alu instid0(VALU_DEP_2) | instskip(NEXT) | instid1(VALU_DEP_2)
	v_fma_f64 v[41:42], -v[51:52], v[49:50], v[57:58]
	v_add_f64 v[1:2], v[43:44], v[1:2]
	s_delay_alu instid0(VALU_DEP_2)
	v_div_fmas_f64 v[33:34], v[41:42], v[33:34], v[49:50]
	v_subrev_co_ci_u32_e64 v3, vcc_lo, 0, v3, s5
	v_cmp_eq_f64_e64 s5, 0, v[15:16]
	v_cmp_gt_i32_e32 vcc_lo, 0, v14
	v_cndmask_b32_e32 v13, 0x3fe921fb, v60, vcc_lo
	v_cndmask_b32_e32 v11, 0x54442d18, v59, vcc_lo
	s_delay_alu instid0(VALU_DEP_2) | instskip(SKIP_2) | instid1(VALU_DEP_2)
	v_bfi_b32 v13, 0x7fffffff, v13, v16
	v_mul_f64 v[1:2], v[37:38], v[1:2]
	v_div_fixup_f64 v[33:34], v[33:34], v[47:48], v[39:40]
	v_add_f64 v[37:38], v[45:46], v[1:2]
	s_delay_alu instid0(VALU_DEP_2) | instskip(NEXT) | instid1(VALU_DEP_2)
	v_mul_f64 v[39:40], v[33:34], v[33:34]
	v_mul_f64 v[41:42], v[37:38], v[37:38]
	s_delay_alu instid0(VALU_DEP_2) | instskip(NEXT) | instid1(VALU_DEP_2)
	v_fma_f64 v[43:44], v[39:40], s[48:49], s[46:47]
	v_fma_f64 v[47:48], v[41:42], s[28:29], s[26:27]
	v_mul_f64 v[49:50], v[37:38], v[41:42]
	s_delay_alu instid0(VALU_DEP_3) | instskip(NEXT) | instid1(VALU_DEP_3)
	v_fma_f64 v[43:44], v[39:40], v[43:44], s[50:51]
	v_fma_f64 v[47:48], v[41:42], v[47:48], s[34:35]
	s_delay_alu instid0(VALU_DEP_2) | instskip(NEXT) | instid1(VALU_DEP_2)
	v_fma_f64 v[43:44], v[39:40], v[43:44], s[52:53]
	v_fma_f64 v[47:48], v[41:42], v[47:48], s[36:37]
	s_delay_alu instid0(VALU_DEP_2) | instskip(NEXT) | instid1(VALU_DEP_2)
	;; [unrolled: 3-line block ×4, first 2 shown]
	v_fma_f64 v[43:44], v[39:40], v[43:44], s[58:59]
	v_fma_f64 v[41:42], v[41:42], v[47:48], s[98:99]
	v_ldexp_f64 v[47:48], v[37:38], 1
	v_add_f64 v[37:38], v[37:38], -v[45:46]
	s_delay_alu instid0(VALU_DEP_4) | instskip(NEXT) | instid1(VALU_DEP_4)
	v_fma_f64 v[43:44], v[39:40], v[43:44], s[60:61]
	v_mul_f64 v[41:42], v[49:50], v[41:42]
	v_cvt_f64_i32_e32 v[49:50], v3
	s_delay_alu instid0(VALU_DEP_4)
	v_add_f64 v[1:2], v[1:2], -v[37:38]
	v_ashrrev_i32_e32 v3, 31, v14
	v_fma_f64 v[43:44], v[39:40], v[43:44], s[62:63]
	v_add_f64 v[45:46], v[47:48], v[41:42]
	v_mul_f64 v[51:52], v[49:50], s[42:43]
	v_ldexp_f64 v[1:2], v[1:2], 1
	s_delay_alu instid0(VALU_DEP_4) | instskip(NEXT) | instid1(VALU_DEP_4)
	v_fma_f64 v[43:44], v[39:40], v[43:44], s[64:65]
	v_add_f64 v[37:38], v[45:46], -v[47:48]
	s_delay_alu instid0(VALU_DEP_4) | instskip(NEXT) | instid1(VALU_DEP_3)
	v_fma_f64 v[47:48], v[49:50], s[42:43], -v[51:52]
	v_fma_f64 v[43:44], v[39:40], v[43:44], s[66:67]
	s_delay_alu instid0(VALU_DEP_3) | instskip(NEXT) | instid1(VALU_DEP_2)
	v_add_f64 v[37:38], v[41:42], -v[37:38]
	v_fma_f64 v[41:42], v[39:40], v[43:44], s[68:69]
	s_delay_alu instid0(VALU_DEP_4) | instskip(NEXT) | instid1(VALU_DEP_3)
	v_fma_f64 v[43:44], v[49:50], s[44:45], v[47:48]
	v_add_f64 v[1:2], v[1:2], v[37:38]
	s_delay_alu instid0(VALU_DEP_3) | instskip(NEXT) | instid1(VALU_DEP_3)
	v_fma_f64 v[37:38], v[39:40], v[41:42], s[70:71]
	v_add_f64 v[41:42], v[51:52], v[43:44]
	s_delay_alu instid0(VALU_DEP_3) | instskip(NEXT) | instid1(VALU_DEP_3)
	v_add_f64 v[47:48], v[45:46], v[1:2]
	v_fma_f64 v[37:38], v[39:40], v[37:38], s[72:73]
	s_delay_alu instid0(VALU_DEP_3) | instskip(NEXT) | instid1(VALU_DEP_3)
	v_add_f64 v[51:52], v[41:42], -v[51:52]
	v_add_f64 v[49:50], v[41:42], v[47:48]
	v_add_f64 v[45:46], v[47:48], -v[45:46]
	s_delay_alu instid0(VALU_DEP_4) | instskip(NEXT) | instid1(VALU_DEP_4)
	v_fma_f64 v[37:38], v[39:40], v[37:38], s[74:75]
	v_add_f64 v[43:44], v[43:44], -v[51:52]
	s_delay_alu instid0(VALU_DEP_4) | instskip(NEXT) | instid1(VALU_DEP_4)
	v_add_f64 v[53:54], v[49:50], -v[41:42]
	v_add_f64 v[1:2], v[1:2], -v[45:46]
	s_delay_alu instid0(VALU_DEP_4) | instskip(NEXT) | instid1(VALU_DEP_3)
	v_fma_f64 v[37:38], v[39:40], v[37:38], s[76:77]
	v_add_f64 v[55:56], v[49:50], -v[53:54]
	v_add_f64 v[45:46], v[47:48], -v[53:54]
	s_delay_alu instid0(VALU_DEP_4) | instskip(NEXT) | instid1(VALU_DEP_4)
	v_add_f64 v[47:48], v[43:44], v[1:2]
	v_fma_f64 v[37:38], v[39:40], v[37:38], s[78:79]
	s_delay_alu instid0(VALU_DEP_4) | instskip(NEXT) | instid1(VALU_DEP_2)
	v_add_f64 v[41:42], v[41:42], -v[55:56]
	v_fma_f64 v[37:38], v[39:40], v[37:38], s[80:81]
	s_delay_alu instid0(VALU_DEP_2) | instskip(SKIP_1) | instid1(VALU_DEP_3)
	v_add_f64 v[41:42], v[45:46], v[41:42]
	v_add_f64 v[45:46], v[47:48], -v[43:44]
	v_fma_f64 v[37:38], v[39:40], v[37:38], s[82:83]
	s_delay_alu instid0(VALU_DEP_3) | instskip(NEXT) | instid1(VALU_DEP_3)
	v_add_f64 v[41:42], v[47:48], v[41:42]
	v_add_f64 v[47:48], v[47:48], -v[45:46]
	v_add_f64 v[1:2], v[1:2], -v[45:46]
	s_delay_alu instid0(VALU_DEP_4) | instskip(NEXT) | instid1(VALU_DEP_4)
	v_fma_f64 v[37:38], v[39:40], v[37:38], s[84:85]
	v_add_f64 v[51:52], v[49:50], v[41:42]
	s_delay_alu instid0(VALU_DEP_2) | instskip(SKIP_1) | instid1(VALU_DEP_3)
	v_mul_f64 v[37:38], v[39:40], v[37:38]
	v_add_f64 v[39:40], v[43:44], -v[47:48]
	v_add_f64 v[43:44], v[51:52], -v[49:50]
	s_delay_alu instid0(VALU_DEP_3) | instskip(NEXT) | instid1(VALU_DEP_3)
	v_fma_f64 v[33:34], v[33:34], v[37:38], v[33:34]
	v_add_f64 v[1:2], v[1:2], v[39:40]
	s_delay_alu instid0(VALU_DEP_3) | instskip(NEXT) | instid1(VALU_DEP_3)
	v_add_f64 v[37:38], v[41:42], -v[43:44]
	v_add_f64 v[39:40], -v[33:34], s[86:87]
	s_delay_alu instid0(VALU_DEP_2) | instskip(NEXT) | instid1(VALU_DEP_2)
	v_add_f64 v[1:2], v[1:2], v[37:38]
	v_cndmask_b32_e64 v34, v34, v40, s4
	s_delay_alu instid0(VALU_DEP_3) | instskip(NEXT) | instid1(VALU_DEP_1)
	v_cndmask_b32_e64 v33, v33, v39, s4
                                        ; implicit-def: $vgpr39_vgpr40
	v_add_f64 v[37:38], -v[33:34], s[14:15]
	v_and_b32_e32 v18, 0x54442d18, v3
	v_and_b32_e32 v3, 0x400921fb, v3
	v_add_f64 v[1:2], v[51:52], v[1:2]
	s_delay_alu instid0(VALU_DEP_4) | instskip(SKIP_1) | instid1(VALU_DEP_1)
	v_dual_cndmask_b32 v14, v34, v38 :: v_dual_cndmask_b32 v33, v33, v37
	s_and_b32 vcc_lo, s8, s9
                                        ; implicit-def: $vgpr37_vgpr38
	v_cndmask_b32_e64 v3, v14, v3, s5
	s_delay_alu instid0(VALU_DEP_2) | instskip(NEXT) | instid1(VALU_DEP_1)
	v_cndmask_b32_e64 v18, v33, v18, s5
	v_dual_cndmask_b32 v34, v3, v13 :: v_dual_cndmask_b32 v33, v18, v11
	v_mul_f64 v[1:2], v[1:2], 0.5
	s_delay_alu instid0(VALU_DEP_1) | instskip(NEXT) | instid1(VALU_DEP_2)
	v_cndmask_b32_e64 v2, 0xfff00000, v2, s6
	v_cndmask_b32_e64 v1, 0, v1, s6
.LBB192_230:                            ;   in Loop: Header=BB192_145 Depth=1
	s_and_not1_saveexec_b32 s90, s7
	s_cbranch_execz .LBB192_234
; %bb.231:                              ;   in Loop: Header=BB192_145 Depth=1
	v_dual_mov_b32 v33, v17 :: v_dual_and_b32 v18, 0x7ffffff8, v40
	v_and_b32_e32 v34, 0x7ffffff8, v38
	s_mov_b32 s91, 0
	s_delay_alu instid0(VALU_DEP_2) | instskip(SKIP_1) | instid1(VALU_DEP_3)
	v_add_f64 v[1:2], v[39:40], -v[17:18]
	v_mov_b32_e32 v39, v17
	v_add_f64 v[35:36], v[37:38], -v[33:34]
	v_mov_b32_e32 v41, v17
	v_add_f64 v[43:44], v[17:18], v[17:18]
	v_add_f64 v[51:52], v[33:34], v[33:34]
	v_mul_f64 v[37:38], v[33:34], v[33:34]
	v_and_b32_e32 v40, -8, v2
	v_and_b32_e32 v42, -8, v36
	s_delay_alu instid0(VALU_DEP_2) | instskip(SKIP_1) | instid1(VALU_DEP_3)
	v_add_f64 v[53:54], v[1:2], -v[39:40]
	v_add_f64 v[57:58], v[39:40], v[39:40]
	v_add_f64 v[55:56], v[35:36], -v[41:42]
	v_add_f64 v[61:62], v[41:42], v[41:42]
	v_mul_f64 v[1:2], v[17:18], v[17:18]
	v_mul_f64 v[49:50], v[43:44], v[39:40]
	;; [unrolled: 1-line block ×11, first 2 shown]
.LBB192_232:                            ;   Parent Loop BB192_145 Depth=1
                                        ; =>  This Inner Loop Header: Depth=2
	v_cmp_nlt_f64_e32 vcc_lo, v[1:2], v[37:38]
	v_dual_cndmask_b32 v56, v2, v38 :: v_dual_cndmask_b32 v55, v1, v37
	v_dual_cndmask_b32 v2, v38, v2 :: v_dual_cndmask_b32 v1, v37, v1
	s_delay_alu instid0(VALU_DEP_2) | instskip(NEXT) | instid1(VALU_DEP_1)
	v_cmp_nlt_f64_e64 s5, v[55:56], v[49:50]
	v_cndmask_b32_e64 v58, v56, v50, s5
	v_cndmask_b32_e64 v57, v55, v49, s5
	;; [unrolled: 1-line block ×4, first 2 shown]
	s_and_b32 s5, vcc_lo, s5
	s_delay_alu instid0(VALU_DEP_3) | instskip(NEXT) | instid1(VALU_DEP_1)
	v_cmp_nlt_f64_e64 s6, v[57:58], v[35:36]
	v_cndmask_b32_e64 v56, v58, v36, s6
	v_cndmask_b32_e64 v55, v57, v35, s6
	;; [unrolled: 1-line block ×4, first 2 shown]
	s_delay_alu instid0(VALU_DEP_3) | instskip(NEXT) | instid1(VALU_DEP_1)
	v_cmp_nlt_f64_e64 s7, v[55:56], v[47:48]
	v_cndmask_b32_e64 v58, v56, v48, s7
	v_cndmask_b32_e64 v57, v55, v47, s7
	;; [unrolled: 1-line block ×4, first 2 shown]
	s_and_b32 s6, s6, s7
	s_delay_alu instid0(VALU_DEP_3) | instskip(NEXT) | instid1(VALU_DEP_1)
	v_cmp_nlt_f64_e64 s8, v[57:58], v[33:34]
	v_cndmask_b32_e64 v56, v58, v34, s8
	v_cndmask_b32_e64 v55, v57, v33, s8
	v_cndmask_b32_e64 v48, v34, v58, s8
	v_cndmask_b32_e64 v47, v33, v57, s8
	s_delay_alu instid0(VALU_DEP_3) | instskip(NEXT) | instid1(VALU_DEP_1)
	v_cmp_nlt_f64_e64 s9, v[55:56], v[45:46]
	v_cndmask_b32_e64 v58, v56, v46, s9
	v_cndmask_b32_e64 v57, v55, v45, s9
	v_cndmask_b32_e64 v34, v46, v56, s9
	v_cndmask_b32_e64 v33, v45, v55, s9
	s_and_b32 s7, s8, s9
	s_delay_alu instid0(VALU_DEP_3) | instskip(NEXT) | instid1(VALU_DEP_1)
	v_cmp_nlt_f64_e64 s10, v[57:58], v[43:44]
	v_cndmask_b32_e64 v56, v58, v44, s10
	v_cndmask_b32_e64 v55, v57, v43, s10
	v_cndmask_b32_e64 v46, v44, v58, s10
	v_cndmask_b32_e64 v45, v43, v57, s10
	s_and_b32 s7, s7, s10
	;; [unrolled: 7-line block ×4, first 2 shown]
	s_delay_alu instid0(VALU_DEP_3) | instskip(NEXT) | instid1(VALU_DEP_1)
	v_cmp_nlt_f64_e64 s13, v[55:56], v[51:52]
	v_cndmask_b32_e64 v58, v56, v52, s13
	v_cndmask_b32_e64 v57, v55, v51, s13
	s_and_b32 s7, s7, s13
	v_cndmask_b32_e64 v40, v52, v56, s13
	v_cndmask_b32_e64 v39, v51, v55, s13
	s_delay_alu instid0(VALU_DEP_3) | instskip(NEXT) | instid1(VALU_DEP_1)
	v_cmp_nlt_f64_e64 s14, v[57:58], v[53:54]
	v_cndmask_b32_e64 v56, v58, v54, s14
	v_cndmask_b32_e64 v55, v57, v53, s14
	s_and_b32 s7, s7, s14
	v_cndmask_b32_e64 v52, v54, v58, s14
	s_and_b32 s6, s7, s6
	;; [unrolled: 2-line block ×3, first 2 shown]
	v_dual_mov_b32 v53, v55 :: v_dual_mov_b32 v54, v56
	s_and_b32 s5, exec_lo, s5
	s_delay_alu instid0(SALU_CYCLE_1) | instskip(NEXT) | instid1(SALU_CYCLE_1)
	s_or_b32 s91, s5, s91
	s_and_not1_b32 exec_lo, exec_lo, s91
	s_cbranch_execnz .LBB192_232
; %bb.233:                              ;   in Loop: Header=BB192_145 Depth=1
	s_or_b32 exec_lo, exec_lo, s91
	v_add_f64 v[1:2], v[1:2], -1.0
	s_mov_b32 s99, s25
	s_mov_b32 s14, s86
	v_cmp_gt_i32_e64 s5, 0, v14
	v_cmp_class_f64_e64 s7, v[13:14], 0x204
	v_cmp_class_f64_e64 s6, v[15:16], 0x204
	s_mov_b32 s12, 0x4ad4b81f
	s_mov_b32 s13, 0x358dee7a
	s_delay_alu instid0(VALU_DEP_4) | instskip(NEXT) | instid1(VALU_DEP_1)
	v_add_f64 v[1:2], v[1:2], v[37:38]
	v_add_f64 v[1:2], v[1:2], v[49:50]
	s_delay_alu instid0(VALU_DEP_1) | instskip(NEXT) | instid1(VALU_DEP_1)
	v_add_f64 v[1:2], v[1:2], v[35:36]
	v_add_f64 v[1:2], v[1:2], v[47:48]
	s_delay_alu instid0(VALU_DEP_1) | instskip(NEXT) | instid1(VALU_DEP_1)
	;; [unrolled: 3-line block ×5, first 2 shown]
	v_add_f64 v[2:3], v[55:56], v[1:2]
	v_add_f64 v[33:34], v[2:3], 1.0
	s_delay_alu instid0(VALU_DEP_1) | instskip(SKIP_2) | instid1(VALU_DEP_3)
	v_frexp_mant_f64_e32 v[35:36], v[33:34]
	v_frexp_exp_i32_f64_e32 v1, v[33:34]
	v_add_f64 v[37:38], v[33:34], -1.0
	v_cmp_gt_f64_e32 vcc_lo, s[24:25], v[35:36]
	s_delay_alu instid0(VALU_DEP_2) | instskip(SKIP_2) | instid1(VALU_DEP_3)
	v_add_f64 v[35:36], v[37:38], -v[33:34]
	v_add_f64 v[37:38], v[2:3], -v[37:38]
	v_subrev_co_ci_u32_e32 v1, vcc_lo, 0, v1, vcc_lo
	v_add_f64 v[35:36], v[35:36], 1.0
	s_delay_alu instid0(VALU_DEP_2) | instskip(NEXT) | instid1(VALU_DEP_1)
	v_sub_nc_u32_e32 v11, 0, v1
	v_ldexp_f64 v[33:34], v[33:34], v11
	s_delay_alu instid0(VALU_DEP_3) | instskip(NEXT) | instid1(VALU_DEP_2)
	v_add_f64 v[35:36], v[37:38], v[35:36]
	v_add_f64 v[39:40], v[33:34], 1.0
	v_add_f64 v[45:46], v[33:34], -1.0
	s_delay_alu instid0(VALU_DEP_3) | instskip(SKIP_1) | instid1(VALU_DEP_4)
	v_ldexp_f64 v[35:36], v[35:36], v11
	v_cndmask_b32_e64 v11, 0x54442d18, v59, s5
	v_add_f64 v[37:38], v[39:40], -1.0
	s_delay_alu instid0(VALU_DEP_4) | instskip(NEXT) | instid1(VALU_DEP_2)
	v_add_f64 v[47:48], v[45:46], 1.0
	v_add_f64 v[37:38], v[33:34], -v[37:38]
	s_delay_alu instid0(VALU_DEP_2) | instskip(NEXT) | instid1(VALU_DEP_2)
	v_add_f64 v[33:34], v[33:34], -v[47:48]
	v_add_f64 v[37:38], v[35:36], v[37:38]
	s_delay_alu instid0(VALU_DEP_2) | instskip(NEXT) | instid1(VALU_DEP_2)
	v_add_f64 v[33:34], v[35:36], v[33:34]
	v_add_f64 v[41:42], v[39:40], v[37:38]
	s_delay_alu instid0(VALU_DEP_2) | instskip(NEXT) | instid1(VALU_DEP_2)
	v_add_f64 v[47:48], v[45:46], v[33:34]
	v_rcp_f64_e32 v[43:44], v[41:42]
	v_add_f64 v[39:40], v[41:42], -v[39:40]
	s_delay_alu instid0(VALU_DEP_2) | instskip(NEXT) | instid1(VALU_DEP_2)
	v_add_f64 v[45:46], v[47:48], -v[45:46]
	v_add_f64 v[37:38], v[37:38], -v[39:40]
	s_waitcnt_depctr 0xfff
	v_fma_f64 v[49:50], -v[41:42], v[43:44], 1.0
	v_add_f64 v[33:34], v[33:34], -v[45:46]
	s_delay_alu instid0(VALU_DEP_2) | instskip(NEXT) | instid1(VALU_DEP_1)
	v_fma_f64 v[43:44], v[49:50], v[43:44], v[43:44]
	v_fma_f64 v[35:36], -v[41:42], v[43:44], 1.0
	s_delay_alu instid0(VALU_DEP_1) | instskip(NEXT) | instid1(VALU_DEP_1)
	v_fma_f64 v[35:36], v[35:36], v[43:44], v[43:44]
	v_mul_f64 v[43:44], v[47:48], v[35:36]
	s_delay_alu instid0(VALU_DEP_1) | instskip(NEXT) | instid1(VALU_DEP_1)
	v_mul_f64 v[49:50], v[41:42], v[43:44]
	v_fma_f64 v[39:40], v[43:44], v[41:42], -v[49:50]
	s_delay_alu instid0(VALU_DEP_1) | instskip(NEXT) | instid1(VALU_DEP_1)
	v_fma_f64 v[39:40], v[43:44], v[37:38], v[39:40]
	v_add_f64 v[51:52], v[49:50], v[39:40]
	s_delay_alu instid0(VALU_DEP_1) | instskip(SKIP_2) | instid1(VALU_DEP_3)
	v_add_f64 v[53:54], v[47:48], -v[51:52]
	v_add_f64 v[45:46], v[51:52], -v[49:50]
	v_max_f64 v[49:50], |v[15:16]|, |v[15:16]|
	v_add_f64 v[47:48], v[47:48], -v[53:54]
	s_delay_alu instid0(VALU_DEP_3) | instskip(NEXT) | instid1(VALU_DEP_2)
	v_add_f64 v[39:40], v[45:46], -v[39:40]
	v_add_f64 v[47:48], v[47:48], -v[51:52]
	v_max_f64 v[51:52], |v[13:14]|, |v[13:14]|
	v_cndmask_b32_e64 v13, 0x3fe921fb, v60, s5
	s_delay_alu instid0(VALU_DEP_1) | instskip(NEXT) | instid1(VALU_DEP_4)
	v_bfi_b32 v13, 0x7fffffff, v13, v16
	v_add_f64 v[33:34], v[33:34], v[47:48]
	s_delay_alu instid0(VALU_DEP_4) | instskip(SKIP_1) | instid1(VALU_DEP_3)
	v_max_f64 v[55:56], v[51:52], v[49:50]
	v_min_f64 v[49:50], v[51:52], v[49:50]
	v_add_f64 v[33:34], v[39:40], v[33:34]
	s_delay_alu instid0(VALU_DEP_1) | instskip(NEXT) | instid1(VALU_DEP_1)
	v_add_f64 v[39:40], v[53:54], v[33:34]
	v_mul_f64 v[45:46], v[35:36], v[39:40]
	v_add_f64 v[53:54], v[53:54], -v[39:40]
	s_delay_alu instid0(VALU_DEP_2) | instskip(NEXT) | instid1(VALU_DEP_2)
	v_mul_f64 v[47:48], v[41:42], v[45:46]
	v_add_f64 v[33:34], v[33:34], v[53:54]
	s_delay_alu instid0(VALU_DEP_2) | instskip(NEXT) | instid1(VALU_DEP_1)
	v_fma_f64 v[41:42], v[45:46], v[41:42], -v[47:48]
	v_fma_f64 v[37:38], v[45:46], v[37:38], v[41:42]
	v_div_scale_f64 v[41:42], null, v[55:56], v[55:56], v[49:50]
	s_delay_alu instid0(VALU_DEP_2) | instskip(NEXT) | instid1(VALU_DEP_2)
	v_add_f64 v[51:52], v[47:48], v[37:38]
	v_rcp_f64_e32 v[57:58], v[41:42]
	s_delay_alu instid0(VALU_DEP_1)
	v_add_f64 v[61:62], v[39:40], -v[51:52]
	v_add_f64 v[47:48], v[51:52], -v[47:48]
	s_waitcnt_depctr 0xfff
	v_fma_f64 v[63:64], -v[41:42], v[57:58], 1.0
	v_add_f64 v[39:40], v[39:40], -v[61:62]
	v_add_f64 v[37:38], v[47:48], -v[37:38]
	s_delay_alu instid0(VALU_DEP_3) | instskip(NEXT) | instid1(VALU_DEP_3)
	v_fma_f64 v[57:58], v[57:58], v[63:64], v[57:58]
	v_add_f64 v[39:40], v[39:40], -v[51:52]
	s_delay_alu instid0(VALU_DEP_2) | instskip(NEXT) | instid1(VALU_DEP_2)
	v_fma_f64 v[51:52], -v[41:42], v[57:58], 1.0
	v_add_f64 v[33:34], v[33:34], v[39:40]
	v_div_scale_f64 v[39:40], vcc_lo, v[49:50], v[55:56], v[49:50]
	s_delay_alu instid0(VALU_DEP_3) | instskip(SKIP_1) | instid1(VALU_DEP_4)
	v_fma_f64 v[47:48], v[57:58], v[51:52], v[57:58]
	v_add_f64 v[51:52], v[43:44], v[45:46]
	v_add_f64 v[33:34], v[37:38], v[33:34]
	s_delay_alu instid0(VALU_DEP_3) | instskip(NEXT) | instid1(VALU_DEP_3)
	v_mul_f64 v[37:38], v[39:40], v[47:48]
	v_add_f64 v[43:44], v[51:52], -v[43:44]
	s_delay_alu instid0(VALU_DEP_3) | instskip(NEXT) | instid1(VALU_DEP_3)
	v_add_f64 v[33:34], v[61:62], v[33:34]
	v_fma_f64 v[39:40], -v[41:42], v[37:38], v[39:40]
	s_delay_alu instid0(VALU_DEP_3) | instskip(NEXT) | instid1(VALU_DEP_3)
	v_add_f64 v[41:42], v[45:46], -v[43:44]
	v_mul_f64 v[33:34], v[35:36], v[33:34]
	s_delay_alu instid0(VALU_DEP_3) | instskip(SKIP_1) | instid1(VALU_DEP_3)
	v_div_fmas_f64 v[35:36], v[39:40], v[47:48], v[37:38]
	v_cmp_eq_f64_e32 vcc_lo, 0x7ff00000, v[2:3]
	v_add_f64 v[33:34], v[41:42], v[33:34]
	s_delay_alu instid0(VALU_DEP_3) | instskip(NEXT) | instid1(VALU_DEP_2)
	v_div_fixup_f64 v[35:36], v[35:36], v[55:56], v[49:50]
	v_add_f64 v[37:38], v[51:52], v[33:34]
	s_delay_alu instid0(VALU_DEP_2) | instskip(NEXT) | instid1(VALU_DEP_2)
	v_mul_f64 v[39:40], v[35:36], v[35:36]
	v_mul_f64 v[41:42], v[37:38], v[37:38]
	s_delay_alu instid0(VALU_DEP_2) | instskip(NEXT) | instid1(VALU_DEP_2)
	v_fma_f64 v[43:44], v[39:40], s[48:49], s[46:47]
	v_fma_f64 v[45:46], v[41:42], s[28:29], s[26:27]
	v_mul_f64 v[47:48], v[37:38], v[41:42]
	s_delay_alu instid0(VALU_DEP_3) | instskip(NEXT) | instid1(VALU_DEP_3)
	v_fma_f64 v[43:44], v[39:40], v[43:44], s[50:51]
	v_fma_f64 v[45:46], v[41:42], v[45:46], s[34:35]
	s_delay_alu instid0(VALU_DEP_2) | instskip(NEXT) | instid1(VALU_DEP_2)
	v_fma_f64 v[43:44], v[39:40], v[43:44], s[52:53]
	v_fma_f64 v[45:46], v[41:42], v[45:46], s[36:37]
	s_delay_alu instid0(VALU_DEP_2) | instskip(NEXT) | instid1(VALU_DEP_2)
	;; [unrolled: 3-line block ×4, first 2 shown]
	v_fma_f64 v[43:44], v[39:40], v[43:44], s[58:59]
	v_fma_f64 v[41:42], v[41:42], v[45:46], s[98:99]
	v_ldexp_f64 v[45:46], v[37:38], 1
	v_add_f64 v[37:38], v[37:38], -v[51:52]
	s_delay_alu instid0(VALU_DEP_4) | instskip(NEXT) | instid1(VALU_DEP_4)
	v_fma_f64 v[43:44], v[39:40], v[43:44], s[60:61]
	v_mul_f64 v[41:42], v[47:48], v[41:42]
	v_cvt_f64_i32_e32 v[47:48], v1
	s_delay_alu instid0(VALU_DEP_4) | instskip(NEXT) | instid1(VALU_DEP_4)
	v_add_f64 v[33:34], v[33:34], -v[37:38]
	v_fma_f64 v[43:44], v[39:40], v[43:44], s[62:63]
	v_ashrrev_i32_e32 v1, 31, v14
	v_add_f64 v[49:50], v[45:46], v[41:42]
	v_mul_f64 v[51:52], v[47:48], s[42:43]
	v_ldexp_f64 v[33:34], v[33:34], 1
	v_fma_f64 v[43:44], v[39:40], v[43:44], s[64:65]
	s_delay_alu instid0(VALU_DEP_4) | instskip(NEXT) | instid1(VALU_DEP_4)
	v_add_f64 v[37:38], v[49:50], -v[45:46]
	v_fma_f64 v[45:46], v[47:48], s[42:43], -v[51:52]
	s_delay_alu instid0(VALU_DEP_3) | instskip(NEXT) | instid1(VALU_DEP_3)
	v_fma_f64 v[43:44], v[39:40], v[43:44], s[66:67]
	v_add_f64 v[37:38], v[41:42], -v[37:38]
	s_delay_alu instid0(VALU_DEP_2) | instskip(NEXT) | instid1(VALU_DEP_4)
	v_fma_f64 v[41:42], v[39:40], v[43:44], s[68:69]
	v_fma_f64 v[43:44], v[47:48], s[44:45], v[45:46]
	s_delay_alu instid0(VALU_DEP_3) | instskip(NEXT) | instid1(VALU_DEP_3)
	v_add_f64 v[33:34], v[33:34], v[37:38]
	v_fma_f64 v[37:38], v[39:40], v[41:42], s[70:71]
	s_delay_alu instid0(VALU_DEP_3) | instskip(NEXT) | instid1(VALU_DEP_3)
	v_add_f64 v[41:42], v[51:52], v[43:44]
	v_add_f64 v[45:46], v[49:50], v[33:34]
	s_delay_alu instid0(VALU_DEP_3) | instskip(NEXT) | instid1(VALU_DEP_3)
	v_fma_f64 v[37:38], v[39:40], v[37:38], s[72:73]
	v_add_f64 v[51:52], v[41:42], -v[51:52]
	s_delay_alu instid0(VALU_DEP_3) | instskip(SKIP_1) | instid1(VALU_DEP_4)
	v_add_f64 v[47:48], v[41:42], v[45:46]
	v_add_f64 v[49:50], v[45:46], -v[49:50]
	v_fma_f64 v[37:38], v[39:40], v[37:38], s[74:75]
	s_delay_alu instid0(VALU_DEP_4) | instskip(NEXT) | instid1(VALU_DEP_4)
	v_add_f64 v[43:44], v[43:44], -v[51:52]
	v_add_f64 v[53:54], v[47:48], -v[41:42]
	s_delay_alu instid0(VALU_DEP_4) | instskip(NEXT) | instid1(VALU_DEP_4)
	v_add_f64 v[33:34], v[33:34], -v[49:50]
	v_fma_f64 v[37:38], v[39:40], v[37:38], s[76:77]
	s_delay_alu instid0(VALU_DEP_3) | instskip(SKIP_1) | instid1(VALU_DEP_4)
	v_add_f64 v[55:56], v[47:48], -v[53:54]
	v_add_f64 v[45:46], v[45:46], -v[53:54]
	v_add_f64 v[49:50], v[43:44], v[33:34]
	s_delay_alu instid0(VALU_DEP_4) | instskip(NEXT) | instid1(VALU_DEP_4)
	v_fma_f64 v[37:38], v[39:40], v[37:38], s[78:79]
	v_add_f64 v[41:42], v[41:42], -v[55:56]
	s_delay_alu instid0(VALU_DEP_2) | instskip(NEXT) | instid1(VALU_DEP_2)
	v_fma_f64 v[37:38], v[39:40], v[37:38], s[80:81]
	v_add_f64 v[41:42], v[45:46], v[41:42]
	v_add_f64 v[45:46], v[49:50], -v[43:44]
	s_delay_alu instid0(VALU_DEP_3) | instskip(NEXT) | instid1(VALU_DEP_3)
	v_fma_f64 v[37:38], v[39:40], v[37:38], s[82:83]
	v_add_f64 v[41:42], v[49:50], v[41:42]
	s_delay_alu instid0(VALU_DEP_3) | instskip(SKIP_1) | instid1(VALU_DEP_4)
	v_add_f64 v[49:50], v[49:50], -v[45:46]
	v_add_f64 v[33:34], v[33:34], -v[45:46]
	v_fma_f64 v[37:38], v[39:40], v[37:38], s[84:85]
	s_delay_alu instid0(VALU_DEP_4) | instskip(NEXT) | instid1(VALU_DEP_2)
	v_add_f64 v[51:52], v[47:48], v[41:42]
	v_mul_f64 v[37:38], v[39:40], v[37:38]
	v_add_f64 v[39:40], v[43:44], -v[49:50]
	s_delay_alu instid0(VALU_DEP_3) | instskip(NEXT) | instid1(VALU_DEP_3)
	v_add_f64 v[43:44], v[51:52], -v[47:48]
	v_fma_f64 v[35:36], v[35:36], v[37:38], v[35:36]
	s_delay_alu instid0(VALU_DEP_3) | instskip(NEXT) | instid1(VALU_DEP_3)
	v_add_f64 v[33:34], v[33:34], v[39:40]
	v_add_f64 v[37:38], v[41:42], -v[43:44]
	s_delay_alu instid0(VALU_DEP_3) | instskip(NEXT) | instid1(VALU_DEP_2)
	v_add_f64 v[39:40], -v[35:36], s[86:87]
	v_add_f64 v[33:34], v[33:34], v[37:38]
	s_delay_alu instid0(VALU_DEP_2) | instskip(NEXT) | instid1(VALU_DEP_3)
	v_cndmask_b32_e64 v36, v36, v40, s4
	v_cndmask_b32_e64 v35, v35, v39, s4
	s_delay_alu instid0(VALU_DEP_1) | instskip(NEXT) | instid1(VALU_DEP_4)
	v_add_f64 v[37:38], -v[35:36], s[14:15]
	v_add_f64 v[33:34], v[51:52], v[33:34]
	v_and_b32_e32 v18, 0x54442d18, v1
	v_and_b32_e32 v1, 0x400921fb, v1
	s_delay_alu instid0(VALU_DEP_4) | instskip(SKIP_4) | instid1(VALU_DEP_2)
	v_cndmask_b32_e64 v35, v35, v37, s5
	v_cndmask_b32_e64 v14, v36, v38, s5
	v_cmp_nge_f64_e64 s5, -1.0, v[2:3]
	v_dual_cndmask_b32 v33, v33, v2 :: v_dual_cndmask_b32 v34, v34, v3
	v_cmp_eq_f64_e32 vcc_lo, 0, v[15:16]
	v_mul_f64 v[33:34], v[33:34], 0.5
	v_dual_cndmask_b32 v18, v35, v18 :: v_dual_cndmask_b32 v1, v14, v1
	v_cmp_ngt_f64_e32 vcc_lo, -1.0, v[2:3]
	s_delay_alu instid0(VALU_DEP_3) | instskip(SKIP_1) | instid1(VALU_DEP_3)
	v_cndmask_b32_e32 v14, 0x7ff80000, v34, vcc_lo
	s_and_b32 vcc_lo, s6, s7
	v_cndmask_b32_e32 v34, v1, v13, vcc_lo
	v_cndmask_b32_e64 v1, 0, v33, s5
	v_cndmask_b32_e32 v33, v18, v11, vcc_lo
	v_cmp_neq_f64_e64 s5, -1.0, v[2:3]
	s_delay_alu instid0(VALU_DEP_1)
	v_cndmask_b32_e64 v2, 0xfff00000, v14, s5
.LBB192_234:                            ;   in Loop: Header=BB192_145 Depth=1
	s_or_b32 exec_lo, exec_lo, s90
.LBB192_235:                            ;   in Loop: Header=BB192_145 Depth=1
	s_delay_alu instid0(SALU_CYCLE_1)
	s_or_b32 exec_lo, exec_lo, s23
.LBB192_236:                            ;   in Loop: Header=BB192_145 Depth=1
	s_and_not1_saveexec_b32 s7, s22
	s_cbranch_execz .LBB192_238
; %bb.237:                              ;   in Loop: Header=BB192_145 Depth=1
	v_max_f64 v[1:2], |v[15:16]|, |v[15:16]|
	v_max_f64 v[33:34], |v[13:14]|, |v[13:14]|
	v_cmp_class_f64_e64 s8, v[13:14], 0x204
	v_cmp_class_f64_e64 s9, v[15:16], 0x204
	s_mov_b32 s99, s25
	s_mov_b32 s14, s86
	v_cmp_eq_f64_e64 s6, 0, v[15:16]
	s_delay_alu instid0(VALU_DEP_4) | instskip(SKIP_1) | instid1(VALU_DEP_4)
	v_max_f64 v[35:36], v[33:34], v[1:2]
	v_min_f64 v[1:2], v[33:34], v[1:2]
	s_or_b32 s10, s9, s8
	s_delay_alu instid0(VALU_DEP_2) | instskip(NEXT) | instid1(VALU_DEP_1)
	v_frexp_exp_i32_f64_e32 v3, v[35:36]
	v_sub_nc_u32_e32 v11, 0, v3
	s_delay_alu instid0(VALU_DEP_1) | instskip(SKIP_1) | instid1(VALU_DEP_2)
	v_ldexp_f64 v[37:38], |v[15:16]|, v11
	v_ldexp_f64 v[39:40], |v[13:14]|, v11
	v_mul_f64 v[37:38], v[37:38], v[37:38]
	s_delay_alu instid0(VALU_DEP_1) | instskip(NEXT) | instid1(VALU_DEP_1)
	v_fma_f64 v[37:38], v[39:40], v[39:40], v[37:38]
	v_rsq_f64_e32 v[39:40], v[37:38]
	v_cmp_eq_f64_e32 vcc_lo, 0, v[37:38]
	s_waitcnt_depctr 0xfff
	v_mul_f64 v[41:42], v[37:38], v[39:40]
	v_mul_f64 v[39:40], v[39:40], 0.5
	s_delay_alu instid0(VALU_DEP_1) | instskip(NEXT) | instid1(VALU_DEP_1)
	v_fma_f64 v[43:44], -v[39:40], v[41:42], 0.5
	v_fma_f64 v[41:42], v[41:42], v[43:44], v[41:42]
	v_fma_f64 v[39:40], v[39:40], v[43:44], v[39:40]
	s_delay_alu instid0(VALU_DEP_2) | instskip(NEXT) | instid1(VALU_DEP_1)
	v_fma_f64 v[43:44], -v[41:42], v[41:42], v[37:38]
	v_fma_f64 v[39:40], v[43:44], v[39:40], v[41:42]
	s_delay_alu instid0(VALU_DEP_1) | instskip(SKIP_1) | instid1(VALU_DEP_2)
	v_dual_cndmask_b32 v38, v40, v38 :: v_dual_cndmask_b32 v37, v39, v37
	v_div_scale_f64 v[61:62], vcc_lo, v[1:2], v[35:36], v[1:2]
	v_ldexp_f64 v[37:38], v[37:38], v3
	s_delay_alu instid0(VALU_DEP_1) | instskip(NEXT) | instid1(VALU_DEP_2)
	v_cndmask_b32_e64 v40, v38, 0x7ff00000, s10
	v_cndmask_b32_e64 v39, v37, 0, s10
	s_delay_alu instid0(VALU_DEP_1) | instskip(SKIP_1) | instid1(VALU_DEP_2)
	v_frexp_mant_f64_e32 v[41:42], v[39:40]
	v_frexp_exp_i32_f64_e32 v3, v[39:40]
	v_cmp_gt_f64_e64 s5, s[24:25], v[41:42]
	s_delay_alu instid0(VALU_DEP_1) | instskip(NEXT) | instid1(VALU_DEP_1)
	v_cndmask_b32_e64 v18, 0x3ff00000, 2.0, s5
	v_mul_f64 v[41:42], v[41:42], v[17:18]
	s_delay_alu instid0(VALU_DEP_1) | instskip(SKIP_1) | instid1(VALU_DEP_2)
	v_add_f64 v[43:44], v[41:42], 1.0
	v_add_f64 v[49:50], v[41:42], -1.0
	v_rcp_f64_e32 v[45:46], v[43:44]
	v_add_f64 v[51:52], v[43:44], -1.0
	s_delay_alu instid0(VALU_DEP_1) | instskip(SKIP_2) | instid1(VALU_DEP_1)
	v_add_f64 v[41:42], v[41:42], -v[51:52]
	s_waitcnt_depctr 0xfff
	v_fma_f64 v[47:48], -v[43:44], v[45:46], 1.0
	v_fma_f64 v[45:46], v[47:48], v[45:46], v[45:46]
	s_delay_alu instid0(VALU_DEP_1) | instskip(NEXT) | instid1(VALU_DEP_1)
	v_fma_f64 v[47:48], -v[43:44], v[45:46], 1.0
	v_fma_f64 v[45:46], v[47:48], v[45:46], v[45:46]
	v_div_scale_f64 v[47:48], null, v[35:36], v[35:36], v[1:2]
	s_delay_alu instid0(VALU_DEP_2) | instskip(NEXT) | instid1(VALU_DEP_2)
	v_mul_f64 v[33:34], v[49:50], v[45:46]
	v_rcp_f64_e32 v[55:56], v[47:48]
	s_delay_alu instid0(VALU_DEP_1) | instskip(SKIP_3) | instid1(VALU_DEP_1)
	v_mul_f64 v[53:54], v[43:44], v[33:34]
	s_waitcnt_depctr 0xfff
	v_fma_f64 v[51:52], -v[47:48], v[55:56], 1.0
	v_fma_f64 v[43:44], v[33:34], v[43:44], -v[53:54]
	v_fma_f64 v[41:42], v[33:34], v[41:42], v[43:44]
	s_delay_alu instid0(VALU_DEP_3) | instskip(NEXT) | instid1(VALU_DEP_2)
	v_fma_f64 v[43:44], v[55:56], v[51:52], v[55:56]
	v_add_f64 v[51:52], v[53:54], v[41:42]
	s_delay_alu instid0(VALU_DEP_2) | instskip(NEXT) | instid1(VALU_DEP_2)
	v_fma_f64 v[55:56], -v[47:48], v[43:44], 1.0
	v_add_f64 v[57:58], v[49:50], -v[51:52]
	s_delay_alu instid0(VALU_DEP_2) | instskip(SKIP_1) | instid1(VALU_DEP_3)
	v_fma_f64 v[43:44], v[43:44], v[55:56], v[43:44]
	v_add_f64 v[53:54], v[51:52], -v[53:54]
	v_add_f64 v[49:50], v[49:50], -v[57:58]
	s_delay_alu instid0(VALU_DEP_3) | instskip(NEXT) | instid1(VALU_DEP_3)
	v_mul_f64 v[55:56], v[61:62], v[43:44]
	v_add_f64 v[41:42], v[53:54], -v[41:42]
	s_delay_alu instid0(VALU_DEP_3) | instskip(NEXT) | instid1(VALU_DEP_3)
	v_add_f64 v[49:50], v[49:50], -v[51:52]
	v_fma_f64 v[47:48], -v[47:48], v[55:56], v[61:62]
	s_delay_alu instid0(VALU_DEP_2) | instskip(NEXT) | instid1(VALU_DEP_2)
	v_add_f64 v[41:42], v[41:42], v[49:50]
	v_div_fmas_f64 v[43:44], v[47:48], v[43:44], v[55:56]
	v_subrev_co_ci_u32_e64 v3, vcc_lo, 0, v3, s5
	v_cmp_class_f64_e64 s5, v[37:38], 0x204
	v_cmp_gt_i32_e32 vcc_lo, 0, v14
	v_cndmask_b32_e32 v11, 0x54442d18, v59, vcc_lo
	v_add_f64 v[41:42], v[57:58], v[41:42]
	v_div_fixup_f64 v[1:2], v[43:44], v[35:36], v[1:2]
	s_delay_alu instid0(VALU_DEP_2) | instskip(NEXT) | instid1(VALU_DEP_2)
	v_mul_f64 v[35:36], v[45:46], v[41:42]
	v_mul_f64 v[41:42], v[1:2], v[1:2]
	s_delay_alu instid0(VALU_DEP_2) | instskip(NEXT) | instid1(VALU_DEP_2)
	v_add_f64 v[43:44], v[33:34], v[35:36]
	v_fma_f64 v[45:46], v[41:42], s[48:49], s[46:47]
	s_delay_alu instid0(VALU_DEP_2) | instskip(NEXT) | instid1(VALU_DEP_2)
	v_mul_f64 v[47:48], v[43:44], v[43:44]
	v_fma_f64 v[45:46], v[41:42], v[45:46], s[50:51]
	v_add_f64 v[33:34], v[43:44], -v[33:34]
	s_delay_alu instid0(VALU_DEP_3) | instskip(NEXT) | instid1(VALU_DEP_3)
	v_fma_f64 v[49:50], v[47:48], s[28:29], s[26:27]
	v_fma_f64 v[45:46], v[41:42], v[45:46], s[52:53]
	v_mul_f64 v[51:52], v[43:44], v[47:48]
	s_delay_alu instid0(VALU_DEP_4) | instskip(NEXT) | instid1(VALU_DEP_4)
	v_add_f64 v[33:34], v[35:36], -v[33:34]
	v_fma_f64 v[49:50], v[47:48], v[49:50], s[34:35]
	s_delay_alu instid0(VALU_DEP_4) | instskip(NEXT) | instid1(VALU_DEP_3)
	v_fma_f64 v[45:46], v[41:42], v[45:46], s[54:55]
	v_ldexp_f64 v[33:34], v[33:34], 1
	s_delay_alu instid0(VALU_DEP_3) | instskip(NEXT) | instid1(VALU_DEP_3)
	v_fma_f64 v[49:50], v[47:48], v[49:50], s[36:37]
	v_fma_f64 v[45:46], v[41:42], v[45:46], s[56:57]
	s_delay_alu instid0(VALU_DEP_2) | instskip(NEXT) | instid1(VALU_DEP_2)
	v_fma_f64 v[49:50], v[47:48], v[49:50], s[38:39]
	v_fma_f64 v[45:46], v[41:42], v[45:46], s[58:59]
	s_delay_alu instid0(VALU_DEP_2) | instskip(NEXT) | instid1(VALU_DEP_2)
	;; [unrolled: 3-line block ×3, first 2 shown]
	v_fma_f64 v[47:48], v[47:48], v[49:50], s[98:99]
	v_fma_f64 v[45:46], v[41:42], v[45:46], s[62:63]
	v_ldexp_f64 v[49:50], v[43:44], 1
	s_delay_alu instid0(VALU_DEP_3) | instskip(NEXT) | instid1(VALU_DEP_3)
	v_mul_f64 v[47:48], v[51:52], v[47:48]
	v_fma_f64 v[45:46], v[41:42], v[45:46], s[64:65]
	v_cvt_f64_i32_e32 v[51:52], v3
	v_ashrrev_i32_e32 v3, 31, v14
	v_cndmask_b32_e32 v14, 0x3fe921fb, v60, vcc_lo
	s_delay_alu instid0(VALU_DEP_1) | instskip(SKIP_3) | instid1(VALU_DEP_3)
	v_bfi_b32 v14, 0x7fffffff, v14, v16
	v_add_f64 v[43:44], v[49:50], v[47:48]
	v_fma_f64 v[45:46], v[41:42], v[45:46], s[66:67]
	v_mul_f64 v[53:54], v[51:52], s[42:43]
	v_add_f64 v[35:36], v[43:44], -v[49:50]
	s_delay_alu instid0(VALU_DEP_3) | instskip(NEXT) | instid1(VALU_DEP_3)
	v_fma_f64 v[45:46], v[41:42], v[45:46], s[68:69]
	v_fma_f64 v[49:50], v[51:52], s[42:43], -v[53:54]
	s_delay_alu instid0(VALU_DEP_3) | instskip(NEXT) | instid1(VALU_DEP_3)
	v_add_f64 v[35:36], v[47:48], -v[35:36]
	v_fma_f64 v[45:46], v[41:42], v[45:46], s[70:71]
	s_delay_alu instid0(VALU_DEP_3) | instskip(NEXT) | instid1(VALU_DEP_3)
	v_fma_f64 v[47:48], v[51:52], s[44:45], v[49:50]
	v_add_f64 v[33:34], v[33:34], v[35:36]
	s_delay_alu instid0(VALU_DEP_3) | instskip(NEXT) | instid1(VALU_DEP_3)
	v_fma_f64 v[35:36], v[41:42], v[45:46], s[72:73]
	v_add_f64 v[45:46], v[53:54], v[47:48]
	s_delay_alu instid0(VALU_DEP_3) | instskip(NEXT) | instid1(VALU_DEP_3)
	v_add_f64 v[49:50], v[43:44], v[33:34]
	v_fma_f64 v[35:36], v[41:42], v[35:36], s[74:75]
	s_delay_alu instid0(VALU_DEP_3) | instskip(NEXT) | instid1(VALU_DEP_3)
	v_add_f64 v[53:54], v[45:46], -v[53:54]
	v_add_f64 v[51:52], v[45:46], v[49:50]
	s_delay_alu instid0(VALU_DEP_3) | instskip(SKIP_1) | instid1(VALU_DEP_4)
	v_fma_f64 v[35:36], v[41:42], v[35:36], s[76:77]
	v_add_f64 v[43:44], v[49:50], -v[43:44]
	v_add_f64 v[47:48], v[47:48], -v[53:54]
	s_delay_alu instid0(VALU_DEP_4) | instskip(NEXT) | instid1(VALU_DEP_4)
	v_add_f64 v[55:56], v[51:52], -v[45:46]
	v_fma_f64 v[35:36], v[41:42], v[35:36], s[78:79]
	s_delay_alu instid0(VALU_DEP_4) | instskip(NEXT) | instid1(VALU_DEP_3)
	v_add_f64 v[33:34], v[33:34], -v[43:44]
	v_add_f64 v[57:58], v[51:52], -v[55:56]
	s_delay_alu instid0(VALU_DEP_3) | instskip(SKIP_1) | instid1(VALU_DEP_4)
	v_fma_f64 v[35:36], v[41:42], v[35:36], s[80:81]
	v_add_f64 v[43:44], v[49:50], -v[55:56]
	v_add_f64 v[49:50], v[47:48], v[33:34]
	s_delay_alu instid0(VALU_DEP_4) | instskip(NEXT) | instid1(VALU_DEP_4)
	v_add_f64 v[45:46], v[45:46], -v[57:58]
	v_fma_f64 v[35:36], v[41:42], v[35:36], s[82:83]
	s_delay_alu instid0(VALU_DEP_2) | instskip(NEXT) | instid1(VALU_DEP_2)
	v_add_f64 v[43:44], v[43:44], v[45:46]
	v_fma_f64 v[35:36], v[41:42], v[35:36], s[84:85]
	v_add_f64 v[45:46], v[49:50], -v[47:48]
	s_delay_alu instid0(VALU_DEP_3) | instskip(NEXT) | instid1(VALU_DEP_3)
	v_add_f64 v[43:44], v[49:50], v[43:44]
	v_mul_f64 v[35:36], v[41:42], v[35:36]
	s_delay_alu instid0(VALU_DEP_3) | instskip(SKIP_1) | instid1(VALU_DEP_4)
	v_add_f64 v[41:42], v[49:50], -v[45:46]
	v_add_f64 v[33:34], v[33:34], -v[45:46]
	v_add_f64 v[49:50], v[51:52], v[43:44]
	s_delay_alu instid0(VALU_DEP_4) | instskip(NEXT) | instid1(VALU_DEP_4)
	v_fma_f64 v[1:2], v[1:2], v[35:36], v[1:2]
	v_add_f64 v[35:36], v[47:48], -v[41:42]
	s_delay_alu instid0(VALU_DEP_3) | instskip(NEXT) | instid1(VALU_DEP_3)
	v_add_f64 v[41:42], v[49:50], -v[51:52]
	v_add_f64 v[45:46], -v[1:2], s[86:87]
	s_delay_alu instid0(VALU_DEP_3) | instskip(NEXT) | instid1(VALU_DEP_3)
	v_add_f64 v[33:34], v[33:34], v[35:36]
	v_add_f64 v[35:36], v[43:44], -v[41:42]
	s_delay_alu instid0(VALU_DEP_3) | instskip(NEXT) | instid1(VALU_DEP_4)
	v_cndmask_b32_e64 v2, v2, v46, s4
	v_cndmask_b32_e64 v1, v1, v45, s4
	s_delay_alu instid0(VALU_DEP_3) | instskip(NEXT) | instid1(VALU_DEP_2)
	v_add_f64 v[33:34], v[33:34], v[35:36]
	v_add_f64 v[35:36], -v[1:2], s[14:15]
	v_and_b32_e32 v13, 0x54442d18, v3
	v_and_b32_e32 v3, 0x400921fb, v3
	s_delay_alu instid0(VALU_DEP_4) | instskip(NEXT) | instid1(VALU_DEP_4)
	v_add_f64 v[33:34], v[49:50], v[33:34]
	v_dual_cndmask_b32 v1, v1, v35 :: v_dual_cndmask_b32 v2, v2, v36
	v_cmp_ngt_f64_e32 vcc_lo, 0, v[39:40]
	s_delay_alu instid0(VALU_DEP_2) | instskip(NEXT) | instid1(VALU_DEP_3)
	v_cndmask_b32_e64 v13, v1, v13, s6
	v_cndmask_b32_e64 v1, v2, v3, s6
	v_cndmask_b32_e64 v18, v34, v38, s5
	v_cndmask_b32_e64 v33, v33, v37, s5
	v_cmp_nge_f64_e64 s5, 0, v[39:40]
	s_delay_alu instid0(VALU_DEP_3) | instskip(NEXT) | instid1(VALU_DEP_3)
	v_cndmask_b32_e64 v18, v18, 0x7ff00000, s10
	v_cndmask_b32_e64 v2, v33, 0, s10
	s_delay_alu instid0(VALU_DEP_2)
	v_cndmask_b32_e32 v3, 0x7ff80000, v18, vcc_lo
	s_and_b32 vcc_lo, s9, s8
	v_cndmask_b32_e32 v34, v1, v14, vcc_lo
	v_cndmask_b32_e32 v33, v13, v11, vcc_lo
	v_cndmask_b32_e64 v1, 0, v2, s5
	v_cmp_neq_f64_e64 s5, 0, v[39:40]
	s_delay_alu instid0(VALU_DEP_1)
	v_cndmask_b32_e64 v2, 0xfff00000, v3, s5
.LBB192_238:                            ;   in Loop: Header=BB192_145 Depth=1
	s_or_b32 exec_lo, exec_lo, s7
                                        ; implicit-def: $vgpr37_vgpr38
.LBB192_239:                            ;   in Loop: Header=BB192_145 Depth=1
	s_and_not1_saveexec_b32 s7, s21
	s_cbranch_execz .LBB192_245
; %bb.240:                              ;   in Loop: Header=BB192_145 Depth=1
	s_mov_b32 s8, 0x6a3f9475
	s_mov_b32 s9, 0x20ca2fe7
                                        ; implicit-def: $vgpr1_vgpr2
                                        ; implicit-def: $vgpr33_vgpr34
	s_mov_b32 s5, exec_lo
	v_cmpx_ngt_f64_e32 s[8:9], v[37:38]
	s_xor_b32 s8, exec_lo, s5
	s_cbranch_execz .LBB192_242
; %bb.241:                              ;   in Loop: Header=BB192_145 Depth=1
	v_mul_f64 v[1:2], v[37:38], v[37:38]
	s_mov_b32 s99, s25
	s_mov_b32 s14, s86
	v_cmp_eq_f64_e64 s6, 0, v[15:16]
	v_cmp_class_f64_e64 s9, v[15:16], 0x204
	v_cmp_class_f64_e64 s10, v[13:14], 0x204
	v_cmp_gt_i32_e64 s5, 0, v14
	v_add_f64 v[33:34], v[1:2], 1.0
	s_delay_alu instid0(VALU_DEP_1) | instskip(SKIP_2) | instid1(VALU_DEP_3)
	v_frexp_mant_f64_e32 v[35:36], v[33:34]
	v_frexp_exp_i32_f64_e32 v3, v[33:34]
	v_add_f64 v[37:38], v[33:34], -1.0
	v_cmp_gt_f64_e32 vcc_lo, s[24:25], v[35:36]
	s_delay_alu instid0(VALU_DEP_2) | instskip(SKIP_2) | instid1(VALU_DEP_3)
	v_add_f64 v[35:36], v[37:38], -v[33:34]
	v_add_f64 v[37:38], v[1:2], -v[37:38]
	v_subrev_co_ci_u32_e32 v3, vcc_lo, 0, v3, vcc_lo
	v_add_f64 v[35:36], v[35:36], 1.0
	s_delay_alu instid0(VALU_DEP_2) | instskip(NEXT) | instid1(VALU_DEP_1)
	v_sub_nc_u32_e32 v11, 0, v3
	v_ldexp_f64 v[33:34], v[33:34], v11
	s_delay_alu instid0(VALU_DEP_3) | instskip(NEXT) | instid1(VALU_DEP_2)
	v_add_f64 v[35:36], v[37:38], v[35:36]
	v_add_f64 v[39:40], v[33:34], 1.0
	v_add_f64 v[45:46], v[33:34], -1.0
	s_delay_alu instid0(VALU_DEP_3) | instskip(SKIP_1) | instid1(VALU_DEP_4)
	v_ldexp_f64 v[35:36], v[35:36], v11
	v_cndmask_b32_e64 v11, 0x54442d18, v59, s5
	v_add_f64 v[37:38], v[39:40], -1.0
	s_delay_alu instid0(VALU_DEP_4) | instskip(NEXT) | instid1(VALU_DEP_2)
	v_add_f64 v[47:48], v[45:46], 1.0
	v_add_f64 v[37:38], v[33:34], -v[37:38]
	s_delay_alu instid0(VALU_DEP_2) | instskip(NEXT) | instid1(VALU_DEP_2)
	v_add_f64 v[33:34], v[33:34], -v[47:48]
	v_add_f64 v[37:38], v[35:36], v[37:38]
	s_delay_alu instid0(VALU_DEP_2) | instskip(NEXT) | instid1(VALU_DEP_2)
	v_add_f64 v[33:34], v[35:36], v[33:34]
	v_add_f64 v[41:42], v[39:40], v[37:38]
	s_delay_alu instid0(VALU_DEP_2) | instskip(NEXT) | instid1(VALU_DEP_2)
	v_add_f64 v[47:48], v[45:46], v[33:34]
	v_rcp_f64_e32 v[43:44], v[41:42]
	v_add_f64 v[39:40], v[39:40], -v[41:42]
	s_delay_alu instid0(VALU_DEP_2) | instskip(NEXT) | instid1(VALU_DEP_2)
	v_add_f64 v[45:46], v[45:46], -v[47:48]
	v_add_f64 v[37:38], v[37:38], v[39:40]
	s_waitcnt_depctr 0xfff
	v_fma_f64 v[49:50], -v[41:42], v[43:44], 1.0
	v_add_f64 v[33:34], v[33:34], v[45:46]
	s_delay_alu instid0(VALU_DEP_2) | instskip(NEXT) | instid1(VALU_DEP_1)
	v_fma_f64 v[43:44], v[49:50], v[43:44], v[43:44]
	v_fma_f64 v[35:36], -v[41:42], v[43:44], 1.0
	s_delay_alu instid0(VALU_DEP_1) | instskip(NEXT) | instid1(VALU_DEP_1)
	v_fma_f64 v[35:36], v[35:36], v[43:44], v[43:44]
	v_mul_f64 v[43:44], v[47:48], v[35:36]
	s_delay_alu instid0(VALU_DEP_1) | instskip(NEXT) | instid1(VALU_DEP_1)
	v_mul_f64 v[49:50], v[41:42], v[43:44]
	v_fma_f64 v[39:40], v[43:44], v[41:42], -v[49:50]
	s_delay_alu instid0(VALU_DEP_1) | instskip(NEXT) | instid1(VALU_DEP_1)
	v_fma_f64 v[39:40], v[43:44], v[37:38], v[39:40]
	v_add_f64 v[51:52], v[49:50], v[39:40]
	s_delay_alu instid0(VALU_DEP_1) | instskip(SKIP_2) | instid1(VALU_DEP_3)
	v_add_f64 v[53:54], v[47:48], -v[51:52]
	v_add_f64 v[45:46], v[51:52], -v[49:50]
	v_max_f64 v[49:50], |v[15:16]|, |v[15:16]|
	v_add_f64 v[47:48], v[47:48], -v[53:54]
	s_delay_alu instid0(VALU_DEP_3) | instskip(NEXT) | instid1(VALU_DEP_2)
	v_add_f64 v[39:40], v[45:46], -v[39:40]
	v_add_f64 v[47:48], v[47:48], -v[51:52]
	v_max_f64 v[51:52], |v[13:14]|, |v[13:14]|
	v_cndmask_b32_e64 v13, 0x3fe921fb, v60, s5
	s_delay_alu instid0(VALU_DEP_1) | instskip(NEXT) | instid1(VALU_DEP_4)
	v_bfi_b32 v13, 0x7fffffff, v13, v16
	v_add_f64 v[33:34], v[33:34], v[47:48]
	s_delay_alu instid0(VALU_DEP_4) | instskip(SKIP_1) | instid1(VALU_DEP_3)
	v_max_f64 v[55:56], v[51:52], v[49:50]
	v_min_f64 v[49:50], v[51:52], v[49:50]
	v_add_f64 v[33:34], v[39:40], v[33:34]
	s_delay_alu instid0(VALU_DEP_1) | instskip(NEXT) | instid1(VALU_DEP_1)
	v_add_f64 v[39:40], v[53:54], v[33:34]
	v_mul_f64 v[45:46], v[35:36], v[39:40]
	v_add_f64 v[53:54], v[53:54], -v[39:40]
	s_delay_alu instid0(VALU_DEP_2) | instskip(NEXT) | instid1(VALU_DEP_2)
	v_mul_f64 v[47:48], v[41:42], v[45:46]
	v_add_f64 v[33:34], v[33:34], v[53:54]
	s_delay_alu instid0(VALU_DEP_2) | instskip(NEXT) | instid1(VALU_DEP_1)
	v_fma_f64 v[41:42], v[45:46], v[41:42], -v[47:48]
	v_fma_f64 v[37:38], v[45:46], v[37:38], v[41:42]
	v_div_scale_f64 v[41:42], null, v[55:56], v[55:56], v[49:50]
	s_delay_alu instid0(VALU_DEP_2) | instskip(NEXT) | instid1(VALU_DEP_2)
	v_add_f64 v[51:52], v[47:48], v[37:38]
	v_rcp_f64_e32 v[57:58], v[41:42]
	s_delay_alu instid0(VALU_DEP_1)
	v_add_f64 v[61:62], v[39:40], -v[51:52]
	v_add_f64 v[47:48], v[51:52], -v[47:48]
	s_waitcnt_depctr 0xfff
	v_fma_f64 v[63:64], -v[41:42], v[57:58], 1.0
	v_add_f64 v[39:40], v[39:40], -v[61:62]
	v_add_f64 v[37:38], v[47:48], -v[37:38]
	s_delay_alu instid0(VALU_DEP_3) | instskip(NEXT) | instid1(VALU_DEP_3)
	v_fma_f64 v[57:58], v[57:58], v[63:64], v[57:58]
	v_add_f64 v[39:40], v[39:40], -v[51:52]
	s_delay_alu instid0(VALU_DEP_2) | instskip(NEXT) | instid1(VALU_DEP_2)
	v_fma_f64 v[51:52], -v[41:42], v[57:58], 1.0
	v_add_f64 v[33:34], v[33:34], v[39:40]
	v_div_scale_f64 v[39:40], vcc_lo, v[49:50], v[55:56], v[49:50]
	s_delay_alu instid0(VALU_DEP_3) | instskip(SKIP_1) | instid1(VALU_DEP_4)
	v_fma_f64 v[47:48], v[57:58], v[51:52], v[57:58]
	v_add_f64 v[51:52], v[43:44], v[45:46]
	v_add_f64 v[33:34], v[37:38], v[33:34]
	s_delay_alu instid0(VALU_DEP_3) | instskip(NEXT) | instid1(VALU_DEP_3)
	v_mul_f64 v[37:38], v[39:40], v[47:48]
	v_add_f64 v[43:44], v[51:52], -v[43:44]
	s_delay_alu instid0(VALU_DEP_3) | instskip(NEXT) | instid1(VALU_DEP_3)
	v_add_f64 v[33:34], v[61:62], v[33:34]
	v_fma_f64 v[39:40], -v[41:42], v[37:38], v[39:40]
	s_delay_alu instid0(VALU_DEP_3) | instskip(NEXT) | instid1(VALU_DEP_3)
	v_add_f64 v[41:42], v[45:46], -v[43:44]
	v_mul_f64 v[33:34], v[35:36], v[33:34]
	s_delay_alu instid0(VALU_DEP_3) | instskip(SKIP_1) | instid1(VALU_DEP_3)
	v_div_fmas_f64 v[35:36], v[39:40], v[47:48], v[37:38]
	v_cmp_eq_f64_e32 vcc_lo, 0x7ff00000, v[1:2]
	v_add_f64 v[33:34], v[41:42], v[33:34]
	s_delay_alu instid0(VALU_DEP_3) | instskip(NEXT) | instid1(VALU_DEP_2)
	v_div_fixup_f64 v[35:36], v[35:36], v[55:56], v[49:50]
	v_add_f64 v[37:38], v[51:52], v[33:34]
	s_delay_alu instid0(VALU_DEP_2) | instskip(NEXT) | instid1(VALU_DEP_2)
	v_mul_f64 v[39:40], v[35:36], v[35:36]
	v_mul_f64 v[41:42], v[37:38], v[37:38]
	s_delay_alu instid0(VALU_DEP_2) | instskip(NEXT) | instid1(VALU_DEP_2)
	v_fma_f64 v[43:44], v[39:40], s[48:49], s[46:47]
	v_fma_f64 v[45:46], v[41:42], s[28:29], s[26:27]
	v_mul_f64 v[47:48], v[37:38], v[41:42]
	s_delay_alu instid0(VALU_DEP_3) | instskip(NEXT) | instid1(VALU_DEP_3)
	v_fma_f64 v[43:44], v[39:40], v[43:44], s[50:51]
	v_fma_f64 v[45:46], v[41:42], v[45:46], s[34:35]
	s_delay_alu instid0(VALU_DEP_2) | instskip(NEXT) | instid1(VALU_DEP_2)
	v_fma_f64 v[43:44], v[39:40], v[43:44], s[52:53]
	v_fma_f64 v[45:46], v[41:42], v[45:46], s[36:37]
	s_delay_alu instid0(VALU_DEP_2) | instskip(NEXT) | instid1(VALU_DEP_2)
	;; [unrolled: 3-line block ×4, first 2 shown]
	v_fma_f64 v[43:44], v[39:40], v[43:44], s[58:59]
	v_fma_f64 v[41:42], v[41:42], v[45:46], s[98:99]
	v_ldexp_f64 v[45:46], v[37:38], 1
	v_add_f64 v[37:38], v[37:38], -v[51:52]
	s_delay_alu instid0(VALU_DEP_4) | instskip(NEXT) | instid1(VALU_DEP_4)
	v_fma_f64 v[43:44], v[39:40], v[43:44], s[60:61]
	v_mul_f64 v[41:42], v[47:48], v[41:42]
	v_cvt_f64_i32_e32 v[47:48], v3
	s_delay_alu instid0(VALU_DEP_4) | instskip(NEXT) | instid1(VALU_DEP_4)
	v_add_f64 v[33:34], v[33:34], -v[37:38]
	v_fma_f64 v[43:44], v[39:40], v[43:44], s[62:63]
	v_ashrrev_i32_e32 v3, 31, v14
	v_add_f64 v[49:50], v[45:46], v[41:42]
	v_mul_f64 v[51:52], v[47:48], s[42:43]
	v_ldexp_f64 v[33:34], v[33:34], 1
	v_fma_f64 v[43:44], v[39:40], v[43:44], s[64:65]
	s_delay_alu instid0(VALU_DEP_4) | instskip(NEXT) | instid1(VALU_DEP_4)
	v_add_f64 v[37:38], v[49:50], -v[45:46]
	v_fma_f64 v[45:46], v[47:48], s[42:43], -v[51:52]
	s_delay_alu instid0(VALU_DEP_3) | instskip(NEXT) | instid1(VALU_DEP_3)
	v_fma_f64 v[43:44], v[39:40], v[43:44], s[66:67]
	v_add_f64 v[37:38], v[41:42], -v[37:38]
	s_delay_alu instid0(VALU_DEP_2) | instskip(NEXT) | instid1(VALU_DEP_4)
	v_fma_f64 v[41:42], v[39:40], v[43:44], s[68:69]
	v_fma_f64 v[43:44], v[47:48], s[44:45], v[45:46]
	s_delay_alu instid0(VALU_DEP_3) | instskip(NEXT) | instid1(VALU_DEP_3)
	v_add_f64 v[33:34], v[33:34], v[37:38]
	v_fma_f64 v[37:38], v[39:40], v[41:42], s[70:71]
	s_delay_alu instid0(VALU_DEP_3) | instskip(NEXT) | instid1(VALU_DEP_3)
	v_add_f64 v[41:42], v[51:52], v[43:44]
	v_add_f64 v[45:46], v[49:50], v[33:34]
	s_delay_alu instid0(VALU_DEP_3) | instskip(NEXT) | instid1(VALU_DEP_3)
	v_fma_f64 v[37:38], v[39:40], v[37:38], s[72:73]
	v_add_f64 v[51:52], v[41:42], -v[51:52]
	s_delay_alu instid0(VALU_DEP_3) | instskip(SKIP_1) | instid1(VALU_DEP_4)
	v_add_f64 v[47:48], v[41:42], v[45:46]
	v_add_f64 v[49:50], v[45:46], -v[49:50]
	v_fma_f64 v[37:38], v[39:40], v[37:38], s[74:75]
	s_delay_alu instid0(VALU_DEP_4) | instskip(NEXT) | instid1(VALU_DEP_4)
	v_add_f64 v[43:44], v[43:44], -v[51:52]
	v_add_f64 v[53:54], v[47:48], -v[41:42]
	s_delay_alu instid0(VALU_DEP_4) | instskip(NEXT) | instid1(VALU_DEP_4)
	v_add_f64 v[33:34], v[33:34], -v[49:50]
	v_fma_f64 v[37:38], v[39:40], v[37:38], s[76:77]
	s_delay_alu instid0(VALU_DEP_3) | instskip(SKIP_1) | instid1(VALU_DEP_4)
	v_add_f64 v[55:56], v[47:48], -v[53:54]
	v_add_f64 v[45:46], v[45:46], -v[53:54]
	v_add_f64 v[49:50], v[43:44], v[33:34]
	s_delay_alu instid0(VALU_DEP_4) | instskip(NEXT) | instid1(VALU_DEP_4)
	v_fma_f64 v[37:38], v[39:40], v[37:38], s[78:79]
	v_add_f64 v[41:42], v[41:42], -v[55:56]
	s_delay_alu instid0(VALU_DEP_2) | instskip(NEXT) | instid1(VALU_DEP_2)
	v_fma_f64 v[37:38], v[39:40], v[37:38], s[80:81]
	v_add_f64 v[41:42], v[45:46], v[41:42]
	v_add_f64 v[45:46], v[49:50], -v[43:44]
	s_delay_alu instid0(VALU_DEP_3) | instskip(NEXT) | instid1(VALU_DEP_3)
	v_fma_f64 v[37:38], v[39:40], v[37:38], s[82:83]
	v_add_f64 v[41:42], v[49:50], v[41:42]
	s_delay_alu instid0(VALU_DEP_3) | instskip(SKIP_1) | instid1(VALU_DEP_4)
	v_add_f64 v[49:50], v[49:50], -v[45:46]
	v_add_f64 v[33:34], v[33:34], -v[45:46]
	v_fma_f64 v[37:38], v[39:40], v[37:38], s[84:85]
	s_delay_alu instid0(VALU_DEP_4) | instskip(NEXT) | instid1(VALU_DEP_2)
	v_add_f64 v[51:52], v[47:48], v[41:42]
	v_mul_f64 v[37:38], v[39:40], v[37:38]
	v_add_f64 v[39:40], v[43:44], -v[49:50]
	s_delay_alu instid0(VALU_DEP_3) | instskip(NEXT) | instid1(VALU_DEP_3)
	v_add_f64 v[43:44], v[51:52], -v[47:48]
	v_fma_f64 v[35:36], v[35:36], v[37:38], v[35:36]
	s_delay_alu instid0(VALU_DEP_3) | instskip(NEXT) | instid1(VALU_DEP_3)
	v_add_f64 v[33:34], v[33:34], v[39:40]
	v_add_f64 v[37:38], v[41:42], -v[43:44]
	s_delay_alu instid0(VALU_DEP_3) | instskip(NEXT) | instid1(VALU_DEP_2)
	v_add_f64 v[39:40], -v[35:36], s[86:87]
	v_add_f64 v[33:34], v[33:34], v[37:38]
	s_delay_alu instid0(VALU_DEP_2) | instskip(NEXT) | instid1(VALU_DEP_3)
	v_cndmask_b32_e64 v36, v36, v40, s4
	v_cndmask_b32_e64 v35, v35, v39, s4
	s_delay_alu instid0(VALU_DEP_1) | instskip(NEXT) | instid1(VALU_DEP_4)
	v_add_f64 v[37:38], -v[35:36], s[14:15]
	v_add_f64 v[33:34], v[51:52], v[33:34]
	v_and_b32_e32 v18, 0x54442d18, v3
	v_and_b32_e32 v3, 0x400921fb, v3
	s_delay_alu instid0(VALU_DEP_4) | instskip(SKIP_1) | instid1(VALU_DEP_1)
	v_cndmask_b32_e64 v35, v35, v37, s5
	v_cndmask_b32_e64 v14, v36, v38, s5
                                        ; implicit-def: $vgpr37_vgpr38
	v_cndmask_b32_e64 v3, v14, v3, s6
	v_dual_cndmask_b32 v1, v33, v1 :: v_dual_cndmask_b32 v2, v34, v2
	s_delay_alu instid0(VALU_DEP_4) | instskip(SKIP_1) | instid1(VALU_DEP_3)
	v_cndmask_b32_e64 v18, v35, v18, s6
	s_and_b32 vcc_lo, s9, s10
	v_cndmask_b32_e32 v34, v3, v13, vcc_lo
	s_delay_alu instid0(VALU_DEP_3) | instskip(NEXT) | instid1(VALU_DEP_3)
	v_mul_f64 v[1:2], v[1:2], 0.5
	v_cndmask_b32_e32 v33, v18, v11, vcc_lo
.LBB192_242:                            ;   in Loop: Header=BB192_145 Depth=1
	s_and_not1_saveexec_b32 s6, s8
	s_cbranch_execz .LBB192_244
; %bb.243:                              ;   in Loop: Header=BB192_145 Depth=1
	v_max_f64 v[1:2], |v[15:16]|, |v[15:16]|
	v_max_f64 v[33:34], |v[13:14]|, |v[13:14]|
	s_mov_b32 s14, s86
	v_cmp_class_f64_e64 s8, v[15:16], 0x204
	v_cmp_class_f64_e64 s9, v[13:14], 0x204
	v_cmp_eq_f64_e64 s5, 0, v[15:16]
	v_ashrrev_i32_e32 v11, 31, v14
	v_max_f64 v[35:36], v[33:34], v[1:2]
	v_min_f64 v[1:2], v[33:34], v[1:2]
	s_delay_alu instid0(VALU_DEP_1) | instskip(SKIP_1) | instid1(VALU_DEP_2)
	v_div_scale_f64 v[33:34], null, v[35:36], v[35:36], v[1:2]
	v_div_scale_f64 v[43:44], vcc_lo, v[1:2], v[35:36], v[1:2]
	v_rcp_f64_e32 v[39:40], v[33:34]
	s_waitcnt_depctr 0xfff
	v_fma_f64 v[41:42], -v[33:34], v[39:40], 1.0
	s_delay_alu instid0(VALU_DEP_1) | instskip(NEXT) | instid1(VALU_DEP_1)
	v_fma_f64 v[39:40], v[39:40], v[41:42], v[39:40]
	v_fma_f64 v[41:42], -v[33:34], v[39:40], 1.0
	s_delay_alu instid0(VALU_DEP_1) | instskip(NEXT) | instid1(VALU_DEP_1)
	v_fma_f64 v[39:40], v[39:40], v[41:42], v[39:40]
	v_mul_f64 v[41:42], v[43:44], v[39:40]
	s_delay_alu instid0(VALU_DEP_1) | instskip(NEXT) | instid1(VALU_DEP_1)
	v_fma_f64 v[33:34], -v[33:34], v[41:42], v[43:44]
	v_div_fmas_f64 v[33:34], v[33:34], v[39:40], v[41:42]
	v_cmp_gt_i32_e32 vcc_lo, 0, v14
	v_cndmask_b32_e32 v13, 0x3fe921fb, v60, vcc_lo
	v_cndmask_b32_e32 v18, 0x54442d18, v59, vcc_lo
	s_delay_alu instid0(VALU_DEP_2) | instskip(SKIP_1) | instid1(VALU_DEP_1)
	v_bfi_b32 v13, 0x7fffffff, v13, v16
	v_div_fixup_f64 v[1:2], v[33:34], v[35:36], v[1:2]
	v_mul_f64 v[33:34], v[1:2], v[1:2]
	s_delay_alu instid0(VALU_DEP_1) | instskip(NEXT) | instid1(VALU_DEP_1)
	v_fma_f64 v[35:36], v[33:34], s[48:49], s[46:47]
	v_fma_f64 v[35:36], v[33:34], v[35:36], s[50:51]
	s_delay_alu instid0(VALU_DEP_1) | instskip(NEXT) | instid1(VALU_DEP_1)
	v_fma_f64 v[35:36], v[33:34], v[35:36], s[52:53]
	v_fma_f64 v[35:36], v[33:34], v[35:36], s[54:55]
	;; [unrolled: 3-line block ×9, first 2 shown]
	s_delay_alu instid0(VALU_DEP_1) | instskip(NEXT) | instid1(VALU_DEP_1)
	v_fma_f64 v[35:36], v[33:34], v[35:36], s[84:85]
	v_mul_f64 v[33:34], v[33:34], v[35:36]
	v_mul_f64 v[35:36], v[37:38], 0.5
	s_delay_alu instid0(VALU_DEP_2) | instskip(NEXT) | instid1(VALU_DEP_1)
	v_fma_f64 v[1:2], v[1:2], v[33:34], v[1:2]
	v_add_f64 v[33:34], -v[1:2], s[86:87]
	s_delay_alu instid0(VALU_DEP_1) | instskip(NEXT) | instid1(VALU_DEP_2)
	v_cndmask_b32_e64 v3, v2, v34, s4
	v_cndmask_b32_e64 v2, v1, v33, s4
	s_delay_alu instid0(VALU_DEP_1) | instskip(NEXT) | instid1(VALU_DEP_1)
	v_add_f64 v[33:34], -v[2:3], s[14:15]
	v_cndmask_b32_e32 v33, v2, v33, vcc_lo
	v_mul_f64 v[1:2], v[37:38], v[35:36]
	s_delay_alu instid0(VALU_DEP_3) | instskip(SKIP_3) | instid1(VALU_DEP_1)
	v_cndmask_b32_e32 v3, v3, v34, vcc_lo
	s_and_b32 vcc_lo, s8, s9
	v_and_b32_e32 v39, 0x54442d18, v11
	v_and_b32_e32 v11, 0x400921fb, v11
	v_cndmask_b32_e64 v3, v3, v11, s5
	s_delay_alu instid0(VALU_DEP_1) | instskip(NEXT) | instid1(VALU_DEP_4)
	v_cndmask_b32_e32 v34, v3, v13, vcc_lo
	v_cndmask_b32_e64 v14, v33, v39, s5
	s_delay_alu instid0(VALU_DEP_1)
	v_cndmask_b32_e32 v33, v14, v18, vcc_lo
.LBB192_244:                            ;   in Loop: Header=BB192_145 Depth=1
	s_or_b32 exec_lo, exec_lo, s6
.LBB192_245:                            ;   in Loop: Header=BB192_145 Depth=1
	s_delay_alu instid0(SALU_CYCLE_1)
	s_or_b32 exec_lo, exec_lo, s7
.LBB192_246:                            ;   in Loop: Header=BB192_145 Depth=1
	s_and_not1_saveexec_b32 s7, s20
	s_cbranch_execz .LBB192_248
; %bb.247:                              ;   in Loop: Header=BB192_145 Depth=1
	v_div_scale_f64 v[1:2], null, s[92:93], s[92:93], v[13:14]
	v_div_scale_f64 v[33:34], null, s[92:93], s[92:93], v[15:16]
	v_div_scale_f64 v[43:44], vcc_lo, v[13:14], s[92:93], v[13:14]
	v_max_f64 v[47:48], |v[13:14]|, |v[13:14]|
	s_mov_b32 s99, s25
	s_mov_b32 s14, s86
	s_delay_alu instid0(VALU_DEP_4) | instskip(NEXT) | instid1(VALU_DEP_3)
	v_rcp_f64_e32 v[35:36], v[1:2]
	v_rcp_f64_e32 v[37:38], v[33:34]
	s_waitcnt_depctr 0xfff
	v_fma_f64 v[39:40], -v[1:2], v[35:36], 1.0
	v_fma_f64 v[41:42], -v[33:34], v[37:38], 1.0
	s_delay_alu instid0(VALU_DEP_2) | instskip(NEXT) | instid1(VALU_DEP_2)
	v_fma_f64 v[35:36], v[35:36], v[39:40], v[35:36]
	v_fma_f64 v[37:38], v[37:38], v[41:42], v[37:38]
	s_delay_alu instid0(VALU_DEP_2) | instskip(NEXT) | instid1(VALU_DEP_2)
	v_fma_f64 v[39:40], -v[1:2], v[35:36], 1.0
	v_fma_f64 v[41:42], -v[33:34], v[37:38], 1.0
	s_delay_alu instid0(VALU_DEP_2) | instskip(SKIP_1) | instid1(VALU_DEP_3)
	v_fma_f64 v[35:36], v[35:36], v[39:40], v[35:36]
	v_div_scale_f64 v[39:40], s5, v[15:16], s[92:93], v[15:16]
	v_fma_f64 v[37:38], v[37:38], v[41:42], v[37:38]
	s_delay_alu instid0(VALU_DEP_3) | instskip(NEXT) | instid1(VALU_DEP_2)
	v_mul_f64 v[41:42], v[43:44], v[35:36]
	v_mul_f64 v[45:46], v[39:40], v[37:38]
	s_delay_alu instid0(VALU_DEP_2) | instskip(NEXT) | instid1(VALU_DEP_2)
	v_fma_f64 v[1:2], -v[1:2], v[41:42], v[43:44]
	v_fma_f64 v[33:34], -v[33:34], v[45:46], v[39:40]
	s_delay_alu instid0(VALU_DEP_2) | instskip(SKIP_1) | instid1(VALU_DEP_2)
	v_div_fmas_f64 v[1:2], v[1:2], v[35:36], v[41:42]
	s_mov_b32 vcc_lo, s5
	v_div_fmas_f64 v[33:34], v[33:34], v[37:38], v[45:46]
	s_delay_alu instid0(VALU_DEP_2) | instskip(NEXT) | instid1(VALU_DEP_2)
	v_div_fixup_f64 v[1:2], v[1:2], s[92:93], v[13:14]
	v_div_fixup_f64 v[33:34], v[33:34], s[92:93], v[15:16]
	s_delay_alu instid0(VALU_DEP_2) | instskip(NEXT) | instid1(VALU_DEP_2)
	v_cmp_class_f64_e64 s6, v[1:2], 0x204
	v_max_f64 v[35:36], |v[1:2]|, |v[33:34]|
	v_cmp_o_f64_e64 s5, v[1:2], v[33:34]
	v_cmp_class_f64_e64 s8, v[33:34], 0x204
	s_delay_alu instid0(VALU_DEP_3) | instskip(NEXT) | instid1(VALU_DEP_2)
	v_frexp_exp_i32_f64_e32 v3, v[35:36]
	s_or_b32 s8, s8, s6
	s_delay_alu instid0(VALU_DEP_1) | instskip(NEXT) | instid1(VALU_DEP_1)
	v_sub_nc_u32_e32 v11, 0, v3
	v_ldexp_f64 v[35:36], |v[33:34]|, v11
	v_ldexp_f64 v[37:38], |v[1:2]|, v11
	s_delay_alu instid0(VALU_DEP_2) | instskip(NEXT) | instid1(VALU_DEP_1)
	v_mul_f64 v[35:36], v[35:36], v[35:36]
	v_fma_f64 v[35:36], v[37:38], v[37:38], v[35:36]
	s_delay_alu instid0(VALU_DEP_1) | instskip(SKIP_4) | instid1(VALU_DEP_1)
	v_rsq_f64_e32 v[37:38], v[35:36]
	v_cmp_eq_f64_e32 vcc_lo, 0, v[35:36]
	s_waitcnt_depctr 0xfff
	v_mul_f64 v[39:40], v[35:36], v[37:38]
	v_mul_f64 v[37:38], v[37:38], 0.5
	v_fma_f64 v[41:42], -v[37:38], v[39:40], 0.5
	s_delay_alu instid0(VALU_DEP_1) | instskip(SKIP_1) | instid1(VALU_DEP_2)
	v_fma_f64 v[39:40], v[39:40], v[41:42], v[39:40]
	v_fma_f64 v[37:38], v[37:38], v[41:42], v[37:38]
	v_fma_f64 v[41:42], -v[39:40], v[39:40], v[35:36]
	s_delay_alu instid0(VALU_DEP_1) | instskip(NEXT) | instid1(VALU_DEP_1)
	v_fma_f64 v[37:38], v[41:42], v[37:38], v[39:40]
	v_dual_cndmask_b32 v36, v38, v36 :: v_dual_cndmask_b32 v35, v37, v35
	s_delay_alu instid0(VALU_DEP_1) | instskip(NEXT) | instid1(VALU_DEP_1)
	v_ldexp_f64 v[35:36], v[35:36], v3
	v_cndmask_b32_e64 v1, 0, v35, s5
	s_delay_alu instid0(VALU_DEP_2) | instskip(NEXT) | instid1(VALU_DEP_2)
	v_cndmask_b32_e64 v11, 0x7ff80000, v36, s5
	v_cndmask_b32_e64 v2, v1, 0, s8
	s_delay_alu instid0(VALU_DEP_2) | instskip(NEXT) | instid1(VALU_DEP_1)
	v_cndmask_b32_e64 v3, v11, 0x7ff00000, s8
	v_frexp_mant_f64_e32 v[33:34], v[2:3]
	s_delay_alu instid0(VALU_DEP_1) | instskip(NEXT) | instid1(VALU_DEP_1)
	v_cmp_gt_f64_e64 s6, s[24:25], v[33:34]
	v_cndmask_b32_e64 v18, 0x3ff00000, 2.0, s6
	s_delay_alu instid0(VALU_DEP_1) | instskip(SKIP_1) | instid1(VALU_DEP_2)
	v_mul_f64 v[33:34], v[33:34], v[17:18]
	v_frexp_exp_i32_f64_e32 v18, v[2:3]
	v_add_f64 v[37:38], v[33:34], 1.0
	v_add_f64 v[43:44], v[33:34], -1.0
	s_delay_alu instid0(VALU_DEP_2) | instskip(SKIP_1) | instid1(VALU_DEP_1)
	v_rcp_f64_e32 v[39:40], v[37:38]
	v_add_f64 v[49:50], v[37:38], -1.0
	v_add_f64 v[33:34], v[33:34], -v[49:50]
	s_waitcnt_depctr 0xfff
	v_fma_f64 v[41:42], -v[37:38], v[39:40], 1.0
	s_delay_alu instid0(VALU_DEP_1) | instskip(NEXT) | instid1(VALU_DEP_1)
	v_fma_f64 v[39:40], v[41:42], v[39:40], v[39:40]
	v_fma_f64 v[41:42], -v[37:38], v[39:40], 1.0
	s_delay_alu instid0(VALU_DEP_1) | instskip(SKIP_1) | instid1(VALU_DEP_2)
	v_fma_f64 v[39:40], v[41:42], v[39:40], v[39:40]
	v_max_f64 v[41:42], |v[15:16]|, |v[15:16]|
	v_mul_f64 v[45:46], v[43:44], v[39:40]
	s_delay_alu instid0(VALU_DEP_2) | instskip(SKIP_1) | instid1(VALU_DEP_3)
	v_max_f64 v[53:54], v[47:48], v[41:42]
	v_min_f64 v[41:42], v[47:48], v[41:42]
	v_mul_f64 v[51:52], v[37:38], v[45:46]
	s_delay_alu instid0(VALU_DEP_2) | instskip(NEXT) | instid1(VALU_DEP_2)
	v_div_scale_f64 v[47:48], null, v[53:54], v[53:54], v[41:42]
	v_fma_f64 v[37:38], v[45:46], v[37:38], -v[51:52]
	s_delay_alu instid0(VALU_DEP_1) | instskip(NEXT) | instid1(VALU_DEP_3)
	v_fma_f64 v[33:34], v[45:46], v[33:34], v[37:38]
	v_rcp_f64_e32 v[37:38], v[47:48]
	s_delay_alu instid0(VALU_DEP_1) | instskip(SKIP_4) | instid1(VALU_DEP_3)
	v_add_f64 v[49:50], v[51:52], v[33:34]
	s_waitcnt_depctr 0xfff
	v_fma_f64 v[55:56], -v[47:48], v[37:38], 1.0
	v_add_f64 v[57:58], v[43:44], -v[49:50]
	v_add_f64 v[51:52], v[49:50], -v[51:52]
	v_fma_f64 v[37:38], v[37:38], v[55:56], v[37:38]
	s_delay_alu instid0(VALU_DEP_3) | instskip(NEXT) | instid1(VALU_DEP_3)
	v_add_f64 v[43:44], v[43:44], -v[57:58]
	v_add_f64 v[33:34], v[51:52], -v[33:34]
	s_delay_alu instid0(VALU_DEP_3) | instskip(NEXT) | instid1(VALU_DEP_3)
	v_fma_f64 v[55:56], -v[47:48], v[37:38], 1.0
	v_add_f64 v[43:44], v[43:44], -v[49:50]
	v_div_scale_f64 v[49:50], vcc_lo, v[41:42], v[53:54], v[41:42]
	s_delay_alu instid0(VALU_DEP_3) | instskip(NEXT) | instid1(VALU_DEP_3)
	v_fma_f64 v[37:38], v[37:38], v[55:56], v[37:38]
	v_add_f64 v[33:34], v[33:34], v[43:44]
	s_delay_alu instid0(VALU_DEP_2) | instskip(NEXT) | instid1(VALU_DEP_2)
	v_mul_f64 v[43:44], v[49:50], v[37:38]
	v_add_f64 v[33:34], v[57:58], v[33:34]
	s_delay_alu instid0(VALU_DEP_2) | instskip(NEXT) | instid1(VALU_DEP_2)
	v_fma_f64 v[47:48], -v[47:48], v[43:44], v[49:50]
	v_mul_f64 v[33:34], v[39:40], v[33:34]
	s_delay_alu instid0(VALU_DEP_2) | instskip(SKIP_2) | instid1(VALU_DEP_4)
	v_div_fmas_f64 v[37:38], v[47:48], v[37:38], v[43:44]
	v_subrev_co_ci_u32_e64 v18, vcc_lo, 0, v18, s6
	v_cmp_class_f64_e64 s6, v[13:14], 0x204
	v_add_f64 v[39:40], v[45:46], v[33:34]
	s_delay_alu instid0(VALU_DEP_4) | instskip(NEXT) | instid1(VALU_DEP_2)
	v_div_fixup_f64 v[37:38], v[37:38], v[53:54], v[41:42]
	v_mul_f64 v[41:42], v[39:40], v[39:40]
	s_delay_alu instid0(VALU_DEP_2) | instskip(NEXT) | instid1(VALU_DEP_2)
	v_mul_f64 v[43:44], v[37:38], v[37:38]
	v_fma_f64 v[47:48], v[41:42], s[28:29], s[26:27]
	v_mul_f64 v[51:52], v[39:40], v[41:42]
	s_delay_alu instid0(VALU_DEP_3) | instskip(NEXT) | instid1(VALU_DEP_3)
	v_fma_f64 v[49:50], v[43:44], s[48:49], s[46:47]
	v_fma_f64 v[47:48], v[41:42], v[47:48], s[34:35]
	s_delay_alu instid0(VALU_DEP_2) | instskip(NEXT) | instid1(VALU_DEP_2)
	v_fma_f64 v[49:50], v[43:44], v[49:50], s[50:51]
	v_fma_f64 v[47:48], v[41:42], v[47:48], s[36:37]
	s_delay_alu instid0(VALU_DEP_2) | instskip(NEXT) | instid1(VALU_DEP_2)
	;; [unrolled: 3-line block ×4, first 2 shown]
	v_fma_f64 v[49:50], v[43:44], v[49:50], s[56:57]
	v_fma_f64 v[41:42], v[41:42], v[47:48], s[98:99]
	s_delay_alu instid0(VALU_DEP_2) | instskip(SKIP_2) | instid1(VALU_DEP_4)
	v_fma_f64 v[47:48], v[43:44], v[49:50], s[58:59]
	v_ldexp_f64 v[49:50], v[39:40], 1
	v_add_f64 v[39:40], v[39:40], -v[45:46]
	v_mul_f64 v[41:42], v[51:52], v[41:42]
	v_cvt_f64_i32_e32 v[51:52], v18
	v_ashrrev_i32_e32 v18, 31, v14
	v_fma_f64 v[47:48], v[43:44], v[47:48], s[60:61]
	v_add_f64 v[33:34], v[33:34], -v[39:40]
	v_add_f64 v[45:46], v[49:50], v[41:42]
	v_mul_f64 v[53:54], v[51:52], s[42:43]
	s_delay_alu instid0(VALU_DEP_4) | instskip(NEXT) | instid1(VALU_DEP_4)
	v_fma_f64 v[47:48], v[43:44], v[47:48], s[62:63]
	v_ldexp_f64 v[33:34], v[33:34], 1
	s_delay_alu instid0(VALU_DEP_4) | instskip(NEXT) | instid1(VALU_DEP_4)
	v_add_f64 v[39:40], v[45:46], -v[49:50]
	v_fma_f64 v[49:50], v[51:52], s[42:43], -v[53:54]
	s_delay_alu instid0(VALU_DEP_4) | instskip(NEXT) | instid1(VALU_DEP_3)
	v_fma_f64 v[47:48], v[43:44], v[47:48], s[64:65]
	v_add_f64 v[39:40], v[41:42], -v[39:40]
	s_delay_alu instid0(VALU_DEP_2) | instskip(NEXT) | instid1(VALU_DEP_4)
	v_fma_f64 v[41:42], v[43:44], v[47:48], s[66:67]
	v_fma_f64 v[47:48], v[51:52], s[44:45], v[49:50]
	s_delay_alu instid0(VALU_DEP_3) | instskip(NEXT) | instid1(VALU_DEP_3)
	v_add_f64 v[33:34], v[33:34], v[39:40]
	v_fma_f64 v[39:40], v[43:44], v[41:42], s[68:69]
	s_delay_alu instid0(VALU_DEP_3) | instskip(NEXT) | instid1(VALU_DEP_3)
	v_add_f64 v[41:42], v[53:54], v[47:48]
	v_add_f64 v[49:50], v[45:46], v[33:34]
	s_delay_alu instid0(VALU_DEP_3) | instskip(NEXT) | instid1(VALU_DEP_3)
	v_fma_f64 v[39:40], v[43:44], v[39:40], s[70:71]
	v_add_f64 v[53:54], v[41:42], -v[53:54]
	s_delay_alu instid0(VALU_DEP_3) | instskip(SKIP_1) | instid1(VALU_DEP_4)
	v_add_f64 v[51:52], v[41:42], v[49:50]
	v_add_f64 v[45:46], v[49:50], -v[45:46]
	v_fma_f64 v[39:40], v[43:44], v[39:40], s[72:73]
	s_delay_alu instid0(VALU_DEP_4) | instskip(NEXT) | instid1(VALU_DEP_4)
	v_add_f64 v[47:48], v[47:48], -v[53:54]
	v_add_f64 v[55:56], v[51:52], -v[41:42]
	s_delay_alu instid0(VALU_DEP_4) | instskip(NEXT) | instid1(VALU_DEP_4)
	v_add_f64 v[33:34], v[33:34], -v[45:46]
	v_fma_f64 v[39:40], v[43:44], v[39:40], s[74:75]
	s_delay_alu instid0(VALU_DEP_3) | instskip(SKIP_1) | instid1(VALU_DEP_4)
	v_add_f64 v[57:58], v[51:52], -v[55:56]
	v_add_f64 v[45:46], v[49:50], -v[55:56]
	v_add_f64 v[49:50], v[47:48], v[33:34]
	s_delay_alu instid0(VALU_DEP_4) | instskip(NEXT) | instid1(VALU_DEP_4)
	v_fma_f64 v[39:40], v[43:44], v[39:40], s[76:77]
	v_add_f64 v[41:42], v[41:42], -v[57:58]
	s_delay_alu instid0(VALU_DEP_2) | instskip(NEXT) | instid1(VALU_DEP_2)
	v_fma_f64 v[39:40], v[43:44], v[39:40], s[78:79]
	v_add_f64 v[41:42], v[45:46], v[41:42]
	v_add_f64 v[45:46], v[49:50], -v[47:48]
	s_delay_alu instid0(VALU_DEP_3) | instskip(NEXT) | instid1(VALU_DEP_3)
	v_fma_f64 v[39:40], v[43:44], v[39:40], s[80:81]
	v_add_f64 v[41:42], v[49:50], v[41:42]
	s_delay_alu instid0(VALU_DEP_3) | instskip(SKIP_1) | instid1(VALU_DEP_4)
	v_add_f64 v[49:50], v[49:50], -v[45:46]
	v_add_f64 v[33:34], v[33:34], -v[45:46]
	v_fma_f64 v[39:40], v[43:44], v[39:40], s[82:83]
	s_delay_alu instid0(VALU_DEP_4) | instskip(NEXT) | instid1(VALU_DEP_4)
	v_add_f64 v[53:54], v[51:52], v[41:42]
	v_add_f64 v[45:46], v[47:48], -v[49:50]
	s_delay_alu instid0(VALU_DEP_3) | instskip(NEXT) | instid1(VALU_DEP_3)
	v_fma_f64 v[39:40], v[43:44], v[39:40], s[84:85]
	v_add_f64 v[47:48], v[53:54], -v[51:52]
	s_delay_alu instid0(VALU_DEP_3) | instskip(NEXT) | instid1(VALU_DEP_3)
	v_add_f64 v[33:34], v[33:34], v[45:46]
	v_mul_f64 v[39:40], v[43:44], v[39:40]
	s_delay_alu instid0(VALU_DEP_3) | instskip(NEXT) | instid1(VALU_DEP_2)
	v_add_f64 v[41:42], v[41:42], -v[47:48]
	v_fma_f64 v[37:38], v[37:38], v[39:40], v[37:38]
	s_delay_alu instid0(VALU_DEP_2) | instskip(NEXT) | instid1(VALU_DEP_2)
	v_add_f64 v[33:34], v[33:34], v[41:42]
	v_add_f64 v[39:40], -v[37:38], s[86:87]
	s_delay_alu instid0(VALU_DEP_2) | instskip(SKIP_1) | instid1(VALU_DEP_1)
	v_add_f64 v[33:34], v[53:54], v[33:34]
	v_and_b32_e32 v36, 0x7fffffff, v36
	v_cmp_eq_f64_e32 vcc_lo, 0x7ff00000, v[35:36]
	s_delay_alu instid0(VALU_DEP_4) | instskip(SKIP_2) | instid1(VALU_DEP_2)
	v_cndmask_b32_e64 v36, v38, v40, s4
	v_cndmask_b32_e64 v35, v37, v39, s4
	v_cmp_eq_f64_e64 s4, 0, v[15:16]
	v_add_f64 v[37:38], -v[35:36], s[14:15]
	s_and_b32 vcc_lo, s5, vcc_lo
	v_cmp_class_f64_e64 s5, v[15:16], 0x204
	v_dual_cndmask_b32 v33, v33, v1 :: v_dual_cndmask_b32 v34, v34, v11
	v_and_b32_e32 v1, 0x54442d18, v18
	v_cmp_gt_i32_e32 vcc_lo, 0, v14
	v_and_b32_e32 v14, 0x400921fb, v18
	s_delay_alu instid0(VALU_DEP_4) | instskip(SKIP_3) | instid1(VALU_DEP_3)
	v_add_f64 v[33:34], v[33:34], 1.0
	v_cndmask_b32_e32 v35, v35, v37, vcc_lo
	v_cndmask_b32_e32 v11, 0x54442d18, v59, vcc_lo
	;; [unrolled: 1-line block ×3, first 2 shown]
	v_cndmask_b32_e64 v35, v35, v1, s4
	v_cndmask_b32_e32 v18, v36, v38, vcc_lo
	v_cmp_ngt_f64_e32 vcc_lo, 0, v[2:3]
	s_delay_alu instid0(VALU_DEP_4) | instskip(NEXT) | instid1(VALU_DEP_3)
	v_bfi_b32 v13, 0x7fffffff, v13, v16
	v_cndmask_b32_e64 v1, v18, v14, s4
	v_cmp_nge_f64_e64 s4, 0, v[2:3]
	v_cndmask_b32_e64 v34, v34, 0x7ff00000, s8
	v_cndmask_b32_e64 v14, v33, 0, s8
	s_delay_alu instid0(VALU_DEP_2) | instskip(SKIP_2) | instid1(VALU_DEP_3)
	v_cndmask_b32_e32 v18, 0x7ff80000, v34, vcc_lo
	s_and_b32 vcc_lo, s5, s6
	v_dual_cndmask_b32 v33, v35, v11 :: v_dual_cndmask_b32 v34, v1, v13
	v_cndmask_b32_e64 v1, 0, v14, s4
	v_cmp_neq_f64_e64 s4, 0, v[2:3]
	s_delay_alu instid0(VALU_DEP_1)
	v_cndmask_b32_e64 v2, 0xfff00000, v18, s4
.LBB192_248:                            ;   in Loop: Header=BB192_145 Depth=1
	s_or_b32 exec_lo, exec_lo, s7
.LBB192_249:                            ;   in Loop: Header=BB192_145 Depth=1
	s_and_not1_saveexec_b32 s4, s89
	s_cbranch_execz .LBB192_255
; %bb.250:                              ;   in Loop: Header=BB192_145 Depth=1
	v_cmp_ngt_f64_e64 s5, 0x20000000, |v[13:14]|
	v_cmp_ngt_f64_e64 s6, 0x20000000, |v[15:16]|
                                        ; implicit-def: $vgpr2_vgpr3
	s_delay_alu instid0(VALU_DEP_1) | instskip(NEXT) | instid1(SALU_CYCLE_1)
	s_or_b32 s5, s6, s5
	s_and_saveexec_b32 s6, s5
	s_delay_alu instid0(SALU_CYCLE_1)
	s_xor_b32 s5, exec_lo, s6
; %bb.251:                              ;   in Loop: Header=BB192_145 Depth=1
	v_mul_f64 v[1:2], v[13:14], v[13:14]
	s_delay_alu instid0(VALU_DEP_1)
	v_fma_f64 v[2:3], v[15:16], v[15:16], v[1:2]
; %bb.252:                              ;   in Loop: Header=BB192_145 Depth=1
	s_and_not1_saveexec_b32 s5, s5
; %bb.253:                              ;   in Loop: Header=BB192_145 Depth=1
	v_mul_f64 v[1:2], v[13:14], 4.0
	v_mul_f64 v[13:14], v[15:16], 4.0
	s_delay_alu instid0(VALU_DEP_2) | instskip(NEXT) | instid1(VALU_DEP_1)
	v_mul_f64 v[1:2], v[1:2], v[1:2]
	v_fma_f64 v[1:2], v[13:14], v[13:14], v[1:2]
	s_delay_alu instid0(VALU_DEP_1)
	v_ldexp_f64 v[2:3], v[1:2], -4
; %bb.254:                              ;   in Loop: Header=BB192_145 Depth=1
	s_or_b32 exec_lo, exec_lo, s5
	s_delay_alu instid0(VALU_DEP_1) | instskip(SKIP_2) | instid1(VALU_DEP_2)
	v_frexp_mant_f64_e32 v[13:14], v[2:3]
	s_mov_b32 s99, s25
	v_frexp_exp_i32_f64_e32 v1, v[2:3]
	v_cmp_gt_f64_e32 vcc_lo, s[24:25], v[13:14]
	v_cndmask_b32_e64 v18, 0x3ff00000, 2.0, vcc_lo
	s_delay_alu instid0(VALU_DEP_3) | instskip(SKIP_1) | instid1(VALU_DEP_3)
	v_subrev_co_ci_u32_e32 v1, vcc_lo, 0, v1, vcc_lo
	v_cmp_class_f64_e64 vcc_lo, v[2:3], 0x204
	v_mul_f64 v[13:14], v[13:14], v[17:18]
	s_delay_alu instid0(VALU_DEP_1) | instskip(SKIP_1) | instid1(VALU_DEP_2)
	v_add_f64 v[33:34], v[13:14], 1.0
	v_add_f64 v[39:40], v[13:14], -1.0
	v_rcp_f64_e32 v[35:36], v[33:34]
	v_add_f64 v[41:42], v[33:34], -1.0
	s_delay_alu instid0(VALU_DEP_1) | instskip(SKIP_2) | instid1(VALU_DEP_1)
	v_add_f64 v[13:14], v[13:14], -v[41:42]
	s_waitcnt_depctr 0xfff
	v_fma_f64 v[37:38], -v[33:34], v[35:36], 1.0
	v_fma_f64 v[35:36], v[37:38], v[35:36], v[35:36]
	s_delay_alu instid0(VALU_DEP_1) | instskip(NEXT) | instid1(VALU_DEP_1)
	v_fma_f64 v[37:38], -v[33:34], v[35:36], 1.0
	v_fma_f64 v[35:36], v[37:38], v[35:36], v[35:36]
	s_delay_alu instid0(VALU_DEP_1) | instskip(NEXT) | instid1(VALU_DEP_1)
	v_mul_f64 v[37:38], v[39:40], v[35:36]
	v_mul_f64 v[43:44], v[33:34], v[37:38]
	s_delay_alu instid0(VALU_DEP_1) | instskip(NEXT) | instid1(VALU_DEP_1)
	v_fma_f64 v[33:34], v[37:38], v[33:34], -v[43:44]
	v_fma_f64 v[13:14], v[37:38], v[13:14], v[33:34]
	s_delay_alu instid0(VALU_DEP_1) | instskip(NEXT) | instid1(VALU_DEP_1)
	v_add_f64 v[33:34], v[43:44], v[13:14]
	v_add_f64 v[41:42], v[39:40], -v[33:34]
	v_add_f64 v[43:44], v[33:34], -v[43:44]
	s_delay_alu instid0(VALU_DEP_2) | instskip(NEXT) | instid1(VALU_DEP_2)
	v_add_f64 v[39:40], v[39:40], -v[41:42]
	v_add_f64 v[13:14], v[43:44], -v[13:14]
	s_delay_alu instid0(VALU_DEP_2) | instskip(NEXT) | instid1(VALU_DEP_1)
	v_add_f64 v[33:34], v[39:40], -v[33:34]
	v_add_f64 v[13:14], v[13:14], v[33:34]
	s_delay_alu instid0(VALU_DEP_1) | instskip(NEXT) | instid1(VALU_DEP_1)
	v_add_f64 v[13:14], v[41:42], v[13:14]
	v_mul_f64 v[13:14], v[35:36], v[13:14]
	s_delay_alu instid0(VALU_DEP_1) | instskip(NEXT) | instid1(VALU_DEP_1)
	v_add_f64 v[33:34], v[37:38], v[13:14]
	v_mul_f64 v[35:36], v[33:34], v[33:34]
	s_delay_alu instid0(VALU_DEP_1) | instskip(SKIP_1) | instid1(VALU_DEP_2)
	v_fma_f64 v[39:40], v[35:36], s[28:29], s[26:27]
	v_mul_f64 v[41:42], v[33:34], v[35:36]
	v_fma_f64 v[39:40], v[35:36], v[39:40], s[34:35]
	s_delay_alu instid0(VALU_DEP_1) | instskip(NEXT) | instid1(VALU_DEP_1)
	v_fma_f64 v[39:40], v[35:36], v[39:40], s[36:37]
	v_fma_f64 v[39:40], v[35:36], v[39:40], s[38:39]
	s_delay_alu instid0(VALU_DEP_1) | instskip(NEXT) | instid1(VALU_DEP_1)
	v_fma_f64 v[39:40], v[35:36], v[39:40], s[40:41]
	v_fma_f64 v[35:36], v[35:36], v[39:40], s[98:99]
	v_ldexp_f64 v[39:40], v[33:34], 1
	v_add_f64 v[33:34], v[33:34], -v[37:38]
	s_delay_alu instid0(VALU_DEP_3) | instskip(SKIP_1) | instid1(VALU_DEP_3)
	v_mul_f64 v[35:36], v[41:42], v[35:36]
	v_cvt_f64_i32_e32 v[41:42], v1
	v_add_f64 v[13:14], v[13:14], -v[33:34]
	s_delay_alu instid0(VALU_DEP_3) | instskip(NEXT) | instid1(VALU_DEP_3)
	v_add_f64 v[37:38], v[39:40], v[35:36]
	v_mul_f64 v[43:44], v[41:42], s[42:43]
	s_delay_alu instid0(VALU_DEP_3) | instskip(NEXT) | instid1(VALU_DEP_3)
	v_ldexp_f64 v[13:14], v[13:14], 1
	v_add_f64 v[33:34], v[37:38], -v[39:40]
	s_delay_alu instid0(VALU_DEP_3) | instskip(NEXT) | instid1(VALU_DEP_2)
	v_fma_f64 v[39:40], v[41:42], s[42:43], -v[43:44]
	v_add_f64 v[33:34], v[35:36], -v[33:34]
	s_delay_alu instid0(VALU_DEP_2) | instskip(NEXT) | instid1(VALU_DEP_2)
	v_fma_f64 v[35:36], v[41:42], s[44:45], v[39:40]
	v_add_f64 v[13:14], v[13:14], v[33:34]
	s_delay_alu instid0(VALU_DEP_2) | instskip(NEXT) | instid1(VALU_DEP_2)
	v_add_f64 v[33:34], v[43:44], v[35:36]
	v_add_f64 v[39:40], v[37:38], v[13:14]
	s_delay_alu instid0(VALU_DEP_2) | instskip(NEXT) | instid1(VALU_DEP_2)
	v_add_f64 v[43:44], v[33:34], -v[43:44]
	v_add_f64 v[41:42], v[33:34], v[39:40]
	v_add_f64 v[37:38], v[39:40], -v[37:38]
	s_delay_alu instid0(VALU_DEP_3) | instskip(NEXT) | instid1(VALU_DEP_3)
	v_add_f64 v[35:36], v[35:36], -v[43:44]
	v_add_f64 v[45:46], v[41:42], -v[33:34]
	s_delay_alu instid0(VALU_DEP_3) | instskip(NEXT) | instid1(VALU_DEP_2)
	v_add_f64 v[13:14], v[13:14], -v[37:38]
	v_add_f64 v[47:48], v[41:42], -v[45:46]
	;; [unrolled: 1-line block ×3, first 2 shown]
	s_delay_alu instid0(VALU_DEP_3) | instskip(NEXT) | instid1(VALU_DEP_3)
	v_add_f64 v[39:40], v[35:36], v[13:14]
	v_add_f64 v[33:34], v[33:34], -v[47:48]
	s_delay_alu instid0(VALU_DEP_1) | instskip(NEXT) | instid1(VALU_DEP_3)
	v_add_f64 v[33:34], v[37:38], v[33:34]
	v_add_f64 v[37:38], v[39:40], -v[35:36]
	s_delay_alu instid0(VALU_DEP_2) | instskip(NEXT) | instid1(VALU_DEP_2)
	v_add_f64 v[33:34], v[39:40], v[33:34]
	v_add_f64 v[39:40], v[39:40], -v[37:38]
	v_add_f64 v[13:14], v[13:14], -v[37:38]
	s_delay_alu instid0(VALU_DEP_3) | instskip(NEXT) | instid1(VALU_DEP_3)
	v_add_f64 v[43:44], v[41:42], v[33:34]
	v_add_f64 v[35:36], v[35:36], -v[39:40]
	s_delay_alu instid0(VALU_DEP_2) | instskip(NEXT) | instid1(VALU_DEP_2)
	v_add_f64 v[37:38], v[43:44], -v[41:42]
	v_add_f64 v[13:14], v[13:14], v[35:36]
	s_delay_alu instid0(VALU_DEP_2) | instskip(NEXT) | instid1(VALU_DEP_1)
	v_add_f64 v[33:34], v[33:34], -v[37:38]
	v_add_f64 v[13:14], v[13:14], v[33:34]
	s_delay_alu instid0(VALU_DEP_1) | instskip(NEXT) | instid1(VALU_DEP_1)
	v_add_f64 v[13:14], v[43:44], v[13:14]
	v_cndmask_b32_e32 v1, v13, v2, vcc_lo
	s_delay_alu instid0(VALU_DEP_2) | instskip(SKIP_1) | instid1(VALU_DEP_2)
	v_cndmask_b32_e32 v11, v14, v3, vcc_lo
	v_cmp_ngt_f64_e32 vcc_lo, 0, v[2:3]
	v_cndmask_b32_e32 v11, 0x7ff80000, v11, vcc_lo
	v_cmp_nge_f64_e32 vcc_lo, 0, v[2:3]
	v_mov_b32_e32 v33, 0
	v_dual_mov_b32 v34, 0x7ff80000 :: v_dual_cndmask_b32 v1, 0, v1
	v_cmp_neq_f64_e32 vcc_lo, 0, v[2:3]
	v_cndmask_b32_e32 v2, 0xfff00000, v11, vcc_lo
.LBB192_255:                            ;   in Loop: Header=BB192_145 Depth=1
	s_or_b32 exec_lo, exec_lo, s4
                                        ; implicit-def: $vgpr13_vgpr14
                                        ; implicit-def: $vgpr35_vgpr36
	s_delay_alu instid0(SALU_CYCLE_1)
	s_mov_b32 s4, exec_lo
	v_cmpx_o_f64_e32 v[5:6], v[7:8]
	s_xor_b32 s89, exec_lo, s4
	s_cbranch_execnz .LBB192_261
; %bb.256:                              ;   in Loop: Header=BB192_145 Depth=1
	s_and_not1_saveexec_b32 s4, s89
	s_cbranch_execnz .LBB192_288
.LBB192_257:                            ;   in Loop: Header=BB192_145 Depth=1
	s_or_b32 exec_lo, exec_lo, s4
	s_and_saveexec_b32 s4, s0
	s_delay_alu instid0(SALU_CYCLE_1)
	s_xor_b32 s0, exec_lo, s4
	s_cbranch_execnz .LBB192_293
.LBB192_258:                            ;   in Loop: Header=BB192_145 Depth=1
	s_or_b32 exec_lo, exec_lo, s0
	s_and_saveexec_b32 s0, s1
	s_cbranch_execnz .LBB192_294
.LBB192_259:                            ;   in Loop: Header=BB192_145 Depth=1
	s_or_b32 exec_lo, exec_lo, s0
	s_and_saveexec_b32 s0, s2
	s_cbranch_execnz .LBB192_295
.LBB192_260:                            ;   in Loop: Header=BB192_145 Depth=1
	s_or_b32 exec_lo, exec_lo, s0
	s_and_saveexec_b32 s0, s3
	s_cbranch_execz .LBB192_144
	s_branch .LBB192_296
.LBB192_261:                            ;   in Loop: Header=BB192_145 Depth=1
	v_cmp_lt_f64_e64 s4, |v[5:6]|, |v[7:8]|
	v_and_b32_e32 v3, 0x7fffffff, v6
	v_and_b32_e32 v11, 0x7fffffff, v8
	v_mov_b32_e32 v15, v7
                                        ; implicit-def: $vgpr13_vgpr14
                                        ; implicit-def: $vgpr35_vgpr36
	s_mov_b32 s5, exec_lo
	s_delay_alu instid0(VALU_DEP_2) | instskip(NEXT) | instid1(VALU_DEP_2)
	v_cndmask_b32_e64 v40, v11, v3, s4
	v_cndmask_b32_e64 v39, v15, v5, s4
	s_delay_alu instid0(VALU_DEP_1)
	v_cmpx_nlt_f64_e32 s[18:19], v[39:40]
	s_xor_b32 s20, exec_lo, s5
	s_cbranch_execz .LBB192_285
; %bb.262:                              ;   in Loop: Header=BB192_145 Depth=1
	v_cndmask_b32_e64 v42, v3, v11, s4
	v_cndmask_b32_e64 v41, v5, v15, s4
                                        ; implicit-def: $vgpr13_vgpr14
                                        ; implicit-def: $vgpr35_vgpr36
	s_mov_b32 s5, exec_lo
	s_delay_alu instid0(VALU_DEP_1)
	v_cmpx_neq_f64_e32 1.0, v[41:42]
	s_xor_b32 s21, exec_lo, s5
	s_cbranch_execz .LBB192_278
; %bb.263:                              ;   in Loop: Header=BB192_145 Depth=1
	v_max_f64 v[13:14], v[39:40], v[39:40]
	v_max_f64 v[35:36], v[41:42], v[41:42]
	s_mov_b32 s6, 0xc57e649a
	s_mov_b32 s7, 0x4a511b0e
	s_delay_alu instid0(VALU_DEP_1) | instskip(SKIP_1) | instid1(VALU_DEP_2)
	v_min_f64 v[37:38], v[35:36], v[13:14]
	v_max_f64 v[13:14], v[35:36], v[13:14]
                                        ; implicit-def: $vgpr35_vgpr36
	v_cmp_ngt_f64_e32 vcc_lo, s[12:13], v[37:38]
	s_delay_alu instid0(VALU_DEP_2) | instskip(NEXT) | instid1(VALU_DEP_1)
	v_cmp_nlt_f64_e64 s5, s[6:7], v[13:14]
                                        ; implicit-def: $vgpr13_vgpr14
	s_and_b32 s5, s5, vcc_lo
	s_delay_alu instid0(SALU_CYCLE_1) | instskip(NEXT) | instid1(SALU_CYCLE_1)
	s_and_saveexec_b32 s6, s5
	s_xor_b32 s22, exec_lo, s6
	s_cbranch_execz .LBB192_275
; %bb.264:                              ;   in Loop: Header=BB192_145 Depth=1
                                        ; implicit-def: $vgpr13_vgpr14
                                        ; implicit-def: $vgpr35_vgpr36
	s_mov_b32 s5, exec_lo
	v_cmpx_le_f64_e32 1.0, v[41:42]
	s_xor_b32 s6, exec_lo, s5
	s_cbranch_execz .LBB192_266
; %bb.265:                              ;   in Loop: Header=BB192_145 Depth=1
	v_add_f64 v[13:14], v[41:42], -1.0
	v_add_f64 v[35:36], v[41:42], 1.0
	s_mov_b32 s99, s25
	s_mov_b32 s14, s86
	v_cmp_gt_i32_e64 s5, 0, v6
	v_cmp_class_f64_e64 s8, v[5:6], 0x204
	v_cmp_class_f64_e64 s7, v[7:8], 0x204
	s_delay_alu instid0(VALU_DEP_4) | instskip(NEXT) | instid1(VALU_DEP_1)
	v_mul_f64 v[13:14], v[13:14], v[35:36]
	v_fma_f64 v[14:15], v[39:40], v[39:40], v[13:14]
	s_delay_alu instid0(VALU_DEP_1) | instskip(NEXT) | instid1(VALU_DEP_1)
	v_add_f64 v[35:36], v[14:15], 1.0
	v_frexp_mant_f64_e32 v[37:38], v[35:36]
	v_frexp_exp_i32_f64_e32 v3, v[35:36]
	v_add_f64 v[39:40], v[35:36], -1.0
	s_delay_alu instid0(VALU_DEP_3) | instskip(NEXT) | instid1(VALU_DEP_2)
	v_cmp_gt_f64_e32 vcc_lo, s[24:25], v[37:38]
	v_add_f64 v[37:38], v[39:40], -v[35:36]
	v_add_f64 v[39:40], v[14:15], -v[39:40]
	v_subrev_co_ci_u32_e32 v3, vcc_lo, 0, v3, vcc_lo
	s_delay_alu instid0(VALU_DEP_3) | instskip(NEXT) | instid1(VALU_DEP_2)
	v_add_f64 v[37:38], v[37:38], 1.0
	v_sub_nc_u32_e32 v11, 0, v3
	s_delay_alu instid0(VALU_DEP_1) | instskip(NEXT) | instid1(VALU_DEP_3)
	v_ldexp_f64 v[35:36], v[35:36], v11
	v_add_f64 v[37:38], v[39:40], v[37:38]
	s_delay_alu instid0(VALU_DEP_2) | instskip(SKIP_1) | instid1(VALU_DEP_3)
	v_add_f64 v[41:42], v[35:36], 1.0
	v_add_f64 v[47:48], v[35:36], -1.0
	v_ldexp_f64 v[37:38], v[37:38], v11
	v_cndmask_b32_e64 v11, 0x54442d18, v59, s5
	s_delay_alu instid0(VALU_DEP_4) | instskip(NEXT) | instid1(VALU_DEP_4)
	v_add_f64 v[39:40], v[41:42], -1.0
	v_add_f64 v[49:50], v[47:48], 1.0
	s_delay_alu instid0(VALU_DEP_2) | instskip(NEXT) | instid1(VALU_DEP_2)
	v_add_f64 v[39:40], v[35:36], -v[39:40]
	v_add_f64 v[35:36], v[35:36], -v[49:50]
	s_delay_alu instid0(VALU_DEP_2) | instskip(NEXT) | instid1(VALU_DEP_2)
	v_add_f64 v[39:40], v[37:38], v[39:40]
	v_add_f64 v[35:36], v[37:38], v[35:36]
	s_delay_alu instid0(VALU_DEP_2) | instskip(NEXT) | instid1(VALU_DEP_2)
	v_add_f64 v[43:44], v[41:42], v[39:40]
	v_add_f64 v[49:50], v[47:48], v[35:36]
	s_delay_alu instid0(VALU_DEP_2) | instskip(SKIP_1) | instid1(VALU_DEP_2)
	v_rcp_f64_e32 v[45:46], v[43:44]
	v_add_f64 v[41:42], v[43:44], -v[41:42]
	v_add_f64 v[47:48], v[49:50], -v[47:48]
	s_delay_alu instid0(VALU_DEP_2) | instskip(SKIP_3) | instid1(VALU_DEP_2)
	v_add_f64 v[39:40], v[39:40], -v[41:42]
	s_waitcnt_depctr 0xfff
	v_fma_f64 v[51:52], -v[43:44], v[45:46], 1.0
	v_add_f64 v[35:36], v[35:36], -v[47:48]
	v_fma_f64 v[45:46], v[51:52], v[45:46], v[45:46]
	s_delay_alu instid0(VALU_DEP_1) | instskip(NEXT) | instid1(VALU_DEP_1)
	v_fma_f64 v[37:38], -v[43:44], v[45:46], 1.0
	v_fma_f64 v[37:38], v[37:38], v[45:46], v[45:46]
	s_delay_alu instid0(VALU_DEP_1) | instskip(NEXT) | instid1(VALU_DEP_1)
	v_mul_f64 v[45:46], v[49:50], v[37:38]
	v_mul_f64 v[51:52], v[43:44], v[45:46]
	s_delay_alu instid0(VALU_DEP_1) | instskip(NEXT) | instid1(VALU_DEP_1)
	v_fma_f64 v[41:42], v[45:46], v[43:44], -v[51:52]
	v_fma_f64 v[41:42], v[45:46], v[39:40], v[41:42]
	s_delay_alu instid0(VALU_DEP_1) | instskip(NEXT) | instid1(VALU_DEP_1)
	v_add_f64 v[53:54], v[51:52], v[41:42]
	v_add_f64 v[55:56], v[49:50], -v[53:54]
	v_add_f64 v[47:48], v[53:54], -v[51:52]
	v_max_f64 v[51:52], |v[7:8]|, |v[7:8]|
	s_delay_alu instid0(VALU_DEP_3) | instskip(NEXT) | instid1(VALU_DEP_3)
	v_add_f64 v[49:50], v[49:50], -v[55:56]
	v_add_f64 v[41:42], v[47:48], -v[41:42]
	s_delay_alu instid0(VALU_DEP_2) | instskip(SKIP_2) | instid1(VALU_DEP_1)
	v_add_f64 v[49:50], v[49:50], -v[53:54]
	v_max_f64 v[53:54], |v[5:6]|, |v[5:6]|
	v_cndmask_b32_e64 v5, 0x3fe921fb, v60, s5
	v_bfi_b32 v5, 0x7fffffff, v5, v8
	s_delay_alu instid0(VALU_DEP_4) | instskip(NEXT) | instid1(VALU_DEP_4)
	v_add_f64 v[35:36], v[35:36], v[49:50]
	v_max_f64 v[57:58], v[53:54], v[51:52]
	v_min_f64 v[51:52], v[53:54], v[51:52]
	s_delay_alu instid0(VALU_DEP_3) | instskip(NEXT) | instid1(VALU_DEP_1)
	v_add_f64 v[35:36], v[41:42], v[35:36]
	v_add_f64 v[41:42], v[55:56], v[35:36]
	s_delay_alu instid0(VALU_DEP_1) | instskip(SKIP_1) | instid1(VALU_DEP_2)
	v_mul_f64 v[47:48], v[37:38], v[41:42]
	v_add_f64 v[55:56], v[55:56], -v[41:42]
	v_mul_f64 v[49:50], v[43:44], v[47:48]
	s_delay_alu instid0(VALU_DEP_2) | instskip(NEXT) | instid1(VALU_DEP_2)
	v_add_f64 v[35:36], v[35:36], v[55:56]
	v_fma_f64 v[43:44], v[47:48], v[43:44], -v[49:50]
	s_delay_alu instid0(VALU_DEP_1) | instskip(SKIP_1) | instid1(VALU_DEP_2)
	v_fma_f64 v[39:40], v[47:48], v[39:40], v[43:44]
	v_div_scale_f64 v[43:44], null, v[57:58], v[57:58], v[51:52]
	v_add_f64 v[53:54], v[49:50], v[39:40]
	s_delay_alu instid0(VALU_DEP_2) | instskip(NEXT) | instid1(VALU_DEP_1)
	v_rcp_f64_e32 v[61:62], v[43:44]
	v_add_f64 v[63:64], v[41:42], -v[53:54]
	v_add_f64 v[49:50], v[53:54], -v[49:50]
	s_waitcnt_depctr 0xfff
	v_fma_f64 v[65:66], -v[43:44], v[61:62], 1.0
	v_add_f64 v[41:42], v[41:42], -v[63:64]
	v_add_f64 v[39:40], v[49:50], -v[39:40]
	s_delay_alu instid0(VALU_DEP_3) | instskip(NEXT) | instid1(VALU_DEP_3)
	v_fma_f64 v[61:62], v[61:62], v[65:66], v[61:62]
	v_add_f64 v[41:42], v[41:42], -v[53:54]
	s_delay_alu instid0(VALU_DEP_2) | instskip(NEXT) | instid1(VALU_DEP_2)
	v_fma_f64 v[53:54], -v[43:44], v[61:62], 1.0
	v_add_f64 v[35:36], v[35:36], v[41:42]
	v_div_scale_f64 v[41:42], vcc_lo, v[51:52], v[57:58], v[51:52]
	s_delay_alu instid0(VALU_DEP_3) | instskip(SKIP_1) | instid1(VALU_DEP_4)
	v_fma_f64 v[49:50], v[61:62], v[53:54], v[61:62]
	v_add_f64 v[53:54], v[45:46], v[47:48]
	v_add_f64 v[35:36], v[39:40], v[35:36]
	s_delay_alu instid0(VALU_DEP_3) | instskip(NEXT) | instid1(VALU_DEP_3)
	v_mul_f64 v[39:40], v[41:42], v[49:50]
	v_add_f64 v[45:46], v[53:54], -v[45:46]
	s_delay_alu instid0(VALU_DEP_3) | instskip(NEXT) | instid1(VALU_DEP_3)
	v_add_f64 v[35:36], v[63:64], v[35:36]
	v_fma_f64 v[41:42], -v[43:44], v[39:40], v[41:42]
	s_delay_alu instid0(VALU_DEP_3) | instskip(NEXT) | instid1(VALU_DEP_3)
	v_add_f64 v[43:44], v[47:48], -v[45:46]
	v_mul_f64 v[35:36], v[37:38], v[35:36]
	s_delay_alu instid0(VALU_DEP_3) | instskip(SKIP_1) | instid1(VALU_DEP_3)
	v_div_fmas_f64 v[37:38], v[41:42], v[49:50], v[39:40]
	v_cmp_eq_f64_e32 vcc_lo, 0x7ff00000, v[14:15]
	v_add_f64 v[35:36], v[43:44], v[35:36]
	s_delay_alu instid0(VALU_DEP_3) | instskip(NEXT) | instid1(VALU_DEP_2)
	v_div_fixup_f64 v[37:38], v[37:38], v[57:58], v[51:52]
	v_add_f64 v[39:40], v[53:54], v[35:36]
	s_delay_alu instid0(VALU_DEP_2) | instskip(NEXT) | instid1(VALU_DEP_2)
	v_mul_f64 v[41:42], v[37:38], v[37:38]
	v_mul_f64 v[43:44], v[39:40], v[39:40]
	s_delay_alu instid0(VALU_DEP_2) | instskip(NEXT) | instid1(VALU_DEP_2)
	v_fma_f64 v[45:46], v[41:42], s[48:49], s[46:47]
	v_fma_f64 v[47:48], v[43:44], s[28:29], s[26:27]
	v_mul_f64 v[49:50], v[39:40], v[43:44]
	s_delay_alu instid0(VALU_DEP_3) | instskip(NEXT) | instid1(VALU_DEP_3)
	v_fma_f64 v[45:46], v[41:42], v[45:46], s[50:51]
	v_fma_f64 v[47:48], v[43:44], v[47:48], s[34:35]
	s_delay_alu instid0(VALU_DEP_2) | instskip(NEXT) | instid1(VALU_DEP_2)
	v_fma_f64 v[45:46], v[41:42], v[45:46], s[52:53]
	v_fma_f64 v[47:48], v[43:44], v[47:48], s[36:37]
	s_delay_alu instid0(VALU_DEP_2) | instskip(NEXT) | instid1(VALU_DEP_2)
	;; [unrolled: 3-line block ×4, first 2 shown]
	v_fma_f64 v[45:46], v[41:42], v[45:46], s[58:59]
	v_fma_f64 v[43:44], v[43:44], v[47:48], s[98:99]
	v_ldexp_f64 v[47:48], v[39:40], 1
	v_add_f64 v[39:40], v[39:40], -v[53:54]
	s_delay_alu instid0(VALU_DEP_4) | instskip(NEXT) | instid1(VALU_DEP_4)
	v_fma_f64 v[45:46], v[41:42], v[45:46], s[60:61]
	v_mul_f64 v[43:44], v[49:50], v[43:44]
	v_cvt_f64_i32_e32 v[49:50], v3
	s_delay_alu instid0(VALU_DEP_4) | instskip(NEXT) | instid1(VALU_DEP_4)
	v_add_f64 v[35:36], v[35:36], -v[39:40]
	v_fma_f64 v[45:46], v[41:42], v[45:46], s[62:63]
	v_ashrrev_i32_e32 v3, 31, v6
	s_delay_alu instid0(VALU_DEP_1) | instskip(SKIP_4) | instid1(VALU_DEP_4)
	v_and_b32_e32 v13, 0x54442d18, v3
	v_add_f64 v[51:52], v[47:48], v[43:44]
	v_mul_f64 v[53:54], v[49:50], s[42:43]
	v_ldexp_f64 v[35:36], v[35:36], 1
	v_fma_f64 v[45:46], v[41:42], v[45:46], s[64:65]
	v_add_f64 v[39:40], v[51:52], -v[47:48]
	s_delay_alu instid0(VALU_DEP_4) | instskip(NEXT) | instid1(VALU_DEP_3)
	v_fma_f64 v[47:48], v[49:50], s[42:43], -v[53:54]
	v_fma_f64 v[45:46], v[41:42], v[45:46], s[66:67]
	s_delay_alu instid0(VALU_DEP_3) | instskip(NEXT) | instid1(VALU_DEP_2)
	v_add_f64 v[39:40], v[43:44], -v[39:40]
	v_fma_f64 v[43:44], v[41:42], v[45:46], s[68:69]
	s_delay_alu instid0(VALU_DEP_4) | instskip(NEXT) | instid1(VALU_DEP_3)
	v_fma_f64 v[45:46], v[49:50], s[44:45], v[47:48]
	v_add_f64 v[35:36], v[35:36], v[39:40]
	s_delay_alu instid0(VALU_DEP_3) | instskip(NEXT) | instid1(VALU_DEP_3)
	v_fma_f64 v[39:40], v[41:42], v[43:44], s[70:71]
	v_add_f64 v[43:44], v[53:54], v[45:46]
	s_delay_alu instid0(VALU_DEP_3) | instskip(NEXT) | instid1(VALU_DEP_3)
	v_add_f64 v[47:48], v[51:52], v[35:36]
	v_fma_f64 v[39:40], v[41:42], v[39:40], s[72:73]
	s_delay_alu instid0(VALU_DEP_3) | instskip(NEXT) | instid1(VALU_DEP_3)
	v_add_f64 v[53:54], v[43:44], -v[53:54]
	v_add_f64 v[49:50], v[43:44], v[47:48]
	v_add_f64 v[51:52], v[47:48], -v[51:52]
	s_delay_alu instid0(VALU_DEP_4) | instskip(NEXT) | instid1(VALU_DEP_4)
	v_fma_f64 v[39:40], v[41:42], v[39:40], s[74:75]
	v_add_f64 v[45:46], v[45:46], -v[53:54]
	s_delay_alu instid0(VALU_DEP_4) | instskip(NEXT) | instid1(VALU_DEP_4)
	v_add_f64 v[55:56], v[49:50], -v[43:44]
	v_add_f64 v[35:36], v[35:36], -v[51:52]
	s_delay_alu instid0(VALU_DEP_4) | instskip(NEXT) | instid1(VALU_DEP_3)
	v_fma_f64 v[39:40], v[41:42], v[39:40], s[76:77]
	v_add_f64 v[57:58], v[49:50], -v[55:56]
	v_add_f64 v[47:48], v[47:48], -v[55:56]
	s_delay_alu instid0(VALU_DEP_4) | instskip(NEXT) | instid1(VALU_DEP_4)
	v_add_f64 v[51:52], v[45:46], v[35:36]
	v_fma_f64 v[39:40], v[41:42], v[39:40], s[78:79]
	s_delay_alu instid0(VALU_DEP_4) | instskip(NEXT) | instid1(VALU_DEP_2)
	v_add_f64 v[43:44], v[43:44], -v[57:58]
	v_fma_f64 v[39:40], v[41:42], v[39:40], s[80:81]
	s_delay_alu instid0(VALU_DEP_2) | instskip(SKIP_1) | instid1(VALU_DEP_3)
	v_add_f64 v[43:44], v[47:48], v[43:44]
	v_add_f64 v[47:48], v[51:52], -v[45:46]
	v_fma_f64 v[39:40], v[41:42], v[39:40], s[82:83]
	s_delay_alu instid0(VALU_DEP_3) | instskip(NEXT) | instid1(VALU_DEP_3)
	v_add_f64 v[43:44], v[51:52], v[43:44]
	v_add_f64 v[51:52], v[51:52], -v[47:48]
	v_add_f64 v[35:36], v[35:36], -v[47:48]
	s_delay_alu instid0(VALU_DEP_4) | instskip(NEXT) | instid1(VALU_DEP_4)
	v_fma_f64 v[39:40], v[41:42], v[39:40], s[84:85]
	v_add_f64 v[53:54], v[49:50], v[43:44]
	s_delay_alu instid0(VALU_DEP_2) | instskip(SKIP_1) | instid1(VALU_DEP_3)
	v_mul_f64 v[39:40], v[41:42], v[39:40]
	v_add_f64 v[41:42], v[45:46], -v[51:52]
	v_add_f64 v[45:46], v[53:54], -v[49:50]
	s_delay_alu instid0(VALU_DEP_3) | instskip(NEXT) | instid1(VALU_DEP_3)
	v_fma_f64 v[37:38], v[37:38], v[39:40], v[37:38]
	v_add_f64 v[35:36], v[35:36], v[41:42]
	s_delay_alu instid0(VALU_DEP_3) | instskip(NEXT) | instid1(VALU_DEP_3)
	v_add_f64 v[39:40], v[43:44], -v[45:46]
	v_add_f64 v[41:42], -v[37:38], s[86:87]
	s_delay_alu instid0(VALU_DEP_2) | instskip(NEXT) | instid1(VALU_DEP_2)
	v_add_f64 v[35:36], v[35:36], v[39:40]
	v_cndmask_b32_e64 v38, v38, v42, s4
	s_delay_alu instid0(VALU_DEP_3) | instskip(NEXT) | instid1(VALU_DEP_1)
	v_cndmask_b32_e64 v37, v37, v41, s4
                                        ; implicit-def: $vgpr41_vgpr42
	v_add_f64 v[39:40], -v[37:38], s[14:15]
	s_delay_alu instid0(VALU_DEP_4) | instskip(NEXT) | instid1(VALU_DEP_2)
	v_add_f64 v[35:36], v[53:54], v[35:36]
	v_cndmask_b32_e64 v18, v37, v39, s5
	s_delay_alu instid0(VALU_DEP_3) | instskip(SKIP_1) | instid1(VALU_DEP_4)
	v_cndmask_b32_e64 v6, v38, v40, s5
	v_cmp_nge_f64_e64 s5, -1.0, v[14:15]
                                        ; implicit-def: $vgpr39_vgpr40
	v_dual_cndmask_b32 v36, v36, v15 :: v_dual_cndmask_b32 v35, v35, v14
	v_cmp_eq_f64_e32 vcc_lo, 0, v[7:8]
	v_and_b32_e32 v3, 0x400921fb, v3
	s_delay_alu instid0(VALU_DEP_3) | instskip(SKIP_1) | instid1(VALU_DEP_3)
	v_mul_f64 v[35:36], v[35:36], 0.5
	v_cndmask_b32_e32 v18, v18, v13, vcc_lo
	v_cndmask_b32_e32 v3, v6, v3, vcc_lo
	v_cmp_ngt_f64_e32 vcc_lo, -1.0, v[14:15]
	s_delay_alu instid0(VALU_DEP_4) | instskip(SKIP_4) | instid1(VALU_DEP_2)
	v_cndmask_b32_e64 v13, 0, v35, s5
	v_cmp_neq_f64_e64 s5, -1.0, v[14:15]
	v_cndmask_b32_e32 v6, 0x7ff80000, v36, vcc_lo
	s_and_b32 vcc_lo, s7, s8
	v_dual_cndmask_b32 v36, v3, v5 :: v_dual_cndmask_b32 v35, v18, v11
	v_cndmask_b32_e64 v14, 0xfff00000, v6, s5
.LBB192_266:                            ;   in Loop: Header=BB192_145 Depth=1
	s_and_not1_saveexec_b32 s23, s6
	s_cbranch_execz .LBB192_274
; %bb.267:                              ;   in Loop: Header=BB192_145 Depth=1
	v_mul_f64 v[13:14], v[39:40], v[39:40]
	s_mov_b32 s6, 0x66666666
	s_mov_b32 s7, 0x3fe66666
                                        ; implicit-def: $vgpr35_vgpr36
	s_mov_b32 s5, exec_lo
	s_delay_alu instid0(VALU_DEP_1) | instskip(NEXT) | instid1(VALU_DEP_1)
	v_fma_f64 v[37:38], v[41:42], v[41:42], v[13:14]
                                        ; implicit-def: $vgpr13_vgpr14
	v_cmpx_ge_f64_e32 s[6:7], v[37:38]
	s_xor_b32 s7, exec_lo, s5
	s_cbranch_execz .LBB192_269
; %bb.268:                              ;   in Loop: Header=BB192_145 Depth=1
	v_frexp_mant_f64_e32 v[13:14], v[37:38]
	v_max_f64 v[45:46], |v[5:6]|, |v[5:6]|
	s_mov_b32 s99, s25
	v_frexp_exp_i32_f64_e32 v3, v[37:38]
	s_mov_b32 s14, s86
	v_cmp_class_f64_e64 s8, v[7:8], 0x204
	v_cmp_class_f64_e64 s9, v[5:6], 0x204
	v_cmp_neq_f64_e64 s6, 0, v[37:38]
	v_cmp_gt_f64_e64 s5, s[24:25], v[13:14]
	s_delay_alu instid0(VALU_DEP_1) | instskip(NEXT) | instid1(VALU_DEP_1)
	v_cndmask_b32_e64 v18, 0x3ff00000, 2.0, s5
	v_mul_f64 v[13:14], v[13:14], v[17:18]
	s_delay_alu instid0(VALU_DEP_1) | instskip(SKIP_1) | instid1(VALU_DEP_2)
	v_add_f64 v[35:36], v[13:14], 1.0
	v_add_f64 v[43:44], v[13:14], -1.0
	v_rcp_f64_e32 v[39:40], v[35:36]
	s_waitcnt_depctr 0xfff
	v_fma_f64 v[41:42], -v[35:36], v[39:40], 1.0
	s_delay_alu instid0(VALU_DEP_1) | instskip(NEXT) | instid1(VALU_DEP_1)
	v_fma_f64 v[39:40], v[41:42], v[39:40], v[39:40]
	v_fma_f64 v[41:42], -v[35:36], v[39:40], 1.0
	s_delay_alu instid0(VALU_DEP_1) | instskip(SKIP_1) | instid1(VALU_DEP_2)
	v_fma_f64 v[39:40], v[41:42], v[39:40], v[39:40]
	v_max_f64 v[41:42], |v[7:8]|, |v[7:8]|
	v_mul_f64 v[47:48], v[43:44], v[39:40]
	s_delay_alu instid0(VALU_DEP_2) | instskip(SKIP_2) | instid1(VALU_DEP_4)
	v_max_f64 v[49:50], v[45:46], v[41:42]
	v_min_f64 v[41:42], v[45:46], v[41:42]
	v_add_f64 v[45:46], v[35:36], -1.0
	v_mul_f64 v[51:52], v[35:36], v[47:48]
	s_delay_alu instid0(VALU_DEP_3) | instskip(NEXT) | instid1(VALU_DEP_3)
	v_div_scale_f64 v[53:54], null, v[49:50], v[49:50], v[41:42]
	v_add_f64 v[13:14], v[13:14], -v[45:46]
	v_div_scale_f64 v[61:62], vcc_lo, v[41:42], v[49:50], v[41:42]
	s_delay_alu instid0(VALU_DEP_4) | instskip(NEXT) | instid1(VALU_DEP_4)
	v_fma_f64 v[35:36], v[47:48], v[35:36], -v[51:52]
	v_rcp_f64_e32 v[45:46], v[53:54]
	s_delay_alu instid0(VALU_DEP_1) | instskip(SKIP_3) | instid1(VALU_DEP_2)
	v_fma_f64 v[13:14], v[47:48], v[13:14], v[35:36]
	s_waitcnt_depctr 0xfff
	v_fma_f64 v[35:36], -v[53:54], v[45:46], 1.0
	v_add_f64 v[55:56], v[51:52], v[13:14]
	v_fma_f64 v[35:36], v[45:46], v[35:36], v[45:46]
	s_delay_alu instid0(VALU_DEP_2) | instskip(SKIP_1) | instid1(VALU_DEP_3)
	v_add_f64 v[45:46], v[43:44], -v[55:56]
	v_add_f64 v[51:52], v[55:56], -v[51:52]
	v_fma_f64 v[57:58], -v[53:54], v[35:36], 1.0
	s_delay_alu instid0(VALU_DEP_3) | instskip(NEXT) | instid1(VALU_DEP_3)
	v_add_f64 v[43:44], v[43:44], -v[45:46]
	v_add_f64 v[13:14], v[51:52], -v[13:14]
	s_delay_alu instid0(VALU_DEP_3) | instskip(NEXT) | instid1(VALU_DEP_3)
	v_fma_f64 v[35:36], v[35:36], v[57:58], v[35:36]
	v_add_f64 v[43:44], v[43:44], -v[55:56]
	s_delay_alu instid0(VALU_DEP_2) | instskip(NEXT) | instid1(VALU_DEP_2)
	v_mul_f64 v[51:52], v[61:62], v[35:36]
	v_add_f64 v[13:14], v[13:14], v[43:44]
	s_delay_alu instid0(VALU_DEP_2) | instskip(NEXT) | instid1(VALU_DEP_2)
	v_fma_f64 v[43:44], -v[53:54], v[51:52], v[61:62]
	v_add_f64 v[13:14], v[45:46], v[13:14]
	s_delay_alu instid0(VALU_DEP_2)
	v_div_fmas_f64 v[35:36], v[43:44], v[35:36], v[51:52]
	v_subrev_co_ci_u32_e64 v3, vcc_lo, 0, v3, s5
	v_cmp_eq_f64_e64 s5, 0, v[7:8]
	v_cmp_gt_i32_e32 vcc_lo, 0, v6
	v_cndmask_b32_e32 v11, 0x54442d18, v59, vcc_lo
	v_mul_f64 v[13:14], v[39:40], v[13:14]
	v_div_fixup_f64 v[35:36], v[35:36], v[49:50], v[41:42]
	s_delay_alu instid0(VALU_DEP_2) | instskip(NEXT) | instid1(VALU_DEP_2)
	v_add_f64 v[39:40], v[47:48], v[13:14]
	v_mul_f64 v[41:42], v[35:36], v[35:36]
	s_delay_alu instid0(VALU_DEP_2) | instskip(NEXT) | instid1(VALU_DEP_2)
	v_mul_f64 v[43:44], v[39:40], v[39:40]
	v_fma_f64 v[45:46], v[41:42], s[48:49], s[46:47]
	s_delay_alu instid0(VALU_DEP_2) | instskip(SKIP_1) | instid1(VALU_DEP_3)
	v_fma_f64 v[49:50], v[43:44], s[28:29], s[26:27]
	v_mul_f64 v[51:52], v[39:40], v[43:44]
	v_fma_f64 v[45:46], v[41:42], v[45:46], s[50:51]
	s_delay_alu instid0(VALU_DEP_3) | instskip(NEXT) | instid1(VALU_DEP_2)
	v_fma_f64 v[49:50], v[43:44], v[49:50], s[34:35]
	v_fma_f64 v[45:46], v[41:42], v[45:46], s[52:53]
	s_delay_alu instid0(VALU_DEP_2) | instskip(NEXT) | instid1(VALU_DEP_2)
	v_fma_f64 v[49:50], v[43:44], v[49:50], s[36:37]
	v_fma_f64 v[45:46], v[41:42], v[45:46], s[54:55]
	s_delay_alu instid0(VALU_DEP_2) | instskip(NEXT) | instid1(VALU_DEP_2)
	;; [unrolled: 3-line block ×3, first 2 shown]
	v_fma_f64 v[49:50], v[43:44], v[49:50], s[40:41]
	v_fma_f64 v[45:46], v[41:42], v[45:46], s[58:59]
	s_delay_alu instid0(VALU_DEP_2) | instskip(SKIP_2) | instid1(VALU_DEP_4)
	v_fma_f64 v[43:44], v[43:44], v[49:50], s[98:99]
	v_ldexp_f64 v[49:50], v[39:40], 1
	v_add_f64 v[39:40], v[39:40], -v[47:48]
	v_fma_f64 v[45:46], v[41:42], v[45:46], s[60:61]
	s_delay_alu instid0(VALU_DEP_4) | instskip(SKIP_1) | instid1(VALU_DEP_4)
	v_mul_f64 v[43:44], v[51:52], v[43:44]
	v_cvt_f64_i32_e32 v[51:52], v3
	v_add_f64 v[13:14], v[13:14], -v[39:40]
	v_ashrrev_i32_e32 v3, 31, v6
	v_fma_f64 v[45:46], v[41:42], v[45:46], s[62:63]
	v_add_f64 v[47:48], v[49:50], v[43:44]
	v_mul_f64 v[53:54], v[51:52], s[42:43]
	v_ldexp_f64 v[13:14], v[13:14], 1
	s_delay_alu instid0(VALU_DEP_4) | instskip(NEXT) | instid1(VALU_DEP_4)
	v_fma_f64 v[45:46], v[41:42], v[45:46], s[64:65]
	v_add_f64 v[39:40], v[47:48], -v[49:50]
	s_delay_alu instid0(VALU_DEP_4) | instskip(NEXT) | instid1(VALU_DEP_3)
	v_fma_f64 v[49:50], v[51:52], s[42:43], -v[53:54]
	v_fma_f64 v[45:46], v[41:42], v[45:46], s[66:67]
	s_delay_alu instid0(VALU_DEP_3) | instskip(NEXT) | instid1(VALU_DEP_2)
	v_add_f64 v[39:40], v[43:44], -v[39:40]
	v_fma_f64 v[43:44], v[41:42], v[45:46], s[68:69]
	s_delay_alu instid0(VALU_DEP_4) | instskip(NEXT) | instid1(VALU_DEP_3)
	v_fma_f64 v[45:46], v[51:52], s[44:45], v[49:50]
	v_add_f64 v[13:14], v[13:14], v[39:40]
	s_delay_alu instid0(VALU_DEP_3) | instskip(NEXT) | instid1(VALU_DEP_3)
	v_fma_f64 v[39:40], v[41:42], v[43:44], s[70:71]
	v_add_f64 v[43:44], v[53:54], v[45:46]
	s_delay_alu instid0(VALU_DEP_3) | instskip(NEXT) | instid1(VALU_DEP_3)
	v_add_f64 v[49:50], v[47:48], v[13:14]
	v_fma_f64 v[39:40], v[41:42], v[39:40], s[72:73]
	s_delay_alu instid0(VALU_DEP_3) | instskip(NEXT) | instid1(VALU_DEP_3)
	v_add_f64 v[53:54], v[43:44], -v[53:54]
	v_add_f64 v[51:52], v[43:44], v[49:50]
	v_add_f64 v[47:48], v[49:50], -v[47:48]
	s_delay_alu instid0(VALU_DEP_4) | instskip(NEXT) | instid1(VALU_DEP_4)
	v_fma_f64 v[39:40], v[41:42], v[39:40], s[74:75]
	v_add_f64 v[45:46], v[45:46], -v[53:54]
	s_delay_alu instid0(VALU_DEP_4) | instskip(NEXT) | instid1(VALU_DEP_4)
	v_add_f64 v[55:56], v[51:52], -v[43:44]
	v_add_f64 v[13:14], v[13:14], -v[47:48]
	s_delay_alu instid0(VALU_DEP_4) | instskip(NEXT) | instid1(VALU_DEP_3)
	v_fma_f64 v[39:40], v[41:42], v[39:40], s[76:77]
	v_add_f64 v[57:58], v[51:52], -v[55:56]
	v_add_f64 v[47:48], v[49:50], -v[55:56]
	s_delay_alu instid0(VALU_DEP_4) | instskip(NEXT) | instid1(VALU_DEP_4)
	v_add_f64 v[49:50], v[45:46], v[13:14]
	v_fma_f64 v[39:40], v[41:42], v[39:40], s[78:79]
	s_delay_alu instid0(VALU_DEP_4) | instskip(NEXT) | instid1(VALU_DEP_2)
	v_add_f64 v[43:44], v[43:44], -v[57:58]
	v_fma_f64 v[39:40], v[41:42], v[39:40], s[80:81]
	s_delay_alu instid0(VALU_DEP_2) | instskip(SKIP_1) | instid1(VALU_DEP_3)
	v_add_f64 v[43:44], v[47:48], v[43:44]
	v_add_f64 v[47:48], v[49:50], -v[45:46]
	v_fma_f64 v[39:40], v[41:42], v[39:40], s[82:83]
	s_delay_alu instid0(VALU_DEP_3) | instskip(NEXT) | instid1(VALU_DEP_3)
	v_add_f64 v[43:44], v[49:50], v[43:44]
	v_add_f64 v[49:50], v[49:50], -v[47:48]
	v_add_f64 v[13:14], v[13:14], -v[47:48]
	s_delay_alu instid0(VALU_DEP_4) | instskip(NEXT) | instid1(VALU_DEP_4)
	v_fma_f64 v[39:40], v[41:42], v[39:40], s[84:85]
	v_add_f64 v[53:54], v[51:52], v[43:44]
	s_delay_alu instid0(VALU_DEP_2) | instskip(SKIP_1) | instid1(VALU_DEP_3)
	v_mul_f64 v[39:40], v[41:42], v[39:40]
	v_add_f64 v[41:42], v[45:46], -v[49:50]
	v_add_f64 v[45:46], v[53:54], -v[51:52]
	s_delay_alu instid0(VALU_DEP_3) | instskip(NEXT) | instid1(VALU_DEP_3)
	v_fma_f64 v[35:36], v[35:36], v[39:40], v[35:36]
	v_add_f64 v[13:14], v[13:14], v[41:42]
	s_delay_alu instid0(VALU_DEP_3) | instskip(NEXT) | instid1(VALU_DEP_3)
	v_add_f64 v[39:40], v[43:44], -v[45:46]
	v_add_f64 v[41:42], -v[35:36], s[86:87]
	s_delay_alu instid0(VALU_DEP_2) | instskip(NEXT) | instid1(VALU_DEP_2)
	v_add_f64 v[13:14], v[13:14], v[39:40]
	v_cndmask_b32_e64 v36, v36, v42, s4
	s_delay_alu instid0(VALU_DEP_3) | instskip(NEXT) | instid1(VALU_DEP_1)
	v_cndmask_b32_e64 v35, v35, v41, s4
                                        ; implicit-def: $vgpr41_vgpr42
	v_add_f64 v[39:40], -v[35:36], s[14:15]
	v_and_b32_e32 v15, 0x54442d18, v3
	v_and_b32_e32 v3, 0x400921fb, v3
	v_add_f64 v[13:14], v[53:54], v[13:14]
	s_delay_alu instid0(VALU_DEP_4) | instskip(NEXT) | instid1(VALU_DEP_2)
	v_cndmask_b32_e32 v18, v35, v39, vcc_lo
	v_mul_f64 v[5:6], v[13:14], 0.5
	v_cndmask_b32_e32 v14, v36, v40, vcc_lo
	v_cndmask_b32_e32 v13, 0x3fe921fb, v60, vcc_lo
	s_delay_alu instid0(VALU_DEP_4) | instskip(SKIP_1) | instid1(VALU_DEP_3)
	v_cndmask_b32_e64 v15, v18, v15, s5
	s_and_b32 vcc_lo, s8, s9
                                        ; implicit-def: $vgpr39_vgpr40
	v_cndmask_b32_e64 v3, v14, v3, s5
	s_delay_alu instid0(VALU_DEP_3) | instskip(NEXT) | instid1(VALU_DEP_3)
	v_bfi_b32 v13, 0x7fffffff, v13, v8
	v_cndmask_b32_e32 v35, v15, v11, vcc_lo
	s_delay_alu instid0(VALU_DEP_2)
	v_cndmask_b32_e32 v36, v3, v13, vcc_lo
	v_cndmask_b32_e64 v14, 0xfff00000, v6, s6
	v_cndmask_b32_e64 v13, 0, v5, s6
.LBB192_269:                            ;   in Loop: Header=BB192_145 Depth=1
	s_and_not1_saveexec_b32 s90, s7
	s_cbranch_execz .LBB192_273
; %bb.270:                              ;   in Loop: Header=BB192_145 Depth=1
	v_dual_mov_b32 v35, v17 :: v_dual_and_b32 v18, 0x7ffffff8, v42
	v_and_b32_e32 v36, 0x7ffffff8, v40
	s_mov_b32 s91, 0
	s_delay_alu instid0(VALU_DEP_2) | instskip(SKIP_1) | instid1(VALU_DEP_3)
	v_add_f64 v[13:14], v[41:42], -v[17:18]
	v_mov_b32_e32 v41, v17
	v_add_f64 v[37:38], v[39:40], -v[35:36]
	v_mov_b32_e32 v43, v17
	v_add_f64 v[45:46], v[17:18], v[17:18]
	v_add_f64 v[53:54], v[35:36], v[35:36]
	v_mul_f64 v[39:40], v[35:36], v[35:36]
	v_and_b32_e32 v42, -8, v14
	v_and_b32_e32 v44, -8, v38
	s_delay_alu instid0(VALU_DEP_2) | instskip(SKIP_1) | instid1(VALU_DEP_3)
	v_add_f64 v[55:56], v[13:14], -v[41:42]
	v_add_f64 v[61:62], v[41:42], v[41:42]
	v_add_f64 v[57:58], v[37:38], -v[43:44]
	v_add_f64 v[63:64], v[43:44], v[43:44]
	v_mul_f64 v[13:14], v[17:18], v[17:18]
	v_mul_f64 v[51:52], v[45:46], v[41:42]
	;; [unrolled: 1-line block ×11, first 2 shown]
.LBB192_271:                            ;   Parent Loop BB192_145 Depth=1
                                        ; =>  This Inner Loop Header: Depth=2
	v_cmp_nlt_f64_e32 vcc_lo, v[13:14], v[39:40]
	v_dual_cndmask_b32 v58, v14, v40 :: v_dual_cndmask_b32 v57, v13, v39
	v_dual_cndmask_b32 v14, v40, v14 :: v_dual_cndmask_b32 v13, v39, v13
	s_delay_alu instid0(VALU_DEP_2) | instskip(NEXT) | instid1(VALU_DEP_1)
	v_cmp_nlt_f64_e64 s5, v[57:58], v[51:52]
	v_cndmask_b32_e64 v62, v58, v52, s5
	v_cndmask_b32_e64 v61, v57, v51, s5
	;; [unrolled: 1-line block ×4, first 2 shown]
	s_and_b32 s5, vcc_lo, s5
	s_delay_alu instid0(VALU_DEP_3) | instskip(NEXT) | instid1(VALU_DEP_1)
	v_cmp_nlt_f64_e64 s6, v[61:62], v[37:38]
	v_cndmask_b32_e64 v58, v62, v38, s6
	v_cndmask_b32_e64 v57, v61, v37, s6
	;; [unrolled: 1-line block ×4, first 2 shown]
	s_delay_alu instid0(VALU_DEP_3) | instskip(NEXT) | instid1(VALU_DEP_1)
	v_cmp_nlt_f64_e64 s7, v[57:58], v[49:50]
	v_cndmask_b32_e64 v62, v58, v50, s7
	v_cndmask_b32_e64 v61, v57, v49, s7
	;; [unrolled: 1-line block ×4, first 2 shown]
	s_and_b32 s6, s6, s7
	s_delay_alu instid0(VALU_DEP_3) | instskip(NEXT) | instid1(VALU_DEP_1)
	v_cmp_nlt_f64_e64 s8, v[61:62], v[35:36]
	v_cndmask_b32_e64 v58, v62, v36, s8
	v_cndmask_b32_e64 v57, v61, v35, s8
	;; [unrolled: 1-line block ×4, first 2 shown]
	s_delay_alu instid0(VALU_DEP_3) | instskip(NEXT) | instid1(VALU_DEP_1)
	v_cmp_nlt_f64_e64 s9, v[57:58], v[47:48]
	v_cndmask_b32_e64 v62, v58, v48, s9
	v_cndmask_b32_e64 v61, v57, v47, s9
	v_cndmask_b32_e64 v36, v48, v58, s9
	v_cndmask_b32_e64 v35, v47, v57, s9
	s_and_b32 s7, s8, s9
	s_delay_alu instid0(VALU_DEP_3) | instskip(NEXT) | instid1(VALU_DEP_1)
	v_cmp_nlt_f64_e64 s10, v[61:62], v[45:46]
	v_cndmask_b32_e64 v58, v62, v46, s10
	v_cndmask_b32_e64 v57, v61, v45, s10
	v_cndmask_b32_e64 v48, v46, v62, s10
	v_cndmask_b32_e64 v47, v45, v61, s10
	s_and_b32 s7, s7, s10
	;; [unrolled: 7-line block ×4, first 2 shown]
	s_delay_alu instid0(VALU_DEP_3) | instskip(NEXT) | instid1(VALU_DEP_1)
	v_cmp_nlt_f64_e64 s13, v[57:58], v[53:54]
	v_cndmask_b32_e64 v62, v58, v54, s13
	v_cndmask_b32_e64 v61, v57, v53, s13
	s_and_b32 s7, s7, s13
	v_cndmask_b32_e64 v42, v54, v58, s13
	v_cndmask_b32_e64 v41, v53, v57, s13
	s_delay_alu instid0(VALU_DEP_3) | instskip(NEXT) | instid1(VALU_DEP_1)
	v_cmp_nlt_f64_e64 s14, v[61:62], v[55:56]
	v_cndmask_b32_e64 v58, v62, v56, s14
	v_cndmask_b32_e64 v57, v61, v55, s14
	s_and_b32 s7, s7, s14
	v_cndmask_b32_e64 v54, v56, v62, s14
	s_and_b32 s6, s7, s6
	;; [unrolled: 2-line block ×3, first 2 shown]
	v_dual_mov_b32 v55, v57 :: v_dual_mov_b32 v56, v58
	s_and_b32 s5, exec_lo, s5
	s_delay_alu instid0(SALU_CYCLE_1) | instskip(NEXT) | instid1(SALU_CYCLE_1)
	s_or_b32 s91, s5, s91
	s_and_not1_b32 exec_lo, exec_lo, s91
	s_cbranch_execnz .LBB192_271
; %bb.272:                              ;   in Loop: Header=BB192_145 Depth=1
	s_or_b32 exec_lo, exec_lo, s91
	v_add_f64 v[13:14], v[13:14], -1.0
	s_mov_b32 s99, s25
	s_mov_b32 s14, s86
	v_cmp_gt_i32_e64 s5, 0, v6
	v_cmp_class_f64_e64 s7, v[5:6], 0x204
	v_cmp_class_f64_e64 s6, v[7:8], 0x204
	s_mov_b32 s12, 0x4ad4b81f
	s_mov_b32 s13, 0x358dee7a
	s_delay_alu instid0(VALU_DEP_4) | instskip(NEXT) | instid1(VALU_DEP_1)
	v_add_f64 v[13:14], v[13:14], v[39:40]
	v_add_f64 v[13:14], v[13:14], v[51:52]
	s_delay_alu instid0(VALU_DEP_1) | instskip(NEXT) | instid1(VALU_DEP_1)
	v_add_f64 v[13:14], v[13:14], v[37:38]
	v_add_f64 v[13:14], v[13:14], v[49:50]
	s_delay_alu instid0(VALU_DEP_1) | instskip(NEXT) | instid1(VALU_DEP_1)
	;; [unrolled: 3-line block ×5, first 2 shown]
	v_add_f64 v[14:15], v[57:58], v[13:14]
	v_add_f64 v[35:36], v[14:15], 1.0
	s_delay_alu instid0(VALU_DEP_1) | instskip(SKIP_2) | instid1(VALU_DEP_3)
	v_frexp_mant_f64_e32 v[37:38], v[35:36]
	v_frexp_exp_i32_f64_e32 v3, v[35:36]
	v_add_f64 v[39:40], v[35:36], -1.0
	v_cmp_gt_f64_e32 vcc_lo, s[24:25], v[37:38]
	s_delay_alu instid0(VALU_DEP_2) | instskip(SKIP_2) | instid1(VALU_DEP_3)
	v_add_f64 v[37:38], v[39:40], -v[35:36]
	v_add_f64 v[39:40], v[14:15], -v[39:40]
	v_subrev_co_ci_u32_e32 v3, vcc_lo, 0, v3, vcc_lo
	v_add_f64 v[37:38], v[37:38], 1.0
	s_delay_alu instid0(VALU_DEP_2) | instskip(NEXT) | instid1(VALU_DEP_1)
	v_sub_nc_u32_e32 v11, 0, v3
	v_ldexp_f64 v[35:36], v[35:36], v11
	s_delay_alu instid0(VALU_DEP_3) | instskip(NEXT) | instid1(VALU_DEP_2)
	v_add_f64 v[37:38], v[39:40], v[37:38]
	v_add_f64 v[41:42], v[35:36], 1.0
	v_add_f64 v[47:48], v[35:36], -1.0
	s_delay_alu instid0(VALU_DEP_3) | instskip(SKIP_1) | instid1(VALU_DEP_4)
	v_ldexp_f64 v[37:38], v[37:38], v11
	v_cndmask_b32_e64 v11, 0x54442d18, v59, s5
	v_add_f64 v[39:40], v[41:42], -1.0
	s_delay_alu instid0(VALU_DEP_4) | instskip(NEXT) | instid1(VALU_DEP_2)
	v_add_f64 v[49:50], v[47:48], 1.0
	v_add_f64 v[39:40], v[35:36], -v[39:40]
	s_delay_alu instid0(VALU_DEP_2) | instskip(NEXT) | instid1(VALU_DEP_2)
	v_add_f64 v[35:36], v[35:36], -v[49:50]
	v_add_f64 v[39:40], v[37:38], v[39:40]
	s_delay_alu instid0(VALU_DEP_2) | instskip(NEXT) | instid1(VALU_DEP_2)
	v_add_f64 v[35:36], v[37:38], v[35:36]
	v_add_f64 v[43:44], v[41:42], v[39:40]
	s_delay_alu instid0(VALU_DEP_2) | instskip(NEXT) | instid1(VALU_DEP_2)
	v_add_f64 v[49:50], v[47:48], v[35:36]
	v_rcp_f64_e32 v[45:46], v[43:44]
	v_add_f64 v[41:42], v[43:44], -v[41:42]
	s_delay_alu instid0(VALU_DEP_2) | instskip(NEXT) | instid1(VALU_DEP_2)
	v_add_f64 v[47:48], v[49:50], -v[47:48]
	v_add_f64 v[39:40], v[39:40], -v[41:42]
	s_waitcnt_depctr 0xfff
	v_fma_f64 v[51:52], -v[43:44], v[45:46], 1.0
	v_add_f64 v[35:36], v[35:36], -v[47:48]
	s_delay_alu instid0(VALU_DEP_2) | instskip(NEXT) | instid1(VALU_DEP_1)
	v_fma_f64 v[45:46], v[51:52], v[45:46], v[45:46]
	v_fma_f64 v[37:38], -v[43:44], v[45:46], 1.0
	s_delay_alu instid0(VALU_DEP_1) | instskip(NEXT) | instid1(VALU_DEP_1)
	v_fma_f64 v[37:38], v[37:38], v[45:46], v[45:46]
	v_mul_f64 v[45:46], v[49:50], v[37:38]
	s_delay_alu instid0(VALU_DEP_1) | instskip(NEXT) | instid1(VALU_DEP_1)
	v_mul_f64 v[51:52], v[43:44], v[45:46]
	v_fma_f64 v[41:42], v[45:46], v[43:44], -v[51:52]
	s_delay_alu instid0(VALU_DEP_1) | instskip(NEXT) | instid1(VALU_DEP_1)
	v_fma_f64 v[41:42], v[45:46], v[39:40], v[41:42]
	v_add_f64 v[53:54], v[51:52], v[41:42]
	s_delay_alu instid0(VALU_DEP_1) | instskip(SKIP_2) | instid1(VALU_DEP_3)
	v_add_f64 v[55:56], v[49:50], -v[53:54]
	v_add_f64 v[47:48], v[53:54], -v[51:52]
	v_max_f64 v[51:52], |v[7:8]|, |v[7:8]|
	v_add_f64 v[49:50], v[49:50], -v[55:56]
	s_delay_alu instid0(VALU_DEP_3) | instskip(NEXT) | instid1(VALU_DEP_2)
	v_add_f64 v[41:42], v[47:48], -v[41:42]
	v_add_f64 v[49:50], v[49:50], -v[53:54]
	v_max_f64 v[53:54], |v[5:6]|, |v[5:6]|
	v_cndmask_b32_e64 v5, 0x3fe921fb, v60, s5
	s_delay_alu instid0(VALU_DEP_1) | instskip(NEXT) | instid1(VALU_DEP_4)
	v_bfi_b32 v5, 0x7fffffff, v5, v8
	v_add_f64 v[35:36], v[35:36], v[49:50]
	s_delay_alu instid0(VALU_DEP_4) | instskip(SKIP_1) | instid1(VALU_DEP_3)
	v_max_f64 v[57:58], v[53:54], v[51:52]
	v_min_f64 v[51:52], v[53:54], v[51:52]
	v_add_f64 v[35:36], v[41:42], v[35:36]
	s_delay_alu instid0(VALU_DEP_1) | instskip(NEXT) | instid1(VALU_DEP_1)
	v_add_f64 v[41:42], v[55:56], v[35:36]
	v_mul_f64 v[47:48], v[37:38], v[41:42]
	v_add_f64 v[55:56], v[55:56], -v[41:42]
	s_delay_alu instid0(VALU_DEP_2) | instskip(NEXT) | instid1(VALU_DEP_2)
	v_mul_f64 v[49:50], v[43:44], v[47:48]
	v_add_f64 v[35:36], v[35:36], v[55:56]
	s_delay_alu instid0(VALU_DEP_2) | instskip(NEXT) | instid1(VALU_DEP_1)
	v_fma_f64 v[43:44], v[47:48], v[43:44], -v[49:50]
	v_fma_f64 v[39:40], v[47:48], v[39:40], v[43:44]
	v_div_scale_f64 v[43:44], null, v[57:58], v[57:58], v[51:52]
	s_delay_alu instid0(VALU_DEP_2) | instskip(NEXT) | instid1(VALU_DEP_2)
	v_add_f64 v[53:54], v[49:50], v[39:40]
	v_rcp_f64_e32 v[61:62], v[43:44]
	s_delay_alu instid0(VALU_DEP_1)
	v_add_f64 v[63:64], v[41:42], -v[53:54]
	v_add_f64 v[49:50], v[53:54], -v[49:50]
	s_waitcnt_depctr 0xfff
	v_fma_f64 v[65:66], -v[43:44], v[61:62], 1.0
	v_add_f64 v[41:42], v[41:42], -v[63:64]
	v_add_f64 v[39:40], v[49:50], -v[39:40]
	s_delay_alu instid0(VALU_DEP_3) | instskip(NEXT) | instid1(VALU_DEP_3)
	v_fma_f64 v[61:62], v[61:62], v[65:66], v[61:62]
	v_add_f64 v[41:42], v[41:42], -v[53:54]
	s_delay_alu instid0(VALU_DEP_2) | instskip(NEXT) | instid1(VALU_DEP_2)
	v_fma_f64 v[53:54], -v[43:44], v[61:62], 1.0
	v_add_f64 v[35:36], v[35:36], v[41:42]
	v_div_scale_f64 v[41:42], vcc_lo, v[51:52], v[57:58], v[51:52]
	s_delay_alu instid0(VALU_DEP_3) | instskip(SKIP_1) | instid1(VALU_DEP_4)
	v_fma_f64 v[49:50], v[61:62], v[53:54], v[61:62]
	v_add_f64 v[53:54], v[45:46], v[47:48]
	v_add_f64 v[35:36], v[39:40], v[35:36]
	s_delay_alu instid0(VALU_DEP_3) | instskip(NEXT) | instid1(VALU_DEP_3)
	v_mul_f64 v[39:40], v[41:42], v[49:50]
	v_add_f64 v[45:46], v[53:54], -v[45:46]
	s_delay_alu instid0(VALU_DEP_3) | instskip(NEXT) | instid1(VALU_DEP_3)
	v_add_f64 v[35:36], v[63:64], v[35:36]
	v_fma_f64 v[41:42], -v[43:44], v[39:40], v[41:42]
	s_delay_alu instid0(VALU_DEP_3) | instskip(NEXT) | instid1(VALU_DEP_3)
	v_add_f64 v[43:44], v[47:48], -v[45:46]
	v_mul_f64 v[35:36], v[37:38], v[35:36]
	s_delay_alu instid0(VALU_DEP_3) | instskip(SKIP_1) | instid1(VALU_DEP_3)
	v_div_fmas_f64 v[37:38], v[41:42], v[49:50], v[39:40]
	v_cmp_eq_f64_e32 vcc_lo, 0x7ff00000, v[14:15]
	v_add_f64 v[35:36], v[43:44], v[35:36]
	s_delay_alu instid0(VALU_DEP_3) | instskip(NEXT) | instid1(VALU_DEP_2)
	v_div_fixup_f64 v[37:38], v[37:38], v[57:58], v[51:52]
	v_add_f64 v[39:40], v[53:54], v[35:36]
	s_delay_alu instid0(VALU_DEP_2) | instskip(NEXT) | instid1(VALU_DEP_2)
	v_mul_f64 v[41:42], v[37:38], v[37:38]
	v_mul_f64 v[43:44], v[39:40], v[39:40]
	s_delay_alu instid0(VALU_DEP_2) | instskip(NEXT) | instid1(VALU_DEP_2)
	v_fma_f64 v[45:46], v[41:42], s[48:49], s[46:47]
	v_fma_f64 v[47:48], v[43:44], s[28:29], s[26:27]
	v_mul_f64 v[49:50], v[39:40], v[43:44]
	s_delay_alu instid0(VALU_DEP_3) | instskip(NEXT) | instid1(VALU_DEP_3)
	v_fma_f64 v[45:46], v[41:42], v[45:46], s[50:51]
	v_fma_f64 v[47:48], v[43:44], v[47:48], s[34:35]
	s_delay_alu instid0(VALU_DEP_2) | instskip(NEXT) | instid1(VALU_DEP_2)
	v_fma_f64 v[45:46], v[41:42], v[45:46], s[52:53]
	v_fma_f64 v[47:48], v[43:44], v[47:48], s[36:37]
	s_delay_alu instid0(VALU_DEP_2) | instskip(NEXT) | instid1(VALU_DEP_2)
	v_fma_f64 v[45:46], v[41:42], v[45:46], s[54:55]
	v_fma_f64 v[47:48], v[43:44], v[47:48], s[38:39]
	s_delay_alu instid0(VALU_DEP_2) | instskip(NEXT) | instid1(VALU_DEP_2)
	v_fma_f64 v[45:46], v[41:42], v[45:46], s[56:57]
	v_fma_f64 v[47:48], v[43:44], v[47:48], s[40:41]
	s_delay_alu instid0(VALU_DEP_2) | instskip(NEXT) | instid1(VALU_DEP_2)
	v_fma_f64 v[45:46], v[41:42], v[45:46], s[58:59]
	v_fma_f64 v[43:44], v[43:44], v[47:48], s[98:99]
	v_ldexp_f64 v[47:48], v[39:40], 1
	v_add_f64 v[39:40], v[39:40], -v[53:54]
	s_delay_alu instid0(VALU_DEP_4) | instskip(NEXT) | instid1(VALU_DEP_4)
	v_fma_f64 v[45:46], v[41:42], v[45:46], s[60:61]
	v_mul_f64 v[43:44], v[49:50], v[43:44]
	v_cvt_f64_i32_e32 v[49:50], v3
	s_delay_alu instid0(VALU_DEP_4) | instskip(NEXT) | instid1(VALU_DEP_4)
	v_add_f64 v[35:36], v[35:36], -v[39:40]
	v_fma_f64 v[45:46], v[41:42], v[45:46], s[62:63]
	v_ashrrev_i32_e32 v3, 31, v6
	s_delay_alu instid0(VALU_DEP_1) | instskip(SKIP_4) | instid1(VALU_DEP_4)
	v_and_b32_e32 v13, 0x54442d18, v3
	v_add_f64 v[51:52], v[47:48], v[43:44]
	v_mul_f64 v[53:54], v[49:50], s[42:43]
	v_ldexp_f64 v[35:36], v[35:36], 1
	v_fma_f64 v[45:46], v[41:42], v[45:46], s[64:65]
	v_add_f64 v[39:40], v[51:52], -v[47:48]
	s_delay_alu instid0(VALU_DEP_4) | instskip(NEXT) | instid1(VALU_DEP_3)
	v_fma_f64 v[47:48], v[49:50], s[42:43], -v[53:54]
	v_fma_f64 v[45:46], v[41:42], v[45:46], s[66:67]
	s_delay_alu instid0(VALU_DEP_3) | instskip(NEXT) | instid1(VALU_DEP_2)
	v_add_f64 v[39:40], v[43:44], -v[39:40]
	v_fma_f64 v[43:44], v[41:42], v[45:46], s[68:69]
	s_delay_alu instid0(VALU_DEP_4) | instskip(NEXT) | instid1(VALU_DEP_3)
	v_fma_f64 v[45:46], v[49:50], s[44:45], v[47:48]
	v_add_f64 v[35:36], v[35:36], v[39:40]
	s_delay_alu instid0(VALU_DEP_3) | instskip(NEXT) | instid1(VALU_DEP_3)
	v_fma_f64 v[39:40], v[41:42], v[43:44], s[70:71]
	v_add_f64 v[43:44], v[53:54], v[45:46]
	s_delay_alu instid0(VALU_DEP_3) | instskip(NEXT) | instid1(VALU_DEP_3)
	v_add_f64 v[47:48], v[51:52], v[35:36]
	v_fma_f64 v[39:40], v[41:42], v[39:40], s[72:73]
	s_delay_alu instid0(VALU_DEP_3) | instskip(NEXT) | instid1(VALU_DEP_3)
	v_add_f64 v[53:54], v[43:44], -v[53:54]
	v_add_f64 v[49:50], v[43:44], v[47:48]
	v_add_f64 v[51:52], v[47:48], -v[51:52]
	s_delay_alu instid0(VALU_DEP_4) | instskip(NEXT) | instid1(VALU_DEP_4)
	v_fma_f64 v[39:40], v[41:42], v[39:40], s[74:75]
	v_add_f64 v[45:46], v[45:46], -v[53:54]
	s_delay_alu instid0(VALU_DEP_4) | instskip(NEXT) | instid1(VALU_DEP_4)
	v_add_f64 v[55:56], v[49:50], -v[43:44]
	v_add_f64 v[35:36], v[35:36], -v[51:52]
	s_delay_alu instid0(VALU_DEP_4) | instskip(NEXT) | instid1(VALU_DEP_3)
	v_fma_f64 v[39:40], v[41:42], v[39:40], s[76:77]
	v_add_f64 v[57:58], v[49:50], -v[55:56]
	v_add_f64 v[47:48], v[47:48], -v[55:56]
	s_delay_alu instid0(VALU_DEP_4) | instskip(NEXT) | instid1(VALU_DEP_4)
	v_add_f64 v[51:52], v[45:46], v[35:36]
	v_fma_f64 v[39:40], v[41:42], v[39:40], s[78:79]
	s_delay_alu instid0(VALU_DEP_4) | instskip(NEXT) | instid1(VALU_DEP_2)
	v_add_f64 v[43:44], v[43:44], -v[57:58]
	v_fma_f64 v[39:40], v[41:42], v[39:40], s[80:81]
	s_delay_alu instid0(VALU_DEP_2) | instskip(SKIP_1) | instid1(VALU_DEP_3)
	v_add_f64 v[43:44], v[47:48], v[43:44]
	v_add_f64 v[47:48], v[51:52], -v[45:46]
	v_fma_f64 v[39:40], v[41:42], v[39:40], s[82:83]
	s_delay_alu instid0(VALU_DEP_3) | instskip(NEXT) | instid1(VALU_DEP_3)
	v_add_f64 v[43:44], v[51:52], v[43:44]
	v_add_f64 v[51:52], v[51:52], -v[47:48]
	v_add_f64 v[35:36], v[35:36], -v[47:48]
	s_delay_alu instid0(VALU_DEP_4) | instskip(NEXT) | instid1(VALU_DEP_4)
	v_fma_f64 v[39:40], v[41:42], v[39:40], s[84:85]
	v_add_f64 v[53:54], v[49:50], v[43:44]
	s_delay_alu instid0(VALU_DEP_2) | instskip(SKIP_1) | instid1(VALU_DEP_3)
	v_mul_f64 v[39:40], v[41:42], v[39:40]
	v_add_f64 v[41:42], v[45:46], -v[51:52]
	v_add_f64 v[45:46], v[53:54], -v[49:50]
	s_delay_alu instid0(VALU_DEP_3) | instskip(NEXT) | instid1(VALU_DEP_3)
	v_fma_f64 v[37:38], v[37:38], v[39:40], v[37:38]
	v_add_f64 v[35:36], v[35:36], v[41:42]
	s_delay_alu instid0(VALU_DEP_3) | instskip(NEXT) | instid1(VALU_DEP_3)
	v_add_f64 v[39:40], v[43:44], -v[45:46]
	v_add_f64 v[41:42], -v[37:38], s[86:87]
	s_delay_alu instid0(VALU_DEP_2) | instskip(NEXT) | instid1(VALU_DEP_2)
	v_add_f64 v[35:36], v[35:36], v[39:40]
	v_cndmask_b32_e64 v38, v38, v42, s4
	s_delay_alu instid0(VALU_DEP_3) | instskip(NEXT) | instid1(VALU_DEP_1)
	v_cndmask_b32_e64 v37, v37, v41, s4
	v_add_f64 v[39:40], -v[37:38], s[14:15]
	s_delay_alu instid0(VALU_DEP_4) | instskip(NEXT) | instid1(VALU_DEP_2)
	v_add_f64 v[35:36], v[53:54], v[35:36]
	v_cndmask_b32_e64 v18, v37, v39, s5
	s_delay_alu instid0(VALU_DEP_3) | instskip(SKIP_1) | instid1(VALU_DEP_4)
	v_cndmask_b32_e64 v6, v38, v40, s5
	v_cmp_nge_f64_e64 s5, -1.0, v[14:15]
	v_dual_cndmask_b32 v36, v36, v15 :: v_dual_cndmask_b32 v35, v35, v14
	v_cmp_eq_f64_e32 vcc_lo, 0, v[7:8]
	v_and_b32_e32 v3, 0x400921fb, v3
	s_delay_alu instid0(VALU_DEP_3) | instskip(SKIP_1) | instid1(VALU_DEP_3)
	v_mul_f64 v[35:36], v[35:36], 0.5
	v_cndmask_b32_e32 v18, v18, v13, vcc_lo
	v_cndmask_b32_e32 v3, v6, v3, vcc_lo
	v_cmp_ngt_f64_e32 vcc_lo, -1.0, v[14:15]
	s_delay_alu instid0(VALU_DEP_4) | instskip(SKIP_4) | instid1(VALU_DEP_2)
	v_cndmask_b32_e64 v13, 0, v35, s5
	v_cmp_neq_f64_e64 s5, -1.0, v[14:15]
	v_cndmask_b32_e32 v6, 0x7ff80000, v36, vcc_lo
	s_and_b32 vcc_lo, s6, s7
	v_dual_cndmask_b32 v36, v3, v5 :: v_dual_cndmask_b32 v35, v18, v11
	v_cndmask_b32_e64 v14, 0xfff00000, v6, s5
.LBB192_273:                            ;   in Loop: Header=BB192_145 Depth=1
	s_or_b32 exec_lo, exec_lo, s90
.LBB192_274:                            ;   in Loop: Header=BB192_145 Depth=1
	s_delay_alu instid0(SALU_CYCLE_1)
	s_or_b32 exec_lo, exec_lo, s23
.LBB192_275:                            ;   in Loop: Header=BB192_145 Depth=1
	s_and_not1_saveexec_b32 s7, s22
	s_cbranch_execz .LBB192_277
; %bb.276:                              ;   in Loop: Header=BB192_145 Depth=1
	v_max_f64 v[13:14], |v[7:8]|, |v[7:8]|
	v_max_f64 v[35:36], |v[5:6]|, |v[5:6]|
	v_cmp_class_f64_e64 s8, v[5:6], 0x204
	v_cmp_class_f64_e64 s9, v[7:8], 0x204
	s_mov_b32 s99, s25
	s_mov_b32 s14, s86
	v_cmp_eq_f64_e64 s6, 0, v[7:8]
	s_delay_alu instid0(VALU_DEP_4) | instskip(SKIP_1) | instid1(VALU_DEP_4)
	v_max_f64 v[37:38], v[35:36], v[13:14]
	v_min_f64 v[13:14], v[35:36], v[13:14]
	s_or_b32 s10, s9, s8
	s_delay_alu instid0(VALU_DEP_2) | instskip(NEXT) | instid1(VALU_DEP_1)
	v_frexp_exp_i32_f64_e32 v3, v[37:38]
	v_sub_nc_u32_e32 v11, 0, v3
	s_delay_alu instid0(VALU_DEP_1) | instskip(SKIP_1) | instid1(VALU_DEP_2)
	v_ldexp_f64 v[39:40], |v[7:8]|, v11
	v_ldexp_f64 v[41:42], |v[5:6]|, v11
	v_mul_f64 v[39:40], v[39:40], v[39:40]
	s_delay_alu instid0(VALU_DEP_1) | instskip(NEXT) | instid1(VALU_DEP_1)
	v_fma_f64 v[39:40], v[41:42], v[41:42], v[39:40]
	v_rsq_f64_e32 v[41:42], v[39:40]
	v_cmp_eq_f64_e32 vcc_lo, 0, v[39:40]
	s_waitcnt_depctr 0xfff
	v_mul_f64 v[43:44], v[39:40], v[41:42]
	v_mul_f64 v[41:42], v[41:42], 0.5
	s_delay_alu instid0(VALU_DEP_1) | instskip(NEXT) | instid1(VALU_DEP_1)
	v_fma_f64 v[45:46], -v[41:42], v[43:44], 0.5
	v_fma_f64 v[43:44], v[43:44], v[45:46], v[43:44]
	v_fma_f64 v[41:42], v[41:42], v[45:46], v[41:42]
	s_delay_alu instid0(VALU_DEP_2) | instskip(NEXT) | instid1(VALU_DEP_1)
	v_fma_f64 v[45:46], -v[43:44], v[43:44], v[39:40]
	v_fma_f64 v[41:42], v[45:46], v[41:42], v[43:44]
	s_delay_alu instid0(VALU_DEP_1) | instskip(SKIP_1) | instid1(VALU_DEP_2)
	v_dual_cndmask_b32 v40, v42, v40 :: v_dual_cndmask_b32 v39, v41, v39
	v_div_scale_f64 v[63:64], vcc_lo, v[13:14], v[37:38], v[13:14]
	v_ldexp_f64 v[39:40], v[39:40], v3
	s_delay_alu instid0(VALU_DEP_1) | instskip(NEXT) | instid1(VALU_DEP_2)
	v_cndmask_b32_e64 v42, v40, 0x7ff00000, s10
	v_cndmask_b32_e64 v41, v39, 0, s10
	s_delay_alu instid0(VALU_DEP_1) | instskip(SKIP_1) | instid1(VALU_DEP_2)
	v_frexp_mant_f64_e32 v[43:44], v[41:42]
	v_frexp_exp_i32_f64_e32 v3, v[41:42]
	v_cmp_gt_f64_e64 s5, s[24:25], v[43:44]
	s_delay_alu instid0(VALU_DEP_1) | instskip(NEXT) | instid1(VALU_DEP_1)
	v_cndmask_b32_e64 v18, 0x3ff00000, 2.0, s5
	v_mul_f64 v[43:44], v[43:44], v[17:18]
	s_delay_alu instid0(VALU_DEP_1) | instskip(SKIP_1) | instid1(VALU_DEP_2)
	v_add_f64 v[45:46], v[43:44], 1.0
	v_add_f64 v[51:52], v[43:44], -1.0
	v_rcp_f64_e32 v[47:48], v[45:46]
	v_add_f64 v[53:54], v[45:46], -1.0
	s_delay_alu instid0(VALU_DEP_1) | instskip(SKIP_2) | instid1(VALU_DEP_1)
	v_add_f64 v[43:44], v[43:44], -v[53:54]
	s_waitcnt_depctr 0xfff
	v_fma_f64 v[49:50], -v[45:46], v[47:48], 1.0
	v_fma_f64 v[47:48], v[49:50], v[47:48], v[47:48]
	s_delay_alu instid0(VALU_DEP_1) | instskip(NEXT) | instid1(VALU_DEP_1)
	v_fma_f64 v[49:50], -v[45:46], v[47:48], 1.0
	v_fma_f64 v[47:48], v[49:50], v[47:48], v[47:48]
	v_div_scale_f64 v[49:50], null, v[37:38], v[37:38], v[13:14]
	s_delay_alu instid0(VALU_DEP_2) | instskip(NEXT) | instid1(VALU_DEP_2)
	v_mul_f64 v[35:36], v[51:52], v[47:48]
	v_rcp_f64_e32 v[57:58], v[49:50]
	s_delay_alu instid0(VALU_DEP_1) | instskip(SKIP_3) | instid1(VALU_DEP_1)
	v_mul_f64 v[55:56], v[45:46], v[35:36]
	s_waitcnt_depctr 0xfff
	v_fma_f64 v[53:54], -v[49:50], v[57:58], 1.0
	v_fma_f64 v[45:46], v[35:36], v[45:46], -v[55:56]
	v_fma_f64 v[43:44], v[35:36], v[43:44], v[45:46]
	s_delay_alu instid0(VALU_DEP_3) | instskip(NEXT) | instid1(VALU_DEP_2)
	v_fma_f64 v[45:46], v[57:58], v[53:54], v[57:58]
	v_add_f64 v[53:54], v[55:56], v[43:44]
	s_delay_alu instid0(VALU_DEP_2) | instskip(NEXT) | instid1(VALU_DEP_2)
	v_fma_f64 v[57:58], -v[49:50], v[45:46], 1.0
	v_add_f64 v[61:62], v[51:52], -v[53:54]
	s_delay_alu instid0(VALU_DEP_2) | instskip(SKIP_1) | instid1(VALU_DEP_3)
	v_fma_f64 v[45:46], v[45:46], v[57:58], v[45:46]
	v_add_f64 v[55:56], v[53:54], -v[55:56]
	v_add_f64 v[51:52], v[51:52], -v[61:62]
	s_delay_alu instid0(VALU_DEP_3) | instskip(NEXT) | instid1(VALU_DEP_3)
	v_mul_f64 v[57:58], v[63:64], v[45:46]
	v_add_f64 v[43:44], v[55:56], -v[43:44]
	s_delay_alu instid0(VALU_DEP_3) | instskip(NEXT) | instid1(VALU_DEP_3)
	v_add_f64 v[51:52], v[51:52], -v[53:54]
	v_fma_f64 v[49:50], -v[49:50], v[57:58], v[63:64]
	s_delay_alu instid0(VALU_DEP_2) | instskip(NEXT) | instid1(VALU_DEP_2)
	v_add_f64 v[43:44], v[43:44], v[51:52]
	v_div_fmas_f64 v[45:46], v[49:50], v[45:46], v[57:58]
	v_subrev_co_ci_u32_e64 v3, vcc_lo, 0, v3, s5
	v_cmp_class_f64_e64 s5, v[39:40], 0x204
	v_cmp_gt_i32_e32 vcc_lo, 0, v6
	v_cndmask_b32_e32 v5, 0x54442d18, v59, vcc_lo
	v_add_f64 v[43:44], v[61:62], v[43:44]
	v_div_fixup_f64 v[13:14], v[45:46], v[37:38], v[13:14]
	s_delay_alu instid0(VALU_DEP_2) | instskip(NEXT) | instid1(VALU_DEP_2)
	v_mul_f64 v[37:38], v[47:48], v[43:44]
	v_mul_f64 v[43:44], v[13:14], v[13:14]
	s_delay_alu instid0(VALU_DEP_2) | instskip(NEXT) | instid1(VALU_DEP_2)
	v_add_f64 v[45:46], v[35:36], v[37:38]
	v_fma_f64 v[47:48], v[43:44], s[48:49], s[46:47]
	s_delay_alu instid0(VALU_DEP_2) | instskip(NEXT) | instid1(VALU_DEP_2)
	v_mul_f64 v[49:50], v[45:46], v[45:46]
	v_fma_f64 v[47:48], v[43:44], v[47:48], s[50:51]
	v_add_f64 v[35:36], v[45:46], -v[35:36]
	s_delay_alu instid0(VALU_DEP_3) | instskip(NEXT) | instid1(VALU_DEP_3)
	v_fma_f64 v[51:52], v[49:50], s[28:29], s[26:27]
	v_fma_f64 v[47:48], v[43:44], v[47:48], s[52:53]
	v_mul_f64 v[53:54], v[45:46], v[49:50]
	s_delay_alu instid0(VALU_DEP_4) | instskip(NEXT) | instid1(VALU_DEP_4)
	v_add_f64 v[35:36], v[37:38], -v[35:36]
	v_fma_f64 v[51:52], v[49:50], v[51:52], s[34:35]
	s_delay_alu instid0(VALU_DEP_4) | instskip(NEXT) | instid1(VALU_DEP_3)
	v_fma_f64 v[47:48], v[43:44], v[47:48], s[54:55]
	v_ldexp_f64 v[35:36], v[35:36], 1
	s_delay_alu instid0(VALU_DEP_3) | instskip(NEXT) | instid1(VALU_DEP_3)
	v_fma_f64 v[51:52], v[49:50], v[51:52], s[36:37]
	v_fma_f64 v[47:48], v[43:44], v[47:48], s[56:57]
	s_delay_alu instid0(VALU_DEP_2) | instskip(NEXT) | instid1(VALU_DEP_2)
	v_fma_f64 v[51:52], v[49:50], v[51:52], s[38:39]
	v_fma_f64 v[47:48], v[43:44], v[47:48], s[58:59]
	s_delay_alu instid0(VALU_DEP_2) | instskip(NEXT) | instid1(VALU_DEP_2)
	;; [unrolled: 3-line block ×3, first 2 shown]
	v_fma_f64 v[49:50], v[49:50], v[51:52], s[98:99]
	v_fma_f64 v[47:48], v[43:44], v[47:48], s[62:63]
	v_ldexp_f64 v[51:52], v[45:46], 1
	s_delay_alu instid0(VALU_DEP_3) | instskip(NEXT) | instid1(VALU_DEP_3)
	v_mul_f64 v[49:50], v[53:54], v[49:50]
	v_fma_f64 v[47:48], v[43:44], v[47:48], s[64:65]
	v_cvt_f64_i32_e32 v[53:54], v3
	v_ashrrev_i32_e32 v3, 31, v6
	s_delay_alu instid0(VALU_DEP_4) | instskip(NEXT) | instid1(VALU_DEP_4)
	v_add_f64 v[45:46], v[51:52], v[49:50]
	v_fma_f64 v[47:48], v[43:44], v[47:48], s[66:67]
	s_delay_alu instid0(VALU_DEP_4) | instskip(NEXT) | instid1(VALU_DEP_3)
	v_mul_f64 v[55:56], v[53:54], s[42:43]
	v_add_f64 v[37:38], v[45:46], -v[51:52]
	s_delay_alu instid0(VALU_DEP_3) | instskip(NEXT) | instid1(VALU_DEP_3)
	v_fma_f64 v[47:48], v[43:44], v[47:48], s[68:69]
	v_fma_f64 v[51:52], v[53:54], s[42:43], -v[55:56]
	s_delay_alu instid0(VALU_DEP_3) | instskip(NEXT) | instid1(VALU_DEP_3)
	v_add_f64 v[37:38], v[49:50], -v[37:38]
	v_fma_f64 v[47:48], v[43:44], v[47:48], s[70:71]
	s_delay_alu instid0(VALU_DEP_3) | instskip(NEXT) | instid1(VALU_DEP_3)
	v_fma_f64 v[49:50], v[53:54], s[44:45], v[51:52]
	v_add_f64 v[35:36], v[35:36], v[37:38]
	s_delay_alu instid0(VALU_DEP_3) | instskip(NEXT) | instid1(VALU_DEP_3)
	v_fma_f64 v[37:38], v[43:44], v[47:48], s[72:73]
	v_add_f64 v[47:48], v[55:56], v[49:50]
	s_delay_alu instid0(VALU_DEP_3) | instskip(NEXT) | instid1(VALU_DEP_3)
	v_add_f64 v[51:52], v[45:46], v[35:36]
	v_fma_f64 v[37:38], v[43:44], v[37:38], s[74:75]
	s_delay_alu instid0(VALU_DEP_3) | instskip(NEXT) | instid1(VALU_DEP_3)
	v_add_f64 v[55:56], v[47:48], -v[55:56]
	v_add_f64 v[53:54], v[47:48], v[51:52]
	s_delay_alu instid0(VALU_DEP_3) | instskip(SKIP_1) | instid1(VALU_DEP_4)
	v_fma_f64 v[37:38], v[43:44], v[37:38], s[76:77]
	v_add_f64 v[45:46], v[51:52], -v[45:46]
	v_add_f64 v[49:50], v[49:50], -v[55:56]
	s_delay_alu instid0(VALU_DEP_4) | instskip(NEXT) | instid1(VALU_DEP_4)
	v_add_f64 v[57:58], v[53:54], -v[47:48]
	v_fma_f64 v[37:38], v[43:44], v[37:38], s[78:79]
	s_delay_alu instid0(VALU_DEP_4) | instskip(NEXT) | instid1(VALU_DEP_3)
	v_add_f64 v[35:36], v[35:36], -v[45:46]
	v_add_f64 v[61:62], v[53:54], -v[57:58]
	s_delay_alu instid0(VALU_DEP_3) | instskip(SKIP_1) | instid1(VALU_DEP_4)
	v_fma_f64 v[37:38], v[43:44], v[37:38], s[80:81]
	v_add_f64 v[45:46], v[51:52], -v[57:58]
	v_add_f64 v[51:52], v[49:50], v[35:36]
	s_delay_alu instid0(VALU_DEP_4) | instskip(NEXT) | instid1(VALU_DEP_4)
	v_add_f64 v[47:48], v[47:48], -v[61:62]
	v_fma_f64 v[37:38], v[43:44], v[37:38], s[82:83]
	s_delay_alu instid0(VALU_DEP_2) | instskip(NEXT) | instid1(VALU_DEP_2)
	v_add_f64 v[45:46], v[45:46], v[47:48]
	v_fma_f64 v[37:38], v[43:44], v[37:38], s[84:85]
	v_add_f64 v[47:48], v[51:52], -v[49:50]
	s_delay_alu instid0(VALU_DEP_3) | instskip(NEXT) | instid1(VALU_DEP_3)
	v_add_f64 v[45:46], v[51:52], v[45:46]
	v_mul_f64 v[37:38], v[43:44], v[37:38]
	s_delay_alu instid0(VALU_DEP_3) | instskip(SKIP_1) | instid1(VALU_DEP_4)
	v_add_f64 v[43:44], v[51:52], -v[47:48]
	v_add_f64 v[35:36], v[35:36], -v[47:48]
	v_add_f64 v[51:52], v[53:54], v[45:46]
	s_delay_alu instid0(VALU_DEP_4) | instskip(NEXT) | instid1(VALU_DEP_4)
	v_fma_f64 v[13:14], v[13:14], v[37:38], v[13:14]
	v_add_f64 v[37:38], v[49:50], -v[43:44]
	s_delay_alu instid0(VALU_DEP_3) | instskip(NEXT) | instid1(VALU_DEP_3)
	v_add_f64 v[43:44], v[51:52], -v[53:54]
	v_add_f64 v[47:48], -v[13:14], s[86:87]
	s_delay_alu instid0(VALU_DEP_3) | instskip(NEXT) | instid1(VALU_DEP_3)
	v_add_f64 v[35:36], v[35:36], v[37:38]
	v_add_f64 v[37:38], v[45:46], -v[43:44]
	s_delay_alu instid0(VALU_DEP_3) | instskip(NEXT) | instid1(VALU_DEP_4)
	v_cndmask_b32_e64 v14, v14, v48, s4
	v_cndmask_b32_e64 v13, v13, v47, s4
	s_delay_alu instid0(VALU_DEP_3) | instskip(NEXT) | instid1(VALU_DEP_2)
	v_add_f64 v[35:36], v[35:36], v[37:38]
	v_add_f64 v[37:38], -v[13:14], s[14:15]
	v_and_b32_e32 v6, 0x54442d18, v3
	v_and_b32_e32 v3, 0x400921fb, v3
	s_delay_alu instid0(VALU_DEP_4) | instskip(NEXT) | instid1(VALU_DEP_4)
	v_add_f64 v[35:36], v[51:52], v[35:36]
	v_dual_cndmask_b32 v14, v14, v38 :: v_dual_cndmask_b32 v11, v13, v37
	v_cndmask_b32_e32 v13, 0x3fe921fb, v60, vcc_lo
	v_cmp_ngt_f64_e32 vcc_lo, 0, v[41:42]
	s_delay_alu instid0(VALU_DEP_3) | instskip(NEXT) | instid1(VALU_DEP_4)
	v_cndmask_b32_e64 v3, v14, v3, s6
	v_cndmask_b32_e64 v6, v11, v6, s6
	s_delay_alu instid0(VALU_DEP_4) | instskip(SKIP_3) | instid1(VALU_DEP_3)
	v_bfi_b32 v13, 0x7fffffff, v13, v8
	v_cndmask_b32_e64 v15, v36, v40, s5
	v_cndmask_b32_e64 v18, v35, v39, s5
	v_cmp_nge_f64_e64 s5, 0, v[41:42]
	v_cndmask_b32_e64 v15, v15, 0x7ff00000, s10
	s_delay_alu instid0(VALU_DEP_3) | instskip(NEXT) | instid1(VALU_DEP_2)
	v_cndmask_b32_e64 v11, v18, 0, s10
	v_cndmask_b32_e32 v14, 0x7ff80000, v15, vcc_lo
	s_and_b32 vcc_lo, s9, s8
	v_cndmask_b32_e32 v36, v3, v13, vcc_lo
	v_cndmask_b32_e32 v35, v6, v5, vcc_lo
	v_cndmask_b32_e64 v13, 0, v11, s5
	v_cmp_neq_f64_e64 s5, 0, v[41:42]
	s_delay_alu instid0(VALU_DEP_1)
	v_cndmask_b32_e64 v14, 0xfff00000, v14, s5
.LBB192_277:                            ;   in Loop: Header=BB192_145 Depth=1
	s_or_b32 exec_lo, exec_lo, s7
                                        ; implicit-def: $vgpr39_vgpr40
.LBB192_278:                            ;   in Loop: Header=BB192_145 Depth=1
	s_and_not1_saveexec_b32 s7, s21
	s_cbranch_execz .LBB192_284
; %bb.279:                              ;   in Loop: Header=BB192_145 Depth=1
	s_mov_b32 s8, 0x6a3f9475
	s_mov_b32 s9, 0x20ca2fe7
                                        ; implicit-def: $vgpr13_vgpr14
                                        ; implicit-def: $vgpr35_vgpr36
	s_mov_b32 s5, exec_lo
	v_cmpx_ngt_f64_e32 s[8:9], v[39:40]
	s_xor_b32 s8, exec_lo, s5
	s_cbranch_execz .LBB192_281
; %bb.280:                              ;   in Loop: Header=BB192_145 Depth=1
	v_mul_f64 v[13:14], v[39:40], v[39:40]
	s_mov_b32 s99, s25
	s_mov_b32 s14, s86
	v_cmp_eq_f64_e64 s6, 0, v[7:8]
	v_cmp_class_f64_e64 s9, v[7:8], 0x204
	v_cmp_class_f64_e64 s10, v[5:6], 0x204
	v_cmp_gt_i32_e64 s5, 0, v6
	v_add_f64 v[35:36], v[13:14], 1.0
	s_delay_alu instid0(VALU_DEP_1) | instskip(SKIP_2) | instid1(VALU_DEP_3)
	v_frexp_mant_f64_e32 v[37:38], v[35:36]
	v_frexp_exp_i32_f64_e32 v3, v[35:36]
	v_add_f64 v[39:40], v[35:36], -1.0
	v_cmp_gt_f64_e32 vcc_lo, s[24:25], v[37:38]
	s_delay_alu instid0(VALU_DEP_2) | instskip(SKIP_2) | instid1(VALU_DEP_3)
	v_add_f64 v[37:38], v[39:40], -v[35:36]
	v_add_f64 v[39:40], v[13:14], -v[39:40]
	v_subrev_co_ci_u32_e32 v3, vcc_lo, 0, v3, vcc_lo
	v_add_f64 v[37:38], v[37:38], 1.0
	s_delay_alu instid0(VALU_DEP_2) | instskip(NEXT) | instid1(VALU_DEP_1)
	v_sub_nc_u32_e32 v11, 0, v3
	v_ldexp_f64 v[35:36], v[35:36], v11
	s_delay_alu instid0(VALU_DEP_3) | instskip(NEXT) | instid1(VALU_DEP_2)
	v_add_f64 v[37:38], v[39:40], v[37:38]
	v_add_f64 v[41:42], v[35:36], 1.0
	v_add_f64 v[47:48], v[35:36], -1.0
	s_delay_alu instid0(VALU_DEP_3) | instskip(SKIP_1) | instid1(VALU_DEP_4)
	v_ldexp_f64 v[37:38], v[37:38], v11
	v_cndmask_b32_e64 v11, 0x54442d18, v59, s5
	v_add_f64 v[39:40], v[41:42], -1.0
	s_delay_alu instid0(VALU_DEP_4) | instskip(NEXT) | instid1(VALU_DEP_2)
	v_add_f64 v[49:50], v[47:48], 1.0
	v_add_f64 v[39:40], v[35:36], -v[39:40]
	s_delay_alu instid0(VALU_DEP_2) | instskip(NEXT) | instid1(VALU_DEP_2)
	v_add_f64 v[35:36], v[35:36], -v[49:50]
	v_add_f64 v[39:40], v[37:38], v[39:40]
	s_delay_alu instid0(VALU_DEP_2) | instskip(NEXT) | instid1(VALU_DEP_2)
	v_add_f64 v[35:36], v[37:38], v[35:36]
	v_add_f64 v[43:44], v[41:42], v[39:40]
	s_delay_alu instid0(VALU_DEP_2) | instskip(NEXT) | instid1(VALU_DEP_2)
	v_add_f64 v[49:50], v[47:48], v[35:36]
	v_rcp_f64_e32 v[45:46], v[43:44]
	v_add_f64 v[41:42], v[41:42], -v[43:44]
	s_delay_alu instid0(VALU_DEP_2) | instskip(NEXT) | instid1(VALU_DEP_2)
	v_add_f64 v[47:48], v[47:48], -v[49:50]
	v_add_f64 v[39:40], v[39:40], v[41:42]
	s_waitcnt_depctr 0xfff
	v_fma_f64 v[51:52], -v[43:44], v[45:46], 1.0
	v_add_f64 v[35:36], v[35:36], v[47:48]
	s_delay_alu instid0(VALU_DEP_2) | instskip(NEXT) | instid1(VALU_DEP_1)
	v_fma_f64 v[45:46], v[51:52], v[45:46], v[45:46]
	v_fma_f64 v[37:38], -v[43:44], v[45:46], 1.0
	s_delay_alu instid0(VALU_DEP_1) | instskip(NEXT) | instid1(VALU_DEP_1)
	v_fma_f64 v[37:38], v[37:38], v[45:46], v[45:46]
	v_mul_f64 v[45:46], v[49:50], v[37:38]
	s_delay_alu instid0(VALU_DEP_1) | instskip(NEXT) | instid1(VALU_DEP_1)
	v_mul_f64 v[51:52], v[43:44], v[45:46]
	v_fma_f64 v[41:42], v[45:46], v[43:44], -v[51:52]
	s_delay_alu instid0(VALU_DEP_1) | instskip(NEXT) | instid1(VALU_DEP_1)
	v_fma_f64 v[41:42], v[45:46], v[39:40], v[41:42]
	v_add_f64 v[53:54], v[51:52], v[41:42]
	s_delay_alu instid0(VALU_DEP_1) | instskip(SKIP_2) | instid1(VALU_DEP_3)
	v_add_f64 v[55:56], v[49:50], -v[53:54]
	v_add_f64 v[47:48], v[53:54], -v[51:52]
	v_max_f64 v[51:52], |v[7:8]|, |v[7:8]|
	v_add_f64 v[49:50], v[49:50], -v[55:56]
	s_delay_alu instid0(VALU_DEP_3) | instskip(NEXT) | instid1(VALU_DEP_2)
	v_add_f64 v[41:42], v[47:48], -v[41:42]
	v_add_f64 v[49:50], v[49:50], -v[53:54]
	v_max_f64 v[53:54], |v[5:6]|, |v[5:6]|
	s_delay_alu instid0(VALU_DEP_2) | instskip(NEXT) | instid1(VALU_DEP_2)
	v_add_f64 v[35:36], v[35:36], v[49:50]
	v_max_f64 v[57:58], v[53:54], v[51:52]
	v_min_f64 v[51:52], v[53:54], v[51:52]
	s_delay_alu instid0(VALU_DEP_3) | instskip(NEXT) | instid1(VALU_DEP_1)
	v_add_f64 v[35:36], v[41:42], v[35:36]
	v_add_f64 v[41:42], v[55:56], v[35:36]
	s_delay_alu instid0(VALU_DEP_1) | instskip(SKIP_1) | instid1(VALU_DEP_2)
	v_mul_f64 v[47:48], v[37:38], v[41:42]
	v_add_f64 v[55:56], v[55:56], -v[41:42]
	v_mul_f64 v[49:50], v[43:44], v[47:48]
	s_delay_alu instid0(VALU_DEP_2) | instskip(NEXT) | instid1(VALU_DEP_2)
	v_add_f64 v[35:36], v[35:36], v[55:56]
	v_fma_f64 v[43:44], v[47:48], v[43:44], -v[49:50]
	s_delay_alu instid0(VALU_DEP_1) | instskip(SKIP_1) | instid1(VALU_DEP_2)
	v_fma_f64 v[39:40], v[47:48], v[39:40], v[43:44]
	v_div_scale_f64 v[43:44], null, v[57:58], v[57:58], v[51:52]
	v_add_f64 v[53:54], v[49:50], v[39:40]
	s_delay_alu instid0(VALU_DEP_2) | instskip(NEXT) | instid1(VALU_DEP_1)
	v_rcp_f64_e32 v[61:62], v[43:44]
	v_add_f64 v[63:64], v[41:42], -v[53:54]
	v_add_f64 v[49:50], v[53:54], -v[49:50]
	s_waitcnt_depctr 0xfff
	v_fma_f64 v[65:66], -v[43:44], v[61:62], 1.0
	v_add_f64 v[41:42], v[41:42], -v[63:64]
	v_add_f64 v[39:40], v[49:50], -v[39:40]
	s_delay_alu instid0(VALU_DEP_3) | instskip(NEXT) | instid1(VALU_DEP_3)
	v_fma_f64 v[61:62], v[61:62], v[65:66], v[61:62]
	v_add_f64 v[41:42], v[41:42], -v[53:54]
	s_delay_alu instid0(VALU_DEP_2) | instskip(NEXT) | instid1(VALU_DEP_2)
	v_fma_f64 v[53:54], -v[43:44], v[61:62], 1.0
	v_add_f64 v[35:36], v[35:36], v[41:42]
	v_div_scale_f64 v[41:42], vcc_lo, v[51:52], v[57:58], v[51:52]
	s_delay_alu instid0(VALU_DEP_3) | instskip(SKIP_1) | instid1(VALU_DEP_4)
	v_fma_f64 v[49:50], v[61:62], v[53:54], v[61:62]
	v_add_f64 v[53:54], v[45:46], v[47:48]
	v_add_f64 v[35:36], v[39:40], v[35:36]
	s_delay_alu instid0(VALU_DEP_3) | instskip(NEXT) | instid1(VALU_DEP_3)
	v_mul_f64 v[39:40], v[41:42], v[49:50]
	v_add_f64 v[45:46], v[53:54], -v[45:46]
	s_delay_alu instid0(VALU_DEP_3) | instskip(NEXT) | instid1(VALU_DEP_3)
	v_add_f64 v[35:36], v[63:64], v[35:36]
	v_fma_f64 v[41:42], -v[43:44], v[39:40], v[41:42]
	s_delay_alu instid0(VALU_DEP_3) | instskip(NEXT) | instid1(VALU_DEP_3)
	v_add_f64 v[43:44], v[47:48], -v[45:46]
	v_mul_f64 v[35:36], v[37:38], v[35:36]
	s_delay_alu instid0(VALU_DEP_3) | instskip(SKIP_1) | instid1(VALU_DEP_3)
	v_div_fmas_f64 v[37:38], v[41:42], v[49:50], v[39:40]
	v_cmp_eq_f64_e32 vcc_lo, 0x7ff00000, v[13:14]
	v_add_f64 v[35:36], v[43:44], v[35:36]
	s_delay_alu instid0(VALU_DEP_3) | instskip(NEXT) | instid1(VALU_DEP_2)
	v_div_fixup_f64 v[37:38], v[37:38], v[57:58], v[51:52]
	v_add_f64 v[39:40], v[53:54], v[35:36]
	s_delay_alu instid0(VALU_DEP_2) | instskip(NEXT) | instid1(VALU_DEP_2)
	v_mul_f64 v[41:42], v[37:38], v[37:38]
	v_mul_f64 v[43:44], v[39:40], v[39:40]
	s_delay_alu instid0(VALU_DEP_2) | instskip(NEXT) | instid1(VALU_DEP_2)
	v_fma_f64 v[45:46], v[41:42], s[48:49], s[46:47]
	v_fma_f64 v[47:48], v[43:44], s[28:29], s[26:27]
	v_mul_f64 v[49:50], v[39:40], v[43:44]
	s_delay_alu instid0(VALU_DEP_3) | instskip(NEXT) | instid1(VALU_DEP_3)
	v_fma_f64 v[45:46], v[41:42], v[45:46], s[50:51]
	v_fma_f64 v[47:48], v[43:44], v[47:48], s[34:35]
	s_delay_alu instid0(VALU_DEP_2) | instskip(NEXT) | instid1(VALU_DEP_2)
	v_fma_f64 v[45:46], v[41:42], v[45:46], s[52:53]
	v_fma_f64 v[47:48], v[43:44], v[47:48], s[36:37]
	s_delay_alu instid0(VALU_DEP_2) | instskip(NEXT) | instid1(VALU_DEP_2)
	;; [unrolled: 3-line block ×4, first 2 shown]
	v_fma_f64 v[45:46], v[41:42], v[45:46], s[58:59]
	v_fma_f64 v[43:44], v[43:44], v[47:48], s[98:99]
	v_ldexp_f64 v[47:48], v[39:40], 1
	v_add_f64 v[39:40], v[39:40], -v[53:54]
	s_delay_alu instid0(VALU_DEP_4) | instskip(NEXT) | instid1(VALU_DEP_4)
	v_fma_f64 v[45:46], v[41:42], v[45:46], s[60:61]
	v_mul_f64 v[43:44], v[49:50], v[43:44]
	v_cvt_f64_i32_e32 v[49:50], v3
	s_delay_alu instid0(VALU_DEP_4) | instskip(NEXT) | instid1(VALU_DEP_4)
	v_add_f64 v[35:36], v[35:36], -v[39:40]
	v_fma_f64 v[45:46], v[41:42], v[45:46], s[62:63]
	v_ashrrev_i32_e32 v3, 31, v6
	v_add_f64 v[51:52], v[47:48], v[43:44]
	v_mul_f64 v[53:54], v[49:50], s[42:43]
	v_ldexp_f64 v[35:36], v[35:36], 1
	v_fma_f64 v[45:46], v[41:42], v[45:46], s[64:65]
	s_delay_alu instid0(VALU_DEP_4) | instskip(NEXT) | instid1(VALU_DEP_4)
	v_add_f64 v[39:40], v[51:52], -v[47:48]
	v_fma_f64 v[47:48], v[49:50], s[42:43], -v[53:54]
	s_delay_alu instid0(VALU_DEP_3) | instskip(NEXT) | instid1(VALU_DEP_3)
	v_fma_f64 v[45:46], v[41:42], v[45:46], s[66:67]
	v_add_f64 v[39:40], v[43:44], -v[39:40]
	s_delay_alu instid0(VALU_DEP_2) | instskip(NEXT) | instid1(VALU_DEP_4)
	v_fma_f64 v[43:44], v[41:42], v[45:46], s[68:69]
	v_fma_f64 v[45:46], v[49:50], s[44:45], v[47:48]
	s_delay_alu instid0(VALU_DEP_3) | instskip(NEXT) | instid1(VALU_DEP_3)
	v_add_f64 v[35:36], v[35:36], v[39:40]
	v_fma_f64 v[39:40], v[41:42], v[43:44], s[70:71]
	s_delay_alu instid0(VALU_DEP_3) | instskip(NEXT) | instid1(VALU_DEP_3)
	v_add_f64 v[43:44], v[53:54], v[45:46]
	v_add_f64 v[47:48], v[51:52], v[35:36]
	s_delay_alu instid0(VALU_DEP_3) | instskip(NEXT) | instid1(VALU_DEP_3)
	v_fma_f64 v[39:40], v[41:42], v[39:40], s[72:73]
	v_add_f64 v[53:54], v[43:44], -v[53:54]
	s_delay_alu instid0(VALU_DEP_3) | instskip(SKIP_1) | instid1(VALU_DEP_4)
	v_add_f64 v[49:50], v[43:44], v[47:48]
	v_add_f64 v[51:52], v[47:48], -v[51:52]
	v_fma_f64 v[39:40], v[41:42], v[39:40], s[74:75]
	s_delay_alu instid0(VALU_DEP_4) | instskip(NEXT) | instid1(VALU_DEP_4)
	v_add_f64 v[45:46], v[45:46], -v[53:54]
	v_add_f64 v[55:56], v[49:50], -v[43:44]
	s_delay_alu instid0(VALU_DEP_4) | instskip(NEXT) | instid1(VALU_DEP_4)
	v_add_f64 v[35:36], v[35:36], -v[51:52]
	v_fma_f64 v[39:40], v[41:42], v[39:40], s[76:77]
	s_delay_alu instid0(VALU_DEP_3) | instskip(SKIP_1) | instid1(VALU_DEP_4)
	v_add_f64 v[57:58], v[49:50], -v[55:56]
	v_add_f64 v[47:48], v[47:48], -v[55:56]
	v_add_f64 v[51:52], v[45:46], v[35:36]
	s_delay_alu instid0(VALU_DEP_4) | instskip(NEXT) | instid1(VALU_DEP_4)
	v_fma_f64 v[39:40], v[41:42], v[39:40], s[78:79]
	v_add_f64 v[43:44], v[43:44], -v[57:58]
	s_delay_alu instid0(VALU_DEP_2) | instskip(NEXT) | instid1(VALU_DEP_2)
	v_fma_f64 v[39:40], v[41:42], v[39:40], s[80:81]
	v_add_f64 v[43:44], v[47:48], v[43:44]
	v_add_f64 v[47:48], v[51:52], -v[45:46]
	s_delay_alu instid0(VALU_DEP_3) | instskip(NEXT) | instid1(VALU_DEP_3)
	v_fma_f64 v[39:40], v[41:42], v[39:40], s[82:83]
	v_add_f64 v[43:44], v[51:52], v[43:44]
	s_delay_alu instid0(VALU_DEP_3) | instskip(SKIP_1) | instid1(VALU_DEP_4)
	v_add_f64 v[51:52], v[51:52], -v[47:48]
	v_add_f64 v[35:36], v[35:36], -v[47:48]
	v_fma_f64 v[39:40], v[41:42], v[39:40], s[84:85]
	s_delay_alu instid0(VALU_DEP_4) | instskip(NEXT) | instid1(VALU_DEP_2)
	v_add_f64 v[53:54], v[49:50], v[43:44]
	v_mul_f64 v[39:40], v[41:42], v[39:40]
	v_add_f64 v[41:42], v[45:46], -v[51:52]
	s_delay_alu instid0(VALU_DEP_3) | instskip(NEXT) | instid1(VALU_DEP_3)
	v_add_f64 v[45:46], v[53:54], -v[49:50]
	v_fma_f64 v[37:38], v[37:38], v[39:40], v[37:38]
	s_delay_alu instid0(VALU_DEP_3) | instskip(NEXT) | instid1(VALU_DEP_3)
	v_add_f64 v[35:36], v[35:36], v[41:42]
	v_add_f64 v[39:40], v[43:44], -v[45:46]
	s_delay_alu instid0(VALU_DEP_3) | instskip(NEXT) | instid1(VALU_DEP_2)
	v_add_f64 v[41:42], -v[37:38], s[86:87]
	v_add_f64 v[35:36], v[35:36], v[39:40]
	s_delay_alu instid0(VALU_DEP_2) | instskip(NEXT) | instid1(VALU_DEP_3)
	v_cndmask_b32_e64 v38, v38, v42, s4
	v_cndmask_b32_e64 v37, v37, v41, s4
	s_delay_alu instid0(VALU_DEP_1) | instskip(NEXT) | instid1(VALU_DEP_4)
	v_add_f64 v[39:40], -v[37:38], s[14:15]
	v_add_f64 v[35:36], v[53:54], v[35:36]
	v_and_b32_e32 v15, 0x54442d18, v3
	v_and_b32_e32 v3, 0x400921fb, v3
	s_delay_alu instid0(VALU_DEP_4) | instskip(NEXT) | instid1(VALU_DEP_4)
	v_cndmask_b32_e64 v18, v37, v39, s5
	v_dual_cndmask_b32 v6, v36, v14 :: v_dual_cndmask_b32 v5, v35, v13
	s_delay_alu instid0(VALU_DEP_2) | instskip(SKIP_1) | instid1(VALU_DEP_2)
	v_cndmask_b32_e64 v15, v18, v15, s6
	s_and_b32 vcc_lo, s9, s10
	v_mul_f64 v[13:14], v[5:6], 0.5
	v_cndmask_b32_e64 v5, 0x3fe921fb, v60, s5
	v_cndmask_b32_e64 v6, v38, v40, s5
	v_cndmask_b32_e32 v35, v15, v11, vcc_lo
                                        ; implicit-def: $vgpr39_vgpr40
	s_delay_alu instid0(VALU_DEP_3) | instskip(NEXT) | instid1(VALU_DEP_3)
	v_bfi_b32 v5, 0x7fffffff, v5, v8
	v_cndmask_b32_e64 v3, v6, v3, s6
	s_delay_alu instid0(VALU_DEP_1)
	v_cndmask_b32_e32 v36, v3, v5, vcc_lo
.LBB192_281:                            ;   in Loop: Header=BB192_145 Depth=1
	s_and_not1_saveexec_b32 s6, s8
	s_cbranch_execz .LBB192_283
; %bb.282:                              ;   in Loop: Header=BB192_145 Depth=1
	v_max_f64 v[13:14], |v[7:8]|, |v[7:8]|
	v_max_f64 v[35:36], |v[5:6]|, |v[5:6]|
	s_mov_b32 s14, s86
	v_cmp_eq_f64_e64 s5, 0, v[7:8]
	v_cmp_class_f64_e64 s8, v[7:8], 0x204
	v_cmp_class_f64_e64 s9, v[5:6], 0x204
	v_ashrrev_i32_e32 v3, 31, v6
	s_delay_alu instid0(VALU_DEP_1) | instskip(SKIP_3) | instid1(VALU_DEP_1)
	v_and_b32_e32 v18, 0x54442d18, v3
	v_and_b32_e32 v3, 0x400921fb, v3
	v_max_f64 v[37:38], v[35:36], v[13:14]
	v_min_f64 v[13:14], v[35:36], v[13:14]
	v_div_scale_f64 v[35:36], null, v[37:38], v[37:38], v[13:14]
	v_div_scale_f64 v[45:46], vcc_lo, v[13:14], v[37:38], v[13:14]
	s_delay_alu instid0(VALU_DEP_2) | instskip(SKIP_2) | instid1(VALU_DEP_1)
	v_rcp_f64_e32 v[41:42], v[35:36]
	s_waitcnt_depctr 0xfff
	v_fma_f64 v[43:44], -v[35:36], v[41:42], 1.0
	v_fma_f64 v[41:42], v[41:42], v[43:44], v[41:42]
	s_delay_alu instid0(VALU_DEP_1) | instskip(NEXT) | instid1(VALU_DEP_1)
	v_fma_f64 v[43:44], -v[35:36], v[41:42], 1.0
	v_fma_f64 v[41:42], v[41:42], v[43:44], v[41:42]
	s_delay_alu instid0(VALU_DEP_1) | instskip(NEXT) | instid1(VALU_DEP_1)
	v_mul_f64 v[43:44], v[45:46], v[41:42]
	v_fma_f64 v[35:36], -v[35:36], v[43:44], v[45:46]
	s_delay_alu instid0(VALU_DEP_1) | instskip(SKIP_3) | instid1(VALU_DEP_2)
	v_div_fmas_f64 v[35:36], v[35:36], v[41:42], v[43:44]
	v_cmp_gt_i32_e32 vcc_lo, 0, v6
	v_cndmask_b32_e32 v5, 0x3fe921fb, v60, vcc_lo
	v_cndmask_b32_e32 v11, 0x54442d18, v59, vcc_lo
	v_bfi_b32 v5, 0x7fffffff, v5, v8
	v_div_fixup_f64 v[13:14], v[35:36], v[37:38], v[13:14]
	s_delay_alu instid0(VALU_DEP_1) | instskip(NEXT) | instid1(VALU_DEP_1)
	v_mul_f64 v[35:36], v[13:14], v[13:14]
	v_fma_f64 v[37:38], v[35:36], s[48:49], s[46:47]
	s_delay_alu instid0(VALU_DEP_1) | instskip(NEXT) | instid1(VALU_DEP_1)
	v_fma_f64 v[37:38], v[35:36], v[37:38], s[50:51]
	v_fma_f64 v[37:38], v[35:36], v[37:38], s[52:53]
	s_delay_alu instid0(VALU_DEP_1) | instskip(NEXT) | instid1(VALU_DEP_1)
	v_fma_f64 v[37:38], v[35:36], v[37:38], s[54:55]
	v_fma_f64 v[37:38], v[35:36], v[37:38], s[56:57]
	s_delay_alu instid0(VALU_DEP_1) | instskip(NEXT) | instid1(VALU_DEP_1)
	v_fma_f64 v[37:38], v[35:36], v[37:38], s[58:59]
	v_fma_f64 v[37:38], v[35:36], v[37:38], s[60:61]
	s_delay_alu instid0(VALU_DEP_1) | instskip(NEXT) | instid1(VALU_DEP_1)
	v_fma_f64 v[37:38], v[35:36], v[37:38], s[62:63]
	v_fma_f64 v[37:38], v[35:36], v[37:38], s[64:65]
	s_delay_alu instid0(VALU_DEP_1) | instskip(NEXT) | instid1(VALU_DEP_1)
	v_fma_f64 v[37:38], v[35:36], v[37:38], s[66:67]
	v_fma_f64 v[37:38], v[35:36], v[37:38], s[68:69]
	s_delay_alu instid0(VALU_DEP_1) | instskip(NEXT) | instid1(VALU_DEP_1)
	v_fma_f64 v[37:38], v[35:36], v[37:38], s[70:71]
	v_fma_f64 v[37:38], v[35:36], v[37:38], s[72:73]
	s_delay_alu instid0(VALU_DEP_1) | instskip(NEXT) | instid1(VALU_DEP_1)
	v_fma_f64 v[37:38], v[35:36], v[37:38], s[74:75]
	v_fma_f64 v[37:38], v[35:36], v[37:38], s[76:77]
	s_delay_alu instid0(VALU_DEP_1) | instskip(NEXT) | instid1(VALU_DEP_1)
	v_fma_f64 v[37:38], v[35:36], v[37:38], s[78:79]
	v_fma_f64 v[37:38], v[35:36], v[37:38], s[80:81]
	s_delay_alu instid0(VALU_DEP_1) | instskip(NEXT) | instid1(VALU_DEP_1)
	v_fma_f64 v[37:38], v[35:36], v[37:38], s[82:83]
	v_fma_f64 v[37:38], v[35:36], v[37:38], s[84:85]
	s_delay_alu instid0(VALU_DEP_1) | instskip(SKIP_1) | instid1(VALU_DEP_2)
	v_mul_f64 v[35:36], v[35:36], v[37:38]
	v_mul_f64 v[37:38], v[39:40], 0.5
	v_fma_f64 v[13:14], v[13:14], v[35:36], v[13:14]
	s_delay_alu instid0(VALU_DEP_1) | instskip(NEXT) | instid1(VALU_DEP_1)
	v_add_f64 v[35:36], -v[13:14], s[86:87]
	v_cndmask_b32_e64 v15, v14, v36, s4
	s_delay_alu instid0(VALU_DEP_2) | instskip(NEXT) | instid1(VALU_DEP_1)
	v_cndmask_b32_e64 v14, v13, v35, s4
	v_add_f64 v[35:36], -v[14:15], s[14:15]
	s_delay_alu instid0(VALU_DEP_1) | instskip(SKIP_2) | instid1(VALU_DEP_2)
	v_dual_cndmask_b32 v35, v14, v35 :: v_dual_cndmask_b32 v6, v15, v36
	v_mul_f64 v[13:14], v[39:40], v[37:38]
	s_and_b32 vcc_lo, s8, s9
	v_cndmask_b32_e64 v15, v35, v18, s5
	s_delay_alu instid0(VALU_DEP_3) | instskip(NEXT) | instid1(VALU_DEP_2)
	v_cndmask_b32_e64 v3, v6, v3, s5
	v_cndmask_b32_e32 v35, v15, v11, vcc_lo
	s_delay_alu instid0(VALU_DEP_2)
	v_cndmask_b32_e32 v36, v3, v5, vcc_lo
.LBB192_283:                            ;   in Loop: Header=BB192_145 Depth=1
	s_or_b32 exec_lo, exec_lo, s6
.LBB192_284:                            ;   in Loop: Header=BB192_145 Depth=1
	s_delay_alu instid0(SALU_CYCLE_1)
	s_or_b32 exec_lo, exec_lo, s7
.LBB192_285:                            ;   in Loop: Header=BB192_145 Depth=1
	s_and_not1_saveexec_b32 s7, s20
	s_cbranch_execz .LBB192_287
; %bb.286:                              ;   in Loop: Header=BB192_145 Depth=1
	v_div_scale_f64 v[13:14], null, s[92:93], s[92:93], v[5:6]
	v_div_scale_f64 v[35:36], null, s[92:93], s[92:93], v[7:8]
	v_div_scale_f64 v[45:46], vcc_lo, v[5:6], s[92:93], v[5:6]
	v_max_f64 v[49:50], |v[5:6]|, |v[5:6]|
	s_mov_b32 s99, s25
	s_mov_b32 s14, s86
	s_delay_alu instid0(VALU_DEP_4) | instskip(NEXT) | instid1(VALU_DEP_3)
	v_rcp_f64_e32 v[37:38], v[13:14]
	v_rcp_f64_e32 v[39:40], v[35:36]
	s_waitcnt_depctr 0xfff
	v_fma_f64 v[41:42], -v[13:14], v[37:38], 1.0
	v_fma_f64 v[43:44], -v[35:36], v[39:40], 1.0
	s_delay_alu instid0(VALU_DEP_2) | instskip(NEXT) | instid1(VALU_DEP_2)
	v_fma_f64 v[37:38], v[37:38], v[41:42], v[37:38]
	v_fma_f64 v[39:40], v[39:40], v[43:44], v[39:40]
	s_delay_alu instid0(VALU_DEP_2) | instskip(NEXT) | instid1(VALU_DEP_2)
	v_fma_f64 v[41:42], -v[13:14], v[37:38], 1.0
	v_fma_f64 v[43:44], -v[35:36], v[39:40], 1.0
	s_delay_alu instid0(VALU_DEP_2) | instskip(SKIP_1) | instid1(VALU_DEP_3)
	v_fma_f64 v[37:38], v[37:38], v[41:42], v[37:38]
	v_div_scale_f64 v[41:42], s5, v[7:8], s[92:93], v[7:8]
	v_fma_f64 v[39:40], v[39:40], v[43:44], v[39:40]
	s_delay_alu instid0(VALU_DEP_3) | instskip(NEXT) | instid1(VALU_DEP_2)
	v_mul_f64 v[43:44], v[45:46], v[37:38]
	v_mul_f64 v[47:48], v[41:42], v[39:40]
	s_delay_alu instid0(VALU_DEP_2) | instskip(NEXT) | instid1(VALU_DEP_2)
	v_fma_f64 v[13:14], -v[13:14], v[43:44], v[45:46]
	v_fma_f64 v[35:36], -v[35:36], v[47:48], v[41:42]
	s_delay_alu instid0(VALU_DEP_2) | instskip(SKIP_1) | instid1(VALU_DEP_2)
	v_div_fmas_f64 v[13:14], v[13:14], v[37:38], v[43:44]
	s_mov_b32 vcc_lo, s5
	v_div_fmas_f64 v[35:36], v[35:36], v[39:40], v[47:48]
	s_delay_alu instid0(VALU_DEP_2) | instskip(NEXT) | instid1(VALU_DEP_2)
	v_div_fixup_f64 v[13:14], v[13:14], s[92:93], v[5:6]
	v_div_fixup_f64 v[35:36], v[35:36], s[92:93], v[7:8]
	s_delay_alu instid0(VALU_DEP_2) | instskip(NEXT) | instid1(VALU_DEP_2)
	v_cmp_class_f64_e64 s6, v[13:14], 0x204
	v_max_f64 v[37:38], |v[13:14]|, |v[35:36]|
	v_cmp_o_f64_e64 s5, v[13:14], v[35:36]
	v_cmp_class_f64_e64 s8, v[35:36], 0x204
	s_delay_alu instid0(VALU_DEP_3) | instskip(NEXT) | instid1(VALU_DEP_2)
	v_frexp_exp_i32_f64_e32 v3, v[37:38]
	s_or_b32 s8, s8, s6
	s_delay_alu instid0(VALU_DEP_1) | instskip(NEXT) | instid1(VALU_DEP_1)
	v_sub_nc_u32_e32 v11, 0, v3
	v_ldexp_f64 v[37:38], |v[35:36]|, v11
	v_ldexp_f64 v[39:40], |v[13:14]|, v11
	s_delay_alu instid0(VALU_DEP_2) | instskip(NEXT) | instid1(VALU_DEP_1)
	v_mul_f64 v[37:38], v[37:38], v[37:38]
	v_fma_f64 v[37:38], v[39:40], v[39:40], v[37:38]
	s_delay_alu instid0(VALU_DEP_1) | instskip(SKIP_4) | instid1(VALU_DEP_1)
	v_rsq_f64_e32 v[39:40], v[37:38]
	v_cmp_eq_f64_e32 vcc_lo, 0, v[37:38]
	s_waitcnt_depctr 0xfff
	v_mul_f64 v[41:42], v[37:38], v[39:40]
	v_mul_f64 v[39:40], v[39:40], 0.5
	v_fma_f64 v[43:44], -v[39:40], v[41:42], 0.5
	s_delay_alu instid0(VALU_DEP_1) | instskip(SKIP_1) | instid1(VALU_DEP_2)
	v_fma_f64 v[41:42], v[41:42], v[43:44], v[41:42]
	v_fma_f64 v[39:40], v[39:40], v[43:44], v[39:40]
	v_fma_f64 v[43:44], -v[41:42], v[41:42], v[37:38]
	s_delay_alu instid0(VALU_DEP_1) | instskip(NEXT) | instid1(VALU_DEP_1)
	v_fma_f64 v[39:40], v[43:44], v[39:40], v[41:42]
	v_dual_cndmask_b32 v38, v40, v38 :: v_dual_cndmask_b32 v37, v39, v37
	s_delay_alu instid0(VALU_DEP_1) | instskip(NEXT) | instid1(VALU_DEP_1)
	v_ldexp_f64 v[37:38], v[37:38], v3
	v_cndmask_b32_e64 v3, 0, v37, s5
	s_delay_alu instid0(VALU_DEP_2) | instskip(NEXT) | instid1(VALU_DEP_2)
	v_cndmask_b32_e64 v11, 0x7ff80000, v38, s5
	v_cndmask_b32_e64 v14, v3, 0, s8
	s_delay_alu instid0(VALU_DEP_2) | instskip(NEXT) | instid1(VALU_DEP_1)
	v_cndmask_b32_e64 v15, v11, 0x7ff00000, s8
	v_frexp_mant_f64_e32 v[35:36], v[14:15]
	v_frexp_exp_i32_f64_e32 v13, v[14:15]
	s_delay_alu instid0(VALU_DEP_2) | instskip(NEXT) | instid1(VALU_DEP_1)
	v_cmp_gt_f64_e64 s6, s[24:25], v[35:36]
	v_cndmask_b32_e64 v18, 0x3ff00000, 2.0, s6
	s_delay_alu instid0(VALU_DEP_1) | instskip(NEXT) | instid1(VALU_DEP_1)
	v_mul_f64 v[35:36], v[35:36], v[17:18]
	v_add_f64 v[39:40], v[35:36], 1.0
	v_add_f64 v[45:46], v[35:36], -1.0
	s_delay_alu instid0(VALU_DEP_2) | instskip(SKIP_1) | instid1(VALU_DEP_1)
	v_rcp_f64_e32 v[41:42], v[39:40]
	v_add_f64 v[51:52], v[39:40], -1.0
	v_add_f64 v[35:36], v[35:36], -v[51:52]
	s_waitcnt_depctr 0xfff
	v_fma_f64 v[43:44], -v[39:40], v[41:42], 1.0
	s_delay_alu instid0(VALU_DEP_1) | instskip(NEXT) | instid1(VALU_DEP_1)
	v_fma_f64 v[41:42], v[43:44], v[41:42], v[41:42]
	v_fma_f64 v[43:44], -v[39:40], v[41:42], 1.0
	s_delay_alu instid0(VALU_DEP_1) | instskip(SKIP_1) | instid1(VALU_DEP_2)
	v_fma_f64 v[41:42], v[43:44], v[41:42], v[41:42]
	v_max_f64 v[43:44], |v[7:8]|, |v[7:8]|
	v_mul_f64 v[47:48], v[45:46], v[41:42]
	s_delay_alu instid0(VALU_DEP_2) | instskip(SKIP_1) | instid1(VALU_DEP_3)
	v_max_f64 v[55:56], v[49:50], v[43:44]
	v_min_f64 v[43:44], v[49:50], v[43:44]
	v_mul_f64 v[53:54], v[39:40], v[47:48]
	s_delay_alu instid0(VALU_DEP_2) | instskip(NEXT) | instid1(VALU_DEP_2)
	v_div_scale_f64 v[49:50], null, v[55:56], v[55:56], v[43:44]
	v_fma_f64 v[39:40], v[47:48], v[39:40], -v[53:54]
	s_delay_alu instid0(VALU_DEP_1) | instskip(NEXT) | instid1(VALU_DEP_3)
	v_fma_f64 v[35:36], v[47:48], v[35:36], v[39:40]
	v_rcp_f64_e32 v[39:40], v[49:50]
	s_delay_alu instid0(VALU_DEP_1) | instskip(SKIP_4) | instid1(VALU_DEP_3)
	v_add_f64 v[51:52], v[53:54], v[35:36]
	s_waitcnt_depctr 0xfff
	v_fma_f64 v[57:58], -v[49:50], v[39:40], 1.0
	v_add_f64 v[61:62], v[45:46], -v[51:52]
	v_add_f64 v[53:54], v[51:52], -v[53:54]
	v_fma_f64 v[39:40], v[39:40], v[57:58], v[39:40]
	s_delay_alu instid0(VALU_DEP_3) | instskip(NEXT) | instid1(VALU_DEP_3)
	v_add_f64 v[45:46], v[45:46], -v[61:62]
	v_add_f64 v[35:36], v[53:54], -v[35:36]
	s_delay_alu instid0(VALU_DEP_3) | instskip(NEXT) | instid1(VALU_DEP_3)
	v_fma_f64 v[57:58], -v[49:50], v[39:40], 1.0
	v_add_f64 v[45:46], v[45:46], -v[51:52]
	v_div_scale_f64 v[51:52], vcc_lo, v[43:44], v[55:56], v[43:44]
	s_delay_alu instid0(VALU_DEP_3) | instskip(NEXT) | instid1(VALU_DEP_3)
	v_fma_f64 v[39:40], v[39:40], v[57:58], v[39:40]
	v_add_f64 v[35:36], v[35:36], v[45:46]
	s_delay_alu instid0(VALU_DEP_2) | instskip(NEXT) | instid1(VALU_DEP_2)
	v_mul_f64 v[45:46], v[51:52], v[39:40]
	v_add_f64 v[35:36], v[61:62], v[35:36]
	s_delay_alu instid0(VALU_DEP_2) | instskip(NEXT) | instid1(VALU_DEP_2)
	v_fma_f64 v[49:50], -v[49:50], v[45:46], v[51:52]
	v_mul_f64 v[35:36], v[41:42], v[35:36]
	s_delay_alu instid0(VALU_DEP_2) | instskip(SKIP_2) | instid1(VALU_DEP_4)
	v_div_fmas_f64 v[39:40], v[49:50], v[39:40], v[45:46]
	v_subrev_co_ci_u32_e64 v13, vcc_lo, 0, v13, s6
	v_cmp_class_f64_e64 s6, v[5:6], 0x204
	v_add_f64 v[41:42], v[47:48], v[35:36]
	s_delay_alu instid0(VALU_DEP_4) | instskip(NEXT) | instid1(VALU_DEP_2)
	v_div_fixup_f64 v[39:40], v[39:40], v[55:56], v[43:44]
	v_mul_f64 v[43:44], v[41:42], v[41:42]
	s_delay_alu instid0(VALU_DEP_2) | instskip(NEXT) | instid1(VALU_DEP_2)
	v_mul_f64 v[45:46], v[39:40], v[39:40]
	v_fma_f64 v[49:50], v[43:44], s[28:29], s[26:27]
	v_mul_f64 v[53:54], v[41:42], v[43:44]
	s_delay_alu instid0(VALU_DEP_3) | instskip(NEXT) | instid1(VALU_DEP_3)
	v_fma_f64 v[51:52], v[45:46], s[48:49], s[46:47]
	v_fma_f64 v[49:50], v[43:44], v[49:50], s[34:35]
	s_delay_alu instid0(VALU_DEP_2) | instskip(NEXT) | instid1(VALU_DEP_2)
	v_fma_f64 v[51:52], v[45:46], v[51:52], s[50:51]
	v_fma_f64 v[49:50], v[43:44], v[49:50], s[36:37]
	s_delay_alu instid0(VALU_DEP_2) | instskip(NEXT) | instid1(VALU_DEP_2)
	;; [unrolled: 3-line block ×4, first 2 shown]
	v_fma_f64 v[51:52], v[45:46], v[51:52], s[56:57]
	v_fma_f64 v[43:44], v[43:44], v[49:50], s[98:99]
	s_delay_alu instid0(VALU_DEP_2) | instskip(SKIP_2) | instid1(VALU_DEP_4)
	v_fma_f64 v[49:50], v[45:46], v[51:52], s[58:59]
	v_ldexp_f64 v[51:52], v[41:42], 1
	v_add_f64 v[41:42], v[41:42], -v[47:48]
	v_mul_f64 v[43:44], v[53:54], v[43:44]
	v_cvt_f64_i32_e32 v[53:54], v13
	v_ashrrev_i32_e32 v13, 31, v6
	v_fma_f64 v[49:50], v[45:46], v[49:50], s[60:61]
	v_add_f64 v[35:36], v[35:36], -v[41:42]
	v_add_f64 v[47:48], v[51:52], v[43:44]
	v_mul_f64 v[55:56], v[53:54], s[42:43]
	s_delay_alu instid0(VALU_DEP_4) | instskip(NEXT) | instid1(VALU_DEP_4)
	v_fma_f64 v[49:50], v[45:46], v[49:50], s[62:63]
	v_ldexp_f64 v[35:36], v[35:36], 1
	s_delay_alu instid0(VALU_DEP_4) | instskip(NEXT) | instid1(VALU_DEP_4)
	v_add_f64 v[41:42], v[47:48], -v[51:52]
	v_fma_f64 v[51:52], v[53:54], s[42:43], -v[55:56]
	s_delay_alu instid0(VALU_DEP_4) | instskip(NEXT) | instid1(VALU_DEP_3)
	v_fma_f64 v[49:50], v[45:46], v[49:50], s[64:65]
	v_add_f64 v[41:42], v[43:44], -v[41:42]
	s_delay_alu instid0(VALU_DEP_2) | instskip(NEXT) | instid1(VALU_DEP_4)
	v_fma_f64 v[43:44], v[45:46], v[49:50], s[66:67]
	v_fma_f64 v[49:50], v[53:54], s[44:45], v[51:52]
	s_delay_alu instid0(VALU_DEP_3) | instskip(NEXT) | instid1(VALU_DEP_3)
	v_add_f64 v[35:36], v[35:36], v[41:42]
	v_fma_f64 v[41:42], v[45:46], v[43:44], s[68:69]
	s_delay_alu instid0(VALU_DEP_3) | instskip(NEXT) | instid1(VALU_DEP_3)
	v_add_f64 v[43:44], v[55:56], v[49:50]
	v_add_f64 v[51:52], v[47:48], v[35:36]
	s_delay_alu instid0(VALU_DEP_3) | instskip(NEXT) | instid1(VALU_DEP_3)
	v_fma_f64 v[41:42], v[45:46], v[41:42], s[70:71]
	v_add_f64 v[55:56], v[43:44], -v[55:56]
	s_delay_alu instid0(VALU_DEP_3) | instskip(SKIP_1) | instid1(VALU_DEP_4)
	v_add_f64 v[53:54], v[43:44], v[51:52]
	v_add_f64 v[47:48], v[51:52], -v[47:48]
	v_fma_f64 v[41:42], v[45:46], v[41:42], s[72:73]
	s_delay_alu instid0(VALU_DEP_4) | instskip(NEXT) | instid1(VALU_DEP_4)
	v_add_f64 v[49:50], v[49:50], -v[55:56]
	v_add_f64 v[57:58], v[53:54], -v[43:44]
	s_delay_alu instid0(VALU_DEP_4) | instskip(NEXT) | instid1(VALU_DEP_4)
	v_add_f64 v[35:36], v[35:36], -v[47:48]
	v_fma_f64 v[41:42], v[45:46], v[41:42], s[74:75]
	s_delay_alu instid0(VALU_DEP_3) | instskip(SKIP_1) | instid1(VALU_DEP_4)
	v_add_f64 v[61:62], v[53:54], -v[57:58]
	v_add_f64 v[47:48], v[51:52], -v[57:58]
	v_add_f64 v[51:52], v[49:50], v[35:36]
	s_delay_alu instid0(VALU_DEP_4) | instskip(NEXT) | instid1(VALU_DEP_4)
	v_fma_f64 v[41:42], v[45:46], v[41:42], s[76:77]
	v_add_f64 v[43:44], v[43:44], -v[61:62]
	s_delay_alu instid0(VALU_DEP_2) | instskip(NEXT) | instid1(VALU_DEP_2)
	v_fma_f64 v[41:42], v[45:46], v[41:42], s[78:79]
	v_add_f64 v[43:44], v[47:48], v[43:44]
	v_add_f64 v[47:48], v[51:52], -v[49:50]
	s_delay_alu instid0(VALU_DEP_3) | instskip(NEXT) | instid1(VALU_DEP_3)
	v_fma_f64 v[41:42], v[45:46], v[41:42], s[80:81]
	v_add_f64 v[43:44], v[51:52], v[43:44]
	s_delay_alu instid0(VALU_DEP_3) | instskip(SKIP_1) | instid1(VALU_DEP_4)
	v_add_f64 v[51:52], v[51:52], -v[47:48]
	v_add_f64 v[35:36], v[35:36], -v[47:48]
	v_fma_f64 v[41:42], v[45:46], v[41:42], s[82:83]
	s_delay_alu instid0(VALU_DEP_4) | instskip(NEXT) | instid1(VALU_DEP_4)
	v_add_f64 v[55:56], v[53:54], v[43:44]
	v_add_f64 v[47:48], v[49:50], -v[51:52]
	s_delay_alu instid0(VALU_DEP_3) | instskip(NEXT) | instid1(VALU_DEP_3)
	v_fma_f64 v[41:42], v[45:46], v[41:42], s[84:85]
	v_add_f64 v[49:50], v[55:56], -v[53:54]
	s_delay_alu instid0(VALU_DEP_3) | instskip(NEXT) | instid1(VALU_DEP_3)
	v_add_f64 v[35:36], v[35:36], v[47:48]
	v_mul_f64 v[41:42], v[45:46], v[41:42]
	s_delay_alu instid0(VALU_DEP_3) | instskip(NEXT) | instid1(VALU_DEP_2)
	v_add_f64 v[43:44], v[43:44], -v[49:50]
	v_fma_f64 v[39:40], v[39:40], v[41:42], v[39:40]
	s_delay_alu instid0(VALU_DEP_2) | instskip(NEXT) | instid1(VALU_DEP_2)
	v_add_f64 v[35:36], v[35:36], v[43:44]
	v_add_f64 v[41:42], -v[39:40], s[86:87]
	s_delay_alu instid0(VALU_DEP_2) | instskip(SKIP_1) | instid1(VALU_DEP_1)
	v_add_f64 v[35:36], v[55:56], v[35:36]
	v_and_b32_e32 v38, 0x7fffffff, v38
	v_cmp_eq_f64_e32 vcc_lo, 0x7ff00000, v[37:38]
	s_delay_alu instid0(VALU_DEP_4) | instskip(SKIP_2) | instid1(VALU_DEP_2)
	v_cndmask_b32_e64 v38, v40, v42, s4
	v_cndmask_b32_e64 v37, v39, v41, s4
	v_cmp_eq_f64_e64 s4, 0, v[7:8]
	v_add_f64 v[39:40], -v[37:38], s[14:15]
	s_and_b32 vcc_lo, s5, vcc_lo
	v_cmp_class_f64_e64 s5, v[7:8], 0x204
	v_cndmask_b32_e32 v35, v35, v3, vcc_lo
	v_dual_cndmask_b32 v36, v36, v11 :: v_dual_and_b32 v11, 0x54442d18, v13
	v_cmp_gt_i32_e32 vcc_lo, 0, v6
	s_delay_alu instid0(VALU_DEP_2)
	v_add_f64 v[35:36], v[35:36], 1.0
	v_cndmask_b32_e32 v3, 0x54442d18, v59, vcc_lo
	v_cndmask_b32_e32 v18, v37, v39, vcc_lo
	v_dual_cndmask_b32 v13, v38, v40 :: v_dual_and_b32 v6, 0x400921fb, v13
	v_cndmask_b32_e32 v5, 0x3fe921fb, v60, vcc_lo
	v_cmp_ngt_f64_e32 vcc_lo, 0, v[14:15]
	s_delay_alu instid0(VALU_DEP_4) | instskip(NEXT) | instid1(VALU_DEP_4)
	v_cndmask_b32_e64 v11, v18, v11, s4
	v_cndmask_b32_e64 v6, v13, v6, s4
	v_cmp_nge_f64_e64 s4, 0, v[14:15]
	v_bfi_b32 v5, 0x7fffffff, v5, v8
	v_cndmask_b32_e64 v13, v35, 0, s8
	v_cndmask_b32_e64 v36, v36, 0x7ff00000, s8
	s_delay_alu instid0(VALU_DEP_1)
	v_cndmask_b32_e32 v18, 0x7ff80000, v36, vcc_lo
	s_and_b32 vcc_lo, s5, s6
	v_cndmask_b32_e32 v35, v11, v3, vcc_lo
	v_cndmask_b32_e64 v13, 0, v13, s4
	v_cmp_neq_f64_e64 s4, 0, v[14:15]
	v_cndmask_b32_e32 v36, v6, v5, vcc_lo
	s_delay_alu instid0(VALU_DEP_2)
	v_cndmask_b32_e64 v14, 0xfff00000, v18, s4
.LBB192_287:                            ;   in Loop: Header=BB192_145 Depth=1
	s_or_b32 exec_lo, exec_lo, s7
	s_and_not1_saveexec_b32 s4, s89
	s_cbranch_execz .LBB192_257
.LBB192_288:                            ;   in Loop: Header=BB192_145 Depth=1
	v_cmp_ngt_f64_e64 s5, 0x20000000, |v[5:6]|
	v_cmp_ngt_f64_e64 s6, 0x20000000, |v[7:8]|
                                        ; implicit-def: $vgpr14_vgpr15
	s_delay_alu instid0(VALU_DEP_1) | instskip(NEXT) | instid1(SALU_CYCLE_1)
	s_or_b32 s5, s6, s5
	s_and_saveexec_b32 s6, s5
	s_delay_alu instid0(SALU_CYCLE_1)
	s_xor_b32 s5, exec_lo, s6
; %bb.289:                              ;   in Loop: Header=BB192_145 Depth=1
	v_mul_f64 v[5:6], v[5:6], v[5:6]
	s_delay_alu instid0(VALU_DEP_1)
	v_fma_f64 v[14:15], v[7:8], v[7:8], v[5:6]
; %bb.290:                              ;   in Loop: Header=BB192_145 Depth=1
	s_and_not1_saveexec_b32 s5, s5
; %bb.291:                              ;   in Loop: Header=BB192_145 Depth=1
	v_mul_f64 v[5:6], v[5:6], 4.0
	v_mul_f64 v[13:14], v[7:8], 4.0
	s_delay_alu instid0(VALU_DEP_2) | instskip(NEXT) | instid1(VALU_DEP_1)
	v_mul_f64 v[5:6], v[5:6], v[5:6]
	v_fma_f64 v[5:6], v[13:14], v[13:14], v[5:6]
	s_delay_alu instid0(VALU_DEP_1)
	v_ldexp_f64 v[14:15], v[5:6], -4
; %bb.292:                              ;   in Loop: Header=BB192_145 Depth=1
	s_or_b32 exec_lo, exec_lo, s5
	s_delay_alu instid0(VALU_DEP_1) | instskip(SKIP_2) | instid1(VALU_DEP_2)
	v_frexp_mant_f64_e32 v[5:6], v[14:15]
	s_mov_b32 s99, s25
	v_frexp_exp_i32_f64_e32 v3, v[14:15]
	v_cmp_gt_f64_e32 vcc_lo, s[24:25], v[5:6]
	v_cndmask_b32_e64 v18, 0x3ff00000, 2.0, vcc_lo
	s_delay_alu instid0(VALU_DEP_3) | instskip(SKIP_1) | instid1(VALU_DEP_3)
	v_subrev_co_ci_u32_e32 v3, vcc_lo, 0, v3, vcc_lo
	v_cmp_class_f64_e64 vcc_lo, v[14:15], 0x204
	v_mul_f64 v[5:6], v[5:6], v[17:18]
	s_delay_alu instid0(VALU_DEP_1) | instskip(SKIP_1) | instid1(VALU_DEP_2)
	v_add_f64 v[35:36], v[5:6], 1.0
	v_add_f64 v[41:42], v[5:6], -1.0
	v_rcp_f64_e32 v[37:38], v[35:36]
	v_add_f64 v[43:44], v[35:36], -1.0
	s_delay_alu instid0(VALU_DEP_1) | instskip(SKIP_2) | instid1(VALU_DEP_1)
	v_add_f64 v[5:6], v[5:6], -v[43:44]
	s_waitcnt_depctr 0xfff
	v_fma_f64 v[39:40], -v[35:36], v[37:38], 1.0
	v_fma_f64 v[37:38], v[39:40], v[37:38], v[37:38]
	s_delay_alu instid0(VALU_DEP_1) | instskip(NEXT) | instid1(VALU_DEP_1)
	v_fma_f64 v[39:40], -v[35:36], v[37:38], 1.0
	v_fma_f64 v[37:38], v[39:40], v[37:38], v[37:38]
	s_delay_alu instid0(VALU_DEP_1) | instskip(NEXT) | instid1(VALU_DEP_1)
	v_mul_f64 v[39:40], v[41:42], v[37:38]
	v_mul_f64 v[45:46], v[35:36], v[39:40]
	s_delay_alu instid0(VALU_DEP_1) | instskip(NEXT) | instid1(VALU_DEP_1)
	v_fma_f64 v[35:36], v[39:40], v[35:36], -v[45:46]
	v_fma_f64 v[5:6], v[39:40], v[5:6], v[35:36]
	s_delay_alu instid0(VALU_DEP_1) | instskip(NEXT) | instid1(VALU_DEP_1)
	v_add_f64 v[35:36], v[45:46], v[5:6]
	v_add_f64 v[43:44], v[41:42], -v[35:36]
	v_add_f64 v[45:46], v[35:36], -v[45:46]
	s_delay_alu instid0(VALU_DEP_2) | instskip(NEXT) | instid1(VALU_DEP_2)
	v_add_f64 v[41:42], v[41:42], -v[43:44]
	v_add_f64 v[5:6], v[45:46], -v[5:6]
	s_delay_alu instid0(VALU_DEP_2) | instskip(NEXT) | instid1(VALU_DEP_1)
	v_add_f64 v[35:36], v[41:42], -v[35:36]
	v_add_f64 v[5:6], v[5:6], v[35:36]
	s_delay_alu instid0(VALU_DEP_1) | instskip(NEXT) | instid1(VALU_DEP_1)
	v_add_f64 v[5:6], v[43:44], v[5:6]
	v_mul_f64 v[5:6], v[37:38], v[5:6]
	s_delay_alu instid0(VALU_DEP_1) | instskip(NEXT) | instid1(VALU_DEP_1)
	v_add_f64 v[35:36], v[39:40], v[5:6]
	v_mul_f64 v[37:38], v[35:36], v[35:36]
	s_delay_alu instid0(VALU_DEP_1) | instskip(SKIP_1) | instid1(VALU_DEP_2)
	v_fma_f64 v[41:42], v[37:38], s[28:29], s[26:27]
	v_mul_f64 v[43:44], v[35:36], v[37:38]
	v_fma_f64 v[41:42], v[37:38], v[41:42], s[34:35]
	s_delay_alu instid0(VALU_DEP_1) | instskip(NEXT) | instid1(VALU_DEP_1)
	v_fma_f64 v[41:42], v[37:38], v[41:42], s[36:37]
	v_fma_f64 v[41:42], v[37:38], v[41:42], s[38:39]
	s_delay_alu instid0(VALU_DEP_1) | instskip(NEXT) | instid1(VALU_DEP_1)
	v_fma_f64 v[41:42], v[37:38], v[41:42], s[40:41]
	v_fma_f64 v[37:38], v[37:38], v[41:42], s[98:99]
	v_ldexp_f64 v[41:42], v[35:36], 1
	v_add_f64 v[35:36], v[35:36], -v[39:40]
	s_delay_alu instid0(VALU_DEP_3) | instskip(SKIP_1) | instid1(VALU_DEP_3)
	v_mul_f64 v[37:38], v[43:44], v[37:38]
	v_cvt_f64_i32_e32 v[43:44], v3
	v_add_f64 v[5:6], v[5:6], -v[35:36]
	s_delay_alu instid0(VALU_DEP_3) | instskip(NEXT) | instid1(VALU_DEP_3)
	v_add_f64 v[39:40], v[41:42], v[37:38]
	v_mul_f64 v[45:46], v[43:44], s[42:43]
	s_delay_alu instid0(VALU_DEP_3) | instskip(NEXT) | instid1(VALU_DEP_3)
	v_ldexp_f64 v[5:6], v[5:6], 1
	v_add_f64 v[35:36], v[39:40], -v[41:42]
	s_delay_alu instid0(VALU_DEP_3) | instskip(NEXT) | instid1(VALU_DEP_2)
	v_fma_f64 v[41:42], v[43:44], s[42:43], -v[45:46]
	v_add_f64 v[35:36], v[37:38], -v[35:36]
	s_delay_alu instid0(VALU_DEP_2) | instskip(NEXT) | instid1(VALU_DEP_2)
	v_fma_f64 v[37:38], v[43:44], s[44:45], v[41:42]
	v_add_f64 v[5:6], v[5:6], v[35:36]
	s_delay_alu instid0(VALU_DEP_2) | instskip(NEXT) | instid1(VALU_DEP_2)
	v_add_f64 v[35:36], v[45:46], v[37:38]
	v_add_f64 v[41:42], v[39:40], v[5:6]
	s_delay_alu instid0(VALU_DEP_2) | instskip(NEXT) | instid1(VALU_DEP_2)
	v_add_f64 v[45:46], v[35:36], -v[45:46]
	v_add_f64 v[43:44], v[35:36], v[41:42]
	v_add_f64 v[39:40], v[41:42], -v[39:40]
	s_delay_alu instid0(VALU_DEP_3) | instskip(NEXT) | instid1(VALU_DEP_3)
	v_add_f64 v[37:38], v[37:38], -v[45:46]
	v_add_f64 v[47:48], v[43:44], -v[35:36]
	s_delay_alu instid0(VALU_DEP_3) | instskip(NEXT) | instid1(VALU_DEP_2)
	v_add_f64 v[5:6], v[5:6], -v[39:40]
	v_add_f64 v[49:50], v[43:44], -v[47:48]
	;; [unrolled: 1-line block ×3, first 2 shown]
	s_delay_alu instid0(VALU_DEP_3) | instskip(NEXT) | instid1(VALU_DEP_3)
	v_add_f64 v[41:42], v[37:38], v[5:6]
	v_add_f64 v[35:36], v[35:36], -v[49:50]
	s_delay_alu instid0(VALU_DEP_1) | instskip(NEXT) | instid1(VALU_DEP_3)
	v_add_f64 v[35:36], v[39:40], v[35:36]
	v_add_f64 v[39:40], v[41:42], -v[37:38]
	s_delay_alu instid0(VALU_DEP_2) | instskip(NEXT) | instid1(VALU_DEP_2)
	v_add_f64 v[35:36], v[41:42], v[35:36]
	v_add_f64 v[41:42], v[41:42], -v[39:40]
	v_add_f64 v[5:6], v[5:6], -v[39:40]
	s_delay_alu instid0(VALU_DEP_3) | instskip(NEXT) | instid1(VALU_DEP_3)
	v_add_f64 v[45:46], v[43:44], v[35:36]
	v_add_f64 v[37:38], v[37:38], -v[41:42]
	s_delay_alu instid0(VALU_DEP_2) | instskip(NEXT) | instid1(VALU_DEP_2)
	v_add_f64 v[39:40], v[45:46], -v[43:44]
	v_add_f64 v[5:6], v[5:6], v[37:38]
	s_delay_alu instid0(VALU_DEP_2) | instskip(NEXT) | instid1(VALU_DEP_1)
	v_add_f64 v[35:36], v[35:36], -v[39:40]
	v_add_f64 v[5:6], v[5:6], v[35:36]
	s_delay_alu instid0(VALU_DEP_1) | instskip(NEXT) | instid1(VALU_DEP_1)
	v_add_f64 v[5:6], v[45:46], v[5:6]
	v_cndmask_b32_e32 v3, v5, v14, vcc_lo
	s_delay_alu instid0(VALU_DEP_2) | instskip(SKIP_1) | instid1(VALU_DEP_2)
	v_cndmask_b32_e32 v5, v6, v15, vcc_lo
	v_cmp_ngt_f64_e32 vcc_lo, 0, v[14:15]
	v_cndmask_b32_e32 v5, 0x7ff80000, v5, vcc_lo
	v_cmp_nge_f64_e32 vcc_lo, 0, v[14:15]
	v_mov_b32_e32 v35, 0
	v_dual_mov_b32 v36, 0x7ff80000 :: v_dual_cndmask_b32 v13, 0, v3
	v_cmp_neq_f64_e32 vcc_lo, 0, v[14:15]
	v_cndmask_b32_e32 v14, 0xfff00000, v5, vcc_lo
	s_or_b32 exec_lo, exec_lo, s4
	s_and_saveexec_b32 s4, s0
	s_delay_alu instid0(SALU_CYCLE_1)
	s_xor_b32 s0, exec_lo, s4
	s_cbranch_execz .LBB192_258
.LBB192_293:                            ;   in Loop: Header=BB192_145 Depth=1
	v_bfi_b32 v30, 0x7fffffff, v30, v12
	s_delay_alu instid0(VALU_DEP_1) | instskip(SKIP_1) | instid1(VALU_DEP_2)
	v_fma_f64 v[5:6], v[29:30], 0, v[27:28]
	v_fma_f64 v[11:12], 0x80000000, v[27:28], v[29:30]
	v_mul_f64 v[27:28], v[5:6], s[94:95]
	s_delay_alu instid0(VALU_DEP_2) | instskip(SKIP_1) | instid1(VALU_DEP_1)
	v_mul_f64 v[29:30], v[11:12], s[94:95]
	v_lshlrev_b64 v[5:6], 4, v[19:20]
	v_add_co_u32 v5, vcc_lo, s101, v5
	s_delay_alu instid0(VALU_DEP_2)
	v_add_co_ci_u32_e32 v6, vcc_lo, s102, v6, vcc_lo
	global_store_b128 v[5:6], v[27:30], off
	s_or_b32 exec_lo, exec_lo, s0
	s_and_saveexec_b32 s0, s1
	s_cbranch_execz .LBB192_259
.LBB192_294:                            ;   in Loop: Header=BB192_145 Depth=1
	v_bfi_b32 v32, 0x7fffffff, v32, v4
	s_delay_alu instid0(VALU_DEP_1) | instskip(SKIP_2) | instid1(VALU_DEP_1)
	v_fma_f64 v[3:4], v[31:32], 0, v[9:10]
	v_fma_f64 v[5:6], 0x80000000, v[9:10], v[31:32]
	v_lshlrev_b64 v[9:10], 4, v[21:22]
	v_add_co_u32 v9, vcc_lo, s101, v9
	s_delay_alu instid0(VALU_DEP_2)
	v_add_co_ci_u32_e32 v10, vcc_lo, s102, v10, vcc_lo
	v_mul_f64 v[3:4], v[3:4], s[94:95]
	v_mul_f64 v[5:6], v[5:6], s[94:95]
	global_store_b128 v[9:10], v[3:6], off
	s_or_b32 exec_lo, exec_lo, s0
	s_and_saveexec_b32 s0, s2
	s_cbranch_execz .LBB192_260
.LBB192_295:                            ;   in Loop: Header=BB192_145 Depth=1
	v_bfi_b32 v34, 0x7fffffff, v34, v16
	s_delay_alu instid0(VALU_DEP_1) | instskip(SKIP_1) | instid1(VALU_DEP_2)
	v_fma_f64 v[3:4], v[33:34], 0, v[1:2]
	v_fma_f64 v[5:6], 0x80000000, v[1:2], v[33:34]
	v_mul_f64 v[1:2], v[3:4], s[94:95]
	s_delay_alu instid0(VALU_DEP_2) | instskip(SKIP_1) | instid1(VALU_DEP_1)
	v_mul_f64 v[3:4], v[5:6], s[94:95]
	v_lshlrev_b64 v[5:6], 4, v[23:24]
	v_add_co_u32 v5, vcc_lo, s101, v5
	s_delay_alu instid0(VALU_DEP_2)
	v_add_co_ci_u32_e32 v6, vcc_lo, s102, v6, vcc_lo
	global_store_b128 v[5:6], v[1:4], off
	s_or_b32 exec_lo, exec_lo, s0
	s_and_saveexec_b32 s0, s3
	s_cbranch_execz .LBB192_144
.LBB192_296:                            ;   in Loop: Header=BB192_145 Depth=1
	v_bfi_b32 v36, 0x7fffffff, v36, v8
	v_lshlrev_b64 v[5:6], 4, v[25:26]
	s_delay_alu instid0(VALU_DEP_2) | instskip(SKIP_1) | instid1(VALU_DEP_3)
	v_fma_f64 v[1:2], v[35:36], 0, v[13:14]
	v_fma_f64 v[3:4], 0x80000000, v[13:14], v[35:36]
	v_add_co_u32 v5, vcc_lo, s101, v5
	s_delay_alu instid0(VALU_DEP_4) | instskip(NEXT) | instid1(VALU_DEP_4)
	v_add_co_ci_u32_e32 v6, vcc_lo, s102, v6, vcc_lo
	v_mul_f64 v[1:2], v[1:2], s[94:95]
	s_delay_alu instid0(VALU_DEP_4)
	v_mul_f64 v[3:4], v[3:4], s[94:95]
	global_store_b128 v[5:6], v[1:4], off
	s_branch .LBB192_144
.LBB192_297:
	s_nop 0
	s_sendmsg sendmsg(MSG_DEALLOC_VGPRS)
	s_endpgm
	.section	.rodata,"a",@progbits
	.p2align	6, 0x0
	.amdhsa_kernel _ZN2at6native12_GLOBAL__N_125multi_tensor_apply_kernelINS1_18TensorListMetadataILi2EEENS1_14UnaryOpFunctorIN3c107complexIdEELi2ELi1ELi1EEEJNS0_4Log2IS8_EEEEEvT_T0_DpT1_
		.amdhsa_group_segment_fixed_size 0
		.amdhsa_private_segment_fixed_size 0
		.amdhsa_kernarg_size 3408
		.amdhsa_user_sgpr_count 15
		.amdhsa_user_sgpr_dispatch_ptr 0
		.amdhsa_user_sgpr_queue_ptr 0
		.amdhsa_user_sgpr_kernarg_segment_ptr 1
		.amdhsa_user_sgpr_dispatch_id 0
		.amdhsa_user_sgpr_private_segment_size 0
		.amdhsa_wavefront_size32 1
		.amdhsa_uses_dynamic_stack 0
		.amdhsa_enable_private_segment 0
		.amdhsa_system_sgpr_workgroup_id_x 1
		.amdhsa_system_sgpr_workgroup_id_y 0
		.amdhsa_system_sgpr_workgroup_id_z 0
		.amdhsa_system_sgpr_workgroup_info 0
		.amdhsa_system_vgpr_workitem_id 0
		.amdhsa_next_free_vgpr 67
		.amdhsa_next_free_sgpr 105
		.amdhsa_reserve_vcc 1
		.amdhsa_float_round_mode_32 0
		.amdhsa_float_round_mode_16_64 0
		.amdhsa_float_denorm_mode_32 3
		.amdhsa_float_denorm_mode_16_64 3
		.amdhsa_dx10_clamp 1
		.amdhsa_ieee_mode 1
		.amdhsa_fp16_overflow 0
		.amdhsa_workgroup_processor_mode 1
		.amdhsa_memory_ordered 1
		.amdhsa_forward_progress 0
		.amdhsa_shared_vgpr_count 0
		.amdhsa_exception_fp_ieee_invalid_op 0
		.amdhsa_exception_fp_denorm_src 0
		.amdhsa_exception_fp_ieee_div_zero 0
		.amdhsa_exception_fp_ieee_overflow 0
		.amdhsa_exception_fp_ieee_underflow 0
		.amdhsa_exception_fp_ieee_inexact 0
		.amdhsa_exception_int_div_zero 0
	.end_amdhsa_kernel
	.section	.text._ZN2at6native12_GLOBAL__N_125multi_tensor_apply_kernelINS1_18TensorListMetadataILi2EEENS1_14UnaryOpFunctorIN3c107complexIdEELi2ELi1ELi1EEEJNS0_4Log2IS8_EEEEEvT_T0_DpT1_,"axG",@progbits,_ZN2at6native12_GLOBAL__N_125multi_tensor_apply_kernelINS1_18TensorListMetadataILi2EEENS1_14UnaryOpFunctorIN3c107complexIdEELi2ELi1ELi1EEEJNS0_4Log2IS8_EEEEEvT_T0_DpT1_,comdat
.Lfunc_end192:
	.size	_ZN2at6native12_GLOBAL__N_125multi_tensor_apply_kernelINS1_18TensorListMetadataILi2EEENS1_14UnaryOpFunctorIN3c107complexIdEELi2ELi1ELi1EEEJNS0_4Log2IS8_EEEEEvT_T0_DpT1_, .Lfunc_end192-_ZN2at6native12_GLOBAL__N_125multi_tensor_apply_kernelINS1_18TensorListMetadataILi2EEENS1_14UnaryOpFunctorIN3c107complexIdEELi2ELi1ELi1EEEJNS0_4Log2IS8_EEEEEvT_T0_DpT1_
                                        ; -- End function
	.section	.AMDGPU.csdata,"",@progbits
; Kernel info:
; codeLenInByte = 100688
; NumSgprs: 107
; NumVgprs: 67
; ScratchSize: 0
; MemoryBound: 1
; FloatMode: 240
; IeeeMode: 1
; LDSByteSize: 0 bytes/workgroup (compile time only)
; SGPRBlocks: 13
; VGPRBlocks: 8
; NumSGPRsForWavesPerEU: 107
; NumVGPRsForWavesPerEU: 67
; Occupancy: 16
; WaveLimiterHint : 0
; COMPUTE_PGM_RSRC2:SCRATCH_EN: 0
; COMPUTE_PGM_RSRC2:USER_SGPR: 15
; COMPUTE_PGM_RSRC2:TRAP_HANDLER: 0
; COMPUTE_PGM_RSRC2:TGID_X_EN: 1
; COMPUTE_PGM_RSRC2:TGID_Y_EN: 0
; COMPUTE_PGM_RSRC2:TGID_Z_EN: 0
; COMPUTE_PGM_RSRC2:TIDIG_COMP_CNT: 0
	.section	.text._ZN2at6native12_GLOBAL__N_125multi_tensor_apply_kernelINS1_18TensorListMetadataILi2EEENS1_14UnaryOpFunctorIN3c107complexIfEELi2ELi1ELi1EEEJNS0_4Log2IS8_EEEEEvT_T0_DpT1_,"axG",@progbits,_ZN2at6native12_GLOBAL__N_125multi_tensor_apply_kernelINS1_18TensorListMetadataILi2EEENS1_14UnaryOpFunctorIN3c107complexIfEELi2ELi1ELi1EEEJNS0_4Log2IS8_EEEEEvT_T0_DpT1_,comdat
	.globl	_ZN2at6native12_GLOBAL__N_125multi_tensor_apply_kernelINS1_18TensorListMetadataILi2EEENS1_14UnaryOpFunctorIN3c107complexIfEELi2ELi1ELi1EEEJNS0_4Log2IS8_EEEEEvT_T0_DpT1_ ; -- Begin function _ZN2at6native12_GLOBAL__N_125multi_tensor_apply_kernelINS1_18TensorListMetadataILi2EEENS1_14UnaryOpFunctorIN3c107complexIfEELi2ELi1ELi1EEEJNS0_4Log2IS8_EEEEEvT_T0_DpT1_
	.p2align	8
	.type	_ZN2at6native12_GLOBAL__N_125multi_tensor_apply_kernelINS1_18TensorListMetadataILi2EEENS1_14UnaryOpFunctorIN3c107complexIfEELi2ELi1ELi1EEEJNS0_4Log2IS8_EEEEEvT_T0_DpT1_,@function
_ZN2at6native12_GLOBAL__N_125multi_tensor_apply_kernelINS1_18TensorListMetadataILi2EEENS1_14UnaryOpFunctorIN3c107complexIfEELi2ELi1ELi1EEEJNS0_4Log2IS8_EEEEEvT_T0_DpT1_: ; @_ZN2at6native12_GLOBAL__N_125multi_tensor_apply_kernelINS1_18TensorListMetadataILi2EEENS1_14UnaryOpFunctorIN3c107complexIfEELi2ELi1ELi1EEEJNS0_4Log2IS8_EEEEEvT_T0_DpT1_
; %bb.0:
	v_mov_b32_e32 v1, s15
	s_add_u32 s2, s0, s15
	s_mul_hi_u32 s3, s15, 3
	s_mul_i32 s15, s15, 3
	s_addc_u32 s4, s1, 0
	global_load_u8 v1, v1, s[0:1] offset:1536
	s_add_u32 s2, s2, s15
	s_addc_u32 s3, s4, s3
	s_mov_b32 s13, 0
	s_load_b32 s2, s[2:3], 0x740
	s_mov_b32 s17, s13
	s_waitcnt vmcnt(0)
	v_readfirstlane_b32 s5, v1
	s_delay_alu instid0(VALU_DEP_1)
	s_lshl_b32 s3, s5, 3
	s_clause 0x2
	s_load_b64 s[4:5], s[0:1], s3 offset:0x0
	s_load_b64 s[6:7], s[0:1], s3 offset:0x200
	;; [unrolled: 1-line block ×3, first 2 shown]
	s_waitcnt lgkmcnt(0)
	s_ashr_i32 s3, s2, 31
	s_delay_alu instid0(SALU_CYCLE_1) | instskip(NEXT) | instid1(SALU_CYCLE_1)
	s_lshl_b64 s[14:15], s[2:3], 19
	s_add_u32 s11, s4, s14
	s_addc_u32 s18, s5, s15
	s_add_u32 s19, s6, s14
	s_addc_u32 s20, s7, s15
	s_and_b32 s16, s11, 31
	s_and_b32 s4, s8, 3
	s_mov_b32 s5, s13
	s_and_b32 s12, s19, 31
	s_or_b64 s[4:5], s[16:17], s[4:5]
	s_lshl_b64 s[2:3], s[2:3], 16
	s_or_b64 s[4:5], s[12:13], s[4:5]
	s_sub_u32 s12, s8, s2
	s_subb_u32 s13, s9, s3
	s_cmp_eq_u64 s[4:5], 0
	s_mov_b32 s2, -1
	s_cbranch_scc0 .LBB193_141
; %bb.1:
	v_dual_mov_b32 v2, 0 :: v_dual_lshlrev_b32 v1, 2, v0
	s_mov_b32 s9, exec_lo
	s_delay_alu instid0(VALU_DEP_1)
	v_cmpx_gt_i64_e64 s[12:13], v[1:2]
	s_cbranch_execz .LBB193_140
; %bb.2:
	s_load_b32 s2, s[0:1], 0xc5c
	v_mov_b32_e32 v1, v2
	v_mov_b32_e32 v13, 0x4016cbe4
	s_mov_b32 s10, 0
	s_mov_b32 s14, 0x3e9b6dac
	;; [unrolled: 1-line block ×3, first 2 shown]
	v_dual_mov_b32 v10, v1 :: v_dual_mov_b32 v9, v0
	s_waitcnt lgkmcnt(0)
	s_and_b32 s15, s2, 0xffff
	s_branch .LBB193_5
.LBB193_3:                              ;   in Loop: Header=BB193_5 Depth=1
	s_or_b32 exec_lo, exec_lo, s3
	s_delay_alu instid0(VALU_DEP_1) | instskip(SKIP_1) | instid1(VALU_DEP_1)
	v_cmp_gt_f32_e32 vcc_lo, 0x800000, v1
	v_cndmask_b32_e64 v3, 1.0, 0x4f800000, vcc_lo
	v_mul_f32_e32 v1, v1, v3
	s_delay_alu instid0(VALU_DEP_1) | instskip(SKIP_2) | instid1(VALU_DEP_1)
	v_log_f32_e32 v1, v1
	s_waitcnt_depctr 0xfff
	v_mul_f32_e32 v3, 0x3f317217, v1
	v_fma_f32 v18, 0x3f317217, v1, -v3
	s_delay_alu instid0(VALU_DEP_1) | instskip(NEXT) | instid1(VALU_DEP_1)
	v_fmac_f32_e32 v18, 0x3377d1cf, v1
	v_add_f32_e32 v3, v3, v18
	v_cndmask_b32_e64 v18, 0, 0x41b17218, vcc_lo
	v_cmp_gt_f32_e64 vcc_lo, 0x7f800000, |v1|
	s_delay_alu instid0(VALU_DEP_3) | instskip(NEXT) | instid1(VALU_DEP_1)
	v_cndmask_b32_e32 v1, v1, v3, vcc_lo
	v_dual_sub_f32 v1, v1, v18 :: v_dual_mov_b32 v18, 0x7fc00000
.LBB193_4:                              ;   in Loop: Header=BB193_5 Depth=1
	s_or_b32 exec_lo, exec_lo, s2
	v_add_co_u32 v9, vcc_lo, v9, s15
	v_bfi_b32 v3, 0x7fffffff, v17, v2
	v_bfi_b32 v8, 0x7fffffff, v16, v8
	v_add_co_ci_u32_e32 v10, vcc_lo, 0, v10, vcc_lo
	v_bfi_b32 v18, 0x7fffffff, v18, v4
	s_delay_alu instid0(VALU_DEP_4)
	v_fma_f32 v2, 0, v3, v7
	v_fmac_f32_e32 v3, 0x80000000, v7
	v_bfi_b32 v7, 0x7fffffff, v15, v6
	v_fma_f32 v4, 0, v8, v5
	v_fmac_f32_e32 v8, 0x80000000, v5
	v_lshlrev_b64 v[5:6], 2, v[9:10]
	v_fma_f32 v19, 0, v18, v1
	v_fma_f32 v15, 0, v7, v14
	v_dual_fmac_f32 v7, 0x80000000, v14 :: v_dual_fmac_f32 v18, 0x80000000, v1
	v_mul_f32_e32 v16, 0x3fb8aa3b, v4
	v_cmp_le_i64_e32 vcc_lo, s[12:13], v[5:6]
	v_cmp_lt_u64_e64 s2, 0xffff, v[5:6]
	v_add_co_u32 v6, s3, s19, v11
	v_dual_mul_f32 v17, 0x3fb8aa3b, v8 :: v_dual_mul_f32 v14, 0x3fb8aa3b, v15
	v_mul_f32_e32 v15, 0x3fb8aa3b, v7
	s_delay_alu instid0(VALU_DEP_4)
	s_or_b32 s2, vcc_lo, s2
	v_add_co_ci_u32_e64 v7, s3, s20, v12, s3
	v_dual_mul_f32 v2, 0x3fb8aa3b, v2 :: v_dual_mul_f32 v3, 0x3fb8aa3b, v3
	v_dual_mul_f32 v4, 0x3fb8aa3b, v19 :: v_dual_mul_f32 v5, 0x3fb8aa3b, v18
	s_and_b32 s2, exec_lo, s2
	s_clause 0x1
	global_store_b128 v[6:7], v[14:17], off
	global_store_b128 v[6:7], v[2:5], off offset:16
	s_or_b32 s10, s2, s10
	s_delay_alu instid0(SALU_CYCLE_1)
	s_and_not1_b32 exec_lo, exec_lo, s10
	s_cbranch_execz .LBB193_140
.LBB193_5:                              ; =>This Loop Header: Depth=1
                                        ;     Child Loop BB193_16 Depth 2
                                        ;     Child Loop BB193_50 Depth 2
	;; [unrolled: 1-line block ×4, first 2 shown]
	s_delay_alu instid0(VALU_DEP_1) | instskip(SKIP_1) | instid1(VALU_DEP_1)
	v_lshlrev_b64 v[11:12], 5, v[9:10]
                                        ; implicit-def: $vgpr14
                                        ; implicit-def: $vgpr15
	s_mov_b32 s2, exec_lo
	v_add_co_u32 v1, vcc_lo, s11, v11
	s_delay_alu instid0(VALU_DEP_2)
	v_add_co_ci_u32_e32 v2, vcc_lo, s18, v12, vcc_lo
	s_clause 0x1
	global_load_b128 v[5:8], v[1:2], off
	global_load_b128 v[1:4], v[1:2], off offset:16
	s_waitcnt vmcnt(1)
	v_cmpx_o_f32_e32 v6, v5
	s_xor_b32 s17, exec_lo, s2
	s_cbranch_execz .LBB193_33
; %bb.6:                                ;   in Loop: Header=BB193_5 Depth=1
	v_cmp_lt_f32_e64 s2, |v5|, |v6|
                                        ; implicit-def: $vgpr14
                                        ; implicit-def: $vgpr15
	s_mov_b32 s3, exec_lo
	s_delay_alu instid0(VALU_DEP_1) | instskip(NEXT) | instid1(VALU_DEP_1)
	v_cndmask_b32_e64 v16, |v6|, |v5|, s2
	v_cmpx_nlt_f32_e32 0x77f684df, v16
	s_xor_b32 s21, exec_lo, s3
	s_cbranch_execz .LBB193_30
; %bb.7:                                ;   in Loop: Header=BB193_5 Depth=1
	v_and_b32_e32 v14, 0x7fffffff, v6
                                        ; implicit-def: $vgpr15
	s_mov_b32 s3, exec_lo
	s_delay_alu instid0(VALU_DEP_1) | instskip(NEXT) | instid1(VALU_DEP_1)
	v_cndmask_b32_e64 v17, |v5|, v14, s2
                                        ; implicit-def: $vgpr14
	v_cmpx_neq_f32_e32 1.0, v17
	s_xor_b32 s22, exec_lo, s3
	s_cbranch_execz .LBB193_23
; %bb.8:                                ;   in Loop: Header=BB193_5 Depth=1
	v_dual_max_f32 v14, v16, v16 :: v_dual_max_f32 v15, v17, v17
	s_delay_alu instid0(VALU_DEP_1) | instskip(SKIP_1) | instid1(VALU_DEP_2)
	v_min_f32_e32 v18, v15, v14
	v_max_f32_e32 v14, v15, v14
                                        ; implicit-def: $vgpr15
	v_cmp_ngt_f32_e32 vcc_lo, 0x358637bd, v18
	s_delay_alu instid0(VALU_DEP_2) | instskip(NEXT) | instid1(VALU_DEP_1)
	v_cmp_nlt_f32_e64 s3, 0x49742400, v14
                                        ; implicit-def: $vgpr14
	s_and_b32 s3, s3, vcc_lo
	s_delay_alu instid0(SALU_CYCLE_1) | instskip(NEXT) | instid1(SALU_CYCLE_1)
	s_and_saveexec_b32 s4, s3
	s_xor_b32 s23, exec_lo, s4
	s_cbranch_execz .LBB193_20
; %bb.9:                                ;   in Loop: Header=BB193_5 Depth=1
                                        ; implicit-def: $vgpr14
                                        ; implicit-def: $vgpr15
	s_mov_b32 s3, exec_lo
	v_cmpx_le_f32_e32 1.0, v17
	s_xor_b32 s4, exec_lo, s3
	s_cbranch_execz .LBB193_11
; %bb.10:                               ;   in Loop: Header=BB193_5 Depth=1
	v_add_f32_e32 v14, -1.0, v17
	v_add_f32_e32 v15, 1.0, v17
	v_cmp_class_f32_e64 s5, v5, 0x204
	s_delay_alu instid0(VALU_DEP_2) | instskip(NEXT) | instid1(VALU_DEP_1)
	v_mul_f32_e32 v17, v14, v15
	v_fmac_f32_e32 v17, v16, v16
	s_delay_alu instid0(VALU_DEP_1) | instskip(SKIP_1) | instid1(VALU_DEP_2)
	v_add_f32_e32 v16, 1.0, v17
	v_cmp_neq_f32_e64 s3, -1.0, v17
	v_cvt_f64_f32_e32 v[14:15], v16
	s_delay_alu instid0(VALU_DEP_1) | instskip(SKIP_1) | instid1(VALU_DEP_1)
	v_frexp_exp_i32_f64_e32 v14, v[14:15]
	v_frexp_mant_f32_e32 v15, v16
	v_cmp_gt_f32_e32 vcc_lo, 0x3f2aaaab, v15
	v_add_f32_e32 v15, -1.0, v16
	s_delay_alu instid0(VALU_DEP_1) | instskip(SKIP_3) | instid1(VALU_DEP_2)
	v_sub_f32_e32 v19, v15, v16
	v_sub_f32_e32 v15, v17, v15
	v_subrev_co_ci_u32_e32 v14, vcc_lo, 0, v14, vcc_lo
	v_cmp_eq_f32_e32 vcc_lo, 0x7f800000, v17
	v_sub_nc_u32_e32 v18, 0, v14
	v_cvt_f32_i32_e32 v14, v14
	s_delay_alu instid0(VALU_DEP_2) | instskip(NEXT) | instid1(VALU_DEP_1)
	v_ldexp_f32 v16, v16, v18
	v_dual_add_f32 v20, 1.0, v16 :: v_dual_add_f32 v19, 1.0, v19
	s_delay_alu instid0(VALU_DEP_1) | instskip(NEXT) | instid1(VALU_DEP_2)
	v_add_f32_e32 v15, v15, v19
	v_add_f32_e32 v19, -1.0, v20
	s_delay_alu instid0(VALU_DEP_2) | instskip(NEXT) | instid1(VALU_DEP_2)
	v_ldexp_f32 v15, v15, v18
	v_dual_add_f32 v18, -1.0, v16 :: v_dual_sub_f32 v19, v16, v19
	s_delay_alu instid0(VALU_DEP_1) | instskip(NEXT) | instid1(VALU_DEP_1)
	v_add_f32_e32 v21, 1.0, v18
	v_dual_add_f32 v19, v15, v19 :: v_dual_sub_f32 v16, v16, v21
	s_delay_alu instid0(VALU_DEP_1) | instskip(NEXT) | instid1(VALU_DEP_2)
	v_add_f32_e32 v21, v20, v19
	v_add_f32_e32 v15, v15, v16
	s_delay_alu instid0(VALU_DEP_2) | instskip(SKIP_1) | instid1(VALU_DEP_1)
	v_rcp_f32_e32 v16, v21
	v_sub_f32_e32 v20, v21, v20
	v_dual_add_f32 v22, v18, v15 :: v_dual_sub_f32 v19, v19, v20
	s_delay_alu instid0(VALU_DEP_1) | instskip(SKIP_2) | instid1(VALU_DEP_1)
	v_sub_f32_e32 v18, v22, v18
	s_waitcnt_depctr 0xfff
	v_mul_f32_e32 v23, v22, v16
	v_mul_f32_e32 v24, v21, v23
	s_delay_alu instid0(VALU_DEP_1) | instskip(NEXT) | instid1(VALU_DEP_1)
	v_fma_f32 v20, v23, v21, -v24
	v_fmac_f32_e32 v20, v23, v19
	s_delay_alu instid0(VALU_DEP_1) | instskip(NEXT) | instid1(VALU_DEP_1)
	v_add_f32_e32 v25, v24, v20
	v_sub_f32_e32 v26, v22, v25
	s_delay_alu instid0(VALU_DEP_1) | instskip(NEXT) | instid1(VALU_DEP_1)
	v_sub_f32_e32 v22, v22, v26
	v_dual_sub_f32 v22, v22, v25 :: v_dual_sub_f32 v15, v15, v18
	v_sub_f32_e32 v18, v25, v24
	s_delay_alu instid0(VALU_DEP_1) | instskip(NEXT) | instid1(VALU_DEP_1)
	v_dual_sub_f32 v18, v18, v20 :: v_dual_add_f32 v15, v15, v22
	v_add_f32_e32 v15, v18, v15
	s_delay_alu instid0(VALU_DEP_1) | instskip(NEXT) | instid1(VALU_DEP_1)
	v_add_f32_e32 v18, v26, v15
	v_mul_f32_e32 v20, v16, v18
	s_delay_alu instid0(VALU_DEP_1) | instskip(NEXT) | instid1(VALU_DEP_1)
	v_dual_sub_f32 v25, v26, v18 :: v_dual_mul_f32 v22, v21, v20
	v_fma_f32 v21, v20, v21, -v22
	s_delay_alu instid0(VALU_DEP_1) | instskip(NEXT) | instid1(VALU_DEP_1)
	v_fmac_f32_e32 v21, v20, v19
	v_add_f32_e32 v19, v22, v21
	s_delay_alu instid0(VALU_DEP_1) | instskip(SKIP_1) | instid1(VALU_DEP_2)
	v_sub_f32_e32 v24, v18, v19
	v_sub_f32_e32 v22, v19, v22
	v_dual_sub_f32 v18, v18, v24 :: v_dual_add_f32 v15, v15, v25
	s_delay_alu instid0(VALU_DEP_1) | instskip(NEXT) | instid1(VALU_DEP_1)
	v_sub_f32_e32 v18, v18, v19
	v_add_f32_e32 v15, v15, v18
	s_delay_alu instid0(VALU_DEP_4) | instskip(SKIP_1) | instid1(VALU_DEP_2)
	v_dual_add_f32 v18, v23, v20 :: v_dual_sub_f32 v19, v22, v21
	v_max_f32_e64 v21, |v6|, |v6|
	v_add_f32_e32 v15, v19, v15
	s_delay_alu instid0(VALU_DEP_3) | instskip(NEXT) | instid1(VALU_DEP_2)
	v_sub_f32_e32 v19, v18, v23
	v_dual_add_f32 v15, v24, v15 :: v_dual_mul_f32 v24, 0x3f317218, v14
	s_delay_alu instid0(VALU_DEP_2) | instskip(NEXT) | instid1(VALU_DEP_2)
	v_sub_f32_e32 v19, v20, v19
	v_mul_f32_e32 v15, v16, v15
	s_delay_alu instid0(VALU_DEP_3) | instskip(NEXT) | instid1(VALU_DEP_1)
	v_fma_f32 v25, 0x3f317218, v14, -v24
	v_fmac_f32_e32 v25, 0xb102e308, v14
	s_delay_alu instid0(VALU_DEP_3) | instskip(NEXT) | instid1(VALU_DEP_1)
	v_add_f32_e32 v15, v19, v15
	v_add_f32_e32 v16, v18, v15
	s_delay_alu instid0(VALU_DEP_1) | instskip(NEXT) | instid1(VALU_DEP_1)
	v_mul_f32_e32 v19, v16, v16
	v_fmaak_f32 v20, s14, v19, 0x3ecc95a3
	s_delay_alu instid0(VALU_DEP_1) | instskip(SKIP_2) | instid1(VALU_DEP_3)
	v_dual_mul_f32 v22, v16, v19 :: v_dual_fmaak_f32 v19, v19, v20, 0x3f2aaada
	v_max_f32_e64 v20, |v5|, |v5|
	v_ldexp_f32 v23, v16, 1
	v_dual_sub_f32 v16, v16, v18 :: v_dual_mul_f32 v19, v22, v19
	s_delay_alu instid0(VALU_DEP_3) | instskip(NEXT) | instid1(VALU_DEP_2)
	v_max_f32_e32 v22, v20, v21
	v_dual_min_f32 v20, v20, v21 :: v_dual_sub_f32 v15, v15, v16
	s_delay_alu instid0(VALU_DEP_3) | instskip(NEXT) | instid1(VALU_DEP_3)
	v_add_f32_e32 v18, v23, v19
	v_frexp_mant_f32_e32 v21, v22
	v_frexp_exp_i32_f32_e32 v22, v22
	s_delay_alu instid0(VALU_DEP_4) | instskip(NEXT) | instid1(VALU_DEP_4)
	v_ldexp_f32 v15, v15, 1
	v_sub_f32_e32 v16, v18, v23
	s_delay_alu instid0(VALU_DEP_4) | instskip(SKIP_1) | instid1(VALU_DEP_2)
	v_rcp_f32_e32 v21, v21
	v_frexp_exp_i32_f32_e32 v23, v20
	v_sub_f32_e32 v16, v19, v16
	v_frexp_mant_f32_e32 v19, v20
	s_delay_alu instid0(VALU_DEP_3) | instskip(NEXT) | instid1(VALU_DEP_3)
	v_sub_nc_u32_e32 v20, v23, v22
	v_add_f32_e32 v14, v15, v16
	s_waitcnt_depctr 0xfff
	v_mul_f32_e32 v15, v19, v21
	v_add_f32_e32 v16, v24, v25
	s_delay_alu instid0(VALU_DEP_2) | instskip(NEXT) | instid1(VALU_DEP_1)
	v_ldexp_f32 v15, v15, v20
	v_dual_sub_f32 v24, v16, v24 :: v_dual_mul_f32 v21, v15, v15
	s_delay_alu instid0(VALU_DEP_1) | instskip(SKIP_1) | instid1(VALU_DEP_1)
	v_dual_sub_f32 v24, v25, v24 :: v_dual_fmaak_f32 v23, s16, v21, 0xbc7a590c
	v_add_f32_e32 v19, v18, v14
	v_add_f32_e32 v20, v16, v19
	v_sub_f32_e32 v18, v19, v18
	s_delay_alu instid0(VALU_DEP_2) | instskip(NEXT) | instid1(VALU_DEP_2)
	v_sub_f32_e32 v22, v20, v16
	v_dual_sub_f32 v14, v14, v18 :: v_dual_fmaak_f32 v23, v21, v23, 0x3d29fb3f
	s_delay_alu instid0(VALU_DEP_2) | instskip(NEXT) | instid1(VALU_DEP_2)
	v_sub_f32_e32 v26, v20, v22
	v_dual_sub_f32 v18, v19, v22 :: v_dual_fmaak_f32 v19, v21, v23, 0xbd97d4d7
	s_delay_alu instid0(VALU_DEP_3) | instskip(NEXT) | instid1(VALU_DEP_3)
	v_add_f32_e32 v22, v24, v14
	v_sub_f32_e32 v16, v16, v26
	s_delay_alu instid0(VALU_DEP_1) | instskip(NEXT) | instid1(VALU_DEP_1)
	v_add_f32_e32 v16, v18, v16
	v_add_f32_e32 v16, v22, v16
	v_dual_fmaak_f32 v18, v21, v19, 0x3dd931b2 :: v_dual_sub_f32 v19, v22, v24
	s_delay_alu instid0(VALU_DEP_1) | instskip(NEXT) | instid1(VALU_DEP_2)
	v_dual_add_f32 v23, v20, v16 :: v_dual_fmaak_f32 v18, v21, v18, 0xbe1160e6
	v_sub_f32_e32 v22, v22, v19
	v_sub_f32_e32 v14, v14, v19
	s_delay_alu instid0(VALU_DEP_3) | instskip(NEXT) | instid1(VALU_DEP_4)
	v_sub_f32_e32 v20, v23, v20
	v_fmaak_f32 v18, v21, v18, 0x3e4cb8bf
	s_delay_alu instid0(VALU_DEP_4) | instskip(NEXT) | instid1(VALU_DEP_2)
	v_sub_f32_e32 v19, v24, v22
	v_fmaak_f32 v18, v21, v18, 0xbeaaaa62
	s_delay_alu instid0(VALU_DEP_2) | instskip(NEXT) | instid1(VALU_DEP_2)
	v_add_f32_e32 v14, v14, v19
	v_mul_f32_e32 v18, v21, v18
	s_delay_alu instid0(VALU_DEP_1) | instskip(NEXT) | instid1(VALU_DEP_1)
	v_dual_fmac_f32 v15, v15, v18 :: v_dual_sub_f32 v16, v16, v20
	v_add_f32_e32 v14, v14, v16
	s_delay_alu instid0(VALU_DEP_2) | instskip(NEXT) | instid1(VALU_DEP_2)
	v_sub_f32_e32 v16, 0x3fc90fdb, v15
	v_add_f32_e32 v14, v23, v14
	s_delay_alu instid0(VALU_DEP_2) | instskip(NEXT) | instid1(VALU_DEP_2)
	v_cndmask_b32_e64 v15, v15, v16, s2
	v_cndmask_b32_e32 v14, v14, v17, vcc_lo
	v_cmp_gt_i32_e32 vcc_lo, 0, v5
	s_delay_alu instid0(VALU_DEP_3) | instskip(SKIP_4) | instid1(VALU_DEP_2)
	v_sub_f32_e32 v18, 0x40490fdb, v15
	v_cndmask_b32_e64 v16, 0, 0x40490fdb, vcc_lo
	v_cmp_ngt_f32_e32 vcc_lo, -1.0, v17
	v_cndmask_b32_e32 v14, 0x7fc00000, v14, vcc_lo
	v_cmp_gt_f32_e32 vcc_lo, 0, v5
	v_cndmask_b32_e64 v14, 0xff800000, v14, s3
	v_cndmask_b32_e32 v15, v15, v18, vcc_lo
	v_cndmask_b32_e32 v18, 0x3f490fdb, v13, vcc_lo
	v_cmp_gt_f32_e64 vcc_lo, 0x33800000, |v17|
	v_cmp_class_f32_e64 s3, v6, 0x204
	v_cndmask_b32_e32 v14, v14, v17, vcc_lo
	v_cmp_eq_f32_e32 vcc_lo, 0, v6
                                        ; implicit-def: $vgpr17
	s_delay_alu instid0(VALU_DEP_2) | instskip(NEXT) | instid1(VALU_DEP_4)
	v_dual_mul_f32 v14, 0.5, v14 :: v_dual_cndmask_b32 v15, v15, v16
	s_and_b32 vcc_lo, s5, s3
                                        ; implicit-def: $vgpr16
	s_delay_alu instid0(VALU_DEP_1)
	v_cndmask_b32_e32 v15, v15, v18, vcc_lo
.LBB193_11:                             ;   in Loop: Header=BB193_5 Depth=1
	s_and_not1_saveexec_b32 s24, s4
	s_cbranch_execz .LBB193_19
; %bb.12:                               ;   in Loop: Header=BB193_5 Depth=1
	v_mul_f32_e32 v18, v16, v16
                                        ; implicit-def: $vgpr14
                                        ; implicit-def: $vgpr15
	s_mov_b32 s3, exec_lo
	s_delay_alu instid0(VALU_DEP_1) | instskip(NEXT) | instid1(VALU_DEP_1)
	v_fmac_f32_e32 v18, v17, v17
	v_cmpx_ge_f32_e32 0x3f333333, v18
	s_xor_b32 s4, exec_lo, s3
	s_cbranch_execz .LBB193_14
; %bb.13:                               ;   in Loop: Header=BB193_5 Depth=1
	v_max_f32_e64 v14, |v6|, |v6|
	v_max_f32_e64 v15, |v5|, |v5|
	v_cmp_gt_f32_e32 vcc_lo, 0x800000, v18
	v_cmp_gt_i32_e64 s3, 0, v5
	v_cmp_class_f32_e64 s5, v5, 0x204
	v_cmp_class_f32_e64 s6, v6, 0x204
	v_max_f32_e32 v16, v15, v14
	v_min_f32_e32 v14, v15, v14
	v_cndmask_b32_e64 v19, 0, 0x41b17218, vcc_lo
	s_delay_alu instid0(VALU_DEP_3) | instskip(SKIP_1) | instid1(VALU_DEP_2)
	v_frexp_mant_f32_e32 v17, v16
	v_frexp_exp_i32_f32_e32 v16, v16
	v_rcp_f32_e32 v15, v17
	v_frexp_exp_i32_f32_e32 v17, v14
	v_frexp_mant_f32_e32 v14, v14
	s_delay_alu instid0(VALU_DEP_2) | instskip(SKIP_4) | instid1(VALU_DEP_2)
	v_sub_nc_u32_e32 v16, v17, v16
	v_cndmask_b32_e64 v17, 1.0, 0x4f800000, vcc_lo
	s_waitcnt_depctr 0xfff
	v_mul_f32_e32 v14, v14, v15
	v_mul_f32_e32 v17, v18, v17
	v_ldexp_f32 v14, v14, v16
	s_delay_alu instid0(VALU_DEP_2) | instskip(NEXT) | instid1(VALU_DEP_1)
	v_log_f32_e32 v17, v17
	v_mul_f32_e32 v15, v14, v14
	s_delay_alu instid0(VALU_DEP_1) | instskip(SKIP_3) | instid1(VALU_DEP_1)
	v_fmaak_f32 v16, s16, v15, 0xbc7a590c
	s_waitcnt_depctr 0xfff
	v_cmp_gt_f32_e64 vcc_lo, 0x7f800000, |v17|
	v_fmaak_f32 v16, v15, v16, 0x3d29fb3f
	v_fmaak_f32 v16, v15, v16, 0xbd97d4d7
	s_delay_alu instid0(VALU_DEP_1) | instskip(NEXT) | instid1(VALU_DEP_1)
	v_fmaak_f32 v16, v15, v16, 0x3dd931b2
	v_fmaak_f32 v16, v15, v16, 0xbe1160e6
	s_delay_alu instid0(VALU_DEP_1) | instskip(NEXT) | instid1(VALU_DEP_1)
	;; [unrolled: 3-line block ×3, first 2 shown]
	v_dual_mul_f32 v15, v15, v16 :: v_dual_mul_f32 v16, 0x3f317217, v17
	v_fmac_f32_e32 v14, v14, v15
	s_delay_alu instid0(VALU_DEP_2) | instskip(NEXT) | instid1(VALU_DEP_1)
	v_fma_f32 v15, 0x3f317217, v17, -v16
	v_fmac_f32_e32 v15, 0x3377d1cf, v17
	s_delay_alu instid0(VALU_DEP_1) | instskip(SKIP_2) | instid1(VALU_DEP_3)
	v_add_f32_e32 v15, v16, v15
	v_cndmask_b32_e64 v16, 0, 0x40490fdb, s3
	v_cmp_eq_f32_e64 s3, 0, v6
	v_cndmask_b32_e32 v15, v17, v15, vcc_lo
	v_cmp_gt_f32_e32 vcc_lo, 0, v5
	s_delay_alu instid0(VALU_DEP_2) | instskip(SKIP_2) | instid1(VALU_DEP_1)
	v_sub_f32_e32 v15, v15, v19
	v_cndmask_b32_e32 v17, 0x3f490fdb, v13, vcc_lo
	v_sub_f32_e32 v18, 0x3fc90fdb, v14
	v_cndmask_b32_e64 v14, v14, v18, s2
	s_delay_alu instid0(VALU_DEP_1) | instskip(NEXT) | instid1(VALU_DEP_1)
	v_sub_f32_e32 v18, 0x40490fdb, v14
	v_cndmask_b32_e32 v14, v14, v18, vcc_lo
	s_and_b32 vcc_lo, s5, s6
	s_delay_alu instid0(VALU_DEP_1) | instskip(NEXT) | instid1(VALU_DEP_1)
	v_cndmask_b32_e64 v16, v14, v16, s3
	v_dual_mul_f32 v14, 0.5, v15 :: v_dual_cndmask_b32 v15, v16, v17
                                        ; implicit-def: $vgpr17
                                        ; implicit-def: $vgpr16
.LBB193_14:                             ;   in Loop: Header=BB193_5 Depth=1
	s_and_not1_saveexec_b32 s25, s4
	s_cbranch_execz .LBB193_18
; %bb.15:                               ;   in Loop: Header=BB193_5 Depth=1
	v_and_b32_e32 v18, 0x7fff0000, v16
	v_and_b32_e32 v15, 0x7fff0000, v17
	s_mov_b32 s26, 0
	s_delay_alu instid0(VALU_DEP_2) | instskip(SKIP_1) | instid1(VALU_DEP_3)
	v_sub_f32_e32 v19, v16, v18
	v_mul_f32_e32 v16, v18, v18
	v_mul_f32_e32 v14, v15, v15
	v_sub_f32_e32 v17, v17, v15
	s_delay_alu instid0(VALU_DEP_1) | instskip(NEXT) | instid1(VALU_DEP_1)
	v_dual_add_f32 v25, v18, v18 :: v_dual_and_b32 v20, 0xffff0000, v17
	v_dual_sub_f32 v18, v17, v20 :: v_dual_and_b32 v21, 0xffff0000, v19
	s_delay_alu instid0(VALU_DEP_1) | instskip(SKIP_2) | instid1(VALU_DEP_3)
	v_dual_add_f32 v22, v15, v15 :: v_dual_mul_f32 v15, v25, v21
	v_dual_sub_f32 v26, v19, v21 :: v_dual_mul_f32 v17, v20, v20
	v_add_f32_e32 v19, v20, v20
	v_dual_mul_f32 v24, v22, v20 :: v_dual_add_f32 v27, v21, v21
	v_dual_mul_f32 v23, v21, v21 :: v_dual_mul_f32 v20, v22, v18
	s_delay_alu instid0(VALU_DEP_4) | instskip(NEXT) | instid1(VALU_DEP_4)
	v_mul_f32_e32 v22, v25, v26
	v_mul_f32_e32 v21, v19, v18
	;; [unrolled: 1-line block ×5, first 2 shown]
.LBB193_16:                             ;   Parent Loop BB193_5 Depth=1
                                        ; =>  This Inner Loop Header: Depth=2
	v_cmp_nlt_f32_e32 vcc_lo, v14, v16
	s_delay_alu instid0(VALU_DEP_2) | instskip(SKIP_1) | instid1(VALU_DEP_2)
	v_dual_mov_b32 v27, v25 :: v_dual_cndmask_b32 v26, v14, v16
	v_cndmask_b32_e32 v14, v16, v14, vcc_lo
	v_cmp_nlt_f32_e64 s3, v26, v24
	s_delay_alu instid0(VALU_DEP_1) | instskip(SKIP_2) | instid1(VALU_DEP_2)
	v_cndmask_b32_e64 v25, v26, v24, s3
	v_cndmask_b32_e64 v16, v24, v26, s3
	s_and_b32 s27, vcc_lo, s3
	v_cmp_nlt_f32_e64 s4, v25, v15
	s_delay_alu instid0(VALU_DEP_1) | instskip(SKIP_1) | instid1(VALU_DEP_2)
	v_cndmask_b32_e64 v28, v25, v15, s4
	v_cndmask_b32_e64 v24, v15, v25, s4
	v_cmp_nlt_f32_e64 s5, v28, v17
	s_delay_alu instid0(VALU_DEP_1) | instskip(SKIP_2) | instid1(VALU_DEP_2)
	v_cndmask_b32_e64 v26, v28, v17, s5
	v_cndmask_b32_e64 v15, v17, v28, s5
	s_and_b32 s28, s4, s5
	v_cmp_nlt_f32_e64 s6, v26, v23
	s_delay_alu instid0(VALU_DEP_1) | instskip(SKIP_1) | instid1(VALU_DEP_2)
	v_cndmask_b32_e64 v29, v26, v23, s6
	v_cndmask_b32_e64 v17, v23, v26, s6
	v_cmp_nlt_f32_e64 s7, v29, v20
	s_delay_alu instid0(VALU_DEP_1) | instskip(SKIP_2) | instid1(VALU_DEP_2)
	v_cndmask_b32_e64 v30, v29, v20, s7
	s_and_b32 s5, s6, s7
	v_cndmask_b32_e64 v23, v20, v29, s7
	v_cmp_nlt_f32_e64 s8, v30, v22
	s_delay_alu instid0(VALU_DEP_1) | instskip(SKIP_2) | instid1(VALU_DEP_2)
	v_cndmask_b32_e64 v31, v30, v22, s8
	s_and_b32 s5, s5, s8
	v_cndmask_b32_e64 v20, v22, v30, s8
	v_cmp_nlt_f32_e32 vcc_lo, v31, v21
	v_cndmask_b32_e32 v32, v31, v21, vcc_lo
	s_and_b32 s6, s5, vcc_lo
	v_cndmask_b32_e32 v22, v21, v31, vcc_lo
	s_delay_alu instid0(VALU_DEP_2) | instskip(NEXT) | instid1(VALU_DEP_1)
	v_cmp_nlt_f32_e64 s3, v32, v19
	v_cndmask_b32_e64 v28, v32, v19, s3
	s_and_b32 s6, s6, s3
	v_cndmask_b32_e64 v21, v19, v32, s3
	s_delay_alu instid0(VALU_DEP_2) | instskip(NEXT) | instid1(VALU_DEP_1)
	v_cmp_nlt_f32_e64 s4, v28, v18
	v_cndmask_b32_e64 v26, v28, v18, s4
	s_and_b32 s6, s6, s4
	v_cndmask_b32_e64 v19, v18, v28, s4
	s_delay_alu instid0(VALU_DEP_2) | instskip(NEXT) | instid1(VALU_DEP_1)
	v_cmp_nlt_f32_e64 s5, v26, v27
	s_and_b32 s6, s6, s5
	v_cndmask_b32_e64 v25, v26, v27, s5
	s_and_b32 s3, s6, s28
	v_cndmask_b32_e64 v18, v27, v26, s5
	s_and_b32 s3, s3, s27
	s_delay_alu instid0(SALU_CYCLE_1) | instskip(NEXT) | instid1(SALU_CYCLE_1)
	s_and_b32 s3, exec_lo, s3
	s_or_b32 s26, s3, s26
	s_delay_alu instid0(SALU_CYCLE_1)
	s_and_not1_b32 exec_lo, exec_lo, s26
	s_cbranch_execnz .LBB193_16
; %bb.17:                               ;   in Loop: Header=BB193_5 Depth=1
	s_or_b32 exec_lo, exec_lo, s26
	v_add_f32_e32 v14, -1.0, v14
	v_cmp_class_f32_e64 s4, v5, 0x204
	s_delay_alu instid0(VALU_DEP_2) | instskip(NEXT) | instid1(VALU_DEP_1)
	v_add_f32_e32 v14, v14, v16
	v_add_f32_e32 v14, v14, v24
	s_delay_alu instid0(VALU_DEP_1) | instskip(NEXT) | instid1(VALU_DEP_1)
	v_add_f32_e32 v14, v14, v15
	v_add_f32_e32 v14, v14, v17
	s_delay_alu instid0(VALU_DEP_1) | instskip(NEXT) | instid1(VALU_DEP_1)
	;; [unrolled: 3-line block ×5, first 2 shown]
	v_add_f32_e32 v16, v25, v14
	v_add_f32_e32 v17, 1.0, v16
	s_delay_alu instid0(VALU_DEP_1) | instskip(NEXT) | instid1(VALU_DEP_1)
	v_cvt_f64_f32_e32 v[14:15], v17
	v_frexp_exp_i32_f64_e32 v14, v[14:15]
	v_frexp_mant_f32_e32 v15, v17
	s_delay_alu instid0(VALU_DEP_1) | instskip(SKIP_1) | instid1(VALU_DEP_1)
	v_cmp_gt_f32_e32 vcc_lo, 0x3f2aaaab, v15
	v_add_f32_e32 v15, -1.0, v17
	v_sub_f32_e32 v19, v15, v17
	v_sub_f32_e32 v15, v16, v15
	s_delay_alu instid0(VALU_DEP_2) | instskip(NEXT) | instid1(VALU_DEP_1)
	v_add_f32_e32 v19, 1.0, v19
	v_add_f32_e32 v15, v15, v19
	v_subrev_co_ci_u32_e32 v14, vcc_lo, 0, v14, vcc_lo
	s_delay_alu instid0(VALU_DEP_1) | instskip(SKIP_1) | instid1(VALU_DEP_2)
	v_sub_nc_u32_e32 v18, 0, v14
	v_cvt_f32_i32_e32 v14, v14
	v_ldexp_f32 v17, v17, v18
	v_ldexp_f32 v15, v15, v18
	s_delay_alu instid0(VALU_DEP_2) | instskip(NEXT) | instid1(VALU_DEP_1)
	v_add_f32_e32 v20, 1.0, v17
	v_add_f32_e32 v19, -1.0, v20
	s_delay_alu instid0(VALU_DEP_1) | instskip(NEXT) | instid1(VALU_DEP_1)
	v_sub_f32_e32 v19, v17, v19
	v_dual_add_f32 v19, v15, v19 :: v_dual_add_f32 v18, -1.0, v17
	s_delay_alu instid0(VALU_DEP_1) | instskip(NEXT) | instid1(VALU_DEP_1)
	v_add_f32_e32 v21, 1.0, v18
	v_sub_f32_e32 v17, v17, v21
	s_delay_alu instid0(VALU_DEP_1) | instskip(NEXT) | instid1(VALU_DEP_1)
	v_add_f32_e32 v15, v15, v17
	v_add_f32_e32 v22, v18, v15
	s_delay_alu instid0(VALU_DEP_1) | instskip(NEXT) | instid1(VALU_DEP_1)
	v_sub_f32_e32 v18, v22, v18
	v_sub_f32_e32 v15, v15, v18
	v_add_f32_e32 v21, v20, v19
	v_cmp_eq_f32_e32 vcc_lo, 0x7f800000, v16
	v_cmp_neq_f32_e64 s3, -1.0, v16
	s_delay_alu instid0(VALU_DEP_3) | instskip(SKIP_1) | instid1(VALU_DEP_1)
	v_rcp_f32_e32 v17, v21
	v_sub_f32_e32 v20, v21, v20
	v_sub_f32_e32 v19, v19, v20
	s_waitcnt_depctr 0xfff
	v_mul_f32_e32 v23, v22, v17
	s_delay_alu instid0(VALU_DEP_1) | instskip(NEXT) | instid1(VALU_DEP_1)
	v_mul_f32_e32 v24, v21, v23
	v_fma_f32 v20, v23, v21, -v24
	s_delay_alu instid0(VALU_DEP_1) | instskip(NEXT) | instid1(VALU_DEP_1)
	v_fmac_f32_e32 v20, v23, v19
	v_add_f32_e32 v25, v24, v20
	s_delay_alu instid0(VALU_DEP_1) | instskip(NEXT) | instid1(VALU_DEP_1)
	v_sub_f32_e32 v26, v22, v25
	v_sub_f32_e32 v22, v22, v26
	s_delay_alu instid0(VALU_DEP_1) | instskip(NEXT) | instid1(VALU_DEP_1)
	v_sub_f32_e32 v22, v22, v25
	v_dual_add_f32 v15, v15, v22 :: v_dual_sub_f32 v18, v25, v24
	s_delay_alu instid0(VALU_DEP_1) | instskip(NEXT) | instid1(VALU_DEP_1)
	v_sub_f32_e32 v18, v18, v20
	v_add_f32_e32 v15, v18, v15
	s_delay_alu instid0(VALU_DEP_1) | instskip(NEXT) | instid1(VALU_DEP_1)
	v_add_f32_e32 v18, v26, v15
	v_mul_f32_e32 v20, v17, v18
	s_delay_alu instid0(VALU_DEP_1) | instskip(NEXT) | instid1(VALU_DEP_1)
	v_mul_f32_e32 v22, v21, v20
	v_fma_f32 v21, v20, v21, -v22
	s_delay_alu instid0(VALU_DEP_1) | instskip(SKIP_1) | instid1(VALU_DEP_2)
	v_fmac_f32_e32 v21, v20, v19
	v_sub_f32_e32 v25, v26, v18
	v_add_f32_e32 v19, v22, v21
	s_delay_alu instid0(VALU_DEP_1) | instskip(NEXT) | instid1(VALU_DEP_1)
	v_dual_add_f32 v15, v15, v25 :: v_dual_sub_f32 v24, v18, v19
	v_sub_f32_e32 v18, v18, v24
	s_delay_alu instid0(VALU_DEP_1) | instskip(NEXT) | instid1(VALU_DEP_1)
	v_sub_f32_e32 v18, v18, v19
	v_add_f32_e32 v15, v15, v18
	v_add_f32_e32 v18, v23, v20
	v_sub_f32_e32 v22, v19, v22
	s_delay_alu instid0(VALU_DEP_1) | instskip(SKIP_1) | instid1(VALU_DEP_2)
	v_sub_f32_e32 v19, v22, v21
	v_max_f32_e64 v21, |v6|, |v6|
	v_add_f32_e32 v15, v19, v15
	s_delay_alu instid0(VALU_DEP_1) | instskip(NEXT) | instid1(VALU_DEP_1)
	v_dual_add_f32 v15, v24, v15 :: v_dual_mul_f32 v24, 0x3f317218, v14
	v_mul_f32_e32 v15, v17, v15
	v_sub_f32_e32 v19, v18, v23
	s_delay_alu instid0(VALU_DEP_3) | instskip(NEXT) | instid1(VALU_DEP_2)
	v_fma_f32 v25, 0x3f317218, v14, -v24
	v_sub_f32_e32 v19, v20, v19
	s_delay_alu instid0(VALU_DEP_2) | instskip(NEXT) | instid1(VALU_DEP_2)
	v_fmac_f32_e32 v25, 0xb102e308, v14
	v_add_f32_e32 v15, v19, v15
	s_delay_alu instid0(VALU_DEP_1) | instskip(NEXT) | instid1(VALU_DEP_1)
	v_add_f32_e32 v17, v18, v15
	v_mul_f32_e32 v19, v17, v17
	s_delay_alu instid0(VALU_DEP_1) | instskip(NEXT) | instid1(VALU_DEP_1)
	v_fmaak_f32 v20, s14, v19, 0x3ecc95a3
	v_dual_mul_f32 v22, v17, v19 :: v_dual_fmaak_f32 v19, v19, v20, 0x3f2aaada
	v_max_f32_e64 v20, |v5|, |v5|
	s_delay_alu instid0(VALU_DEP_1) | instskip(SKIP_3) | instid1(VALU_DEP_4)
	v_dual_mul_f32 v19, v22, v19 :: v_dual_max_f32 v22, v20, v21
	v_min_f32_e32 v20, v20, v21
	v_ldexp_f32 v23, v17, 1
	v_sub_f32_e32 v17, v17, v18
	v_frexp_mant_f32_e32 v21, v22
	v_frexp_exp_i32_f32_e32 v22, v22
	s_delay_alu instid0(VALU_DEP_4) | instskip(NEXT) | instid1(VALU_DEP_4)
	v_add_f32_e32 v18, v23, v19
	v_sub_f32_e32 v15, v15, v17
	s_delay_alu instid0(VALU_DEP_4) | instskip(NEXT) | instid1(VALU_DEP_2)
	v_rcp_f32_e32 v21, v21
	v_sub_f32_e32 v17, v18, v23
	s_delay_alu instid0(VALU_DEP_2) | instskip(SKIP_1) | instid1(VALU_DEP_3)
	v_ldexp_f32 v15, v15, 1
	v_frexp_exp_i32_f32_e32 v23, v20
	v_sub_f32_e32 v17, v19, v17
	v_frexp_mant_f32_e32 v19, v20
	s_delay_alu instid0(VALU_DEP_3) | instskip(NEXT) | instid1(VALU_DEP_3)
	v_sub_nc_u32_e32 v20, v23, v22
	v_add_f32_e32 v14, v15, v17
	v_add_f32_e32 v17, v24, v25
	s_delay_alu instid0(VALU_DEP_1) | instskip(NEXT) | instid1(VALU_DEP_1)
	v_sub_f32_e32 v24, v17, v24
	v_dual_sub_f32 v24, v25, v24 :: v_dual_mul_f32 v15, v19, v21
	s_delay_alu instid0(VALU_DEP_4) | instskip(NEXT) | instid1(VALU_DEP_2)
	v_add_f32_e32 v19, v18, v14
	v_ldexp_f32 v15, v15, v20
	s_delay_alu instid0(VALU_DEP_2) | instskip(NEXT) | instid1(VALU_DEP_1)
	v_add_f32_e32 v20, v17, v19
	v_dual_sub_f32 v22, v20, v17 :: v_dual_mul_f32 v21, v15, v15
	v_sub_f32_e32 v18, v19, v18
	s_delay_alu instid0(VALU_DEP_2) | instskip(NEXT) | instid1(VALU_DEP_2)
	v_dual_sub_f32 v26, v20, v22 :: v_dual_fmaak_f32 v23, s16, v21, 0xbc7a590c
	v_sub_f32_e32 v14, v14, v18
	s_delay_alu instid0(VALU_DEP_2) | instskip(NEXT) | instid1(VALU_DEP_2)
	v_dual_sub_f32 v18, v19, v22 :: v_dual_fmaak_f32 v23, v21, v23, 0x3d29fb3f
	v_add_f32_e32 v22, v24, v14
	s_delay_alu instid0(VALU_DEP_4) | instskip(NEXT) | instid1(VALU_DEP_3)
	v_sub_f32_e32 v17, v17, v26
	v_fmaak_f32 v19, v21, v23, 0xbd97d4d7
	s_delay_alu instid0(VALU_DEP_1) | instskip(NEXT) | instid1(VALU_DEP_4)
	v_dual_add_f32 v17, v18, v17 :: v_dual_fmaak_f32 v18, v21, v19, 0x3dd931b2
	v_sub_f32_e32 v19, v22, v24
	s_delay_alu instid0(VALU_DEP_2) | instskip(NEXT) | instid1(VALU_DEP_1)
	v_dual_add_f32 v17, v22, v17 :: v_dual_fmaak_f32 v18, v21, v18, 0xbe1160e6
	v_dual_sub_f32 v22, v22, v19 :: v_dual_add_f32 v23, v20, v17
	v_sub_f32_e32 v14, v14, v19
	s_delay_alu instid0(VALU_DEP_3) | instskip(NEXT) | instid1(VALU_DEP_3)
	v_fmaak_f32 v18, v21, v18, 0x3e4cb8bf
	v_sub_f32_e32 v19, v24, v22
	s_delay_alu instid0(VALU_DEP_2) | instskip(NEXT) | instid1(VALU_DEP_1)
	v_fmaak_f32 v18, v21, v18, 0xbeaaaa62
	v_mul_f32_e32 v18, v21, v18
	s_delay_alu instid0(VALU_DEP_1) | instskip(SKIP_1) | instid1(VALU_DEP_1)
	v_fmac_f32_e32 v15, v15, v18
	v_sub_f32_e32 v20, v23, v20
	v_dual_add_f32 v14, v14, v19 :: v_dual_sub_f32 v17, v17, v20
	s_delay_alu instid0(VALU_DEP_1) | instskip(NEXT) | instid1(VALU_DEP_1)
	v_add_f32_e32 v14, v14, v17
	v_add_f32_e32 v14, v23, v14
	s_delay_alu instid0(VALU_DEP_1) | instskip(SKIP_1) | instid1(VALU_DEP_2)
	v_dual_cndmask_b32 v14, v14, v16 :: v_dual_sub_f32 v17, 0x3fc90fdb, v15
	v_cmp_gt_i32_e32 vcc_lo, 0, v5
	v_cndmask_b32_e64 v15, v15, v17, s2
	v_cndmask_b32_e64 v17, 0, 0x40490fdb, vcc_lo
	v_cmp_ngt_f32_e32 vcc_lo, -1.0, v16
	s_delay_alu instid0(VALU_DEP_3) | instskip(SKIP_2) | instid1(VALU_DEP_2)
	v_sub_f32_e32 v18, 0x40490fdb, v15
	v_cndmask_b32_e32 v14, 0x7fc00000, v14, vcc_lo
	v_cmp_gt_f32_e32 vcc_lo, 0, v5
	v_cndmask_b32_e64 v14, 0xff800000, v14, s3
	s_delay_alu instid0(VALU_DEP_4)
	v_cndmask_b32_e32 v15, v15, v18, vcc_lo
	v_cndmask_b32_e32 v18, 0x3f490fdb, v13, vcc_lo
	v_cmp_gt_f32_e64 vcc_lo, 0x33800000, |v16|
	v_cmp_class_f32_e64 s3, v6, 0x204
	v_cndmask_b32_e32 v14, v14, v16, vcc_lo
	v_cmp_eq_f32_e32 vcc_lo, 0, v6
	v_cndmask_b32_e32 v15, v15, v17, vcc_lo
	s_delay_alu instid0(VALU_DEP_4) | instskip(NEXT) | instid1(VALU_DEP_1)
	s_and_b32 vcc_lo, s4, s3
	v_cndmask_b32_e32 v15, v15, v18, vcc_lo
	v_mul_f32_e32 v14, 0.5, v14
.LBB193_18:                             ;   in Loop: Header=BB193_5 Depth=1
	s_or_b32 exec_lo, exec_lo, s25
.LBB193_19:                             ;   in Loop: Header=BB193_5 Depth=1
	s_delay_alu instid0(SALU_CYCLE_1)
	s_or_b32 exec_lo, exec_lo, s24
.LBB193_20:                             ;   in Loop: Header=BB193_5 Depth=1
	s_and_not1_saveexec_b32 s4, s23
	s_cbranch_execz .LBB193_22
; %bb.21:                               ;   in Loop: Header=BB193_5 Depth=1
	v_max_f32_e64 v16, |v6|, |v6|
	v_max_f32_e64 v17, |v5|, |v5|
	v_cmp_gt_i32_e64 s3, 0, v5
	v_cmp_class_f32_e64 s5, v5, 0x204
	v_cmp_class_f32_e64 s6, v6, 0x204
	s_delay_alu instid0(VALU_DEP_4) | instskip(SKIP_1) | instid1(VALU_DEP_2)
	v_max_f32_e32 v18, v17, v16
	v_min_f32_e32 v16, v17, v16
	v_cvt_f64_f32_e32 v[14:15], v18
	s_delay_alu instid0(VALU_DEP_2) | instskip(SKIP_1) | instid1(VALU_DEP_3)
	v_frexp_exp_i32_f32_e32 v19, v16
	v_frexp_mant_f32_e32 v16, v16
	v_frexp_exp_i32_f64_e32 v14, v[14:15]
	v_frexp_mant_f32_e32 v15, v18
	s_delay_alu instid0(VALU_DEP_1) | instskip(SKIP_4) | instid1(VALU_DEP_2)
	v_rcp_f32_e32 v15, v15
	s_waitcnt_depctr 0xfff
	v_mul_f32_e32 v15, v16, v15
	v_frexp_exp_i32_f32_e32 v17, v18
	v_cmp_neq_f32_e32 vcc_lo, 0x7f800000, v18
	v_sub_nc_u32_e32 v17, v19, v17
	s_delay_alu instid0(VALU_DEP_1) | instskip(NEXT) | instid1(VALU_DEP_1)
	v_ldexp_f32 v15, v15, v17
	v_mul_f32_e32 v19, v15, v15
	v_sub_nc_u32_e32 v20, 0, v14
	s_delay_alu instid0(VALU_DEP_1) | instskip(SKIP_1) | instid1(VALU_DEP_2)
	v_ldexp_f32 v16, |v6|, v20
	v_ldexp_f32 v17, |v5|, v20
	v_mul_f32_e32 v16, v16, v16
	s_delay_alu instid0(VALU_DEP_1) | instskip(NEXT) | instid1(VALU_DEP_1)
	v_dual_fmac_f32 v16, v17, v17 :: v_dual_fmaak_f32 v17, s16, v19, 0xbc7a590c
	v_sqrt_f32_e32 v16, v16
	s_delay_alu instid0(VALU_DEP_1) | instskip(NEXT) | instid1(VALU_DEP_1)
	v_fmaak_f32 v17, v19, v17, 0x3d29fb3f
	v_fmaak_f32 v17, v19, v17, 0xbd97d4d7
	s_waitcnt_depctr 0xfff
	v_ldexp_f32 v14, v16, v14
	v_fmaak_f32 v16, v19, v17, 0x3dd931b2
	s_delay_alu instid0(VALU_DEP_1) | instskip(NEXT) | instid1(VALU_DEP_1)
	v_fmaak_f32 v16, v19, v16, 0xbe1160e6
	v_fmaak_f32 v16, v19, v16, 0x3e4cb8bf
	s_delay_alu instid0(VALU_DEP_1) | instskip(NEXT) | instid1(VALU_DEP_1)
	v_fmaak_f32 v16, v19, v16, 0xbeaaaa62
	v_mul_f32_e32 v16, v19, v16
	s_delay_alu instid0(VALU_DEP_1) | instskip(NEXT) | instid1(VALU_DEP_1)
	v_dual_cndmask_b32 v14, 0x7f800000, v14 :: v_dual_fmac_f32 v15, v15, v16
	v_cmp_gt_f32_e32 vcc_lo, 0x800000, v14
	v_cndmask_b32_e64 v17, 1.0, 0x4f800000, vcc_lo
	s_delay_alu instid0(VALU_DEP_1) | instskip(NEXT) | instid1(VALU_DEP_1)
	v_dual_mul_f32 v14, v14, v17 :: v_dual_sub_f32 v17, 0x3fc90fdb, v15
	v_cndmask_b32_e64 v15, v15, v17, s2
	v_cndmask_b32_e64 v17, 0, 0x40490fdb, s3
	v_cmp_gt_f32_e64 s3, 0, v5
	s_delay_alu instid0(VALU_DEP_3) | instskip(SKIP_1) | instid1(VALU_DEP_1)
	v_sub_f32_e32 v19, 0x40490fdb, v15
	v_log_f32_e32 v14, v14
	v_cndmask_b32_e64 v15, v15, v19, s3
	v_cndmask_b32_e64 v19, 0, 0x41b17218, vcc_lo
	s_waitcnt_depctr 0xfff
	v_mul_f32_e32 v16, 0x3f317217, v14
	v_cmp_gt_f32_e64 vcc_lo, 0x7f800000, |v14|
	s_delay_alu instid0(VALU_DEP_2) | instskip(NEXT) | instid1(VALU_DEP_1)
	v_fma_f32 v18, 0x3f317217, v14, -v16
	v_fmac_f32_e32 v18, 0x3377d1cf, v14
	s_delay_alu instid0(VALU_DEP_1) | instskip(SKIP_1) | instid1(VALU_DEP_2)
	v_add_f32_e32 v16, v16, v18
	v_cndmask_b32_e64 v18, 0x3f490fdb, v13, s3
	v_cndmask_b32_e32 v14, v14, v16, vcc_lo
	v_cmp_eq_f32_e32 vcc_lo, 0, v6
	v_cndmask_b32_e32 v15, v15, v17, vcc_lo
	s_and_b32 vcc_lo, s5, s6
	s_delay_alu instid0(VALU_DEP_1)
	v_dual_sub_f32 v14, v14, v19 :: v_dual_cndmask_b32 v15, v15, v18
.LBB193_22:                             ;   in Loop: Header=BB193_5 Depth=1
	s_or_b32 exec_lo, exec_lo, s4
                                        ; implicit-def: $vgpr16
.LBB193_23:                             ;   in Loop: Header=BB193_5 Depth=1
	s_and_not1_saveexec_b32 s4, s22
	s_cbranch_execz .LBB193_29
; %bb.24:                               ;   in Loop: Header=BB193_5 Depth=1
                                        ; implicit-def: $vgpr14
                                        ; implicit-def: $vgpr15
	s_mov_b32 s3, exec_lo
	v_cmpx_ngt_f32_e32 0x1fec1e4a, v16
	s_xor_b32 s5, exec_lo, s3
	s_cbranch_execz .LBB193_26
; %bb.25:                               ;   in Loop: Header=BB193_5 Depth=1
	v_mul_f32_e32 v16, v16, v16
	v_cmp_gt_f32_e64 s3, 0, v5
	v_cmp_class_f32_e64 s6, v5, 0x204
	v_cmp_class_f32_e64 s8, v6, 0x204
	s_delay_alu instid0(VALU_DEP_4) | instskip(NEXT) | instid1(VALU_DEP_1)
	v_add_f32_e32 v17, 1.0, v16
	v_cvt_f64_f32_e32 v[14:15], v17
	s_delay_alu instid0(VALU_DEP_1) | instskip(SKIP_1) | instid1(VALU_DEP_1)
	v_frexp_exp_i32_f64_e32 v14, v[14:15]
	v_frexp_mant_f32_e32 v15, v17
	v_cmp_gt_f32_e32 vcc_lo, 0x3f2aaaab, v15
	v_add_f32_e32 v15, -1.0, v17
	v_cmp_gt_f32_e64 s7, 0x33800000, |v16|
	s_delay_alu instid0(VALU_DEP_2) | instskip(SKIP_2) | instid1(VALU_DEP_2)
	v_sub_f32_e32 v19, v15, v17
	v_subrev_co_ci_u32_e32 v14, vcc_lo, 0, v14, vcc_lo
	v_cmp_gt_i32_e32 vcc_lo, 0, v5
	v_sub_nc_u32_e32 v18, 0, v14
	v_cvt_f32_i32_e32 v14, v14
	s_delay_alu instid0(VALU_DEP_2) | instskip(SKIP_1) | instid1(VALU_DEP_2)
	v_ldexp_f32 v17, v17, v18
	v_sub_f32_e32 v15, v16, v15
	v_dual_add_f32 v19, 1.0, v19 :: v_dual_add_f32 v20, 1.0, v17
	s_delay_alu instid0(VALU_DEP_1) | instskip(NEXT) | instid1(VALU_DEP_2)
	v_add_f32_e32 v15, v15, v19
	v_add_f32_e32 v19, -1.0, v20
	s_delay_alu instid0(VALU_DEP_2) | instskip(NEXT) | instid1(VALU_DEP_2)
	v_ldexp_f32 v15, v15, v18
	v_dual_add_f32 v18, -1.0, v17 :: v_dual_sub_f32 v19, v17, v19
	s_delay_alu instid0(VALU_DEP_1) | instskip(NEXT) | instid1(VALU_DEP_2)
	v_add_f32_e32 v21, 1.0, v18
	v_add_f32_e32 v19, v15, v19
	s_delay_alu instid0(VALU_DEP_2) | instskip(NEXT) | instid1(VALU_DEP_2)
	v_sub_f32_e32 v17, v17, v21
	v_add_f32_e32 v21, v20, v19
	s_delay_alu instid0(VALU_DEP_2) | instskip(NEXT) | instid1(VALU_DEP_2)
	v_add_f32_e32 v15, v15, v17
	v_rcp_f32_e32 v17, v21
	v_sub_f32_e32 v20, v20, v21
	s_delay_alu instid0(VALU_DEP_1) | instskip(NEXT) | instid1(VALU_DEP_1)
	v_dual_add_f32 v22, v18, v15 :: v_dual_add_f32 v19, v19, v20
	v_sub_f32_e32 v18, v18, v22
	s_waitcnt_depctr 0xfff
	v_mul_f32_e32 v23, v22, v17
	s_delay_alu instid0(VALU_DEP_1) | instskip(NEXT) | instid1(VALU_DEP_1)
	v_dual_add_f32 v15, v15, v18 :: v_dual_mul_f32 v24, v21, v23
	v_fma_f32 v20, v23, v21, -v24
	s_delay_alu instid0(VALU_DEP_1) | instskip(NEXT) | instid1(VALU_DEP_1)
	v_fmac_f32_e32 v20, v23, v19
	v_add_f32_e32 v25, v24, v20
	s_delay_alu instid0(VALU_DEP_1) | instskip(SKIP_1) | instid1(VALU_DEP_2)
	v_sub_f32_e32 v26, v22, v25
	v_sub_f32_e32 v18, v25, v24
	;; [unrolled: 1-line block ×3, first 2 shown]
	s_delay_alu instid0(VALU_DEP_2) | instskip(NEXT) | instid1(VALU_DEP_2)
	v_sub_f32_e32 v18, v18, v20
	v_sub_f32_e32 v22, v22, v25
	s_delay_alu instid0(VALU_DEP_1) | instskip(NEXT) | instid1(VALU_DEP_1)
	v_add_f32_e32 v15, v15, v22
	v_add_f32_e32 v15, v18, v15
	s_delay_alu instid0(VALU_DEP_1) | instskip(NEXT) | instid1(VALU_DEP_1)
	v_add_f32_e32 v18, v26, v15
	v_mul_f32_e32 v20, v17, v18
	s_delay_alu instid0(VALU_DEP_1) | instskip(NEXT) | instid1(VALU_DEP_1)
	v_dual_sub_f32 v25, v26, v18 :: v_dual_mul_f32 v22, v21, v20
	v_fma_f32 v21, v20, v21, -v22
	s_delay_alu instid0(VALU_DEP_1) | instskip(NEXT) | instid1(VALU_DEP_1)
	v_fmac_f32_e32 v21, v20, v19
	v_add_f32_e32 v19, v22, v21
	s_delay_alu instid0(VALU_DEP_1) | instskip(SKIP_1) | instid1(VALU_DEP_2)
	v_sub_f32_e32 v24, v18, v19
	v_sub_f32_e32 v22, v19, v22
	v_dual_sub_f32 v18, v18, v24 :: v_dual_add_f32 v15, v15, v25
	s_delay_alu instid0(VALU_DEP_1) | instskip(NEXT) | instid1(VALU_DEP_1)
	v_sub_f32_e32 v18, v18, v19
	v_add_f32_e32 v15, v15, v18
	s_delay_alu instid0(VALU_DEP_4) | instskip(NEXT) | instid1(VALU_DEP_1)
	v_dual_add_f32 v18, v23, v20 :: v_dual_sub_f32 v19, v22, v21
	v_add_f32_e32 v15, v19, v15
	s_delay_alu instid0(VALU_DEP_2) | instskip(NEXT) | instid1(VALU_DEP_2)
	v_sub_f32_e32 v19, v18, v23
	v_add_f32_e32 v15, v24, v15
	s_delay_alu instid0(VALU_DEP_2) | instskip(SKIP_1) | instid1(VALU_DEP_3)
	v_sub_f32_e32 v19, v20, v19
	v_max_f32_e64 v20, |v5|, |v5|
	v_mul_f32_e32 v15, v17, v15
	v_max_f32_e64 v17, |v6|, |v6|
	s_delay_alu instid0(VALU_DEP_1) | instskip(SKIP_1) | instid1(VALU_DEP_2)
	v_dual_add_f32 v15, v19, v15 :: v_dual_max_f32 v22, v20, v17
	v_min_f32_e32 v17, v20, v17
	v_add_f32_e32 v19, v18, v15
	s_delay_alu instid0(VALU_DEP_3) | instskip(SKIP_1) | instid1(VALU_DEP_3)
	v_frexp_mant_f32_e32 v24, v22
	v_frexp_exp_i32_f32_e32 v20, v22
	v_mul_f32_e32 v21, v19, v19
	v_ldexp_f32 v25, v19, 1
	s_delay_alu instid0(VALU_DEP_2) | instskip(SKIP_1) | instid1(VALU_DEP_2)
	v_dual_sub_f32 v18, v19, v18 :: v_dual_fmaak_f32 v23, s14, v21, 0x3ecc95a3
	v_mul_f32_e32 v22, v19, v21
	v_sub_f32_e32 v15, v15, v18
	s_delay_alu instid0(VALU_DEP_3)
	v_fmaak_f32 v21, v21, v23, 0x3f2aaada
	v_rcp_f32_e32 v23, v24
	v_frexp_exp_i32_f32_e32 v24, v17
	v_frexp_mant_f32_e32 v17, v17
	v_ldexp_f32 v15, v15, 1
	v_dual_mul_f32 v21, v22, v21 :: v_dual_mul_f32 v22, 0x3f317218, v14
	s_delay_alu instid0(VALU_DEP_4) | instskip(NEXT) | instid1(VALU_DEP_2)
	v_sub_nc_u32_e32 v20, v24, v20
	v_add_f32_e32 v19, v25, v21
	s_delay_alu instid0(TRANS32_DEP_1) | instid1(VALU_DEP_1)
	v_dual_mul_f32 v17, v17, v23 :: v_dual_sub_f32 v18, v19, v25
	s_delay_alu instid0(VALU_DEP_1) | instskip(SKIP_1) | instid1(VALU_DEP_3)
	v_ldexp_f32 v17, v17, v20
	v_fma_f32 v20, 0x3f317218, v14, -v22
	v_sub_f32_e32 v18, v21, v18
	s_delay_alu instid0(VALU_DEP_2) | instskip(NEXT) | instid1(VALU_DEP_2)
	v_fmac_f32_e32 v20, 0xb102e308, v14
	v_add_f32_e32 v14, v15, v18
	s_delay_alu instid0(VALU_DEP_1) | instskip(NEXT) | instid1(VALU_DEP_1)
	v_dual_add_f32 v18, v22, v20 :: v_dual_add_f32 v23, v19, v14
	v_sub_f32_e32 v22, v18, v22
	s_delay_alu instid0(VALU_DEP_2) | instskip(NEXT) | instid1(VALU_DEP_2)
	v_add_f32_e32 v24, v18, v23
	v_dual_sub_f32 v19, v23, v19 :: v_dual_sub_f32 v20, v20, v22
	s_delay_alu instid0(VALU_DEP_1) | instskip(NEXT) | instid1(VALU_DEP_1)
	v_dual_sub_f32 v25, v24, v18 :: v_dual_sub_f32 v14, v14, v19
	v_sub_f32_e32 v26, v24, v25
	s_delay_alu instid0(VALU_DEP_2) | instskip(NEXT) | instid1(VALU_DEP_2)
	v_dual_sub_f32 v19, v23, v25 :: v_dual_add_f32 v22, v20, v14
	v_sub_f32_e32 v18, v18, v26
	s_delay_alu instid0(VALU_DEP_1) | instskip(NEXT) | instid1(VALU_DEP_1)
	v_dual_add_f32 v18, v19, v18 :: v_dual_sub_f32 v19, v22, v20
	v_dual_add_f32 v18, v22, v18 :: v_dual_mul_f32 v21, v17, v17
	s_delay_alu instid0(VALU_DEP_1) | instskip(NEXT) | instid1(VALU_DEP_1)
	v_dual_sub_f32 v14, v14, v19 :: v_dual_fmaak_f32 v15, s16, v21, 0xbc7a590c
	v_fmaak_f32 v15, v21, v15, 0x3d29fb3f
	s_delay_alu instid0(VALU_DEP_1) | instskip(NEXT) | instid1(VALU_DEP_1)
	v_fmaak_f32 v15, v21, v15, 0xbd97d4d7
	v_fmaak_f32 v15, v21, v15, 0x3dd931b2
	s_delay_alu instid0(VALU_DEP_1) | instskip(NEXT) | instid1(VALU_DEP_1)
	v_fmaak_f32 v15, v21, v15, 0xbe1160e6
	;; [unrolled: 3-line block ×3, first 2 shown]
	v_mul_f32_e32 v15, v21, v15
	v_dual_sub_f32 v21, v22, v19 :: v_dual_add_f32 v22, v24, v18
	s_delay_alu instid0(VALU_DEP_2) | instskip(NEXT) | instid1(VALU_DEP_2)
	v_fmac_f32_e32 v17, v17, v15
	v_sub_f32_e32 v15, v20, v21
	s_delay_alu instid0(VALU_DEP_2) | instskip(NEXT) | instid1(VALU_DEP_2)
	v_dual_sub_f32 v19, v22, v24 :: v_dual_sub_f32 v20, 0x3fc90fdb, v17
	v_add_f32_e32 v14, v14, v15
	s_delay_alu instid0(VALU_DEP_2) | instskip(SKIP_3) | instid1(VALU_DEP_4)
	v_sub_f32_e32 v15, v18, v19
	v_cndmask_b32_e64 v18, 0, 0x40490fdb, vcc_lo
	v_cmp_eq_f32_e32 vcc_lo, 0x7f800000, v16
	v_cndmask_b32_e64 v17, v17, v20, s2
	v_add_f32_e32 v14, v14, v15
	s_or_b32 vcc_lo, vcc_lo, s7
	s_delay_alu instid0(VALU_DEP_1) | instskip(NEXT) | instid1(VALU_DEP_1)
	v_dual_sub_f32 v15, 0x40490fdb, v17 :: v_dual_add_f32 v14, v22, v14
	v_cndmask_b32_e64 v15, v17, v15, s3
	v_cndmask_b32_e64 v17, 0x3f490fdb, v13, s3
	s_delay_alu instid0(VALU_DEP_3) | instskip(SKIP_1) | instid1(VALU_DEP_2)
	v_cndmask_b32_e32 v14, v14, v16, vcc_lo
	v_cmp_eq_f32_e32 vcc_lo, 0, v6
                                        ; implicit-def: $vgpr16
	v_mul_f32_e32 v14, 0.5, v14
	v_cndmask_b32_e32 v15, v15, v18, vcc_lo
	s_and_b32 vcc_lo, s6, s8
	s_delay_alu instid0(VALU_DEP_1)
	v_cndmask_b32_e32 v15, v15, v17, vcc_lo
.LBB193_26:                             ;   in Loop: Header=BB193_5 Depth=1
	s_and_not1_saveexec_b32 s5, s5
	s_cbranch_execz .LBB193_28
; %bb.27:                               ;   in Loop: Header=BB193_5 Depth=1
	v_max_f32_e64 v14, |v6|, |v6|
	v_max_f32_e64 v15, |v5|, |v5|
	v_cmp_gt_i32_e32 vcc_lo, 0, v5
	v_cmp_eq_f32_e64 s3, 0, v6
	v_cmp_class_f32_e64 s6, v5, 0x204
	v_cmp_class_f32_e64 s7, v6, 0x204
	v_max_f32_e32 v17, v15, v14
	v_min_f32_e32 v14, v15, v14
	s_delay_alu instid0(VALU_DEP_2) | instskip(NEXT) | instid1(VALU_DEP_1)
	v_frexp_mant_f32_e32 v18, v17
	v_rcp_f32_e32 v15, v18
	s_delay_alu instid0(VALU_DEP_2) | instskip(SKIP_4) | instid1(VALU_DEP_1)
	v_frexp_exp_i32_f32_e32 v18, v14
	v_frexp_mant_f32_e32 v14, v14
	s_waitcnt_depctr 0xfff
	v_mul_f32_e32 v14, v14, v15
	v_frexp_exp_i32_f32_e32 v17, v17
	v_sub_nc_u32_e32 v17, v18, v17
	s_delay_alu instid0(VALU_DEP_1) | instskip(NEXT) | instid1(VALU_DEP_1)
	v_ldexp_f32 v14, v14, v17
	v_mul_f32_e32 v15, v14, v14
	s_delay_alu instid0(VALU_DEP_1) | instskip(NEXT) | instid1(VALU_DEP_1)
	v_fmaak_f32 v17, s16, v15, 0xbc7a590c
	v_fmaak_f32 v17, v15, v17, 0x3d29fb3f
	s_delay_alu instid0(VALU_DEP_1) | instskip(NEXT) | instid1(VALU_DEP_1)
	v_fmaak_f32 v17, v15, v17, 0xbd97d4d7
	v_fmaak_f32 v17, v15, v17, 0x3dd931b2
	;; [unrolled: 3-line block ×3, first 2 shown]
	s_delay_alu instid0(VALU_DEP_1) | instskip(NEXT) | instid1(VALU_DEP_1)
	v_fmaak_f32 v17, v15, v17, 0xbeaaaa62
	v_mul_f32_e32 v15, v15, v17
	v_cndmask_b32_e64 v17, 0, 0x40490fdb, vcc_lo
	v_cmp_gt_f32_e32 vcc_lo, 0, v5
	s_delay_alu instid0(VALU_DEP_3) | instskip(SKIP_1) | instid1(VALU_DEP_2)
	v_fmac_f32_e32 v14, v14, v15
	v_cndmask_b32_e32 v18, 0x3f490fdb, v13, vcc_lo
	v_sub_f32_e32 v15, 0x3fc90fdb, v14
	s_delay_alu instid0(VALU_DEP_1) | instskip(NEXT) | instid1(VALU_DEP_1)
	v_cndmask_b32_e64 v14, v14, v15, s2
	v_sub_f32_e32 v15, 0x40490fdb, v14
	s_delay_alu instid0(VALU_DEP_1) | instskip(SKIP_1) | instid1(VALU_DEP_1)
	v_dual_cndmask_b32 v14, v14, v15 :: v_dual_mul_f32 v15, 0.5, v16
	s_and_b32 vcc_lo, s6, s7
	v_cndmask_b32_e64 v17, v14, v17, s3
	s_delay_alu instid0(VALU_DEP_1)
	v_dual_mul_f32 v14, v16, v15 :: v_dual_cndmask_b32 v15, v17, v18
.LBB193_28:                             ;   in Loop: Header=BB193_5 Depth=1
	s_or_b32 exec_lo, exec_lo, s5
.LBB193_29:                             ;   in Loop: Header=BB193_5 Depth=1
	s_delay_alu instid0(SALU_CYCLE_1)
	s_or_b32 exec_lo, exec_lo, s4
.LBB193_30:                             ;   in Loop: Header=BB193_5 Depth=1
	s_and_not1_saveexec_b32 s4, s21
	s_cbranch_execz .LBB193_32
; %bb.31:                               ;   in Loop: Header=BB193_5 Depth=1
	v_div_scale_f32 v14, null, 0x402df854, 0x402df854, v5
	v_div_scale_f32 v15, null, 0x402df854, 0x402df854, v6
	v_div_scale_f32 v20, vcc_lo, v5, 0x402df854, v5
	s_delay_alu instid0(VALU_DEP_3) | instskip(NEXT) | instid1(VALU_DEP_2)
	v_rcp_f32_e32 v16, v14
	v_rcp_f32_e32 v17, v15
	v_cmp_class_f32_e64 s5, v6, 0x204
	s_waitcnt_depctr 0xfff
	v_fma_f32 v18, -v14, v16, 1.0
	v_fma_f32 v19, -v15, v17, 1.0
	s_delay_alu instid0(VALU_DEP_1) | instskip(SKIP_1) | instid1(VALU_DEP_2)
	v_dual_fmac_f32 v16, v18, v16 :: v_dual_fmac_f32 v17, v19, v17
	v_div_scale_f32 v18, s3, v6, 0x402df854, v6
	v_mul_f32_e32 v19, v20, v16
	s_delay_alu instid0(VALU_DEP_1) | instskip(NEXT) | instid1(VALU_DEP_1)
	v_fma_f32 v22, -v14, v19, v20
	v_fmac_f32_e32 v19, v22, v16
	s_delay_alu instid0(VALU_DEP_1) | instskip(NEXT) | instid1(VALU_DEP_1)
	v_fma_f32 v14, -v14, v19, v20
	v_div_fmas_f32 v14, v14, v16, v19
	v_max_f32_e64 v19, |v5|, |v5|
	v_mul_f32_e32 v21, v18, v17
	s_mov_b32 vcc_lo, s3
	v_cmp_class_f32_e64 s3, v5, 0x204
	v_div_fixup_f32 v16, v14, 0x402df854, v5
	s_delay_alu instid0(VALU_DEP_3) | instskip(NEXT) | instid1(VALU_DEP_1)
	v_fma_f32 v23, -v15, v21, v18
	v_fmac_f32_e32 v21, v23, v17
	s_delay_alu instid0(VALU_DEP_1) | instskip(NEXT) | instid1(VALU_DEP_1)
	v_fma_f32 v15, -v15, v21, v18
	v_div_fmas_f32 v15, v15, v17, v21
	s_delay_alu instid0(VALU_DEP_1) | instskip(NEXT) | instid1(VALU_DEP_1)
	v_div_fixup_f32 v17, v15, 0x402df854, v6
	v_max_f32_e64 v18, |v16|, |v17|
	s_delay_alu instid0(VALU_DEP_1) | instskip(SKIP_1) | instid1(VALU_DEP_2)
	v_cvt_f64_f32_e32 v[14:15], v18
	v_cmp_neq_f32_e32 vcc_lo, 0x7f800000, v18
	v_frexp_exp_i32_f64_e32 v14, v[14:15]
	v_max_f32_e64 v15, |v6|, |v6|
	s_delay_alu instid0(VALU_DEP_1) | instskip(SKIP_1) | instid1(VALU_DEP_2)
	v_max_f32_e32 v20, v19, v15
	v_min_f32_e32 v15, v19, v15
	v_frexp_mant_f32_e32 v21, v20
	v_frexp_exp_i32_f32_e32 v20, v20
	s_delay_alu instid0(VALU_DEP_3) | instskip(SKIP_1) | instid1(VALU_DEP_4)
	v_frexp_exp_i32_f32_e32 v22, v15
	v_frexp_mant_f32_e32 v15, v15
	v_rcp_f32_e32 v19, v21
	s_delay_alu instid0(VALU_DEP_2) | instskip(SKIP_1) | instid1(VALU_DEP_1)
	v_sub_nc_u32_e32 v20, v22, v20
	v_sub_nc_u32_e32 v21, 0, v14
	v_ldexp_f32 v17, |v17|, v21
	v_ldexp_f32 v16, |v16|, v21
	s_delay_alu instid0(VALU_DEP_2) | instskip(NEXT) | instid1(VALU_DEP_1)
	v_mul_f32_e32 v17, v17, v17
	v_fmac_f32_e32 v17, v16, v16
	s_delay_alu instid0(VALU_DEP_1) | instskip(SKIP_2) | instid1(VALU_DEP_1)
	v_sqrt_f32_e32 v17, v17
	s_waitcnt_depctr 0xfff
	v_ldexp_f32 v14, v17, v14
	v_cndmask_b32_e32 v14, 0x7f800000, v14, vcc_lo
	s_delay_alu instid0(VALU_DEP_1) | instskip(SKIP_1) | instid1(VALU_DEP_1)
	v_cmp_gt_f32_e32 vcc_lo, 0x800000, v14
	v_cndmask_b32_e64 v18, 1.0, 0x4f800000, vcc_lo
	v_mul_f32_e32 v14, v14, v18
	s_delay_alu instid0(VALU_DEP_1) | instskip(SKIP_1) | instid1(VALU_DEP_1)
	v_log_f32_e32 v14, v14
	v_mul_f32_e32 v15, v15, v19
	v_ldexp_f32 v15, v15, v20
	s_delay_alu instid0(VALU_DEP_1) | instskip(NEXT) | instid1(VALU_DEP_1)
	v_mul_f32_e32 v16, v15, v15
	v_fmaak_f32 v19, s16, v16, 0xbc7a590c
	s_delay_alu instid0(VALU_DEP_1) | instskip(NEXT) | instid1(VALU_DEP_1)
	v_fmaak_f32 v19, v16, v19, 0x3d29fb3f
	v_fmaak_f32 v17, v16, v19, 0xbd97d4d7
	v_cndmask_b32_e64 v19, 0, 0x41b17218, vcc_lo
	s_delay_alu instid0(TRANS32_DEP_1) | instskip(NEXT) | instid1(VALU_DEP_3)
	v_cmp_gt_f32_e64 vcc_lo, 0x7f800000, |v14|
	v_fmaak_f32 v17, v16, v17, 0x3dd931b2
	s_delay_alu instid0(VALU_DEP_1) | instskip(NEXT) | instid1(VALU_DEP_1)
	v_fmaak_f32 v17, v16, v17, 0xbe1160e6
	v_fmaak_f32 v17, v16, v17, 0x3e4cb8bf
	s_delay_alu instid0(VALU_DEP_1) | instskip(NEXT) | instid1(VALU_DEP_1)
	v_fmaak_f32 v17, v16, v17, 0xbeaaaa62
	v_dual_mul_f32 v16, v16, v17 :: v_dual_mul_f32 v17, 0x3f317217, v14
	s_delay_alu instid0(VALU_DEP_1) | instskip(NEXT) | instid1(VALU_DEP_2)
	v_fmac_f32_e32 v15, v15, v16
	v_fma_f32 v16, 0x3f317217, v14, -v17
	s_delay_alu instid0(VALU_DEP_2) | instskip(NEXT) | instid1(VALU_DEP_2)
	v_sub_f32_e32 v18, 0x3fc90fdb, v15
	v_fmac_f32_e32 v16, 0x3377d1cf, v14
	s_delay_alu instid0(VALU_DEP_2) | instskip(SKIP_1) | instid1(VALU_DEP_2)
	v_cndmask_b32_e64 v15, v15, v18, s2
	v_cmp_gt_i32_e64 s2, 0, v5
	v_dual_add_f32 v16, v17, v16 :: v_dual_sub_f32 v17, 0x40490fdb, v15
	s_delay_alu instid0(VALU_DEP_2) | instskip(NEXT) | instid1(VALU_DEP_2)
	v_cndmask_b32_e64 v18, 0, 0x40490fdb, s2
	v_cndmask_b32_e32 v14, v14, v16, vcc_lo
	v_cmp_gt_f32_e64 s2, 0, v5
	v_cmp_eq_f32_e32 vcc_lo, 0, v6
	s_delay_alu instid0(VALU_DEP_3) | instskip(NEXT) | instid1(VALU_DEP_3)
	v_sub_f32_e32 v14, v14, v19
	v_cndmask_b32_e64 v15, v15, v17, s2
	v_cndmask_b32_e64 v16, 0x3f490fdb, v13, s2
	s_delay_alu instid0(VALU_DEP_3) | instskip(NEXT) | instid1(VALU_DEP_3)
	v_add_f32_e32 v14, 1.0, v14
	v_cndmask_b32_e32 v15, v15, v18, vcc_lo
	s_and_b32 vcc_lo, s3, s5
	s_delay_alu instid0(VALU_DEP_1)
	v_cndmask_b32_e32 v15, v15, v16, vcc_lo
.LBB193_32:                             ;   in Loop: Header=BB193_5 Depth=1
	s_or_b32 exec_lo, exec_lo, s4
.LBB193_33:                             ;   in Loop: Header=BB193_5 Depth=1
	s_and_not1_saveexec_b32 s2, s17
	s_cbranch_execz .LBB193_39
; %bb.34:                               ;   in Loop: Header=BB193_5 Depth=1
	v_cmp_ngt_f32_e64 s3, 0x20000000, |v5|
	v_cmp_ngt_f32_e64 s4, 0x20000000, |v6|
                                        ; implicit-def: $vgpr14
	s_delay_alu instid0(VALU_DEP_1) | instskip(NEXT) | instid1(SALU_CYCLE_1)
	s_or_b32 s3, s3, s4
	s_and_saveexec_b32 s4, s3
	s_delay_alu instid0(SALU_CYCLE_1)
	s_xor_b32 s3, exec_lo, s4
; %bb.35:                               ;   in Loop: Header=BB193_5 Depth=1
	v_mul_f32_e32 v14, v6, v6
	s_delay_alu instid0(VALU_DEP_1)
	v_fmac_f32_e32 v14, v5, v5
; %bb.36:                               ;   in Loop: Header=BB193_5 Depth=1
	s_and_not1_saveexec_b32 s3, s3
; %bb.37:                               ;   in Loop: Header=BB193_5 Depth=1
	v_dual_mul_f32 v14, 4.0, v6 :: v_dual_mul_f32 v5, 4.0, v5
	s_delay_alu instid0(VALU_DEP_1) | instskip(NEXT) | instid1(VALU_DEP_1)
	v_mul_f32_e32 v14, v14, v14
	v_fmac_f32_e32 v14, v5, v5
	s_delay_alu instid0(VALU_DEP_1)
	v_mul_f32_e32 v14, 0x3d800000, v14
; %bb.38:                               ;   in Loop: Header=BB193_5 Depth=1
	s_or_b32 exec_lo, exec_lo, s3
	s_delay_alu instid0(VALU_DEP_1) | instskip(SKIP_1) | instid1(VALU_DEP_1)
	v_cmp_gt_f32_e32 vcc_lo, 0x800000, v14
	v_cndmask_b32_e64 v5, 1.0, 0x4f800000, vcc_lo
	v_mul_f32_e32 v5, v14, v5
	s_delay_alu instid0(VALU_DEP_1) | instskip(SKIP_2) | instid1(VALU_DEP_1)
	v_log_f32_e32 v5, v5
	s_waitcnt_depctr 0xfff
	v_mul_f32_e32 v14, 0x3f317217, v5
	v_fma_f32 v15, 0x3f317217, v5, -v14
	s_delay_alu instid0(VALU_DEP_1) | instskip(NEXT) | instid1(VALU_DEP_1)
	v_fmac_f32_e32 v15, 0x3377d1cf, v5
	v_add_f32_e32 v14, v14, v15
	v_cndmask_b32_e64 v15, 0, 0x41b17218, vcc_lo
	v_cmp_gt_f32_e64 vcc_lo, 0x7f800000, |v5|
	s_delay_alu instid0(VALU_DEP_3) | instskip(NEXT) | instid1(VALU_DEP_1)
	v_cndmask_b32_e32 v5, v5, v14, vcc_lo
	v_dual_sub_f32 v14, v5, v15 :: v_dual_mov_b32 v15, 0x7fc00000
.LBB193_39:                             ;   in Loop: Header=BB193_5 Depth=1
	s_or_b32 exec_lo, exec_lo, s2
                                        ; implicit-def: $vgpr5
                                        ; implicit-def: $vgpr16
	s_delay_alu instid0(SALU_CYCLE_1)
	s_mov_b32 s2, exec_lo
	v_cmpx_o_f32_e32 v8, v7
	s_xor_b32 s17, exec_lo, s2
	s_cbranch_execz .LBB193_67
; %bb.40:                               ;   in Loop: Header=BB193_5 Depth=1
	v_cmp_lt_f32_e64 s2, |v7|, |v8|
                                        ; implicit-def: $vgpr5
                                        ; implicit-def: $vgpr16
	s_mov_b32 s3, exec_lo
	s_delay_alu instid0(VALU_DEP_1) | instskip(NEXT) | instid1(VALU_DEP_1)
	v_cndmask_b32_e64 v17, |v8|, |v7|, s2
	v_cmpx_nlt_f32_e32 0x77f684df, v17
	s_xor_b32 s21, exec_lo, s3
	s_cbranch_execz .LBB193_64
; %bb.41:                               ;   in Loop: Header=BB193_5 Depth=1
	v_and_b32_e32 v5, 0x7fffffff, v8
                                        ; implicit-def: $vgpr16
	s_mov_b32 s3, exec_lo
	s_delay_alu instid0(VALU_DEP_1) | instskip(NEXT) | instid1(VALU_DEP_1)
	v_cndmask_b32_e64 v18, |v7|, v5, s2
                                        ; implicit-def: $vgpr5
	v_cmpx_neq_f32_e32 1.0, v18
	s_xor_b32 s22, exec_lo, s3
	s_cbranch_execz .LBB193_57
; %bb.42:                               ;   in Loop: Header=BB193_5 Depth=1
	v_dual_max_f32 v5, v17, v17 :: v_dual_max_f32 v16, v18, v18
	s_delay_alu instid0(VALU_DEP_1) | instskip(SKIP_1) | instid1(VALU_DEP_2)
	v_min_f32_e32 v19, v16, v5
	v_max_f32_e32 v5, v16, v5
                                        ; implicit-def: $vgpr16
	v_cmp_ngt_f32_e32 vcc_lo, 0x358637bd, v19
	s_delay_alu instid0(VALU_DEP_2) | instskip(NEXT) | instid1(VALU_DEP_1)
	v_cmp_nlt_f32_e64 s3, 0x49742400, v5
                                        ; implicit-def: $vgpr5
	s_and_b32 s3, s3, vcc_lo
	s_delay_alu instid0(SALU_CYCLE_1) | instskip(NEXT) | instid1(SALU_CYCLE_1)
	s_and_saveexec_b32 s4, s3
	s_xor_b32 s23, exec_lo, s4
	s_cbranch_execz .LBB193_54
; %bb.43:                               ;   in Loop: Header=BB193_5 Depth=1
                                        ; implicit-def: $vgpr5
                                        ; implicit-def: $vgpr16
	s_mov_b32 s3, exec_lo
	v_cmpx_le_f32_e32 1.0, v18
	s_xor_b32 s4, exec_lo, s3
	s_cbranch_execz .LBB193_45
; %bb.44:                               ;   in Loop: Header=BB193_5 Depth=1
	v_add_f32_e32 v5, -1.0, v18
	v_add_f32_e32 v16, 1.0, v18
	v_cmp_class_f32_e64 s5, v7, 0x204
	s_delay_alu instid0(VALU_DEP_2) | instskip(NEXT) | instid1(VALU_DEP_1)
	v_mul_f32_e32 v5, v5, v16
	v_fmac_f32_e32 v5, v17, v17
	s_delay_alu instid0(VALU_DEP_1) | instskip(SKIP_1) | instid1(VALU_DEP_2)
	v_add_f32_e32 v18, 1.0, v5
	v_cmp_neq_f32_e64 s3, -1.0, v5
	v_cvt_f64_f32_e32 v[16:17], v18
	s_delay_alu instid0(VALU_DEP_1) | instskip(SKIP_1) | instid1(VALU_DEP_1)
	v_frexp_exp_i32_f64_e32 v16, v[16:17]
	v_frexp_mant_f32_e32 v17, v18
	v_cmp_gt_f32_e32 vcc_lo, 0x3f2aaaab, v17
	v_add_f32_e32 v17, -1.0, v18
	s_delay_alu instid0(VALU_DEP_1) | instskip(NEXT) | instid1(VALU_DEP_1)
	v_sub_f32_e32 v20, v17, v18
	v_dual_sub_f32 v17, v5, v17 :: v_dual_add_f32 v20, 1.0, v20
	s_delay_alu instid0(VALU_DEP_1) | instskip(SKIP_2) | instid1(VALU_DEP_2)
	v_add_f32_e32 v17, v17, v20
	v_subrev_co_ci_u32_e32 v16, vcc_lo, 0, v16, vcc_lo
	v_cmp_eq_f32_e32 vcc_lo, 0x7f800000, v5
	v_sub_nc_u32_e32 v19, 0, v16
	v_cvt_f32_i32_e32 v16, v16
	s_delay_alu instid0(VALU_DEP_2) | instskip(SKIP_1) | instid1(VALU_DEP_2)
	v_ldexp_f32 v18, v18, v19
	v_ldexp_f32 v17, v17, v19
	v_add_f32_e32 v21, 1.0, v18
	s_delay_alu instid0(VALU_DEP_1) | instskip(NEXT) | instid1(VALU_DEP_1)
	v_add_f32_e32 v20, -1.0, v21
	v_sub_f32_e32 v20, v18, v20
	s_delay_alu instid0(VALU_DEP_1) | instskip(NEXT) | instid1(VALU_DEP_1)
	v_dual_add_f32 v20, v17, v20 :: v_dual_add_f32 v19, -1.0, v18
	v_add_f32_e32 v22, 1.0, v19
	s_delay_alu instid0(VALU_DEP_1) | instskip(NEXT) | instid1(VALU_DEP_3)
	v_sub_f32_e32 v18, v18, v22
	v_add_f32_e32 v22, v21, v20
	s_delay_alu instid0(VALU_DEP_1) | instskip(NEXT) | instid1(VALU_DEP_3)
	v_sub_f32_e32 v21, v22, v21
	v_add_f32_e32 v17, v17, v18
	v_rcp_f32_e32 v18, v22
	s_delay_alu instid0(VALU_DEP_2) | instskip(NEXT) | instid1(VALU_DEP_2)
	v_sub_f32_e32 v20, v20, v21
	v_add_f32_e32 v23, v19, v17
	s_delay_alu instid0(VALU_DEP_1) | instskip(SKIP_2) | instid1(VALU_DEP_1)
	v_sub_f32_e32 v19, v23, v19
	s_waitcnt_depctr 0xfff
	v_dual_mul_f32 v24, v23, v18 :: v_dual_sub_f32 v17, v17, v19
	v_mul_f32_e32 v25, v22, v24
	s_delay_alu instid0(VALU_DEP_1) | instskip(NEXT) | instid1(VALU_DEP_1)
	v_fma_f32 v21, v24, v22, -v25
	v_fmac_f32_e32 v21, v24, v20
	s_delay_alu instid0(VALU_DEP_1) | instskip(NEXT) | instid1(VALU_DEP_1)
	v_add_f32_e32 v26, v25, v21
	v_sub_f32_e32 v27, v23, v26
	s_delay_alu instid0(VALU_DEP_1) | instskip(SKIP_1) | instid1(VALU_DEP_2)
	v_sub_f32_e32 v23, v23, v27
	v_sub_f32_e32 v19, v26, v25
	;; [unrolled: 1-line block ×3, first 2 shown]
	s_delay_alu instid0(VALU_DEP_2) | instskip(NEXT) | instid1(VALU_DEP_2)
	v_sub_f32_e32 v19, v19, v21
	v_add_f32_e32 v17, v17, v23
	s_delay_alu instid0(VALU_DEP_1) | instskip(NEXT) | instid1(VALU_DEP_1)
	v_add_f32_e32 v17, v19, v17
	v_add_f32_e32 v19, v27, v17
	s_delay_alu instid0(VALU_DEP_1) | instskip(NEXT) | instid1(VALU_DEP_1)
	v_mul_f32_e32 v21, v18, v19
	v_mul_f32_e32 v23, v22, v21
	s_delay_alu instid0(VALU_DEP_1) | instskip(NEXT) | instid1(VALU_DEP_1)
	v_fma_f32 v22, v21, v22, -v23
	v_fmac_f32_e32 v22, v21, v20
	v_sub_f32_e32 v26, v27, v19
	s_delay_alu instid0(VALU_DEP_2) | instskip(NEXT) | instid1(VALU_DEP_2)
	v_add_f32_e32 v20, v23, v22
	v_add_f32_e32 v17, v17, v26
	s_delay_alu instid0(VALU_DEP_2) | instskip(SKIP_1) | instid1(VALU_DEP_2)
	v_sub_f32_e32 v25, v19, v20
	v_sub_f32_e32 v23, v20, v23
	;; [unrolled: 1-line block ×3, first 2 shown]
	s_delay_alu instid0(VALU_DEP_1) | instskip(NEXT) | instid1(VALU_DEP_3)
	v_sub_f32_e32 v19, v19, v20
	v_sub_f32_e32 v20, v23, v22
	v_max_f32_e64 v22, |v8|, |v8|
	s_delay_alu instid0(VALU_DEP_3) | instskip(SKIP_1) | instid1(VALU_DEP_1)
	v_add_f32_e32 v17, v17, v19
	v_add_f32_e32 v19, v24, v21
	v_dual_add_f32 v17, v20, v17 :: v_dual_sub_f32 v20, v19, v24
	s_delay_alu instid0(VALU_DEP_1) | instskip(NEXT) | instid1(VALU_DEP_2)
	v_add_f32_e32 v17, v25, v17
	v_sub_f32_e32 v20, v21, v20
	v_mul_f32_e32 v25, 0x3f317218, v16
	s_delay_alu instid0(VALU_DEP_3) | instskip(NEXT) | instid1(VALU_DEP_2)
	v_mul_f32_e32 v17, v18, v17
	v_fma_f32 v26, 0x3f317218, v16, -v25
	s_delay_alu instid0(VALU_DEP_1) | instskip(NEXT) | instid1(VALU_DEP_1)
	v_dual_add_f32 v17, v20, v17 :: v_dual_fmac_f32 v26, 0xb102e308, v16
	v_add_f32_e32 v18, v19, v17
	s_delay_alu instid0(VALU_DEP_1) | instskip(SKIP_1) | instid1(VALU_DEP_2)
	v_mul_f32_e32 v20, v18, v18
	v_ldexp_f32 v24, v18, 1
	v_fmaak_f32 v21, s14, v20, 0x3ecc95a3
	v_mul_f32_e32 v23, v18, v20
	v_sub_f32_e32 v18, v18, v19
	s_delay_alu instid0(VALU_DEP_3) | instskip(SKIP_1) | instid1(VALU_DEP_2)
	v_fmaak_f32 v20, v20, v21, 0x3f2aaada
	v_max_f32_e64 v21, |v7|, |v7|
	v_dual_sub_f32 v17, v17, v18 :: v_dual_mul_f32 v20, v23, v20
	s_delay_alu instid0(VALU_DEP_2) | instskip(SKIP_1) | instid1(VALU_DEP_3)
	v_max_f32_e32 v23, v21, v22
	v_min_f32_e32 v21, v21, v22
	v_ldexp_f32 v17, v17, 1
	s_delay_alu instid0(VALU_DEP_4) | instskip(NEXT) | instid1(VALU_DEP_4)
	v_add_f32_e32 v19, v24, v20
	v_frexp_mant_f32_e32 v22, v23
	v_frexp_exp_i32_f32_e32 v23, v23
	s_delay_alu instid0(VALU_DEP_3) | instskip(NEXT) | instid1(VALU_DEP_3)
	v_sub_f32_e32 v18, v19, v24
	v_rcp_f32_e32 v22, v22
	v_frexp_exp_i32_f32_e32 v24, v21
	s_delay_alu instid0(VALU_DEP_2) | instskip(SKIP_1) | instid1(VALU_DEP_3)
	v_sub_f32_e32 v18, v20, v18
	v_frexp_mant_f32_e32 v20, v21
	v_sub_nc_u32_e32 v21, v24, v23
	s_delay_alu instid0(VALU_DEP_3) | instskip(SKIP_1) | instid1(VALU_DEP_1)
	v_add_f32_e32 v16, v17, v18
	v_add_f32_e32 v18, v25, v26
	v_sub_f32_e32 v25, v18, v25
	s_delay_alu instid0(VALU_DEP_1)
	v_sub_f32_e32 v25, v26, v25
	s_delay_alu instid0(TRANS32_DEP_1) | instid1(VALU_DEP_4)
	v_dual_mul_f32 v17, v20, v22 :: v_dual_add_f32 v20, v19, v16
	s_delay_alu instid0(VALU_DEP_1) | instskip(NEXT) | instid1(VALU_DEP_2)
	v_ldexp_f32 v17, v17, v21
	v_add_f32_e32 v21, v18, v20
	s_delay_alu instid0(VALU_DEP_2) | instskip(NEXT) | instid1(VALU_DEP_1)
	v_dual_sub_f32 v19, v20, v19 :: v_dual_mul_f32 v22, v17, v17
	v_dual_sub_f32 v23, v21, v18 :: v_dual_sub_f32 v16, v16, v19
	s_delay_alu instid0(VALU_DEP_1) | instskip(SKIP_1) | instid1(VALU_DEP_3)
	v_dual_fmaak_f32 v24, s16, v22, 0xbc7a590c :: v_dual_sub_f32 v27, v21, v23
	v_sub_f32_e32 v19, v20, v23
	v_add_f32_e32 v23, v25, v16
	s_delay_alu instid0(VALU_DEP_3) | instskip(NEXT) | instid1(VALU_DEP_4)
	v_fmaak_f32 v24, v22, v24, 0x3d29fb3f
	v_sub_f32_e32 v18, v18, v27
	s_delay_alu instid0(VALU_DEP_2) | instskip(NEXT) | instid1(VALU_DEP_1)
	v_fmaak_f32 v20, v22, v24, 0xbd97d4d7
	v_dual_add_f32 v18, v19, v18 :: v_dual_fmaak_f32 v19, v22, v20, 0x3dd931b2
	v_sub_f32_e32 v20, v23, v25
	s_delay_alu instid0(VALU_DEP_2) | instskip(NEXT) | instid1(VALU_DEP_1)
	v_dual_add_f32 v18, v23, v18 :: v_dual_fmaak_f32 v19, v22, v19, 0xbe1160e6
	v_dual_sub_f32 v23, v23, v20 :: v_dual_add_f32 v24, v21, v18
	s_delay_alu instid0(VALU_DEP_2) | instskip(NEXT) | instid1(VALU_DEP_2)
	v_dual_sub_f32 v16, v16, v20 :: v_dual_fmaak_f32 v19, v22, v19, 0x3e4cb8bf
	v_dual_sub_f32 v20, v25, v23 :: v_dual_sub_f32 v21, v24, v21
	s_delay_alu instid0(VALU_DEP_1) | instskip(NEXT) | instid1(VALU_DEP_2)
	v_dual_fmaak_f32 v19, v22, v19, 0xbeaaaa62 :: v_dual_add_f32 v16, v16, v20
	v_sub_f32_e32 v18, v18, v21
	s_delay_alu instid0(VALU_DEP_1) | instskip(NEXT) | instid1(VALU_DEP_1)
	v_dual_mul_f32 v19, v22, v19 :: v_dual_add_f32 v16, v16, v18
	v_dual_fmac_f32 v17, v17, v19 :: v_dual_add_f32 v16, v24, v16
	s_delay_alu instid0(VALU_DEP_1) | instskip(NEXT) | instid1(VALU_DEP_2)
	v_sub_f32_e32 v18, 0x3fc90fdb, v17
	v_cndmask_b32_e32 v16, v16, v5, vcc_lo
	v_cmp_gt_i32_e32 vcc_lo, 0, v7
	s_delay_alu instid0(VALU_DEP_3) | instskip(SKIP_2) | instid1(VALU_DEP_3)
	v_cndmask_b32_e64 v17, v17, v18, s2
	v_cndmask_b32_e64 v18, 0, 0x40490fdb, vcc_lo
	v_cmp_ngt_f32_e32 vcc_lo, -1.0, v5
	v_sub_f32_e32 v19, 0x40490fdb, v17
	v_cndmask_b32_e32 v16, 0x7fc00000, v16, vcc_lo
	v_cmp_gt_f32_e32 vcc_lo, 0, v7
	s_delay_alu instid0(VALU_DEP_2) | instskip(NEXT) | instid1(VALU_DEP_4)
	v_cndmask_b32_e64 v16, 0xff800000, v16, s3
	v_cndmask_b32_e32 v17, v17, v19, vcc_lo
	v_cndmask_b32_e32 v19, 0x3f490fdb, v13, vcc_lo
	v_cmp_gt_f32_e64 vcc_lo, 0x33800000, |v5|
	v_cmp_class_f32_e64 s3, v8, 0x204
	v_cndmask_b32_e32 v5, v16, v5, vcc_lo
	v_cmp_eq_f32_e32 vcc_lo, 0, v8
	s_delay_alu instid0(VALU_DEP_2) | instskip(NEXT) | instid1(VALU_DEP_4)
	v_dual_mul_f32 v5, 0.5, v5 :: v_dual_cndmask_b32 v16, v17, v18
	s_and_b32 vcc_lo, s5, s3
                                        ; implicit-def: $vgpr17
                                        ; implicit-def: $vgpr18
	s_delay_alu instid0(VALU_DEP_1)
	v_cndmask_b32_e32 v16, v16, v19, vcc_lo
.LBB193_45:                             ;   in Loop: Header=BB193_5 Depth=1
	s_and_not1_saveexec_b32 s24, s4
	s_cbranch_execz .LBB193_53
; %bb.46:                               ;   in Loop: Header=BB193_5 Depth=1
	v_mul_f32_e32 v19, v17, v17
                                        ; implicit-def: $vgpr5
                                        ; implicit-def: $vgpr16
	s_mov_b32 s3, exec_lo
	s_delay_alu instid0(VALU_DEP_1) | instskip(NEXT) | instid1(VALU_DEP_1)
	v_fmac_f32_e32 v19, v18, v18
	v_cmpx_ge_f32_e32 0x3f333333, v19
	s_xor_b32 s4, exec_lo, s3
	s_cbranch_execz .LBB193_48
; %bb.47:                               ;   in Loop: Header=BB193_5 Depth=1
	v_max_f32_e64 v5, |v8|, |v8|
	v_max_f32_e64 v16, |v7|, |v7|
	v_cmp_gt_f32_e32 vcc_lo, 0x800000, v19
	v_cmp_gt_i32_e64 s3, 0, v7
	v_cmp_class_f32_e64 s5, v7, 0x204
	v_cmp_class_f32_e64 s6, v8, 0x204
	v_max_f32_e32 v17, v16, v5
	v_min_f32_e32 v5, v16, v5
	v_cndmask_b32_e64 v20, 0, 0x41b17218, vcc_lo
	s_delay_alu instid0(VALU_DEP_3) | instskip(SKIP_1) | instid1(VALU_DEP_2)
	v_frexp_mant_f32_e32 v18, v17
	v_frexp_exp_i32_f32_e32 v17, v17
	v_rcp_f32_e32 v16, v18
	v_frexp_exp_i32_f32_e32 v18, v5
	v_frexp_mant_f32_e32 v5, v5
	s_delay_alu instid0(VALU_DEP_2) | instskip(SKIP_3) | instid1(VALU_DEP_1)
	v_sub_nc_u32_e32 v17, v18, v17
	v_cndmask_b32_e64 v18, 1.0, 0x4f800000, vcc_lo
	s_waitcnt_depctr 0xfff
	v_dual_mul_f32 v5, v5, v16 :: v_dual_mul_f32 v18, v19, v18
	v_ldexp_f32 v5, v5, v17
	s_delay_alu instid0(VALU_DEP_2) | instskip(NEXT) | instid1(VALU_DEP_1)
	v_log_f32_e32 v18, v18
	v_mul_f32_e32 v16, v5, v5
	s_delay_alu instid0(VALU_DEP_1) | instskip(SKIP_3) | instid1(VALU_DEP_1)
	v_fmaak_f32 v17, s16, v16, 0xbc7a590c
	s_waitcnt_depctr 0xfff
	v_cmp_gt_f32_e64 vcc_lo, 0x7f800000, |v18|
	v_fmaak_f32 v17, v16, v17, 0x3d29fb3f
	v_fmaak_f32 v17, v16, v17, 0xbd97d4d7
	s_delay_alu instid0(VALU_DEP_1) | instskip(NEXT) | instid1(VALU_DEP_1)
	v_fmaak_f32 v17, v16, v17, 0x3dd931b2
	v_fmaak_f32 v17, v16, v17, 0xbe1160e6
	s_delay_alu instid0(VALU_DEP_1) | instskip(NEXT) | instid1(VALU_DEP_1)
	;; [unrolled: 3-line block ×3, first 2 shown]
	v_dual_mul_f32 v16, v16, v17 :: v_dual_mul_f32 v17, 0x3f317217, v18
	v_fmac_f32_e32 v5, v5, v16
	s_delay_alu instid0(VALU_DEP_2) | instskip(NEXT) | instid1(VALU_DEP_1)
	v_fma_f32 v16, 0x3f317217, v18, -v17
	v_fmac_f32_e32 v16, 0x3377d1cf, v18
	s_delay_alu instid0(VALU_DEP_1) | instskip(SKIP_2) | instid1(VALU_DEP_3)
	v_add_f32_e32 v16, v17, v16
	v_cndmask_b32_e64 v17, 0, 0x40490fdb, s3
	v_cmp_eq_f32_e64 s3, 0, v8
	v_cndmask_b32_e32 v16, v18, v16, vcc_lo
	v_cmp_gt_f32_e32 vcc_lo, 0, v7
	s_delay_alu instid0(VALU_DEP_2) | instskip(SKIP_2) | instid1(VALU_DEP_1)
	v_sub_f32_e32 v16, v16, v20
	v_cndmask_b32_e32 v18, 0x3f490fdb, v13, vcc_lo
	v_sub_f32_e32 v19, 0x3fc90fdb, v5
	v_cndmask_b32_e64 v5, v5, v19, s2
	s_delay_alu instid0(VALU_DEP_1) | instskip(NEXT) | instid1(VALU_DEP_1)
	v_sub_f32_e32 v19, 0x40490fdb, v5
	v_cndmask_b32_e32 v5, v5, v19, vcc_lo
	s_and_b32 vcc_lo, s5, s6
	s_delay_alu instid0(VALU_DEP_1) | instskip(NEXT) | instid1(VALU_DEP_1)
	v_cndmask_b32_e64 v17, v5, v17, s3
	v_dual_mul_f32 v5, 0.5, v16 :: v_dual_cndmask_b32 v16, v17, v18
                                        ; implicit-def: $vgpr18
                                        ; implicit-def: $vgpr17
.LBB193_48:                             ;   in Loop: Header=BB193_5 Depth=1
	s_and_not1_saveexec_b32 s25, s4
	s_cbranch_execz .LBB193_52
; %bb.49:                               ;   in Loop: Header=BB193_5 Depth=1
	v_and_b32_e32 v19, 0x7fff0000, v17
	v_and_b32_e32 v16, 0x7fff0000, v18
	s_mov_b32 s26, 0
	s_delay_alu instid0(VALU_DEP_2) | instskip(SKIP_1) | instid1(VALU_DEP_3)
	v_sub_f32_e32 v20, v17, v19
	v_mul_f32_e32 v17, v19, v19
	v_mul_f32_e32 v5, v16, v16
	v_sub_f32_e32 v18, v18, v16
	s_delay_alu instid0(VALU_DEP_1) | instskip(NEXT) | instid1(VALU_DEP_1)
	v_dual_add_f32 v26, v19, v19 :: v_dual_and_b32 v21, 0xffff0000, v18
	v_dual_sub_f32 v19, v18, v21 :: v_dual_and_b32 v22, 0xffff0000, v20
	s_delay_alu instid0(VALU_DEP_1) | instskip(SKIP_2) | instid1(VALU_DEP_3)
	v_dual_add_f32 v23, v16, v16 :: v_dual_mul_f32 v16, v26, v22
	v_dual_sub_f32 v27, v20, v22 :: v_dual_mul_f32 v18, v21, v21
	v_add_f32_e32 v20, v21, v21
	v_dual_mul_f32 v25, v23, v21 :: v_dual_add_f32 v28, v22, v22
	v_dual_mul_f32 v24, v22, v22 :: v_dual_mul_f32 v21, v23, v19
	s_delay_alu instid0(VALU_DEP_4) | instskip(NEXT) | instid1(VALU_DEP_4)
	v_mul_f32_e32 v23, v26, v27
	v_mul_f32_e32 v22, v20, v19
	;; [unrolled: 1-line block ×5, first 2 shown]
.LBB193_50:                             ;   Parent Loop BB193_5 Depth=1
                                        ; =>  This Inner Loop Header: Depth=2
	v_cmp_nlt_f32_e32 vcc_lo, v5, v17
	s_delay_alu instid0(VALU_DEP_2) | instskip(SKIP_1) | instid1(VALU_DEP_2)
	v_dual_mov_b32 v28, v26 :: v_dual_cndmask_b32 v27, v5, v17
	v_cndmask_b32_e32 v5, v17, v5, vcc_lo
	v_cmp_nlt_f32_e64 s3, v27, v25
	s_delay_alu instid0(VALU_DEP_1) | instskip(SKIP_2) | instid1(VALU_DEP_2)
	v_cndmask_b32_e64 v26, v27, v25, s3
	v_cndmask_b32_e64 v17, v25, v27, s3
	s_and_b32 s27, vcc_lo, s3
	v_cmp_nlt_f32_e64 s4, v26, v16
	s_delay_alu instid0(VALU_DEP_1) | instskip(SKIP_1) | instid1(VALU_DEP_2)
	v_cndmask_b32_e64 v29, v26, v16, s4
	v_cndmask_b32_e64 v25, v16, v26, s4
	v_cmp_nlt_f32_e64 s5, v29, v18
	s_delay_alu instid0(VALU_DEP_1) | instskip(SKIP_2) | instid1(VALU_DEP_2)
	v_cndmask_b32_e64 v27, v29, v18, s5
	v_cndmask_b32_e64 v16, v18, v29, s5
	s_and_b32 s28, s4, s5
	v_cmp_nlt_f32_e64 s6, v27, v24
	s_delay_alu instid0(VALU_DEP_1) | instskip(SKIP_1) | instid1(VALU_DEP_2)
	v_cndmask_b32_e64 v30, v27, v24, s6
	v_cndmask_b32_e64 v18, v24, v27, s6
	v_cmp_nlt_f32_e64 s7, v30, v21
	s_delay_alu instid0(VALU_DEP_1) | instskip(SKIP_2) | instid1(VALU_DEP_2)
	v_cndmask_b32_e64 v31, v30, v21, s7
	s_and_b32 s5, s6, s7
	v_cndmask_b32_e64 v24, v21, v30, s7
	v_cmp_nlt_f32_e64 s8, v31, v23
	s_delay_alu instid0(VALU_DEP_1) | instskip(SKIP_2) | instid1(VALU_DEP_2)
	v_cndmask_b32_e64 v32, v31, v23, s8
	s_and_b32 s5, s5, s8
	v_cndmask_b32_e64 v21, v23, v31, s8
	v_cmp_nlt_f32_e32 vcc_lo, v32, v22
	v_cndmask_b32_e32 v33, v32, v22, vcc_lo
	s_and_b32 s6, s5, vcc_lo
	v_cndmask_b32_e32 v23, v22, v32, vcc_lo
	s_delay_alu instid0(VALU_DEP_2) | instskip(NEXT) | instid1(VALU_DEP_1)
	v_cmp_nlt_f32_e64 s3, v33, v20
	v_cndmask_b32_e64 v29, v33, v20, s3
	s_and_b32 s6, s6, s3
	v_cndmask_b32_e64 v22, v20, v33, s3
	s_delay_alu instid0(VALU_DEP_2) | instskip(NEXT) | instid1(VALU_DEP_1)
	v_cmp_nlt_f32_e64 s4, v29, v19
	v_cndmask_b32_e64 v27, v29, v19, s4
	s_and_b32 s6, s6, s4
	v_cndmask_b32_e64 v20, v19, v29, s4
	s_delay_alu instid0(VALU_DEP_2) | instskip(NEXT) | instid1(VALU_DEP_1)
	v_cmp_nlt_f32_e64 s5, v27, v28
	s_and_b32 s6, s6, s5
	v_cndmask_b32_e64 v26, v27, v28, s5
	s_and_b32 s3, s6, s28
	v_cndmask_b32_e64 v19, v28, v27, s5
	s_and_b32 s3, s3, s27
	s_delay_alu instid0(SALU_CYCLE_1) | instskip(NEXT) | instid1(SALU_CYCLE_1)
	s_and_b32 s3, exec_lo, s3
	s_or_b32 s26, s3, s26
	s_delay_alu instid0(SALU_CYCLE_1)
	s_and_not1_b32 exec_lo, exec_lo, s26
	s_cbranch_execnz .LBB193_50
; %bb.51:                               ;   in Loop: Header=BB193_5 Depth=1
	s_or_b32 exec_lo, exec_lo, s26
	v_add_f32_e32 v5, -1.0, v5
	v_cmp_class_f32_e64 s4, v7, 0x204
	s_delay_alu instid0(VALU_DEP_2) | instskip(NEXT) | instid1(VALU_DEP_1)
	v_add_f32_e32 v5, v5, v17
	v_add_f32_e32 v5, v5, v25
	s_delay_alu instid0(VALU_DEP_1) | instskip(NEXT) | instid1(VALU_DEP_1)
	v_add_f32_e32 v5, v5, v16
	v_add_f32_e32 v5, v5, v18
	s_delay_alu instid0(VALU_DEP_1) | instskip(NEXT) | instid1(VALU_DEP_1)
	;; [unrolled: 3-line block ×5, first 2 shown]
	v_add_f32_e32 v5, v26, v5
	v_add_f32_e32 v18, 1.0, v5
	s_delay_alu instid0(VALU_DEP_1) | instskip(NEXT) | instid1(VALU_DEP_1)
	v_cvt_f64_f32_e32 v[16:17], v18
	v_frexp_exp_i32_f64_e32 v16, v[16:17]
	v_frexp_mant_f32_e32 v17, v18
	s_delay_alu instid0(VALU_DEP_1) | instskip(SKIP_1) | instid1(VALU_DEP_1)
	v_cmp_gt_f32_e32 vcc_lo, 0x3f2aaaab, v17
	v_add_f32_e32 v17, -1.0, v18
	v_sub_f32_e32 v20, v17, v18
	s_delay_alu instid0(VALU_DEP_1) | instskip(NEXT) | instid1(VALU_DEP_1)
	v_dual_sub_f32 v17, v5, v17 :: v_dual_add_f32 v20, 1.0, v20
	v_add_f32_e32 v17, v17, v20
	v_subrev_co_ci_u32_e32 v16, vcc_lo, 0, v16, vcc_lo
	s_delay_alu instid0(VALU_DEP_1) | instskip(SKIP_1) | instid1(VALU_DEP_2)
	v_sub_nc_u32_e32 v19, 0, v16
	v_cvt_f32_i32_e32 v16, v16
	v_ldexp_f32 v18, v18, v19
	v_ldexp_f32 v17, v17, v19
	s_delay_alu instid0(VALU_DEP_2) | instskip(NEXT) | instid1(VALU_DEP_1)
	v_add_f32_e32 v21, 1.0, v18
	v_dual_add_f32 v19, -1.0, v18 :: v_dual_add_f32 v20, -1.0, v21
	s_delay_alu instid0(VALU_DEP_1) | instskip(NEXT) | instid1(VALU_DEP_2)
	v_add_f32_e32 v22, 1.0, v19
	v_sub_f32_e32 v20, v18, v20
	s_delay_alu instid0(VALU_DEP_2) | instskip(NEXT) | instid1(VALU_DEP_2)
	v_sub_f32_e32 v18, v18, v22
	v_add_f32_e32 v20, v17, v20
	s_delay_alu instid0(VALU_DEP_2) | instskip(SKIP_2) | instid1(VALU_DEP_4)
	v_add_f32_e32 v17, v17, v18
	v_cmp_eq_f32_e32 vcc_lo, 0x7f800000, v5
	v_cmp_neq_f32_e64 s3, -1.0, v5
	v_add_f32_e32 v22, v21, v20
	s_delay_alu instid0(VALU_DEP_1) | instskip(SKIP_1) | instid1(VALU_DEP_1)
	v_rcp_f32_e32 v18, v22
	v_sub_f32_e32 v21, v22, v21
	v_sub_f32_e32 v20, v20, v21
	v_add_f32_e32 v23, v19, v17
	s_waitcnt_depctr 0xfff
	v_mul_f32_e32 v24, v23, v18
	s_delay_alu instid0(VALU_DEP_1) | instskip(NEXT) | instid1(VALU_DEP_1)
	v_mul_f32_e32 v25, v22, v24
	v_fma_f32 v21, v24, v22, -v25
	s_delay_alu instid0(VALU_DEP_1) | instskip(NEXT) | instid1(VALU_DEP_1)
	v_fmac_f32_e32 v21, v24, v20
	v_dual_add_f32 v26, v25, v21 :: v_dual_sub_f32 v19, v23, v19
	s_delay_alu instid0(VALU_DEP_1) | instskip(NEXT) | instid1(VALU_DEP_2)
	v_sub_f32_e32 v27, v23, v26
	v_sub_f32_e32 v17, v17, v19
	;; [unrolled: 1-line block ×3, first 2 shown]
	s_delay_alu instid0(VALU_DEP_3) | instskip(NEXT) | instid1(VALU_DEP_2)
	v_sub_f32_e32 v23, v23, v27
	v_sub_f32_e32 v19, v19, v21
	s_delay_alu instid0(VALU_DEP_2) | instskip(NEXT) | instid1(VALU_DEP_1)
	v_sub_f32_e32 v23, v23, v26
	v_add_f32_e32 v17, v17, v23
	s_delay_alu instid0(VALU_DEP_1) | instskip(NEXT) | instid1(VALU_DEP_1)
	v_add_f32_e32 v17, v19, v17
	v_add_f32_e32 v19, v27, v17
	s_delay_alu instid0(VALU_DEP_1) | instskip(NEXT) | instid1(VALU_DEP_1)
	v_mul_f32_e32 v21, v18, v19
	v_dual_sub_f32 v26, v27, v19 :: v_dual_mul_f32 v23, v22, v21
	s_delay_alu instid0(VALU_DEP_1) | instskip(NEXT) | instid1(VALU_DEP_2)
	v_add_f32_e32 v17, v17, v26
	v_fma_f32 v22, v21, v22, -v23
	s_delay_alu instid0(VALU_DEP_1) | instskip(NEXT) | instid1(VALU_DEP_1)
	v_fmac_f32_e32 v22, v21, v20
	v_add_f32_e32 v20, v23, v22
	s_delay_alu instid0(VALU_DEP_1) | instskip(SKIP_1) | instid1(VALU_DEP_2)
	v_sub_f32_e32 v25, v19, v20
	v_sub_f32_e32 v23, v20, v23
	;; [unrolled: 1-line block ×3, first 2 shown]
	s_delay_alu instid0(VALU_DEP_1) | instskip(NEXT) | instid1(VALU_DEP_3)
	v_sub_f32_e32 v19, v19, v20
	v_sub_f32_e32 v20, v23, v22
	v_max_f32_e64 v22, |v8|, |v8|
	s_delay_alu instid0(VALU_DEP_3) | instskip(SKIP_1) | instid1(VALU_DEP_1)
	v_add_f32_e32 v17, v17, v19
	v_add_f32_e32 v19, v24, v21
	v_dual_add_f32 v17, v20, v17 :: v_dual_sub_f32 v20, v19, v24
	s_delay_alu instid0(VALU_DEP_1) | instskip(NEXT) | instid1(VALU_DEP_2)
	v_add_f32_e32 v17, v25, v17
	v_sub_f32_e32 v20, v21, v20
	v_mul_f32_e32 v25, 0x3f317218, v16
	s_delay_alu instid0(VALU_DEP_3) | instskip(NEXT) | instid1(VALU_DEP_2)
	v_mul_f32_e32 v17, v18, v17
	v_fma_f32 v26, 0x3f317218, v16, -v25
	s_delay_alu instid0(VALU_DEP_1) | instskip(NEXT) | instid1(VALU_DEP_1)
	v_dual_add_f32 v17, v20, v17 :: v_dual_fmac_f32 v26, 0xb102e308, v16
	v_add_f32_e32 v18, v19, v17
	s_delay_alu instid0(VALU_DEP_1) | instskip(SKIP_1) | instid1(VALU_DEP_2)
	v_mul_f32_e32 v20, v18, v18
	v_ldexp_f32 v24, v18, 1
	v_fmaak_f32 v21, s14, v20, 0x3ecc95a3
	v_mul_f32_e32 v23, v18, v20
	v_sub_f32_e32 v18, v18, v19
	s_delay_alu instid0(VALU_DEP_3) | instskip(SKIP_1) | instid1(VALU_DEP_2)
	v_fmaak_f32 v20, v20, v21, 0x3f2aaada
	v_max_f32_e64 v21, |v7|, |v7|
	v_dual_sub_f32 v17, v17, v18 :: v_dual_mul_f32 v20, v23, v20
	s_delay_alu instid0(VALU_DEP_2) | instskip(SKIP_1) | instid1(VALU_DEP_3)
	v_max_f32_e32 v23, v21, v22
	v_min_f32_e32 v21, v21, v22
	v_ldexp_f32 v17, v17, 1
	s_delay_alu instid0(VALU_DEP_4) | instskip(NEXT) | instid1(VALU_DEP_4)
	v_add_f32_e32 v19, v24, v20
	v_frexp_mant_f32_e32 v22, v23
	v_frexp_exp_i32_f32_e32 v23, v23
	s_delay_alu instid0(VALU_DEP_3) | instskip(NEXT) | instid1(VALU_DEP_3)
	v_sub_f32_e32 v18, v19, v24
	v_rcp_f32_e32 v22, v22
	v_frexp_exp_i32_f32_e32 v24, v21
	s_delay_alu instid0(VALU_DEP_2) | instskip(SKIP_1) | instid1(VALU_DEP_3)
	v_sub_f32_e32 v18, v20, v18
	v_frexp_mant_f32_e32 v20, v21
	v_sub_nc_u32_e32 v21, v24, v23
	s_delay_alu instid0(VALU_DEP_3) | instskip(SKIP_4) | instid1(VALU_DEP_3)
	v_add_f32_e32 v16, v17, v18
	s_waitcnt_depctr 0xfff
	v_mul_f32_e32 v17, v20, v22
	v_add_f32_e32 v18, v25, v26
	v_add_f32_e32 v20, v19, v16
	v_ldexp_f32 v17, v17, v21
	s_delay_alu instid0(VALU_DEP_3) | instskip(NEXT) | instid1(VALU_DEP_2)
	v_sub_f32_e32 v25, v18, v25
	v_dual_add_f32 v21, v18, v20 :: v_dual_mul_f32 v22, v17, v17
	v_sub_f32_e32 v19, v20, v19
	s_delay_alu instid0(VALU_DEP_3) | instskip(NEXT) | instid1(VALU_DEP_3)
	v_sub_f32_e32 v25, v26, v25
	v_sub_f32_e32 v23, v21, v18
	s_delay_alu instid0(VALU_DEP_4) | instskip(NEXT) | instid1(VALU_DEP_4)
	v_fmaak_f32 v24, s16, v22, 0xbc7a590c
	v_sub_f32_e32 v16, v16, v19
	s_delay_alu instid0(VALU_DEP_2) | instskip(SKIP_1) | instid1(VALU_DEP_2)
	v_dual_sub_f32 v27, v21, v23 :: v_dual_fmaak_f32 v24, v22, v24, 0x3d29fb3f
	v_sub_f32_e32 v19, v20, v23
	v_dual_add_f32 v23, v25, v16 :: v_dual_sub_f32 v18, v18, v27
	s_delay_alu instid0(VALU_DEP_3) | instskip(NEXT) | instid1(VALU_DEP_1)
	v_fmaak_f32 v20, v22, v24, 0xbd97d4d7
	v_dual_add_f32 v18, v19, v18 :: v_dual_fmaak_f32 v19, v22, v20, 0x3dd931b2
	s_delay_alu instid0(VALU_DEP_3) | instskip(NEXT) | instid1(VALU_DEP_2)
	v_sub_f32_e32 v20, v23, v25
	v_dual_add_f32 v18, v23, v18 :: v_dual_fmaak_f32 v19, v22, v19, 0xbe1160e6
	s_delay_alu instid0(VALU_DEP_2) | instskip(SKIP_1) | instid1(VALU_DEP_3)
	v_sub_f32_e32 v23, v23, v20
	v_sub_f32_e32 v16, v16, v20
	v_dual_add_f32 v24, v21, v18 :: v_dual_fmaak_f32 v19, v22, v19, 0x3e4cb8bf
	s_delay_alu instid0(VALU_DEP_1) | instskip(NEXT) | instid1(VALU_DEP_1)
	v_dual_sub_f32 v20, v25, v23 :: v_dual_sub_f32 v21, v24, v21
	v_dual_fmaak_f32 v19, v22, v19, 0xbeaaaa62 :: v_dual_add_f32 v16, v16, v20
	s_delay_alu instid0(VALU_DEP_2) | instskip(NEXT) | instid1(VALU_DEP_1)
	v_sub_f32_e32 v18, v18, v21
	v_dual_mul_f32 v19, v22, v19 :: v_dual_add_f32 v16, v16, v18
	s_delay_alu instid0(VALU_DEP_1) | instskip(NEXT) | instid1(VALU_DEP_1)
	v_dual_fmac_f32 v17, v17, v19 :: v_dual_add_f32 v16, v24, v16
	v_sub_f32_e32 v18, 0x3fc90fdb, v17
	s_delay_alu instid0(VALU_DEP_2) | instskip(SKIP_1) | instid1(VALU_DEP_3)
	v_cndmask_b32_e32 v16, v16, v5, vcc_lo
	v_cmp_gt_i32_e32 vcc_lo, 0, v7
	v_cndmask_b32_e64 v17, v17, v18, s2
	v_cndmask_b32_e64 v18, 0, 0x40490fdb, vcc_lo
	v_cmp_ngt_f32_e32 vcc_lo, -1.0, v5
	s_delay_alu instid0(VALU_DEP_3) | instskip(SKIP_2) | instid1(VALU_DEP_2)
	v_sub_f32_e32 v19, 0x40490fdb, v17
	v_cndmask_b32_e32 v16, 0x7fc00000, v16, vcc_lo
	v_cmp_gt_f32_e32 vcc_lo, 0, v7
	v_cndmask_b32_e64 v16, 0xff800000, v16, s3
	s_delay_alu instid0(VALU_DEP_4)
	v_cndmask_b32_e32 v17, v17, v19, vcc_lo
	v_cndmask_b32_e32 v19, 0x3f490fdb, v13, vcc_lo
	v_cmp_gt_f32_e64 vcc_lo, 0x33800000, |v5|
	v_cmp_class_f32_e64 s3, v8, 0x204
	v_cndmask_b32_e32 v5, v16, v5, vcc_lo
	v_cmp_eq_f32_e32 vcc_lo, 0, v8
	s_delay_alu instid0(VALU_DEP_2) | instskip(NEXT) | instid1(VALU_DEP_4)
	v_dual_mul_f32 v5, 0.5, v5 :: v_dual_cndmask_b32 v16, v17, v18
	s_and_b32 vcc_lo, s4, s3
	s_delay_alu instid0(VALU_DEP_1)
	v_cndmask_b32_e32 v16, v16, v19, vcc_lo
.LBB193_52:                             ;   in Loop: Header=BB193_5 Depth=1
	s_or_b32 exec_lo, exec_lo, s25
.LBB193_53:                             ;   in Loop: Header=BB193_5 Depth=1
	s_delay_alu instid0(SALU_CYCLE_1)
	s_or_b32 exec_lo, exec_lo, s24
.LBB193_54:                             ;   in Loop: Header=BB193_5 Depth=1
	s_and_not1_saveexec_b32 s4, s23
	s_cbranch_execz .LBB193_56
; %bb.55:                               ;   in Loop: Header=BB193_5 Depth=1
	v_max_f32_e64 v5, |v8|, |v8|
	v_max_f32_e64 v18, |v7|, |v7|
	v_cmp_gt_i32_e64 s3, 0, v7
	v_cmp_class_f32_e64 s5, v7, 0x204
	v_cmp_class_f32_e64 s6, v8, 0x204
	s_delay_alu instid0(VALU_DEP_4) | instskip(SKIP_1) | instid1(VALU_DEP_2)
	v_max_f32_e32 v19, v18, v5
	v_min_f32_e32 v5, v18, v5
	v_cvt_f64_f32_e32 v[16:17], v19
	v_frexp_exp_i32_f32_e32 v18, v19
	s_delay_alu instid0(VALU_DEP_3) | instskip(SKIP_1) | instid1(VALU_DEP_2)
	v_frexp_exp_i32_f32_e32 v20, v5
	v_frexp_mant_f32_e32 v5, v5
	v_sub_nc_u32_e32 v18, v20, v18
	v_frexp_exp_i32_f64_e32 v16, v[16:17]
	v_frexp_mant_f32_e32 v17, v19
	s_delay_alu instid0(VALU_DEP_1) | instskip(SKIP_2) | instid1(VALU_DEP_1)
	v_rcp_f32_e32 v17, v17
	s_waitcnt_depctr 0xfff
	v_mul_f32_e32 v5, v5, v17
	v_ldexp_f32 v5, v5, v18
	v_sub_nc_u32_e32 v21, 0, v16
	s_delay_alu instid0(VALU_DEP_1) | instskip(SKIP_1) | instid1(VALU_DEP_2)
	v_ldexp_f32 v17, |v8|, v21
	v_ldexp_f32 v18, |v7|, v21
	v_mul_f32_e32 v17, v17, v17
	s_delay_alu instid0(VALU_DEP_1) | instskip(NEXT) | instid1(VALU_DEP_1)
	v_dual_mul_f32 v20, v5, v5 :: v_dual_fmac_f32 v17, v18, v18
	v_fmaak_f32 v18, s16, v20, 0xbc7a590c
	v_cmp_neq_f32_e32 vcc_lo, 0x7f800000, v19
	s_delay_alu instid0(VALU_DEP_3) | instskip(NEXT) | instid1(VALU_DEP_2)
	v_sqrt_f32_e32 v17, v17
	v_fmaak_f32 v18, v20, v18, 0x3d29fb3f
	s_delay_alu instid0(VALU_DEP_1) | instskip(SKIP_3) | instid1(VALU_DEP_2)
	v_fmaak_f32 v18, v20, v18, 0xbd97d4d7
	s_waitcnt_depctr 0xfff
	v_ldexp_f32 v16, v17, v16
	v_fmaak_f32 v17, v20, v18, 0x3dd931b2
	v_cndmask_b32_e32 v16, 0x7f800000, v16, vcc_lo
	s_delay_alu instid0(VALU_DEP_2) | instskip(NEXT) | instid1(VALU_DEP_2)
	v_fmaak_f32 v17, v20, v17, 0xbe1160e6
	v_cmp_gt_f32_e32 vcc_lo, 0x800000, v16
	s_delay_alu instid0(VALU_DEP_2) | instskip(SKIP_1) | instid1(VALU_DEP_2)
	v_fmaak_f32 v17, v20, v17, 0x3e4cb8bf
	v_cndmask_b32_e64 v18, 1.0, 0x4f800000, vcc_lo
	v_fmaak_f32 v17, v20, v17, 0xbeaaaa62
	s_delay_alu instid0(VALU_DEP_1) | instskip(NEXT) | instid1(VALU_DEP_1)
	v_mul_f32_e32 v17, v20, v17
	v_dual_mul_f32 v16, v16, v18 :: v_dual_fmac_f32 v5, v5, v17
	s_delay_alu instid0(VALU_DEP_1) | instskip(SKIP_2) | instid1(VALU_DEP_1)
	v_log_f32_e32 v16, v16
	s_waitcnt_depctr 0xfff
	v_mul_f32_e32 v17, 0x3f317217, v16
	v_fma_f32 v19, 0x3f317217, v16, -v17
	s_delay_alu instid0(VALU_DEP_1) | instskip(NEXT) | instid1(VALU_DEP_1)
	v_fmac_f32_e32 v19, 0x3377d1cf, v16
	v_dual_sub_f32 v18, 0x3fc90fdb, v5 :: v_dual_add_f32 v17, v17, v19
	s_delay_alu instid0(VALU_DEP_1) | instskip(SKIP_2) | instid1(VALU_DEP_3)
	v_cndmask_b32_e64 v5, v5, v18, s2
	v_cndmask_b32_e64 v18, 0, 0x40490fdb, s3
	v_cmp_gt_f32_e64 s3, 0, v7
	v_sub_f32_e32 v20, 0x40490fdb, v5
	s_delay_alu instid0(VALU_DEP_2) | instskip(NEXT) | instid1(VALU_DEP_2)
	v_cndmask_b32_e64 v19, 0x3f490fdb, v13, s3
	v_cndmask_b32_e64 v5, v5, v20, s3
	v_cndmask_b32_e64 v20, 0, 0x41b17218, vcc_lo
	v_cmp_gt_f32_e64 vcc_lo, 0x7f800000, |v16|
	v_cndmask_b32_e32 v16, v16, v17, vcc_lo
	v_cmp_eq_f32_e32 vcc_lo, 0, v8
	v_cndmask_b32_e32 v17, v5, v18, vcc_lo
	s_and_b32 vcc_lo, s5, s6
	s_delay_alu instid0(VALU_DEP_1)
	v_dual_sub_f32 v5, v16, v20 :: v_dual_cndmask_b32 v16, v17, v19
.LBB193_56:                             ;   in Loop: Header=BB193_5 Depth=1
	s_or_b32 exec_lo, exec_lo, s4
                                        ; implicit-def: $vgpr17
.LBB193_57:                             ;   in Loop: Header=BB193_5 Depth=1
	s_and_not1_saveexec_b32 s4, s22
	s_cbranch_execz .LBB193_63
; %bb.58:                               ;   in Loop: Header=BB193_5 Depth=1
                                        ; implicit-def: $vgpr5
                                        ; implicit-def: $vgpr16
	s_mov_b32 s3, exec_lo
	v_cmpx_ngt_f32_e32 0x1fec1e4a, v17
	s_xor_b32 s5, exec_lo, s3
	s_cbranch_execz .LBB193_60
; %bb.59:                               ;   in Loop: Header=BB193_5 Depth=1
	v_mul_f32_e32 v5, v17, v17
	v_cmp_gt_f32_e64 s3, 0, v7
	v_cmp_class_f32_e64 s6, v7, 0x204
	v_cmp_class_f32_e64 s8, v8, 0x204
	s_delay_alu instid0(VALU_DEP_4) | instskip(NEXT) | instid1(VALU_DEP_1)
	v_add_f32_e32 v18, 1.0, v5
	v_cvt_f64_f32_e32 v[16:17], v18
	s_delay_alu instid0(VALU_DEP_1) | instskip(SKIP_1) | instid1(VALU_DEP_1)
	v_frexp_exp_i32_f64_e32 v16, v[16:17]
	v_frexp_mant_f32_e32 v17, v18
	v_cmp_gt_f32_e32 vcc_lo, 0x3f2aaaab, v17
	v_add_f32_e32 v17, -1.0, v18
	s_delay_alu instid0(VALU_DEP_1) | instskip(NEXT) | instid1(VALU_DEP_1)
	v_sub_f32_e32 v20, v17, v18
	v_dual_add_f32 v20, 1.0, v20 :: v_dual_sub_f32 v17, v5, v17
	v_cmp_gt_f32_e64 s7, 0x33800000, |v5|
	s_delay_alu instid0(VALU_DEP_2) | instskip(SKIP_2) | instid1(VALU_DEP_2)
	v_add_f32_e32 v17, v17, v20
	v_subrev_co_ci_u32_e32 v16, vcc_lo, 0, v16, vcc_lo
	v_cmp_gt_i32_e32 vcc_lo, 0, v7
	v_sub_nc_u32_e32 v19, 0, v16
	v_cvt_f32_i32_e32 v16, v16
	s_delay_alu instid0(VALU_DEP_2) | instskip(SKIP_1) | instid1(VALU_DEP_2)
	v_ldexp_f32 v18, v18, v19
	v_ldexp_f32 v17, v17, v19
	v_add_f32_e32 v19, -1.0, v18
	s_delay_alu instid0(VALU_DEP_1) | instskip(NEXT) | instid1(VALU_DEP_1)
	v_dual_add_f32 v21, 1.0, v18 :: v_dual_add_f32 v22, 1.0, v19
	v_add_f32_e32 v20, -1.0, v21
	s_delay_alu instid0(VALU_DEP_1) | instskip(NEXT) | instid1(VALU_DEP_3)
	v_sub_f32_e32 v20, v18, v20
	v_sub_f32_e32 v18, v18, v22
	s_delay_alu instid0(VALU_DEP_2) | instskip(NEXT) | instid1(VALU_DEP_2)
	v_add_f32_e32 v20, v17, v20
	v_add_f32_e32 v17, v17, v18
	s_delay_alu instid0(VALU_DEP_1) | instskip(NEXT) | instid1(VALU_DEP_1)
	v_dual_add_f32 v23, v19, v17 :: v_dual_add_f32 v22, v21, v20
	v_rcp_f32_e32 v18, v22
	v_sub_f32_e32 v21, v21, v22
	s_delay_alu instid0(VALU_DEP_1) | instskip(SKIP_2) | instid1(VALU_DEP_1)
	v_dual_add_f32 v20, v20, v21 :: v_dual_sub_f32 v19, v19, v23
	s_waitcnt_depctr 0xfff
	v_dual_mul_f32 v24, v23, v18 :: v_dual_add_f32 v17, v17, v19
	v_mul_f32_e32 v25, v22, v24
	s_delay_alu instid0(VALU_DEP_1) | instskip(NEXT) | instid1(VALU_DEP_1)
	v_fma_f32 v21, v24, v22, -v25
	v_fmac_f32_e32 v21, v24, v20
	s_delay_alu instid0(VALU_DEP_1) | instskip(NEXT) | instid1(VALU_DEP_1)
	v_add_f32_e32 v26, v25, v21
	v_sub_f32_e32 v27, v23, v26
	s_delay_alu instid0(VALU_DEP_1) | instskip(SKIP_1) | instid1(VALU_DEP_2)
	v_sub_f32_e32 v23, v23, v27
	v_sub_f32_e32 v19, v26, v25
	;; [unrolled: 1-line block ×3, first 2 shown]
	s_delay_alu instid0(VALU_DEP_2) | instskip(NEXT) | instid1(VALU_DEP_2)
	v_sub_f32_e32 v19, v19, v21
	v_add_f32_e32 v17, v17, v23
	s_delay_alu instid0(VALU_DEP_1) | instskip(NEXT) | instid1(VALU_DEP_1)
	v_add_f32_e32 v17, v19, v17
	v_add_f32_e32 v19, v27, v17
	s_delay_alu instid0(VALU_DEP_1) | instskip(NEXT) | instid1(VALU_DEP_1)
	v_mul_f32_e32 v21, v18, v19
	v_dual_sub_f32 v26, v27, v19 :: v_dual_mul_f32 v23, v22, v21
	s_delay_alu instid0(VALU_DEP_1) | instskip(NEXT) | instid1(VALU_DEP_2)
	v_add_f32_e32 v17, v17, v26
	v_fma_f32 v22, v21, v22, -v23
	s_delay_alu instid0(VALU_DEP_1) | instskip(NEXT) | instid1(VALU_DEP_1)
	v_fmac_f32_e32 v22, v21, v20
	v_add_f32_e32 v20, v23, v22
	s_delay_alu instid0(VALU_DEP_1) | instskip(SKIP_1) | instid1(VALU_DEP_2)
	v_sub_f32_e32 v25, v19, v20
	v_sub_f32_e32 v23, v20, v23
	;; [unrolled: 1-line block ×3, first 2 shown]
	s_delay_alu instid0(VALU_DEP_1) | instskip(NEXT) | instid1(VALU_DEP_1)
	v_sub_f32_e32 v19, v19, v20
	v_dual_sub_f32 v20, v23, v22 :: v_dual_add_f32 v17, v17, v19
	v_add_f32_e32 v19, v24, v21
	s_delay_alu instid0(VALU_DEP_1) | instskip(NEXT) | instid1(VALU_DEP_1)
	v_dual_add_f32 v17, v20, v17 :: v_dual_sub_f32 v20, v19, v24
	v_add_f32_e32 v17, v25, v17
	s_delay_alu instid0(VALU_DEP_2) | instskip(SKIP_1) | instid1(VALU_DEP_3)
	v_sub_f32_e32 v20, v21, v20
	v_max_f32_e64 v21, |v7|, |v7|
	v_mul_f32_e32 v17, v18, v17
	v_max_f32_e64 v18, |v8|, |v8|
	s_delay_alu instid0(VALU_DEP_2) | instskip(NEXT) | instid1(VALU_DEP_2)
	v_add_f32_e32 v17, v20, v17
	v_max_f32_e32 v23, v21, v18
	v_min_f32_e32 v18, v21, v18
	s_delay_alu instid0(VALU_DEP_3) | instskip(NEXT) | instid1(VALU_DEP_3)
	v_add_f32_e32 v20, v19, v17
	v_frexp_mant_f32_e32 v25, v23
	v_frexp_exp_i32_f32_e32 v21, v23
	s_delay_alu instid0(VALU_DEP_3) | instskip(SKIP_1) | instid1(VALU_DEP_2)
	v_mul_f32_e32 v22, v20, v20
	v_ldexp_f32 v26, v20, 1
	v_dual_sub_f32 v19, v20, v19 :: v_dual_fmaak_f32 v24, s14, v22, 0x3ecc95a3
	v_mul_f32_e32 v23, v20, v22
	s_delay_alu instid0(VALU_DEP_2) | instskip(SKIP_3) | instid1(VALU_DEP_3)
	v_dual_sub_f32 v17, v17, v19 :: v_dual_fmaak_f32 v22, v22, v24, 0x3f2aaada
	v_rcp_f32_e32 v24, v25
	v_frexp_exp_i32_f32_e32 v25, v18
	v_frexp_mant_f32_e32 v18, v18
	v_ldexp_f32 v17, v17, 1
	v_dual_mul_f32 v22, v23, v22 :: v_dual_mul_f32 v23, 0x3f317218, v16
	s_delay_alu instid0(VALU_DEP_4) | instskip(NEXT) | instid1(VALU_DEP_2)
	v_sub_nc_u32_e32 v21, v25, v21
	v_add_f32_e32 v20, v26, v22
	s_delay_alu instid0(TRANS32_DEP_1) | instid1(VALU_DEP_1)
	v_dual_mul_f32 v18, v18, v24 :: v_dual_sub_f32 v19, v20, v26
	s_delay_alu instid0(VALU_DEP_1) | instskip(SKIP_1) | instid1(VALU_DEP_3)
	v_ldexp_f32 v18, v18, v21
	v_fma_f32 v21, 0x3f317218, v16, -v23
	v_sub_f32_e32 v19, v22, v19
	s_delay_alu instid0(VALU_DEP_2) | instskip(NEXT) | instid1(VALU_DEP_1)
	v_dual_mul_f32 v22, v18, v18 :: v_dual_fmac_f32 v21, 0xb102e308, v16
	v_dual_add_f32 v16, v17, v19 :: v_dual_fmaak_f32 v17, s16, v22, 0xbc7a590c
	s_delay_alu instid0(VALU_DEP_1) | instskip(NEXT) | instid1(VALU_DEP_2)
	v_dual_add_f32 v19, v23, v21 :: v_dual_add_f32 v24, v20, v16
	v_fmaak_f32 v17, v22, v17, 0x3d29fb3f
	s_delay_alu instid0(VALU_DEP_2) | instskip(NEXT) | instid1(VALU_DEP_3)
	v_sub_f32_e32 v23, v19, v23
	v_add_f32_e32 v25, v19, v24
	s_delay_alu instid0(VALU_DEP_3) | instskip(NEXT) | instid1(VALU_DEP_3)
	v_dual_fmaak_f32 v17, v22, v17, 0xbd97d4d7 :: v_dual_sub_f32 v20, v24, v20
	v_sub_f32_e32 v21, v21, v23
	s_delay_alu instid0(VALU_DEP_2) | instskip(NEXT) | instid1(VALU_DEP_1)
	v_dual_sub_f32 v26, v25, v19 :: v_dual_fmaak_f32 v17, v22, v17, 0x3dd931b2
	v_dual_sub_f32 v16, v16, v20 :: v_dual_sub_f32 v27, v25, v26
	s_delay_alu instid0(VALU_DEP_2) | instskip(NEXT) | instid1(VALU_DEP_2)
	v_dual_fmaak_f32 v17, v22, v17, 0xbe1160e6 :: v_dual_sub_f32 v20, v24, v26
	v_add_f32_e32 v23, v21, v16
	s_delay_alu instid0(VALU_DEP_3) | instskip(NEXT) | instid1(VALU_DEP_3)
	v_sub_f32_e32 v19, v19, v27
	v_fmaak_f32 v17, v22, v17, 0x3e4cb8bf
	s_delay_alu instid0(VALU_DEP_2) | instskip(NEXT) | instid1(VALU_DEP_2)
	v_add_f32_e32 v19, v20, v19
	v_fmaak_f32 v17, v22, v17, 0xbeaaaa62
	v_sub_f32_e32 v20, v23, v21
	s_delay_alu instid0(VALU_DEP_3) | instskip(NEXT) | instid1(VALU_DEP_2)
	v_add_f32_e32 v19, v23, v19
	v_dual_mul_f32 v17, v22, v17 :: v_dual_sub_f32 v22, v23, v20
	s_delay_alu instid0(VALU_DEP_2) | instskip(NEXT) | instid1(VALU_DEP_2)
	v_dual_sub_f32 v16, v16, v20 :: v_dual_add_f32 v23, v25, v19
	v_dual_fmac_f32 v18, v18, v17 :: v_dual_sub_f32 v17, v21, v22
	s_delay_alu instid0(VALU_DEP_1) | instskip(NEXT) | instid1(VALU_DEP_1)
	v_dual_sub_f32 v20, v23, v25 :: v_dual_sub_f32 v21, 0x3fc90fdb, v18
	v_dual_add_f32 v16, v16, v17 :: v_dual_sub_f32 v17, v19, v20
	s_delay_alu instid0(VALU_DEP_2) | instskip(SKIP_2) | instid1(VALU_DEP_3)
	v_cndmask_b32_e64 v18, v18, v21, s2
	v_cndmask_b32_e64 v19, 0, 0x40490fdb, vcc_lo
	v_cmp_eq_f32_e32 vcc_lo, 0x7f800000, v5
	v_dual_add_f32 v16, v16, v17 :: v_dual_sub_f32 v17, 0x40490fdb, v18
	s_or_b32 vcc_lo, vcc_lo, s7
	s_delay_alu instid0(VALU_DEP_1) | instskip(NEXT) | instid1(VALU_DEP_2)
	v_add_f32_e32 v16, v23, v16
	v_cndmask_b32_e64 v17, v18, v17, s3
	v_cndmask_b32_e64 v18, 0x3f490fdb, v13, s3
	s_delay_alu instid0(VALU_DEP_3) | instskip(SKIP_1) | instid1(VALU_DEP_2)
	v_cndmask_b32_e32 v5, v16, v5, vcc_lo
	v_cmp_eq_f32_e32 vcc_lo, 0, v8
	v_dual_mul_f32 v5, 0.5, v5 :: v_dual_cndmask_b32 v16, v17, v19
	s_and_b32 vcc_lo, s6, s8
                                        ; implicit-def: $vgpr17
	s_delay_alu instid0(VALU_DEP_1)
	v_cndmask_b32_e32 v16, v16, v18, vcc_lo
.LBB193_60:                             ;   in Loop: Header=BB193_5 Depth=1
	s_and_not1_saveexec_b32 s5, s5
	s_cbranch_execz .LBB193_62
; %bb.61:                               ;   in Loop: Header=BB193_5 Depth=1
	v_max_f32_e64 v5, |v8|, |v8|
	v_max_f32_e64 v16, |v7|, |v7|
	v_cmp_gt_i32_e32 vcc_lo, 0, v7
	v_cmp_eq_f32_e64 s3, 0, v8
	v_cmp_class_f32_e64 s6, v7, 0x204
	v_cmp_class_f32_e64 s7, v8, 0x204
	v_max_f32_e32 v18, v16, v5
	v_min_f32_e32 v5, v16, v5
	s_delay_alu instid0(VALU_DEP_2) | instskip(NEXT) | instid1(VALU_DEP_1)
	v_frexp_mant_f32_e32 v19, v18
	v_rcp_f32_e32 v16, v19
	s_delay_alu instid0(VALU_DEP_2) | instskip(SKIP_4) | instid1(VALU_DEP_1)
	v_frexp_exp_i32_f32_e32 v19, v5
	v_frexp_mant_f32_e32 v5, v5
	s_waitcnt_depctr 0xfff
	v_mul_f32_e32 v5, v5, v16
	v_frexp_exp_i32_f32_e32 v18, v18
	v_sub_nc_u32_e32 v18, v19, v18
	s_delay_alu instid0(VALU_DEP_1) | instskip(NEXT) | instid1(VALU_DEP_1)
	v_ldexp_f32 v5, v5, v18
	v_mul_f32_e32 v16, v5, v5
	s_delay_alu instid0(VALU_DEP_1) | instskip(NEXT) | instid1(VALU_DEP_1)
	v_fmaak_f32 v18, s16, v16, 0xbc7a590c
	v_fmaak_f32 v18, v16, v18, 0x3d29fb3f
	s_delay_alu instid0(VALU_DEP_1) | instskip(NEXT) | instid1(VALU_DEP_1)
	v_fmaak_f32 v18, v16, v18, 0xbd97d4d7
	v_fmaak_f32 v18, v16, v18, 0x3dd931b2
	;; [unrolled: 3-line block ×3, first 2 shown]
	s_delay_alu instid0(VALU_DEP_1) | instskip(NEXT) | instid1(VALU_DEP_1)
	v_fmaak_f32 v18, v16, v18, 0xbeaaaa62
	v_mul_f32_e32 v16, v16, v18
	v_cndmask_b32_e64 v18, 0, 0x40490fdb, vcc_lo
	v_cmp_gt_f32_e32 vcc_lo, 0, v7
	v_cndmask_b32_e32 v19, 0x3f490fdb, v13, vcc_lo
	s_delay_alu instid0(VALU_DEP_4) | instskip(NEXT) | instid1(VALU_DEP_1)
	v_fmac_f32_e32 v5, v5, v16
	v_sub_f32_e32 v16, 0x3fc90fdb, v5
	s_delay_alu instid0(VALU_DEP_1) | instskip(NEXT) | instid1(VALU_DEP_1)
	v_cndmask_b32_e64 v5, v5, v16, s2
	v_sub_f32_e32 v16, 0x40490fdb, v5
	s_delay_alu instid0(VALU_DEP_1) | instskip(SKIP_1) | instid1(VALU_DEP_1)
	v_dual_cndmask_b32 v5, v5, v16 :: v_dual_mul_f32 v16, 0.5, v17
	s_and_b32 vcc_lo, s6, s7
	v_cndmask_b32_e64 v18, v5, v18, s3
	s_delay_alu instid0(VALU_DEP_1)
	v_dual_mul_f32 v5, v17, v16 :: v_dual_cndmask_b32 v16, v18, v19
.LBB193_62:                             ;   in Loop: Header=BB193_5 Depth=1
	s_or_b32 exec_lo, exec_lo, s5
.LBB193_63:                             ;   in Loop: Header=BB193_5 Depth=1
	s_delay_alu instid0(SALU_CYCLE_1)
	s_or_b32 exec_lo, exec_lo, s4
.LBB193_64:                             ;   in Loop: Header=BB193_5 Depth=1
	s_and_not1_saveexec_b32 s4, s21
	s_cbranch_execz .LBB193_66
; %bb.65:                               ;   in Loop: Header=BB193_5 Depth=1
	v_div_scale_f32 v5, null, 0x402df854, 0x402df854, v7
	v_div_scale_f32 v16, null, 0x402df854, 0x402df854, v8
	v_div_scale_f32 v21, vcc_lo, v7, 0x402df854, v7
	s_delay_alu instid0(VALU_DEP_3) | instskip(NEXT) | instid1(VALU_DEP_2)
	v_rcp_f32_e32 v17, v5
	v_rcp_f32_e32 v18, v16
	v_cmp_class_f32_e64 s5, v8, 0x204
	s_waitcnt_depctr 0xfff
	v_fma_f32 v19, -v5, v17, 1.0
	v_fma_f32 v20, -v16, v18, 1.0
	s_delay_alu instid0(VALU_DEP_1) | instskip(SKIP_1) | instid1(VALU_DEP_2)
	v_dual_fmac_f32 v17, v19, v17 :: v_dual_fmac_f32 v18, v20, v18
	v_div_scale_f32 v19, s3, v8, 0x402df854, v8
	v_mul_f32_e32 v20, v21, v17
	s_delay_alu instid0(VALU_DEP_1) | instskip(NEXT) | instid1(VALU_DEP_1)
	v_fma_f32 v23, -v5, v20, v21
	v_fmac_f32_e32 v20, v23, v17
	s_delay_alu instid0(VALU_DEP_1) | instskip(NEXT) | instid1(VALU_DEP_1)
	v_fma_f32 v5, -v5, v20, v21
	v_div_fmas_f32 v5, v5, v17, v20
	v_max_f32_e64 v20, |v7|, |v7|
	v_mul_f32_e32 v22, v19, v18
	s_mov_b32 vcc_lo, s3
	v_cmp_class_f32_e64 s3, v7, 0x204
	v_div_fixup_f32 v5, v5, 0x402df854, v7
	s_delay_alu instid0(VALU_DEP_3) | instskip(NEXT) | instid1(VALU_DEP_1)
	v_fma_f32 v24, -v16, v22, v19
	v_fmac_f32_e32 v22, v24, v18
	s_delay_alu instid0(VALU_DEP_1) | instskip(NEXT) | instid1(VALU_DEP_1)
	v_fma_f32 v16, -v16, v22, v19
	v_div_fmas_f32 v16, v16, v18, v22
	s_delay_alu instid0(VALU_DEP_1) | instskip(NEXT) | instid1(VALU_DEP_1)
	v_div_fixup_f32 v18, v16, 0x402df854, v8
	v_max_f32_e64 v19, |v5|, |v18|
	s_delay_alu instid0(VALU_DEP_1) | instskip(SKIP_1) | instid1(VALU_DEP_2)
	v_cvt_f64_f32_e32 v[16:17], v19
	v_cmp_neq_f32_e32 vcc_lo, 0x7f800000, v19
	v_frexp_exp_i32_f64_e32 v16, v[16:17]
	v_max_f32_e64 v17, |v8|, |v8|
	s_delay_alu instid0(VALU_DEP_1) | instskip(SKIP_1) | instid1(VALU_DEP_2)
	v_max_f32_e32 v21, v20, v17
	v_min_f32_e32 v17, v20, v17
	v_frexp_mant_f32_e32 v22, v21
	v_frexp_exp_i32_f32_e32 v21, v21
	s_delay_alu instid0(VALU_DEP_2) | instskip(SKIP_1) | instid1(VALU_DEP_1)
	v_rcp_f32_e32 v20, v22
	v_sub_nc_u32_e32 v22, 0, v16
	v_ldexp_f32 v18, |v18|, v22
	v_ldexp_f32 v5, |v5|, v22
	s_delay_alu instid0(VALU_DEP_2) | instskip(SKIP_2) | instid1(VALU_DEP_3)
	v_mul_f32_e32 v18, v18, v18
	v_frexp_exp_i32_f32_e32 v23, v17
	v_frexp_mant_f32_e32 v17, v17
	v_fmac_f32_e32 v18, v5, v5
	s_delay_alu instid0(VALU_DEP_3)
	v_sub_nc_u32_e32 v21, v23, v21
	s_delay_alu instid0(TRANS32_DEP_1) | instid1(VALU_DEP_3)
	v_mul_f32_e32 v17, v17, v20
	s_delay_alu instid0(VALU_DEP_3) | instskip(NEXT) | instid1(VALU_DEP_1)
	v_sqrt_f32_e32 v18, v18
	v_ldexp_f32 v17, v17, v21
	s_waitcnt_depctr 0xfff
	v_ldexp_f32 v16, v18, v16
	s_delay_alu instid0(VALU_DEP_1) | instskip(NEXT) | instid1(VALU_DEP_1)
	v_dual_mul_f32 v5, v17, v17 :: v_dual_cndmask_b32 v16, 0x7f800000, v16
	v_fmaak_f32 v20, s16, v5, 0xbc7a590c
	s_delay_alu instid0(VALU_DEP_2) | instskip(NEXT) | instid1(VALU_DEP_2)
	v_cmp_gt_f32_e32 vcc_lo, 0x800000, v16
	v_fmaak_f32 v20, v5, v20, 0x3d29fb3f
	v_cndmask_b32_e64 v19, 1.0, 0x4f800000, vcc_lo
	s_delay_alu instid0(VALU_DEP_1) | instskip(NEXT) | instid1(VALU_DEP_1)
	v_mul_f32_e32 v16, v16, v19
	v_log_f32_e32 v16, v16
	s_delay_alu instid0(VALU_DEP_3) | instskip(SKIP_1) | instid1(VALU_DEP_2)
	v_fmaak_f32 v18, v5, v20, 0xbd97d4d7
	v_cndmask_b32_e64 v20, 0, 0x41b17218, vcc_lo
	v_fmaak_f32 v18, v5, v18, 0x3dd931b2
	s_waitcnt_depctr 0xfff
	v_cmp_gt_f32_e64 vcc_lo, 0x7f800000, |v16|
	v_fmaak_f32 v18, v5, v18, 0xbe1160e6
	s_delay_alu instid0(VALU_DEP_1) | instskip(NEXT) | instid1(VALU_DEP_1)
	v_fmaak_f32 v18, v5, v18, 0x3e4cb8bf
	v_fmaak_f32 v18, v5, v18, 0xbeaaaa62
	s_delay_alu instid0(VALU_DEP_1) | instskip(NEXT) | instid1(VALU_DEP_1)
	v_dual_mul_f32 v5, v5, v18 :: v_dual_mul_f32 v18, 0x3f317217, v16
	v_fmac_f32_e32 v17, v17, v5
	s_delay_alu instid0(VALU_DEP_2) | instskip(NEXT) | instid1(VALU_DEP_2)
	v_fma_f32 v5, 0x3f317217, v16, -v18
	v_sub_f32_e32 v19, 0x3fc90fdb, v17
	s_delay_alu instid0(VALU_DEP_2) | instskip(NEXT) | instid1(VALU_DEP_2)
	v_fmac_f32_e32 v5, 0x3377d1cf, v16
	v_cndmask_b32_e64 v17, v17, v19, s2
	v_cmp_gt_i32_e64 s2, 0, v7
	s_delay_alu instid0(VALU_DEP_3) | instskip(NEXT) | instid1(VALU_DEP_2)
	v_add_f32_e32 v5, v18, v5
	v_cndmask_b32_e64 v19, 0, 0x40490fdb, s2
	v_cmp_gt_f32_e64 s2, 0, v7
	s_delay_alu instid0(VALU_DEP_3) | instskip(SKIP_2) | instid1(VALU_DEP_3)
	v_cndmask_b32_e32 v5, v16, v5, vcc_lo
	v_sub_f32_e32 v18, 0x40490fdb, v17
	v_cmp_eq_f32_e32 vcc_lo, 0, v8
	v_sub_f32_e32 v5, v5, v20
	s_delay_alu instid0(VALU_DEP_3) | instskip(SKIP_1) | instid1(VALU_DEP_2)
	v_cndmask_b32_e64 v16, v17, v18, s2
	v_cndmask_b32_e64 v17, 0x3f490fdb, v13, s2
	v_dual_add_f32 v5, 1.0, v5 :: v_dual_cndmask_b32 v16, v16, v19
	s_and_b32 vcc_lo, s3, s5
	s_delay_alu instid0(VALU_DEP_1)
	v_cndmask_b32_e32 v16, v16, v17, vcc_lo
.LBB193_66:                             ;   in Loop: Header=BB193_5 Depth=1
	s_or_b32 exec_lo, exec_lo, s4
.LBB193_67:                             ;   in Loop: Header=BB193_5 Depth=1
	s_and_not1_saveexec_b32 s2, s17
	s_cbranch_execz .LBB193_73
; %bb.68:                               ;   in Loop: Header=BB193_5 Depth=1
	v_cmp_ngt_f32_e64 s3, 0x20000000, |v7|
	v_cmp_ngt_f32_e64 s4, 0x20000000, |v8|
                                        ; implicit-def: $vgpr5
	s_delay_alu instid0(VALU_DEP_1) | instskip(NEXT) | instid1(SALU_CYCLE_1)
	s_or_b32 s3, s3, s4
	s_and_saveexec_b32 s4, s3
	s_delay_alu instid0(SALU_CYCLE_1)
	s_xor_b32 s3, exec_lo, s4
; %bb.69:                               ;   in Loop: Header=BB193_5 Depth=1
	v_mul_f32_e32 v5, v8, v8
	s_delay_alu instid0(VALU_DEP_1)
	v_fmac_f32_e32 v5, v7, v7
; %bb.70:                               ;   in Loop: Header=BB193_5 Depth=1
	s_and_not1_saveexec_b32 s3, s3
; %bb.71:                               ;   in Loop: Header=BB193_5 Depth=1
	v_mul_f32_e32 v5, 4.0, v8
	v_mul_f32_e32 v7, 4.0, v7
	s_delay_alu instid0(VALU_DEP_2) | instskip(NEXT) | instid1(VALU_DEP_1)
	v_mul_f32_e32 v5, v5, v5
	v_fmac_f32_e32 v5, v7, v7
	s_delay_alu instid0(VALU_DEP_1)
	v_mul_f32_e32 v5, 0x3d800000, v5
; %bb.72:                               ;   in Loop: Header=BB193_5 Depth=1
	s_or_b32 exec_lo, exec_lo, s3
	s_delay_alu instid0(VALU_DEP_1) | instskip(SKIP_1) | instid1(VALU_DEP_1)
	v_cmp_gt_f32_e32 vcc_lo, 0x800000, v5
	v_cndmask_b32_e64 v7, 1.0, 0x4f800000, vcc_lo
	v_mul_f32_e32 v5, v5, v7
	s_delay_alu instid0(VALU_DEP_1) | instskip(SKIP_2) | instid1(VALU_DEP_1)
	v_log_f32_e32 v5, v5
	s_waitcnt_depctr 0xfff
	v_mul_f32_e32 v7, 0x3f317217, v5
	v_fma_f32 v16, 0x3f317217, v5, -v7
	s_delay_alu instid0(VALU_DEP_1) | instskip(NEXT) | instid1(VALU_DEP_1)
	v_fmac_f32_e32 v16, 0x3377d1cf, v5
	v_add_f32_e32 v7, v7, v16
	v_cndmask_b32_e64 v16, 0, 0x41b17218, vcc_lo
	v_cmp_gt_f32_e64 vcc_lo, 0x7f800000, |v5|
	s_delay_alu instid0(VALU_DEP_3) | instskip(NEXT) | instid1(VALU_DEP_1)
	v_cndmask_b32_e32 v5, v5, v7, vcc_lo
	v_dual_sub_f32 v5, v5, v16 :: v_dual_mov_b32 v16, 0x7fc00000
.LBB193_73:                             ;   in Loop: Header=BB193_5 Depth=1
	s_or_b32 exec_lo, exec_lo, s2
                                        ; implicit-def: $vgpr7
                                        ; implicit-def: $vgpr17
	s_delay_alu instid0(SALU_CYCLE_1)
	s_mov_b32 s2, exec_lo
	s_waitcnt vmcnt(0)
	v_cmpx_o_f32_e32 v2, v1
	s_xor_b32 s17, exec_lo, s2
	s_cbranch_execz .LBB193_101
; %bb.74:                               ;   in Loop: Header=BB193_5 Depth=1
	v_cmp_lt_f32_e64 s2, |v1|, |v2|
                                        ; implicit-def: $vgpr7
                                        ; implicit-def: $vgpr17
	s_mov_b32 s3, exec_lo
	s_delay_alu instid0(VALU_DEP_1) | instskip(NEXT) | instid1(VALU_DEP_1)
	v_cndmask_b32_e64 v18, |v2|, |v1|, s2
	v_cmpx_nlt_f32_e32 0x77f684df, v18
	s_xor_b32 s21, exec_lo, s3
	s_cbranch_execz .LBB193_98
; %bb.75:                               ;   in Loop: Header=BB193_5 Depth=1
	v_and_b32_e32 v7, 0x7fffffff, v2
                                        ; implicit-def: $vgpr17
	s_mov_b32 s3, exec_lo
	s_delay_alu instid0(VALU_DEP_1) | instskip(NEXT) | instid1(VALU_DEP_1)
	v_cndmask_b32_e64 v19, |v1|, v7, s2
                                        ; implicit-def: $vgpr7
	v_cmpx_neq_f32_e32 1.0, v19
	s_xor_b32 s22, exec_lo, s3
	s_cbranch_execz .LBB193_91
; %bb.76:                               ;   in Loop: Header=BB193_5 Depth=1
	v_max_f32_e32 v7, v18, v18
	v_max_f32_e32 v17, v19, v19
	s_delay_alu instid0(VALU_DEP_1) | instskip(SKIP_1) | instid1(VALU_DEP_2)
	v_min_f32_e32 v20, v17, v7
	v_max_f32_e32 v7, v17, v7
                                        ; implicit-def: $vgpr17
	v_cmp_ngt_f32_e32 vcc_lo, 0x358637bd, v20
	s_delay_alu instid0(VALU_DEP_2) | instskip(NEXT) | instid1(VALU_DEP_1)
	v_cmp_nlt_f32_e64 s3, 0x49742400, v7
                                        ; implicit-def: $vgpr7
	s_and_b32 s3, s3, vcc_lo
	s_delay_alu instid0(SALU_CYCLE_1) | instskip(NEXT) | instid1(SALU_CYCLE_1)
	s_and_saveexec_b32 s4, s3
	s_xor_b32 s23, exec_lo, s4
	s_cbranch_execz .LBB193_88
; %bb.77:                               ;   in Loop: Header=BB193_5 Depth=1
                                        ; implicit-def: $vgpr7
                                        ; implicit-def: $vgpr17
	s_mov_b32 s3, exec_lo
	v_cmpx_le_f32_e32 1.0, v19
	s_xor_b32 s4, exec_lo, s3
	s_cbranch_execz .LBB193_79
; %bb.78:                               ;   in Loop: Header=BB193_5 Depth=1
	v_add_f32_e32 v7, -1.0, v19
	v_add_f32_e32 v17, 1.0, v19
	v_cmp_class_f32_e64 s5, v1, 0x204
	s_delay_alu instid0(VALU_DEP_2) | instskip(NEXT) | instid1(VALU_DEP_1)
	v_mul_f32_e32 v7, v7, v17
	v_fmac_f32_e32 v7, v18, v18
	s_delay_alu instid0(VALU_DEP_1) | instskip(NEXT) | instid1(VALU_DEP_1)
	v_add_f32_e32 v19, 1.0, v7
	v_cvt_f64_f32_e32 v[17:18], v19
	s_delay_alu instid0(VALU_DEP_1) | instskip(SKIP_1) | instid1(VALU_DEP_1)
	v_frexp_exp_i32_f64_e32 v17, v[17:18]
	v_frexp_mant_f32_e32 v18, v19
	v_cmp_gt_f32_e32 vcc_lo, 0x3f2aaaab, v18
	v_add_f32_e32 v18, -1.0, v19
	s_delay_alu instid0(VALU_DEP_1) | instskip(SKIP_1) | instid1(VALU_DEP_1)
	v_sub_f32_e32 v21, v18, v19
	v_subrev_co_ci_u32_e32 v17, vcc_lo, 0, v17, vcc_lo
	v_sub_nc_u32_e32 v20, 0, v17
	v_cvt_f32_i32_e32 v17, v17
	s_delay_alu instid0(VALU_DEP_2) | instskip(NEXT) | instid1(VALU_DEP_1)
	v_ldexp_f32 v19, v19, v20
	v_dual_add_f32 v21, 1.0, v21 :: v_dual_add_f32 v22, 1.0, v19
	v_sub_f32_e32 v18, v7, v18
	v_cmp_eq_f32_e32 vcc_lo, 0x7f800000, v7
	v_cmp_neq_f32_e64 s3, -1.0, v7
	s_delay_alu instid0(VALU_DEP_3) | instskip(NEXT) | instid1(VALU_DEP_1)
	v_add_f32_e32 v18, v18, v21
	v_ldexp_f32 v18, v18, v20
	v_dual_add_f32 v20, -1.0, v19 :: v_dual_add_f32 v21, -1.0, v22
	s_delay_alu instid0(VALU_DEP_1) | instskip(NEXT) | instid1(VALU_DEP_2)
	v_add_f32_e32 v23, 1.0, v20
	v_sub_f32_e32 v21, v19, v21
	s_delay_alu instid0(VALU_DEP_2) | instskip(NEXT) | instid1(VALU_DEP_2)
	v_sub_f32_e32 v19, v19, v23
	v_add_f32_e32 v21, v18, v21
	s_delay_alu instid0(VALU_DEP_2) | instskip(NEXT) | instid1(VALU_DEP_1)
	v_add_f32_e32 v18, v18, v19
	v_add_f32_e32 v24, v20, v18
	s_delay_alu instid0(VALU_DEP_1) | instskip(NEXT) | instid1(VALU_DEP_1)
	v_dual_sub_f32 v20, v24, v20 :: v_dual_add_f32 v23, v22, v21
	v_sub_f32_e32 v18, v18, v20
	s_delay_alu instid0(VALU_DEP_2) | instskip(SKIP_1) | instid1(VALU_DEP_1)
	v_rcp_f32_e32 v19, v23
	v_sub_f32_e32 v22, v23, v22
	v_sub_f32_e32 v21, v21, v22
	s_waitcnt_depctr 0xfff
	v_mul_f32_e32 v25, v24, v19
	s_delay_alu instid0(VALU_DEP_1) | instskip(NEXT) | instid1(VALU_DEP_1)
	v_mul_f32_e32 v26, v23, v25
	v_fma_f32 v22, v25, v23, -v26
	s_delay_alu instid0(VALU_DEP_1) | instskip(NEXT) | instid1(VALU_DEP_1)
	v_fmac_f32_e32 v22, v25, v21
	v_add_f32_e32 v27, v26, v22
	s_delay_alu instid0(VALU_DEP_1) | instskip(SKIP_1) | instid1(VALU_DEP_2)
	v_sub_f32_e32 v28, v24, v27
	v_sub_f32_e32 v20, v27, v26
	;; [unrolled: 1-line block ×3, first 2 shown]
	s_delay_alu instid0(VALU_DEP_2) | instskip(NEXT) | instid1(VALU_DEP_2)
	v_sub_f32_e32 v20, v20, v22
	v_sub_f32_e32 v24, v24, v27
	s_delay_alu instid0(VALU_DEP_1) | instskip(NEXT) | instid1(VALU_DEP_1)
	v_add_f32_e32 v18, v18, v24
	v_add_f32_e32 v18, v20, v18
	s_delay_alu instid0(VALU_DEP_1) | instskip(NEXT) | instid1(VALU_DEP_1)
	v_add_f32_e32 v20, v28, v18
	v_mul_f32_e32 v22, v19, v20
	s_delay_alu instid0(VALU_DEP_1) | instskip(NEXT) | instid1(VALU_DEP_1)
	v_dual_sub_f32 v27, v28, v20 :: v_dual_mul_f32 v24, v23, v22
	v_add_f32_e32 v18, v18, v27
	s_delay_alu instid0(VALU_DEP_2) | instskip(NEXT) | instid1(VALU_DEP_1)
	v_fma_f32 v23, v22, v23, -v24
	v_fmac_f32_e32 v23, v22, v21
	s_delay_alu instid0(VALU_DEP_1) | instskip(NEXT) | instid1(VALU_DEP_1)
	v_add_f32_e32 v21, v24, v23
	v_sub_f32_e32 v26, v20, v21
	s_delay_alu instid0(VALU_DEP_1) | instskip(NEXT) | instid1(VALU_DEP_1)
	v_sub_f32_e32 v20, v20, v26
	v_sub_f32_e32 v20, v20, v21
	s_delay_alu instid0(VALU_DEP_1) | instskip(SKIP_2) | instid1(VALU_DEP_1)
	v_add_f32_e32 v18, v18, v20
	v_add_f32_e32 v20, v25, v22
	v_sub_f32_e32 v24, v21, v24
	v_sub_f32_e32 v21, v24, v23
	v_max_f32_e64 v23, |v2|, |v2|
	s_delay_alu instid0(VALU_DEP_2) | instskip(NEXT) | instid1(VALU_DEP_1)
	v_dual_add_f32 v18, v21, v18 :: v_dual_sub_f32 v21, v20, v25
	v_add_f32_e32 v18, v26, v18
	s_delay_alu instid0(VALU_DEP_2) | instskip(SKIP_1) | instid1(VALU_DEP_3)
	v_sub_f32_e32 v21, v22, v21
	v_mul_f32_e32 v26, 0x3f317218, v17
	v_mul_f32_e32 v18, v19, v18
	s_delay_alu instid0(VALU_DEP_2) | instskip(NEXT) | instid1(VALU_DEP_1)
	v_fma_f32 v27, 0x3f317218, v17, -v26
	v_dual_add_f32 v18, v21, v18 :: v_dual_fmac_f32 v27, 0xb102e308, v17
	s_delay_alu instid0(VALU_DEP_1) | instskip(NEXT) | instid1(VALU_DEP_1)
	v_add_f32_e32 v19, v20, v18
	v_mul_f32_e32 v21, v19, v19
	v_ldexp_f32 v25, v19, 1
	s_delay_alu instid0(VALU_DEP_2) | instskip(SKIP_2) | instid1(VALU_DEP_3)
	v_fmaak_f32 v22, s14, v21, 0x3ecc95a3
	v_mul_f32_e32 v24, v19, v21
	v_sub_f32_e32 v19, v19, v20
	v_fmaak_f32 v21, v21, v22, 0x3f2aaada
	v_max_f32_e64 v22, |v1|, |v1|
	s_delay_alu instid0(VALU_DEP_2) | instskip(NEXT) | instid1(VALU_DEP_2)
	v_dual_sub_f32 v18, v18, v19 :: v_dual_mul_f32 v21, v24, v21
	v_max_f32_e32 v24, v22, v23
	s_delay_alu instid0(VALU_DEP_2) | instskip(NEXT) | instid1(VALU_DEP_3)
	v_ldexp_f32 v18, v18, 1
	v_add_f32_e32 v20, v25, v21
	s_delay_alu instid0(VALU_DEP_1) | instskip(NEXT) | instid1(VALU_DEP_1)
	v_sub_f32_e32 v19, v20, v25
	v_sub_f32_e32 v19, v21, v19
	s_delay_alu instid0(VALU_DEP_1) | instskip(SKIP_4) | instid1(VALU_DEP_4)
	v_add_f32_e32 v17, v18, v19
	v_min_f32_e32 v22, v22, v23
	v_frexp_mant_f32_e32 v23, v24
	v_add_f32_e32 v19, v26, v27
	v_frexp_exp_i32_f32_e32 v24, v24
	v_frexp_mant_f32_e32 v21, v22
	s_delay_alu instid0(VALU_DEP_4) | instskip(NEXT) | instid1(VALU_DEP_3)
	v_rcp_f32_e32 v23, v23
	v_sub_f32_e32 v26, v19, v26
	s_delay_alu instid0(VALU_DEP_1) | instskip(SKIP_2) | instid1(VALU_DEP_1)
	v_sub_f32_e32 v26, v27, v26
	s_waitcnt_depctr 0xfff
	v_dual_mul_f32 v18, v21, v23 :: v_dual_add_f32 v21, v20, v17
	v_sub_f32_e32 v20, v21, v20
	s_delay_alu instid0(VALU_DEP_1) | instskip(SKIP_1) | instid1(VALU_DEP_1)
	v_sub_f32_e32 v17, v17, v20
	v_frexp_exp_i32_f32_e32 v25, v22
	v_sub_nc_u32_e32 v22, v25, v24
	s_delay_alu instid0(VALU_DEP_1) | instskip(NEXT) | instid1(VALU_DEP_1)
	v_ldexp_f32 v18, v18, v22
	v_dual_add_f32 v22, v19, v21 :: v_dual_mul_f32 v23, v18, v18
	s_delay_alu instid0(VALU_DEP_1) | instskip(NEXT) | instid1(VALU_DEP_1)
	v_sub_f32_e32 v24, v22, v19
	v_dual_fmaak_f32 v25, s16, v23, 0xbc7a590c :: v_dual_sub_f32 v28, v22, v24
	v_sub_f32_e32 v20, v21, v24
	v_add_f32_e32 v24, v26, v17
	s_delay_alu instid0(VALU_DEP_3) | instskip(NEXT) | instid1(VALU_DEP_4)
	v_fmaak_f32 v25, v23, v25, 0x3d29fb3f
	v_sub_f32_e32 v19, v19, v28
	s_delay_alu instid0(VALU_DEP_2) | instskip(NEXT) | instid1(VALU_DEP_1)
	v_fmaak_f32 v21, v23, v25, 0xbd97d4d7
	v_dual_add_f32 v19, v20, v19 :: v_dual_fmaak_f32 v20, v23, v21, 0x3dd931b2
	v_sub_f32_e32 v21, v24, v26
	s_delay_alu instid0(VALU_DEP_2) | instskip(NEXT) | instid1(VALU_DEP_1)
	v_add_f32_e32 v19, v24, v19
	v_dual_sub_f32 v24, v24, v21 :: v_dual_add_f32 v25, v22, v19
	v_sub_f32_e32 v17, v17, v21
	s_delay_alu instid0(VALU_DEP_2) | instskip(NEXT) | instid1(VALU_DEP_1)
	v_dual_sub_f32 v21, v26, v24 :: v_dual_sub_f32 v22, v25, v22
	v_add_f32_e32 v17, v17, v21
	s_delay_alu instid0(VALU_DEP_2) | instskip(NEXT) | instid1(VALU_DEP_1)
	v_sub_f32_e32 v19, v19, v22
	v_dual_add_f32 v17, v17, v19 :: v_dual_fmaak_f32 v20, v23, v20, 0xbe1160e6
	s_delay_alu instid0(VALU_DEP_1) | instskip(NEXT) | instid1(VALU_DEP_1)
	v_dual_add_f32 v17, v25, v17 :: v_dual_fmaak_f32 v20, v23, v20, 0x3e4cb8bf
	v_dual_cndmask_b32 v17, v17, v7 :: v_dual_fmaak_f32 v20, v23, v20, 0xbeaaaa62
	v_cmp_gt_i32_e32 vcc_lo, 0, v1
	s_delay_alu instid0(VALU_DEP_2) | instskip(NEXT) | instid1(VALU_DEP_1)
	v_mul_f32_e32 v20, v23, v20
	v_fmac_f32_e32 v18, v18, v20
	s_delay_alu instid0(VALU_DEP_1) | instskip(NEXT) | instid1(VALU_DEP_1)
	v_sub_f32_e32 v19, 0x3fc90fdb, v18
	v_cndmask_b32_e64 v18, v18, v19, s2
	v_cndmask_b32_e64 v19, 0, 0x40490fdb, vcc_lo
	v_cmp_ngt_f32_e32 vcc_lo, -1.0, v7
	s_delay_alu instid0(VALU_DEP_3) | instskip(SKIP_2) | instid1(VALU_DEP_2)
	v_sub_f32_e32 v20, 0x40490fdb, v18
	v_cndmask_b32_e32 v17, 0x7fc00000, v17, vcc_lo
	v_cmp_gt_f32_e32 vcc_lo, 0, v1
	v_cndmask_b32_e64 v17, 0xff800000, v17, s3
	s_delay_alu instid0(VALU_DEP_4)
	v_cndmask_b32_e32 v18, v18, v20, vcc_lo
	v_cndmask_b32_e32 v20, 0x3f490fdb, v13, vcc_lo
	v_cmp_gt_f32_e64 vcc_lo, 0x33800000, |v7|
	v_cmp_class_f32_e64 s3, v2, 0x204
	v_cndmask_b32_e32 v7, v17, v7, vcc_lo
	v_cmp_eq_f32_e32 vcc_lo, 0, v2
	s_delay_alu instid0(VALU_DEP_2) | instskip(SKIP_2) | instid1(VALU_DEP_1)
	v_mul_f32_e32 v7, 0.5, v7
	v_cndmask_b32_e32 v17, v18, v19, vcc_lo
	s_and_b32 vcc_lo, s5, s3
                                        ; implicit-def: $vgpr18
                                        ; implicit-def: $vgpr19
	v_cndmask_b32_e32 v17, v17, v20, vcc_lo
.LBB193_79:                             ;   in Loop: Header=BB193_5 Depth=1
	s_and_not1_saveexec_b32 s24, s4
	s_cbranch_execz .LBB193_87
; %bb.80:                               ;   in Loop: Header=BB193_5 Depth=1
	v_mul_f32_e32 v20, v18, v18
                                        ; implicit-def: $vgpr7
                                        ; implicit-def: $vgpr17
	s_mov_b32 s3, exec_lo
	s_delay_alu instid0(VALU_DEP_1) | instskip(NEXT) | instid1(VALU_DEP_1)
	v_fmac_f32_e32 v20, v19, v19
	v_cmpx_ge_f32_e32 0x3f333333, v20
	s_xor_b32 s4, exec_lo, s3
	s_cbranch_execz .LBB193_82
; %bb.81:                               ;   in Loop: Header=BB193_5 Depth=1
	v_max_f32_e64 v7, |v2|, |v2|
	v_max_f32_e64 v17, |v1|, |v1|
	v_cmp_gt_f32_e32 vcc_lo, 0x800000, v20
	v_cmp_gt_i32_e64 s3, 0, v1
	v_cmp_class_f32_e64 s5, v1, 0x204
	v_cmp_class_f32_e64 s6, v2, 0x204
	v_max_f32_e32 v18, v17, v7
	v_min_f32_e32 v7, v17, v7
	v_cndmask_b32_e64 v21, 0, 0x41b17218, vcc_lo
	s_delay_alu instid0(VALU_DEP_3) | instskip(NEXT) | instid1(VALU_DEP_1)
	v_frexp_mant_f32_e32 v19, v18
	v_rcp_f32_e32 v17, v19
	s_delay_alu instid0(VALU_DEP_3) | instskip(SKIP_4) | instid1(VALU_DEP_1)
	v_frexp_exp_i32_f32_e32 v19, v7
	v_frexp_mant_f32_e32 v7, v7
	s_waitcnt_depctr 0xfff
	v_mul_f32_e32 v7, v7, v17
	v_frexp_exp_i32_f32_e32 v18, v18
	v_sub_nc_u32_e32 v18, v19, v18
	v_cndmask_b32_e64 v19, 1.0, 0x4f800000, vcc_lo
	s_delay_alu instid0(VALU_DEP_2) | instskip(NEXT) | instid1(VALU_DEP_2)
	v_ldexp_f32 v7, v7, v18
	v_mul_f32_e32 v19, v20, v19
	s_delay_alu instid0(VALU_DEP_2) | instskip(NEXT) | instid1(VALU_DEP_2)
	v_mul_f32_e32 v17, v7, v7
	v_log_f32_e32 v19, v19
	s_delay_alu instid0(VALU_DEP_1) | instskip(NEXT) | instid1(VALU_DEP_1)
	v_fmaak_f32 v18, s16, v17, 0xbc7a590c
	v_fmaak_f32 v18, v17, v18, 0x3d29fb3f
	s_waitcnt_depctr 0xfff
	v_cmp_gt_f32_e64 vcc_lo, 0x7f800000, |v19|
	v_fmaak_f32 v18, v17, v18, 0xbd97d4d7
	s_delay_alu instid0(VALU_DEP_1) | instskip(NEXT) | instid1(VALU_DEP_1)
	v_fmaak_f32 v18, v17, v18, 0x3dd931b2
	v_fmaak_f32 v18, v17, v18, 0xbe1160e6
	s_delay_alu instid0(VALU_DEP_1) | instskip(NEXT) | instid1(VALU_DEP_1)
	v_fmaak_f32 v18, v17, v18, 0x3e4cb8bf
	v_fmaak_f32 v18, v17, v18, 0xbeaaaa62
	s_delay_alu instid0(VALU_DEP_1) | instskip(NEXT) | instid1(VALU_DEP_1)
	v_dual_mul_f32 v17, v17, v18 :: v_dual_mul_f32 v18, 0x3f317217, v19
	v_fmac_f32_e32 v7, v7, v17
	s_delay_alu instid0(VALU_DEP_2) | instskip(NEXT) | instid1(VALU_DEP_1)
	v_fma_f32 v17, 0x3f317217, v19, -v18
	v_fmac_f32_e32 v17, 0x3377d1cf, v19
	s_delay_alu instid0(VALU_DEP_1) | instskip(NEXT) | instid1(VALU_DEP_1)
	v_dual_sub_f32 v20, 0x3fc90fdb, v7 :: v_dual_add_f32 v17, v18, v17
	v_cndmask_b32_e64 v7, v7, v20, s2
	v_cndmask_b32_e64 v18, 0, 0x40490fdb, s3
	v_cmp_eq_f32_e64 s3, 0, v2
	s_delay_alu instid0(VALU_DEP_3) | instskip(SKIP_1) | instid1(VALU_DEP_2)
	v_dual_cndmask_b32 v17, v19, v17 :: v_dual_sub_f32 v20, 0x40490fdb, v7
	v_cmp_gt_f32_e32 vcc_lo, 0, v1
	v_sub_f32_e32 v17, v17, v21
	s_delay_alu instid0(VALU_DEP_3) | instskip(SKIP_2) | instid1(VALU_DEP_2)
	v_cndmask_b32_e32 v7, v7, v20, vcc_lo
	v_cndmask_b32_e32 v19, 0x3f490fdb, v13, vcc_lo
	s_and_b32 vcc_lo, s5, s6
	v_cndmask_b32_e64 v18, v7, v18, s3
	v_mul_f32_e32 v7, 0.5, v17
	s_delay_alu instid0(VALU_DEP_2)
	v_cndmask_b32_e32 v17, v18, v19, vcc_lo
                                        ; implicit-def: $vgpr19
                                        ; implicit-def: $vgpr18
.LBB193_82:                             ;   in Loop: Header=BB193_5 Depth=1
	s_and_not1_saveexec_b32 s25, s4
	s_cbranch_execz .LBB193_86
; %bb.83:                               ;   in Loop: Header=BB193_5 Depth=1
	v_and_b32_e32 v20, 0x7fff0000, v18
	v_and_b32_e32 v17, 0x7fff0000, v19
	s_mov_b32 s26, 0
	s_delay_alu instid0(VALU_DEP_2) | instskip(NEXT) | instid1(VALU_DEP_2)
	v_sub_f32_e32 v21, v18, v20
	v_dual_mul_f32 v18, v20, v20 :: v_dual_sub_f32 v19, v19, v17
	v_dual_add_f32 v24, v17, v17 :: v_dual_add_f32 v27, v20, v20
	s_delay_alu instid0(VALU_DEP_2) | instskip(NEXT) | instid1(VALU_DEP_4)
	v_and_b32_e32 v22, 0xffff0000, v19
	v_and_b32_e32 v23, 0xffff0000, v21
	s_delay_alu instid0(VALU_DEP_2) | instskip(NEXT) | instid1(VALU_DEP_4)
	v_dual_mul_f32 v7, v17, v17 :: v_dual_sub_f32 v20, v19, v22
	v_mul_f32_e32 v26, v24, v22
	s_delay_alu instid0(VALU_DEP_3)
	v_dual_sub_f32 v28, v21, v23 :: v_dual_mul_f32 v19, v22, v22
	v_add_f32_e32 v21, v22, v22
	v_add_f32_e32 v29, v23, v23
	v_dual_mul_f32 v17, v27, v23 :: v_dual_mul_f32 v22, v24, v20
	v_mul_f32_e32 v25, v23, v23
	v_mul_f32_e32 v24, v27, v28
	v_mul_f32_e32 v23, v21, v20
	v_mul_f32_e32 v20, v20, v20
	v_mul_f32_e32 v21, v29, v28
	v_mul_f32_e32 v27, v28, v28
.LBB193_84:                             ;   Parent Loop BB193_5 Depth=1
                                        ; =>  This Inner Loop Header: Depth=2
	v_cmp_nlt_f32_e32 vcc_lo, v7, v18
	s_delay_alu instid0(VALU_DEP_2) | instskip(SKIP_1) | instid1(VALU_DEP_1)
	v_mov_b32_e32 v29, v27
	v_dual_cndmask_b32 v28, v7, v18 :: v_dual_cndmask_b32 v7, v18, v7
	v_cmp_nlt_f32_e64 s3, v28, v26
	s_delay_alu instid0(VALU_DEP_1) | instskip(SKIP_2) | instid1(VALU_DEP_2)
	v_cndmask_b32_e64 v27, v28, v26, s3
	v_cndmask_b32_e64 v18, v26, v28, s3
	s_and_b32 s27, vcc_lo, s3
	v_cmp_nlt_f32_e64 s4, v27, v17
	s_delay_alu instid0(VALU_DEP_1) | instskip(SKIP_1) | instid1(VALU_DEP_2)
	v_cndmask_b32_e64 v30, v27, v17, s4
	v_cndmask_b32_e64 v26, v17, v27, s4
	v_cmp_nlt_f32_e64 s5, v30, v19
	s_delay_alu instid0(VALU_DEP_1) | instskip(SKIP_2) | instid1(VALU_DEP_2)
	v_cndmask_b32_e64 v28, v30, v19, s5
	v_cndmask_b32_e64 v17, v19, v30, s5
	s_and_b32 s28, s4, s5
	v_cmp_nlt_f32_e64 s6, v28, v25
	s_delay_alu instid0(VALU_DEP_1) | instskip(SKIP_1) | instid1(VALU_DEP_2)
	v_cndmask_b32_e64 v31, v28, v25, s6
	v_cndmask_b32_e64 v19, v25, v28, s6
	v_cmp_nlt_f32_e64 s7, v31, v22
	s_delay_alu instid0(VALU_DEP_1) | instskip(SKIP_2) | instid1(VALU_DEP_2)
	v_cndmask_b32_e64 v32, v31, v22, s7
	s_and_b32 s5, s6, s7
	v_cndmask_b32_e64 v25, v22, v31, s7
	v_cmp_nlt_f32_e64 s8, v32, v24
	s_delay_alu instid0(VALU_DEP_1) | instskip(SKIP_2) | instid1(VALU_DEP_2)
	v_cndmask_b32_e64 v33, v32, v24, s8
	s_and_b32 s5, s5, s8
	v_cndmask_b32_e64 v22, v24, v32, s8
	v_cmp_nlt_f32_e32 vcc_lo, v33, v23
	v_cndmask_b32_e32 v34, v33, v23, vcc_lo
	s_and_b32 s6, s5, vcc_lo
	v_cndmask_b32_e32 v24, v23, v33, vcc_lo
	s_delay_alu instid0(VALU_DEP_2) | instskip(NEXT) | instid1(VALU_DEP_1)
	v_cmp_nlt_f32_e64 s3, v34, v21
	v_cndmask_b32_e64 v30, v34, v21, s3
	s_and_b32 s6, s6, s3
	v_cndmask_b32_e64 v23, v21, v34, s3
	s_delay_alu instid0(VALU_DEP_2) | instskip(NEXT) | instid1(VALU_DEP_1)
	v_cmp_nlt_f32_e64 s4, v30, v20
	v_cndmask_b32_e64 v28, v30, v20, s4
	s_and_b32 s6, s6, s4
	v_cndmask_b32_e64 v21, v20, v30, s4
	s_delay_alu instid0(VALU_DEP_2) | instskip(NEXT) | instid1(VALU_DEP_1)
	v_cmp_nlt_f32_e64 s5, v28, v29
	s_and_b32 s6, s6, s5
	v_cndmask_b32_e64 v27, v28, v29, s5
	s_and_b32 s3, s6, s28
	v_cndmask_b32_e64 v20, v29, v28, s5
	s_and_b32 s3, s3, s27
	s_delay_alu instid0(SALU_CYCLE_1) | instskip(NEXT) | instid1(SALU_CYCLE_1)
	s_and_b32 s3, exec_lo, s3
	s_or_b32 s26, s3, s26
	s_delay_alu instid0(SALU_CYCLE_1)
	s_and_not1_b32 exec_lo, exec_lo, s26
	s_cbranch_execnz .LBB193_84
; %bb.85:                               ;   in Loop: Header=BB193_5 Depth=1
	s_or_b32 exec_lo, exec_lo, s26
	v_add_f32_e32 v7, -1.0, v7
	v_cmp_class_f32_e64 s4, v1, 0x204
	s_delay_alu instid0(VALU_DEP_2) | instskip(NEXT) | instid1(VALU_DEP_1)
	v_add_f32_e32 v7, v7, v18
	v_add_f32_e32 v7, v7, v26
	s_delay_alu instid0(VALU_DEP_1) | instskip(NEXT) | instid1(VALU_DEP_1)
	v_add_f32_e32 v7, v7, v17
	v_add_f32_e32 v7, v7, v19
	s_delay_alu instid0(VALU_DEP_1) | instskip(NEXT) | instid1(VALU_DEP_1)
	v_add_f32_e32 v7, v7, v25
	v_add_f32_e32 v7, v7, v22
	s_delay_alu instid0(VALU_DEP_1) | instskip(NEXT) | instid1(VALU_DEP_1)
	v_add_f32_e32 v7, v7, v24
	v_add_f32_e32 v7, v7, v23
	s_delay_alu instid0(VALU_DEP_1) | instskip(NEXT) | instid1(VALU_DEP_1)
	v_add_f32_e32 v7, v7, v21
	v_add_f32_e32 v7, v7, v20
	s_delay_alu instid0(VALU_DEP_1) | instskip(NEXT) | instid1(VALU_DEP_1)
	v_add_f32_e32 v7, v27, v7
	v_add_f32_e32 v19, 1.0, v7
	s_delay_alu instid0(VALU_DEP_1) | instskip(NEXT) | instid1(VALU_DEP_1)
	v_cvt_f64_f32_e32 v[17:18], v19
	v_frexp_exp_i32_f64_e32 v17, v[17:18]
	v_frexp_mant_f32_e32 v18, v19
	s_delay_alu instid0(VALU_DEP_1) | instskip(SKIP_1) | instid1(VALU_DEP_1)
	v_cmp_gt_f32_e32 vcc_lo, 0x3f2aaaab, v18
	v_add_f32_e32 v18, -1.0, v19
	v_dual_sub_f32 v21, v18, v19 :: v_dual_sub_f32 v18, v7, v18
	s_delay_alu instid0(VALU_DEP_1) | instskip(NEXT) | instid1(VALU_DEP_1)
	v_add_f32_e32 v21, 1.0, v21
	v_add_f32_e32 v18, v18, v21
	v_subrev_co_ci_u32_e32 v17, vcc_lo, 0, v17, vcc_lo
	s_delay_alu instid0(VALU_DEP_1) | instskip(SKIP_1) | instid1(VALU_DEP_2)
	v_sub_nc_u32_e32 v20, 0, v17
	v_cvt_f32_i32_e32 v17, v17
	v_ldexp_f32 v19, v19, v20
	v_ldexp_f32 v18, v18, v20
	s_delay_alu instid0(VALU_DEP_2) | instskip(NEXT) | instid1(VALU_DEP_1)
	v_add_f32_e32 v22, 1.0, v19
	v_dual_add_f32 v20, -1.0, v19 :: v_dual_add_f32 v21, -1.0, v22
	s_delay_alu instid0(VALU_DEP_1) | instskip(NEXT) | instid1(VALU_DEP_2)
	v_add_f32_e32 v23, 1.0, v20
	v_sub_f32_e32 v21, v19, v21
	s_delay_alu instid0(VALU_DEP_2) | instskip(NEXT) | instid1(VALU_DEP_2)
	v_sub_f32_e32 v19, v19, v23
	v_add_f32_e32 v21, v18, v21
	s_delay_alu instid0(VALU_DEP_2) | instskip(NEXT) | instid1(VALU_DEP_1)
	v_add_f32_e32 v18, v18, v19
	v_dual_add_f32 v23, v22, v21 :: v_dual_add_f32 v24, v20, v18
	s_delay_alu instid0(VALU_DEP_1) | instskip(SKIP_1) | instid1(VALU_DEP_1)
	v_rcp_f32_e32 v19, v23
	v_sub_f32_e32 v22, v23, v22
	v_dual_sub_f32 v20, v24, v20 :: v_dual_sub_f32 v21, v21, v22
	s_delay_alu instid0(VALU_DEP_1) | instskip(SKIP_4) | instid1(VALU_DEP_1)
	v_sub_f32_e32 v18, v18, v20
	v_cmp_eq_f32_e32 vcc_lo, 0x7f800000, v7
	v_cmp_neq_f32_e64 s3, -1.0, v7
	s_waitcnt_depctr 0xfff
	v_mul_f32_e32 v25, v24, v19
	v_mul_f32_e32 v26, v23, v25
	s_delay_alu instid0(VALU_DEP_1) | instskip(NEXT) | instid1(VALU_DEP_1)
	v_fma_f32 v22, v25, v23, -v26
	v_fmac_f32_e32 v22, v25, v21
	s_delay_alu instid0(VALU_DEP_1) | instskip(NEXT) | instid1(VALU_DEP_1)
	v_add_f32_e32 v27, v26, v22
	v_sub_f32_e32 v28, v24, v27
	v_sub_f32_e32 v20, v27, v26
	s_delay_alu instid0(VALU_DEP_2) | instskip(NEXT) | instid1(VALU_DEP_2)
	v_sub_f32_e32 v24, v24, v28
	v_sub_f32_e32 v20, v20, v22
	s_delay_alu instid0(VALU_DEP_2) | instskip(NEXT) | instid1(VALU_DEP_1)
	v_sub_f32_e32 v24, v24, v27
	v_add_f32_e32 v18, v18, v24
	s_delay_alu instid0(VALU_DEP_1) | instskip(NEXT) | instid1(VALU_DEP_1)
	v_add_f32_e32 v18, v20, v18
	v_add_f32_e32 v20, v28, v18
	s_delay_alu instid0(VALU_DEP_1) | instskip(NEXT) | instid1(VALU_DEP_1)
	v_mul_f32_e32 v22, v19, v20
	v_dual_mul_f32 v24, v23, v22 :: v_dual_sub_f32 v27, v28, v20
	s_delay_alu instid0(VALU_DEP_1) | instskip(NEXT) | instid1(VALU_DEP_2)
	v_fma_f32 v23, v22, v23, -v24
	v_add_f32_e32 v18, v18, v27
	s_delay_alu instid0(VALU_DEP_2) | instskip(NEXT) | instid1(VALU_DEP_1)
	v_fmac_f32_e32 v23, v22, v21
	v_add_f32_e32 v21, v24, v23
	s_delay_alu instid0(VALU_DEP_1) | instskip(NEXT) | instid1(VALU_DEP_1)
	v_sub_f32_e32 v26, v20, v21
	v_sub_f32_e32 v20, v20, v26
	s_delay_alu instid0(VALU_DEP_1) | instskip(NEXT) | instid1(VALU_DEP_1)
	v_sub_f32_e32 v20, v20, v21
	v_add_f32_e32 v18, v18, v20
	v_add_f32_e32 v20, v25, v22
	v_sub_f32_e32 v24, v21, v24
	s_delay_alu instid0(VALU_DEP_1) | instskip(SKIP_1) | instid1(VALU_DEP_2)
	v_sub_f32_e32 v21, v24, v23
	v_max_f32_e64 v23, |v2|, |v2|
	v_dual_add_f32 v18, v21, v18 :: v_dual_sub_f32 v21, v20, v25
	s_delay_alu instid0(VALU_DEP_1) | instskip(NEXT) | instid1(VALU_DEP_2)
	v_sub_f32_e32 v21, v22, v21
	v_add_f32_e32 v18, v26, v18
	s_delay_alu instid0(VALU_DEP_1) | instskip(NEXT) | instid1(VALU_DEP_1)
	v_mul_f32_e32 v18, v19, v18
	v_add_f32_e32 v18, v21, v18
	s_delay_alu instid0(VALU_DEP_1) | instskip(NEXT) | instid1(VALU_DEP_1)
	v_add_f32_e32 v19, v20, v18
	v_mul_f32_e32 v21, v19, v19
	s_delay_alu instid0(VALU_DEP_1) | instskip(SKIP_3) | instid1(VALU_DEP_4)
	v_fmaak_f32 v22, s14, v21, 0x3ecc95a3
	v_mul_f32_e32 v24, v19, v21
	v_ldexp_f32 v25, v19, 1
	v_sub_f32_e32 v19, v19, v20
	v_fmaak_f32 v21, v21, v22, 0x3f2aaada
	v_max_f32_e64 v22, |v1|, |v1|
	s_delay_alu instid0(VALU_DEP_2) | instskip(NEXT) | instid1(VALU_DEP_1)
	v_dual_sub_f32 v18, v18, v19 :: v_dual_mul_f32 v21, v24, v21
	v_ldexp_f32 v18, v18, 1
	s_delay_alu instid0(VALU_DEP_2) | instskip(NEXT) | instid1(VALU_DEP_1)
	v_add_f32_e32 v20, v25, v21
	v_dual_max_f32 v24, v22, v23 :: v_dual_sub_f32 v19, v20, v25
	s_delay_alu instid0(VALU_DEP_1) | instskip(NEXT) | instid1(VALU_DEP_1)
	v_dual_mul_f32 v26, 0x3f317218, v17 :: v_dual_sub_f32 v19, v21, v19
	v_fma_f32 v27, 0x3f317218, v17, -v26
	v_min_f32_e32 v22, v22, v23
	s_delay_alu instid0(VALU_DEP_4) | instskip(SKIP_1) | instid1(VALU_DEP_4)
	v_frexp_mant_f32_e32 v23, v24
	v_frexp_exp_i32_f32_e32 v24, v24
	v_fmac_f32_e32 v27, 0xb102e308, v17
	s_delay_alu instid0(VALU_DEP_4) | instskip(NEXT) | instid1(VALU_DEP_4)
	v_frexp_exp_i32_f32_e32 v25, v22
	v_rcp_f32_e32 v23, v23
	v_frexp_mant_f32_e32 v21, v22
	v_add_f32_e32 v17, v18, v19
	s_delay_alu instid0(VALU_DEP_3) | instskip(SKIP_3) | instid1(VALU_DEP_2)
	v_sub_nc_u32_e32 v22, v25, v24
	s_waitcnt_depctr 0xfff
	v_dual_mul_f32 v18, v21, v23 :: v_dual_add_f32 v21, v20, v17
	v_add_f32_e32 v19, v26, v27
	v_ldexp_f32 v18, v18, v22
	s_delay_alu instid0(VALU_DEP_3) | instskip(NEXT) | instid1(VALU_DEP_3)
	v_sub_f32_e32 v20, v21, v20
	v_add_f32_e32 v22, v19, v21
	v_sub_f32_e32 v26, v19, v26
	s_delay_alu instid0(VALU_DEP_4) | instskip(NEXT) | instid1(VALU_DEP_3)
	v_mul_f32_e32 v23, v18, v18
	v_dual_sub_f32 v17, v17, v20 :: v_dual_sub_f32 v24, v22, v19
	s_delay_alu instid0(VALU_DEP_1) | instskip(NEXT) | instid1(VALU_DEP_1)
	v_dual_fmaak_f32 v25, s16, v23, 0xbc7a590c :: v_dual_sub_f32 v20, v21, v24
	v_dual_fmaak_f32 v25, v23, v25, 0x3d29fb3f :: v_dual_sub_f32 v28, v22, v24
	s_delay_alu instid0(VALU_DEP_1) | instskip(NEXT) | instid1(VALU_DEP_2)
	v_fmaak_f32 v21, v23, v25, 0xbd97d4d7
	v_sub_f32_e32 v19, v19, v28
	s_delay_alu instid0(VALU_DEP_1) | instskip(NEXT) | instid1(VALU_DEP_1)
	v_dual_sub_f32 v26, v27, v26 :: v_dual_add_f32 v19, v20, v19
	v_add_f32_e32 v24, v26, v17
	s_delay_alu instid0(VALU_DEP_1) | instskip(NEXT) | instid1(VALU_DEP_1)
	v_dual_fmaak_f32 v20, v23, v21, 0x3dd931b2 :: v_dual_add_f32 v19, v24, v19
	v_dual_sub_f32 v21, v24, v26 :: v_dual_fmaak_f32 v20, v23, v20, 0xbe1160e6
	s_delay_alu instid0(VALU_DEP_2) | instskip(NEXT) | instid1(VALU_DEP_2)
	v_add_f32_e32 v25, v22, v19
	v_dual_sub_f32 v17, v17, v21 :: v_dual_fmaak_f32 v20, v23, v20, 0x3e4cb8bf
	s_delay_alu instid0(VALU_DEP_2) | instskip(NEXT) | instid1(VALU_DEP_1)
	v_sub_f32_e32 v22, v25, v22
	v_dual_sub_f32 v24, v24, v21 :: v_dual_sub_f32 v19, v19, v22
	s_delay_alu instid0(VALU_DEP_1) | instskip(NEXT) | instid1(VALU_DEP_1)
	v_sub_f32_e32 v21, v26, v24
	v_dual_fmaak_f32 v20, v23, v20, 0xbeaaaa62 :: v_dual_add_f32 v17, v17, v21
	s_delay_alu instid0(VALU_DEP_1) | instskip(NEXT) | instid1(VALU_DEP_1)
	v_dual_mul_f32 v20, v23, v20 :: v_dual_add_f32 v17, v17, v19
	v_dual_fmac_f32 v18, v18, v20 :: v_dual_add_f32 v17, v25, v17
	s_delay_alu instid0(VALU_DEP_1) | instskip(NEXT) | instid1(VALU_DEP_2)
	v_sub_f32_e32 v19, 0x3fc90fdb, v18
	v_cndmask_b32_e32 v17, v17, v7, vcc_lo
	v_cmp_gt_i32_e32 vcc_lo, 0, v1
	s_delay_alu instid0(VALU_DEP_3) | instskip(SKIP_2) | instid1(VALU_DEP_3)
	v_cndmask_b32_e64 v18, v18, v19, s2
	v_cndmask_b32_e64 v19, 0, 0x40490fdb, vcc_lo
	v_cmp_ngt_f32_e32 vcc_lo, -1.0, v7
	v_sub_f32_e32 v20, 0x40490fdb, v18
	v_cndmask_b32_e32 v17, 0x7fc00000, v17, vcc_lo
	v_cmp_gt_f32_e32 vcc_lo, 0, v1
	s_delay_alu instid0(VALU_DEP_2) | instskip(NEXT) | instid1(VALU_DEP_4)
	v_cndmask_b32_e64 v17, 0xff800000, v17, s3
	v_cndmask_b32_e32 v18, v18, v20, vcc_lo
	v_cndmask_b32_e32 v20, 0x3f490fdb, v13, vcc_lo
	v_cmp_gt_f32_e64 vcc_lo, 0x33800000, |v7|
	v_cmp_class_f32_e64 s3, v2, 0x204
	v_cndmask_b32_e32 v7, v17, v7, vcc_lo
	v_cmp_eq_f32_e32 vcc_lo, 0, v2
	s_delay_alu instid0(VALU_DEP_2) | instskip(SKIP_2) | instid1(VALU_DEP_1)
	v_mul_f32_e32 v7, 0.5, v7
	v_cndmask_b32_e32 v17, v18, v19, vcc_lo
	s_and_b32 vcc_lo, s4, s3
	v_cndmask_b32_e32 v17, v17, v20, vcc_lo
.LBB193_86:                             ;   in Loop: Header=BB193_5 Depth=1
	s_or_b32 exec_lo, exec_lo, s25
.LBB193_87:                             ;   in Loop: Header=BB193_5 Depth=1
	s_delay_alu instid0(SALU_CYCLE_1)
	s_or_b32 exec_lo, exec_lo, s24
.LBB193_88:                             ;   in Loop: Header=BB193_5 Depth=1
	s_and_not1_saveexec_b32 s4, s23
	s_cbranch_execz .LBB193_90
; %bb.89:                               ;   in Loop: Header=BB193_5 Depth=1
	v_max_f32_e64 v7, |v2|, |v2|
	v_max_f32_e64 v19, |v1|, |v1|
	v_cmp_gt_i32_e64 s3, 0, v1
	v_cmp_class_f32_e64 s5, v1, 0x204
	v_cmp_class_f32_e64 s6, v2, 0x204
	s_delay_alu instid0(VALU_DEP_4) | instskip(SKIP_1) | instid1(VALU_DEP_2)
	v_max_f32_e32 v20, v19, v7
	v_min_f32_e32 v7, v19, v7
	v_cvt_f64_f32_e32 v[17:18], v20
	v_frexp_exp_i32_f32_e32 v19, v20
	s_delay_alu instid0(VALU_DEP_3) | instskip(SKIP_1) | instid1(VALU_DEP_2)
	v_frexp_exp_i32_f32_e32 v21, v7
	v_frexp_mant_f32_e32 v7, v7
	v_sub_nc_u32_e32 v19, v21, v19
	v_frexp_exp_i32_f64_e32 v17, v[17:18]
	v_frexp_mant_f32_e32 v18, v20
	s_delay_alu instid0(VALU_DEP_1) | instskip(SKIP_2) | instid1(VALU_DEP_1)
	v_rcp_f32_e32 v18, v18
	s_waitcnt_depctr 0xfff
	v_mul_f32_e32 v7, v7, v18
	v_ldexp_f32 v7, v7, v19
	s_delay_alu instid0(VALU_DEP_1) | instskip(SKIP_1) | instid1(VALU_DEP_1)
	v_mul_f32_e32 v21, v7, v7
	v_sub_nc_u32_e32 v22, 0, v17
	v_ldexp_f32 v18, |v2|, v22
	v_ldexp_f32 v19, |v1|, v22
	s_delay_alu instid0(VALU_DEP_2) | instskip(NEXT) | instid1(VALU_DEP_1)
	v_mul_f32_e32 v18, v18, v18
	v_dual_fmac_f32 v18, v19, v19 :: v_dual_fmaak_f32 v19, s16, v21, 0xbc7a590c
	v_cmp_neq_f32_e32 vcc_lo, 0x7f800000, v20
	s_delay_alu instid0(VALU_DEP_2) | instskip(NEXT) | instid1(VALU_DEP_2)
	v_sqrt_f32_e32 v18, v18
	v_fmaak_f32 v19, v21, v19, 0x3d29fb3f
	s_delay_alu instid0(VALU_DEP_1) | instskip(SKIP_3) | instid1(VALU_DEP_2)
	v_fmaak_f32 v19, v21, v19, 0xbd97d4d7
	s_waitcnt_depctr 0xfff
	v_ldexp_f32 v17, v18, v17
	v_fmaak_f32 v18, v21, v19, 0x3dd931b2
	v_cndmask_b32_e32 v17, 0x7f800000, v17, vcc_lo
	s_delay_alu instid0(VALU_DEP_2) | instskip(NEXT) | instid1(VALU_DEP_2)
	v_fmaak_f32 v18, v21, v18, 0xbe1160e6
	v_cmp_gt_f32_e32 vcc_lo, 0x800000, v17
	s_delay_alu instid0(VALU_DEP_2) | instskip(SKIP_1) | instid1(VALU_DEP_2)
	v_fmaak_f32 v18, v21, v18, 0x3e4cb8bf
	v_cndmask_b32_e64 v19, 1.0, 0x4f800000, vcc_lo
	v_fmaak_f32 v18, v21, v18, 0xbeaaaa62
	s_delay_alu instid0(VALU_DEP_2) | instskip(NEXT) | instid1(VALU_DEP_2)
	v_mul_f32_e32 v17, v17, v19
	v_mul_f32_e32 v18, v21, v18
	s_delay_alu instid0(VALU_DEP_2) | instskip(SKIP_2) | instid1(VALU_DEP_1)
	v_log_f32_e32 v17, v17
	s_waitcnt_depctr 0xfff
	v_dual_fmac_f32 v7, v7, v18 :: v_dual_mul_f32 v18, 0x3f317217, v17
	v_fma_f32 v20, 0x3f317217, v17, -v18
	s_delay_alu instid0(VALU_DEP_1) | instskip(NEXT) | instid1(VALU_DEP_1)
	v_fmac_f32_e32 v20, 0x3377d1cf, v17
	v_dual_sub_f32 v19, 0x3fc90fdb, v7 :: v_dual_add_f32 v18, v18, v20
	s_delay_alu instid0(VALU_DEP_1) | instskip(SKIP_2) | instid1(VALU_DEP_3)
	v_cndmask_b32_e64 v7, v7, v19, s2
	v_cndmask_b32_e64 v19, 0, 0x40490fdb, s3
	v_cmp_gt_f32_e64 s3, 0, v1
	v_sub_f32_e32 v21, 0x40490fdb, v7
	s_delay_alu instid0(VALU_DEP_2) | instskip(NEXT) | instid1(VALU_DEP_2)
	v_cndmask_b32_e64 v20, 0x3f490fdb, v13, s3
	v_cndmask_b32_e64 v7, v7, v21, s3
	v_cndmask_b32_e64 v21, 0, 0x41b17218, vcc_lo
	v_cmp_gt_f32_e64 vcc_lo, 0x7f800000, |v17|
	v_cndmask_b32_e32 v17, v17, v18, vcc_lo
	v_cmp_eq_f32_e32 vcc_lo, 0, v2
	v_cndmask_b32_e32 v18, v7, v19, vcc_lo
	s_and_b32 vcc_lo, s5, s6
	s_delay_alu instid0(VALU_DEP_3) | instskip(NEXT) | instid1(VALU_DEP_2)
	v_sub_f32_e32 v7, v17, v21
	v_cndmask_b32_e32 v17, v18, v20, vcc_lo
.LBB193_90:                             ;   in Loop: Header=BB193_5 Depth=1
	s_or_b32 exec_lo, exec_lo, s4
                                        ; implicit-def: $vgpr18
.LBB193_91:                             ;   in Loop: Header=BB193_5 Depth=1
	s_and_not1_saveexec_b32 s4, s22
	s_cbranch_execz .LBB193_97
; %bb.92:                               ;   in Loop: Header=BB193_5 Depth=1
                                        ; implicit-def: $vgpr7
                                        ; implicit-def: $vgpr17
	s_mov_b32 s3, exec_lo
	v_cmpx_ngt_f32_e32 0x1fec1e4a, v18
	s_xor_b32 s5, exec_lo, s3
	s_cbranch_execz .LBB193_94
; %bb.93:                               ;   in Loop: Header=BB193_5 Depth=1
	v_mul_f32_e32 v7, v18, v18
	v_cmp_gt_f32_e64 s3, 0, v1
	v_cmp_class_f32_e64 s6, v1, 0x204
	v_cmp_class_f32_e64 s8, v2, 0x204
	s_delay_alu instid0(VALU_DEP_4) | instskip(NEXT) | instid1(VALU_DEP_1)
	v_add_f32_e32 v19, 1.0, v7
	v_cvt_f64_f32_e32 v[17:18], v19
	s_delay_alu instid0(VALU_DEP_1) | instskip(SKIP_1) | instid1(VALU_DEP_1)
	v_frexp_exp_i32_f64_e32 v17, v[17:18]
	v_frexp_mant_f32_e32 v18, v19
	v_cmp_gt_f32_e32 vcc_lo, 0x3f2aaaab, v18
	v_add_f32_e32 v18, -1.0, v19
	v_cmp_gt_f32_e64 s7, 0x33800000, |v7|
	s_delay_alu instid0(VALU_DEP_2) | instskip(SKIP_2) | instid1(VALU_DEP_2)
	v_dual_sub_f32 v21, v18, v19 :: v_dual_sub_f32 v18, v7, v18
	v_subrev_co_ci_u32_e32 v17, vcc_lo, 0, v17, vcc_lo
	v_cmp_gt_i32_e32 vcc_lo, 0, v1
	v_sub_nc_u32_e32 v20, 0, v17
	v_cvt_f32_i32_e32 v17, v17
	s_delay_alu instid0(VALU_DEP_2) | instskip(NEXT) | instid1(VALU_DEP_1)
	v_ldexp_f32 v19, v19, v20
	v_dual_add_f32 v21, 1.0, v21 :: v_dual_add_f32 v22, 1.0, v19
	s_delay_alu instid0(VALU_DEP_1) | instskip(NEXT) | instid1(VALU_DEP_1)
	v_dual_add_f32 v18, v18, v21 :: v_dual_add_f32 v21, -1.0, v22
	v_ldexp_f32 v18, v18, v20
	s_delay_alu instid0(VALU_DEP_2) | instskip(NEXT) | instid1(VALU_DEP_1)
	v_dual_add_f32 v20, -1.0, v19 :: v_dual_sub_f32 v21, v19, v21
	v_add_f32_e32 v23, 1.0, v20
	s_delay_alu instid0(VALU_DEP_2) | instskip(NEXT) | instid1(VALU_DEP_2)
	v_add_f32_e32 v21, v18, v21
	v_sub_f32_e32 v19, v19, v23
	s_delay_alu instid0(VALU_DEP_1) | instskip(NEXT) | instid1(VALU_DEP_1)
	v_add_f32_e32 v18, v18, v19
	v_dual_add_f32 v24, v20, v18 :: v_dual_add_f32 v23, v22, v21
	s_delay_alu instid0(VALU_DEP_1) | instskip(NEXT) | instid1(VALU_DEP_2)
	v_sub_f32_e32 v20, v20, v24
	v_rcp_f32_e32 v19, v23
	v_sub_f32_e32 v22, v22, v23
	s_delay_alu instid0(VALU_DEP_1) | instskip(SKIP_2) | instid1(VALU_DEP_1)
	v_dual_add_f32 v18, v18, v20 :: v_dual_add_f32 v21, v21, v22
	s_waitcnt_depctr 0xfff
	v_mul_f32_e32 v25, v24, v19
	v_mul_f32_e32 v26, v23, v25
	s_delay_alu instid0(VALU_DEP_1) | instskip(NEXT) | instid1(VALU_DEP_1)
	v_fma_f32 v22, v25, v23, -v26
	v_fmac_f32_e32 v22, v25, v21
	s_delay_alu instid0(VALU_DEP_1) | instskip(NEXT) | instid1(VALU_DEP_1)
	v_add_f32_e32 v27, v26, v22
	v_sub_f32_e32 v28, v24, v27
	s_delay_alu instid0(VALU_DEP_1) | instskip(SKIP_1) | instid1(VALU_DEP_2)
	v_sub_f32_e32 v24, v24, v28
	v_sub_f32_e32 v20, v27, v26
	;; [unrolled: 1-line block ×3, first 2 shown]
	s_delay_alu instid0(VALU_DEP_2) | instskip(NEXT) | instid1(VALU_DEP_2)
	v_sub_f32_e32 v20, v20, v22
	v_add_f32_e32 v18, v18, v24
	s_delay_alu instid0(VALU_DEP_1) | instskip(NEXT) | instid1(VALU_DEP_1)
	v_add_f32_e32 v18, v20, v18
	v_add_f32_e32 v20, v28, v18
	s_delay_alu instid0(VALU_DEP_1) | instskip(NEXT) | instid1(VALU_DEP_1)
	v_mul_f32_e32 v22, v19, v20
	v_dual_sub_f32 v27, v28, v20 :: v_dual_mul_f32 v24, v23, v22
	s_delay_alu instid0(VALU_DEP_1) | instskip(NEXT) | instid1(VALU_DEP_2)
	v_add_f32_e32 v18, v18, v27
	v_fma_f32 v23, v22, v23, -v24
	s_delay_alu instid0(VALU_DEP_1) | instskip(NEXT) | instid1(VALU_DEP_1)
	v_fmac_f32_e32 v23, v22, v21
	v_add_f32_e32 v21, v24, v23
	s_delay_alu instid0(VALU_DEP_1) | instskip(SKIP_1) | instid1(VALU_DEP_2)
	v_sub_f32_e32 v26, v20, v21
	v_sub_f32_e32 v24, v21, v24
	;; [unrolled: 1-line block ×3, first 2 shown]
	s_delay_alu instid0(VALU_DEP_1) | instskip(NEXT) | instid1(VALU_DEP_1)
	v_sub_f32_e32 v20, v20, v21
	v_dual_sub_f32 v21, v24, v23 :: v_dual_add_f32 v18, v18, v20
	v_add_f32_e32 v20, v25, v22
	s_delay_alu instid0(VALU_DEP_1) | instskip(NEXT) | instid1(VALU_DEP_1)
	v_dual_add_f32 v18, v21, v18 :: v_dual_sub_f32 v21, v20, v25
	v_add_f32_e32 v18, v26, v18
	s_delay_alu instid0(VALU_DEP_2) | instskip(SKIP_1) | instid1(VALU_DEP_3)
	v_sub_f32_e32 v21, v22, v21
	v_max_f32_e64 v22, |v1|, |v1|
	v_mul_f32_e32 v18, v19, v18
	v_max_f32_e64 v19, |v2|, |v2|
	s_delay_alu instid0(VALU_DEP_2) | instskip(NEXT) | instid1(VALU_DEP_2)
	v_add_f32_e32 v18, v21, v18
	v_max_f32_e32 v24, v22, v19
	v_min_f32_e32 v19, v22, v19
	s_delay_alu instid0(VALU_DEP_3) | instskip(NEXT) | instid1(VALU_DEP_3)
	v_add_f32_e32 v21, v20, v18
	v_frexp_mant_f32_e32 v26, v24
	v_frexp_exp_i32_f32_e32 v22, v24
	s_delay_alu instid0(VALU_DEP_3) | instskip(SKIP_2) | instid1(VALU_DEP_2)
	v_mul_f32_e32 v23, v21, v21
	v_sub_f32_e32 v20, v21, v20
	v_ldexp_f32 v27, v21, 1
	v_dual_fmaak_f32 v25, s14, v23, 0x3ecc95a3 :: v_dual_sub_f32 v18, v18, v20
	s_delay_alu instid0(VALU_DEP_1) | instskip(NEXT) | instid1(VALU_DEP_2)
	v_ldexp_f32 v18, v18, 1
	v_dual_mul_f32 v24, v21, v23 :: v_dual_fmaak_f32 v23, v23, v25, 0x3f2aaada
	v_rcp_f32_e32 v25, v26
	v_frexp_exp_i32_f32_e32 v26, v19
	v_frexp_mant_f32_e32 v19, v19
	s_delay_alu instid0(VALU_DEP_3) | instskip(NEXT) | instid1(VALU_DEP_3)
	v_dual_mul_f32 v23, v24, v23 :: v_dual_mul_f32 v24, 0x3f317218, v17
	v_sub_nc_u32_e32 v22, v26, v22
	s_delay_alu instid0(VALU_DEP_2) | instskip(SKIP_2) | instid1(VALU_DEP_1)
	v_add_f32_e32 v21, v27, v23
	s_waitcnt_depctr 0xfff
	v_mul_f32_e32 v19, v19, v25
	v_ldexp_f32 v19, v19, v22
	v_sub_f32_e32 v20, v21, v27
	v_fma_f32 v22, 0x3f317218, v17, -v24
	s_delay_alu instid0(VALU_DEP_2) | instskip(NEXT) | instid1(VALU_DEP_2)
	v_sub_f32_e32 v20, v23, v20
	v_dual_mul_f32 v23, v19, v19 :: v_dual_fmac_f32 v22, 0xb102e308, v17
	s_delay_alu instid0(VALU_DEP_1) | instskip(NEXT) | instid1(VALU_DEP_1)
	v_dual_add_f32 v17, v18, v20 :: v_dual_fmaak_f32 v18, s16, v23, 0xbc7a590c
	v_dual_add_f32 v20, v24, v22 :: v_dual_add_f32 v25, v21, v17
	s_delay_alu instid0(VALU_DEP_2) | instskip(NEXT) | instid1(VALU_DEP_2)
	v_fmaak_f32 v18, v23, v18, 0x3d29fb3f
	v_add_f32_e32 v26, v20, v25
	s_delay_alu instid0(VALU_DEP_2) | instskip(NEXT) | instid1(VALU_DEP_1)
	v_dual_fmaak_f32 v18, v23, v18, 0xbd97d4d7 :: v_dual_sub_f32 v21, v25, v21
	v_dual_sub_f32 v27, v26, v20 :: v_dual_fmaak_f32 v18, v23, v18, 0x3dd931b2
	s_delay_alu instid0(VALU_DEP_1) | instskip(SKIP_1) | instid1(VALU_DEP_3)
	v_dual_sub_f32 v17, v17, v21 :: v_dual_sub_f32 v28, v26, v27
	v_dual_sub_f32 v21, v25, v27 :: v_dual_sub_f32 v24, v20, v24
	v_fmaak_f32 v18, v23, v18, 0xbe1160e6
	s_delay_alu instid0(VALU_DEP_3) | instskip(NEXT) | instid1(VALU_DEP_3)
	v_sub_f32_e32 v20, v20, v28
	v_sub_f32_e32 v22, v22, v24
	s_delay_alu instid0(VALU_DEP_3) | instskip(NEXT) | instid1(VALU_DEP_3)
	v_fmaak_f32 v18, v23, v18, 0x3e4cb8bf
	v_add_f32_e32 v20, v21, v20
	s_delay_alu instid0(VALU_DEP_3) | instskip(NEXT) | instid1(VALU_DEP_3)
	v_add_f32_e32 v24, v22, v17
	v_fmaak_f32 v18, v23, v18, 0xbeaaaa62
	s_delay_alu instid0(VALU_DEP_2) | instskip(NEXT) | instid1(VALU_DEP_4)
	v_sub_f32_e32 v21, v24, v22
	v_add_f32_e32 v20, v24, v20
	s_delay_alu instid0(VALU_DEP_2) | instskip(NEXT) | instid1(VALU_DEP_1)
	v_dual_mul_f32 v18, v23, v18 :: v_dual_sub_f32 v23, v24, v21
	v_dual_add_f32 v24, v26, v20 :: v_dual_fmac_f32 v19, v19, v18
	s_delay_alu instid0(VALU_DEP_2) | instskip(NEXT) | instid1(VALU_DEP_2)
	v_dual_sub_f32 v17, v17, v21 :: v_dual_sub_f32 v18, v22, v23
	v_sub_f32_e32 v21, v24, v26
	s_delay_alu instid0(VALU_DEP_1) | instskip(SKIP_2) | instid1(VALU_DEP_3)
	v_dual_add_f32 v17, v17, v18 :: v_dual_sub_f32 v18, v20, v21
	v_cndmask_b32_e64 v20, 0, 0x40490fdb, vcc_lo
	v_cmp_eq_f32_e32 vcc_lo, 0x7f800000, v7
	v_add_f32_e32 v17, v17, v18
	s_or_b32 vcc_lo, vcc_lo, s7
	s_delay_alu instid0(VALU_DEP_1) | instskip(NEXT) | instid1(VALU_DEP_1)
	v_add_f32_e32 v17, v24, v17
	v_cndmask_b32_e32 v7, v17, v7, vcc_lo
	v_cmp_eq_f32_e32 vcc_lo, 0, v2
	v_sub_f32_e32 v22, 0x3fc90fdb, v19
	s_delay_alu instid0(VALU_DEP_3) | instskip(NEXT) | instid1(VALU_DEP_2)
	v_mul_f32_e32 v7, 0.5, v7
	v_cndmask_b32_e64 v19, v19, v22, s2
	s_delay_alu instid0(VALU_DEP_1) | instskip(NEXT) | instid1(VALU_DEP_1)
	v_sub_f32_e32 v18, 0x40490fdb, v19
	v_cndmask_b32_e64 v18, v19, v18, s3
	v_cndmask_b32_e64 v19, 0x3f490fdb, v13, s3
	s_delay_alu instid0(VALU_DEP_2) | instskip(SKIP_1) | instid1(VALU_DEP_1)
	v_cndmask_b32_e32 v17, v18, v20, vcc_lo
	s_and_b32 vcc_lo, s6, s8
                                        ; implicit-def: $vgpr18
	v_cndmask_b32_e32 v17, v17, v19, vcc_lo
.LBB193_94:                             ;   in Loop: Header=BB193_5 Depth=1
	s_and_not1_saveexec_b32 s5, s5
	s_cbranch_execz .LBB193_96
; %bb.95:                               ;   in Loop: Header=BB193_5 Depth=1
	v_max_f32_e64 v7, |v2|, |v2|
	v_max_f32_e64 v17, |v1|, |v1|
	v_cmp_gt_i32_e32 vcc_lo, 0, v1
	v_cmp_eq_f32_e64 s3, 0, v2
	v_cmp_class_f32_e64 s6, v1, 0x204
	v_cmp_class_f32_e64 s7, v2, 0x204
	v_max_f32_e32 v19, v17, v7
	v_min_f32_e32 v7, v17, v7
	s_delay_alu instid0(VALU_DEP_2) | instskip(SKIP_1) | instid1(VALU_DEP_2)
	v_frexp_mant_f32_e32 v20, v19
	v_frexp_exp_i32_f32_e32 v19, v19
	v_rcp_f32_e32 v17, v20
	s_delay_alu instid0(VALU_DEP_3) | instskip(SKIP_1) | instid1(VALU_DEP_2)
	v_frexp_exp_i32_f32_e32 v20, v7
	v_frexp_mant_f32_e32 v7, v7
	v_sub_nc_u32_e32 v19, v20, v19
	s_waitcnt_depctr 0xfff
	v_mul_f32_e32 v7, v7, v17
	s_delay_alu instid0(VALU_DEP_1) | instskip(NEXT) | instid1(VALU_DEP_1)
	v_ldexp_f32 v7, v7, v19
	v_mul_f32_e32 v17, v7, v7
	s_delay_alu instid0(VALU_DEP_1) | instskip(NEXT) | instid1(VALU_DEP_1)
	v_fmaak_f32 v19, s16, v17, 0xbc7a590c
	v_fmaak_f32 v19, v17, v19, 0x3d29fb3f
	s_delay_alu instid0(VALU_DEP_1) | instskip(NEXT) | instid1(VALU_DEP_1)
	v_fmaak_f32 v19, v17, v19, 0xbd97d4d7
	v_fmaak_f32 v19, v17, v19, 0x3dd931b2
	;; [unrolled: 3-line block ×3, first 2 shown]
	s_delay_alu instid0(VALU_DEP_1) | instskip(NEXT) | instid1(VALU_DEP_1)
	v_fmaak_f32 v19, v17, v19, 0xbeaaaa62
	v_mul_f32_e32 v17, v17, v19
	v_cndmask_b32_e64 v19, 0, 0x40490fdb, vcc_lo
	v_cmp_gt_f32_e32 vcc_lo, 0, v1
	s_delay_alu instid0(VALU_DEP_3) | instskip(SKIP_1) | instid1(VALU_DEP_2)
	v_fmac_f32_e32 v7, v7, v17
	v_cndmask_b32_e32 v20, 0x3f490fdb, v13, vcc_lo
	v_sub_f32_e32 v17, 0x3fc90fdb, v7
	s_delay_alu instid0(VALU_DEP_1) | instskip(NEXT) | instid1(VALU_DEP_1)
	v_cndmask_b32_e64 v7, v7, v17, s2
	v_sub_f32_e32 v17, 0x40490fdb, v7
	s_delay_alu instid0(VALU_DEP_1) | instskip(SKIP_2) | instid1(VALU_DEP_2)
	v_cndmask_b32_e32 v7, v7, v17, vcc_lo
	v_mul_f32_e32 v17, 0.5, v18
	s_and_b32 vcc_lo, s6, s7
	v_cndmask_b32_e64 v19, v7, v19, s3
	s_delay_alu instid0(VALU_DEP_2) | instskip(NEXT) | instid1(VALU_DEP_2)
	v_mul_f32_e32 v7, v18, v17
	v_cndmask_b32_e32 v17, v19, v20, vcc_lo
.LBB193_96:                             ;   in Loop: Header=BB193_5 Depth=1
	s_or_b32 exec_lo, exec_lo, s5
.LBB193_97:                             ;   in Loop: Header=BB193_5 Depth=1
	s_delay_alu instid0(SALU_CYCLE_1)
	s_or_b32 exec_lo, exec_lo, s4
.LBB193_98:                             ;   in Loop: Header=BB193_5 Depth=1
	s_and_not1_saveexec_b32 s4, s21
	s_cbranch_execz .LBB193_100
; %bb.99:                               ;   in Loop: Header=BB193_5 Depth=1
	v_div_scale_f32 v7, null, 0x402df854, 0x402df854, v1
	v_div_scale_f32 v17, null, 0x402df854, 0x402df854, v2
	v_div_scale_f32 v22, vcc_lo, v1, 0x402df854, v1
	s_delay_alu instid0(VALU_DEP_3) | instskip(NEXT) | instid1(VALU_DEP_2)
	v_rcp_f32_e32 v18, v7
	v_rcp_f32_e32 v19, v17
	v_cmp_class_f32_e64 s5, v2, 0x204
	s_waitcnt_depctr 0xfff
	v_fma_f32 v20, -v7, v18, 1.0
	v_fma_f32 v21, -v17, v19, 1.0
	s_delay_alu instid0(VALU_DEP_1) | instskip(SKIP_1) | instid1(VALU_DEP_2)
	v_dual_fmac_f32 v18, v20, v18 :: v_dual_fmac_f32 v19, v21, v19
	v_div_scale_f32 v20, s3, v2, 0x402df854, v2
	v_mul_f32_e32 v21, v22, v18
	s_delay_alu instid0(VALU_DEP_1) | instskip(NEXT) | instid1(VALU_DEP_1)
	v_fma_f32 v24, -v7, v21, v22
	v_fmac_f32_e32 v21, v24, v18
	s_delay_alu instid0(VALU_DEP_1) | instskip(NEXT) | instid1(VALU_DEP_1)
	v_fma_f32 v7, -v7, v21, v22
	v_div_fmas_f32 v7, v7, v18, v21
	v_max_f32_e64 v21, |v1|, |v1|
	v_mul_f32_e32 v23, v20, v19
	s_mov_b32 vcc_lo, s3
	v_cmp_class_f32_e64 s3, v1, 0x204
	v_div_fixup_f32 v7, v7, 0x402df854, v1
	s_delay_alu instid0(VALU_DEP_3) | instskip(NEXT) | instid1(VALU_DEP_1)
	v_fma_f32 v25, -v17, v23, v20
	v_fmac_f32_e32 v23, v25, v19
	s_delay_alu instid0(VALU_DEP_1) | instskip(NEXT) | instid1(VALU_DEP_1)
	v_fma_f32 v17, -v17, v23, v20
	v_div_fmas_f32 v17, v17, v19, v23
	s_delay_alu instid0(VALU_DEP_1) | instskip(NEXT) | instid1(VALU_DEP_1)
	v_div_fixup_f32 v19, v17, 0x402df854, v2
	v_max_f32_e64 v20, |v7|, |v19|
	s_delay_alu instid0(VALU_DEP_1) | instskip(SKIP_1) | instid1(VALU_DEP_2)
	v_cvt_f64_f32_e32 v[17:18], v20
	v_cmp_neq_f32_e32 vcc_lo, 0x7f800000, v20
	v_frexp_exp_i32_f64_e32 v17, v[17:18]
	v_max_f32_e64 v18, |v2|, |v2|
	s_delay_alu instid0(VALU_DEP_1) | instskip(SKIP_1) | instid1(VALU_DEP_2)
	v_max_f32_e32 v22, v21, v18
	v_min_f32_e32 v18, v21, v18
	v_frexp_mant_f32_e32 v23, v22
	v_frexp_exp_i32_f32_e32 v22, v22
	s_delay_alu instid0(VALU_DEP_2) | instskip(SKIP_1) | instid1(VALU_DEP_1)
	v_rcp_f32_e32 v21, v23
	v_sub_nc_u32_e32 v23, 0, v17
	v_ldexp_f32 v19, |v19|, v23
	v_ldexp_f32 v7, |v7|, v23
	s_delay_alu instid0(VALU_DEP_2) | instskip(SKIP_2) | instid1(VALU_DEP_3)
	v_mul_f32_e32 v19, v19, v19
	v_frexp_exp_i32_f32_e32 v24, v18
	v_frexp_mant_f32_e32 v18, v18
	v_fmac_f32_e32 v19, v7, v7
	s_delay_alu instid0(VALU_DEP_3)
	v_sub_nc_u32_e32 v22, v24, v22
	s_delay_alu instid0(TRANS32_DEP_1) | instid1(VALU_DEP_3)
	v_mul_f32_e32 v18, v18, v21
	s_delay_alu instid0(VALU_DEP_3) | instskip(NEXT) | instid1(VALU_DEP_1)
	v_sqrt_f32_e32 v19, v19
	v_ldexp_f32 v18, v18, v22
	s_delay_alu instid0(VALU_DEP_1) | instskip(SKIP_3) | instid1(VALU_DEP_2)
	v_mul_f32_e32 v7, v18, v18
	s_waitcnt_depctr 0xfff
	v_ldexp_f32 v17, v19, v17
	v_fmaak_f32 v21, s16, v7, 0xbc7a590c
	v_cndmask_b32_e32 v17, 0x7f800000, v17, vcc_lo
	s_delay_alu instid0(VALU_DEP_2) | instskip(NEXT) | instid1(VALU_DEP_2)
	v_fmaak_f32 v21, v7, v21, 0x3d29fb3f
	v_cmp_gt_f32_e32 vcc_lo, 0x800000, v17
	s_delay_alu instid0(VALU_DEP_2) | instskip(SKIP_2) | instid1(VALU_DEP_3)
	v_fmaak_f32 v19, v7, v21, 0xbd97d4d7
	v_cndmask_b32_e64 v20, 1.0, 0x4f800000, vcc_lo
	v_cndmask_b32_e64 v21, 0, 0x41b17218, vcc_lo
	v_fmaak_f32 v19, v7, v19, 0x3dd931b2
	s_delay_alu instid0(VALU_DEP_3) | instskip(NEXT) | instid1(VALU_DEP_2)
	v_mul_f32_e32 v17, v17, v20
	v_fmaak_f32 v19, v7, v19, 0xbe1160e6
	s_delay_alu instid0(VALU_DEP_2) | instskip(NEXT) | instid1(VALU_DEP_1)
	v_log_f32_e32 v17, v17
	v_fmaak_f32 v19, v7, v19, 0x3e4cb8bf
	s_delay_alu instid0(VALU_DEP_1) | instskip(SKIP_3) | instid1(VALU_DEP_1)
	v_fmaak_f32 v19, v7, v19, 0xbeaaaa62
	s_waitcnt_depctr 0xfff
	v_cmp_gt_f32_e64 vcc_lo, 0x7f800000, |v17|
	v_mul_f32_e32 v7, v7, v19
	v_dual_mul_f32 v19, 0x3f317217, v17 :: v_dual_fmac_f32 v18, v18, v7
	s_delay_alu instid0(VALU_DEP_1) | instskip(NEXT) | instid1(VALU_DEP_2)
	v_fma_f32 v7, 0x3f317217, v17, -v19
	v_sub_f32_e32 v20, 0x3fc90fdb, v18
	s_delay_alu instid0(VALU_DEP_2) | instskip(NEXT) | instid1(VALU_DEP_2)
	v_fmac_f32_e32 v7, 0x3377d1cf, v17
	v_cndmask_b32_e64 v18, v18, v20, s2
	v_cmp_gt_i32_e64 s2, 0, v1
	s_delay_alu instid0(VALU_DEP_3) | instskip(NEXT) | instid1(VALU_DEP_3)
	v_add_f32_e32 v7, v19, v7
	v_sub_f32_e32 v19, 0x40490fdb, v18
	s_delay_alu instid0(VALU_DEP_3) | instskip(SKIP_1) | instid1(VALU_DEP_4)
	v_cndmask_b32_e64 v20, 0, 0x40490fdb, s2
	v_cmp_gt_f32_e64 s2, 0, v1
	v_cndmask_b32_e32 v7, v17, v7, vcc_lo
	v_cmp_eq_f32_e32 vcc_lo, 0, v2
	s_delay_alu instid0(VALU_DEP_3) | instskip(SKIP_1) | instid1(VALU_DEP_4)
	v_cndmask_b32_e64 v17, v18, v19, s2
	v_cndmask_b32_e64 v18, 0x3f490fdb, v13, s2
	v_sub_f32_e32 v7, v7, v21
	s_delay_alu instid0(VALU_DEP_3) | instskip(SKIP_1) | instid1(VALU_DEP_2)
	v_cndmask_b32_e32 v17, v17, v20, vcc_lo
	s_and_b32 vcc_lo, s3, s5
	v_add_f32_e32 v7, 1.0, v7
	s_delay_alu instid0(VALU_DEP_2)
	v_cndmask_b32_e32 v17, v17, v18, vcc_lo
.LBB193_100:                            ;   in Loop: Header=BB193_5 Depth=1
	s_or_b32 exec_lo, exec_lo, s4
.LBB193_101:                            ;   in Loop: Header=BB193_5 Depth=1
	s_and_not1_saveexec_b32 s2, s17
	s_cbranch_execz .LBB193_107
; %bb.102:                              ;   in Loop: Header=BB193_5 Depth=1
	v_cmp_ngt_f32_e64 s3, 0x20000000, |v1|
	v_cmp_ngt_f32_e64 s4, 0x20000000, |v2|
                                        ; implicit-def: $vgpr7
	s_delay_alu instid0(VALU_DEP_1) | instskip(NEXT) | instid1(SALU_CYCLE_1)
	s_or_b32 s3, s3, s4
	s_and_saveexec_b32 s4, s3
	s_delay_alu instid0(SALU_CYCLE_1)
	s_xor_b32 s3, exec_lo, s4
; %bb.103:                              ;   in Loop: Header=BB193_5 Depth=1
	v_mul_f32_e32 v7, v2, v2
	s_delay_alu instid0(VALU_DEP_1)
	v_fmac_f32_e32 v7, v1, v1
; %bb.104:                              ;   in Loop: Header=BB193_5 Depth=1
	s_and_not1_saveexec_b32 s3, s3
; %bb.105:                              ;   in Loop: Header=BB193_5 Depth=1
	v_mul_f32_e32 v7, 4.0, v2
	v_mul_f32_e32 v1, 4.0, v1
	s_delay_alu instid0(VALU_DEP_2) | instskip(NEXT) | instid1(VALU_DEP_1)
	v_mul_f32_e32 v7, v7, v7
	v_fmac_f32_e32 v7, v1, v1
	s_delay_alu instid0(VALU_DEP_1)
	v_mul_f32_e32 v7, 0x3d800000, v7
; %bb.106:                              ;   in Loop: Header=BB193_5 Depth=1
	s_or_b32 exec_lo, exec_lo, s3
	s_delay_alu instid0(VALU_DEP_1) | instskip(SKIP_1) | instid1(VALU_DEP_1)
	v_cmp_gt_f32_e32 vcc_lo, 0x800000, v7
	v_cndmask_b32_e64 v1, 1.0, 0x4f800000, vcc_lo
	v_mul_f32_e32 v1, v7, v1
	s_delay_alu instid0(VALU_DEP_1) | instskip(SKIP_2) | instid1(VALU_DEP_1)
	v_log_f32_e32 v1, v1
	s_waitcnt_depctr 0xfff
	v_mul_f32_e32 v7, 0x3f317217, v1
	v_fma_f32 v17, 0x3f317217, v1, -v7
	s_delay_alu instid0(VALU_DEP_1) | instskip(NEXT) | instid1(VALU_DEP_1)
	v_fmac_f32_e32 v17, 0x3377d1cf, v1
	v_add_f32_e32 v7, v7, v17
	v_cndmask_b32_e64 v17, 0, 0x41b17218, vcc_lo
	v_cmp_gt_f32_e64 vcc_lo, 0x7f800000, |v1|
	s_delay_alu instid0(VALU_DEP_3) | instskip(NEXT) | instid1(VALU_DEP_1)
	v_cndmask_b32_e32 v1, v1, v7, vcc_lo
	v_sub_f32_e32 v7, v1, v17
	v_mov_b32_e32 v17, 0x7fc00000
.LBB193_107:                            ;   in Loop: Header=BB193_5 Depth=1
	s_or_b32 exec_lo, exec_lo, s2
                                        ; implicit-def: $vgpr1
                                        ; implicit-def: $vgpr18
	s_delay_alu instid0(SALU_CYCLE_1)
	s_mov_b32 s2, exec_lo
	v_cmpx_o_f32_e32 v4, v3
	s_xor_b32 s17, exec_lo, s2
	s_cbranch_execz .LBB193_135
; %bb.108:                              ;   in Loop: Header=BB193_5 Depth=1
	v_cmp_lt_f32_e64 s2, |v3|, |v4|
                                        ; implicit-def: $vgpr1
                                        ; implicit-def: $vgpr18
	s_mov_b32 s3, exec_lo
	s_delay_alu instid0(VALU_DEP_1) | instskip(NEXT) | instid1(VALU_DEP_1)
	v_cndmask_b32_e64 v19, |v4|, |v3|, s2
	v_cmpx_nlt_f32_e32 0x77f684df, v19
	s_xor_b32 s21, exec_lo, s3
	s_cbranch_execz .LBB193_132
; %bb.109:                              ;   in Loop: Header=BB193_5 Depth=1
	v_and_b32_e32 v1, 0x7fffffff, v4
                                        ; implicit-def: $vgpr18
	s_mov_b32 s3, exec_lo
	s_delay_alu instid0(VALU_DEP_1) | instskip(NEXT) | instid1(VALU_DEP_1)
	v_cndmask_b32_e64 v20, |v3|, v1, s2
                                        ; implicit-def: $vgpr1
	v_cmpx_neq_f32_e32 1.0, v20
	s_xor_b32 s22, exec_lo, s3
	s_cbranch_execz .LBB193_125
; %bb.110:                              ;   in Loop: Header=BB193_5 Depth=1
	v_dual_max_f32 v1, v19, v19 :: v_dual_max_f32 v18, v20, v20
	s_delay_alu instid0(VALU_DEP_1) | instskip(SKIP_1) | instid1(VALU_DEP_2)
	v_min_f32_e32 v21, v18, v1
	v_max_f32_e32 v1, v18, v1
                                        ; implicit-def: $vgpr18
	v_cmp_ngt_f32_e32 vcc_lo, 0x358637bd, v21
	s_delay_alu instid0(VALU_DEP_2) | instskip(NEXT) | instid1(VALU_DEP_1)
	v_cmp_nlt_f32_e64 s3, 0x49742400, v1
                                        ; implicit-def: $vgpr1
	s_and_b32 s3, s3, vcc_lo
	s_delay_alu instid0(SALU_CYCLE_1) | instskip(NEXT) | instid1(SALU_CYCLE_1)
	s_and_saveexec_b32 s4, s3
	s_xor_b32 s23, exec_lo, s4
	s_cbranch_execz .LBB193_122
; %bb.111:                              ;   in Loop: Header=BB193_5 Depth=1
                                        ; implicit-def: $vgpr1
                                        ; implicit-def: $vgpr18
	s_mov_b32 s3, exec_lo
	v_cmpx_le_f32_e32 1.0, v20
	s_xor_b32 s4, exec_lo, s3
	s_cbranch_execz .LBB193_113
; %bb.112:                              ;   in Loop: Header=BB193_5 Depth=1
	v_add_f32_e32 v1, -1.0, v20
	v_add_f32_e32 v18, 1.0, v20
	v_cmp_class_f32_e64 s5, v3, 0x204
	s_delay_alu instid0(VALU_DEP_2) | instskip(NEXT) | instid1(VALU_DEP_1)
	v_mul_f32_e32 v1, v1, v18
	v_fmac_f32_e32 v1, v19, v19
	s_delay_alu instid0(VALU_DEP_1) | instskip(SKIP_1) | instid1(VALU_DEP_2)
	v_add_f32_e32 v20, 1.0, v1
	v_cmp_neq_f32_e64 s3, -1.0, v1
	v_cvt_f64_f32_e32 v[18:19], v20
	s_delay_alu instid0(VALU_DEP_1) | instskip(SKIP_1) | instid1(VALU_DEP_1)
	v_frexp_exp_i32_f64_e32 v18, v[18:19]
	v_frexp_mant_f32_e32 v19, v20
	v_cmp_gt_f32_e32 vcc_lo, 0x3f2aaaab, v19
	v_add_f32_e32 v19, -1.0, v20
	s_delay_alu instid0(VALU_DEP_1) | instskip(NEXT) | instid1(VALU_DEP_1)
	v_dual_sub_f32 v22, v19, v20 :: v_dual_sub_f32 v19, v1, v19
	v_add_f32_e32 v22, 1.0, v22
	s_delay_alu instid0(VALU_DEP_1) | instskip(SKIP_2) | instid1(VALU_DEP_2)
	v_add_f32_e32 v19, v19, v22
	v_subrev_co_ci_u32_e32 v18, vcc_lo, 0, v18, vcc_lo
	v_cmp_eq_f32_e32 vcc_lo, 0x7f800000, v1
	v_sub_nc_u32_e32 v21, 0, v18
	v_cvt_f32_i32_e32 v18, v18
	s_delay_alu instid0(VALU_DEP_2) | instskip(SKIP_1) | instid1(VALU_DEP_2)
	v_ldexp_f32 v20, v20, v21
	v_ldexp_f32 v19, v19, v21
	v_add_f32_e32 v23, 1.0, v20
	s_delay_alu instid0(VALU_DEP_1) | instskip(NEXT) | instid1(VALU_DEP_1)
	v_add_f32_e32 v22, -1.0, v23
	v_dual_sub_f32 v22, v20, v22 :: v_dual_add_f32 v21, -1.0, v20
	s_delay_alu instid0(VALU_DEP_1) | instskip(NEXT) | instid1(VALU_DEP_2)
	v_add_f32_e32 v22, v19, v22
	v_add_f32_e32 v24, 1.0, v21
	s_delay_alu instid0(VALU_DEP_1) | instskip(NEXT) | instid1(VALU_DEP_1)
	v_sub_f32_e32 v20, v20, v24
	v_add_f32_e32 v19, v19, v20
	s_delay_alu instid0(VALU_DEP_1) | instskip(NEXT) | instid1(VALU_DEP_1)
	v_dual_add_f32 v25, v21, v19 :: v_dual_add_f32 v24, v23, v22
	v_sub_f32_e32 v21, v25, v21
	s_delay_alu instid0(VALU_DEP_2) | instskip(SKIP_1) | instid1(VALU_DEP_1)
	v_rcp_f32_e32 v20, v24
	v_sub_f32_e32 v23, v24, v23
	v_dual_sub_f32 v22, v22, v23 :: v_dual_sub_f32 v19, v19, v21
	s_waitcnt_depctr 0xfff
	v_mul_f32_e32 v26, v25, v20
	s_delay_alu instid0(VALU_DEP_1) | instskip(NEXT) | instid1(VALU_DEP_1)
	v_mul_f32_e32 v27, v24, v26
	v_fma_f32 v23, v26, v24, -v27
	s_delay_alu instid0(VALU_DEP_1) | instskip(NEXT) | instid1(VALU_DEP_1)
	v_fmac_f32_e32 v23, v26, v22
	v_add_f32_e32 v28, v27, v23
	s_delay_alu instid0(VALU_DEP_1) | instskip(SKIP_1) | instid1(VALU_DEP_2)
	v_sub_f32_e32 v29, v25, v28
	v_sub_f32_e32 v21, v28, v27
	;; [unrolled: 1-line block ×3, first 2 shown]
	s_delay_alu instid0(VALU_DEP_2) | instskip(NEXT) | instid1(VALU_DEP_2)
	v_sub_f32_e32 v21, v21, v23
	v_sub_f32_e32 v25, v25, v28
	s_delay_alu instid0(VALU_DEP_1) | instskip(NEXT) | instid1(VALU_DEP_1)
	v_add_f32_e32 v19, v19, v25
	v_add_f32_e32 v19, v21, v19
	s_delay_alu instid0(VALU_DEP_1) | instskip(NEXT) | instid1(VALU_DEP_1)
	v_add_f32_e32 v21, v29, v19
	v_mul_f32_e32 v23, v20, v21
	s_delay_alu instid0(VALU_DEP_1) | instskip(NEXT) | instid1(VALU_DEP_1)
	v_dual_sub_f32 v28, v29, v21 :: v_dual_mul_f32 v25, v24, v23
	v_add_f32_e32 v19, v19, v28
	s_delay_alu instid0(VALU_DEP_2) | instskip(NEXT) | instid1(VALU_DEP_1)
	v_fma_f32 v24, v23, v24, -v25
	v_fmac_f32_e32 v24, v23, v22
	s_delay_alu instid0(VALU_DEP_1) | instskip(NEXT) | instid1(VALU_DEP_1)
	v_add_f32_e32 v22, v25, v24
	v_sub_f32_e32 v27, v21, v22
	v_sub_f32_e32 v25, v22, v25
	s_delay_alu instid0(VALU_DEP_2) | instskip(NEXT) | instid1(VALU_DEP_1)
	v_sub_f32_e32 v21, v21, v27
	v_sub_f32_e32 v21, v21, v22
	s_delay_alu instid0(VALU_DEP_3) | instskip(SKIP_1) | instid1(VALU_DEP_3)
	v_sub_f32_e32 v22, v25, v24
	v_max_f32_e64 v24, |v4|, |v4|
	v_add_f32_e32 v19, v19, v21
	v_add_f32_e32 v21, v26, v23
	s_delay_alu instid0(VALU_DEP_1) | instskip(NEXT) | instid1(VALU_DEP_1)
	v_dual_add_f32 v19, v22, v19 :: v_dual_sub_f32 v22, v21, v26
	v_add_f32_e32 v19, v27, v19
	s_delay_alu instid0(VALU_DEP_2) | instskip(SKIP_1) | instid1(VALU_DEP_3)
	v_sub_f32_e32 v22, v23, v22
	v_mul_f32_e32 v27, 0x3f317218, v18
	v_mul_f32_e32 v19, v20, v19
	s_delay_alu instid0(VALU_DEP_2) | instskip(NEXT) | instid1(VALU_DEP_1)
	v_fma_f32 v28, 0x3f317218, v18, -v27
	v_dual_add_f32 v19, v22, v19 :: v_dual_fmac_f32 v28, 0xb102e308, v18
	s_delay_alu instid0(VALU_DEP_1) | instskip(NEXT) | instid1(VALU_DEP_1)
	v_add_f32_e32 v20, v21, v19
	v_mul_f32_e32 v22, v20, v20
	v_ldexp_f32 v26, v20, 1
	s_delay_alu instid0(VALU_DEP_2) | instskip(SKIP_2) | instid1(VALU_DEP_3)
	v_fmaak_f32 v23, s14, v22, 0x3ecc95a3
	v_mul_f32_e32 v25, v20, v22
	v_sub_f32_e32 v20, v20, v21
	v_fmaak_f32 v22, v22, v23, 0x3f2aaada
	v_max_f32_e64 v23, |v3|, |v3|
	s_delay_alu instid0(VALU_DEP_2) | instskip(NEXT) | instid1(VALU_DEP_2)
	v_dual_sub_f32 v19, v19, v20 :: v_dual_mul_f32 v22, v25, v22
	v_max_f32_e32 v25, v23, v24
	v_min_f32_e32 v23, v23, v24
	s_delay_alu instid0(VALU_DEP_3) | instskip(NEXT) | instid1(VALU_DEP_4)
	v_ldexp_f32 v19, v19, 1
	v_add_f32_e32 v21, v26, v22
	s_delay_alu instid0(VALU_DEP_4) | instskip(SKIP_1) | instid1(VALU_DEP_3)
	v_frexp_mant_f32_e32 v24, v25
	v_frexp_exp_i32_f32_e32 v25, v25
	v_sub_f32_e32 v20, v21, v26
	s_delay_alu instid0(VALU_DEP_3) | instskip(SKIP_1) | instid1(VALU_DEP_2)
	v_rcp_f32_e32 v24, v24
	v_frexp_exp_i32_f32_e32 v26, v23
	v_sub_f32_e32 v20, v22, v20
	v_frexp_mant_f32_e32 v22, v23
	s_delay_alu instid0(VALU_DEP_3) | instskip(NEXT) | instid1(VALU_DEP_3)
	v_sub_nc_u32_e32 v23, v26, v25
	v_add_f32_e32 v18, v19, v20
	v_add_f32_e32 v20, v27, v28
	s_delay_alu instid0(VALU_DEP_1) | instskip(NEXT) | instid1(VALU_DEP_1)
	v_sub_f32_e32 v27, v20, v27
	v_sub_f32_e32 v27, v28, v27
	s_delay_alu instid0(TRANS32_DEP_1) | instid1(VALU_DEP_4)
	v_dual_mul_f32 v19, v22, v24 :: v_dual_add_f32 v22, v21, v18
	s_delay_alu instid0(VALU_DEP_1) | instskip(NEXT) | instid1(VALU_DEP_2)
	v_ldexp_f32 v19, v19, v23
	v_add_f32_e32 v23, v20, v22
	s_delay_alu instid0(VALU_DEP_2) | instskip(NEXT) | instid1(VALU_DEP_1)
	v_dual_sub_f32 v21, v22, v21 :: v_dual_mul_f32 v24, v19, v19
	v_dual_sub_f32 v25, v23, v20 :: v_dual_sub_f32 v18, v18, v21
	s_delay_alu instid0(VALU_DEP_1) | instskip(SKIP_1) | instid1(VALU_DEP_3)
	v_dual_fmaak_f32 v26, s16, v24, 0xbc7a590c :: v_dual_sub_f32 v29, v23, v25
	v_sub_f32_e32 v21, v22, v25
	v_add_f32_e32 v25, v27, v18
	s_delay_alu instid0(VALU_DEP_3) | instskip(NEXT) | instid1(VALU_DEP_4)
	v_fmaak_f32 v26, v24, v26, 0x3d29fb3f
	v_sub_f32_e32 v20, v20, v29
	s_delay_alu instid0(VALU_DEP_2) | instskip(NEXT) | instid1(VALU_DEP_1)
	v_fmaak_f32 v22, v24, v26, 0xbd97d4d7
	v_dual_add_f32 v20, v21, v20 :: v_dual_fmaak_f32 v21, v24, v22, 0x3dd931b2
	v_sub_f32_e32 v22, v25, v27
	s_delay_alu instid0(VALU_DEP_2) | instskip(NEXT) | instid1(VALU_DEP_1)
	v_dual_add_f32 v20, v25, v20 :: v_dual_fmaak_f32 v21, v24, v21, 0xbe1160e6
	v_dual_sub_f32 v25, v25, v22 :: v_dual_add_f32 v26, v23, v20
	s_delay_alu instid0(VALU_DEP_2) | instskip(NEXT) | instid1(VALU_DEP_2)
	v_dual_sub_f32 v18, v18, v22 :: v_dual_fmaak_f32 v21, v24, v21, 0x3e4cb8bf
	v_dual_sub_f32 v22, v27, v25 :: v_dual_sub_f32 v23, v26, v23
	s_delay_alu instid0(VALU_DEP_1) | instskip(NEXT) | instid1(VALU_DEP_2)
	v_dual_fmaak_f32 v21, v24, v21, 0xbeaaaa62 :: v_dual_add_f32 v18, v18, v22
	v_sub_f32_e32 v20, v20, v23
	s_delay_alu instid0(VALU_DEP_1) | instskip(NEXT) | instid1(VALU_DEP_1)
	v_dual_mul_f32 v21, v24, v21 :: v_dual_add_f32 v18, v18, v20
	v_dual_fmac_f32 v19, v19, v21 :: v_dual_add_f32 v18, v26, v18
	s_delay_alu instid0(VALU_DEP_1) | instskip(NEXT) | instid1(VALU_DEP_2)
	v_sub_f32_e32 v20, 0x3fc90fdb, v19
	v_cndmask_b32_e32 v18, v18, v1, vcc_lo
	v_cmp_gt_i32_e32 vcc_lo, 0, v3
	s_delay_alu instid0(VALU_DEP_3) | instskip(SKIP_2) | instid1(VALU_DEP_3)
	v_cndmask_b32_e64 v19, v19, v20, s2
	v_cndmask_b32_e64 v20, 0, 0x40490fdb, vcc_lo
	v_cmp_ngt_f32_e32 vcc_lo, -1.0, v1
	v_sub_f32_e32 v21, 0x40490fdb, v19
	v_cndmask_b32_e32 v18, 0x7fc00000, v18, vcc_lo
	v_cmp_gt_f32_e32 vcc_lo, 0, v3
	s_delay_alu instid0(VALU_DEP_2) | instskip(NEXT) | instid1(VALU_DEP_4)
	v_cndmask_b32_e64 v18, 0xff800000, v18, s3
	v_cndmask_b32_e32 v19, v19, v21, vcc_lo
	v_cndmask_b32_e32 v21, 0x3f490fdb, v13, vcc_lo
	v_cmp_gt_f32_e64 vcc_lo, 0x33800000, |v1|
	v_cmp_class_f32_e64 s3, v4, 0x204
	v_cndmask_b32_e32 v1, v18, v1, vcc_lo
	v_cmp_eq_f32_e32 vcc_lo, 0, v4
	s_delay_alu instid0(VALU_DEP_2) | instskip(NEXT) | instid1(VALU_DEP_4)
	v_dual_mul_f32 v1, 0.5, v1 :: v_dual_cndmask_b32 v18, v19, v20
	s_and_b32 vcc_lo, s5, s3
                                        ; implicit-def: $vgpr19
                                        ; implicit-def: $vgpr20
	s_delay_alu instid0(VALU_DEP_1)
	v_cndmask_b32_e32 v18, v18, v21, vcc_lo
.LBB193_113:                            ;   in Loop: Header=BB193_5 Depth=1
	s_and_not1_saveexec_b32 s24, s4
	s_cbranch_execz .LBB193_121
; %bb.114:                              ;   in Loop: Header=BB193_5 Depth=1
	v_mul_f32_e32 v21, v19, v19
                                        ; implicit-def: $vgpr1
                                        ; implicit-def: $vgpr18
	s_mov_b32 s3, exec_lo
	s_delay_alu instid0(VALU_DEP_1) | instskip(NEXT) | instid1(VALU_DEP_1)
	v_fmac_f32_e32 v21, v20, v20
	v_cmpx_ge_f32_e32 0x3f333333, v21
	s_xor_b32 s4, exec_lo, s3
	s_cbranch_execz .LBB193_116
; %bb.115:                              ;   in Loop: Header=BB193_5 Depth=1
	v_max_f32_e64 v1, |v4|, |v4|
	v_max_f32_e64 v18, |v3|, |v3|
	v_cmp_gt_f32_e32 vcc_lo, 0x800000, v21
	v_cmp_gt_i32_e64 s3, 0, v3
	v_cmp_class_f32_e64 s5, v3, 0x204
	v_cmp_class_f32_e64 s6, v4, 0x204
	v_max_f32_e32 v19, v18, v1
	v_min_f32_e32 v1, v18, v1
	v_cndmask_b32_e64 v22, 0, 0x41b17218, vcc_lo
	s_delay_alu instid0(VALU_DEP_3) | instskip(SKIP_1) | instid1(VALU_DEP_2)
	v_frexp_mant_f32_e32 v20, v19
	v_frexp_exp_i32_f32_e32 v19, v19
	v_rcp_f32_e32 v18, v20
	v_frexp_exp_i32_f32_e32 v20, v1
	v_frexp_mant_f32_e32 v1, v1
	s_delay_alu instid0(VALU_DEP_2) | instskip(SKIP_4) | instid1(VALU_DEP_2)
	v_sub_nc_u32_e32 v19, v20, v19
	v_cndmask_b32_e64 v20, 1.0, 0x4f800000, vcc_lo
	s_waitcnt_depctr 0xfff
	v_mul_f32_e32 v1, v1, v18
	v_mul_f32_e32 v20, v21, v20
	v_ldexp_f32 v1, v1, v19
	s_delay_alu instid0(VALU_DEP_2) | instskip(NEXT) | instid1(VALU_DEP_1)
	v_log_f32_e32 v20, v20
	v_mul_f32_e32 v18, v1, v1
	s_delay_alu instid0(VALU_DEP_1) | instskip(SKIP_3) | instid1(VALU_DEP_1)
	v_fmaak_f32 v19, s16, v18, 0xbc7a590c
	s_waitcnt_depctr 0xfff
	v_cmp_gt_f32_e64 vcc_lo, 0x7f800000, |v20|
	v_fmaak_f32 v19, v18, v19, 0x3d29fb3f
	v_fmaak_f32 v19, v18, v19, 0xbd97d4d7
	s_delay_alu instid0(VALU_DEP_1) | instskip(NEXT) | instid1(VALU_DEP_1)
	v_fmaak_f32 v19, v18, v19, 0x3dd931b2
	v_fmaak_f32 v19, v18, v19, 0xbe1160e6
	s_delay_alu instid0(VALU_DEP_1) | instskip(NEXT) | instid1(VALU_DEP_1)
	;; [unrolled: 3-line block ×3, first 2 shown]
	v_dual_mul_f32 v18, v18, v19 :: v_dual_mul_f32 v19, 0x3f317217, v20
	v_fmac_f32_e32 v1, v1, v18
	s_delay_alu instid0(VALU_DEP_2) | instskip(NEXT) | instid1(VALU_DEP_1)
	v_fma_f32 v18, 0x3f317217, v20, -v19
	v_fmac_f32_e32 v18, 0x3377d1cf, v20
	s_delay_alu instid0(VALU_DEP_1) | instskip(SKIP_2) | instid1(VALU_DEP_3)
	v_add_f32_e32 v18, v19, v18
	v_cndmask_b32_e64 v19, 0, 0x40490fdb, s3
	v_cmp_eq_f32_e64 s3, 0, v4
	v_cndmask_b32_e32 v18, v20, v18, vcc_lo
	v_cmp_gt_f32_e32 vcc_lo, 0, v3
	s_delay_alu instid0(VALU_DEP_2) | instskip(SKIP_2) | instid1(VALU_DEP_1)
	v_sub_f32_e32 v18, v18, v22
	v_cndmask_b32_e32 v20, 0x3f490fdb, v13, vcc_lo
	v_sub_f32_e32 v21, 0x3fc90fdb, v1
	v_cndmask_b32_e64 v1, v1, v21, s2
	s_delay_alu instid0(VALU_DEP_1) | instskip(NEXT) | instid1(VALU_DEP_1)
	v_sub_f32_e32 v21, 0x40490fdb, v1
	v_cndmask_b32_e32 v1, v1, v21, vcc_lo
	s_and_b32 vcc_lo, s5, s6
	s_delay_alu instid0(VALU_DEP_1) | instskip(NEXT) | instid1(VALU_DEP_1)
	v_cndmask_b32_e64 v19, v1, v19, s3
	v_dual_mul_f32 v1, 0.5, v18 :: v_dual_cndmask_b32 v18, v19, v20
                                        ; implicit-def: $vgpr20
                                        ; implicit-def: $vgpr19
.LBB193_116:                            ;   in Loop: Header=BB193_5 Depth=1
	s_and_not1_saveexec_b32 s25, s4
	s_cbranch_execz .LBB193_120
; %bb.117:                              ;   in Loop: Header=BB193_5 Depth=1
	v_and_b32_e32 v21, 0x7fff0000, v19
	v_and_b32_e32 v18, 0x7fff0000, v20
	s_mov_b32 s26, 0
	s_delay_alu instid0(VALU_DEP_2) | instskip(SKIP_1) | instid1(VALU_DEP_3)
	v_sub_f32_e32 v22, v19, v21
	v_mul_f32_e32 v19, v21, v21
	v_mul_f32_e32 v1, v18, v18
	v_sub_f32_e32 v20, v20, v18
	s_delay_alu instid0(VALU_DEP_1) | instskip(NEXT) | instid1(VALU_DEP_1)
	v_dual_add_f32 v28, v21, v21 :: v_dual_and_b32 v23, 0xffff0000, v20
	v_dual_sub_f32 v21, v20, v23 :: v_dual_and_b32 v24, 0xffff0000, v22
	s_delay_alu instid0(VALU_DEP_1) | instskip(SKIP_2) | instid1(VALU_DEP_3)
	v_dual_add_f32 v25, v18, v18 :: v_dual_mul_f32 v18, v28, v24
	v_dual_sub_f32 v29, v22, v24 :: v_dual_mul_f32 v20, v23, v23
	v_add_f32_e32 v22, v23, v23
	v_dual_mul_f32 v27, v25, v23 :: v_dual_add_f32 v30, v24, v24
	v_dual_mul_f32 v26, v24, v24 :: v_dual_mul_f32 v23, v25, v21
	s_delay_alu instid0(VALU_DEP_4) | instskip(NEXT) | instid1(VALU_DEP_4)
	v_mul_f32_e32 v25, v28, v29
	v_mul_f32_e32 v24, v22, v21
	v_mul_f32_e32 v21, v21, v21
	v_mul_f32_e32 v22, v30, v29
	v_mul_f32_e32 v28, v29, v29
.LBB193_118:                            ;   Parent Loop BB193_5 Depth=1
                                        ; =>  This Inner Loop Header: Depth=2
	v_cmp_nlt_f32_e32 vcc_lo, v1, v19
	s_delay_alu instid0(VALU_DEP_2) | instskip(SKIP_1) | instid1(VALU_DEP_2)
	v_dual_mov_b32 v30, v28 :: v_dual_cndmask_b32 v29, v1, v19
	v_cndmask_b32_e32 v1, v19, v1, vcc_lo
	v_cmp_nlt_f32_e64 s3, v29, v27
	s_delay_alu instid0(VALU_DEP_1) | instskip(SKIP_2) | instid1(VALU_DEP_2)
	v_cndmask_b32_e64 v28, v29, v27, s3
	v_cndmask_b32_e64 v19, v27, v29, s3
	s_and_b32 s27, vcc_lo, s3
	v_cmp_nlt_f32_e64 s4, v28, v18
	s_delay_alu instid0(VALU_DEP_1) | instskip(SKIP_1) | instid1(VALU_DEP_2)
	v_cndmask_b32_e64 v31, v28, v18, s4
	v_cndmask_b32_e64 v27, v18, v28, s4
	v_cmp_nlt_f32_e64 s5, v31, v20
	s_delay_alu instid0(VALU_DEP_1) | instskip(SKIP_2) | instid1(VALU_DEP_2)
	v_cndmask_b32_e64 v29, v31, v20, s5
	v_cndmask_b32_e64 v18, v20, v31, s5
	s_and_b32 s28, s4, s5
	v_cmp_nlt_f32_e64 s6, v29, v26
	s_delay_alu instid0(VALU_DEP_1) | instskip(SKIP_1) | instid1(VALU_DEP_2)
	v_cndmask_b32_e64 v32, v29, v26, s6
	v_cndmask_b32_e64 v20, v26, v29, s6
	v_cmp_nlt_f32_e64 s7, v32, v23
	s_delay_alu instid0(VALU_DEP_1) | instskip(SKIP_2) | instid1(VALU_DEP_2)
	v_cndmask_b32_e64 v33, v32, v23, s7
	s_and_b32 s5, s6, s7
	v_cndmask_b32_e64 v26, v23, v32, s7
	v_cmp_nlt_f32_e64 s8, v33, v25
	s_delay_alu instid0(VALU_DEP_1) | instskip(SKIP_2) | instid1(VALU_DEP_2)
	v_cndmask_b32_e64 v34, v33, v25, s8
	s_and_b32 s5, s5, s8
	v_cndmask_b32_e64 v23, v25, v33, s8
	v_cmp_nlt_f32_e32 vcc_lo, v34, v24
	v_cndmask_b32_e32 v35, v34, v24, vcc_lo
	s_and_b32 s6, s5, vcc_lo
	v_cndmask_b32_e32 v25, v24, v34, vcc_lo
	s_delay_alu instid0(VALU_DEP_2) | instskip(NEXT) | instid1(VALU_DEP_1)
	v_cmp_nlt_f32_e64 s3, v35, v22
	v_cndmask_b32_e64 v31, v35, v22, s3
	s_and_b32 s6, s6, s3
	v_cndmask_b32_e64 v24, v22, v35, s3
	s_delay_alu instid0(VALU_DEP_2) | instskip(NEXT) | instid1(VALU_DEP_1)
	v_cmp_nlt_f32_e64 s4, v31, v21
	v_cndmask_b32_e64 v29, v31, v21, s4
	s_and_b32 s6, s6, s4
	v_cndmask_b32_e64 v22, v21, v31, s4
	s_delay_alu instid0(VALU_DEP_2) | instskip(NEXT) | instid1(VALU_DEP_1)
	v_cmp_nlt_f32_e64 s5, v29, v30
	s_and_b32 s6, s6, s5
	v_cndmask_b32_e64 v28, v29, v30, s5
	s_and_b32 s3, s6, s28
	v_cndmask_b32_e64 v21, v30, v29, s5
	s_and_b32 s3, s3, s27
	s_delay_alu instid0(SALU_CYCLE_1) | instskip(NEXT) | instid1(SALU_CYCLE_1)
	s_and_b32 s3, exec_lo, s3
	s_or_b32 s26, s3, s26
	s_delay_alu instid0(SALU_CYCLE_1)
	s_and_not1_b32 exec_lo, exec_lo, s26
	s_cbranch_execnz .LBB193_118
; %bb.119:                              ;   in Loop: Header=BB193_5 Depth=1
	s_or_b32 exec_lo, exec_lo, s26
	v_add_f32_e32 v1, -1.0, v1
	v_cmp_class_f32_e64 s4, v3, 0x204
	s_delay_alu instid0(VALU_DEP_2) | instskip(NEXT) | instid1(VALU_DEP_1)
	v_add_f32_e32 v1, v1, v19
	v_add_f32_e32 v1, v1, v27
	s_delay_alu instid0(VALU_DEP_1) | instskip(NEXT) | instid1(VALU_DEP_1)
	v_add_f32_e32 v1, v1, v18
	v_add_f32_e32 v1, v1, v20
	s_delay_alu instid0(VALU_DEP_1) | instskip(NEXT) | instid1(VALU_DEP_1)
	;; [unrolled: 3-line block ×5, first 2 shown]
	v_add_f32_e32 v1, v28, v1
	v_add_f32_e32 v20, 1.0, v1
	s_delay_alu instid0(VALU_DEP_1) | instskip(NEXT) | instid1(VALU_DEP_1)
	v_cvt_f64_f32_e32 v[18:19], v20
	v_frexp_exp_i32_f64_e32 v18, v[18:19]
	v_frexp_mant_f32_e32 v19, v20
	s_delay_alu instid0(VALU_DEP_1) | instskip(SKIP_1) | instid1(VALU_DEP_1)
	v_cmp_gt_f32_e32 vcc_lo, 0x3f2aaaab, v19
	v_add_f32_e32 v19, -1.0, v20
	v_dual_sub_f32 v22, v19, v20 :: v_dual_sub_f32 v19, v1, v19
	s_delay_alu instid0(VALU_DEP_1) | instskip(NEXT) | instid1(VALU_DEP_1)
	v_add_f32_e32 v22, 1.0, v22
	v_add_f32_e32 v19, v19, v22
	v_subrev_co_ci_u32_e32 v18, vcc_lo, 0, v18, vcc_lo
	s_delay_alu instid0(VALU_DEP_1) | instskip(SKIP_1) | instid1(VALU_DEP_2)
	v_sub_nc_u32_e32 v21, 0, v18
	v_cvt_f32_i32_e32 v18, v18
	v_ldexp_f32 v20, v20, v21
	v_ldexp_f32 v19, v19, v21
	s_delay_alu instid0(VALU_DEP_2) | instskip(NEXT) | instid1(VALU_DEP_1)
	v_add_f32_e32 v23, 1.0, v20
	v_dual_add_f32 v21, -1.0, v20 :: v_dual_add_f32 v22, -1.0, v23
	s_delay_alu instid0(VALU_DEP_1) | instskip(NEXT) | instid1(VALU_DEP_2)
	v_add_f32_e32 v24, 1.0, v21
	v_sub_f32_e32 v22, v20, v22
	s_delay_alu instid0(VALU_DEP_2) | instskip(NEXT) | instid1(VALU_DEP_2)
	v_sub_f32_e32 v20, v20, v24
	v_add_f32_e32 v22, v19, v22
	s_delay_alu instid0(VALU_DEP_2) | instskip(NEXT) | instid1(VALU_DEP_1)
	v_add_f32_e32 v19, v19, v20
	v_dual_add_f32 v24, v23, v22 :: v_dual_add_f32 v25, v21, v19
	s_delay_alu instid0(VALU_DEP_1) | instskip(SKIP_1) | instid1(VALU_DEP_1)
	v_rcp_f32_e32 v20, v24
	v_sub_f32_e32 v23, v24, v23
	v_dual_sub_f32 v21, v25, v21 :: v_dual_sub_f32 v22, v22, v23
	s_waitcnt_depctr 0xfff
	v_dual_sub_f32 v19, v19, v21 :: v_dual_mul_f32 v26, v25, v20
	v_cmp_eq_f32_e32 vcc_lo, 0x7f800000, v1
	v_cmp_neq_f32_e64 s3, -1.0, v1
	s_delay_alu instid0(VALU_DEP_3) | instskip(NEXT) | instid1(VALU_DEP_1)
	v_mul_f32_e32 v27, v24, v26
	v_fma_f32 v23, v26, v24, -v27
	s_delay_alu instid0(VALU_DEP_1) | instskip(NEXT) | instid1(VALU_DEP_1)
	v_fmac_f32_e32 v23, v26, v22
	v_add_f32_e32 v28, v27, v23
	s_delay_alu instid0(VALU_DEP_1) | instskip(SKIP_1) | instid1(VALU_DEP_2)
	v_sub_f32_e32 v29, v25, v28
	v_sub_f32_e32 v21, v28, v27
	;; [unrolled: 1-line block ×3, first 2 shown]
	s_delay_alu instid0(VALU_DEP_2) | instskip(NEXT) | instid1(VALU_DEP_2)
	v_sub_f32_e32 v21, v21, v23
	v_sub_f32_e32 v25, v25, v28
	s_delay_alu instid0(VALU_DEP_1) | instskip(NEXT) | instid1(VALU_DEP_1)
	v_add_f32_e32 v19, v19, v25
	v_add_f32_e32 v19, v21, v19
	s_delay_alu instid0(VALU_DEP_1) | instskip(NEXT) | instid1(VALU_DEP_1)
	v_add_f32_e32 v21, v29, v19
	v_mul_f32_e32 v23, v20, v21
	s_delay_alu instid0(VALU_DEP_1) | instskip(NEXT) | instid1(VALU_DEP_1)
	v_dual_sub_f32 v28, v29, v21 :: v_dual_mul_f32 v25, v24, v23
	v_add_f32_e32 v19, v19, v28
	s_delay_alu instid0(VALU_DEP_2) | instskip(NEXT) | instid1(VALU_DEP_1)
	v_fma_f32 v24, v23, v24, -v25
	v_fmac_f32_e32 v24, v23, v22
	s_delay_alu instid0(VALU_DEP_1) | instskip(NEXT) | instid1(VALU_DEP_1)
	v_add_f32_e32 v22, v25, v24
	v_sub_f32_e32 v27, v21, v22
	v_sub_f32_e32 v25, v22, v25
	s_delay_alu instid0(VALU_DEP_2) | instskip(NEXT) | instid1(VALU_DEP_1)
	v_sub_f32_e32 v21, v21, v27
	v_sub_f32_e32 v21, v21, v22
	s_delay_alu instid0(VALU_DEP_3) | instskip(SKIP_1) | instid1(VALU_DEP_3)
	v_sub_f32_e32 v22, v25, v24
	v_max_f32_e64 v24, |v4|, |v4|
	v_add_f32_e32 v19, v19, v21
	v_add_f32_e32 v21, v26, v23
	s_delay_alu instid0(VALU_DEP_1) | instskip(NEXT) | instid1(VALU_DEP_1)
	v_dual_add_f32 v19, v22, v19 :: v_dual_sub_f32 v22, v21, v26
	v_add_f32_e32 v19, v27, v19
	s_delay_alu instid0(VALU_DEP_2) | instskip(SKIP_1) | instid1(VALU_DEP_3)
	v_sub_f32_e32 v22, v23, v22
	v_mul_f32_e32 v27, 0x3f317218, v18
	v_mul_f32_e32 v19, v20, v19
	s_delay_alu instid0(VALU_DEP_2) | instskip(NEXT) | instid1(VALU_DEP_1)
	v_fma_f32 v28, 0x3f317218, v18, -v27
	v_dual_add_f32 v19, v22, v19 :: v_dual_fmac_f32 v28, 0xb102e308, v18
	s_delay_alu instid0(VALU_DEP_1) | instskip(NEXT) | instid1(VALU_DEP_1)
	v_add_f32_e32 v20, v21, v19
	v_mul_f32_e32 v22, v20, v20
	v_ldexp_f32 v26, v20, 1
	s_delay_alu instid0(VALU_DEP_2) | instskip(SKIP_2) | instid1(VALU_DEP_3)
	v_fmaak_f32 v23, s14, v22, 0x3ecc95a3
	v_mul_f32_e32 v25, v20, v22
	v_sub_f32_e32 v20, v20, v21
	v_fmaak_f32 v22, v22, v23, 0x3f2aaada
	v_max_f32_e64 v23, |v3|, |v3|
	s_delay_alu instid0(VALU_DEP_2) | instskip(NEXT) | instid1(VALU_DEP_2)
	v_dual_sub_f32 v19, v19, v20 :: v_dual_mul_f32 v22, v25, v22
	v_max_f32_e32 v25, v23, v24
	v_min_f32_e32 v23, v23, v24
	s_delay_alu instid0(VALU_DEP_3) | instskip(NEXT) | instid1(VALU_DEP_4)
	v_ldexp_f32 v19, v19, 1
	v_add_f32_e32 v21, v26, v22
	s_delay_alu instid0(VALU_DEP_4) | instskip(SKIP_1) | instid1(VALU_DEP_3)
	v_frexp_mant_f32_e32 v24, v25
	v_frexp_exp_i32_f32_e32 v25, v25
	v_sub_f32_e32 v20, v21, v26
	s_delay_alu instid0(VALU_DEP_3) | instskip(SKIP_1) | instid1(VALU_DEP_2)
	v_rcp_f32_e32 v24, v24
	v_frexp_exp_i32_f32_e32 v26, v23
	v_sub_f32_e32 v20, v22, v20
	v_frexp_mant_f32_e32 v22, v23
	s_delay_alu instid0(VALU_DEP_3) | instskip(NEXT) | instid1(VALU_DEP_3)
	v_sub_nc_u32_e32 v23, v26, v25
	v_add_f32_e32 v18, v19, v20
	s_waitcnt_depctr 0xfff
	v_mul_f32_e32 v19, v22, v24
	v_add_f32_e32 v20, v27, v28
	v_add_f32_e32 v22, v21, v18
	s_delay_alu instid0(VALU_DEP_3) | instskip(NEXT) | instid1(VALU_DEP_3)
	v_ldexp_f32 v19, v19, v23
	v_sub_f32_e32 v27, v20, v27
	s_delay_alu instid0(VALU_DEP_2) | instskip(SKIP_1) | instid1(VALU_DEP_3)
	v_dual_add_f32 v23, v20, v22 :: v_dual_mul_f32 v24, v19, v19
	v_sub_f32_e32 v21, v22, v21
	v_sub_f32_e32 v27, v28, v27
	s_delay_alu instid0(VALU_DEP_3) | instskip(NEXT) | instid1(VALU_DEP_4)
	v_sub_f32_e32 v25, v23, v20
	v_fmaak_f32 v26, s16, v24, 0xbc7a590c
	s_delay_alu instid0(VALU_DEP_4) | instskip(NEXT) | instid1(VALU_DEP_2)
	v_sub_f32_e32 v18, v18, v21
	v_dual_sub_f32 v29, v23, v25 :: v_dual_fmaak_f32 v26, v24, v26, 0x3d29fb3f
	v_sub_f32_e32 v21, v22, v25
	s_delay_alu instid0(VALU_DEP_2) | instskip(NEXT) | instid1(VALU_DEP_3)
	v_dual_add_f32 v25, v27, v18 :: v_dual_sub_f32 v20, v20, v29
	v_fmaak_f32 v22, v24, v26, 0xbd97d4d7
	s_delay_alu instid0(VALU_DEP_1) | instskip(NEXT) | instid1(VALU_DEP_3)
	v_dual_add_f32 v20, v21, v20 :: v_dual_fmaak_f32 v21, v24, v22, 0x3dd931b2
	v_sub_f32_e32 v22, v25, v27
	s_delay_alu instid0(VALU_DEP_2) | instskip(NEXT) | instid1(VALU_DEP_2)
	v_dual_add_f32 v20, v25, v20 :: v_dual_fmaak_f32 v21, v24, v21, 0xbe1160e6
	v_sub_f32_e32 v25, v25, v22
	v_sub_f32_e32 v18, v18, v22
	s_delay_alu instid0(VALU_DEP_3) | instskip(NEXT) | instid1(VALU_DEP_1)
	v_dual_add_f32 v26, v23, v20 :: v_dual_fmaak_f32 v21, v24, v21, 0x3e4cb8bf
	v_dual_sub_f32 v22, v27, v25 :: v_dual_sub_f32 v23, v26, v23
	s_delay_alu instid0(VALU_DEP_1) | instskip(NEXT) | instid1(VALU_DEP_2)
	v_dual_fmaak_f32 v21, v24, v21, 0xbeaaaa62 :: v_dual_add_f32 v18, v18, v22
	v_sub_f32_e32 v20, v20, v23
	s_delay_alu instid0(VALU_DEP_1) | instskip(NEXT) | instid1(VALU_DEP_1)
	v_dual_mul_f32 v21, v24, v21 :: v_dual_add_f32 v18, v18, v20
	v_dual_fmac_f32 v19, v19, v21 :: v_dual_add_f32 v18, v26, v18
	s_delay_alu instid0(VALU_DEP_1) | instskip(NEXT) | instid1(VALU_DEP_2)
	v_sub_f32_e32 v20, 0x3fc90fdb, v19
	v_cndmask_b32_e32 v18, v18, v1, vcc_lo
	v_cmp_gt_i32_e32 vcc_lo, 0, v3
	s_delay_alu instid0(VALU_DEP_3) | instskip(SKIP_2) | instid1(VALU_DEP_3)
	v_cndmask_b32_e64 v19, v19, v20, s2
	v_cndmask_b32_e64 v20, 0, 0x40490fdb, vcc_lo
	v_cmp_ngt_f32_e32 vcc_lo, -1.0, v1
	v_sub_f32_e32 v21, 0x40490fdb, v19
	v_cndmask_b32_e32 v18, 0x7fc00000, v18, vcc_lo
	v_cmp_gt_f32_e32 vcc_lo, 0, v3
	s_delay_alu instid0(VALU_DEP_2) | instskip(NEXT) | instid1(VALU_DEP_4)
	v_cndmask_b32_e64 v18, 0xff800000, v18, s3
	v_cndmask_b32_e32 v19, v19, v21, vcc_lo
	v_cndmask_b32_e32 v21, 0x3f490fdb, v13, vcc_lo
	v_cmp_gt_f32_e64 vcc_lo, 0x33800000, |v1|
	v_cmp_class_f32_e64 s3, v4, 0x204
	v_cndmask_b32_e32 v1, v18, v1, vcc_lo
	v_cmp_eq_f32_e32 vcc_lo, 0, v4
	s_delay_alu instid0(VALU_DEP_2) | instskip(NEXT) | instid1(VALU_DEP_4)
	v_dual_mul_f32 v1, 0.5, v1 :: v_dual_cndmask_b32 v18, v19, v20
	s_and_b32 vcc_lo, s4, s3
	s_delay_alu instid0(VALU_DEP_1)
	v_cndmask_b32_e32 v18, v18, v21, vcc_lo
.LBB193_120:                            ;   in Loop: Header=BB193_5 Depth=1
	s_or_b32 exec_lo, exec_lo, s25
.LBB193_121:                            ;   in Loop: Header=BB193_5 Depth=1
	s_delay_alu instid0(SALU_CYCLE_1)
	s_or_b32 exec_lo, exec_lo, s24
.LBB193_122:                            ;   in Loop: Header=BB193_5 Depth=1
	s_and_not1_saveexec_b32 s4, s23
	s_cbranch_execz .LBB193_124
; %bb.123:                              ;   in Loop: Header=BB193_5 Depth=1
	v_max_f32_e64 v1, |v4|, |v4|
	v_max_f32_e64 v20, |v3|, |v3|
	v_cmp_gt_i32_e64 s3, 0, v3
	v_cmp_class_f32_e64 s5, v3, 0x204
	v_cmp_class_f32_e64 s6, v4, 0x204
	s_delay_alu instid0(VALU_DEP_4) | instskip(SKIP_1) | instid1(VALU_DEP_2)
	v_max_f32_e32 v21, v20, v1
	v_min_f32_e32 v1, v20, v1
	v_cvt_f64_f32_e32 v[18:19], v21
	v_frexp_exp_i32_f32_e32 v20, v21
	s_delay_alu instid0(VALU_DEP_3) | instskip(SKIP_1) | instid1(VALU_DEP_2)
	v_frexp_exp_i32_f32_e32 v22, v1
	v_frexp_mant_f32_e32 v1, v1
	v_sub_nc_u32_e32 v20, v22, v20
	v_frexp_exp_i32_f64_e32 v18, v[18:19]
	v_frexp_mant_f32_e32 v19, v21
	s_delay_alu instid0(VALU_DEP_1) | instskip(SKIP_2) | instid1(VALU_DEP_1)
	v_rcp_f32_e32 v19, v19
	s_waitcnt_depctr 0xfff
	v_mul_f32_e32 v1, v1, v19
	v_ldexp_f32 v1, v1, v20
	s_delay_alu instid0(VALU_DEP_1) | instskip(SKIP_1) | instid1(VALU_DEP_1)
	v_mul_f32_e32 v22, v1, v1
	v_sub_nc_u32_e32 v23, 0, v18
	v_ldexp_f32 v19, |v4|, v23
	v_ldexp_f32 v20, |v3|, v23
	s_delay_alu instid0(VALU_DEP_2) | instskip(NEXT) | instid1(VALU_DEP_1)
	v_mul_f32_e32 v19, v19, v19
	v_dual_fmac_f32 v19, v20, v20 :: v_dual_fmaak_f32 v20, s16, v22, 0xbc7a590c
	v_cmp_neq_f32_e32 vcc_lo, 0x7f800000, v21
	s_delay_alu instid0(VALU_DEP_2) | instskip(NEXT) | instid1(VALU_DEP_2)
	v_sqrt_f32_e32 v19, v19
	v_fmaak_f32 v20, v22, v20, 0x3d29fb3f
	s_delay_alu instid0(VALU_DEP_1) | instskip(SKIP_3) | instid1(VALU_DEP_2)
	v_fmaak_f32 v20, v22, v20, 0xbd97d4d7
	s_waitcnt_depctr 0xfff
	v_ldexp_f32 v18, v19, v18
	v_fmaak_f32 v19, v22, v20, 0x3dd931b2
	v_cndmask_b32_e32 v18, 0x7f800000, v18, vcc_lo
	s_delay_alu instid0(VALU_DEP_2) | instskip(NEXT) | instid1(VALU_DEP_2)
	v_fmaak_f32 v19, v22, v19, 0xbe1160e6
	v_cmp_gt_f32_e32 vcc_lo, 0x800000, v18
	s_delay_alu instid0(VALU_DEP_2) | instskip(SKIP_1) | instid1(VALU_DEP_2)
	v_fmaak_f32 v19, v22, v19, 0x3e4cb8bf
	v_cndmask_b32_e64 v20, 1.0, 0x4f800000, vcc_lo
	v_fmaak_f32 v19, v22, v19, 0xbeaaaa62
	s_delay_alu instid0(VALU_DEP_1) | instskip(NEXT) | instid1(VALU_DEP_1)
	v_mul_f32_e32 v19, v22, v19
	v_dual_mul_f32 v18, v18, v20 :: v_dual_fmac_f32 v1, v1, v19
	s_delay_alu instid0(VALU_DEP_1) | instskip(NEXT) | instid1(VALU_DEP_1)
	v_log_f32_e32 v18, v18
	v_sub_f32_e32 v20, 0x3fc90fdb, v1
	s_delay_alu instid0(VALU_DEP_1)
	v_cndmask_b32_e64 v1, v1, v20, s2
	s_waitcnt_depctr 0xfff
	v_mul_f32_e32 v19, 0x3f317217, v18
	v_cndmask_b32_e64 v20, 0, 0x40490fdb, s3
	v_cmp_gt_f32_e64 s3, 0, v3
	v_sub_f32_e32 v22, 0x40490fdb, v1
	s_delay_alu instid0(VALU_DEP_4) | instskip(NEXT) | instid1(VALU_DEP_2)
	v_fma_f32 v21, 0x3f317217, v18, -v19
	v_cndmask_b32_e64 v1, v1, v22, s3
	v_cndmask_b32_e64 v22, 0, 0x41b17218, vcc_lo
	v_cmp_gt_f32_e64 vcc_lo, 0x7f800000, |v18|
	s_delay_alu instid0(VALU_DEP_4) | instskip(NEXT) | instid1(VALU_DEP_1)
	v_fmac_f32_e32 v21, 0x3377d1cf, v18
	v_add_f32_e32 v19, v19, v21
	v_cndmask_b32_e64 v21, 0x3f490fdb, v13, s3
	s_delay_alu instid0(VALU_DEP_2) | instskip(SKIP_3) | instid1(VALU_DEP_1)
	v_cndmask_b32_e32 v18, v18, v19, vcc_lo
	v_cmp_eq_f32_e32 vcc_lo, 0, v4
	v_cndmask_b32_e32 v19, v1, v20, vcc_lo
	s_and_b32 vcc_lo, s5, s6
	v_dual_sub_f32 v1, v18, v22 :: v_dual_cndmask_b32 v18, v19, v21
.LBB193_124:                            ;   in Loop: Header=BB193_5 Depth=1
	s_or_b32 exec_lo, exec_lo, s4
                                        ; implicit-def: $vgpr19
.LBB193_125:                            ;   in Loop: Header=BB193_5 Depth=1
	s_and_not1_saveexec_b32 s4, s22
	s_cbranch_execz .LBB193_131
; %bb.126:                              ;   in Loop: Header=BB193_5 Depth=1
                                        ; implicit-def: $vgpr1
                                        ; implicit-def: $vgpr18
	s_mov_b32 s3, exec_lo
	v_cmpx_ngt_f32_e32 0x1fec1e4a, v19
	s_xor_b32 s5, exec_lo, s3
	s_cbranch_execz .LBB193_128
; %bb.127:                              ;   in Loop: Header=BB193_5 Depth=1
	v_mul_f32_e32 v1, v19, v19
	v_cmp_gt_f32_e64 s3, 0, v3
	v_cmp_class_f32_e64 s6, v3, 0x204
	v_cmp_class_f32_e64 s8, v4, 0x204
	s_delay_alu instid0(VALU_DEP_4) | instskip(NEXT) | instid1(VALU_DEP_1)
	v_add_f32_e32 v20, 1.0, v1
	v_cvt_f64_f32_e32 v[18:19], v20
	s_delay_alu instid0(VALU_DEP_1) | instskip(SKIP_1) | instid1(VALU_DEP_1)
	v_frexp_exp_i32_f64_e32 v18, v[18:19]
	v_frexp_mant_f32_e32 v19, v20
	v_cmp_gt_f32_e32 vcc_lo, 0x3f2aaaab, v19
	v_add_f32_e32 v19, -1.0, v20
	s_delay_alu instid0(VALU_DEP_1) | instskip(NEXT) | instid1(VALU_DEP_1)
	v_sub_f32_e32 v22, v19, v20
	v_dual_add_f32 v22, 1.0, v22 :: v_dual_sub_f32 v19, v1, v19
	v_cmp_gt_f32_e64 s7, 0x33800000, |v1|
	s_delay_alu instid0(VALU_DEP_2) | instskip(SKIP_2) | instid1(VALU_DEP_2)
	v_add_f32_e32 v19, v19, v22
	v_subrev_co_ci_u32_e32 v18, vcc_lo, 0, v18, vcc_lo
	v_cmp_gt_i32_e32 vcc_lo, 0, v3
	v_sub_nc_u32_e32 v21, 0, v18
	v_cvt_f32_i32_e32 v18, v18
	s_delay_alu instid0(VALU_DEP_2) | instskip(SKIP_1) | instid1(VALU_DEP_2)
	v_ldexp_f32 v20, v20, v21
	v_ldexp_f32 v19, v19, v21
	v_add_f32_e32 v23, 1.0, v20
	s_delay_alu instid0(VALU_DEP_1) | instskip(NEXT) | instid1(VALU_DEP_1)
	v_add_f32_e32 v22, -1.0, v23
	v_dual_sub_f32 v22, v20, v22 :: v_dual_add_f32 v21, -1.0, v20
	s_delay_alu instid0(VALU_DEP_1) | instskip(NEXT) | instid1(VALU_DEP_2)
	v_add_f32_e32 v22, v19, v22
	v_add_f32_e32 v24, 1.0, v21
	s_delay_alu instid0(VALU_DEP_1) | instskip(NEXT) | instid1(VALU_DEP_1)
	v_sub_f32_e32 v20, v20, v24
	v_add_f32_e32 v19, v19, v20
	s_delay_alu instid0(VALU_DEP_1) | instskip(NEXT) | instid1(VALU_DEP_1)
	v_dual_add_f32 v25, v21, v19 :: v_dual_add_f32 v24, v23, v22
	v_rcp_f32_e32 v20, v24
	v_sub_f32_e32 v23, v23, v24
	s_delay_alu instid0(VALU_DEP_1) | instskip(SKIP_2) | instid1(VALU_DEP_1)
	v_dual_add_f32 v22, v22, v23 :: v_dual_sub_f32 v21, v21, v25
	s_waitcnt_depctr 0xfff
	v_dual_mul_f32 v26, v25, v20 :: v_dual_add_f32 v19, v19, v21
	v_mul_f32_e32 v27, v24, v26
	s_delay_alu instid0(VALU_DEP_1) | instskip(NEXT) | instid1(VALU_DEP_1)
	v_fma_f32 v23, v26, v24, -v27
	v_fmac_f32_e32 v23, v26, v22
	s_delay_alu instid0(VALU_DEP_1) | instskip(NEXT) | instid1(VALU_DEP_1)
	v_add_f32_e32 v28, v27, v23
	v_sub_f32_e32 v29, v25, v28
	s_delay_alu instid0(VALU_DEP_1) | instskip(SKIP_1) | instid1(VALU_DEP_2)
	v_sub_f32_e32 v25, v25, v29
	v_sub_f32_e32 v21, v28, v27
	;; [unrolled: 1-line block ×3, first 2 shown]
	s_delay_alu instid0(VALU_DEP_2) | instskip(NEXT) | instid1(VALU_DEP_2)
	v_sub_f32_e32 v21, v21, v23
	v_add_f32_e32 v19, v19, v25
	s_delay_alu instid0(VALU_DEP_1) | instskip(NEXT) | instid1(VALU_DEP_1)
	v_add_f32_e32 v19, v21, v19
	v_add_f32_e32 v21, v29, v19
	s_delay_alu instid0(VALU_DEP_1) | instskip(NEXT) | instid1(VALU_DEP_1)
	v_mul_f32_e32 v23, v20, v21
	v_dual_sub_f32 v28, v29, v21 :: v_dual_mul_f32 v25, v24, v23
	s_delay_alu instid0(VALU_DEP_1) | instskip(NEXT) | instid1(VALU_DEP_2)
	v_add_f32_e32 v19, v19, v28
	v_fma_f32 v24, v23, v24, -v25
	s_delay_alu instid0(VALU_DEP_1) | instskip(NEXT) | instid1(VALU_DEP_1)
	v_fmac_f32_e32 v24, v23, v22
	v_add_f32_e32 v22, v25, v24
	s_delay_alu instid0(VALU_DEP_1) | instskip(SKIP_1) | instid1(VALU_DEP_2)
	v_sub_f32_e32 v27, v21, v22
	v_sub_f32_e32 v25, v22, v25
	;; [unrolled: 1-line block ×3, first 2 shown]
	s_delay_alu instid0(VALU_DEP_1) | instskip(NEXT) | instid1(VALU_DEP_1)
	v_sub_f32_e32 v21, v21, v22
	v_dual_sub_f32 v22, v25, v24 :: v_dual_add_f32 v19, v19, v21
	v_add_f32_e32 v21, v26, v23
	s_delay_alu instid0(VALU_DEP_1) | instskip(NEXT) | instid1(VALU_DEP_1)
	v_dual_add_f32 v19, v22, v19 :: v_dual_sub_f32 v22, v21, v26
	v_add_f32_e32 v19, v27, v19
	s_delay_alu instid0(VALU_DEP_2) | instskip(SKIP_1) | instid1(VALU_DEP_3)
	v_sub_f32_e32 v22, v23, v22
	v_max_f32_e64 v23, |v3|, |v3|
	v_mul_f32_e32 v19, v20, v19
	v_max_f32_e64 v20, |v4|, |v4|
	s_delay_alu instid0(VALU_DEP_2) | instskip(NEXT) | instid1(VALU_DEP_2)
	v_add_f32_e32 v19, v22, v19
	v_max_f32_e32 v25, v23, v20
	v_min_f32_e32 v20, v23, v20
	s_delay_alu instid0(VALU_DEP_3) | instskip(NEXT) | instid1(VALU_DEP_3)
	v_add_f32_e32 v22, v21, v19
	v_frexp_mant_f32_e32 v27, v25
	v_frexp_exp_i32_f32_e32 v23, v25
	s_delay_alu instid0(VALU_DEP_3) | instskip(SKIP_1) | instid1(VALU_DEP_2)
	v_mul_f32_e32 v24, v22, v22
	v_ldexp_f32 v28, v22, 1
	v_dual_sub_f32 v21, v22, v21 :: v_dual_fmaak_f32 v26, s14, v24, 0x3ecc95a3
	v_mul_f32_e32 v25, v22, v24
	s_delay_alu instid0(VALU_DEP_2) | instskip(SKIP_3) | instid1(VALU_DEP_3)
	v_dual_sub_f32 v19, v19, v21 :: v_dual_fmaak_f32 v24, v24, v26, 0x3f2aaada
	v_rcp_f32_e32 v26, v27
	v_frexp_exp_i32_f32_e32 v27, v20
	v_frexp_mant_f32_e32 v20, v20
	v_ldexp_f32 v19, v19, 1
	v_dual_mul_f32 v24, v25, v24 :: v_dual_mul_f32 v25, 0x3f317218, v18
	s_delay_alu instid0(VALU_DEP_4) | instskip(NEXT) | instid1(VALU_DEP_2)
	v_sub_nc_u32_e32 v23, v27, v23
	v_add_f32_e32 v22, v28, v24
	s_delay_alu instid0(TRANS32_DEP_1) | instid1(VALU_DEP_1)
	v_dual_mul_f32 v20, v20, v26 :: v_dual_sub_f32 v21, v22, v28
	s_delay_alu instid0(VALU_DEP_1) | instskip(SKIP_1) | instid1(VALU_DEP_3)
	v_ldexp_f32 v20, v20, v23
	v_fma_f32 v23, 0x3f317218, v18, -v25
	v_sub_f32_e32 v21, v24, v21
	s_delay_alu instid0(VALU_DEP_2) | instskip(NEXT) | instid1(VALU_DEP_1)
	v_dual_mul_f32 v24, v20, v20 :: v_dual_fmac_f32 v23, 0xb102e308, v18
	v_dual_add_f32 v18, v19, v21 :: v_dual_fmaak_f32 v19, s16, v24, 0xbc7a590c
	s_delay_alu instid0(VALU_DEP_1) | instskip(NEXT) | instid1(VALU_DEP_2)
	v_dual_add_f32 v21, v25, v23 :: v_dual_add_f32 v26, v22, v18
	v_fmaak_f32 v19, v24, v19, 0x3d29fb3f
	s_delay_alu instid0(VALU_DEP_2) | instskip(NEXT) | instid1(VALU_DEP_3)
	v_sub_f32_e32 v25, v21, v25
	v_add_f32_e32 v27, v21, v26
	s_delay_alu instid0(VALU_DEP_3) | instskip(NEXT) | instid1(VALU_DEP_3)
	v_dual_fmaak_f32 v19, v24, v19, 0xbd97d4d7 :: v_dual_sub_f32 v22, v26, v22
	v_sub_f32_e32 v23, v23, v25
	s_delay_alu instid0(VALU_DEP_2) | instskip(NEXT) | instid1(VALU_DEP_1)
	v_dual_sub_f32 v28, v27, v21 :: v_dual_fmaak_f32 v19, v24, v19, 0x3dd931b2
	v_dual_sub_f32 v18, v18, v22 :: v_dual_sub_f32 v29, v27, v28
	s_delay_alu instid0(VALU_DEP_2) | instskip(NEXT) | instid1(VALU_DEP_2)
	v_dual_fmaak_f32 v19, v24, v19, 0xbe1160e6 :: v_dual_sub_f32 v22, v26, v28
	v_add_f32_e32 v25, v23, v18
	s_delay_alu instid0(VALU_DEP_3) | instskip(NEXT) | instid1(VALU_DEP_3)
	v_sub_f32_e32 v21, v21, v29
	v_fmaak_f32 v19, v24, v19, 0x3e4cb8bf
	s_delay_alu instid0(VALU_DEP_2) | instskip(NEXT) | instid1(VALU_DEP_2)
	v_add_f32_e32 v21, v22, v21
	v_fmaak_f32 v19, v24, v19, 0xbeaaaa62
	v_sub_f32_e32 v22, v25, v23
	s_delay_alu instid0(VALU_DEP_3) | instskip(NEXT) | instid1(VALU_DEP_2)
	v_add_f32_e32 v21, v25, v21
	v_dual_mul_f32 v19, v24, v19 :: v_dual_sub_f32 v24, v25, v22
	s_delay_alu instid0(VALU_DEP_2) | instskip(NEXT) | instid1(VALU_DEP_2)
	v_dual_sub_f32 v18, v18, v22 :: v_dual_add_f32 v25, v27, v21
	v_dual_fmac_f32 v20, v20, v19 :: v_dual_sub_f32 v19, v23, v24
	s_delay_alu instid0(VALU_DEP_1) | instskip(NEXT) | instid1(VALU_DEP_1)
	v_dual_sub_f32 v22, v25, v27 :: v_dual_sub_f32 v23, 0x3fc90fdb, v20
	v_dual_add_f32 v18, v18, v19 :: v_dual_sub_f32 v19, v21, v22
	s_delay_alu instid0(VALU_DEP_2) | instskip(SKIP_2) | instid1(VALU_DEP_3)
	v_cndmask_b32_e64 v20, v20, v23, s2
	v_cndmask_b32_e64 v21, 0, 0x40490fdb, vcc_lo
	v_cmp_eq_f32_e32 vcc_lo, 0x7f800000, v1
	v_dual_add_f32 v18, v18, v19 :: v_dual_sub_f32 v19, 0x40490fdb, v20
	s_or_b32 vcc_lo, vcc_lo, s7
	s_delay_alu instid0(VALU_DEP_1) | instskip(NEXT) | instid1(VALU_DEP_2)
	v_add_f32_e32 v18, v25, v18
	v_cndmask_b32_e64 v19, v20, v19, s3
	v_cndmask_b32_e64 v20, 0x3f490fdb, v13, s3
	s_delay_alu instid0(VALU_DEP_3) | instskip(SKIP_1) | instid1(VALU_DEP_2)
	v_cndmask_b32_e32 v1, v18, v1, vcc_lo
	v_cmp_eq_f32_e32 vcc_lo, 0, v4
	v_mul_f32_e32 v1, 0.5, v1
	v_cndmask_b32_e32 v18, v19, v21, vcc_lo
	s_and_b32 vcc_lo, s6, s8
                                        ; implicit-def: $vgpr19
	s_delay_alu instid0(VALU_DEP_1)
	v_cndmask_b32_e32 v18, v18, v20, vcc_lo
.LBB193_128:                            ;   in Loop: Header=BB193_5 Depth=1
	s_and_not1_saveexec_b32 s5, s5
	s_cbranch_execz .LBB193_130
; %bb.129:                              ;   in Loop: Header=BB193_5 Depth=1
	v_max_f32_e64 v1, |v4|, |v4|
	v_max_f32_e64 v18, |v3|, |v3|
	v_cmp_gt_i32_e32 vcc_lo, 0, v3
	v_cmp_eq_f32_e64 s3, 0, v4
	v_cmp_class_f32_e64 s6, v3, 0x204
	v_cmp_class_f32_e64 s7, v4, 0x204
	v_max_f32_e32 v20, v18, v1
	v_min_f32_e32 v1, v18, v1
	s_delay_alu instid0(VALU_DEP_2) | instskip(NEXT) | instid1(VALU_DEP_1)
	v_frexp_mant_f32_e32 v21, v20
	v_rcp_f32_e32 v18, v21
	s_delay_alu instid0(VALU_DEP_2) | instskip(SKIP_4) | instid1(VALU_DEP_1)
	v_frexp_exp_i32_f32_e32 v21, v1
	v_frexp_mant_f32_e32 v1, v1
	s_waitcnt_depctr 0xfff
	v_mul_f32_e32 v1, v1, v18
	v_frexp_exp_i32_f32_e32 v20, v20
	v_sub_nc_u32_e32 v20, v21, v20
	s_delay_alu instid0(VALU_DEP_1) | instskip(NEXT) | instid1(VALU_DEP_1)
	v_ldexp_f32 v1, v1, v20
	v_mul_f32_e32 v18, v1, v1
	s_delay_alu instid0(VALU_DEP_1) | instskip(NEXT) | instid1(VALU_DEP_1)
	v_fmaak_f32 v20, s16, v18, 0xbc7a590c
	v_fmaak_f32 v20, v18, v20, 0x3d29fb3f
	s_delay_alu instid0(VALU_DEP_1) | instskip(NEXT) | instid1(VALU_DEP_1)
	v_fmaak_f32 v20, v18, v20, 0xbd97d4d7
	v_fmaak_f32 v20, v18, v20, 0x3dd931b2
	s_delay_alu instid0(VALU_DEP_1) | instskip(NEXT) | instid1(VALU_DEP_1)
	v_fmaak_f32 v20, v18, v20, 0xbe1160e6
	v_fmaak_f32 v20, v18, v20, 0x3e4cb8bf
	s_delay_alu instid0(VALU_DEP_1) | instskip(NEXT) | instid1(VALU_DEP_1)
	v_fmaak_f32 v20, v18, v20, 0xbeaaaa62
	v_mul_f32_e32 v18, v18, v20
	v_cndmask_b32_e64 v20, 0, 0x40490fdb, vcc_lo
	v_cmp_gt_f32_e32 vcc_lo, 0, v3
	v_cndmask_b32_e32 v21, 0x3f490fdb, v13, vcc_lo
	s_delay_alu instid0(VALU_DEP_4) | instskip(NEXT) | instid1(VALU_DEP_1)
	v_fmac_f32_e32 v1, v1, v18
	v_sub_f32_e32 v18, 0x3fc90fdb, v1
	s_delay_alu instid0(VALU_DEP_1) | instskip(NEXT) | instid1(VALU_DEP_1)
	v_cndmask_b32_e64 v1, v1, v18, s2
	v_sub_f32_e32 v18, 0x40490fdb, v1
	s_delay_alu instid0(VALU_DEP_1) | instskip(SKIP_1) | instid1(VALU_DEP_1)
	v_dual_cndmask_b32 v1, v1, v18 :: v_dual_mul_f32 v18, 0.5, v19
	s_and_b32 vcc_lo, s6, s7
	v_cndmask_b32_e64 v20, v1, v20, s3
	s_delay_alu instid0(VALU_DEP_1)
	v_dual_mul_f32 v1, v19, v18 :: v_dual_cndmask_b32 v18, v20, v21
.LBB193_130:                            ;   in Loop: Header=BB193_5 Depth=1
	s_or_b32 exec_lo, exec_lo, s5
.LBB193_131:                            ;   in Loop: Header=BB193_5 Depth=1
	s_delay_alu instid0(SALU_CYCLE_1)
	s_or_b32 exec_lo, exec_lo, s4
.LBB193_132:                            ;   in Loop: Header=BB193_5 Depth=1
	s_and_not1_saveexec_b32 s4, s21
	s_cbranch_execz .LBB193_134
; %bb.133:                              ;   in Loop: Header=BB193_5 Depth=1
	v_div_scale_f32 v1, null, 0x402df854, 0x402df854, v3
	v_div_scale_f32 v18, null, 0x402df854, 0x402df854, v4
	v_div_scale_f32 v23, vcc_lo, v3, 0x402df854, v3
	s_delay_alu instid0(VALU_DEP_3) | instskip(NEXT) | instid1(VALU_DEP_2)
	v_rcp_f32_e32 v19, v1
	v_rcp_f32_e32 v20, v18
	v_cmp_class_f32_e64 s5, v4, 0x204
	s_waitcnt_depctr 0xfff
	v_fma_f32 v21, -v1, v19, 1.0
	v_fma_f32 v22, -v18, v20, 1.0
	s_delay_alu instid0(VALU_DEP_1) | instskip(SKIP_1) | instid1(VALU_DEP_2)
	v_dual_fmac_f32 v19, v21, v19 :: v_dual_fmac_f32 v20, v22, v20
	v_div_scale_f32 v21, s3, v4, 0x402df854, v4
	v_mul_f32_e32 v22, v23, v19
	s_delay_alu instid0(VALU_DEP_1) | instskip(NEXT) | instid1(VALU_DEP_1)
	v_fma_f32 v25, -v1, v22, v23
	v_fmac_f32_e32 v22, v25, v19
	s_delay_alu instid0(VALU_DEP_1) | instskip(NEXT) | instid1(VALU_DEP_1)
	v_fma_f32 v1, -v1, v22, v23
	v_div_fmas_f32 v1, v1, v19, v22
	v_max_f32_e64 v22, |v3|, |v3|
	v_mul_f32_e32 v24, v21, v20
	s_mov_b32 vcc_lo, s3
	v_cmp_class_f32_e64 s3, v3, 0x204
	v_div_fixup_f32 v1, v1, 0x402df854, v3
	s_delay_alu instid0(VALU_DEP_3) | instskip(NEXT) | instid1(VALU_DEP_1)
	v_fma_f32 v26, -v18, v24, v21
	v_fmac_f32_e32 v24, v26, v20
	s_delay_alu instid0(VALU_DEP_1) | instskip(NEXT) | instid1(VALU_DEP_1)
	v_fma_f32 v18, -v18, v24, v21
	v_div_fmas_f32 v18, v18, v20, v24
	s_delay_alu instid0(VALU_DEP_1) | instskip(NEXT) | instid1(VALU_DEP_1)
	v_div_fixup_f32 v20, v18, 0x402df854, v4
	v_max_f32_e64 v21, |v1|, |v20|
	s_delay_alu instid0(VALU_DEP_1) | instskip(SKIP_1) | instid1(VALU_DEP_2)
	v_cvt_f64_f32_e32 v[18:19], v21
	v_cmp_neq_f32_e32 vcc_lo, 0x7f800000, v21
	v_frexp_exp_i32_f64_e32 v18, v[18:19]
	v_max_f32_e64 v19, |v4|, |v4|
	s_delay_alu instid0(VALU_DEP_1) | instskip(SKIP_1) | instid1(VALU_DEP_2)
	v_max_f32_e32 v23, v22, v19
	v_min_f32_e32 v19, v22, v19
	v_frexp_mant_f32_e32 v24, v23
	v_frexp_exp_i32_f32_e32 v23, v23
	s_delay_alu instid0(VALU_DEP_2) | instskip(SKIP_1) | instid1(VALU_DEP_1)
	v_rcp_f32_e32 v22, v24
	v_sub_nc_u32_e32 v24, 0, v18
	v_ldexp_f32 v20, |v20|, v24
	v_ldexp_f32 v1, |v1|, v24
	s_delay_alu instid0(VALU_DEP_2) | instskip(SKIP_2) | instid1(VALU_DEP_2)
	v_mul_f32_e32 v20, v20, v20
	v_frexp_exp_i32_f32_e32 v25, v19
	v_frexp_mant_f32_e32 v19, v19
	v_sub_nc_u32_e32 v23, v25, v23
	s_delay_alu instid0(TRANS32_DEP_1) | instid1(VALU_DEP_2)
	v_mul_f32_e32 v19, v19, v22
	s_delay_alu instid0(VALU_DEP_1) | instskip(NEXT) | instid1(VALU_DEP_1)
	v_ldexp_f32 v19, v19, v23
	v_dual_fmac_f32 v20, v1, v1 :: v_dual_mul_f32 v1, v19, v19
	s_delay_alu instid0(VALU_DEP_1) | instskip(NEXT) | instid1(VALU_DEP_1)
	v_sqrt_f32_e32 v20, v20
	v_fmaak_f32 v22, s16, v1, 0xbc7a590c
	s_delay_alu instid0(VALU_DEP_1) | instskip(SKIP_2) | instid1(VALU_DEP_1)
	v_fmaak_f32 v22, v1, v22, 0x3d29fb3f
	s_waitcnt_depctr 0xfff
	v_ldexp_f32 v18, v20, v18
	v_cndmask_b32_e32 v18, 0x7f800000, v18, vcc_lo
	s_delay_alu instid0(VALU_DEP_1) | instskip(SKIP_1) | instid1(VALU_DEP_1)
	v_cmp_gt_f32_e32 vcc_lo, 0x800000, v18
	v_cndmask_b32_e64 v21, 1.0, 0x4f800000, vcc_lo
	v_mul_f32_e32 v18, v18, v21
	s_delay_alu instid0(VALU_DEP_1) | instskip(SKIP_2) | instid1(VALU_DEP_2)
	v_log_f32_e32 v18, v18
	v_fmaak_f32 v20, v1, v22, 0xbd97d4d7
	v_cndmask_b32_e64 v22, 0, 0x41b17218, vcc_lo
	v_fmaak_f32 v20, v1, v20, 0x3dd931b2
	s_waitcnt_depctr 0xfff
	v_cmp_gt_f32_e64 vcc_lo, 0x7f800000, |v18|
	v_fmaak_f32 v20, v1, v20, 0xbe1160e6
	s_delay_alu instid0(VALU_DEP_1) | instskip(NEXT) | instid1(VALU_DEP_1)
	v_fmaak_f32 v20, v1, v20, 0x3e4cb8bf
	v_fmaak_f32 v20, v1, v20, 0xbeaaaa62
	s_delay_alu instid0(VALU_DEP_1) | instskip(NEXT) | instid1(VALU_DEP_1)
	v_dual_mul_f32 v1, v1, v20 :: v_dual_mul_f32 v20, 0x3f317217, v18
	v_fmac_f32_e32 v19, v19, v1
	s_delay_alu instid0(VALU_DEP_2) | instskip(NEXT) | instid1(VALU_DEP_2)
	v_fma_f32 v1, 0x3f317217, v18, -v20
	v_sub_f32_e32 v21, 0x3fc90fdb, v19
	s_delay_alu instid0(VALU_DEP_1) | instskip(SKIP_1) | instid1(VALU_DEP_1)
	v_cndmask_b32_e64 v19, v19, v21, s2
	v_cmp_gt_i32_e64 s2, 0, v3
	v_cndmask_b32_e64 v21, 0, 0x40490fdb, s2
	v_fmac_f32_e32 v1, 0x3377d1cf, v18
	v_cmp_gt_f32_e64 s2, 0, v3
	s_delay_alu instid0(VALU_DEP_2) | instskip(NEXT) | instid1(VALU_DEP_1)
	v_add_f32_e32 v1, v20, v1
	v_dual_cndmask_b32 v1, v18, v1 :: v_dual_sub_f32 v20, 0x40490fdb, v19
	v_cmp_eq_f32_e32 vcc_lo, 0, v4
	s_delay_alu instid0(VALU_DEP_2) | instskip(NEXT) | instid1(VALU_DEP_3)
	v_sub_f32_e32 v1, v1, v22
	v_cndmask_b32_e64 v18, v19, v20, s2
	v_cndmask_b32_e64 v19, 0x3f490fdb, v13, s2
	s_delay_alu instid0(VALU_DEP_3) | instskip(NEXT) | instid1(VALU_DEP_3)
	v_add_f32_e32 v1, 1.0, v1
	v_cndmask_b32_e32 v18, v18, v21, vcc_lo
	s_and_b32 vcc_lo, s3, s5
	s_delay_alu instid0(VALU_DEP_1)
	v_cndmask_b32_e32 v18, v18, v19, vcc_lo
.LBB193_134:                            ;   in Loop: Header=BB193_5 Depth=1
	s_or_b32 exec_lo, exec_lo, s4
.LBB193_135:                            ;   in Loop: Header=BB193_5 Depth=1
	s_and_not1_saveexec_b32 s2, s17
	s_cbranch_execz .LBB193_4
; %bb.136:                              ;   in Loop: Header=BB193_5 Depth=1
	v_cmp_ngt_f32_e64 s3, 0x20000000, |v3|
	v_cmp_ngt_f32_e64 s4, 0x20000000, |v4|
                                        ; implicit-def: $vgpr1
	s_delay_alu instid0(VALU_DEP_1) | instskip(NEXT) | instid1(SALU_CYCLE_1)
	s_or_b32 s3, s3, s4
	s_and_saveexec_b32 s4, s3
	s_delay_alu instid0(SALU_CYCLE_1)
	s_xor_b32 s3, exec_lo, s4
; %bb.137:                              ;   in Loop: Header=BB193_5 Depth=1
	v_mul_f32_e32 v1, v4, v4
	s_delay_alu instid0(VALU_DEP_1)
	v_fmac_f32_e32 v1, v3, v3
; %bb.138:                              ;   in Loop: Header=BB193_5 Depth=1
	s_and_not1_saveexec_b32 s3, s3
	s_cbranch_execz .LBB193_3
; %bb.139:                              ;   in Loop: Header=BB193_5 Depth=1
	v_mul_f32_e32 v1, 4.0, v4
	v_mul_f32_e32 v3, 4.0, v3
	s_delay_alu instid0(VALU_DEP_2) | instskip(NEXT) | instid1(VALU_DEP_1)
	v_mul_f32_e32 v1, v1, v1
	v_fmac_f32_e32 v1, v3, v3
	s_delay_alu instid0(VALU_DEP_1)
	v_mul_f32_e32 v1, 0x3d800000, v1
	s_branch .LBB193_3
.LBB193_140:
	s_or_b32 exec_lo, exec_lo, s9
	s_mov_b32 s2, 0
.LBB193_141:
	s_delay_alu instid0(SALU_CYCLE_1)
	s_and_not1_b32 vcc_lo, exec_lo, s2
	s_cbranch_vccnz .LBB193_297
; %bb.142:
	v_cmp_lt_i64_e64 s2, s[12:13], 1
	s_delay_alu instid0(VALU_DEP_1)
	s_and_b32 vcc_lo, exec_lo, s2
	s_cbranch_vccnz .LBB193_297
; %bb.143:
	s_load_b32 s0, s[0:1], 0xc5c
	v_cmp_gt_u64_e64 s1, 0x10000, s[12:13]
	v_mov_b32_e32 v17, 0x4016cbe4
	s_mov_b64 s[14:15], 0
	s_mov_b32 s21, 0x3e9b6dac
	s_mov_b32 s26, 0x3b2d2a58
	s_waitcnt lgkmcnt(0)
	s_and_b32 s22, s0, 0xffff
	s_and_b32 s0, s1, exec_lo
	s_cselect_b32 s17, s13, 0
	s_cselect_b32 s16, s12, 0x10000
	s_lshl_b32 s23, s22, 1
	s_mul_i32 s24, s22, 3
	s_lshl_b32 s25, s22, 2
	s_branch .LBB193_145
.LBB193_144:                            ;   in Loop: Header=BB193_145 Depth=1
	s_or_b32 exec_lo, exec_lo, s0
	s_add_u32 s14, s14, s25
	s_addc_u32 s15, s15, 0
	s_delay_alu instid0(SALU_CYCLE_1) | instskip(SKIP_1) | instid1(VALU_DEP_1)
	v_cmp_ge_i64_e64 s0, s[14:15], s[12:13]
	v_cmp_lt_u64_e64 s1, 0xffff, s[14:15]
	s_or_b32 s0, s0, s1
	s_delay_alu instid0(SALU_CYCLE_1)
	s_and_b32 vcc_lo, exec_lo, s0
	s_cbranch_vccnz .LBB193_297
.LBB193_145:                            ; =>This Loop Header: Depth=1
                                        ;     Child Loop BB193_164 Depth 2
                                        ;     Child Loop BB193_198 Depth 2
	;; [unrolled: 1-line block ×4, first 2 shown]
	v_add_co_u32 v3, s0, s14, v0
	s_delay_alu instid0(VALU_DEP_1) | instskip(SKIP_1) | instid1(VALU_DEP_2)
	v_add_co_ci_u32_e64 v4, null, s15, 0, s0
	v_dual_mov_b32 v12, 0 :: v_dual_mov_b32 v11, 0
	v_cmp_gt_u64_e64 s0, s[16:17], v[3:4]
	s_delay_alu instid0(VALU_DEP_1)
	s_and_saveexec_b32 s1, s0
	s_cbranch_execz .LBB193_147
; %bb.146:                              ;   in Loop: Header=BB193_145 Depth=1
	v_lshlrev_b64 v[1:2], 3, v[3:4]
	s_delay_alu instid0(VALU_DEP_1) | instskip(NEXT) | instid1(VALU_DEP_2)
	v_add_co_u32 v1, vcc_lo, s11, v1
	v_add_co_ci_u32_e32 v2, vcc_lo, s18, v2, vcc_lo
	global_load_b64 v[11:12], v[1:2], off
.LBB193_147:                            ;   in Loop: Header=BB193_145 Depth=1
	s_or_b32 exec_lo, exec_lo, s1
	v_add_co_u32 v5, vcc_lo, v3, s22
	v_add_co_ci_u32_e32 v6, vcc_lo, 0, v4, vcc_lo
	v_dual_mov_b32 v2, 0 :: v_dual_mov_b32 v13, 0
	v_mov_b32_e32 v14, 0
	s_delay_alu instid0(VALU_DEP_3) | instskip(NEXT) | instid1(VALU_DEP_1)
	v_cmp_gt_u64_e64 s1, s[16:17], v[5:6]
	s_and_saveexec_b32 s2, s1
	s_cbranch_execz .LBB193_149
; %bb.148:                              ;   in Loop: Header=BB193_145 Depth=1
	v_lshlrev_b64 v[7:8], 3, v[5:6]
	s_delay_alu instid0(VALU_DEP_1) | instskip(NEXT) | instid1(VALU_DEP_2)
	v_add_co_u32 v7, vcc_lo, s11, v7
	v_add_co_ci_u32_e32 v8, vcc_lo, s18, v8, vcc_lo
	global_load_b64 v[13:14], v[7:8], off
.LBB193_149:                            ;   in Loop: Header=BB193_145 Depth=1
	s_or_b32 exec_lo, exec_lo, s2
	v_add_co_u32 v7, vcc_lo, v3, s23
	v_add_co_ci_u32_e32 v8, vcc_lo, 0, v4, vcc_lo
	v_mov_b32_e32 v1, 0
	s_delay_alu instid0(VALU_DEP_2) | instskip(NEXT) | instid1(VALU_DEP_1)
	v_cmp_gt_u64_e64 s2, s[16:17], v[7:8]
	s_and_saveexec_b32 s3, s2
	s_cbranch_execz .LBB193_151
; %bb.150:                              ;   in Loop: Header=BB193_145 Depth=1
	v_lshlrev_b64 v[1:2], 3, v[7:8]
	s_delay_alu instid0(VALU_DEP_1) | instskip(NEXT) | instid1(VALU_DEP_2)
	v_add_co_u32 v1, vcc_lo, s11, v1
	v_add_co_ci_u32_e32 v2, vcc_lo, s18, v2, vcc_lo
	global_load_b64 v[1:2], v[1:2], off
.LBB193_151:                            ;   in Loop: Header=BB193_145 Depth=1
	s_or_b32 exec_lo, exec_lo, s3
	v_add_co_u32 v9, vcc_lo, v3, s24
	v_add_co_ci_u32_e32 v10, vcc_lo, 0, v4, vcc_lo
	v_dual_mov_b32 v16, 0 :: v_dual_mov_b32 v15, 0
	s_delay_alu instid0(VALU_DEP_2) | instskip(NEXT) | instid1(VALU_DEP_1)
	v_cmp_gt_u64_e64 s3, s[16:17], v[9:10]
	s_and_saveexec_b32 s4, s3
	s_cbranch_execz .LBB193_153
; %bb.152:                              ;   in Loop: Header=BB193_145 Depth=1
	v_lshlrev_b64 v[15:16], 3, v[9:10]
	s_delay_alu instid0(VALU_DEP_1) | instskip(NEXT) | instid1(VALU_DEP_2)
	v_add_co_u32 v15, vcc_lo, s11, v15
	v_add_co_ci_u32_e32 v16, vcc_lo, s18, v16, vcc_lo
	global_load_b64 v[15:16], v[15:16], off
.LBB193_153:                            ;   in Loop: Header=BB193_145 Depth=1
	s_or_b32 exec_lo, exec_lo, s4
                                        ; implicit-def: $vgpr18
                                        ; implicit-def: $vgpr19
	s_delay_alu instid0(SALU_CYCLE_1)
	s_mov_b32 s4, exec_lo
	s_waitcnt vmcnt(0)
	v_cmpx_o_f32_e32 v12, v11
	s_xor_b32 s27, exec_lo, s4
	s_cbranch_execz .LBB193_181
; %bb.154:                              ;   in Loop: Header=BB193_145 Depth=1
	v_cmp_lt_f32_e64 s4, |v11|, |v12|
                                        ; implicit-def: $vgpr18
                                        ; implicit-def: $vgpr19
	s_mov_b32 s5, exec_lo
	s_delay_alu instid0(VALU_DEP_1) | instskip(NEXT) | instid1(VALU_DEP_1)
	v_cndmask_b32_e64 v20, |v12|, |v11|, s4
	v_cmpx_nlt_f32_e32 0x77f684df, v20
	s_xor_b32 s28, exec_lo, s5
	s_cbranch_execz .LBB193_178
; %bb.155:                              ;   in Loop: Header=BB193_145 Depth=1
	v_and_b32_e32 v18, 0x7fffffff, v12
                                        ; implicit-def: $vgpr19
	s_mov_b32 s5, exec_lo
	s_delay_alu instid0(VALU_DEP_1) | instskip(NEXT) | instid1(VALU_DEP_1)
	v_cndmask_b32_e64 v21, |v11|, v18, s4
                                        ; implicit-def: $vgpr18
	v_cmpx_neq_f32_e32 1.0, v21
	s_xor_b32 s29, exec_lo, s5
	s_cbranch_execz .LBB193_171
; %bb.156:                              ;   in Loop: Header=BB193_145 Depth=1
	v_dual_max_f32 v18, v20, v20 :: v_dual_max_f32 v19, v21, v21
	s_delay_alu instid0(VALU_DEP_1) | instskip(SKIP_1) | instid1(VALU_DEP_2)
	v_min_f32_e32 v22, v19, v18
	v_max_f32_e32 v18, v19, v18
                                        ; implicit-def: $vgpr19
	v_cmp_ngt_f32_e32 vcc_lo, 0x358637bd, v22
	s_delay_alu instid0(VALU_DEP_2) | instskip(NEXT) | instid1(VALU_DEP_1)
	v_cmp_nlt_f32_e64 s5, 0x49742400, v18
                                        ; implicit-def: $vgpr18
	s_and_b32 s5, s5, vcc_lo
	s_delay_alu instid0(SALU_CYCLE_1) | instskip(NEXT) | instid1(SALU_CYCLE_1)
	s_and_saveexec_b32 s6, s5
	s_xor_b32 s30, exec_lo, s6
	s_cbranch_execz .LBB193_168
; %bb.157:                              ;   in Loop: Header=BB193_145 Depth=1
                                        ; implicit-def: $vgpr18
                                        ; implicit-def: $vgpr19
	s_mov_b32 s5, exec_lo
	v_cmpx_le_f32_e32 1.0, v21
	s_xor_b32 s6, exec_lo, s5
	s_cbranch_execz .LBB193_159
; %bb.158:                              ;   in Loop: Header=BB193_145 Depth=1
	v_add_f32_e32 v18, -1.0, v21
	v_add_f32_e32 v19, 1.0, v21
	v_cmp_class_f32_e64 s7, v11, 0x204
	s_delay_alu instid0(VALU_DEP_2) | instskip(NEXT) | instid1(VALU_DEP_1)
	v_mul_f32_e32 v21, v18, v19
	v_fmac_f32_e32 v21, v20, v20
	s_delay_alu instid0(VALU_DEP_1) | instskip(SKIP_1) | instid1(VALU_DEP_2)
	v_add_f32_e32 v20, 1.0, v21
	v_cmp_neq_f32_e64 s5, -1.0, v21
	v_cvt_f64_f32_e32 v[18:19], v20
	s_delay_alu instid0(VALU_DEP_1) | instskip(SKIP_1) | instid1(VALU_DEP_1)
	v_frexp_exp_i32_f64_e32 v18, v[18:19]
	v_frexp_mant_f32_e32 v19, v20
	v_cmp_gt_f32_e32 vcc_lo, 0x3f2aaaab, v19
	v_add_f32_e32 v19, -1.0, v20
	s_delay_alu instid0(VALU_DEP_1) | instskip(SKIP_3) | instid1(VALU_DEP_2)
	v_sub_f32_e32 v23, v19, v20
	v_sub_f32_e32 v19, v21, v19
	v_subrev_co_ci_u32_e32 v18, vcc_lo, 0, v18, vcc_lo
	v_cmp_eq_f32_e32 vcc_lo, 0x7f800000, v21
	v_sub_nc_u32_e32 v22, 0, v18
	v_cvt_f32_i32_e32 v18, v18
	s_delay_alu instid0(VALU_DEP_2) | instskip(NEXT) | instid1(VALU_DEP_1)
	v_ldexp_f32 v20, v20, v22
	v_dual_add_f32 v24, 1.0, v20 :: v_dual_add_f32 v23, 1.0, v23
	s_delay_alu instid0(VALU_DEP_1) | instskip(NEXT) | instid1(VALU_DEP_2)
	v_add_f32_e32 v19, v19, v23
	v_add_f32_e32 v23, -1.0, v24
	s_delay_alu instid0(VALU_DEP_2) | instskip(NEXT) | instid1(VALU_DEP_2)
	v_ldexp_f32 v19, v19, v22
	v_dual_add_f32 v22, -1.0, v20 :: v_dual_sub_f32 v23, v20, v23
	s_delay_alu instid0(VALU_DEP_1) | instskip(NEXT) | instid1(VALU_DEP_1)
	v_add_f32_e32 v25, 1.0, v22
	v_dual_add_f32 v23, v19, v23 :: v_dual_sub_f32 v20, v20, v25
	s_delay_alu instid0(VALU_DEP_1) | instskip(NEXT) | instid1(VALU_DEP_2)
	v_add_f32_e32 v25, v24, v23
	v_add_f32_e32 v19, v19, v20
	s_delay_alu instid0(VALU_DEP_2) | instskip(SKIP_1) | instid1(VALU_DEP_1)
	v_rcp_f32_e32 v20, v25
	v_sub_f32_e32 v24, v25, v24
	v_dual_add_f32 v26, v22, v19 :: v_dual_sub_f32 v23, v23, v24
	s_delay_alu instid0(VALU_DEP_1) | instskip(SKIP_2) | instid1(VALU_DEP_1)
	v_sub_f32_e32 v22, v26, v22
	s_waitcnt_depctr 0xfff
	v_mul_f32_e32 v27, v26, v20
	v_mul_f32_e32 v28, v25, v27
	s_delay_alu instid0(VALU_DEP_1) | instskip(NEXT) | instid1(VALU_DEP_1)
	v_fma_f32 v24, v27, v25, -v28
	v_fmac_f32_e32 v24, v27, v23
	s_delay_alu instid0(VALU_DEP_1) | instskip(NEXT) | instid1(VALU_DEP_1)
	v_add_f32_e32 v29, v28, v24
	v_sub_f32_e32 v30, v26, v29
	s_delay_alu instid0(VALU_DEP_1) | instskip(NEXT) | instid1(VALU_DEP_1)
	v_sub_f32_e32 v26, v26, v30
	v_dual_sub_f32 v26, v26, v29 :: v_dual_sub_f32 v19, v19, v22
	v_sub_f32_e32 v22, v29, v28
	s_delay_alu instid0(VALU_DEP_1) | instskip(NEXT) | instid1(VALU_DEP_1)
	v_dual_sub_f32 v22, v22, v24 :: v_dual_add_f32 v19, v19, v26
	v_add_f32_e32 v19, v22, v19
	s_delay_alu instid0(VALU_DEP_1) | instskip(NEXT) | instid1(VALU_DEP_1)
	v_add_f32_e32 v22, v30, v19
	v_mul_f32_e32 v24, v20, v22
	s_delay_alu instid0(VALU_DEP_1) | instskip(NEXT) | instid1(VALU_DEP_1)
	v_dual_sub_f32 v29, v30, v22 :: v_dual_mul_f32 v26, v25, v24
	v_fma_f32 v25, v24, v25, -v26
	s_delay_alu instid0(VALU_DEP_1) | instskip(NEXT) | instid1(VALU_DEP_1)
	v_fmac_f32_e32 v25, v24, v23
	v_add_f32_e32 v23, v26, v25
	s_delay_alu instid0(VALU_DEP_1) | instskip(SKIP_1) | instid1(VALU_DEP_2)
	v_sub_f32_e32 v28, v22, v23
	v_sub_f32_e32 v26, v23, v26
	v_dual_sub_f32 v22, v22, v28 :: v_dual_add_f32 v19, v19, v29
	s_delay_alu instid0(VALU_DEP_1) | instskip(NEXT) | instid1(VALU_DEP_1)
	v_sub_f32_e32 v22, v22, v23
	v_add_f32_e32 v19, v19, v22
	s_delay_alu instid0(VALU_DEP_4) | instskip(SKIP_1) | instid1(VALU_DEP_2)
	v_dual_add_f32 v22, v27, v24 :: v_dual_sub_f32 v23, v26, v25
	v_max_f32_e64 v25, |v12|, |v12|
	v_add_f32_e32 v19, v23, v19
	s_delay_alu instid0(VALU_DEP_3) | instskip(NEXT) | instid1(VALU_DEP_2)
	v_sub_f32_e32 v23, v22, v27
	v_dual_add_f32 v19, v28, v19 :: v_dual_mul_f32 v28, 0x3f317218, v18
	s_delay_alu instid0(VALU_DEP_2) | instskip(NEXT) | instid1(VALU_DEP_2)
	v_sub_f32_e32 v23, v24, v23
	v_mul_f32_e32 v19, v20, v19
	s_delay_alu instid0(VALU_DEP_3) | instskip(NEXT) | instid1(VALU_DEP_1)
	v_fma_f32 v29, 0x3f317218, v18, -v28
	v_fmac_f32_e32 v29, 0xb102e308, v18
	s_delay_alu instid0(VALU_DEP_3) | instskip(NEXT) | instid1(VALU_DEP_1)
	v_add_f32_e32 v19, v23, v19
	v_add_f32_e32 v20, v22, v19
	s_delay_alu instid0(VALU_DEP_1) | instskip(NEXT) | instid1(VALU_DEP_1)
	v_mul_f32_e32 v23, v20, v20
	v_fmaak_f32 v24, s21, v23, 0x3ecc95a3
	s_delay_alu instid0(VALU_DEP_1) | instskip(SKIP_2) | instid1(VALU_DEP_3)
	v_dual_mul_f32 v26, v20, v23 :: v_dual_fmaak_f32 v23, v23, v24, 0x3f2aaada
	v_max_f32_e64 v24, |v11|, |v11|
	v_ldexp_f32 v27, v20, 1
	v_dual_sub_f32 v20, v20, v22 :: v_dual_mul_f32 v23, v26, v23
	s_delay_alu instid0(VALU_DEP_3) | instskip(NEXT) | instid1(VALU_DEP_2)
	v_max_f32_e32 v26, v24, v25
	v_dual_min_f32 v24, v24, v25 :: v_dual_sub_f32 v19, v19, v20
	s_delay_alu instid0(VALU_DEP_3) | instskip(NEXT) | instid1(VALU_DEP_3)
	v_add_f32_e32 v22, v27, v23
	v_frexp_mant_f32_e32 v25, v26
	v_frexp_exp_i32_f32_e32 v26, v26
	s_delay_alu instid0(VALU_DEP_4) | instskip(NEXT) | instid1(VALU_DEP_4)
	v_ldexp_f32 v19, v19, 1
	v_sub_f32_e32 v20, v22, v27
	s_delay_alu instid0(VALU_DEP_4) | instskip(SKIP_1) | instid1(VALU_DEP_2)
	v_rcp_f32_e32 v25, v25
	v_frexp_exp_i32_f32_e32 v27, v24
	v_sub_f32_e32 v20, v23, v20
	v_frexp_mant_f32_e32 v23, v24
	s_delay_alu instid0(VALU_DEP_3) | instskip(NEXT) | instid1(VALU_DEP_3)
	v_sub_nc_u32_e32 v24, v27, v26
	v_add_f32_e32 v18, v19, v20
	s_waitcnt_depctr 0xfff
	v_mul_f32_e32 v19, v23, v25
	v_add_f32_e32 v20, v28, v29
	s_delay_alu instid0(VALU_DEP_2) | instskip(NEXT) | instid1(VALU_DEP_1)
	v_ldexp_f32 v19, v19, v24
	v_dual_sub_f32 v28, v20, v28 :: v_dual_mul_f32 v25, v19, v19
	s_delay_alu instid0(VALU_DEP_1) | instskip(SKIP_1) | instid1(VALU_DEP_1)
	v_dual_sub_f32 v28, v29, v28 :: v_dual_fmaak_f32 v27, s26, v25, 0xbc7a590c
	v_add_f32_e32 v23, v22, v18
	v_add_f32_e32 v24, v20, v23
	v_sub_f32_e32 v22, v23, v22
	s_delay_alu instid0(VALU_DEP_2) | instskip(NEXT) | instid1(VALU_DEP_2)
	v_sub_f32_e32 v26, v24, v20
	v_dual_sub_f32 v18, v18, v22 :: v_dual_fmaak_f32 v27, v25, v27, 0x3d29fb3f
	s_delay_alu instid0(VALU_DEP_2) | instskip(NEXT) | instid1(VALU_DEP_2)
	v_sub_f32_e32 v30, v24, v26
	v_dual_sub_f32 v22, v23, v26 :: v_dual_fmaak_f32 v23, v25, v27, 0xbd97d4d7
	s_delay_alu instid0(VALU_DEP_3) | instskip(NEXT) | instid1(VALU_DEP_3)
	v_add_f32_e32 v26, v28, v18
	v_sub_f32_e32 v20, v20, v30
	s_delay_alu instid0(VALU_DEP_1) | instskip(NEXT) | instid1(VALU_DEP_1)
	v_add_f32_e32 v20, v22, v20
	v_add_f32_e32 v20, v26, v20
	v_dual_fmaak_f32 v22, v25, v23, 0x3dd931b2 :: v_dual_sub_f32 v23, v26, v28
	s_delay_alu instid0(VALU_DEP_1) | instskip(NEXT) | instid1(VALU_DEP_2)
	v_dual_add_f32 v27, v24, v20 :: v_dual_fmaak_f32 v22, v25, v22, 0xbe1160e6
	v_sub_f32_e32 v26, v26, v23
	v_sub_f32_e32 v18, v18, v23
	s_delay_alu instid0(VALU_DEP_3) | instskip(NEXT) | instid1(VALU_DEP_4)
	v_sub_f32_e32 v24, v27, v24
	v_fmaak_f32 v22, v25, v22, 0x3e4cb8bf
	s_delay_alu instid0(VALU_DEP_4) | instskip(NEXT) | instid1(VALU_DEP_2)
	v_sub_f32_e32 v23, v28, v26
	v_fmaak_f32 v22, v25, v22, 0xbeaaaa62
	s_delay_alu instid0(VALU_DEP_2) | instskip(NEXT) | instid1(VALU_DEP_2)
	v_add_f32_e32 v18, v18, v23
	v_mul_f32_e32 v22, v25, v22
	s_delay_alu instid0(VALU_DEP_1) | instskip(NEXT) | instid1(VALU_DEP_1)
	v_dual_fmac_f32 v19, v19, v22 :: v_dual_sub_f32 v20, v20, v24
	v_add_f32_e32 v18, v18, v20
	s_delay_alu instid0(VALU_DEP_2) | instskip(NEXT) | instid1(VALU_DEP_2)
	v_sub_f32_e32 v20, 0x3fc90fdb, v19
	v_add_f32_e32 v18, v27, v18
	s_delay_alu instid0(VALU_DEP_2) | instskip(NEXT) | instid1(VALU_DEP_2)
	v_cndmask_b32_e64 v19, v19, v20, s4
	v_cndmask_b32_e32 v18, v18, v21, vcc_lo
	v_cmp_gt_i32_e32 vcc_lo, 0, v11
	s_delay_alu instid0(VALU_DEP_3) | instskip(SKIP_4) | instid1(VALU_DEP_2)
	v_sub_f32_e32 v22, 0x40490fdb, v19
	v_cndmask_b32_e64 v20, 0, 0x40490fdb, vcc_lo
	v_cmp_ngt_f32_e32 vcc_lo, -1.0, v21
	v_cndmask_b32_e32 v18, 0x7fc00000, v18, vcc_lo
	v_cmp_gt_f32_e32 vcc_lo, 0, v11
	v_cndmask_b32_e64 v11, 0xff800000, v18, s5
	v_cndmask_b32_e32 v18, v19, v22, vcc_lo
	v_cndmask_b32_e32 v19, 0x3f490fdb, v17, vcc_lo
	v_cmp_gt_f32_e64 vcc_lo, 0x33800000, |v21|
	v_cmp_class_f32_e64 s5, v12, 0x204
	v_cndmask_b32_e32 v11, v11, v21, vcc_lo
	v_cmp_eq_f32_e32 vcc_lo, 0, v12
                                        ; implicit-def: $vgpr21
	v_cndmask_b32_e32 v20, v18, v20, vcc_lo
	s_delay_alu instid0(VALU_DEP_4) | instskip(NEXT) | instid1(VALU_DEP_3)
	s_and_b32 vcc_lo, s5, s7
	v_mul_f32_e32 v18, 0.5, v11
	s_delay_alu instid0(VALU_DEP_2)
	v_cndmask_b32_e32 v19, v20, v19, vcc_lo
                                        ; implicit-def: $vgpr20
.LBB193_159:                            ;   in Loop: Header=BB193_145 Depth=1
	s_and_not1_saveexec_b32 s31, s6
	s_cbranch_execz .LBB193_167
; %bb.160:                              ;   in Loop: Header=BB193_145 Depth=1
	v_mul_f32_e32 v22, v20, v20
                                        ; implicit-def: $vgpr18
                                        ; implicit-def: $vgpr19
	s_mov_b32 s5, exec_lo
	s_delay_alu instid0(VALU_DEP_1) | instskip(NEXT) | instid1(VALU_DEP_1)
	v_fmac_f32_e32 v22, v21, v21
	v_cmpx_ge_f32_e32 0x3f333333, v22
	s_xor_b32 s6, exec_lo, s5
	s_cbranch_execz .LBB193_162
; %bb.161:                              ;   in Loop: Header=BB193_145 Depth=1
	v_max_f32_e64 v18, |v12|, |v12|
	v_max_f32_e64 v19, |v11|, |v11|
	v_cmp_gt_f32_e32 vcc_lo, 0x800000, v22
	v_cmp_gt_i32_e64 s5, 0, v11
	v_cmp_class_f32_e64 s7, v11, 0x204
	v_cmp_class_f32_e64 s8, v12, 0x204
	v_max_f32_e32 v20, v19, v18
	v_min_f32_e32 v18, v19, v18
	v_cndmask_b32_e64 v23, 0, 0x41b17218, vcc_lo
	s_delay_alu instid0(VALU_DEP_3) | instskip(SKIP_1) | instid1(VALU_DEP_2)
	v_frexp_mant_f32_e32 v21, v20
	v_frexp_exp_i32_f32_e32 v20, v20
	v_rcp_f32_e32 v19, v21
	v_frexp_exp_i32_f32_e32 v21, v18
	v_frexp_mant_f32_e32 v18, v18
	s_delay_alu instid0(VALU_DEP_2) | instskip(SKIP_4) | instid1(VALU_DEP_2)
	v_sub_nc_u32_e32 v20, v21, v20
	v_cndmask_b32_e64 v21, 1.0, 0x4f800000, vcc_lo
	s_waitcnt_depctr 0xfff
	v_mul_f32_e32 v18, v18, v19
	v_mul_f32_e32 v21, v22, v21
	v_ldexp_f32 v18, v18, v20
	s_delay_alu instid0(VALU_DEP_2) | instskip(NEXT) | instid1(VALU_DEP_1)
	v_log_f32_e32 v21, v21
	v_mul_f32_e32 v19, v18, v18
	s_delay_alu instid0(VALU_DEP_1) | instskip(SKIP_3) | instid1(VALU_DEP_1)
	v_fmaak_f32 v20, s26, v19, 0xbc7a590c
	s_waitcnt_depctr 0xfff
	v_cmp_gt_f32_e64 vcc_lo, 0x7f800000, |v21|
	v_fmaak_f32 v20, v19, v20, 0x3d29fb3f
	v_fmaak_f32 v20, v19, v20, 0xbd97d4d7
	s_delay_alu instid0(VALU_DEP_1) | instskip(NEXT) | instid1(VALU_DEP_1)
	v_fmaak_f32 v20, v19, v20, 0x3dd931b2
	v_fmaak_f32 v20, v19, v20, 0xbe1160e6
	s_delay_alu instid0(VALU_DEP_1) | instskip(NEXT) | instid1(VALU_DEP_1)
	;; [unrolled: 3-line block ×3, first 2 shown]
	v_dual_mul_f32 v19, v19, v20 :: v_dual_mul_f32 v20, 0x3f317217, v21
	v_fmac_f32_e32 v18, v18, v19
	s_delay_alu instid0(VALU_DEP_2) | instskip(NEXT) | instid1(VALU_DEP_1)
	v_fma_f32 v19, 0x3f317217, v21, -v20
	v_fmac_f32_e32 v19, 0x3377d1cf, v21
	s_delay_alu instid0(VALU_DEP_1) | instskip(NEXT) | instid1(VALU_DEP_1)
	v_dual_sub_f32 v22, 0x3fc90fdb, v18 :: v_dual_add_f32 v19, v20, v19
	v_cndmask_b32_e64 v18, v18, v22, s4
	v_cndmask_b32_e64 v20, 0, 0x40490fdb, s5
	v_cmp_eq_f32_e64 s5, 0, v12
	s_delay_alu instid0(VALU_DEP_3) | instskip(SKIP_1) | instid1(VALU_DEP_2)
	v_dual_cndmask_b32 v19, v21, v19 :: v_dual_sub_f32 v22, 0x40490fdb, v18
	v_cmp_gt_f32_e32 vcc_lo, 0, v11
                                        ; implicit-def: $vgpr21
	v_dual_sub_f32 v11, v19, v23 :: v_dual_cndmask_b32 v18, v18, v22
	s_delay_alu instid0(VALU_DEP_1) | instskip(SKIP_2) | instid1(VALU_DEP_1)
	v_cndmask_b32_e64 v19, v18, v20, s5
	v_cndmask_b32_e32 v20, 0x3f490fdb, v17, vcc_lo
	s_and_b32 vcc_lo, s8, s7
	v_dual_mul_f32 v18, 0.5, v11 :: v_dual_cndmask_b32 v19, v19, v20
                                        ; implicit-def: $vgpr20
.LBB193_162:                            ;   in Loop: Header=BB193_145 Depth=1
	s_and_not1_saveexec_b32 s33, s6
	s_cbranch_execz .LBB193_166
; %bb.163:                              ;   in Loop: Header=BB193_145 Depth=1
	v_and_b32_e32 v22, 0x7fff0000, v20
	v_and_b32_e32 v19, 0x7fff0000, v21
	s_mov_b32 s34, 0
	s_delay_alu instid0(VALU_DEP_2) | instskip(SKIP_1) | instid1(VALU_DEP_3)
	v_sub_f32_e32 v23, v20, v22
	v_mul_f32_e32 v20, v22, v22
	v_mul_f32_e32 v18, v19, v19
	v_sub_f32_e32 v21, v21, v19
	s_delay_alu instid0(VALU_DEP_1) | instskip(NEXT) | instid1(VALU_DEP_1)
	v_dual_add_f32 v29, v22, v22 :: v_dual_and_b32 v24, 0xffff0000, v21
	v_dual_sub_f32 v22, v21, v24 :: v_dual_and_b32 v25, 0xffff0000, v23
	s_delay_alu instid0(VALU_DEP_1) | instskip(SKIP_2) | instid1(VALU_DEP_3)
	v_dual_add_f32 v26, v19, v19 :: v_dual_mul_f32 v19, v29, v25
	v_dual_sub_f32 v30, v23, v25 :: v_dual_mul_f32 v21, v24, v24
	v_add_f32_e32 v23, v24, v24
	v_dual_mul_f32 v28, v26, v24 :: v_dual_add_f32 v31, v25, v25
	v_dual_mul_f32 v27, v25, v25 :: v_dual_mul_f32 v24, v26, v22
	s_delay_alu instid0(VALU_DEP_4) | instskip(NEXT) | instid1(VALU_DEP_4)
	v_mul_f32_e32 v26, v29, v30
	v_mul_f32_e32 v25, v23, v22
	;; [unrolled: 1-line block ×5, first 2 shown]
.LBB193_164:                            ;   Parent Loop BB193_145 Depth=1
                                        ; =>  This Inner Loop Header: Depth=2
	v_cmp_nlt_f32_e32 vcc_lo, v18, v20
	s_delay_alu instid0(VALU_DEP_2) | instskip(SKIP_1) | instid1(VALU_DEP_2)
	v_dual_mov_b32 v31, v29 :: v_dual_cndmask_b32 v30, v18, v20
	v_cndmask_b32_e32 v18, v20, v18, vcc_lo
	v_cmp_nlt_f32_e64 s5, v30, v28
	s_delay_alu instid0(VALU_DEP_1) | instskip(SKIP_2) | instid1(VALU_DEP_2)
	v_cndmask_b32_e64 v29, v30, v28, s5
	v_cndmask_b32_e64 v20, v28, v30, s5
	s_and_b32 s35, vcc_lo, s5
	v_cmp_nlt_f32_e64 s6, v29, v19
	s_delay_alu instid0(VALU_DEP_1) | instskip(SKIP_1) | instid1(VALU_DEP_2)
	v_cndmask_b32_e64 v32, v29, v19, s6
	v_cndmask_b32_e64 v28, v19, v29, s6
	v_cmp_nlt_f32_e64 s7, v32, v21
	s_delay_alu instid0(VALU_DEP_1) | instskip(SKIP_2) | instid1(VALU_DEP_2)
	v_cndmask_b32_e64 v30, v32, v21, s7
	v_cndmask_b32_e64 v19, v21, v32, s7
	s_and_b32 s36, s6, s7
	v_cmp_nlt_f32_e64 s8, v30, v27
	s_delay_alu instid0(VALU_DEP_1) | instskip(SKIP_1) | instid1(VALU_DEP_2)
	v_cndmask_b32_e64 v33, v30, v27, s8
	v_cndmask_b32_e64 v21, v27, v30, s8
	v_cmp_nlt_f32_e64 s9, v33, v24
	s_delay_alu instid0(VALU_DEP_1) | instskip(SKIP_2) | instid1(VALU_DEP_2)
	v_cndmask_b32_e64 v34, v33, v24, s9
	s_and_b32 s7, s8, s9
	v_cndmask_b32_e64 v27, v24, v33, s9
	v_cmp_nlt_f32_e64 s10, v34, v26
	s_delay_alu instid0(VALU_DEP_1) | instskip(SKIP_2) | instid1(VALU_DEP_2)
	v_cndmask_b32_e64 v35, v34, v26, s10
	s_and_b32 s7, s7, s10
	v_cndmask_b32_e64 v24, v26, v34, s10
	v_cmp_nlt_f32_e32 vcc_lo, v35, v25
	v_cndmask_b32_e32 v36, v35, v25, vcc_lo
	s_and_b32 s8, s7, vcc_lo
	v_cndmask_b32_e32 v26, v25, v35, vcc_lo
	s_delay_alu instid0(VALU_DEP_2) | instskip(NEXT) | instid1(VALU_DEP_1)
	v_cmp_nlt_f32_e64 s5, v36, v23
	v_cndmask_b32_e64 v32, v36, v23, s5
	s_and_b32 s8, s8, s5
	v_cndmask_b32_e64 v25, v23, v36, s5
	s_delay_alu instid0(VALU_DEP_2) | instskip(NEXT) | instid1(VALU_DEP_1)
	v_cmp_nlt_f32_e64 s6, v32, v22
	v_cndmask_b32_e64 v30, v32, v22, s6
	s_and_b32 s8, s8, s6
	v_cndmask_b32_e64 v23, v22, v32, s6
	s_delay_alu instid0(VALU_DEP_2) | instskip(NEXT) | instid1(VALU_DEP_1)
	v_cmp_nlt_f32_e64 s7, v30, v31
	s_and_b32 s8, s8, s7
	v_cndmask_b32_e64 v29, v30, v31, s7
	s_and_b32 s5, s8, s36
	v_cndmask_b32_e64 v22, v31, v30, s7
	s_and_b32 s5, s5, s35
	s_delay_alu instid0(SALU_CYCLE_1) | instskip(NEXT) | instid1(SALU_CYCLE_1)
	s_and_b32 s5, exec_lo, s5
	s_or_b32 s34, s5, s34
	s_delay_alu instid0(SALU_CYCLE_1)
	s_and_not1_b32 exec_lo, exec_lo, s34
	s_cbranch_execnz .LBB193_164
; %bb.165:                              ;   in Loop: Header=BB193_145 Depth=1
	s_or_b32 exec_lo, exec_lo, s34
	v_add_f32_e32 v18, -1.0, v18
	v_cmp_class_f32_e64 s6, v11, 0x204
	s_delay_alu instid0(VALU_DEP_2) | instskip(NEXT) | instid1(VALU_DEP_1)
	v_add_f32_e32 v18, v18, v20
	v_add_f32_e32 v18, v18, v28
	s_delay_alu instid0(VALU_DEP_1) | instskip(NEXT) | instid1(VALU_DEP_1)
	v_add_f32_e32 v18, v18, v19
	v_add_f32_e32 v18, v18, v21
	s_delay_alu instid0(VALU_DEP_1) | instskip(NEXT) | instid1(VALU_DEP_1)
	;; [unrolled: 3-line block ×5, first 2 shown]
	v_add_f32_e32 v20, v29, v18
	v_add_f32_e32 v21, 1.0, v20
	s_delay_alu instid0(VALU_DEP_1) | instskip(NEXT) | instid1(VALU_DEP_1)
	v_cvt_f64_f32_e32 v[18:19], v21
	v_frexp_exp_i32_f64_e32 v18, v[18:19]
	v_frexp_mant_f32_e32 v19, v21
	s_delay_alu instid0(VALU_DEP_1) | instskip(SKIP_1) | instid1(VALU_DEP_1)
	v_cmp_gt_f32_e32 vcc_lo, 0x3f2aaaab, v19
	v_add_f32_e32 v19, -1.0, v21
	v_sub_f32_e32 v23, v19, v21
	v_sub_f32_e32 v19, v20, v19
	s_delay_alu instid0(VALU_DEP_2) | instskip(NEXT) | instid1(VALU_DEP_1)
	v_add_f32_e32 v23, 1.0, v23
	v_add_f32_e32 v19, v19, v23
	v_subrev_co_ci_u32_e32 v18, vcc_lo, 0, v18, vcc_lo
	s_delay_alu instid0(VALU_DEP_1) | instskip(SKIP_1) | instid1(VALU_DEP_2)
	v_sub_nc_u32_e32 v22, 0, v18
	v_cvt_f32_i32_e32 v18, v18
	v_ldexp_f32 v21, v21, v22
	v_ldexp_f32 v19, v19, v22
	s_delay_alu instid0(VALU_DEP_2) | instskip(NEXT) | instid1(VALU_DEP_1)
	v_add_f32_e32 v24, 1.0, v21
	v_add_f32_e32 v23, -1.0, v24
	s_delay_alu instid0(VALU_DEP_1) | instskip(NEXT) | instid1(VALU_DEP_1)
	v_sub_f32_e32 v23, v21, v23
	v_dual_add_f32 v23, v19, v23 :: v_dual_add_f32 v22, -1.0, v21
	s_delay_alu instid0(VALU_DEP_1) | instskip(NEXT) | instid1(VALU_DEP_1)
	v_add_f32_e32 v25, 1.0, v22
	v_sub_f32_e32 v21, v21, v25
	s_delay_alu instid0(VALU_DEP_1) | instskip(NEXT) | instid1(VALU_DEP_1)
	v_add_f32_e32 v19, v19, v21
	v_add_f32_e32 v26, v22, v19
	s_delay_alu instid0(VALU_DEP_1) | instskip(NEXT) | instid1(VALU_DEP_1)
	v_sub_f32_e32 v22, v26, v22
	v_sub_f32_e32 v19, v19, v22
	v_add_f32_e32 v25, v24, v23
	v_cmp_eq_f32_e32 vcc_lo, 0x7f800000, v20
	v_cmp_neq_f32_e64 s5, -1.0, v20
	s_delay_alu instid0(VALU_DEP_3) | instskip(SKIP_1) | instid1(VALU_DEP_1)
	v_rcp_f32_e32 v21, v25
	v_sub_f32_e32 v24, v25, v24
	v_sub_f32_e32 v23, v23, v24
	s_waitcnt_depctr 0xfff
	v_mul_f32_e32 v27, v26, v21
	s_delay_alu instid0(VALU_DEP_1) | instskip(NEXT) | instid1(VALU_DEP_1)
	v_mul_f32_e32 v28, v25, v27
	v_fma_f32 v24, v27, v25, -v28
	s_delay_alu instid0(VALU_DEP_1) | instskip(NEXT) | instid1(VALU_DEP_1)
	v_fmac_f32_e32 v24, v27, v23
	v_add_f32_e32 v29, v28, v24
	s_delay_alu instid0(VALU_DEP_1) | instskip(NEXT) | instid1(VALU_DEP_1)
	v_sub_f32_e32 v30, v26, v29
	v_sub_f32_e32 v26, v26, v30
	s_delay_alu instid0(VALU_DEP_1) | instskip(NEXT) | instid1(VALU_DEP_1)
	v_sub_f32_e32 v26, v26, v29
	v_dual_add_f32 v19, v19, v26 :: v_dual_sub_f32 v22, v29, v28
	s_delay_alu instid0(VALU_DEP_1) | instskip(NEXT) | instid1(VALU_DEP_1)
	v_sub_f32_e32 v22, v22, v24
	v_add_f32_e32 v19, v22, v19
	s_delay_alu instid0(VALU_DEP_1) | instskip(NEXT) | instid1(VALU_DEP_1)
	v_add_f32_e32 v22, v30, v19
	v_mul_f32_e32 v24, v21, v22
	s_delay_alu instid0(VALU_DEP_1) | instskip(NEXT) | instid1(VALU_DEP_1)
	v_mul_f32_e32 v26, v25, v24
	v_fma_f32 v25, v24, v25, -v26
	s_delay_alu instid0(VALU_DEP_1) | instskip(SKIP_1) | instid1(VALU_DEP_2)
	v_fmac_f32_e32 v25, v24, v23
	v_sub_f32_e32 v29, v30, v22
	v_add_f32_e32 v23, v26, v25
	s_delay_alu instid0(VALU_DEP_1) | instskip(NEXT) | instid1(VALU_DEP_1)
	v_dual_add_f32 v19, v19, v29 :: v_dual_sub_f32 v28, v22, v23
	v_sub_f32_e32 v22, v22, v28
	s_delay_alu instid0(VALU_DEP_1) | instskip(NEXT) | instid1(VALU_DEP_1)
	v_sub_f32_e32 v22, v22, v23
	v_add_f32_e32 v19, v19, v22
	v_add_f32_e32 v22, v27, v24
	v_sub_f32_e32 v26, v23, v26
	s_delay_alu instid0(VALU_DEP_1) | instskip(SKIP_1) | instid1(VALU_DEP_2)
	v_sub_f32_e32 v23, v26, v25
	v_max_f32_e64 v25, |v12|, |v12|
	v_add_f32_e32 v19, v23, v19
	s_delay_alu instid0(VALU_DEP_1) | instskip(NEXT) | instid1(VALU_DEP_1)
	v_dual_add_f32 v19, v28, v19 :: v_dual_mul_f32 v28, 0x3f317218, v18
	v_mul_f32_e32 v19, v21, v19
	v_sub_f32_e32 v23, v22, v27
	s_delay_alu instid0(VALU_DEP_3) | instskip(NEXT) | instid1(VALU_DEP_2)
	v_fma_f32 v29, 0x3f317218, v18, -v28
	v_sub_f32_e32 v23, v24, v23
	s_delay_alu instid0(VALU_DEP_2) | instskip(NEXT) | instid1(VALU_DEP_2)
	v_fmac_f32_e32 v29, 0xb102e308, v18
	v_add_f32_e32 v19, v23, v19
	s_delay_alu instid0(VALU_DEP_1) | instskip(NEXT) | instid1(VALU_DEP_1)
	v_add_f32_e32 v21, v22, v19
	v_mul_f32_e32 v23, v21, v21
	s_delay_alu instid0(VALU_DEP_1) | instskip(NEXT) | instid1(VALU_DEP_1)
	v_fmaak_f32 v24, s21, v23, 0x3ecc95a3
	v_dual_mul_f32 v26, v21, v23 :: v_dual_fmaak_f32 v23, v23, v24, 0x3f2aaada
	v_max_f32_e64 v24, |v11|, |v11|
	s_delay_alu instid0(VALU_DEP_1) | instskip(SKIP_3) | instid1(VALU_DEP_4)
	v_dual_mul_f32 v23, v26, v23 :: v_dual_max_f32 v26, v24, v25
	v_min_f32_e32 v24, v24, v25
	v_ldexp_f32 v27, v21, 1
	v_sub_f32_e32 v21, v21, v22
	v_frexp_mant_f32_e32 v25, v26
	v_frexp_exp_i32_f32_e32 v26, v26
	s_delay_alu instid0(VALU_DEP_4) | instskip(NEXT) | instid1(VALU_DEP_4)
	v_add_f32_e32 v22, v27, v23
	v_sub_f32_e32 v19, v19, v21
	s_delay_alu instid0(VALU_DEP_4) | instskip(NEXT) | instid1(VALU_DEP_2)
	v_rcp_f32_e32 v25, v25
	v_sub_f32_e32 v21, v22, v27
	s_delay_alu instid0(VALU_DEP_2) | instskip(SKIP_1) | instid1(VALU_DEP_3)
	v_ldexp_f32 v19, v19, 1
	v_frexp_exp_i32_f32_e32 v27, v24
	v_sub_f32_e32 v21, v23, v21
	v_frexp_mant_f32_e32 v23, v24
	s_delay_alu instid0(VALU_DEP_3) | instskip(NEXT) | instid1(VALU_DEP_3)
	v_sub_nc_u32_e32 v24, v27, v26
	v_add_f32_e32 v18, v19, v21
	v_add_f32_e32 v21, v28, v29
	s_delay_alu instid0(VALU_DEP_1) | instskip(NEXT) | instid1(VALU_DEP_1)
	v_sub_f32_e32 v28, v21, v28
	v_dual_sub_f32 v28, v29, v28 :: v_dual_mul_f32 v19, v23, v25
	s_delay_alu instid0(VALU_DEP_4) | instskip(NEXT) | instid1(VALU_DEP_2)
	v_add_f32_e32 v23, v22, v18
	v_ldexp_f32 v19, v19, v24
	s_delay_alu instid0(VALU_DEP_2) | instskip(NEXT) | instid1(VALU_DEP_1)
	v_add_f32_e32 v24, v21, v23
	v_dual_sub_f32 v26, v24, v21 :: v_dual_mul_f32 v25, v19, v19
	v_sub_f32_e32 v22, v23, v22
	s_delay_alu instid0(VALU_DEP_2) | instskip(NEXT) | instid1(VALU_DEP_2)
	v_dual_sub_f32 v30, v24, v26 :: v_dual_fmaak_f32 v27, s26, v25, 0xbc7a590c
	v_sub_f32_e32 v18, v18, v22
	s_delay_alu instid0(VALU_DEP_2) | instskip(NEXT) | instid1(VALU_DEP_2)
	v_dual_sub_f32 v22, v23, v26 :: v_dual_fmaak_f32 v27, v25, v27, 0x3d29fb3f
	v_add_f32_e32 v26, v28, v18
	s_delay_alu instid0(VALU_DEP_4) | instskip(NEXT) | instid1(VALU_DEP_3)
	v_sub_f32_e32 v21, v21, v30
	v_fmaak_f32 v23, v25, v27, 0xbd97d4d7
	s_delay_alu instid0(VALU_DEP_1) | instskip(NEXT) | instid1(VALU_DEP_4)
	v_dual_add_f32 v21, v22, v21 :: v_dual_fmaak_f32 v22, v25, v23, 0x3dd931b2
	v_sub_f32_e32 v23, v26, v28
	s_delay_alu instid0(VALU_DEP_2) | instskip(NEXT) | instid1(VALU_DEP_1)
	v_dual_add_f32 v21, v26, v21 :: v_dual_fmaak_f32 v22, v25, v22, 0xbe1160e6
	v_dual_sub_f32 v26, v26, v23 :: v_dual_add_f32 v27, v24, v21
	v_sub_f32_e32 v18, v18, v23
	s_delay_alu instid0(VALU_DEP_3) | instskip(NEXT) | instid1(VALU_DEP_3)
	v_fmaak_f32 v22, v25, v22, 0x3e4cb8bf
	v_sub_f32_e32 v23, v28, v26
	s_delay_alu instid0(VALU_DEP_2) | instskip(NEXT) | instid1(VALU_DEP_1)
	v_fmaak_f32 v22, v25, v22, 0xbeaaaa62
	v_mul_f32_e32 v22, v25, v22
	s_delay_alu instid0(VALU_DEP_1) | instskip(SKIP_1) | instid1(VALU_DEP_1)
	v_fmac_f32_e32 v19, v19, v22
	v_sub_f32_e32 v24, v27, v24
	v_dual_add_f32 v18, v18, v23 :: v_dual_sub_f32 v21, v21, v24
	s_delay_alu instid0(VALU_DEP_1) | instskip(NEXT) | instid1(VALU_DEP_1)
	v_add_f32_e32 v18, v18, v21
	v_add_f32_e32 v18, v27, v18
	s_delay_alu instid0(VALU_DEP_1) | instskip(SKIP_1) | instid1(VALU_DEP_2)
	v_dual_cndmask_b32 v18, v18, v20 :: v_dual_sub_f32 v21, 0x3fc90fdb, v19
	v_cmp_gt_i32_e32 vcc_lo, 0, v11
	v_cndmask_b32_e64 v19, v19, v21, s4
	v_cndmask_b32_e64 v21, 0, 0x40490fdb, vcc_lo
	v_cmp_ngt_f32_e32 vcc_lo, -1.0, v20
	s_delay_alu instid0(VALU_DEP_3) | instskip(SKIP_2) | instid1(VALU_DEP_2)
	v_sub_f32_e32 v22, 0x40490fdb, v19
	v_cndmask_b32_e32 v18, 0x7fc00000, v18, vcc_lo
	v_cmp_gt_f32_e32 vcc_lo, 0, v11
	v_cndmask_b32_e64 v11, 0xff800000, v18, s5
	s_delay_alu instid0(VALU_DEP_4)
	v_cndmask_b32_e32 v18, v19, v22, vcc_lo
	v_cndmask_b32_e32 v19, 0x3f490fdb, v17, vcc_lo
	v_cmp_gt_f32_e64 vcc_lo, 0x33800000, |v20|
	v_cmp_class_f32_e64 s5, v12, 0x204
	v_cndmask_b32_e32 v11, v11, v20, vcc_lo
	v_cmp_eq_f32_e32 vcc_lo, 0, v12
	v_cndmask_b32_e32 v20, v18, v21, vcc_lo
	s_delay_alu instid0(VALU_DEP_4) | instskip(NEXT) | instid1(VALU_DEP_3)
	s_and_b32 vcc_lo, s5, s6
	v_mul_f32_e32 v18, 0.5, v11
	s_delay_alu instid0(VALU_DEP_2)
	v_cndmask_b32_e32 v19, v20, v19, vcc_lo
.LBB193_166:                            ;   in Loop: Header=BB193_145 Depth=1
	s_or_b32 exec_lo, exec_lo, s33
.LBB193_167:                            ;   in Loop: Header=BB193_145 Depth=1
	s_delay_alu instid0(SALU_CYCLE_1)
	s_or_b32 exec_lo, exec_lo, s31
.LBB193_168:                            ;   in Loop: Header=BB193_145 Depth=1
	s_and_not1_saveexec_b32 s6, s30
	s_cbranch_execz .LBB193_170
; %bb.169:                              ;   in Loop: Header=BB193_145 Depth=1
	v_max_f32_e64 v20, |v12|, |v12|
	v_max_f32_e64 v21, |v11|, |v11|
	v_cmp_gt_i32_e64 s5, 0, v11
	v_cmp_class_f32_e64 s7, v11, 0x204
	v_cmp_class_f32_e64 s8, v12, 0x204
	s_delay_alu instid0(VALU_DEP_4) | instskip(SKIP_1) | instid1(VALU_DEP_2)
	v_max_f32_e32 v22, v21, v20
	v_min_f32_e32 v20, v21, v20
	v_cvt_f64_f32_e32 v[18:19], v22
	s_delay_alu instid0(VALU_DEP_2) | instskip(SKIP_1) | instid1(VALU_DEP_3)
	v_frexp_exp_i32_f32_e32 v23, v20
	v_frexp_mant_f32_e32 v20, v20
	v_frexp_exp_i32_f64_e32 v18, v[18:19]
	v_frexp_mant_f32_e32 v19, v22
	s_delay_alu instid0(VALU_DEP_1) | instskip(SKIP_4) | instid1(VALU_DEP_2)
	v_rcp_f32_e32 v19, v19
	s_waitcnt_depctr 0xfff
	v_mul_f32_e32 v19, v20, v19
	v_frexp_exp_i32_f32_e32 v21, v22
	v_cmp_neq_f32_e32 vcc_lo, 0x7f800000, v22
	v_sub_nc_u32_e32 v21, v23, v21
	s_delay_alu instid0(VALU_DEP_1) | instskip(NEXT) | instid1(VALU_DEP_1)
	v_ldexp_f32 v19, v19, v21
	v_mul_f32_e32 v23, v19, v19
	v_sub_nc_u32_e32 v24, 0, v18
	s_delay_alu instid0(VALU_DEP_1) | instskip(SKIP_1) | instid1(VALU_DEP_2)
	v_ldexp_f32 v20, |v12|, v24
	v_ldexp_f32 v21, |v11|, v24
	v_mul_f32_e32 v20, v20, v20
	s_delay_alu instid0(VALU_DEP_1) | instskip(NEXT) | instid1(VALU_DEP_1)
	v_dual_fmac_f32 v20, v21, v21 :: v_dual_fmaak_f32 v21, s26, v23, 0xbc7a590c
	v_sqrt_f32_e32 v20, v20
	s_delay_alu instid0(VALU_DEP_1) | instskip(NEXT) | instid1(VALU_DEP_1)
	v_fmaak_f32 v21, v23, v21, 0x3d29fb3f
	v_fmaak_f32 v21, v23, v21, 0xbd97d4d7
	s_waitcnt_depctr 0xfff
	v_ldexp_f32 v18, v20, v18
	v_fmaak_f32 v20, v23, v21, 0x3dd931b2
	s_delay_alu instid0(VALU_DEP_1) | instskip(NEXT) | instid1(VALU_DEP_1)
	v_fmaak_f32 v20, v23, v20, 0xbe1160e6
	v_fmaak_f32 v20, v23, v20, 0x3e4cb8bf
	s_delay_alu instid0(VALU_DEP_1) | instskip(NEXT) | instid1(VALU_DEP_1)
	v_fmaak_f32 v20, v23, v20, 0xbeaaaa62
	v_mul_f32_e32 v20, v23, v20
	s_delay_alu instid0(VALU_DEP_1) | instskip(NEXT) | instid1(VALU_DEP_1)
	v_dual_cndmask_b32 v18, 0x7f800000, v18 :: v_dual_fmac_f32 v19, v19, v20
	v_cmp_gt_f32_e32 vcc_lo, 0x800000, v18
	v_cndmask_b32_e64 v21, 1.0, 0x4f800000, vcc_lo
	s_delay_alu instid0(VALU_DEP_1) | instskip(NEXT) | instid1(VALU_DEP_1)
	v_dual_mul_f32 v18, v18, v21 :: v_dual_sub_f32 v21, 0x3fc90fdb, v19
	v_cndmask_b32_e64 v19, v19, v21, s4
	v_cndmask_b32_e64 v21, 0, 0x40490fdb, s5
	v_cmp_gt_f32_e64 s5, 0, v11
	s_delay_alu instid0(VALU_DEP_3) | instskip(SKIP_1) | instid1(VALU_DEP_1)
	v_sub_f32_e32 v23, 0x40490fdb, v19
	v_log_f32_e32 v18, v18
	v_cndmask_b32_e64 v19, v19, v23, s5
	s_waitcnt_depctr 0xfff
	v_mul_f32_e32 v20, 0x3f317217, v18
	s_delay_alu instid0(VALU_DEP_1) | instskip(NEXT) | instid1(VALU_DEP_1)
	v_fma_f32 v22, 0x3f317217, v18, -v20
	v_fmac_f32_e32 v22, 0x3377d1cf, v18
	s_delay_alu instid0(VALU_DEP_1) | instskip(SKIP_3) | instid1(VALU_DEP_4)
	v_add_f32_e32 v11, v20, v22
	v_cndmask_b32_e64 v22, 0, 0x41b17218, vcc_lo
	v_cmp_gt_f32_e64 vcc_lo, 0x7f800000, |v18|
	v_cndmask_b32_e64 v20, 0x3f490fdb, v17, s5
	v_cndmask_b32_e32 v11, v18, v11, vcc_lo
	v_cmp_eq_f32_e32 vcc_lo, 0, v12
	s_delay_alu instid0(VALU_DEP_2) | instskip(SKIP_2) | instid1(VALU_DEP_1)
	v_sub_f32_e32 v18, v11, v22
	v_cndmask_b32_e32 v19, v19, v21, vcc_lo
	s_and_b32 vcc_lo, s8, s7
	v_cndmask_b32_e32 v19, v19, v20, vcc_lo
.LBB193_170:                            ;   in Loop: Header=BB193_145 Depth=1
	s_or_b32 exec_lo, exec_lo, s6
                                        ; implicit-def: $vgpr20
.LBB193_171:                            ;   in Loop: Header=BB193_145 Depth=1
	s_and_not1_saveexec_b32 s6, s29
	s_cbranch_execz .LBB193_177
; %bb.172:                              ;   in Loop: Header=BB193_145 Depth=1
                                        ; implicit-def: $vgpr18
                                        ; implicit-def: $vgpr19
	s_mov_b32 s5, exec_lo
	v_cmpx_ngt_f32_e32 0x1fec1e4a, v20
	s_xor_b32 s7, exec_lo, s5
	s_cbranch_execz .LBB193_174
; %bb.173:                              ;   in Loop: Header=BB193_145 Depth=1
	v_mul_f32_e32 v20, v20, v20
	v_cmp_class_f32_e64 s8, v11, 0x204
	v_cmp_gt_f32_e64 s5, 0, v11
	v_cmp_class_f32_e64 s10, v12, 0x204
	s_delay_alu instid0(VALU_DEP_4) | instskip(NEXT) | instid1(VALU_DEP_1)
	v_add_f32_e32 v21, 1.0, v20
	v_cvt_f64_f32_e32 v[18:19], v21
	s_delay_alu instid0(VALU_DEP_1) | instskip(SKIP_1) | instid1(VALU_DEP_1)
	v_frexp_exp_i32_f64_e32 v18, v[18:19]
	v_frexp_mant_f32_e32 v19, v21
	v_cmp_gt_f32_e32 vcc_lo, 0x3f2aaaab, v19
	v_add_f32_e32 v19, -1.0, v21
	v_cmp_gt_f32_e64 s9, 0x33800000, |v20|
	s_delay_alu instid0(VALU_DEP_2) | instskip(SKIP_2) | instid1(VALU_DEP_2)
	v_sub_f32_e32 v23, v19, v21
	v_subrev_co_ci_u32_e32 v18, vcc_lo, 0, v18, vcc_lo
	v_cmp_gt_i32_e32 vcc_lo, 0, v11
	v_sub_nc_u32_e32 v22, 0, v18
	v_cvt_f32_i32_e32 v18, v18
	s_delay_alu instid0(VALU_DEP_2) | instskip(SKIP_1) | instid1(VALU_DEP_2)
	v_ldexp_f32 v21, v21, v22
	v_sub_f32_e32 v19, v20, v19
	v_dual_add_f32 v23, 1.0, v23 :: v_dual_add_f32 v24, 1.0, v21
	s_delay_alu instid0(VALU_DEP_1) | instskip(NEXT) | instid1(VALU_DEP_2)
	v_add_f32_e32 v19, v19, v23
	v_add_f32_e32 v23, -1.0, v24
	s_delay_alu instid0(VALU_DEP_2) | instskip(NEXT) | instid1(VALU_DEP_2)
	v_ldexp_f32 v19, v19, v22
	v_dual_add_f32 v22, -1.0, v21 :: v_dual_sub_f32 v23, v21, v23
	s_delay_alu instid0(VALU_DEP_1) | instskip(NEXT) | instid1(VALU_DEP_2)
	v_add_f32_e32 v25, 1.0, v22
	v_add_f32_e32 v23, v19, v23
	s_delay_alu instid0(VALU_DEP_2) | instskip(NEXT) | instid1(VALU_DEP_2)
	v_sub_f32_e32 v21, v21, v25
	v_add_f32_e32 v25, v24, v23
	s_delay_alu instid0(VALU_DEP_2) | instskip(NEXT) | instid1(VALU_DEP_2)
	v_add_f32_e32 v19, v19, v21
	v_rcp_f32_e32 v21, v25
	v_sub_f32_e32 v24, v24, v25
	s_delay_alu instid0(VALU_DEP_1) | instskip(NEXT) | instid1(VALU_DEP_1)
	v_dual_add_f32 v26, v22, v19 :: v_dual_add_f32 v23, v23, v24
	v_sub_f32_e32 v22, v22, v26
	s_waitcnt_depctr 0xfff
	v_mul_f32_e32 v27, v26, v21
	s_delay_alu instid0(VALU_DEP_1) | instskip(NEXT) | instid1(VALU_DEP_1)
	v_dual_add_f32 v19, v19, v22 :: v_dual_mul_f32 v28, v25, v27
	v_fma_f32 v24, v27, v25, -v28
	s_delay_alu instid0(VALU_DEP_1) | instskip(NEXT) | instid1(VALU_DEP_1)
	v_fmac_f32_e32 v24, v27, v23
	v_add_f32_e32 v29, v28, v24
	s_delay_alu instid0(VALU_DEP_1) | instskip(SKIP_1) | instid1(VALU_DEP_2)
	v_sub_f32_e32 v30, v26, v29
	v_sub_f32_e32 v22, v29, v28
	;; [unrolled: 1-line block ×3, first 2 shown]
	s_delay_alu instid0(VALU_DEP_2) | instskip(NEXT) | instid1(VALU_DEP_2)
	v_sub_f32_e32 v22, v22, v24
	v_sub_f32_e32 v26, v26, v29
	s_delay_alu instid0(VALU_DEP_1) | instskip(NEXT) | instid1(VALU_DEP_1)
	v_add_f32_e32 v19, v19, v26
	v_add_f32_e32 v19, v22, v19
	s_delay_alu instid0(VALU_DEP_1) | instskip(NEXT) | instid1(VALU_DEP_1)
	v_add_f32_e32 v22, v30, v19
	v_mul_f32_e32 v24, v21, v22
	s_delay_alu instid0(VALU_DEP_1) | instskip(NEXT) | instid1(VALU_DEP_1)
	v_dual_sub_f32 v29, v30, v22 :: v_dual_mul_f32 v26, v25, v24
	v_fma_f32 v25, v24, v25, -v26
	s_delay_alu instid0(VALU_DEP_1) | instskip(NEXT) | instid1(VALU_DEP_1)
	v_fmac_f32_e32 v25, v24, v23
	v_add_f32_e32 v23, v26, v25
	s_delay_alu instid0(VALU_DEP_1) | instskip(SKIP_1) | instid1(VALU_DEP_2)
	v_sub_f32_e32 v28, v22, v23
	v_sub_f32_e32 v26, v23, v26
	v_dual_sub_f32 v22, v22, v28 :: v_dual_add_f32 v19, v19, v29
	s_delay_alu instid0(VALU_DEP_1) | instskip(NEXT) | instid1(VALU_DEP_1)
	v_sub_f32_e32 v22, v22, v23
	v_add_f32_e32 v19, v19, v22
	s_delay_alu instid0(VALU_DEP_4) | instskip(NEXT) | instid1(VALU_DEP_1)
	v_dual_add_f32 v22, v27, v24 :: v_dual_sub_f32 v23, v26, v25
	v_add_f32_e32 v19, v23, v19
	s_delay_alu instid0(VALU_DEP_2) | instskip(NEXT) | instid1(VALU_DEP_2)
	v_sub_f32_e32 v23, v22, v27
	v_add_f32_e32 v19, v28, v19
	s_delay_alu instid0(VALU_DEP_2) | instskip(SKIP_1) | instid1(VALU_DEP_3)
	v_sub_f32_e32 v23, v24, v23
	v_max_f32_e64 v24, |v11|, |v11|
	v_mul_f32_e32 v19, v21, v19
	v_max_f32_e64 v21, |v12|, |v12|
	s_delay_alu instid0(VALU_DEP_1) | instskip(SKIP_1) | instid1(VALU_DEP_2)
	v_dual_add_f32 v19, v23, v19 :: v_dual_max_f32 v26, v24, v21
	v_min_f32_e32 v21, v24, v21
	v_add_f32_e32 v23, v22, v19
	s_delay_alu instid0(VALU_DEP_3) | instskip(SKIP_1) | instid1(VALU_DEP_3)
	v_frexp_mant_f32_e32 v28, v26
	v_frexp_exp_i32_f32_e32 v24, v26
	v_mul_f32_e32 v25, v23, v23
	v_ldexp_f32 v29, v23, 1
	s_delay_alu instid0(VALU_DEP_2) | instskip(SKIP_1) | instid1(VALU_DEP_2)
	v_dual_sub_f32 v22, v23, v22 :: v_dual_fmaak_f32 v27, s21, v25, 0x3ecc95a3
	v_mul_f32_e32 v26, v23, v25
	v_sub_f32_e32 v19, v19, v22
	s_delay_alu instid0(VALU_DEP_3)
	v_fmaak_f32 v25, v25, v27, 0x3f2aaada
	v_rcp_f32_e32 v27, v28
	v_frexp_exp_i32_f32_e32 v28, v21
	v_frexp_mant_f32_e32 v21, v21
	v_ldexp_f32 v19, v19, 1
	v_dual_mul_f32 v25, v26, v25 :: v_dual_mul_f32 v26, 0x3f317218, v18
	s_delay_alu instid0(VALU_DEP_4) | instskip(NEXT) | instid1(VALU_DEP_2)
	v_sub_nc_u32_e32 v24, v28, v24
	v_add_f32_e32 v23, v29, v25
	s_delay_alu instid0(TRANS32_DEP_1) | instid1(VALU_DEP_1)
	v_dual_mul_f32 v21, v21, v27 :: v_dual_sub_f32 v22, v23, v29
	s_delay_alu instid0(VALU_DEP_1) | instskip(SKIP_1) | instid1(VALU_DEP_3)
	v_ldexp_f32 v21, v21, v24
	v_fma_f32 v24, 0x3f317218, v18, -v26
	v_sub_f32_e32 v22, v25, v22
	s_delay_alu instid0(VALU_DEP_2) | instskip(NEXT) | instid1(VALU_DEP_2)
	v_fmac_f32_e32 v24, 0xb102e308, v18
	v_add_f32_e32 v18, v19, v22
	s_delay_alu instid0(VALU_DEP_1) | instskip(NEXT) | instid1(VALU_DEP_1)
	v_dual_add_f32 v22, v26, v24 :: v_dual_add_f32 v27, v23, v18
	v_sub_f32_e32 v26, v22, v26
	s_delay_alu instid0(VALU_DEP_2) | instskip(NEXT) | instid1(VALU_DEP_2)
	v_add_f32_e32 v28, v22, v27
	v_dual_sub_f32 v23, v27, v23 :: v_dual_sub_f32 v24, v24, v26
	s_delay_alu instid0(VALU_DEP_1) | instskip(NEXT) | instid1(VALU_DEP_1)
	v_dual_sub_f32 v29, v28, v22 :: v_dual_sub_f32 v18, v18, v23
	v_sub_f32_e32 v30, v28, v29
	s_delay_alu instid0(VALU_DEP_2) | instskip(NEXT) | instid1(VALU_DEP_2)
	v_dual_sub_f32 v23, v27, v29 :: v_dual_add_f32 v26, v24, v18
	v_sub_f32_e32 v22, v22, v30
	s_delay_alu instid0(VALU_DEP_1) | instskip(NEXT) | instid1(VALU_DEP_1)
	v_dual_add_f32 v22, v23, v22 :: v_dual_sub_f32 v23, v26, v24
	v_dual_add_f32 v22, v26, v22 :: v_dual_mul_f32 v25, v21, v21
	s_delay_alu instid0(VALU_DEP_1) | instskip(NEXT) | instid1(VALU_DEP_1)
	v_dual_sub_f32 v18, v18, v23 :: v_dual_fmaak_f32 v19, s26, v25, 0xbc7a590c
	v_fmaak_f32 v19, v25, v19, 0x3d29fb3f
	s_delay_alu instid0(VALU_DEP_1) | instskip(NEXT) | instid1(VALU_DEP_1)
	v_fmaak_f32 v19, v25, v19, 0xbd97d4d7
	v_fmaak_f32 v19, v25, v19, 0x3dd931b2
	s_delay_alu instid0(VALU_DEP_1) | instskip(NEXT) | instid1(VALU_DEP_1)
	v_fmaak_f32 v19, v25, v19, 0xbe1160e6
	;; [unrolled: 3-line block ×3, first 2 shown]
	v_mul_f32_e32 v19, v25, v19
	v_dual_sub_f32 v25, v26, v23 :: v_dual_add_f32 v26, v28, v22
	s_delay_alu instid0(VALU_DEP_2) | instskip(NEXT) | instid1(VALU_DEP_2)
	v_fmac_f32_e32 v21, v21, v19
	v_sub_f32_e32 v19, v24, v25
	s_delay_alu instid0(VALU_DEP_2) | instskip(NEXT) | instid1(VALU_DEP_2)
	v_dual_sub_f32 v23, v26, v28 :: v_dual_sub_f32 v24, 0x3fc90fdb, v21
	v_add_f32_e32 v18, v18, v19
	s_delay_alu instid0(VALU_DEP_2) | instskip(SKIP_3) | instid1(VALU_DEP_4)
	v_sub_f32_e32 v19, v22, v23
	v_cndmask_b32_e64 v22, 0, 0x40490fdb, vcc_lo
	v_cmp_eq_f32_e32 vcc_lo, 0x7f800000, v20
	v_cndmask_b32_e64 v21, v21, v24, s4
	v_add_f32_e32 v18, v18, v19
	s_or_b32 vcc_lo, vcc_lo, s9
	s_delay_alu instid0(VALU_DEP_2) | instskip(NEXT) | instid1(VALU_DEP_2)
	v_sub_f32_e32 v19, 0x40490fdb, v21
	v_add_f32_e32 v11, v26, v18
	s_delay_alu instid0(VALU_DEP_2) | instskip(SKIP_1) | instid1(VALU_DEP_3)
	v_cndmask_b32_e64 v18, v21, v19, s5
	v_cndmask_b32_e64 v19, 0x3f490fdb, v17, s5
	v_cndmask_b32_e32 v11, v11, v20, vcc_lo
	v_cmp_eq_f32_e32 vcc_lo, 0, v12
	s_delay_alu instid0(VALU_DEP_4) | instskip(SKIP_1) | instid1(VALU_DEP_3)
	v_cndmask_b32_e32 v20, v18, v22, vcc_lo
	s_and_b32 vcc_lo, s10, s8
	v_mul_f32_e32 v18, 0.5, v11
	s_delay_alu instid0(VALU_DEP_2)
	v_cndmask_b32_e32 v19, v20, v19, vcc_lo
                                        ; implicit-def: $vgpr20
.LBB193_174:                            ;   in Loop: Header=BB193_145 Depth=1
	s_and_not1_saveexec_b32 s7, s7
	s_cbranch_execz .LBB193_176
; %bb.175:                              ;   in Loop: Header=BB193_145 Depth=1
	v_max_f32_e64 v18, |v12|, |v12|
	v_max_f32_e64 v19, |v11|, |v11|
	v_cmp_gt_i32_e32 vcc_lo, 0, v11
	v_cmp_eq_f32_e64 s5, 0, v12
	v_cmp_class_f32_e64 s8, v11, 0x204
	v_cmp_class_f32_e64 s9, v12, 0x204
	v_max_f32_e32 v21, v19, v18
	v_min_f32_e32 v18, v19, v18
	s_delay_alu instid0(VALU_DEP_2) | instskip(NEXT) | instid1(VALU_DEP_1)
	v_frexp_mant_f32_e32 v22, v21
	v_rcp_f32_e32 v19, v22
	s_delay_alu instid0(VALU_DEP_2) | instskip(SKIP_4) | instid1(VALU_DEP_1)
	v_frexp_exp_i32_f32_e32 v22, v18
	v_frexp_mant_f32_e32 v18, v18
	s_waitcnt_depctr 0xfff
	v_mul_f32_e32 v18, v18, v19
	v_frexp_exp_i32_f32_e32 v21, v21
	v_sub_nc_u32_e32 v21, v22, v21
	s_delay_alu instid0(VALU_DEP_1) | instskip(NEXT) | instid1(VALU_DEP_1)
	v_ldexp_f32 v18, v18, v21
	v_mul_f32_e32 v19, v18, v18
	s_delay_alu instid0(VALU_DEP_1) | instskip(NEXT) | instid1(VALU_DEP_1)
	v_fmaak_f32 v21, s26, v19, 0xbc7a590c
	v_fmaak_f32 v21, v19, v21, 0x3d29fb3f
	s_delay_alu instid0(VALU_DEP_1) | instskip(NEXT) | instid1(VALU_DEP_1)
	v_fmaak_f32 v21, v19, v21, 0xbd97d4d7
	v_fmaak_f32 v21, v19, v21, 0x3dd931b2
	;; [unrolled: 3-line block ×3, first 2 shown]
	s_delay_alu instid0(VALU_DEP_1) | instskip(NEXT) | instid1(VALU_DEP_1)
	v_fmaak_f32 v21, v19, v21, 0xbeaaaa62
	v_mul_f32_e32 v19, v19, v21
	v_cndmask_b32_e64 v21, 0, 0x40490fdb, vcc_lo
	v_cmp_gt_f32_e32 vcc_lo, 0, v11
	s_delay_alu instid0(VALU_DEP_3) | instskip(NEXT) | instid1(VALU_DEP_1)
	v_fmac_f32_e32 v18, v18, v19
	v_sub_f32_e32 v19, 0x3fc90fdb, v18
	s_delay_alu instid0(VALU_DEP_1) | instskip(NEXT) | instid1(VALU_DEP_1)
	v_cndmask_b32_e64 v18, v18, v19, s4
	v_sub_f32_e32 v19, 0x40490fdb, v18
	s_delay_alu instid0(VALU_DEP_1) | instskip(NEXT) | instid1(VALU_DEP_1)
	v_dual_cndmask_b32 v18, v18, v19 :: v_dual_mul_f32 v19, 0.5, v20
	v_cndmask_b32_e64 v11, v18, v21, s5
	s_delay_alu instid0(VALU_DEP_2) | instskip(SKIP_1) | instid1(VALU_DEP_1)
	v_dual_mul_f32 v18, v20, v19 :: v_dual_cndmask_b32 v21, 0x3f490fdb, v17
	s_and_b32 vcc_lo, s9, s8
	v_cndmask_b32_e32 v19, v11, v21, vcc_lo
.LBB193_176:                            ;   in Loop: Header=BB193_145 Depth=1
	s_or_b32 exec_lo, exec_lo, s7
.LBB193_177:                            ;   in Loop: Header=BB193_145 Depth=1
	s_delay_alu instid0(SALU_CYCLE_1)
	s_or_b32 exec_lo, exec_lo, s6
.LBB193_178:                            ;   in Loop: Header=BB193_145 Depth=1
	s_and_not1_saveexec_b32 s6, s28
	s_cbranch_execz .LBB193_180
; %bb.179:                              ;   in Loop: Header=BB193_145 Depth=1
	v_div_scale_f32 v18, null, 0x402df854, 0x402df854, v11
	v_div_scale_f32 v19, null, 0x402df854, 0x402df854, v12
	v_div_scale_f32 v24, vcc_lo, v11, 0x402df854, v11
	s_delay_alu instid0(VALU_DEP_3) | instskip(NEXT) | instid1(VALU_DEP_2)
	v_rcp_f32_e32 v20, v18
	v_rcp_f32_e32 v21, v19
	v_cmp_class_f32_e64 s7, v12, 0x204
	s_waitcnt_depctr 0xfff
	v_fma_f32 v22, -v18, v20, 1.0
	v_fma_f32 v23, -v19, v21, 1.0
	s_delay_alu instid0(VALU_DEP_1) | instskip(SKIP_1) | instid1(VALU_DEP_2)
	v_dual_fmac_f32 v20, v22, v20 :: v_dual_fmac_f32 v21, v23, v21
	v_div_scale_f32 v22, s5, v12, 0x402df854, v12
	v_mul_f32_e32 v23, v24, v20
	s_delay_alu instid0(VALU_DEP_1) | instskip(NEXT) | instid1(VALU_DEP_1)
	v_fma_f32 v26, -v18, v23, v24
	v_fmac_f32_e32 v23, v26, v20
	s_delay_alu instid0(VALU_DEP_1) | instskip(NEXT) | instid1(VALU_DEP_1)
	v_fma_f32 v18, -v18, v23, v24
	v_div_fmas_f32 v18, v18, v20, v23
	v_max_f32_e64 v23, |v11|, |v11|
	v_mul_f32_e32 v25, v22, v21
	s_mov_b32 vcc_lo, s5
	v_cmp_class_f32_e64 s5, v11, 0x204
	v_div_fixup_f32 v20, v18, 0x402df854, v11
	s_delay_alu instid0(VALU_DEP_3) | instskip(NEXT) | instid1(VALU_DEP_1)
	v_fma_f32 v27, -v19, v25, v22
	v_fmac_f32_e32 v25, v27, v21
	s_delay_alu instid0(VALU_DEP_1) | instskip(NEXT) | instid1(VALU_DEP_1)
	v_fma_f32 v19, -v19, v25, v22
	v_div_fmas_f32 v19, v19, v21, v25
	s_delay_alu instid0(VALU_DEP_1) | instskip(NEXT) | instid1(VALU_DEP_1)
	v_div_fixup_f32 v21, v19, 0x402df854, v12
	v_max_f32_e64 v22, |v20|, |v21|
	s_delay_alu instid0(VALU_DEP_1) | instskip(SKIP_1) | instid1(VALU_DEP_2)
	v_cvt_f64_f32_e32 v[18:19], v22
	v_cmp_neq_f32_e32 vcc_lo, 0x7f800000, v22
	v_frexp_exp_i32_f64_e32 v18, v[18:19]
	v_max_f32_e64 v19, |v12|, |v12|
	s_delay_alu instid0(VALU_DEP_1) | instskip(SKIP_1) | instid1(VALU_DEP_2)
	v_max_f32_e32 v24, v23, v19
	v_min_f32_e32 v19, v23, v19
	v_frexp_mant_f32_e32 v25, v24
	v_frexp_exp_i32_f32_e32 v24, v24
	s_delay_alu instid0(VALU_DEP_3) | instskip(SKIP_1) | instid1(VALU_DEP_4)
	v_frexp_exp_i32_f32_e32 v26, v19
	v_frexp_mant_f32_e32 v19, v19
	v_rcp_f32_e32 v23, v25
	s_delay_alu instid0(VALU_DEP_2) | instskip(SKIP_1) | instid1(VALU_DEP_1)
	v_sub_nc_u32_e32 v24, v26, v24
	v_sub_nc_u32_e32 v25, 0, v18
	v_ldexp_f32 v21, |v21|, v25
	v_ldexp_f32 v20, |v20|, v25
	s_delay_alu instid0(VALU_DEP_2) | instskip(NEXT) | instid1(VALU_DEP_1)
	v_mul_f32_e32 v21, v21, v21
	v_fmac_f32_e32 v21, v20, v20
	s_delay_alu instid0(VALU_DEP_1) | instskip(SKIP_2) | instid1(VALU_DEP_1)
	v_sqrt_f32_e32 v21, v21
	s_waitcnt_depctr 0xfff
	v_ldexp_f32 v18, v21, v18
	v_cndmask_b32_e32 v18, 0x7f800000, v18, vcc_lo
	s_delay_alu instid0(VALU_DEP_1) | instskip(SKIP_1) | instid1(VALU_DEP_1)
	v_cmp_gt_f32_e32 vcc_lo, 0x800000, v18
	v_cndmask_b32_e64 v22, 1.0, 0x4f800000, vcc_lo
	v_mul_f32_e32 v18, v18, v22
	s_delay_alu instid0(VALU_DEP_1) | instskip(SKIP_1) | instid1(VALU_DEP_1)
	v_log_f32_e32 v18, v18
	v_mul_f32_e32 v19, v19, v23
	v_ldexp_f32 v19, v19, v24
	s_delay_alu instid0(VALU_DEP_1) | instskip(NEXT) | instid1(VALU_DEP_1)
	v_mul_f32_e32 v20, v19, v19
	v_fmaak_f32 v23, s26, v20, 0xbc7a590c
	s_delay_alu instid0(VALU_DEP_1) | instskip(NEXT) | instid1(VALU_DEP_1)
	v_fmaak_f32 v23, v20, v23, 0x3d29fb3f
	v_fmaak_f32 v21, v20, v23, 0xbd97d4d7
	v_cndmask_b32_e64 v23, 0, 0x41b17218, vcc_lo
	s_delay_alu instid0(TRANS32_DEP_1) | instskip(NEXT) | instid1(VALU_DEP_3)
	v_cmp_gt_f32_e64 vcc_lo, 0x7f800000, |v18|
	v_fmaak_f32 v21, v20, v21, 0x3dd931b2
	s_delay_alu instid0(VALU_DEP_1) | instskip(NEXT) | instid1(VALU_DEP_1)
	v_fmaak_f32 v21, v20, v21, 0xbe1160e6
	v_fmaak_f32 v21, v20, v21, 0x3e4cb8bf
	s_delay_alu instid0(VALU_DEP_1) | instskip(NEXT) | instid1(VALU_DEP_1)
	v_fmaak_f32 v21, v20, v21, 0xbeaaaa62
	v_dual_mul_f32 v20, v20, v21 :: v_dual_mul_f32 v21, 0x3f317217, v18
	s_delay_alu instid0(VALU_DEP_1) | instskip(NEXT) | instid1(VALU_DEP_2)
	v_fmac_f32_e32 v19, v19, v20
	v_fma_f32 v20, 0x3f317217, v18, -v21
	s_delay_alu instid0(VALU_DEP_2) | instskip(NEXT) | instid1(VALU_DEP_2)
	v_sub_f32_e32 v22, 0x3fc90fdb, v19
	v_fmac_f32_e32 v20, 0x3377d1cf, v18
	s_delay_alu instid0(VALU_DEP_2) | instskip(SKIP_1) | instid1(VALU_DEP_2)
	v_cndmask_b32_e64 v19, v19, v22, s4
	v_cmp_gt_i32_e64 s4, 0, v11
	v_dual_add_f32 v20, v21, v20 :: v_dual_sub_f32 v21, 0x40490fdb, v19
	s_delay_alu instid0(VALU_DEP_2) | instskip(NEXT) | instid1(VALU_DEP_2)
	v_cndmask_b32_e64 v22, 0, 0x40490fdb, s4
	v_cndmask_b32_e32 v18, v18, v20, vcc_lo
	v_cmp_gt_f32_e64 s4, 0, v11
	v_cmp_eq_f32_e32 vcc_lo, 0, v12
	s_delay_alu instid0(VALU_DEP_3) | instskip(NEXT) | instid1(VALU_DEP_3)
	v_sub_f32_e32 v18, v18, v23
	v_cndmask_b32_e64 v11, v19, v21, s4
	v_cndmask_b32_e64 v19, 0x3f490fdb, v17, s4
	s_delay_alu instid0(VALU_DEP_3) | instskip(NEXT) | instid1(VALU_DEP_3)
	v_add_f32_e32 v18, 1.0, v18
	v_cndmask_b32_e32 v11, v11, v22, vcc_lo
	s_and_b32 vcc_lo, s7, s5
	s_delay_alu instid0(VALU_DEP_1)
	v_cndmask_b32_e32 v19, v11, v19, vcc_lo
.LBB193_180:                            ;   in Loop: Header=BB193_145 Depth=1
	s_or_b32 exec_lo, exec_lo, s6
.LBB193_181:                            ;   in Loop: Header=BB193_145 Depth=1
	s_and_not1_saveexec_b32 s4, s27
	s_cbranch_execz .LBB193_187
; %bb.182:                              ;   in Loop: Header=BB193_145 Depth=1
	v_cmp_ngt_f32_e64 s5, 0x20000000, |v11|
	v_cmp_ngt_f32_e64 s6, 0x20000000, |v12|
                                        ; implicit-def: $vgpr18
	s_delay_alu instid0(VALU_DEP_1) | instskip(NEXT) | instid1(SALU_CYCLE_1)
	s_or_b32 s5, s6, s5
	s_and_saveexec_b32 s6, s5
	s_delay_alu instid0(SALU_CYCLE_1)
	s_xor_b32 s5, exec_lo, s6
; %bb.183:                              ;   in Loop: Header=BB193_145 Depth=1
	v_mul_f32_e32 v18, v11, v11
	s_delay_alu instid0(VALU_DEP_1)
	v_fmac_f32_e32 v18, v12, v12
; %bb.184:                              ;   in Loop: Header=BB193_145 Depth=1
	s_and_not1_saveexec_b32 s5, s5
; %bb.185:                              ;   in Loop: Header=BB193_145 Depth=1
	v_dual_mul_f32 v11, 4.0, v11 :: v_dual_mul_f32 v18, 4.0, v12
	s_delay_alu instid0(VALU_DEP_1) | instskip(NEXT) | instid1(VALU_DEP_1)
	v_mul_f32_e32 v11, v11, v11
	v_fmac_f32_e32 v11, v18, v18
	s_delay_alu instid0(VALU_DEP_1)
	v_mul_f32_e32 v18, 0x3d800000, v11
; %bb.186:                              ;   in Loop: Header=BB193_145 Depth=1
	s_or_b32 exec_lo, exec_lo, s5
	s_delay_alu instid0(VALU_DEP_1) | instskip(SKIP_1) | instid1(VALU_DEP_1)
	v_cmp_gt_f32_e32 vcc_lo, 0x800000, v18
	v_cndmask_b32_e64 v11, 1.0, 0x4f800000, vcc_lo
	v_mul_f32_e32 v11, v18, v11
	s_delay_alu instid0(VALU_DEP_1) | instskip(SKIP_2) | instid1(VALU_DEP_1)
	v_log_f32_e32 v11, v11
	s_waitcnt_depctr 0xfff
	v_mul_f32_e32 v18, 0x3f317217, v11
	v_fma_f32 v19, 0x3f317217, v11, -v18
	s_delay_alu instid0(VALU_DEP_1) | instskip(NEXT) | instid1(VALU_DEP_1)
	v_fmac_f32_e32 v19, 0x3377d1cf, v11
	v_add_f32_e32 v18, v18, v19
	v_cndmask_b32_e64 v19, 0, 0x41b17218, vcc_lo
	v_cmp_gt_f32_e64 vcc_lo, 0x7f800000, |v11|
	s_delay_alu instid0(VALU_DEP_3) | instskip(NEXT) | instid1(VALU_DEP_1)
	v_cndmask_b32_e32 v11, v11, v18, vcc_lo
	v_dual_sub_f32 v18, v11, v19 :: v_dual_mov_b32 v19, 0x7fc00000
.LBB193_187:                            ;   in Loop: Header=BB193_145 Depth=1
	s_or_b32 exec_lo, exec_lo, s4
                                        ; implicit-def: $vgpr11
                                        ; implicit-def: $vgpr20
	s_delay_alu instid0(SALU_CYCLE_1)
	s_mov_b32 s4, exec_lo
	v_cmpx_o_f32_e32 v14, v13
	s_xor_b32 s27, exec_lo, s4
	s_cbranch_execz .LBB193_215
; %bb.188:                              ;   in Loop: Header=BB193_145 Depth=1
	v_cmp_lt_f32_e64 s4, |v13|, |v14|
                                        ; implicit-def: $vgpr11
                                        ; implicit-def: $vgpr20
	s_mov_b32 s5, exec_lo
	s_delay_alu instid0(VALU_DEP_1) | instskip(NEXT) | instid1(VALU_DEP_1)
	v_cndmask_b32_e64 v21, |v14|, |v13|, s4
	v_cmpx_nlt_f32_e32 0x77f684df, v21
	s_xor_b32 s28, exec_lo, s5
	s_cbranch_execz .LBB193_212
; %bb.189:                              ;   in Loop: Header=BB193_145 Depth=1
	v_and_b32_e32 v11, 0x7fffffff, v14
                                        ; implicit-def: $vgpr20
	s_mov_b32 s5, exec_lo
	s_delay_alu instid0(VALU_DEP_1) | instskip(NEXT) | instid1(VALU_DEP_1)
	v_cndmask_b32_e64 v22, |v13|, v11, s4
                                        ; implicit-def: $vgpr11
	v_cmpx_neq_f32_e32 1.0, v22
	s_xor_b32 s29, exec_lo, s5
	s_cbranch_execz .LBB193_205
; %bb.190:                              ;   in Loop: Header=BB193_145 Depth=1
	v_dual_max_f32 v11, v21, v21 :: v_dual_max_f32 v20, v22, v22
	s_delay_alu instid0(VALU_DEP_1) | instskip(SKIP_1) | instid1(VALU_DEP_2)
	v_min_f32_e32 v23, v20, v11
	v_max_f32_e32 v11, v20, v11
                                        ; implicit-def: $vgpr20
	v_cmp_ngt_f32_e32 vcc_lo, 0x358637bd, v23
	s_delay_alu instid0(VALU_DEP_2) | instskip(NEXT) | instid1(VALU_DEP_1)
	v_cmp_nlt_f32_e64 s5, 0x49742400, v11
                                        ; implicit-def: $vgpr11
	s_and_b32 s5, s5, vcc_lo
	s_delay_alu instid0(SALU_CYCLE_1) | instskip(NEXT) | instid1(SALU_CYCLE_1)
	s_and_saveexec_b32 s6, s5
	s_xor_b32 s30, exec_lo, s6
	s_cbranch_execz .LBB193_202
; %bb.191:                              ;   in Loop: Header=BB193_145 Depth=1
                                        ; implicit-def: $vgpr11
                                        ; implicit-def: $vgpr20
	s_mov_b32 s5, exec_lo
	v_cmpx_le_f32_e32 1.0, v22
	s_xor_b32 s6, exec_lo, s5
	s_cbranch_execz .LBB193_193
; %bb.192:                              ;   in Loop: Header=BB193_145 Depth=1
	v_add_f32_e32 v11, -1.0, v22
	v_add_f32_e32 v20, 1.0, v22
	v_cmp_class_f32_e64 s7, v13, 0x204
	s_delay_alu instid0(VALU_DEP_2) | instskip(NEXT) | instid1(VALU_DEP_1)
	v_mul_f32_e32 v11, v11, v20
	v_fmac_f32_e32 v11, v21, v21
	s_delay_alu instid0(VALU_DEP_1) | instskip(SKIP_1) | instid1(VALU_DEP_2)
	v_add_f32_e32 v22, 1.0, v11
	v_cmp_neq_f32_e64 s5, -1.0, v11
	v_cvt_f64_f32_e32 v[20:21], v22
	s_delay_alu instid0(VALU_DEP_1) | instskip(SKIP_1) | instid1(VALU_DEP_1)
	v_frexp_exp_i32_f64_e32 v20, v[20:21]
	v_frexp_mant_f32_e32 v21, v22
	v_cmp_gt_f32_e32 vcc_lo, 0x3f2aaaab, v21
	v_add_f32_e32 v21, -1.0, v22
	s_delay_alu instid0(VALU_DEP_1) | instskip(NEXT) | instid1(VALU_DEP_1)
	v_dual_sub_f32 v24, v21, v22 :: v_dual_sub_f32 v21, v11, v21
	v_add_f32_e32 v24, 1.0, v24
	s_delay_alu instid0(VALU_DEP_1) | instskip(SKIP_2) | instid1(VALU_DEP_2)
	v_add_f32_e32 v21, v21, v24
	v_subrev_co_ci_u32_e32 v20, vcc_lo, 0, v20, vcc_lo
	v_cmp_eq_f32_e32 vcc_lo, 0x7f800000, v11
	v_sub_nc_u32_e32 v23, 0, v20
	v_cvt_f32_i32_e32 v20, v20
	s_delay_alu instid0(VALU_DEP_2) | instskip(SKIP_1) | instid1(VALU_DEP_2)
	v_ldexp_f32 v22, v22, v23
	v_ldexp_f32 v21, v21, v23
	v_add_f32_e32 v25, 1.0, v22
	s_delay_alu instid0(VALU_DEP_1) | instskip(NEXT) | instid1(VALU_DEP_1)
	v_add_f32_e32 v24, -1.0, v25
	v_dual_sub_f32 v24, v22, v24 :: v_dual_add_f32 v23, -1.0, v22
	s_delay_alu instid0(VALU_DEP_1) | instskip(NEXT) | instid1(VALU_DEP_2)
	v_add_f32_e32 v24, v21, v24
	v_add_f32_e32 v26, 1.0, v23
	s_delay_alu instid0(VALU_DEP_1) | instskip(NEXT) | instid1(VALU_DEP_1)
	v_sub_f32_e32 v22, v22, v26
	v_add_f32_e32 v21, v21, v22
	s_delay_alu instid0(VALU_DEP_1) | instskip(NEXT) | instid1(VALU_DEP_1)
	v_dual_add_f32 v27, v23, v21 :: v_dual_add_f32 v26, v25, v24
	v_sub_f32_e32 v23, v27, v23
	s_delay_alu instid0(VALU_DEP_2) | instskip(SKIP_1) | instid1(VALU_DEP_1)
	v_rcp_f32_e32 v22, v26
	v_sub_f32_e32 v25, v26, v25
	v_dual_sub_f32 v24, v24, v25 :: v_dual_sub_f32 v21, v21, v23
	s_waitcnt_depctr 0xfff
	v_mul_f32_e32 v28, v27, v22
	s_delay_alu instid0(VALU_DEP_1) | instskip(NEXT) | instid1(VALU_DEP_1)
	v_mul_f32_e32 v29, v26, v28
	v_fma_f32 v25, v28, v26, -v29
	s_delay_alu instid0(VALU_DEP_1) | instskip(NEXT) | instid1(VALU_DEP_1)
	v_fmac_f32_e32 v25, v28, v24
	v_add_f32_e32 v30, v29, v25
	s_delay_alu instid0(VALU_DEP_1) | instskip(SKIP_1) | instid1(VALU_DEP_2)
	v_sub_f32_e32 v31, v27, v30
	v_sub_f32_e32 v23, v30, v29
	;; [unrolled: 1-line block ×3, first 2 shown]
	s_delay_alu instid0(VALU_DEP_2) | instskip(NEXT) | instid1(VALU_DEP_2)
	v_sub_f32_e32 v23, v23, v25
	v_sub_f32_e32 v27, v27, v30
	s_delay_alu instid0(VALU_DEP_1) | instskip(NEXT) | instid1(VALU_DEP_1)
	v_add_f32_e32 v21, v21, v27
	v_add_f32_e32 v21, v23, v21
	s_delay_alu instid0(VALU_DEP_1) | instskip(NEXT) | instid1(VALU_DEP_1)
	v_add_f32_e32 v23, v31, v21
	v_mul_f32_e32 v25, v22, v23
	s_delay_alu instid0(VALU_DEP_1) | instskip(NEXT) | instid1(VALU_DEP_1)
	v_dual_sub_f32 v30, v31, v23 :: v_dual_mul_f32 v27, v26, v25
	v_add_f32_e32 v21, v21, v30
	s_delay_alu instid0(VALU_DEP_2) | instskip(NEXT) | instid1(VALU_DEP_1)
	v_fma_f32 v26, v25, v26, -v27
	v_fmac_f32_e32 v26, v25, v24
	s_delay_alu instid0(VALU_DEP_1) | instskip(NEXT) | instid1(VALU_DEP_1)
	v_add_f32_e32 v24, v27, v26
	v_sub_f32_e32 v29, v23, v24
	v_sub_f32_e32 v27, v24, v27
	s_delay_alu instid0(VALU_DEP_2) | instskip(NEXT) | instid1(VALU_DEP_1)
	v_sub_f32_e32 v23, v23, v29
	v_sub_f32_e32 v23, v23, v24
	s_delay_alu instid0(VALU_DEP_3) | instskip(SKIP_1) | instid1(VALU_DEP_3)
	v_sub_f32_e32 v24, v27, v26
	v_max_f32_e64 v26, |v14|, |v14|
	v_add_f32_e32 v21, v21, v23
	v_add_f32_e32 v23, v28, v25
	s_delay_alu instid0(VALU_DEP_1) | instskip(NEXT) | instid1(VALU_DEP_1)
	v_dual_add_f32 v21, v24, v21 :: v_dual_sub_f32 v24, v23, v28
	v_add_f32_e32 v21, v29, v21
	s_delay_alu instid0(VALU_DEP_2) | instskip(SKIP_1) | instid1(VALU_DEP_3)
	v_sub_f32_e32 v24, v25, v24
	v_mul_f32_e32 v29, 0x3f317218, v20
	v_mul_f32_e32 v21, v22, v21
	s_delay_alu instid0(VALU_DEP_2) | instskip(NEXT) | instid1(VALU_DEP_1)
	v_fma_f32 v30, 0x3f317218, v20, -v29
	v_dual_add_f32 v21, v24, v21 :: v_dual_fmac_f32 v30, 0xb102e308, v20
	s_delay_alu instid0(VALU_DEP_1) | instskip(NEXT) | instid1(VALU_DEP_1)
	v_add_f32_e32 v22, v23, v21
	v_mul_f32_e32 v24, v22, v22
	v_ldexp_f32 v28, v22, 1
	s_delay_alu instid0(VALU_DEP_2) | instskip(SKIP_2) | instid1(VALU_DEP_3)
	v_fmaak_f32 v25, s21, v24, 0x3ecc95a3
	v_mul_f32_e32 v27, v22, v24
	v_sub_f32_e32 v22, v22, v23
	v_fmaak_f32 v24, v24, v25, 0x3f2aaada
	v_max_f32_e64 v25, |v13|, |v13|
	s_delay_alu instid0(VALU_DEP_2) | instskip(NEXT) | instid1(VALU_DEP_2)
	v_dual_sub_f32 v21, v21, v22 :: v_dual_mul_f32 v24, v27, v24
	v_max_f32_e32 v27, v25, v26
	v_min_f32_e32 v25, v25, v26
	s_delay_alu instid0(VALU_DEP_3) | instskip(NEXT) | instid1(VALU_DEP_4)
	v_ldexp_f32 v21, v21, 1
	v_add_f32_e32 v23, v28, v24
	s_delay_alu instid0(VALU_DEP_4) | instskip(SKIP_1) | instid1(VALU_DEP_3)
	v_frexp_mant_f32_e32 v26, v27
	v_frexp_exp_i32_f32_e32 v27, v27
	v_sub_f32_e32 v22, v23, v28
	s_delay_alu instid0(VALU_DEP_3) | instskip(SKIP_1) | instid1(VALU_DEP_2)
	v_rcp_f32_e32 v26, v26
	v_frexp_exp_i32_f32_e32 v28, v25
	v_sub_f32_e32 v22, v24, v22
	v_frexp_mant_f32_e32 v24, v25
	s_delay_alu instid0(VALU_DEP_3) | instskip(NEXT) | instid1(VALU_DEP_3)
	v_sub_nc_u32_e32 v25, v28, v27
	v_add_f32_e32 v20, v21, v22
	v_add_f32_e32 v22, v29, v30
	s_delay_alu instid0(VALU_DEP_1) | instskip(NEXT) | instid1(VALU_DEP_1)
	v_sub_f32_e32 v29, v22, v29
	v_sub_f32_e32 v29, v30, v29
	s_delay_alu instid0(TRANS32_DEP_1) | instid1(VALU_DEP_4)
	v_dual_mul_f32 v21, v24, v26 :: v_dual_add_f32 v24, v23, v20
	s_delay_alu instid0(VALU_DEP_1) | instskip(NEXT) | instid1(VALU_DEP_2)
	v_ldexp_f32 v21, v21, v25
	v_add_f32_e32 v25, v22, v24
	s_delay_alu instid0(VALU_DEP_2) | instskip(NEXT) | instid1(VALU_DEP_1)
	v_dual_sub_f32 v23, v24, v23 :: v_dual_mul_f32 v26, v21, v21
	v_dual_sub_f32 v27, v25, v22 :: v_dual_sub_f32 v20, v20, v23
	s_delay_alu instid0(VALU_DEP_1) | instskip(SKIP_1) | instid1(VALU_DEP_3)
	v_dual_fmaak_f32 v28, s26, v26, 0xbc7a590c :: v_dual_sub_f32 v31, v25, v27
	v_sub_f32_e32 v23, v24, v27
	v_add_f32_e32 v27, v29, v20
	s_delay_alu instid0(VALU_DEP_3) | instskip(NEXT) | instid1(VALU_DEP_4)
	v_fmaak_f32 v28, v26, v28, 0x3d29fb3f
	v_sub_f32_e32 v22, v22, v31
	s_delay_alu instid0(VALU_DEP_2) | instskip(NEXT) | instid1(VALU_DEP_1)
	v_fmaak_f32 v24, v26, v28, 0xbd97d4d7
	v_dual_add_f32 v22, v23, v22 :: v_dual_fmaak_f32 v23, v26, v24, 0x3dd931b2
	v_sub_f32_e32 v24, v27, v29
	s_delay_alu instid0(VALU_DEP_2) | instskip(NEXT) | instid1(VALU_DEP_1)
	v_dual_add_f32 v22, v27, v22 :: v_dual_fmaak_f32 v23, v26, v23, 0xbe1160e6
	v_dual_sub_f32 v27, v27, v24 :: v_dual_add_f32 v28, v25, v22
	s_delay_alu instid0(VALU_DEP_2) | instskip(NEXT) | instid1(VALU_DEP_2)
	v_dual_sub_f32 v20, v20, v24 :: v_dual_fmaak_f32 v23, v26, v23, 0x3e4cb8bf
	v_dual_sub_f32 v24, v29, v27 :: v_dual_sub_f32 v25, v28, v25
	s_delay_alu instid0(VALU_DEP_1) | instskip(NEXT) | instid1(VALU_DEP_2)
	v_dual_fmaak_f32 v23, v26, v23, 0xbeaaaa62 :: v_dual_add_f32 v20, v20, v24
	v_sub_f32_e32 v22, v22, v25
	s_delay_alu instid0(VALU_DEP_1) | instskip(NEXT) | instid1(VALU_DEP_1)
	v_dual_mul_f32 v23, v26, v23 :: v_dual_add_f32 v20, v20, v22
	v_dual_fmac_f32 v21, v21, v23 :: v_dual_add_f32 v20, v28, v20
	s_delay_alu instid0(VALU_DEP_1) | instskip(NEXT) | instid1(VALU_DEP_2)
	v_sub_f32_e32 v22, 0x3fc90fdb, v21
	v_cndmask_b32_e32 v20, v20, v11, vcc_lo
	v_cmp_gt_i32_e32 vcc_lo, 0, v13
	s_delay_alu instid0(VALU_DEP_3) | instskip(SKIP_2) | instid1(VALU_DEP_3)
	v_cndmask_b32_e64 v21, v21, v22, s4
	v_cndmask_b32_e64 v22, 0, 0x40490fdb, vcc_lo
	v_cmp_ngt_f32_e32 vcc_lo, -1.0, v11
	v_sub_f32_e32 v23, 0x40490fdb, v21
	v_cndmask_b32_e32 v20, 0x7fc00000, v20, vcc_lo
	v_cmp_gt_f32_e32 vcc_lo, 0, v13
	s_delay_alu instid0(VALU_DEP_2) | instskip(NEXT) | instid1(VALU_DEP_4)
	v_cndmask_b32_e64 v13, 0xff800000, v20, s5
	v_cndmask_b32_e32 v20, v21, v23, vcc_lo
	v_cndmask_b32_e32 v21, 0x3f490fdb, v17, vcc_lo
	v_cmp_gt_f32_e64 vcc_lo, 0x33800000, |v11|
	v_cmp_class_f32_e64 s5, v14, 0x204
	v_cndmask_b32_e32 v11, v13, v11, vcc_lo
	v_cmp_eq_f32_e32 vcc_lo, 0, v14
	s_delay_alu instid0(VALU_DEP_2) | instskip(SKIP_2) | instid1(VALU_DEP_1)
	v_mul_f32_e32 v11, 0.5, v11
	v_cndmask_b32_e32 v13, v20, v22, vcc_lo
	s_and_b32 vcc_lo, s5, s7
                                        ; implicit-def: $vgpr22
	v_cndmask_b32_e32 v20, v13, v21, vcc_lo
                                        ; implicit-def: $vgpr21
.LBB193_193:                            ;   in Loop: Header=BB193_145 Depth=1
	s_and_not1_saveexec_b32 s31, s6
	s_cbranch_execz .LBB193_201
; %bb.194:                              ;   in Loop: Header=BB193_145 Depth=1
	v_mul_f32_e32 v23, v21, v21
                                        ; implicit-def: $vgpr11
                                        ; implicit-def: $vgpr20
	s_mov_b32 s5, exec_lo
	s_delay_alu instid0(VALU_DEP_1) | instskip(NEXT) | instid1(VALU_DEP_1)
	v_fmac_f32_e32 v23, v22, v22
	v_cmpx_ge_f32_e32 0x3f333333, v23
	s_xor_b32 s6, exec_lo, s5
	s_cbranch_execz .LBB193_196
; %bb.195:                              ;   in Loop: Header=BB193_145 Depth=1
	v_max_f32_e64 v11, |v14|, |v14|
	v_max_f32_e64 v20, |v13|, |v13|
	v_cmp_gt_f32_e32 vcc_lo, 0x800000, v23
	v_cmp_gt_i32_e64 s5, 0, v13
	v_cmp_class_f32_e64 s7, v13, 0x204
	v_cmp_class_f32_e64 s8, v14, 0x204
	v_max_f32_e32 v21, v20, v11
	v_min_f32_e32 v11, v20, v11
	v_cndmask_b32_e64 v24, 0, 0x41b17218, vcc_lo
	s_delay_alu instid0(VALU_DEP_3) | instskip(SKIP_1) | instid1(VALU_DEP_2)
	v_frexp_mant_f32_e32 v22, v21
	v_frexp_exp_i32_f32_e32 v21, v21
	v_rcp_f32_e32 v20, v22
	v_frexp_exp_i32_f32_e32 v22, v11
	v_frexp_mant_f32_e32 v11, v11
	s_delay_alu instid0(VALU_DEP_2) | instskip(SKIP_4) | instid1(VALU_DEP_2)
	v_sub_nc_u32_e32 v21, v22, v21
	v_cndmask_b32_e64 v22, 1.0, 0x4f800000, vcc_lo
	s_waitcnt_depctr 0xfff
	v_mul_f32_e32 v11, v11, v20
	v_mul_f32_e32 v22, v23, v22
	v_ldexp_f32 v11, v11, v21
	s_delay_alu instid0(VALU_DEP_2) | instskip(NEXT) | instid1(VALU_DEP_1)
	v_log_f32_e32 v22, v22
	v_mul_f32_e32 v20, v11, v11
	s_delay_alu instid0(VALU_DEP_1) | instskip(SKIP_3) | instid1(VALU_DEP_1)
	v_fmaak_f32 v21, s26, v20, 0xbc7a590c
	s_waitcnt_depctr 0xfff
	v_cmp_gt_f32_e64 vcc_lo, 0x7f800000, |v22|
	v_fmaak_f32 v21, v20, v21, 0x3d29fb3f
	v_fmaak_f32 v21, v20, v21, 0xbd97d4d7
	s_delay_alu instid0(VALU_DEP_1) | instskip(NEXT) | instid1(VALU_DEP_1)
	v_fmaak_f32 v21, v20, v21, 0x3dd931b2
	v_fmaak_f32 v21, v20, v21, 0xbe1160e6
	s_delay_alu instid0(VALU_DEP_1) | instskip(NEXT) | instid1(VALU_DEP_1)
	;; [unrolled: 3-line block ×3, first 2 shown]
	v_dual_mul_f32 v20, v20, v21 :: v_dual_mul_f32 v21, 0x3f317217, v22
	v_fmac_f32_e32 v11, v11, v20
	s_delay_alu instid0(VALU_DEP_2) | instskip(NEXT) | instid1(VALU_DEP_1)
	v_fma_f32 v20, 0x3f317217, v22, -v21
	v_fmac_f32_e32 v20, 0x3377d1cf, v22
	s_delay_alu instid0(VALU_DEP_1) | instskip(NEXT) | instid1(VALU_DEP_1)
	v_dual_sub_f32 v23, 0x3fc90fdb, v11 :: v_dual_add_f32 v20, v21, v20
	v_cndmask_b32_e64 v11, v11, v23, s4
	v_cndmask_b32_e64 v21, 0, 0x40490fdb, s5
	v_cmp_eq_f32_e64 s5, 0, v14
	s_delay_alu instid0(VALU_DEP_3) | instskip(SKIP_1) | instid1(VALU_DEP_2)
	v_dual_cndmask_b32 v20, v22, v20 :: v_dual_sub_f32 v23, 0x40490fdb, v11
	v_cmp_gt_f32_e32 vcc_lo, 0, v13
                                        ; implicit-def: $vgpr22
	v_sub_f32_e32 v13, v20, v24
	s_delay_alu instid0(VALU_DEP_3) | instskip(NEXT) | instid1(VALU_DEP_1)
	v_cndmask_b32_e32 v11, v11, v23, vcc_lo
	v_cndmask_b32_e64 v20, v11, v21, s5
	v_cndmask_b32_e32 v21, 0x3f490fdb, v17, vcc_lo
	s_and_b32 vcc_lo, s8, s7
	v_mul_f32_e32 v11, 0.5, v13
	s_delay_alu instid0(VALU_DEP_2)
	v_cndmask_b32_e32 v20, v20, v21, vcc_lo
                                        ; implicit-def: $vgpr21
.LBB193_196:                            ;   in Loop: Header=BB193_145 Depth=1
	s_and_not1_saveexec_b32 s33, s6
	s_cbranch_execz .LBB193_200
; %bb.197:                              ;   in Loop: Header=BB193_145 Depth=1
	v_and_b32_e32 v23, 0x7fff0000, v21
	v_and_b32_e32 v20, 0x7fff0000, v22
	s_mov_b32 s34, 0
	s_delay_alu instid0(VALU_DEP_2) | instskip(SKIP_1) | instid1(VALU_DEP_3)
	v_sub_f32_e32 v24, v21, v23
	v_mul_f32_e32 v21, v23, v23
	v_mul_f32_e32 v11, v20, v20
	v_sub_f32_e32 v22, v22, v20
	s_delay_alu instid0(VALU_DEP_1) | instskip(NEXT) | instid1(VALU_DEP_1)
	v_dual_add_f32 v30, v23, v23 :: v_dual_and_b32 v25, 0xffff0000, v22
	v_dual_sub_f32 v23, v22, v25 :: v_dual_and_b32 v26, 0xffff0000, v24
	s_delay_alu instid0(VALU_DEP_1) | instskip(SKIP_2) | instid1(VALU_DEP_3)
	v_dual_add_f32 v27, v20, v20 :: v_dual_mul_f32 v20, v30, v26
	v_dual_sub_f32 v31, v24, v26 :: v_dual_mul_f32 v22, v25, v25
	v_add_f32_e32 v24, v25, v25
	v_dual_mul_f32 v29, v27, v25 :: v_dual_add_f32 v32, v26, v26
	v_dual_mul_f32 v28, v26, v26 :: v_dual_mul_f32 v25, v27, v23
	s_delay_alu instid0(VALU_DEP_4) | instskip(NEXT) | instid1(VALU_DEP_4)
	v_mul_f32_e32 v27, v30, v31
	v_mul_f32_e32 v26, v24, v23
	;; [unrolled: 1-line block ×5, first 2 shown]
.LBB193_198:                            ;   Parent Loop BB193_145 Depth=1
                                        ; =>  This Inner Loop Header: Depth=2
	v_cmp_nlt_f32_e32 vcc_lo, v11, v21
	s_delay_alu instid0(VALU_DEP_2) | instskip(SKIP_1) | instid1(VALU_DEP_2)
	v_dual_mov_b32 v32, v30 :: v_dual_cndmask_b32 v31, v11, v21
	v_cndmask_b32_e32 v11, v21, v11, vcc_lo
	v_cmp_nlt_f32_e64 s5, v31, v29
	s_delay_alu instid0(VALU_DEP_1) | instskip(SKIP_2) | instid1(VALU_DEP_2)
	v_cndmask_b32_e64 v30, v31, v29, s5
	v_cndmask_b32_e64 v21, v29, v31, s5
	s_and_b32 s35, vcc_lo, s5
	v_cmp_nlt_f32_e64 s6, v30, v20
	s_delay_alu instid0(VALU_DEP_1) | instskip(SKIP_1) | instid1(VALU_DEP_2)
	v_cndmask_b32_e64 v33, v30, v20, s6
	v_cndmask_b32_e64 v29, v20, v30, s6
	v_cmp_nlt_f32_e64 s7, v33, v22
	s_delay_alu instid0(VALU_DEP_1) | instskip(SKIP_2) | instid1(VALU_DEP_2)
	v_cndmask_b32_e64 v31, v33, v22, s7
	v_cndmask_b32_e64 v20, v22, v33, s7
	s_and_b32 s36, s6, s7
	v_cmp_nlt_f32_e64 s8, v31, v28
	s_delay_alu instid0(VALU_DEP_1) | instskip(SKIP_1) | instid1(VALU_DEP_2)
	v_cndmask_b32_e64 v34, v31, v28, s8
	v_cndmask_b32_e64 v22, v28, v31, s8
	v_cmp_nlt_f32_e64 s9, v34, v25
	s_delay_alu instid0(VALU_DEP_1) | instskip(SKIP_2) | instid1(VALU_DEP_2)
	v_cndmask_b32_e64 v35, v34, v25, s9
	s_and_b32 s7, s8, s9
	v_cndmask_b32_e64 v28, v25, v34, s9
	v_cmp_nlt_f32_e64 s10, v35, v27
	s_delay_alu instid0(VALU_DEP_1) | instskip(SKIP_2) | instid1(VALU_DEP_2)
	v_cndmask_b32_e64 v36, v35, v27, s10
	s_and_b32 s7, s7, s10
	v_cndmask_b32_e64 v25, v27, v35, s10
	v_cmp_nlt_f32_e32 vcc_lo, v36, v26
	v_cndmask_b32_e32 v37, v36, v26, vcc_lo
	s_and_b32 s8, s7, vcc_lo
	v_cndmask_b32_e32 v27, v26, v36, vcc_lo
	s_delay_alu instid0(VALU_DEP_2) | instskip(NEXT) | instid1(VALU_DEP_1)
	v_cmp_nlt_f32_e64 s5, v37, v24
	v_cndmask_b32_e64 v33, v37, v24, s5
	s_and_b32 s8, s8, s5
	v_cndmask_b32_e64 v26, v24, v37, s5
	s_delay_alu instid0(VALU_DEP_2) | instskip(NEXT) | instid1(VALU_DEP_1)
	v_cmp_nlt_f32_e64 s6, v33, v23
	v_cndmask_b32_e64 v31, v33, v23, s6
	s_and_b32 s8, s8, s6
	v_cndmask_b32_e64 v24, v23, v33, s6
	s_delay_alu instid0(VALU_DEP_2) | instskip(NEXT) | instid1(VALU_DEP_1)
	v_cmp_nlt_f32_e64 s7, v31, v32
	s_and_b32 s8, s8, s7
	v_cndmask_b32_e64 v30, v31, v32, s7
	s_and_b32 s5, s8, s36
	v_cndmask_b32_e64 v23, v32, v31, s7
	s_and_b32 s5, s5, s35
	s_delay_alu instid0(SALU_CYCLE_1) | instskip(NEXT) | instid1(SALU_CYCLE_1)
	s_and_b32 s5, exec_lo, s5
	s_or_b32 s34, s5, s34
	s_delay_alu instid0(SALU_CYCLE_1)
	s_and_not1_b32 exec_lo, exec_lo, s34
	s_cbranch_execnz .LBB193_198
; %bb.199:                              ;   in Loop: Header=BB193_145 Depth=1
	s_or_b32 exec_lo, exec_lo, s34
	v_add_f32_e32 v11, -1.0, v11
	v_cmp_class_f32_e64 s6, v13, 0x204
	s_delay_alu instid0(VALU_DEP_2) | instskip(NEXT) | instid1(VALU_DEP_1)
	v_add_f32_e32 v11, v11, v21
	v_add_f32_e32 v11, v11, v29
	s_delay_alu instid0(VALU_DEP_1) | instskip(NEXT) | instid1(VALU_DEP_1)
	v_add_f32_e32 v11, v11, v20
	v_add_f32_e32 v11, v11, v22
	s_delay_alu instid0(VALU_DEP_1) | instskip(NEXT) | instid1(VALU_DEP_1)
	;; [unrolled: 3-line block ×5, first 2 shown]
	v_add_f32_e32 v11, v30, v11
	v_add_f32_e32 v22, 1.0, v11
	s_delay_alu instid0(VALU_DEP_1) | instskip(NEXT) | instid1(VALU_DEP_1)
	v_cvt_f64_f32_e32 v[20:21], v22
	v_frexp_exp_i32_f64_e32 v20, v[20:21]
	v_frexp_mant_f32_e32 v21, v22
	s_delay_alu instid0(VALU_DEP_1) | instskip(SKIP_1) | instid1(VALU_DEP_1)
	v_cmp_gt_f32_e32 vcc_lo, 0x3f2aaaab, v21
	v_add_f32_e32 v21, -1.0, v22
	v_dual_sub_f32 v24, v21, v22 :: v_dual_sub_f32 v21, v11, v21
	s_delay_alu instid0(VALU_DEP_1) | instskip(NEXT) | instid1(VALU_DEP_1)
	v_add_f32_e32 v24, 1.0, v24
	v_add_f32_e32 v21, v21, v24
	v_subrev_co_ci_u32_e32 v20, vcc_lo, 0, v20, vcc_lo
	s_delay_alu instid0(VALU_DEP_1) | instskip(SKIP_1) | instid1(VALU_DEP_2)
	v_sub_nc_u32_e32 v23, 0, v20
	v_cvt_f32_i32_e32 v20, v20
	v_ldexp_f32 v22, v22, v23
	v_ldexp_f32 v21, v21, v23
	s_delay_alu instid0(VALU_DEP_2) | instskip(NEXT) | instid1(VALU_DEP_1)
	v_add_f32_e32 v25, 1.0, v22
	v_dual_add_f32 v23, -1.0, v22 :: v_dual_add_f32 v24, -1.0, v25
	s_delay_alu instid0(VALU_DEP_1) | instskip(NEXT) | instid1(VALU_DEP_2)
	v_add_f32_e32 v26, 1.0, v23
	v_sub_f32_e32 v24, v22, v24
	s_delay_alu instid0(VALU_DEP_2) | instskip(NEXT) | instid1(VALU_DEP_2)
	v_sub_f32_e32 v22, v22, v26
	v_add_f32_e32 v24, v21, v24
	s_delay_alu instid0(VALU_DEP_2) | instskip(NEXT) | instid1(VALU_DEP_1)
	v_add_f32_e32 v21, v21, v22
	v_dual_add_f32 v26, v25, v24 :: v_dual_add_f32 v27, v23, v21
	s_delay_alu instid0(VALU_DEP_1) | instskip(SKIP_1) | instid1(VALU_DEP_1)
	v_rcp_f32_e32 v22, v26
	v_sub_f32_e32 v25, v26, v25
	v_dual_sub_f32 v23, v27, v23 :: v_dual_sub_f32 v24, v24, v25
	s_waitcnt_depctr 0xfff
	v_dual_sub_f32 v21, v21, v23 :: v_dual_mul_f32 v28, v27, v22
	v_cmp_eq_f32_e32 vcc_lo, 0x7f800000, v11
	v_cmp_neq_f32_e64 s5, -1.0, v11
	s_delay_alu instid0(VALU_DEP_3) | instskip(NEXT) | instid1(VALU_DEP_1)
	v_mul_f32_e32 v29, v26, v28
	v_fma_f32 v25, v28, v26, -v29
	s_delay_alu instid0(VALU_DEP_1) | instskip(NEXT) | instid1(VALU_DEP_1)
	v_fmac_f32_e32 v25, v28, v24
	v_add_f32_e32 v30, v29, v25
	s_delay_alu instid0(VALU_DEP_1) | instskip(SKIP_1) | instid1(VALU_DEP_2)
	v_sub_f32_e32 v31, v27, v30
	v_sub_f32_e32 v23, v30, v29
	;; [unrolled: 1-line block ×3, first 2 shown]
	s_delay_alu instid0(VALU_DEP_2) | instskip(NEXT) | instid1(VALU_DEP_2)
	v_sub_f32_e32 v23, v23, v25
	v_sub_f32_e32 v27, v27, v30
	s_delay_alu instid0(VALU_DEP_1) | instskip(NEXT) | instid1(VALU_DEP_1)
	v_add_f32_e32 v21, v21, v27
	v_add_f32_e32 v21, v23, v21
	s_delay_alu instid0(VALU_DEP_1) | instskip(NEXT) | instid1(VALU_DEP_1)
	v_add_f32_e32 v23, v31, v21
	v_mul_f32_e32 v25, v22, v23
	s_delay_alu instid0(VALU_DEP_1) | instskip(NEXT) | instid1(VALU_DEP_1)
	v_dual_sub_f32 v30, v31, v23 :: v_dual_mul_f32 v27, v26, v25
	v_add_f32_e32 v21, v21, v30
	s_delay_alu instid0(VALU_DEP_2) | instskip(NEXT) | instid1(VALU_DEP_1)
	v_fma_f32 v26, v25, v26, -v27
	v_fmac_f32_e32 v26, v25, v24
	s_delay_alu instid0(VALU_DEP_1) | instskip(NEXT) | instid1(VALU_DEP_1)
	v_add_f32_e32 v24, v27, v26
	v_sub_f32_e32 v29, v23, v24
	v_sub_f32_e32 v27, v24, v27
	s_delay_alu instid0(VALU_DEP_2) | instskip(NEXT) | instid1(VALU_DEP_1)
	v_sub_f32_e32 v23, v23, v29
	v_sub_f32_e32 v23, v23, v24
	s_delay_alu instid0(VALU_DEP_3) | instskip(SKIP_1) | instid1(VALU_DEP_3)
	v_sub_f32_e32 v24, v27, v26
	v_max_f32_e64 v26, |v14|, |v14|
	v_add_f32_e32 v21, v21, v23
	v_add_f32_e32 v23, v28, v25
	s_delay_alu instid0(VALU_DEP_1) | instskip(NEXT) | instid1(VALU_DEP_1)
	v_dual_add_f32 v21, v24, v21 :: v_dual_sub_f32 v24, v23, v28
	v_add_f32_e32 v21, v29, v21
	s_delay_alu instid0(VALU_DEP_2) | instskip(SKIP_1) | instid1(VALU_DEP_3)
	v_sub_f32_e32 v24, v25, v24
	v_mul_f32_e32 v29, 0x3f317218, v20
	v_mul_f32_e32 v21, v22, v21
	s_delay_alu instid0(VALU_DEP_2) | instskip(NEXT) | instid1(VALU_DEP_1)
	v_fma_f32 v30, 0x3f317218, v20, -v29
	v_dual_add_f32 v21, v24, v21 :: v_dual_fmac_f32 v30, 0xb102e308, v20
	s_delay_alu instid0(VALU_DEP_1) | instskip(NEXT) | instid1(VALU_DEP_1)
	v_add_f32_e32 v22, v23, v21
	v_mul_f32_e32 v24, v22, v22
	v_ldexp_f32 v28, v22, 1
	s_delay_alu instid0(VALU_DEP_2) | instskip(SKIP_2) | instid1(VALU_DEP_3)
	v_fmaak_f32 v25, s21, v24, 0x3ecc95a3
	v_mul_f32_e32 v27, v22, v24
	v_sub_f32_e32 v22, v22, v23
	v_fmaak_f32 v24, v24, v25, 0x3f2aaada
	v_max_f32_e64 v25, |v13|, |v13|
	s_delay_alu instid0(VALU_DEP_2) | instskip(NEXT) | instid1(VALU_DEP_2)
	v_dual_sub_f32 v21, v21, v22 :: v_dual_mul_f32 v24, v27, v24
	v_max_f32_e32 v27, v25, v26
	v_min_f32_e32 v25, v25, v26
	s_delay_alu instid0(VALU_DEP_3) | instskip(NEXT) | instid1(VALU_DEP_4)
	v_ldexp_f32 v21, v21, 1
	v_add_f32_e32 v23, v28, v24
	s_delay_alu instid0(VALU_DEP_4) | instskip(SKIP_1) | instid1(VALU_DEP_3)
	v_frexp_mant_f32_e32 v26, v27
	v_frexp_exp_i32_f32_e32 v27, v27
	v_sub_f32_e32 v22, v23, v28
	s_delay_alu instid0(VALU_DEP_3) | instskip(SKIP_1) | instid1(VALU_DEP_2)
	v_rcp_f32_e32 v26, v26
	v_frexp_exp_i32_f32_e32 v28, v25
	v_sub_f32_e32 v22, v24, v22
	v_frexp_mant_f32_e32 v24, v25
	s_delay_alu instid0(VALU_DEP_3) | instskip(NEXT) | instid1(VALU_DEP_3)
	v_sub_nc_u32_e32 v25, v28, v27
	v_add_f32_e32 v20, v21, v22
	s_waitcnt_depctr 0xfff
	v_mul_f32_e32 v21, v24, v26
	v_add_f32_e32 v22, v29, v30
	v_add_f32_e32 v24, v23, v20
	s_delay_alu instid0(VALU_DEP_3) | instskip(NEXT) | instid1(VALU_DEP_3)
	v_ldexp_f32 v21, v21, v25
	v_sub_f32_e32 v29, v22, v29
	s_delay_alu instid0(VALU_DEP_2) | instskip(SKIP_1) | instid1(VALU_DEP_3)
	v_dual_add_f32 v25, v22, v24 :: v_dual_mul_f32 v26, v21, v21
	v_sub_f32_e32 v23, v24, v23
	v_sub_f32_e32 v29, v30, v29
	s_delay_alu instid0(VALU_DEP_3) | instskip(NEXT) | instid1(VALU_DEP_4)
	v_sub_f32_e32 v27, v25, v22
	v_fmaak_f32 v28, s26, v26, 0xbc7a590c
	s_delay_alu instid0(VALU_DEP_4) | instskip(NEXT) | instid1(VALU_DEP_2)
	v_sub_f32_e32 v20, v20, v23
	v_dual_sub_f32 v31, v25, v27 :: v_dual_fmaak_f32 v28, v26, v28, 0x3d29fb3f
	v_sub_f32_e32 v23, v24, v27
	s_delay_alu instid0(VALU_DEP_2) | instskip(NEXT) | instid1(VALU_DEP_3)
	v_dual_add_f32 v27, v29, v20 :: v_dual_sub_f32 v22, v22, v31
	v_fmaak_f32 v24, v26, v28, 0xbd97d4d7
	s_delay_alu instid0(VALU_DEP_1) | instskip(NEXT) | instid1(VALU_DEP_3)
	v_dual_add_f32 v22, v23, v22 :: v_dual_fmaak_f32 v23, v26, v24, 0x3dd931b2
	v_sub_f32_e32 v24, v27, v29
	s_delay_alu instid0(VALU_DEP_2) | instskip(NEXT) | instid1(VALU_DEP_2)
	v_dual_add_f32 v22, v27, v22 :: v_dual_fmaak_f32 v23, v26, v23, 0xbe1160e6
	v_sub_f32_e32 v27, v27, v24
	v_sub_f32_e32 v20, v20, v24
	s_delay_alu instid0(VALU_DEP_3) | instskip(NEXT) | instid1(VALU_DEP_1)
	v_dual_add_f32 v28, v25, v22 :: v_dual_fmaak_f32 v23, v26, v23, 0x3e4cb8bf
	v_dual_sub_f32 v24, v29, v27 :: v_dual_sub_f32 v25, v28, v25
	s_delay_alu instid0(VALU_DEP_1) | instskip(NEXT) | instid1(VALU_DEP_2)
	v_dual_fmaak_f32 v23, v26, v23, 0xbeaaaa62 :: v_dual_add_f32 v20, v20, v24
	v_sub_f32_e32 v22, v22, v25
	s_delay_alu instid0(VALU_DEP_1) | instskip(NEXT) | instid1(VALU_DEP_1)
	v_dual_mul_f32 v23, v26, v23 :: v_dual_add_f32 v20, v20, v22
	v_dual_fmac_f32 v21, v21, v23 :: v_dual_add_f32 v20, v28, v20
	s_delay_alu instid0(VALU_DEP_1) | instskip(NEXT) | instid1(VALU_DEP_2)
	v_sub_f32_e32 v22, 0x3fc90fdb, v21
	v_cndmask_b32_e32 v20, v20, v11, vcc_lo
	v_cmp_gt_i32_e32 vcc_lo, 0, v13
	s_delay_alu instid0(VALU_DEP_3) | instskip(SKIP_2) | instid1(VALU_DEP_3)
	v_cndmask_b32_e64 v21, v21, v22, s4
	v_cndmask_b32_e64 v22, 0, 0x40490fdb, vcc_lo
	v_cmp_ngt_f32_e32 vcc_lo, -1.0, v11
	v_sub_f32_e32 v23, 0x40490fdb, v21
	v_cndmask_b32_e32 v20, 0x7fc00000, v20, vcc_lo
	v_cmp_gt_f32_e32 vcc_lo, 0, v13
	s_delay_alu instid0(VALU_DEP_2) | instskip(NEXT) | instid1(VALU_DEP_4)
	v_cndmask_b32_e64 v13, 0xff800000, v20, s5
	v_cndmask_b32_e32 v20, v21, v23, vcc_lo
	v_cndmask_b32_e32 v21, 0x3f490fdb, v17, vcc_lo
	v_cmp_gt_f32_e64 vcc_lo, 0x33800000, |v11|
	v_cmp_class_f32_e64 s5, v14, 0x204
	v_cndmask_b32_e32 v11, v13, v11, vcc_lo
	v_cmp_eq_f32_e32 vcc_lo, 0, v14
	s_delay_alu instid0(VALU_DEP_2) | instskip(SKIP_2) | instid1(VALU_DEP_1)
	v_mul_f32_e32 v11, 0.5, v11
	v_cndmask_b32_e32 v13, v20, v22, vcc_lo
	s_and_b32 vcc_lo, s5, s6
	v_cndmask_b32_e32 v20, v13, v21, vcc_lo
.LBB193_200:                            ;   in Loop: Header=BB193_145 Depth=1
	s_or_b32 exec_lo, exec_lo, s33
.LBB193_201:                            ;   in Loop: Header=BB193_145 Depth=1
	s_delay_alu instid0(SALU_CYCLE_1)
	s_or_b32 exec_lo, exec_lo, s31
.LBB193_202:                            ;   in Loop: Header=BB193_145 Depth=1
	s_and_not1_saveexec_b32 s6, s30
	s_cbranch_execz .LBB193_204
; %bb.203:                              ;   in Loop: Header=BB193_145 Depth=1
	v_max_f32_e64 v11, |v14|, |v14|
	v_max_f32_e64 v22, |v13|, |v13|
	v_cmp_gt_i32_e64 s5, 0, v13
	v_cmp_class_f32_e64 s7, v13, 0x204
	v_cmp_class_f32_e64 s8, v14, 0x204
	s_delay_alu instid0(VALU_DEP_4) | instskip(SKIP_1) | instid1(VALU_DEP_2)
	v_max_f32_e32 v23, v22, v11
	v_min_f32_e32 v11, v22, v11
	v_cvt_f64_f32_e32 v[20:21], v23
	v_frexp_exp_i32_f32_e32 v22, v23
	s_delay_alu instid0(VALU_DEP_3) | instskip(SKIP_1) | instid1(VALU_DEP_2)
	v_frexp_exp_i32_f32_e32 v24, v11
	v_frexp_mant_f32_e32 v11, v11
	v_sub_nc_u32_e32 v22, v24, v22
	v_frexp_exp_i32_f64_e32 v20, v[20:21]
	v_frexp_mant_f32_e32 v21, v23
	s_delay_alu instid0(VALU_DEP_1) | instskip(SKIP_2) | instid1(VALU_DEP_1)
	v_rcp_f32_e32 v21, v21
	s_waitcnt_depctr 0xfff
	v_mul_f32_e32 v11, v11, v21
	v_ldexp_f32 v11, v11, v22
	s_delay_alu instid0(VALU_DEP_1) | instskip(SKIP_1) | instid1(VALU_DEP_1)
	v_mul_f32_e32 v24, v11, v11
	v_sub_nc_u32_e32 v25, 0, v20
	v_ldexp_f32 v21, |v14|, v25
	v_ldexp_f32 v22, |v13|, v25
	s_delay_alu instid0(VALU_DEP_2) | instskip(NEXT) | instid1(VALU_DEP_1)
	v_mul_f32_e32 v21, v21, v21
	v_dual_fmac_f32 v21, v22, v22 :: v_dual_fmaak_f32 v22, s26, v24, 0xbc7a590c
	v_cmp_neq_f32_e32 vcc_lo, 0x7f800000, v23
	s_delay_alu instid0(VALU_DEP_2) | instskip(NEXT) | instid1(VALU_DEP_2)
	v_sqrt_f32_e32 v21, v21
	v_fmaak_f32 v22, v24, v22, 0x3d29fb3f
	s_delay_alu instid0(VALU_DEP_1) | instskip(SKIP_3) | instid1(VALU_DEP_2)
	v_fmaak_f32 v22, v24, v22, 0xbd97d4d7
	s_waitcnt_depctr 0xfff
	v_ldexp_f32 v20, v21, v20
	v_fmaak_f32 v21, v24, v22, 0x3dd931b2
	v_cndmask_b32_e32 v20, 0x7f800000, v20, vcc_lo
	s_delay_alu instid0(VALU_DEP_2) | instskip(NEXT) | instid1(VALU_DEP_2)
	v_fmaak_f32 v21, v24, v21, 0xbe1160e6
	v_cmp_gt_f32_e32 vcc_lo, 0x800000, v20
	s_delay_alu instid0(VALU_DEP_2) | instskip(SKIP_1) | instid1(VALU_DEP_2)
	v_fmaak_f32 v21, v24, v21, 0x3e4cb8bf
	v_cndmask_b32_e64 v22, 1.0, 0x4f800000, vcc_lo
	v_fmaak_f32 v21, v24, v21, 0xbeaaaa62
	s_delay_alu instid0(VALU_DEP_1) | instskip(NEXT) | instid1(VALU_DEP_1)
	v_mul_f32_e32 v21, v24, v21
	v_dual_mul_f32 v20, v20, v22 :: v_dual_fmac_f32 v11, v11, v21
	s_delay_alu instid0(VALU_DEP_1) | instskip(NEXT) | instid1(VALU_DEP_1)
	v_log_f32_e32 v20, v20
	v_sub_f32_e32 v22, 0x3fc90fdb, v11
	s_delay_alu instid0(VALU_DEP_1) | instskip(SKIP_4) | instid1(VALU_DEP_3)
	v_cndmask_b32_e64 v11, v11, v22, s4
	s_waitcnt_depctr 0xfff
	v_mul_f32_e32 v21, 0x3f317217, v20
	v_cndmask_b32_e64 v22, 0, 0x40490fdb, s5
	v_cmp_gt_f32_e64 s5, 0, v13
	v_fma_f32 v23, 0x3f317217, v20, -v21
	s_delay_alu instid0(VALU_DEP_1) | instskip(NEXT) | instid1(VALU_DEP_1)
	v_fmac_f32_e32 v23, 0x3377d1cf, v20
	v_add_f32_e32 v13, v21, v23
	v_cndmask_b32_e64 v23, 0, 0x41b17218, vcc_lo
	v_cmp_gt_f32_e64 vcc_lo, 0x7f800000, |v20|
	v_sub_f32_e32 v24, 0x40490fdb, v11
	v_cndmask_b32_e64 v21, 0x3f490fdb, v17, s5
	v_cndmask_b32_e32 v13, v20, v13, vcc_lo
	s_delay_alu instid0(VALU_DEP_3) | instskip(SKIP_1) | instid1(VALU_DEP_2)
	v_cndmask_b32_e64 v11, v11, v24, s5
	v_cmp_eq_f32_e32 vcc_lo, 0, v14
	v_cndmask_b32_e32 v20, v11, v22, vcc_lo
	s_and_b32 vcc_lo, s8, s7
	s_delay_alu instid0(VALU_DEP_1)
	v_dual_sub_f32 v11, v13, v23 :: v_dual_cndmask_b32 v20, v20, v21
.LBB193_204:                            ;   in Loop: Header=BB193_145 Depth=1
	s_or_b32 exec_lo, exec_lo, s6
                                        ; implicit-def: $vgpr21
.LBB193_205:                            ;   in Loop: Header=BB193_145 Depth=1
	s_and_not1_saveexec_b32 s6, s29
	s_cbranch_execz .LBB193_211
; %bb.206:                              ;   in Loop: Header=BB193_145 Depth=1
                                        ; implicit-def: $vgpr11
                                        ; implicit-def: $vgpr20
	s_mov_b32 s5, exec_lo
	v_cmpx_ngt_f32_e32 0x1fec1e4a, v21
	s_xor_b32 s7, exec_lo, s5
	s_cbranch_execz .LBB193_208
; %bb.207:                              ;   in Loop: Header=BB193_145 Depth=1
	v_mul_f32_e32 v11, v21, v21
	v_cmp_class_f32_e64 s8, v13, 0x204
	v_cmp_gt_f32_e64 s5, 0, v13
	v_cmp_class_f32_e64 s10, v14, 0x204
	s_delay_alu instid0(VALU_DEP_4) | instskip(NEXT) | instid1(VALU_DEP_1)
	v_add_f32_e32 v22, 1.0, v11
	v_cvt_f64_f32_e32 v[20:21], v22
	s_delay_alu instid0(VALU_DEP_1) | instskip(SKIP_1) | instid1(VALU_DEP_1)
	v_frexp_exp_i32_f64_e32 v20, v[20:21]
	v_frexp_mant_f32_e32 v21, v22
	v_cmp_gt_f32_e32 vcc_lo, 0x3f2aaaab, v21
	v_add_f32_e32 v21, -1.0, v22
	s_delay_alu instid0(VALU_DEP_1) | instskip(NEXT) | instid1(VALU_DEP_1)
	v_sub_f32_e32 v24, v21, v22
	v_dual_add_f32 v24, 1.0, v24 :: v_dual_sub_f32 v21, v11, v21
	v_cmp_gt_f32_e64 s9, 0x33800000, |v11|
	s_delay_alu instid0(VALU_DEP_2) | instskip(SKIP_2) | instid1(VALU_DEP_2)
	v_add_f32_e32 v21, v21, v24
	v_subrev_co_ci_u32_e32 v20, vcc_lo, 0, v20, vcc_lo
	v_cmp_gt_i32_e32 vcc_lo, 0, v13
	v_sub_nc_u32_e32 v23, 0, v20
	v_cvt_f32_i32_e32 v20, v20
	s_delay_alu instid0(VALU_DEP_2) | instskip(SKIP_1) | instid1(VALU_DEP_2)
	v_ldexp_f32 v22, v22, v23
	v_ldexp_f32 v21, v21, v23
	v_add_f32_e32 v25, 1.0, v22
	s_delay_alu instid0(VALU_DEP_1) | instskip(NEXT) | instid1(VALU_DEP_1)
	v_add_f32_e32 v24, -1.0, v25
	v_dual_sub_f32 v24, v22, v24 :: v_dual_add_f32 v23, -1.0, v22
	s_delay_alu instid0(VALU_DEP_1) | instskip(NEXT) | instid1(VALU_DEP_2)
	v_add_f32_e32 v24, v21, v24
	v_add_f32_e32 v26, 1.0, v23
	s_delay_alu instid0(VALU_DEP_1) | instskip(NEXT) | instid1(VALU_DEP_1)
	v_sub_f32_e32 v22, v22, v26
	v_add_f32_e32 v21, v21, v22
	s_delay_alu instid0(VALU_DEP_1) | instskip(NEXT) | instid1(VALU_DEP_1)
	v_dual_add_f32 v27, v23, v21 :: v_dual_add_f32 v26, v25, v24
	v_rcp_f32_e32 v22, v26
	v_sub_f32_e32 v25, v25, v26
	s_delay_alu instid0(VALU_DEP_1) | instskip(SKIP_2) | instid1(VALU_DEP_1)
	v_dual_add_f32 v24, v24, v25 :: v_dual_sub_f32 v23, v23, v27
	s_waitcnt_depctr 0xfff
	v_dual_mul_f32 v28, v27, v22 :: v_dual_add_f32 v21, v21, v23
	v_mul_f32_e32 v29, v26, v28
	s_delay_alu instid0(VALU_DEP_1) | instskip(NEXT) | instid1(VALU_DEP_1)
	v_fma_f32 v25, v28, v26, -v29
	v_fmac_f32_e32 v25, v28, v24
	s_delay_alu instid0(VALU_DEP_1) | instskip(NEXT) | instid1(VALU_DEP_1)
	v_add_f32_e32 v30, v29, v25
	v_sub_f32_e32 v31, v27, v30
	s_delay_alu instid0(VALU_DEP_1) | instskip(SKIP_1) | instid1(VALU_DEP_2)
	v_sub_f32_e32 v27, v27, v31
	v_sub_f32_e32 v23, v30, v29
	;; [unrolled: 1-line block ×3, first 2 shown]
	s_delay_alu instid0(VALU_DEP_2) | instskip(NEXT) | instid1(VALU_DEP_2)
	v_sub_f32_e32 v23, v23, v25
	v_add_f32_e32 v21, v21, v27
	s_delay_alu instid0(VALU_DEP_1) | instskip(NEXT) | instid1(VALU_DEP_1)
	v_add_f32_e32 v21, v23, v21
	v_add_f32_e32 v23, v31, v21
	s_delay_alu instid0(VALU_DEP_1) | instskip(NEXT) | instid1(VALU_DEP_1)
	v_mul_f32_e32 v25, v22, v23
	v_dual_sub_f32 v30, v31, v23 :: v_dual_mul_f32 v27, v26, v25
	s_delay_alu instid0(VALU_DEP_1) | instskip(NEXT) | instid1(VALU_DEP_2)
	v_add_f32_e32 v21, v21, v30
	v_fma_f32 v26, v25, v26, -v27
	s_delay_alu instid0(VALU_DEP_1) | instskip(NEXT) | instid1(VALU_DEP_1)
	v_fmac_f32_e32 v26, v25, v24
	v_add_f32_e32 v24, v27, v26
	s_delay_alu instid0(VALU_DEP_1) | instskip(SKIP_1) | instid1(VALU_DEP_2)
	v_sub_f32_e32 v29, v23, v24
	v_sub_f32_e32 v27, v24, v27
	;; [unrolled: 1-line block ×3, first 2 shown]
	s_delay_alu instid0(VALU_DEP_1) | instskip(NEXT) | instid1(VALU_DEP_1)
	v_sub_f32_e32 v23, v23, v24
	v_dual_sub_f32 v24, v27, v26 :: v_dual_add_f32 v21, v21, v23
	v_add_f32_e32 v23, v28, v25
	s_delay_alu instid0(VALU_DEP_1) | instskip(NEXT) | instid1(VALU_DEP_1)
	v_dual_add_f32 v21, v24, v21 :: v_dual_sub_f32 v24, v23, v28
	v_add_f32_e32 v21, v29, v21
	s_delay_alu instid0(VALU_DEP_2) | instskip(SKIP_1) | instid1(VALU_DEP_3)
	v_sub_f32_e32 v24, v25, v24
	v_max_f32_e64 v25, |v13|, |v13|
	v_mul_f32_e32 v21, v22, v21
	v_max_f32_e64 v22, |v14|, |v14|
	s_delay_alu instid0(VALU_DEP_2) | instskip(NEXT) | instid1(VALU_DEP_2)
	v_add_f32_e32 v21, v24, v21
	v_max_f32_e32 v27, v25, v22
	v_min_f32_e32 v22, v25, v22
	s_delay_alu instid0(VALU_DEP_3) | instskip(NEXT) | instid1(VALU_DEP_3)
	v_add_f32_e32 v24, v23, v21
	v_frexp_mant_f32_e32 v29, v27
	v_frexp_exp_i32_f32_e32 v25, v27
	s_delay_alu instid0(VALU_DEP_3) | instskip(SKIP_1) | instid1(VALU_DEP_2)
	v_mul_f32_e32 v26, v24, v24
	v_ldexp_f32 v30, v24, 1
	v_dual_sub_f32 v23, v24, v23 :: v_dual_fmaak_f32 v28, s21, v26, 0x3ecc95a3
	v_mul_f32_e32 v27, v24, v26
	s_delay_alu instid0(VALU_DEP_2) | instskip(SKIP_3) | instid1(VALU_DEP_3)
	v_dual_sub_f32 v21, v21, v23 :: v_dual_fmaak_f32 v26, v26, v28, 0x3f2aaada
	v_rcp_f32_e32 v28, v29
	v_frexp_exp_i32_f32_e32 v29, v22
	v_frexp_mant_f32_e32 v22, v22
	v_ldexp_f32 v21, v21, 1
	v_dual_mul_f32 v26, v27, v26 :: v_dual_mul_f32 v27, 0x3f317218, v20
	s_delay_alu instid0(VALU_DEP_4) | instskip(NEXT) | instid1(VALU_DEP_2)
	v_sub_nc_u32_e32 v25, v29, v25
	v_add_f32_e32 v24, v30, v26
	s_delay_alu instid0(TRANS32_DEP_1) | instid1(VALU_DEP_1)
	v_dual_mul_f32 v22, v22, v28 :: v_dual_sub_f32 v23, v24, v30
	s_delay_alu instid0(VALU_DEP_1) | instskip(SKIP_1) | instid1(VALU_DEP_3)
	v_ldexp_f32 v22, v22, v25
	v_fma_f32 v25, 0x3f317218, v20, -v27
	v_sub_f32_e32 v23, v26, v23
	s_delay_alu instid0(VALU_DEP_2) | instskip(NEXT) | instid1(VALU_DEP_1)
	v_dual_mul_f32 v26, v22, v22 :: v_dual_fmac_f32 v25, 0xb102e308, v20
	v_dual_add_f32 v20, v21, v23 :: v_dual_fmaak_f32 v21, s26, v26, 0xbc7a590c
	s_delay_alu instid0(VALU_DEP_1) | instskip(NEXT) | instid1(VALU_DEP_2)
	v_dual_add_f32 v23, v27, v25 :: v_dual_add_f32 v28, v24, v20
	v_fmaak_f32 v21, v26, v21, 0x3d29fb3f
	s_delay_alu instid0(VALU_DEP_2) | instskip(NEXT) | instid1(VALU_DEP_3)
	v_sub_f32_e32 v27, v23, v27
	v_add_f32_e32 v29, v23, v28
	s_delay_alu instid0(VALU_DEP_3) | instskip(NEXT) | instid1(VALU_DEP_3)
	v_dual_fmaak_f32 v21, v26, v21, 0xbd97d4d7 :: v_dual_sub_f32 v24, v28, v24
	v_sub_f32_e32 v25, v25, v27
	s_delay_alu instid0(VALU_DEP_2) | instskip(NEXT) | instid1(VALU_DEP_1)
	v_dual_sub_f32 v30, v29, v23 :: v_dual_fmaak_f32 v21, v26, v21, 0x3dd931b2
	v_dual_sub_f32 v20, v20, v24 :: v_dual_sub_f32 v31, v29, v30
	s_delay_alu instid0(VALU_DEP_2) | instskip(NEXT) | instid1(VALU_DEP_2)
	v_dual_fmaak_f32 v21, v26, v21, 0xbe1160e6 :: v_dual_sub_f32 v24, v28, v30
	v_add_f32_e32 v27, v25, v20
	s_delay_alu instid0(VALU_DEP_3) | instskip(NEXT) | instid1(VALU_DEP_3)
	v_sub_f32_e32 v23, v23, v31
	v_fmaak_f32 v21, v26, v21, 0x3e4cb8bf
	s_delay_alu instid0(VALU_DEP_2) | instskip(NEXT) | instid1(VALU_DEP_2)
	v_add_f32_e32 v23, v24, v23
	v_fmaak_f32 v21, v26, v21, 0xbeaaaa62
	v_sub_f32_e32 v24, v27, v25
	s_delay_alu instid0(VALU_DEP_3) | instskip(NEXT) | instid1(VALU_DEP_2)
	v_add_f32_e32 v23, v27, v23
	v_dual_mul_f32 v21, v26, v21 :: v_dual_sub_f32 v26, v27, v24
	s_delay_alu instid0(VALU_DEP_2) | instskip(NEXT) | instid1(VALU_DEP_2)
	v_dual_sub_f32 v20, v20, v24 :: v_dual_add_f32 v27, v29, v23
	v_dual_fmac_f32 v22, v22, v21 :: v_dual_sub_f32 v21, v25, v26
	s_delay_alu instid0(VALU_DEP_1) | instskip(NEXT) | instid1(VALU_DEP_1)
	v_dual_sub_f32 v24, v27, v29 :: v_dual_sub_f32 v25, 0x3fc90fdb, v22
	v_dual_add_f32 v20, v20, v21 :: v_dual_sub_f32 v21, v23, v24
	s_delay_alu instid0(VALU_DEP_2) | instskip(SKIP_2) | instid1(VALU_DEP_3)
	v_cndmask_b32_e64 v22, v22, v25, s4
	v_cndmask_b32_e64 v23, 0, 0x40490fdb, vcc_lo
	v_cmp_eq_f32_e32 vcc_lo, 0x7f800000, v11
	v_dual_add_f32 v20, v20, v21 :: v_dual_sub_f32 v21, 0x40490fdb, v22
	s_or_b32 vcc_lo, vcc_lo, s9
	s_delay_alu instid0(VALU_DEP_1) | instskip(NEXT) | instid1(VALU_DEP_2)
	v_add_f32_e32 v13, v27, v20
	v_cndmask_b32_e64 v20, v22, v21, s5
	v_cndmask_b32_e64 v21, 0x3f490fdb, v17, s5
	s_delay_alu instid0(VALU_DEP_3) | instskip(SKIP_1) | instid1(VALU_DEP_2)
	v_cndmask_b32_e32 v11, v13, v11, vcc_lo
	v_cmp_eq_f32_e32 vcc_lo, 0, v14
	v_mul_f32_e32 v11, 0.5, v11
	v_cndmask_b32_e32 v13, v20, v23, vcc_lo
	s_and_b32 vcc_lo, s10, s8
	s_delay_alu instid0(VALU_DEP_1)
	v_cndmask_b32_e32 v20, v13, v21, vcc_lo
                                        ; implicit-def: $vgpr21
.LBB193_208:                            ;   in Loop: Header=BB193_145 Depth=1
	s_and_not1_saveexec_b32 s7, s7
	s_cbranch_execz .LBB193_210
; %bb.209:                              ;   in Loop: Header=BB193_145 Depth=1
	v_max_f32_e64 v11, |v14|, |v14|
	v_max_f32_e64 v20, |v13|, |v13|
	v_cmp_gt_i32_e32 vcc_lo, 0, v13
	v_cmp_eq_f32_e64 s5, 0, v14
	v_cmp_class_f32_e64 s8, v13, 0x204
	v_cmp_class_f32_e64 s9, v14, 0x204
	v_max_f32_e32 v22, v20, v11
	v_min_f32_e32 v11, v20, v11
	s_delay_alu instid0(VALU_DEP_2) | instskip(NEXT) | instid1(VALU_DEP_1)
	v_frexp_mant_f32_e32 v23, v22
	v_rcp_f32_e32 v20, v23
	s_delay_alu instid0(VALU_DEP_2) | instskip(SKIP_4) | instid1(VALU_DEP_1)
	v_frexp_exp_i32_f32_e32 v23, v11
	v_frexp_mant_f32_e32 v11, v11
	s_waitcnt_depctr 0xfff
	v_mul_f32_e32 v11, v11, v20
	v_frexp_exp_i32_f32_e32 v22, v22
	v_sub_nc_u32_e32 v22, v23, v22
	s_delay_alu instid0(VALU_DEP_1) | instskip(NEXT) | instid1(VALU_DEP_1)
	v_ldexp_f32 v11, v11, v22
	v_mul_f32_e32 v20, v11, v11
	s_delay_alu instid0(VALU_DEP_1) | instskip(NEXT) | instid1(VALU_DEP_1)
	v_fmaak_f32 v22, s26, v20, 0xbc7a590c
	v_fmaak_f32 v22, v20, v22, 0x3d29fb3f
	s_delay_alu instid0(VALU_DEP_1) | instskip(NEXT) | instid1(VALU_DEP_1)
	v_fmaak_f32 v22, v20, v22, 0xbd97d4d7
	v_fmaak_f32 v22, v20, v22, 0x3dd931b2
	;; [unrolled: 3-line block ×3, first 2 shown]
	s_delay_alu instid0(VALU_DEP_1) | instskip(NEXT) | instid1(VALU_DEP_1)
	v_fmaak_f32 v22, v20, v22, 0xbeaaaa62
	v_mul_f32_e32 v20, v20, v22
	v_cndmask_b32_e64 v22, 0, 0x40490fdb, vcc_lo
	v_cmp_gt_f32_e32 vcc_lo, 0, v13
	s_delay_alu instid0(VALU_DEP_3) | instskip(NEXT) | instid1(VALU_DEP_1)
	v_fmac_f32_e32 v11, v11, v20
	v_sub_f32_e32 v20, 0x3fc90fdb, v11
	s_delay_alu instid0(VALU_DEP_1) | instskip(NEXT) | instid1(VALU_DEP_1)
	v_cndmask_b32_e64 v11, v11, v20, s4
	v_sub_f32_e32 v20, 0x40490fdb, v11
	s_delay_alu instid0(VALU_DEP_1) | instskip(NEXT) | instid1(VALU_DEP_1)
	v_dual_cndmask_b32 v11, v11, v20 :: v_dual_mul_f32 v20, 0.5, v21
	v_cndmask_b32_e64 v13, v11, v22, s5
	s_delay_alu instid0(VALU_DEP_2) | instskip(SKIP_1) | instid1(VALU_DEP_1)
	v_dual_mul_f32 v11, v21, v20 :: v_dual_cndmask_b32 v22, 0x3f490fdb, v17
	s_and_b32 vcc_lo, s9, s8
	v_cndmask_b32_e32 v20, v13, v22, vcc_lo
.LBB193_210:                            ;   in Loop: Header=BB193_145 Depth=1
	s_or_b32 exec_lo, exec_lo, s7
.LBB193_211:                            ;   in Loop: Header=BB193_145 Depth=1
	s_delay_alu instid0(SALU_CYCLE_1)
	s_or_b32 exec_lo, exec_lo, s6
.LBB193_212:                            ;   in Loop: Header=BB193_145 Depth=1
	s_and_not1_saveexec_b32 s6, s28
	s_cbranch_execz .LBB193_214
; %bb.213:                              ;   in Loop: Header=BB193_145 Depth=1
	v_div_scale_f32 v11, null, 0x402df854, 0x402df854, v13
	v_div_scale_f32 v20, null, 0x402df854, 0x402df854, v14
	v_div_scale_f32 v25, vcc_lo, v13, 0x402df854, v13
	s_delay_alu instid0(VALU_DEP_3) | instskip(NEXT) | instid1(VALU_DEP_2)
	v_rcp_f32_e32 v21, v11
	v_rcp_f32_e32 v22, v20
	v_cmp_class_f32_e64 s7, v14, 0x204
	s_waitcnt_depctr 0xfff
	v_fma_f32 v23, -v11, v21, 1.0
	v_fma_f32 v24, -v20, v22, 1.0
	s_delay_alu instid0(VALU_DEP_1) | instskip(SKIP_1) | instid1(VALU_DEP_2)
	v_dual_fmac_f32 v21, v23, v21 :: v_dual_fmac_f32 v22, v24, v22
	v_div_scale_f32 v23, s5, v14, 0x402df854, v14
	v_mul_f32_e32 v24, v25, v21
	s_delay_alu instid0(VALU_DEP_1) | instskip(NEXT) | instid1(VALU_DEP_1)
	v_fma_f32 v27, -v11, v24, v25
	v_fmac_f32_e32 v24, v27, v21
	s_delay_alu instid0(VALU_DEP_1) | instskip(NEXT) | instid1(VALU_DEP_1)
	v_fma_f32 v11, -v11, v24, v25
	v_div_fmas_f32 v11, v11, v21, v24
	v_max_f32_e64 v24, |v13|, |v13|
	v_mul_f32_e32 v26, v23, v22
	s_mov_b32 vcc_lo, s5
	v_cmp_class_f32_e64 s5, v13, 0x204
	v_div_fixup_f32 v11, v11, 0x402df854, v13
	s_delay_alu instid0(VALU_DEP_3) | instskip(NEXT) | instid1(VALU_DEP_1)
	v_fma_f32 v28, -v20, v26, v23
	v_fmac_f32_e32 v26, v28, v22
	s_delay_alu instid0(VALU_DEP_1) | instskip(NEXT) | instid1(VALU_DEP_1)
	v_fma_f32 v20, -v20, v26, v23
	v_div_fmas_f32 v20, v20, v22, v26
	s_delay_alu instid0(VALU_DEP_1) | instskip(NEXT) | instid1(VALU_DEP_1)
	v_div_fixup_f32 v22, v20, 0x402df854, v14
	v_max_f32_e64 v23, |v11|, |v22|
	s_delay_alu instid0(VALU_DEP_1) | instskip(SKIP_1) | instid1(VALU_DEP_2)
	v_cvt_f64_f32_e32 v[20:21], v23
	v_cmp_neq_f32_e32 vcc_lo, 0x7f800000, v23
	v_frexp_exp_i32_f64_e32 v20, v[20:21]
	v_max_f32_e64 v21, |v14|, |v14|
	s_delay_alu instid0(VALU_DEP_1) | instskip(SKIP_1) | instid1(VALU_DEP_2)
	v_max_f32_e32 v25, v24, v21
	v_min_f32_e32 v21, v24, v21
	v_frexp_mant_f32_e32 v26, v25
	v_frexp_exp_i32_f32_e32 v25, v25
	s_delay_alu instid0(VALU_DEP_2) | instskip(SKIP_1) | instid1(VALU_DEP_1)
	v_rcp_f32_e32 v24, v26
	v_sub_nc_u32_e32 v26, 0, v20
	v_ldexp_f32 v22, |v22|, v26
	v_ldexp_f32 v11, |v11|, v26
	s_delay_alu instid0(VALU_DEP_2) | instskip(SKIP_2) | instid1(VALU_DEP_2)
	v_mul_f32_e32 v22, v22, v22
	v_frexp_exp_i32_f32_e32 v27, v21
	v_frexp_mant_f32_e32 v21, v21
	v_sub_nc_u32_e32 v25, v27, v25
	s_delay_alu instid0(TRANS32_DEP_1) | instid1(VALU_DEP_2)
	v_mul_f32_e32 v21, v21, v24
	s_delay_alu instid0(VALU_DEP_1) | instskip(NEXT) | instid1(VALU_DEP_1)
	v_ldexp_f32 v21, v21, v25
	v_dual_fmac_f32 v22, v11, v11 :: v_dual_mul_f32 v11, v21, v21
	s_delay_alu instid0(VALU_DEP_1) | instskip(NEXT) | instid1(VALU_DEP_1)
	v_sqrt_f32_e32 v22, v22
	v_fmaak_f32 v24, s26, v11, 0xbc7a590c
	s_delay_alu instid0(VALU_DEP_1) | instskip(SKIP_2) | instid1(VALU_DEP_1)
	v_fmaak_f32 v24, v11, v24, 0x3d29fb3f
	s_waitcnt_depctr 0xfff
	v_ldexp_f32 v20, v22, v20
	v_cndmask_b32_e32 v20, 0x7f800000, v20, vcc_lo
	s_delay_alu instid0(VALU_DEP_1) | instskip(SKIP_1) | instid1(VALU_DEP_1)
	v_cmp_gt_f32_e32 vcc_lo, 0x800000, v20
	v_cndmask_b32_e64 v23, 1.0, 0x4f800000, vcc_lo
	v_mul_f32_e32 v20, v20, v23
	s_delay_alu instid0(VALU_DEP_1) | instskip(SKIP_2) | instid1(VALU_DEP_2)
	v_log_f32_e32 v20, v20
	v_fmaak_f32 v22, v11, v24, 0xbd97d4d7
	v_cndmask_b32_e64 v24, 0, 0x41b17218, vcc_lo
	v_fmaak_f32 v22, v11, v22, 0x3dd931b2
	s_waitcnt_depctr 0xfff
	v_cmp_gt_f32_e64 vcc_lo, 0x7f800000, |v20|
	v_fmaak_f32 v22, v11, v22, 0xbe1160e6
	s_delay_alu instid0(VALU_DEP_1) | instskip(NEXT) | instid1(VALU_DEP_1)
	v_fmaak_f32 v22, v11, v22, 0x3e4cb8bf
	v_fmaak_f32 v22, v11, v22, 0xbeaaaa62
	s_delay_alu instid0(VALU_DEP_1) | instskip(NEXT) | instid1(VALU_DEP_1)
	v_dual_mul_f32 v11, v11, v22 :: v_dual_mul_f32 v22, 0x3f317217, v20
	v_fmac_f32_e32 v21, v21, v11
	s_delay_alu instid0(VALU_DEP_2) | instskip(NEXT) | instid1(VALU_DEP_2)
	v_fma_f32 v11, 0x3f317217, v20, -v22
	v_sub_f32_e32 v23, 0x3fc90fdb, v21
	s_delay_alu instid0(VALU_DEP_2) | instskip(NEXT) | instid1(VALU_DEP_2)
	v_fmac_f32_e32 v11, 0x3377d1cf, v20
	v_cndmask_b32_e64 v21, v21, v23, s4
	v_cmp_gt_i32_e64 s4, 0, v13
	s_delay_alu instid0(VALU_DEP_3) | instskip(NEXT) | instid1(VALU_DEP_2)
	v_add_f32_e32 v11, v22, v11
	v_cndmask_b32_e64 v23, 0, 0x40490fdb, s4
	v_cmp_gt_f32_e64 s4, 0, v13
	s_delay_alu instid0(VALU_DEP_3) | instskip(SKIP_1) | instid1(VALU_DEP_3)
	v_dual_cndmask_b32 v11, v20, v11 :: v_dual_sub_f32 v22, 0x40490fdb, v21
	v_cmp_eq_f32_e32 vcc_lo, 0, v14
	v_cndmask_b32_e64 v20, 0x3f490fdb, v17, s4
	s_delay_alu instid0(VALU_DEP_3) | instskip(NEXT) | instid1(VALU_DEP_4)
	v_sub_f32_e32 v11, v11, v24
	v_cndmask_b32_e64 v13, v21, v22, s4
	s_delay_alu instid0(VALU_DEP_2) | instskip(NEXT) | instid1(VALU_DEP_2)
	v_add_f32_e32 v11, 1.0, v11
	v_cndmask_b32_e32 v13, v13, v23, vcc_lo
	s_and_b32 vcc_lo, s7, s5
	s_delay_alu instid0(VALU_DEP_1)
	v_cndmask_b32_e32 v20, v13, v20, vcc_lo
.LBB193_214:                            ;   in Loop: Header=BB193_145 Depth=1
	s_or_b32 exec_lo, exec_lo, s6
.LBB193_215:                            ;   in Loop: Header=BB193_145 Depth=1
	s_and_not1_saveexec_b32 s4, s27
	s_cbranch_execz .LBB193_221
; %bb.216:                              ;   in Loop: Header=BB193_145 Depth=1
	v_cmp_ngt_f32_e64 s5, 0x20000000, |v13|
	v_cmp_ngt_f32_e64 s6, 0x20000000, |v14|
                                        ; implicit-def: $vgpr11
	s_delay_alu instid0(VALU_DEP_1) | instskip(NEXT) | instid1(SALU_CYCLE_1)
	s_or_b32 s5, s6, s5
	s_and_saveexec_b32 s6, s5
	s_delay_alu instid0(SALU_CYCLE_1)
	s_xor_b32 s5, exec_lo, s6
; %bb.217:                              ;   in Loop: Header=BB193_145 Depth=1
	v_mul_f32_e32 v11, v13, v13
	s_delay_alu instid0(VALU_DEP_1)
	v_fmac_f32_e32 v11, v14, v14
; %bb.218:                              ;   in Loop: Header=BB193_145 Depth=1
	s_and_not1_saveexec_b32 s5, s5
; %bb.219:                              ;   in Loop: Header=BB193_145 Depth=1
	v_mul_f32_e32 v11, 4.0, v13
	v_mul_f32_e32 v13, 4.0, v14
	s_delay_alu instid0(VALU_DEP_2) | instskip(NEXT) | instid1(VALU_DEP_1)
	v_mul_f32_e32 v11, v11, v11
	v_fmac_f32_e32 v11, v13, v13
	s_delay_alu instid0(VALU_DEP_1)
	v_mul_f32_e32 v11, 0x3d800000, v11
; %bb.220:                              ;   in Loop: Header=BB193_145 Depth=1
	s_or_b32 exec_lo, exec_lo, s5
	s_delay_alu instid0(VALU_DEP_1) | instskip(SKIP_1) | instid1(VALU_DEP_1)
	v_cmp_gt_f32_e32 vcc_lo, 0x800000, v11
	v_cndmask_b32_e64 v13, 1.0, 0x4f800000, vcc_lo
	v_mul_f32_e32 v11, v11, v13
	s_delay_alu instid0(VALU_DEP_1) | instskip(SKIP_2) | instid1(VALU_DEP_1)
	v_log_f32_e32 v11, v11
	s_waitcnt_depctr 0xfff
	v_mul_f32_e32 v13, 0x3f317217, v11
	v_fma_f32 v20, 0x3f317217, v11, -v13
	s_delay_alu instid0(VALU_DEP_1) | instskip(NEXT) | instid1(VALU_DEP_1)
	v_fmac_f32_e32 v20, 0x3377d1cf, v11
	v_add_f32_e32 v13, v13, v20
	v_cndmask_b32_e64 v20, 0, 0x41b17218, vcc_lo
	v_cmp_gt_f32_e64 vcc_lo, 0x7f800000, |v11|
	s_delay_alu instid0(VALU_DEP_3) | instskip(NEXT) | instid1(VALU_DEP_1)
	v_cndmask_b32_e32 v11, v11, v13, vcc_lo
	v_dual_sub_f32 v11, v11, v20 :: v_dual_mov_b32 v20, 0x7fc00000
.LBB193_221:                            ;   in Loop: Header=BB193_145 Depth=1
	s_or_b32 exec_lo, exec_lo, s4
                                        ; implicit-def: $vgpr13
                                        ; implicit-def: $vgpr21
	s_delay_alu instid0(SALU_CYCLE_1)
	s_mov_b32 s4, exec_lo
	v_cmpx_o_f32_e32 v2, v1
	s_xor_b32 s27, exec_lo, s4
	s_cbranch_execz .LBB193_249
; %bb.222:                              ;   in Loop: Header=BB193_145 Depth=1
	v_cmp_lt_f32_e64 s4, |v1|, |v2|
                                        ; implicit-def: $vgpr13
                                        ; implicit-def: $vgpr21
	s_mov_b32 s5, exec_lo
	s_delay_alu instid0(VALU_DEP_1) | instskip(NEXT) | instid1(VALU_DEP_1)
	v_cndmask_b32_e64 v22, |v2|, |v1|, s4
	v_cmpx_nlt_f32_e32 0x77f684df, v22
	s_xor_b32 s28, exec_lo, s5
	s_cbranch_execz .LBB193_246
; %bb.223:                              ;   in Loop: Header=BB193_145 Depth=1
	v_and_b32_e32 v13, 0x7fffffff, v2
                                        ; implicit-def: $vgpr21
	s_mov_b32 s5, exec_lo
	s_delay_alu instid0(VALU_DEP_1) | instskip(NEXT) | instid1(VALU_DEP_1)
	v_cndmask_b32_e64 v23, |v1|, v13, s4
                                        ; implicit-def: $vgpr13
	v_cmpx_neq_f32_e32 1.0, v23
	s_xor_b32 s29, exec_lo, s5
	s_cbranch_execz .LBB193_239
; %bb.224:                              ;   in Loop: Header=BB193_145 Depth=1
	v_max_f32_e32 v13, v22, v22
	v_max_f32_e32 v21, v23, v23
	s_delay_alu instid0(VALU_DEP_1) | instskip(SKIP_1) | instid1(VALU_DEP_2)
	v_min_f32_e32 v24, v21, v13
	v_max_f32_e32 v13, v21, v13
                                        ; implicit-def: $vgpr21
	v_cmp_ngt_f32_e32 vcc_lo, 0x358637bd, v24
	s_delay_alu instid0(VALU_DEP_2) | instskip(NEXT) | instid1(VALU_DEP_1)
	v_cmp_nlt_f32_e64 s5, 0x49742400, v13
                                        ; implicit-def: $vgpr13
	s_and_b32 s5, s5, vcc_lo
	s_delay_alu instid0(SALU_CYCLE_1) | instskip(NEXT) | instid1(SALU_CYCLE_1)
	s_and_saveexec_b32 s6, s5
	s_xor_b32 s30, exec_lo, s6
	s_cbranch_execz .LBB193_236
; %bb.225:                              ;   in Loop: Header=BB193_145 Depth=1
                                        ; implicit-def: $vgpr13
                                        ; implicit-def: $vgpr21
	s_mov_b32 s5, exec_lo
	v_cmpx_le_f32_e32 1.0, v23
	s_xor_b32 s6, exec_lo, s5
	s_cbranch_execz .LBB193_227
; %bb.226:                              ;   in Loop: Header=BB193_145 Depth=1
	v_add_f32_e32 v13, -1.0, v23
	v_add_f32_e32 v21, 1.0, v23
	v_cmp_class_f32_e64 s7, v1, 0x204
	s_delay_alu instid0(VALU_DEP_2) | instskip(NEXT) | instid1(VALU_DEP_1)
	v_mul_f32_e32 v13, v13, v21
	v_fmac_f32_e32 v13, v22, v22
	s_delay_alu instid0(VALU_DEP_1) | instskip(NEXT) | instid1(VALU_DEP_1)
	v_add_f32_e32 v23, 1.0, v13
	v_cvt_f64_f32_e32 v[21:22], v23
	s_delay_alu instid0(VALU_DEP_1) | instskip(SKIP_1) | instid1(VALU_DEP_1)
	v_frexp_exp_i32_f64_e32 v21, v[21:22]
	v_frexp_mant_f32_e32 v22, v23
	v_cmp_gt_f32_e32 vcc_lo, 0x3f2aaaab, v22
	v_add_f32_e32 v22, -1.0, v23
	s_delay_alu instid0(VALU_DEP_1) | instskip(SKIP_1) | instid1(VALU_DEP_1)
	v_sub_f32_e32 v25, v22, v23
	v_subrev_co_ci_u32_e32 v21, vcc_lo, 0, v21, vcc_lo
	v_sub_nc_u32_e32 v24, 0, v21
	v_cvt_f32_i32_e32 v21, v21
	s_delay_alu instid0(VALU_DEP_2) | instskip(NEXT) | instid1(VALU_DEP_1)
	v_ldexp_f32 v23, v23, v24
	v_dual_add_f32 v25, 1.0, v25 :: v_dual_add_f32 v26, 1.0, v23
	v_sub_f32_e32 v22, v13, v22
	v_cmp_eq_f32_e32 vcc_lo, 0x7f800000, v13
	v_cmp_neq_f32_e64 s5, -1.0, v13
	s_delay_alu instid0(VALU_DEP_3) | instskip(NEXT) | instid1(VALU_DEP_1)
	v_add_f32_e32 v22, v22, v25
	v_ldexp_f32 v22, v22, v24
	v_dual_add_f32 v24, -1.0, v23 :: v_dual_add_f32 v25, -1.0, v26
	s_delay_alu instid0(VALU_DEP_1) | instskip(NEXT) | instid1(VALU_DEP_2)
	v_add_f32_e32 v27, 1.0, v24
	v_sub_f32_e32 v25, v23, v25
	s_delay_alu instid0(VALU_DEP_2) | instskip(NEXT) | instid1(VALU_DEP_2)
	v_sub_f32_e32 v23, v23, v27
	v_add_f32_e32 v25, v22, v25
	s_delay_alu instid0(VALU_DEP_2) | instskip(NEXT) | instid1(VALU_DEP_1)
	v_add_f32_e32 v22, v22, v23
	v_add_f32_e32 v28, v24, v22
	s_delay_alu instid0(VALU_DEP_1) | instskip(NEXT) | instid1(VALU_DEP_1)
	v_dual_sub_f32 v24, v28, v24 :: v_dual_add_f32 v27, v26, v25
	v_sub_f32_e32 v22, v22, v24
	s_delay_alu instid0(VALU_DEP_2) | instskip(SKIP_1) | instid1(VALU_DEP_1)
	v_rcp_f32_e32 v23, v27
	v_sub_f32_e32 v26, v27, v26
	v_sub_f32_e32 v25, v25, v26
	s_waitcnt_depctr 0xfff
	v_mul_f32_e32 v29, v28, v23
	s_delay_alu instid0(VALU_DEP_1) | instskip(NEXT) | instid1(VALU_DEP_1)
	v_mul_f32_e32 v30, v27, v29
	v_fma_f32 v26, v29, v27, -v30
	s_delay_alu instid0(VALU_DEP_1) | instskip(NEXT) | instid1(VALU_DEP_1)
	v_fmac_f32_e32 v26, v29, v25
	v_add_f32_e32 v31, v30, v26
	s_delay_alu instid0(VALU_DEP_1) | instskip(SKIP_1) | instid1(VALU_DEP_2)
	v_sub_f32_e32 v32, v28, v31
	v_sub_f32_e32 v24, v31, v30
	;; [unrolled: 1-line block ×3, first 2 shown]
	s_delay_alu instid0(VALU_DEP_2) | instskip(NEXT) | instid1(VALU_DEP_2)
	v_sub_f32_e32 v24, v24, v26
	v_sub_f32_e32 v28, v28, v31
	s_delay_alu instid0(VALU_DEP_1) | instskip(NEXT) | instid1(VALU_DEP_1)
	v_add_f32_e32 v22, v22, v28
	v_add_f32_e32 v22, v24, v22
	s_delay_alu instid0(VALU_DEP_1) | instskip(NEXT) | instid1(VALU_DEP_1)
	v_add_f32_e32 v24, v32, v22
	v_mul_f32_e32 v26, v23, v24
	s_delay_alu instid0(VALU_DEP_1) | instskip(NEXT) | instid1(VALU_DEP_1)
	v_dual_sub_f32 v31, v32, v24 :: v_dual_mul_f32 v28, v27, v26
	v_add_f32_e32 v22, v22, v31
	s_delay_alu instid0(VALU_DEP_2) | instskip(NEXT) | instid1(VALU_DEP_1)
	v_fma_f32 v27, v26, v27, -v28
	v_fmac_f32_e32 v27, v26, v25
	s_delay_alu instid0(VALU_DEP_1) | instskip(NEXT) | instid1(VALU_DEP_1)
	v_add_f32_e32 v25, v28, v27
	v_sub_f32_e32 v30, v24, v25
	s_delay_alu instid0(VALU_DEP_1) | instskip(NEXT) | instid1(VALU_DEP_1)
	v_sub_f32_e32 v24, v24, v30
	v_sub_f32_e32 v24, v24, v25
	s_delay_alu instid0(VALU_DEP_1) | instskip(SKIP_2) | instid1(VALU_DEP_1)
	v_add_f32_e32 v22, v22, v24
	v_add_f32_e32 v24, v29, v26
	v_sub_f32_e32 v28, v25, v28
	v_sub_f32_e32 v25, v28, v27
	v_max_f32_e64 v27, |v2|, |v2|
	s_delay_alu instid0(VALU_DEP_2) | instskip(NEXT) | instid1(VALU_DEP_1)
	v_dual_add_f32 v22, v25, v22 :: v_dual_sub_f32 v25, v24, v29
	v_add_f32_e32 v22, v30, v22
	s_delay_alu instid0(VALU_DEP_2) | instskip(SKIP_1) | instid1(VALU_DEP_3)
	v_sub_f32_e32 v25, v26, v25
	v_mul_f32_e32 v30, 0x3f317218, v21
	v_mul_f32_e32 v22, v23, v22
	s_delay_alu instid0(VALU_DEP_2) | instskip(NEXT) | instid1(VALU_DEP_1)
	v_fma_f32 v31, 0x3f317218, v21, -v30
	v_dual_add_f32 v22, v25, v22 :: v_dual_fmac_f32 v31, 0xb102e308, v21
	s_delay_alu instid0(VALU_DEP_1) | instskip(NEXT) | instid1(VALU_DEP_1)
	v_add_f32_e32 v23, v24, v22
	v_mul_f32_e32 v25, v23, v23
	v_ldexp_f32 v29, v23, 1
	s_delay_alu instid0(VALU_DEP_2) | instskip(SKIP_2) | instid1(VALU_DEP_3)
	v_fmaak_f32 v26, s21, v25, 0x3ecc95a3
	v_mul_f32_e32 v28, v23, v25
	v_sub_f32_e32 v23, v23, v24
	v_fmaak_f32 v25, v25, v26, 0x3f2aaada
	v_max_f32_e64 v26, |v1|, |v1|
	s_delay_alu instid0(VALU_DEP_2) | instskip(NEXT) | instid1(VALU_DEP_2)
	v_dual_sub_f32 v22, v22, v23 :: v_dual_mul_f32 v25, v28, v25
	v_max_f32_e32 v28, v26, v27
	s_delay_alu instid0(VALU_DEP_2) | instskip(NEXT) | instid1(VALU_DEP_3)
	v_ldexp_f32 v22, v22, 1
	v_add_f32_e32 v24, v29, v25
	s_delay_alu instid0(VALU_DEP_1) | instskip(NEXT) | instid1(VALU_DEP_1)
	v_sub_f32_e32 v23, v24, v29
	v_sub_f32_e32 v23, v25, v23
	s_delay_alu instid0(VALU_DEP_1) | instskip(SKIP_4) | instid1(VALU_DEP_4)
	v_add_f32_e32 v21, v22, v23
	v_min_f32_e32 v26, v26, v27
	v_frexp_mant_f32_e32 v27, v28
	v_add_f32_e32 v23, v30, v31
	v_frexp_exp_i32_f32_e32 v28, v28
	v_frexp_mant_f32_e32 v25, v26
	s_delay_alu instid0(VALU_DEP_4) | instskip(NEXT) | instid1(VALU_DEP_3)
	v_rcp_f32_e32 v27, v27
	v_sub_f32_e32 v30, v23, v30
	s_delay_alu instid0(VALU_DEP_1) | instskip(SKIP_2) | instid1(VALU_DEP_1)
	v_sub_f32_e32 v30, v31, v30
	s_waitcnt_depctr 0xfff
	v_dual_mul_f32 v22, v25, v27 :: v_dual_add_f32 v25, v24, v21
	v_sub_f32_e32 v24, v25, v24
	s_delay_alu instid0(VALU_DEP_1) | instskip(SKIP_1) | instid1(VALU_DEP_1)
	v_sub_f32_e32 v21, v21, v24
	v_frexp_exp_i32_f32_e32 v29, v26
	v_sub_nc_u32_e32 v26, v29, v28
	s_delay_alu instid0(VALU_DEP_1) | instskip(NEXT) | instid1(VALU_DEP_1)
	v_ldexp_f32 v22, v22, v26
	v_dual_add_f32 v26, v23, v25 :: v_dual_mul_f32 v27, v22, v22
	s_delay_alu instid0(VALU_DEP_1) | instskip(NEXT) | instid1(VALU_DEP_1)
	v_sub_f32_e32 v28, v26, v23
	v_dual_fmaak_f32 v29, s26, v27, 0xbc7a590c :: v_dual_sub_f32 v32, v26, v28
	v_sub_f32_e32 v24, v25, v28
	v_add_f32_e32 v28, v30, v21
	s_delay_alu instid0(VALU_DEP_3) | instskip(NEXT) | instid1(VALU_DEP_4)
	v_fmaak_f32 v29, v27, v29, 0x3d29fb3f
	v_sub_f32_e32 v23, v23, v32
	s_delay_alu instid0(VALU_DEP_2) | instskip(NEXT) | instid1(VALU_DEP_1)
	v_fmaak_f32 v25, v27, v29, 0xbd97d4d7
	v_dual_add_f32 v23, v24, v23 :: v_dual_fmaak_f32 v24, v27, v25, 0x3dd931b2
	v_sub_f32_e32 v25, v28, v30
	s_delay_alu instid0(VALU_DEP_2) | instskip(NEXT) | instid1(VALU_DEP_1)
	v_add_f32_e32 v23, v28, v23
	v_dual_sub_f32 v28, v28, v25 :: v_dual_add_f32 v29, v26, v23
	v_sub_f32_e32 v21, v21, v25
	s_delay_alu instid0(VALU_DEP_2) | instskip(NEXT) | instid1(VALU_DEP_1)
	v_dual_sub_f32 v25, v30, v28 :: v_dual_sub_f32 v26, v29, v26
	v_add_f32_e32 v21, v21, v25
	s_delay_alu instid0(VALU_DEP_2) | instskip(NEXT) | instid1(VALU_DEP_1)
	v_sub_f32_e32 v23, v23, v26
	v_dual_add_f32 v21, v21, v23 :: v_dual_fmaak_f32 v24, v27, v24, 0xbe1160e6
	s_delay_alu instid0(VALU_DEP_1) | instskip(NEXT) | instid1(VALU_DEP_1)
	v_dual_add_f32 v21, v29, v21 :: v_dual_fmaak_f32 v24, v27, v24, 0x3e4cb8bf
	v_dual_cndmask_b32 v21, v21, v13 :: v_dual_fmaak_f32 v24, v27, v24, 0xbeaaaa62
	v_cmp_gt_i32_e32 vcc_lo, 0, v1
	s_delay_alu instid0(VALU_DEP_2) | instskip(NEXT) | instid1(VALU_DEP_1)
	v_mul_f32_e32 v24, v27, v24
	v_fmac_f32_e32 v22, v22, v24
	s_delay_alu instid0(VALU_DEP_1) | instskip(NEXT) | instid1(VALU_DEP_1)
	v_sub_f32_e32 v23, 0x3fc90fdb, v22
	v_cndmask_b32_e64 v22, v22, v23, s4
	v_cndmask_b32_e64 v23, 0, 0x40490fdb, vcc_lo
	v_cmp_ngt_f32_e32 vcc_lo, -1.0, v13
	s_delay_alu instid0(VALU_DEP_3) | instskip(SKIP_2) | instid1(VALU_DEP_2)
	v_sub_f32_e32 v24, 0x40490fdb, v22
	v_cndmask_b32_e32 v21, 0x7fc00000, v21, vcc_lo
	v_cmp_gt_f32_e32 vcc_lo, 0, v1
	v_cndmask_b32_e64 v1, 0xff800000, v21, s5
	s_delay_alu instid0(VALU_DEP_4)
	v_cndmask_b32_e32 v21, v22, v24, vcc_lo
	v_cndmask_b32_e32 v22, 0x3f490fdb, v17, vcc_lo
	v_cmp_gt_f32_e64 vcc_lo, 0x33800000, |v13|
	v_cmp_class_f32_e64 s5, v2, 0x204
	v_cndmask_b32_e32 v1, v1, v13, vcc_lo
	v_cmp_eq_f32_e32 vcc_lo, 0, v2
	s_delay_alu instid0(VALU_DEP_2) | instskip(SKIP_2) | instid1(VALU_DEP_1)
	v_mul_f32_e32 v13, 0.5, v1
	v_cndmask_b32_e32 v21, v21, v23, vcc_lo
	s_and_b32 vcc_lo, s5, s7
                                        ; implicit-def: $vgpr23
	v_cndmask_b32_e32 v21, v21, v22, vcc_lo
                                        ; implicit-def: $vgpr22
.LBB193_227:                            ;   in Loop: Header=BB193_145 Depth=1
	s_and_not1_saveexec_b32 s31, s6
	s_cbranch_execz .LBB193_235
; %bb.228:                              ;   in Loop: Header=BB193_145 Depth=1
	v_mul_f32_e32 v24, v22, v22
                                        ; implicit-def: $vgpr13
                                        ; implicit-def: $vgpr21
	s_mov_b32 s5, exec_lo
	s_delay_alu instid0(VALU_DEP_1) | instskip(NEXT) | instid1(VALU_DEP_1)
	v_fmac_f32_e32 v24, v23, v23
	v_cmpx_ge_f32_e32 0x3f333333, v24
	s_xor_b32 s6, exec_lo, s5
	s_cbranch_execz .LBB193_230
; %bb.229:                              ;   in Loop: Header=BB193_145 Depth=1
	v_max_f32_e64 v13, |v2|, |v2|
	v_max_f32_e64 v21, |v1|, |v1|
	v_cmp_gt_f32_e32 vcc_lo, 0x800000, v24
	v_cmp_gt_i32_e64 s5, 0, v1
	v_cmp_class_f32_e64 s7, v1, 0x204
	v_cmp_class_f32_e64 s8, v2, 0x204
	v_max_f32_e32 v22, v21, v13
	v_min_f32_e32 v13, v21, v13
	v_cndmask_b32_e64 v25, 0, 0x41b17218, vcc_lo
	s_delay_alu instid0(VALU_DEP_3) | instskip(SKIP_1) | instid1(VALU_DEP_2)
	v_frexp_mant_f32_e32 v23, v22
	v_frexp_exp_i32_f32_e32 v22, v22
	v_rcp_f32_e32 v21, v23
	v_frexp_exp_i32_f32_e32 v23, v13
	v_frexp_mant_f32_e32 v13, v13
	s_delay_alu instid0(VALU_DEP_2) | instskip(SKIP_4) | instid1(VALU_DEP_2)
	v_sub_nc_u32_e32 v22, v23, v22
	v_cndmask_b32_e64 v23, 1.0, 0x4f800000, vcc_lo
	s_waitcnt_depctr 0xfff
	v_mul_f32_e32 v13, v13, v21
	v_mul_f32_e32 v23, v24, v23
	v_ldexp_f32 v13, v13, v22
	s_delay_alu instid0(VALU_DEP_2) | instskip(NEXT) | instid1(VALU_DEP_1)
	v_log_f32_e32 v23, v23
	v_mul_f32_e32 v21, v13, v13
	s_delay_alu instid0(VALU_DEP_1) | instskip(SKIP_3) | instid1(VALU_DEP_1)
	v_fmaak_f32 v22, s26, v21, 0xbc7a590c
	s_waitcnt_depctr 0xfff
	v_cmp_gt_f32_e64 vcc_lo, 0x7f800000, |v23|
	v_fmaak_f32 v22, v21, v22, 0x3d29fb3f
	v_fmaak_f32 v22, v21, v22, 0xbd97d4d7
	s_delay_alu instid0(VALU_DEP_1) | instskip(NEXT) | instid1(VALU_DEP_1)
	v_fmaak_f32 v22, v21, v22, 0x3dd931b2
	v_fmaak_f32 v22, v21, v22, 0xbe1160e6
	s_delay_alu instid0(VALU_DEP_1) | instskip(NEXT) | instid1(VALU_DEP_1)
	;; [unrolled: 3-line block ×3, first 2 shown]
	v_dual_mul_f32 v21, v21, v22 :: v_dual_mul_f32 v22, 0x3f317217, v23
	v_fmac_f32_e32 v13, v13, v21
	s_delay_alu instid0(VALU_DEP_2) | instskip(NEXT) | instid1(VALU_DEP_2)
	v_fma_f32 v21, 0x3f317217, v23, -v22
	v_sub_f32_e32 v24, 0x3fc90fdb, v13
	s_delay_alu instid0(VALU_DEP_2) | instskip(NEXT) | instid1(VALU_DEP_2)
	v_fmac_f32_e32 v21, 0x3377d1cf, v23
	v_cndmask_b32_e64 v13, v13, v24, s4
	s_delay_alu instid0(VALU_DEP_2) | instskip(SKIP_2) | instid1(VALU_DEP_4)
	v_add_f32_e32 v21, v22, v21
	v_cndmask_b32_e64 v22, 0, 0x40490fdb, s5
	v_cmp_eq_f32_e64 s5, 0, v2
	v_sub_f32_e32 v24, 0x40490fdb, v13
	s_delay_alu instid0(VALU_DEP_4) | instskip(SKIP_1) | instid1(VALU_DEP_2)
	v_cndmask_b32_e32 v21, v23, v21, vcc_lo
	v_cmp_gt_f32_e32 vcc_lo, 0, v1
                                        ; implicit-def: $vgpr23
	v_sub_f32_e32 v1, v21, v25
	s_delay_alu instid0(VALU_DEP_4) | instskip(NEXT) | instid1(VALU_DEP_1)
	v_cndmask_b32_e32 v13, v13, v24, vcc_lo
	v_cndmask_b32_e64 v21, v13, v22, s5
	v_cndmask_b32_e32 v22, 0x3f490fdb, v17, vcc_lo
	s_and_b32 vcc_lo, s8, s7
	v_mul_f32_e32 v13, 0.5, v1
	s_delay_alu instid0(VALU_DEP_2)
	v_cndmask_b32_e32 v21, v21, v22, vcc_lo
                                        ; implicit-def: $vgpr22
.LBB193_230:                            ;   in Loop: Header=BB193_145 Depth=1
	s_and_not1_saveexec_b32 s33, s6
	s_cbranch_execz .LBB193_234
; %bb.231:                              ;   in Loop: Header=BB193_145 Depth=1
	v_and_b32_e32 v24, 0x7fff0000, v22
	v_and_b32_e32 v21, 0x7fff0000, v23
	s_mov_b32 s34, 0
	s_delay_alu instid0(VALU_DEP_2) | instskip(NEXT) | instid1(VALU_DEP_2)
	v_sub_f32_e32 v25, v22, v24
	v_dual_mul_f32 v22, v24, v24 :: v_dual_sub_f32 v23, v23, v21
	v_dual_add_f32 v28, v21, v21 :: v_dual_add_f32 v31, v24, v24
	s_delay_alu instid0(VALU_DEP_2) | instskip(NEXT) | instid1(VALU_DEP_4)
	v_and_b32_e32 v26, 0xffff0000, v23
	v_and_b32_e32 v27, 0xffff0000, v25
	s_delay_alu instid0(VALU_DEP_2) | instskip(NEXT) | instid1(VALU_DEP_4)
	v_dual_mul_f32 v13, v21, v21 :: v_dual_sub_f32 v24, v23, v26
	v_mul_f32_e32 v30, v28, v26
	s_delay_alu instid0(VALU_DEP_3)
	v_dual_sub_f32 v32, v25, v27 :: v_dual_mul_f32 v23, v26, v26
	v_add_f32_e32 v25, v26, v26
	v_add_f32_e32 v33, v27, v27
	v_dual_mul_f32 v21, v31, v27 :: v_dual_mul_f32 v26, v28, v24
	v_mul_f32_e32 v29, v27, v27
	v_mul_f32_e32 v28, v31, v32
	;; [unrolled: 1-line block ×6, first 2 shown]
.LBB193_232:                            ;   Parent Loop BB193_145 Depth=1
                                        ; =>  This Inner Loop Header: Depth=2
	v_cmp_nlt_f32_e32 vcc_lo, v13, v22
	s_delay_alu instid0(VALU_DEP_2) | instskip(SKIP_1) | instid1(VALU_DEP_2)
	v_dual_mov_b32 v33, v31 :: v_dual_cndmask_b32 v32, v13, v22
	v_cndmask_b32_e32 v13, v22, v13, vcc_lo
	v_cmp_nlt_f32_e64 s5, v32, v30
	s_delay_alu instid0(VALU_DEP_1) | instskip(SKIP_2) | instid1(VALU_DEP_2)
	v_cndmask_b32_e64 v31, v32, v30, s5
	v_cndmask_b32_e64 v22, v30, v32, s5
	s_and_b32 s35, vcc_lo, s5
	v_cmp_nlt_f32_e64 s6, v31, v21
	s_delay_alu instid0(VALU_DEP_1) | instskip(SKIP_1) | instid1(VALU_DEP_2)
	v_cndmask_b32_e64 v34, v31, v21, s6
	v_cndmask_b32_e64 v30, v21, v31, s6
	v_cmp_nlt_f32_e64 s7, v34, v23
	s_delay_alu instid0(VALU_DEP_1) | instskip(SKIP_2) | instid1(VALU_DEP_2)
	v_cndmask_b32_e64 v32, v34, v23, s7
	v_cndmask_b32_e64 v21, v23, v34, s7
	s_and_b32 s36, s6, s7
	v_cmp_nlt_f32_e64 s8, v32, v29
	s_delay_alu instid0(VALU_DEP_1) | instskip(SKIP_1) | instid1(VALU_DEP_2)
	v_cndmask_b32_e64 v35, v32, v29, s8
	v_cndmask_b32_e64 v23, v29, v32, s8
	v_cmp_nlt_f32_e64 s9, v35, v26
	s_delay_alu instid0(VALU_DEP_1) | instskip(SKIP_2) | instid1(VALU_DEP_2)
	v_cndmask_b32_e64 v36, v35, v26, s9
	s_and_b32 s7, s8, s9
	v_cndmask_b32_e64 v29, v26, v35, s9
	v_cmp_nlt_f32_e64 s10, v36, v28
	s_delay_alu instid0(VALU_DEP_1) | instskip(SKIP_2) | instid1(VALU_DEP_2)
	v_cndmask_b32_e64 v37, v36, v28, s10
	s_and_b32 s7, s7, s10
	v_cndmask_b32_e64 v26, v28, v36, s10
	v_cmp_nlt_f32_e32 vcc_lo, v37, v27
	v_cndmask_b32_e32 v38, v37, v27, vcc_lo
	s_and_b32 s8, s7, vcc_lo
	v_cndmask_b32_e32 v28, v27, v37, vcc_lo
	s_delay_alu instid0(VALU_DEP_2) | instskip(NEXT) | instid1(VALU_DEP_1)
	v_cmp_nlt_f32_e64 s5, v38, v25
	v_cndmask_b32_e64 v34, v38, v25, s5
	s_and_b32 s8, s8, s5
	v_cndmask_b32_e64 v27, v25, v38, s5
	s_delay_alu instid0(VALU_DEP_2) | instskip(NEXT) | instid1(VALU_DEP_1)
	v_cmp_nlt_f32_e64 s6, v34, v24
	v_cndmask_b32_e64 v32, v34, v24, s6
	s_and_b32 s8, s8, s6
	v_cndmask_b32_e64 v25, v24, v34, s6
	s_delay_alu instid0(VALU_DEP_2) | instskip(NEXT) | instid1(VALU_DEP_1)
	v_cmp_nlt_f32_e64 s7, v32, v33
	s_and_b32 s8, s8, s7
	v_cndmask_b32_e64 v31, v32, v33, s7
	s_and_b32 s5, s8, s36
	v_cndmask_b32_e64 v24, v33, v32, s7
	s_and_b32 s5, s5, s35
	s_delay_alu instid0(SALU_CYCLE_1) | instskip(NEXT) | instid1(SALU_CYCLE_1)
	s_and_b32 s5, exec_lo, s5
	s_or_b32 s34, s5, s34
	s_delay_alu instid0(SALU_CYCLE_1)
	s_and_not1_b32 exec_lo, exec_lo, s34
	s_cbranch_execnz .LBB193_232
; %bb.233:                              ;   in Loop: Header=BB193_145 Depth=1
	s_or_b32 exec_lo, exec_lo, s34
	v_add_f32_e32 v13, -1.0, v13
	v_cmp_class_f32_e64 s6, v1, 0x204
	s_delay_alu instid0(VALU_DEP_2) | instskip(NEXT) | instid1(VALU_DEP_1)
	v_add_f32_e32 v13, v13, v22
	v_add_f32_e32 v13, v13, v30
	s_delay_alu instid0(VALU_DEP_1) | instskip(NEXT) | instid1(VALU_DEP_1)
	v_add_f32_e32 v13, v13, v21
	v_add_f32_e32 v13, v13, v23
	s_delay_alu instid0(VALU_DEP_1) | instskip(NEXT) | instid1(VALU_DEP_1)
	;; [unrolled: 3-line block ×5, first 2 shown]
	v_add_f32_e32 v13, v31, v13
	v_add_f32_e32 v23, 1.0, v13
	s_delay_alu instid0(VALU_DEP_1) | instskip(NEXT) | instid1(VALU_DEP_1)
	v_cvt_f64_f32_e32 v[21:22], v23
	v_frexp_exp_i32_f64_e32 v21, v[21:22]
	v_frexp_mant_f32_e32 v22, v23
	s_delay_alu instid0(VALU_DEP_1) | instskip(SKIP_1) | instid1(VALU_DEP_1)
	v_cmp_gt_f32_e32 vcc_lo, 0x3f2aaaab, v22
	v_add_f32_e32 v22, -1.0, v23
	v_dual_sub_f32 v25, v22, v23 :: v_dual_sub_f32 v22, v13, v22
	s_delay_alu instid0(VALU_DEP_1) | instskip(NEXT) | instid1(VALU_DEP_1)
	v_add_f32_e32 v25, 1.0, v25
	v_add_f32_e32 v22, v22, v25
	v_subrev_co_ci_u32_e32 v21, vcc_lo, 0, v21, vcc_lo
	s_delay_alu instid0(VALU_DEP_1) | instskip(SKIP_1) | instid1(VALU_DEP_2)
	v_sub_nc_u32_e32 v24, 0, v21
	v_cvt_f32_i32_e32 v21, v21
	v_ldexp_f32 v23, v23, v24
	v_ldexp_f32 v22, v22, v24
	s_delay_alu instid0(VALU_DEP_2) | instskip(NEXT) | instid1(VALU_DEP_1)
	v_add_f32_e32 v26, 1.0, v23
	v_dual_add_f32 v24, -1.0, v23 :: v_dual_add_f32 v25, -1.0, v26
	s_delay_alu instid0(VALU_DEP_1) | instskip(NEXT) | instid1(VALU_DEP_2)
	v_add_f32_e32 v27, 1.0, v24
	v_sub_f32_e32 v25, v23, v25
	s_delay_alu instid0(VALU_DEP_2) | instskip(NEXT) | instid1(VALU_DEP_2)
	v_sub_f32_e32 v23, v23, v27
	v_add_f32_e32 v25, v22, v25
	s_delay_alu instid0(VALU_DEP_2) | instskip(NEXT) | instid1(VALU_DEP_1)
	v_add_f32_e32 v22, v22, v23
	v_dual_add_f32 v27, v26, v25 :: v_dual_add_f32 v28, v24, v22
	s_delay_alu instid0(VALU_DEP_1) | instskip(SKIP_1) | instid1(VALU_DEP_1)
	v_rcp_f32_e32 v23, v27
	v_sub_f32_e32 v26, v27, v26
	v_dual_sub_f32 v24, v28, v24 :: v_dual_sub_f32 v25, v25, v26
	s_waitcnt_depctr 0xfff
	v_dual_sub_f32 v22, v22, v24 :: v_dual_mul_f32 v29, v28, v23
	s_delay_alu instid0(VALU_DEP_1) | instskip(NEXT) | instid1(VALU_DEP_1)
	v_mul_f32_e32 v30, v27, v29
	v_fma_f32 v26, v29, v27, -v30
	s_delay_alu instid0(VALU_DEP_1) | instskip(NEXT) | instid1(VALU_DEP_1)
	v_fmac_f32_e32 v26, v29, v25
	v_add_f32_e32 v31, v30, v26
	s_delay_alu instid0(VALU_DEP_1) | instskip(SKIP_1) | instid1(VALU_DEP_2)
	v_sub_f32_e32 v32, v28, v31
	v_sub_f32_e32 v24, v31, v30
	;; [unrolled: 1-line block ×3, first 2 shown]
	s_delay_alu instid0(VALU_DEP_2) | instskip(SKIP_2) | instid1(VALU_DEP_4)
	v_sub_f32_e32 v24, v24, v26
	v_cmp_eq_f32_e32 vcc_lo, 0x7f800000, v13
	v_cmp_neq_f32_e64 s5, -1.0, v13
	v_sub_f32_e32 v28, v28, v31
	s_delay_alu instid0(VALU_DEP_1) | instskip(NEXT) | instid1(VALU_DEP_1)
	v_add_f32_e32 v22, v22, v28
	v_add_f32_e32 v22, v24, v22
	s_delay_alu instid0(VALU_DEP_1) | instskip(NEXT) | instid1(VALU_DEP_1)
	v_add_f32_e32 v24, v32, v22
	v_mul_f32_e32 v26, v23, v24
	s_delay_alu instid0(VALU_DEP_1) | instskip(NEXT) | instid1(VALU_DEP_1)
	v_dual_mul_f32 v28, v27, v26 :: v_dual_sub_f32 v31, v32, v24
	v_fma_f32 v27, v26, v27, -v28
	s_delay_alu instid0(VALU_DEP_2) | instskip(NEXT) | instid1(VALU_DEP_2)
	v_add_f32_e32 v22, v22, v31
	v_fmac_f32_e32 v27, v26, v25
	s_delay_alu instid0(VALU_DEP_1) | instskip(NEXT) | instid1(VALU_DEP_1)
	v_add_f32_e32 v25, v28, v27
	v_sub_f32_e32 v30, v24, v25
	s_delay_alu instid0(VALU_DEP_1) | instskip(NEXT) | instid1(VALU_DEP_1)
	v_sub_f32_e32 v24, v24, v30
	v_sub_f32_e32 v24, v24, v25
	s_delay_alu instid0(VALU_DEP_1) | instskip(SKIP_2) | instid1(VALU_DEP_1)
	v_add_f32_e32 v22, v22, v24
	v_add_f32_e32 v24, v29, v26
	v_sub_f32_e32 v28, v25, v28
	v_sub_f32_e32 v25, v28, v27
	v_max_f32_e64 v27, |v2|, |v2|
	s_delay_alu instid0(VALU_DEP_2) | instskip(NEXT) | instid1(VALU_DEP_1)
	v_dual_add_f32 v22, v25, v22 :: v_dual_sub_f32 v25, v24, v29
	v_sub_f32_e32 v25, v26, v25
	s_delay_alu instid0(VALU_DEP_2) | instskip(NEXT) | instid1(VALU_DEP_1)
	v_add_f32_e32 v22, v30, v22
	v_mul_f32_e32 v22, v23, v22
	s_delay_alu instid0(VALU_DEP_1) | instskip(NEXT) | instid1(VALU_DEP_1)
	v_add_f32_e32 v22, v25, v22
	v_add_f32_e32 v23, v24, v22
	s_delay_alu instid0(VALU_DEP_1) | instskip(NEXT) | instid1(VALU_DEP_1)
	v_mul_f32_e32 v25, v23, v23
	v_fmaak_f32 v26, s21, v25, 0x3ecc95a3
	v_mul_f32_e32 v28, v23, v25
	v_ldexp_f32 v29, v23, 1
	v_sub_f32_e32 v23, v23, v24
	s_delay_alu instid0(VALU_DEP_4) | instskip(SKIP_1) | instid1(VALU_DEP_2)
	v_fmaak_f32 v25, v25, v26, 0x3f2aaada
	v_max_f32_e64 v26, |v1|, |v1|
	v_dual_sub_f32 v22, v22, v23 :: v_dual_mul_f32 v25, v28, v25
	s_delay_alu instid0(VALU_DEP_1) | instskip(NEXT) | instid1(VALU_DEP_2)
	v_ldexp_f32 v22, v22, 1
	v_add_f32_e32 v24, v29, v25
	s_delay_alu instid0(VALU_DEP_1) | instskip(NEXT) | instid1(VALU_DEP_1)
	v_dual_max_f32 v28, v26, v27 :: v_dual_sub_f32 v23, v24, v29
	v_dual_mul_f32 v30, 0x3f317218, v21 :: v_dual_sub_f32 v23, v25, v23
	s_delay_alu instid0(VALU_DEP_1) | instskip(SKIP_1) | instid1(VALU_DEP_4)
	v_fma_f32 v31, 0x3f317218, v21, -v30
	v_min_f32_e32 v26, v26, v27
	v_frexp_mant_f32_e32 v27, v28
	v_frexp_exp_i32_f32_e32 v28, v28
	s_delay_alu instid0(VALU_DEP_4) | instskip(NEXT) | instid1(VALU_DEP_4)
	v_fmac_f32_e32 v31, 0xb102e308, v21
	v_frexp_exp_i32_f32_e32 v29, v26
	s_delay_alu instid0(VALU_DEP_4) | instskip(SKIP_2) | instid1(VALU_DEP_3)
	v_rcp_f32_e32 v27, v27
	v_frexp_mant_f32_e32 v25, v26
	v_add_f32_e32 v21, v22, v23
	v_sub_nc_u32_e32 v26, v29, v28
	s_waitcnt_depctr 0xfff
	v_dual_mul_f32 v22, v25, v27 :: v_dual_add_f32 v25, v24, v21
	v_add_f32_e32 v23, v30, v31
	s_delay_alu instid0(VALU_DEP_2) | instskip(NEXT) | instid1(VALU_DEP_3)
	v_ldexp_f32 v22, v22, v26
	v_sub_f32_e32 v24, v25, v24
	s_delay_alu instid0(VALU_DEP_3) | instskip(SKIP_1) | instid1(VALU_DEP_4)
	v_add_f32_e32 v26, v23, v25
	v_sub_f32_e32 v30, v23, v30
	v_mul_f32_e32 v27, v22, v22
	s_delay_alu instid0(VALU_DEP_3) | instskip(NEXT) | instid1(VALU_DEP_1)
	v_dual_sub_f32 v21, v21, v24 :: v_dual_sub_f32 v28, v26, v23
	v_dual_fmaak_f32 v29, s26, v27, 0xbc7a590c :: v_dual_sub_f32 v24, v25, v28
	s_delay_alu instid0(VALU_DEP_1) | instskip(NEXT) | instid1(VALU_DEP_1)
	v_dual_fmaak_f32 v29, v27, v29, 0x3d29fb3f :: v_dual_sub_f32 v32, v26, v28
	v_fmaak_f32 v25, v27, v29, 0xbd97d4d7
	s_delay_alu instid0(VALU_DEP_2) | instskip(NEXT) | instid1(VALU_DEP_1)
	v_sub_f32_e32 v23, v23, v32
	v_dual_sub_f32 v30, v31, v30 :: v_dual_add_f32 v23, v24, v23
	s_delay_alu instid0(VALU_DEP_1) | instskip(NEXT) | instid1(VALU_DEP_1)
	v_add_f32_e32 v28, v30, v21
	v_dual_fmaak_f32 v24, v27, v25, 0x3dd931b2 :: v_dual_add_f32 v23, v28, v23
	s_delay_alu instid0(VALU_DEP_1) | instskip(NEXT) | instid1(VALU_DEP_2)
	v_dual_sub_f32 v25, v28, v30 :: v_dual_fmaak_f32 v24, v27, v24, 0xbe1160e6
	v_add_f32_e32 v29, v26, v23
	s_delay_alu instid0(VALU_DEP_2) | instskip(NEXT) | instid1(VALU_DEP_2)
	v_dual_sub_f32 v21, v21, v25 :: v_dual_fmaak_f32 v24, v27, v24, 0x3e4cb8bf
	v_sub_f32_e32 v26, v29, v26
	s_delay_alu instid0(VALU_DEP_1) | instskip(NEXT) | instid1(VALU_DEP_1)
	v_dual_sub_f32 v28, v28, v25 :: v_dual_sub_f32 v23, v23, v26
	v_sub_f32_e32 v25, v30, v28
	s_delay_alu instid0(VALU_DEP_1) | instskip(NEXT) | instid1(VALU_DEP_1)
	v_dual_fmaak_f32 v24, v27, v24, 0xbeaaaa62 :: v_dual_add_f32 v21, v21, v25
	v_dual_mul_f32 v24, v27, v24 :: v_dual_add_f32 v21, v21, v23
	s_delay_alu instid0(VALU_DEP_1) | instskip(NEXT) | instid1(VALU_DEP_1)
	v_dual_fmac_f32 v22, v22, v24 :: v_dual_add_f32 v21, v29, v21
	v_sub_f32_e32 v23, 0x3fc90fdb, v22
	s_delay_alu instid0(VALU_DEP_2) | instskip(SKIP_1) | instid1(VALU_DEP_3)
	v_cndmask_b32_e32 v21, v21, v13, vcc_lo
	v_cmp_gt_i32_e32 vcc_lo, 0, v1
	v_cndmask_b32_e64 v22, v22, v23, s4
	v_cndmask_b32_e64 v23, 0, 0x40490fdb, vcc_lo
	v_cmp_ngt_f32_e32 vcc_lo, -1.0, v13
	s_delay_alu instid0(VALU_DEP_3) | instskip(SKIP_2) | instid1(VALU_DEP_2)
	v_sub_f32_e32 v24, 0x40490fdb, v22
	v_cndmask_b32_e32 v21, 0x7fc00000, v21, vcc_lo
	v_cmp_gt_f32_e32 vcc_lo, 0, v1
	v_cndmask_b32_e64 v1, 0xff800000, v21, s5
	s_delay_alu instid0(VALU_DEP_4)
	v_cndmask_b32_e32 v21, v22, v24, vcc_lo
	v_cndmask_b32_e32 v22, 0x3f490fdb, v17, vcc_lo
	v_cmp_gt_f32_e64 vcc_lo, 0x33800000, |v13|
	v_cmp_class_f32_e64 s5, v2, 0x204
	v_cndmask_b32_e32 v1, v1, v13, vcc_lo
	v_cmp_eq_f32_e32 vcc_lo, 0, v2
	s_delay_alu instid0(VALU_DEP_2) | instskip(SKIP_2) | instid1(VALU_DEP_1)
	v_mul_f32_e32 v13, 0.5, v1
	v_cndmask_b32_e32 v21, v21, v23, vcc_lo
	s_and_b32 vcc_lo, s5, s6
	v_cndmask_b32_e32 v21, v21, v22, vcc_lo
.LBB193_234:                            ;   in Loop: Header=BB193_145 Depth=1
	s_or_b32 exec_lo, exec_lo, s33
.LBB193_235:                            ;   in Loop: Header=BB193_145 Depth=1
	s_delay_alu instid0(SALU_CYCLE_1)
	s_or_b32 exec_lo, exec_lo, s31
.LBB193_236:                            ;   in Loop: Header=BB193_145 Depth=1
	s_and_not1_saveexec_b32 s6, s30
	s_cbranch_execz .LBB193_238
; %bb.237:                              ;   in Loop: Header=BB193_145 Depth=1
	v_max_f32_e64 v13, |v2|, |v2|
	v_max_f32_e64 v23, |v1|, |v1|
	v_cmp_gt_i32_e64 s5, 0, v1
	v_cmp_class_f32_e64 s7, v1, 0x204
	v_cmp_class_f32_e64 s8, v2, 0x204
	s_delay_alu instid0(VALU_DEP_4) | instskip(SKIP_1) | instid1(VALU_DEP_2)
	v_max_f32_e32 v24, v23, v13
	v_min_f32_e32 v13, v23, v13
	v_cvt_f64_f32_e32 v[21:22], v24
	s_delay_alu instid0(VALU_DEP_2) | instskip(SKIP_1) | instid1(VALU_DEP_3)
	v_frexp_exp_i32_f32_e32 v25, v13
	v_frexp_mant_f32_e32 v13, v13
	v_frexp_exp_i32_f64_e32 v21, v[21:22]
	v_frexp_mant_f32_e32 v22, v24
	s_delay_alu instid0(VALU_DEP_1) | instskip(SKIP_4) | instid1(VALU_DEP_2)
	v_rcp_f32_e32 v22, v22
	s_waitcnt_depctr 0xfff
	v_mul_f32_e32 v13, v13, v22
	v_frexp_exp_i32_f32_e32 v23, v24
	v_cmp_neq_f32_e32 vcc_lo, 0x7f800000, v24
	v_sub_nc_u32_e32 v23, v25, v23
	s_delay_alu instid0(VALU_DEP_1) | instskip(SKIP_1) | instid1(VALU_DEP_1)
	v_ldexp_f32 v13, v13, v23
	v_sub_nc_u32_e32 v26, 0, v21
	v_ldexp_f32 v22, |v2|, v26
	v_ldexp_f32 v23, |v1|, v26
	s_delay_alu instid0(VALU_DEP_2) | instskip(NEXT) | instid1(VALU_DEP_1)
	v_dual_mul_f32 v22, v22, v22 :: v_dual_mul_f32 v25, v13, v13
	v_dual_fmac_f32 v22, v23, v23 :: v_dual_fmaak_f32 v23, s26, v25, 0xbc7a590c
	s_delay_alu instid0(VALU_DEP_1) | instskip(NEXT) | instid1(VALU_DEP_1)
	v_sqrt_f32_e32 v22, v22
	v_fmaak_f32 v23, v25, v23, 0x3d29fb3f
	s_delay_alu instid0(VALU_DEP_1) | instskip(SKIP_3) | instid1(VALU_DEP_2)
	v_fmaak_f32 v23, v25, v23, 0xbd97d4d7
	s_waitcnt_depctr 0xfff
	v_ldexp_f32 v21, v22, v21
	v_fmaak_f32 v22, v25, v23, 0x3dd931b2
	v_cndmask_b32_e32 v21, 0x7f800000, v21, vcc_lo
	s_delay_alu instid0(VALU_DEP_2) | instskip(NEXT) | instid1(VALU_DEP_2)
	v_fmaak_f32 v22, v25, v22, 0xbe1160e6
	v_cmp_gt_f32_e32 vcc_lo, 0x800000, v21
	s_delay_alu instid0(VALU_DEP_2) | instskip(SKIP_1) | instid1(VALU_DEP_2)
	v_fmaak_f32 v22, v25, v22, 0x3e4cb8bf
	v_cndmask_b32_e64 v23, 1.0, 0x4f800000, vcc_lo
	v_fmaak_f32 v22, v25, v22, 0xbeaaaa62
	s_delay_alu instid0(VALU_DEP_2) | instskip(NEXT) | instid1(VALU_DEP_2)
	v_mul_f32_e32 v21, v21, v23
	v_mul_f32_e32 v22, v25, v22
	s_delay_alu instid0(VALU_DEP_2) | instskip(SKIP_2) | instid1(VALU_DEP_1)
	v_log_f32_e32 v21, v21
	s_waitcnt_depctr 0xfff
	v_dual_fmac_f32 v13, v13, v22 :: v_dual_mul_f32 v22, 0x3f317217, v21
	v_sub_f32_e32 v23, 0x3fc90fdb, v13
	s_delay_alu instid0(VALU_DEP_2) | instskip(NEXT) | instid1(VALU_DEP_2)
	v_fma_f32 v24, 0x3f317217, v21, -v22
	v_cndmask_b32_e64 v13, v13, v23, s4
	v_cndmask_b32_e64 v23, 0, 0x40490fdb, s5
	v_cmp_gt_f32_e64 s5, 0, v1
	s_delay_alu instid0(VALU_DEP_3) | instskip(NEXT) | instid1(VALU_DEP_1)
	v_sub_f32_e32 v25, 0x40490fdb, v13
	v_cndmask_b32_e64 v13, v13, v25, s5
	v_fmac_f32_e32 v24, 0x3377d1cf, v21
	s_delay_alu instid0(VALU_DEP_1) | instskip(SKIP_3) | instid1(VALU_DEP_4)
	v_add_f32_e32 v1, v22, v24
	v_cndmask_b32_e64 v24, 0, 0x41b17218, vcc_lo
	v_cmp_gt_f32_e64 vcc_lo, 0x7f800000, |v21|
	v_cndmask_b32_e64 v22, 0x3f490fdb, v17, s5
	v_cndmask_b32_e32 v1, v21, v1, vcc_lo
	v_cmp_eq_f32_e32 vcc_lo, 0, v2
	v_cndmask_b32_e32 v21, v13, v23, vcc_lo
	s_and_b32 vcc_lo, s8, s7
	s_delay_alu instid0(VALU_DEP_3) | instskip(NEXT) | instid1(VALU_DEP_2)
	v_sub_f32_e32 v13, v1, v24
	v_cndmask_b32_e32 v21, v21, v22, vcc_lo
.LBB193_238:                            ;   in Loop: Header=BB193_145 Depth=1
	s_or_b32 exec_lo, exec_lo, s6
                                        ; implicit-def: $vgpr22
.LBB193_239:                            ;   in Loop: Header=BB193_145 Depth=1
	s_and_not1_saveexec_b32 s6, s29
	s_cbranch_execz .LBB193_245
; %bb.240:                              ;   in Loop: Header=BB193_145 Depth=1
                                        ; implicit-def: $vgpr13
                                        ; implicit-def: $vgpr21
	s_mov_b32 s5, exec_lo
	v_cmpx_ngt_f32_e32 0x1fec1e4a, v22
	s_xor_b32 s7, exec_lo, s5
	s_cbranch_execz .LBB193_242
; %bb.241:                              ;   in Loop: Header=BB193_145 Depth=1
	v_mul_f32_e32 v13, v22, v22
	v_cmp_class_f32_e64 s8, v1, 0x204
	v_cmp_gt_f32_e64 s5, 0, v1
	v_cmp_class_f32_e64 s10, v2, 0x204
	s_delay_alu instid0(VALU_DEP_4) | instskip(NEXT) | instid1(VALU_DEP_1)
	v_add_f32_e32 v23, 1.0, v13
	v_cvt_f64_f32_e32 v[21:22], v23
	s_delay_alu instid0(VALU_DEP_1) | instskip(SKIP_1) | instid1(VALU_DEP_1)
	v_frexp_exp_i32_f64_e32 v21, v[21:22]
	v_frexp_mant_f32_e32 v22, v23
	v_cmp_gt_f32_e32 vcc_lo, 0x3f2aaaab, v22
	v_add_f32_e32 v22, -1.0, v23
	v_cmp_gt_f32_e64 s9, 0x33800000, |v13|
	s_delay_alu instid0(VALU_DEP_2) | instskip(SKIP_2) | instid1(VALU_DEP_2)
	v_dual_sub_f32 v25, v22, v23 :: v_dual_sub_f32 v22, v13, v22
	v_subrev_co_ci_u32_e32 v21, vcc_lo, 0, v21, vcc_lo
	v_cmp_gt_i32_e32 vcc_lo, 0, v1
	v_sub_nc_u32_e32 v24, 0, v21
	v_cvt_f32_i32_e32 v21, v21
	s_delay_alu instid0(VALU_DEP_2) | instskip(NEXT) | instid1(VALU_DEP_1)
	v_ldexp_f32 v23, v23, v24
	v_dual_add_f32 v25, 1.0, v25 :: v_dual_add_f32 v26, 1.0, v23
	s_delay_alu instid0(VALU_DEP_1) | instskip(NEXT) | instid1(VALU_DEP_1)
	v_dual_add_f32 v22, v22, v25 :: v_dual_add_f32 v25, -1.0, v26
	v_ldexp_f32 v22, v22, v24
	s_delay_alu instid0(VALU_DEP_2) | instskip(NEXT) | instid1(VALU_DEP_1)
	v_dual_add_f32 v24, -1.0, v23 :: v_dual_sub_f32 v25, v23, v25
	v_add_f32_e32 v27, 1.0, v24
	s_delay_alu instid0(VALU_DEP_2) | instskip(NEXT) | instid1(VALU_DEP_2)
	v_add_f32_e32 v25, v22, v25
	v_sub_f32_e32 v23, v23, v27
	s_delay_alu instid0(VALU_DEP_1) | instskip(NEXT) | instid1(VALU_DEP_1)
	v_add_f32_e32 v22, v22, v23
	v_dual_add_f32 v28, v24, v22 :: v_dual_add_f32 v27, v26, v25
	s_delay_alu instid0(VALU_DEP_1) | instskip(NEXT) | instid1(VALU_DEP_2)
	v_sub_f32_e32 v24, v24, v28
	v_rcp_f32_e32 v23, v27
	v_sub_f32_e32 v26, v26, v27
	s_delay_alu instid0(VALU_DEP_1) | instskip(SKIP_2) | instid1(VALU_DEP_1)
	v_dual_add_f32 v22, v22, v24 :: v_dual_add_f32 v25, v25, v26
	s_waitcnt_depctr 0xfff
	v_mul_f32_e32 v29, v28, v23
	v_mul_f32_e32 v30, v27, v29
	s_delay_alu instid0(VALU_DEP_1) | instskip(NEXT) | instid1(VALU_DEP_1)
	v_fma_f32 v26, v29, v27, -v30
	v_fmac_f32_e32 v26, v29, v25
	s_delay_alu instid0(VALU_DEP_1) | instskip(NEXT) | instid1(VALU_DEP_1)
	v_add_f32_e32 v31, v30, v26
	v_sub_f32_e32 v32, v28, v31
	s_delay_alu instid0(VALU_DEP_1) | instskip(SKIP_1) | instid1(VALU_DEP_2)
	v_sub_f32_e32 v28, v28, v32
	v_sub_f32_e32 v24, v31, v30
	;; [unrolled: 1-line block ×3, first 2 shown]
	s_delay_alu instid0(VALU_DEP_2) | instskip(NEXT) | instid1(VALU_DEP_2)
	v_sub_f32_e32 v24, v24, v26
	v_add_f32_e32 v22, v22, v28
	s_delay_alu instid0(VALU_DEP_1) | instskip(NEXT) | instid1(VALU_DEP_1)
	v_add_f32_e32 v22, v24, v22
	v_add_f32_e32 v24, v32, v22
	s_delay_alu instid0(VALU_DEP_1) | instskip(NEXT) | instid1(VALU_DEP_1)
	v_mul_f32_e32 v26, v23, v24
	v_dual_sub_f32 v31, v32, v24 :: v_dual_mul_f32 v28, v27, v26
	s_delay_alu instid0(VALU_DEP_1) | instskip(NEXT) | instid1(VALU_DEP_2)
	v_add_f32_e32 v22, v22, v31
	v_fma_f32 v27, v26, v27, -v28
	s_delay_alu instid0(VALU_DEP_1) | instskip(NEXT) | instid1(VALU_DEP_1)
	v_fmac_f32_e32 v27, v26, v25
	v_add_f32_e32 v25, v28, v27
	s_delay_alu instid0(VALU_DEP_1) | instskip(SKIP_1) | instid1(VALU_DEP_2)
	v_sub_f32_e32 v30, v24, v25
	v_sub_f32_e32 v28, v25, v28
	;; [unrolled: 1-line block ×3, first 2 shown]
	s_delay_alu instid0(VALU_DEP_1) | instskip(NEXT) | instid1(VALU_DEP_1)
	v_sub_f32_e32 v24, v24, v25
	v_dual_sub_f32 v25, v28, v27 :: v_dual_add_f32 v22, v22, v24
	v_add_f32_e32 v24, v29, v26
	s_delay_alu instid0(VALU_DEP_1) | instskip(NEXT) | instid1(VALU_DEP_1)
	v_dual_add_f32 v22, v25, v22 :: v_dual_sub_f32 v25, v24, v29
	v_add_f32_e32 v22, v30, v22
	s_delay_alu instid0(VALU_DEP_2) | instskip(SKIP_1) | instid1(VALU_DEP_3)
	v_sub_f32_e32 v25, v26, v25
	v_max_f32_e64 v26, |v1|, |v1|
	v_mul_f32_e32 v22, v23, v22
	v_max_f32_e64 v23, |v2|, |v2|
	s_delay_alu instid0(VALU_DEP_2) | instskip(NEXT) | instid1(VALU_DEP_2)
	v_add_f32_e32 v22, v25, v22
	v_max_f32_e32 v28, v26, v23
	v_min_f32_e32 v23, v26, v23
	s_delay_alu instid0(VALU_DEP_3) | instskip(NEXT) | instid1(VALU_DEP_3)
	v_add_f32_e32 v25, v24, v22
	v_frexp_mant_f32_e32 v30, v28
	v_frexp_exp_i32_f32_e32 v26, v28
	s_delay_alu instid0(VALU_DEP_3) | instskip(SKIP_2) | instid1(VALU_DEP_2)
	v_mul_f32_e32 v27, v25, v25
	v_sub_f32_e32 v24, v25, v24
	v_ldexp_f32 v31, v25, 1
	v_dual_fmaak_f32 v29, s21, v27, 0x3ecc95a3 :: v_dual_sub_f32 v22, v22, v24
	s_delay_alu instid0(VALU_DEP_1) | instskip(NEXT) | instid1(VALU_DEP_2)
	v_ldexp_f32 v22, v22, 1
	v_dual_mul_f32 v28, v25, v27 :: v_dual_fmaak_f32 v27, v27, v29, 0x3f2aaada
	v_rcp_f32_e32 v29, v30
	v_frexp_exp_i32_f32_e32 v30, v23
	v_frexp_mant_f32_e32 v23, v23
	s_delay_alu instid0(VALU_DEP_3) | instskip(NEXT) | instid1(VALU_DEP_3)
	v_dual_mul_f32 v27, v28, v27 :: v_dual_mul_f32 v28, 0x3f317218, v21
	v_sub_nc_u32_e32 v26, v30, v26
	s_delay_alu instid0(VALU_DEP_2) | instskip(SKIP_2) | instid1(VALU_DEP_1)
	v_add_f32_e32 v25, v31, v27
	s_waitcnt_depctr 0xfff
	v_mul_f32_e32 v23, v23, v29
	v_ldexp_f32 v23, v23, v26
	v_sub_f32_e32 v24, v25, v31
	v_fma_f32 v26, 0x3f317218, v21, -v28
	s_delay_alu instid0(VALU_DEP_2) | instskip(NEXT) | instid1(VALU_DEP_2)
	v_sub_f32_e32 v24, v27, v24
	v_dual_mul_f32 v27, v23, v23 :: v_dual_fmac_f32 v26, 0xb102e308, v21
	s_delay_alu instid0(VALU_DEP_1) | instskip(NEXT) | instid1(VALU_DEP_1)
	v_dual_add_f32 v21, v22, v24 :: v_dual_fmaak_f32 v22, s26, v27, 0xbc7a590c
	v_dual_add_f32 v24, v28, v26 :: v_dual_add_f32 v29, v25, v21
	s_delay_alu instid0(VALU_DEP_2) | instskip(NEXT) | instid1(VALU_DEP_2)
	v_fmaak_f32 v22, v27, v22, 0x3d29fb3f
	v_add_f32_e32 v30, v24, v29
	s_delay_alu instid0(VALU_DEP_2) | instskip(NEXT) | instid1(VALU_DEP_1)
	v_dual_fmaak_f32 v22, v27, v22, 0xbd97d4d7 :: v_dual_sub_f32 v25, v29, v25
	v_dual_sub_f32 v31, v30, v24 :: v_dual_fmaak_f32 v22, v27, v22, 0x3dd931b2
	s_delay_alu instid0(VALU_DEP_1) | instskip(SKIP_1) | instid1(VALU_DEP_3)
	v_dual_sub_f32 v21, v21, v25 :: v_dual_sub_f32 v32, v30, v31
	v_dual_sub_f32 v25, v29, v31 :: v_dual_sub_f32 v28, v24, v28
	v_fmaak_f32 v22, v27, v22, 0xbe1160e6
	s_delay_alu instid0(VALU_DEP_3) | instskip(NEXT) | instid1(VALU_DEP_3)
	v_sub_f32_e32 v24, v24, v32
	v_sub_f32_e32 v26, v26, v28
	s_delay_alu instid0(VALU_DEP_3) | instskip(NEXT) | instid1(VALU_DEP_3)
	v_fmaak_f32 v22, v27, v22, 0x3e4cb8bf
	v_add_f32_e32 v24, v25, v24
	s_delay_alu instid0(VALU_DEP_3) | instskip(NEXT) | instid1(VALU_DEP_3)
	v_add_f32_e32 v28, v26, v21
	v_fmaak_f32 v22, v27, v22, 0xbeaaaa62
	s_delay_alu instid0(VALU_DEP_2) | instskip(NEXT) | instid1(VALU_DEP_4)
	v_sub_f32_e32 v25, v28, v26
	v_add_f32_e32 v24, v28, v24
	s_delay_alu instid0(VALU_DEP_2) | instskip(NEXT) | instid1(VALU_DEP_1)
	v_dual_mul_f32 v22, v27, v22 :: v_dual_sub_f32 v27, v28, v25
	v_dual_add_f32 v28, v30, v24 :: v_dual_fmac_f32 v23, v23, v22
	s_delay_alu instid0(VALU_DEP_2) | instskip(NEXT) | instid1(VALU_DEP_2)
	v_dual_sub_f32 v21, v21, v25 :: v_dual_sub_f32 v22, v26, v27
	v_dual_sub_f32 v25, v28, v30 :: v_dual_sub_f32 v26, 0x3fc90fdb, v23
	s_delay_alu instid0(VALU_DEP_1) | instskip(NEXT) | instid1(VALU_DEP_2)
	v_dual_add_f32 v21, v21, v22 :: v_dual_sub_f32 v22, v24, v25
	v_cndmask_b32_e64 v23, v23, v26, s4
	v_cndmask_b32_e64 v24, 0, 0x40490fdb, vcc_lo
	v_cmp_eq_f32_e32 vcc_lo, 0x7f800000, v13
	s_delay_alu instid0(VALU_DEP_3) | instskip(SKIP_1) | instid1(VALU_DEP_1)
	v_dual_add_f32 v21, v21, v22 :: v_dual_sub_f32 v22, 0x40490fdb, v23
	s_or_b32 vcc_lo, vcc_lo, s9
	v_add_f32_e32 v1, v28, v21
	s_delay_alu instid0(VALU_DEP_2) | instskip(SKIP_1) | instid1(VALU_DEP_3)
	v_cndmask_b32_e64 v21, v23, v22, s5
	v_cndmask_b32_e64 v22, 0x3f490fdb, v17, s5
	v_cndmask_b32_e32 v1, v1, v13, vcc_lo
	v_cmp_eq_f32_e32 vcc_lo, 0, v2
	s_delay_alu instid0(VALU_DEP_2) | instskip(SKIP_2) | instid1(VALU_DEP_1)
	v_mul_f32_e32 v13, 0.5, v1
	v_cndmask_b32_e32 v21, v21, v24, vcc_lo
	s_and_b32 vcc_lo, s10, s8
	v_cndmask_b32_e32 v21, v21, v22, vcc_lo
                                        ; implicit-def: $vgpr22
.LBB193_242:                            ;   in Loop: Header=BB193_145 Depth=1
	s_and_not1_saveexec_b32 s7, s7
	s_cbranch_execz .LBB193_244
; %bb.243:                              ;   in Loop: Header=BB193_145 Depth=1
	v_max_f32_e64 v13, |v2|, |v2|
	v_max_f32_e64 v21, |v1|, |v1|
	v_cmp_gt_i32_e32 vcc_lo, 0, v1
	v_cmp_eq_f32_e64 s5, 0, v2
	v_cmp_class_f32_e64 s8, v1, 0x204
	v_cmp_class_f32_e64 s9, v2, 0x204
	v_max_f32_e32 v23, v21, v13
	v_min_f32_e32 v13, v21, v13
	s_delay_alu instid0(VALU_DEP_2) | instskip(SKIP_1) | instid1(VALU_DEP_2)
	v_frexp_mant_f32_e32 v24, v23
	v_frexp_exp_i32_f32_e32 v23, v23
	v_rcp_f32_e32 v21, v24
	s_delay_alu instid0(VALU_DEP_3) | instskip(SKIP_1) | instid1(VALU_DEP_2)
	v_frexp_exp_i32_f32_e32 v24, v13
	v_frexp_mant_f32_e32 v13, v13
	v_sub_nc_u32_e32 v23, v24, v23
	s_waitcnt_depctr 0xfff
	v_mul_f32_e32 v13, v13, v21
	s_delay_alu instid0(VALU_DEP_1) | instskip(NEXT) | instid1(VALU_DEP_1)
	v_ldexp_f32 v13, v13, v23
	v_mul_f32_e32 v21, v13, v13
	s_delay_alu instid0(VALU_DEP_1) | instskip(NEXT) | instid1(VALU_DEP_1)
	v_fmaak_f32 v23, s26, v21, 0xbc7a590c
	v_fmaak_f32 v23, v21, v23, 0x3d29fb3f
	s_delay_alu instid0(VALU_DEP_1) | instskip(NEXT) | instid1(VALU_DEP_1)
	v_fmaak_f32 v23, v21, v23, 0xbd97d4d7
	v_fmaak_f32 v23, v21, v23, 0x3dd931b2
	;; [unrolled: 3-line block ×3, first 2 shown]
	s_delay_alu instid0(VALU_DEP_1) | instskip(NEXT) | instid1(VALU_DEP_1)
	v_fmaak_f32 v23, v21, v23, 0xbeaaaa62
	v_mul_f32_e32 v21, v21, v23
	v_cndmask_b32_e64 v23, 0, 0x40490fdb, vcc_lo
	v_cmp_gt_f32_e32 vcc_lo, 0, v1
	s_delay_alu instid0(VALU_DEP_3) | instskip(NEXT) | instid1(VALU_DEP_1)
	v_fmac_f32_e32 v13, v13, v21
	v_sub_f32_e32 v21, 0x3fc90fdb, v13
	s_delay_alu instid0(VALU_DEP_1) | instskip(NEXT) | instid1(VALU_DEP_1)
	v_cndmask_b32_e64 v13, v13, v21, s4
	v_sub_f32_e32 v21, 0x40490fdb, v13
	s_delay_alu instid0(VALU_DEP_1) | instskip(SKIP_1) | instid1(VALU_DEP_2)
	v_cndmask_b32_e32 v13, v13, v21, vcc_lo
	v_mul_f32_e32 v21, 0.5, v22
	v_cndmask_b32_e64 v1, v13, v23, s5
	v_cndmask_b32_e32 v23, 0x3f490fdb, v17, vcc_lo
	s_and_b32 vcc_lo, s9, s8
	s_delay_alu instid0(VALU_DEP_3) | instskip(NEXT) | instid1(VALU_DEP_2)
	v_mul_f32_e32 v13, v22, v21
	v_cndmask_b32_e32 v21, v1, v23, vcc_lo
.LBB193_244:                            ;   in Loop: Header=BB193_145 Depth=1
	s_or_b32 exec_lo, exec_lo, s7
.LBB193_245:                            ;   in Loop: Header=BB193_145 Depth=1
	s_delay_alu instid0(SALU_CYCLE_1)
	s_or_b32 exec_lo, exec_lo, s6
.LBB193_246:                            ;   in Loop: Header=BB193_145 Depth=1
	s_and_not1_saveexec_b32 s6, s28
	s_cbranch_execz .LBB193_248
; %bb.247:                              ;   in Loop: Header=BB193_145 Depth=1
	v_div_scale_f32 v13, null, 0x402df854, 0x402df854, v1
	v_div_scale_f32 v21, null, 0x402df854, 0x402df854, v2
	v_div_scale_f32 v26, vcc_lo, v1, 0x402df854, v1
	s_delay_alu instid0(VALU_DEP_3) | instskip(NEXT) | instid1(VALU_DEP_2)
	v_rcp_f32_e32 v22, v13
	v_rcp_f32_e32 v23, v21
	v_cmp_class_f32_e64 s7, v2, 0x204
	s_waitcnt_depctr 0xfff
	v_fma_f32 v24, -v13, v22, 1.0
	v_fma_f32 v25, -v21, v23, 1.0
	s_delay_alu instid0(VALU_DEP_1) | instskip(SKIP_1) | instid1(VALU_DEP_2)
	v_dual_fmac_f32 v22, v24, v22 :: v_dual_fmac_f32 v23, v25, v23
	v_div_scale_f32 v24, s5, v2, 0x402df854, v2
	v_mul_f32_e32 v25, v26, v22
	s_delay_alu instid0(VALU_DEP_1) | instskip(NEXT) | instid1(VALU_DEP_1)
	v_fma_f32 v28, -v13, v25, v26
	v_fmac_f32_e32 v25, v28, v22
	s_delay_alu instid0(VALU_DEP_1) | instskip(NEXT) | instid1(VALU_DEP_1)
	v_fma_f32 v13, -v13, v25, v26
	v_div_fmas_f32 v13, v13, v22, v25
	v_max_f32_e64 v25, |v1|, |v1|
	v_mul_f32_e32 v27, v24, v23
	s_mov_b32 vcc_lo, s5
	v_cmp_class_f32_e64 s5, v1, 0x204
	v_div_fixup_f32 v13, v13, 0x402df854, v1
	s_delay_alu instid0(VALU_DEP_3) | instskip(NEXT) | instid1(VALU_DEP_1)
	v_fma_f32 v29, -v21, v27, v24
	v_fmac_f32_e32 v27, v29, v23
	s_delay_alu instid0(VALU_DEP_1) | instskip(NEXT) | instid1(VALU_DEP_1)
	v_fma_f32 v21, -v21, v27, v24
	v_div_fmas_f32 v21, v21, v23, v27
	s_delay_alu instid0(VALU_DEP_1) | instskip(NEXT) | instid1(VALU_DEP_1)
	v_div_fixup_f32 v23, v21, 0x402df854, v2
	v_max_f32_e64 v24, |v13|, |v23|
	s_delay_alu instid0(VALU_DEP_1) | instskip(SKIP_1) | instid1(VALU_DEP_2)
	v_cvt_f64_f32_e32 v[21:22], v24
	v_cmp_neq_f32_e32 vcc_lo, 0x7f800000, v24
	v_frexp_exp_i32_f64_e32 v21, v[21:22]
	v_max_f32_e64 v22, |v2|, |v2|
	s_delay_alu instid0(VALU_DEP_1) | instskip(SKIP_1) | instid1(VALU_DEP_2)
	v_max_f32_e32 v26, v25, v22
	v_min_f32_e32 v22, v25, v22
	v_frexp_mant_f32_e32 v27, v26
	v_frexp_exp_i32_f32_e32 v26, v26
	s_delay_alu instid0(VALU_DEP_2) | instskip(SKIP_1) | instid1(VALU_DEP_1)
	v_rcp_f32_e32 v25, v27
	v_sub_nc_u32_e32 v27, 0, v21
	v_ldexp_f32 v23, |v23|, v27
	v_ldexp_f32 v13, |v13|, v27
	s_delay_alu instid0(VALU_DEP_2) | instskip(SKIP_2) | instid1(VALU_DEP_3)
	v_mul_f32_e32 v23, v23, v23
	v_frexp_exp_i32_f32_e32 v28, v22
	v_frexp_mant_f32_e32 v22, v22
	v_fmac_f32_e32 v23, v13, v13
	s_delay_alu instid0(VALU_DEP_3)
	v_sub_nc_u32_e32 v26, v28, v26
	s_delay_alu instid0(TRANS32_DEP_1) | instid1(VALU_DEP_3)
	v_mul_f32_e32 v22, v22, v25
	s_delay_alu instid0(VALU_DEP_3) | instskip(NEXT) | instid1(VALU_DEP_1)
	v_sqrt_f32_e32 v23, v23
	v_ldexp_f32 v22, v22, v26
	s_delay_alu instid0(VALU_DEP_1) | instskip(SKIP_3) | instid1(VALU_DEP_2)
	v_mul_f32_e32 v13, v22, v22
	s_waitcnt_depctr 0xfff
	v_ldexp_f32 v21, v23, v21
	v_fmaak_f32 v25, s26, v13, 0xbc7a590c
	v_cndmask_b32_e32 v21, 0x7f800000, v21, vcc_lo
	s_delay_alu instid0(VALU_DEP_2) | instskip(NEXT) | instid1(VALU_DEP_2)
	v_fmaak_f32 v25, v13, v25, 0x3d29fb3f
	v_cmp_gt_f32_e32 vcc_lo, 0x800000, v21
	s_delay_alu instid0(VALU_DEP_2) | instskip(SKIP_2) | instid1(VALU_DEP_3)
	v_fmaak_f32 v23, v13, v25, 0xbd97d4d7
	v_cndmask_b32_e64 v24, 1.0, 0x4f800000, vcc_lo
	v_cndmask_b32_e64 v25, 0, 0x41b17218, vcc_lo
	v_fmaak_f32 v23, v13, v23, 0x3dd931b2
	s_delay_alu instid0(VALU_DEP_3) | instskip(NEXT) | instid1(VALU_DEP_2)
	v_mul_f32_e32 v21, v21, v24
	v_fmaak_f32 v23, v13, v23, 0xbe1160e6
	s_delay_alu instid0(VALU_DEP_2) | instskip(NEXT) | instid1(VALU_DEP_1)
	v_log_f32_e32 v21, v21
	v_fmaak_f32 v23, v13, v23, 0x3e4cb8bf
	s_delay_alu instid0(VALU_DEP_1) | instskip(SKIP_4) | instid1(VALU_DEP_2)
	v_fmaak_f32 v23, v13, v23, 0xbeaaaa62
	s_waitcnt_depctr 0xfff
	v_cmp_gt_f32_e64 vcc_lo, 0x7f800000, |v21|
	v_mul_f32_e32 v13, v13, v23
	v_mul_f32_e32 v23, 0x3f317217, v21
	v_fmac_f32_e32 v22, v22, v13
	s_delay_alu instid0(VALU_DEP_2) | instskip(NEXT) | instid1(VALU_DEP_2)
	v_fma_f32 v13, 0x3f317217, v21, -v23
	v_sub_f32_e32 v24, 0x3fc90fdb, v22
	s_delay_alu instid0(VALU_DEP_2) | instskip(NEXT) | instid1(VALU_DEP_2)
	v_fmac_f32_e32 v13, 0x3377d1cf, v21
	v_cndmask_b32_e64 v22, v22, v24, s4
	v_cmp_gt_i32_e64 s4, 0, v1
	s_delay_alu instid0(VALU_DEP_3) | instskip(NEXT) | instid1(VALU_DEP_3)
	v_add_f32_e32 v13, v23, v13
	v_sub_f32_e32 v23, 0x40490fdb, v22
	s_delay_alu instid0(VALU_DEP_3) | instskip(SKIP_1) | instid1(VALU_DEP_4)
	v_cndmask_b32_e64 v24, 0, 0x40490fdb, s4
	v_cmp_gt_f32_e64 s4, 0, v1
	v_cndmask_b32_e32 v13, v21, v13, vcc_lo
	v_cmp_eq_f32_e32 vcc_lo, 0, v2
	s_delay_alu instid0(VALU_DEP_3) | instskip(SKIP_1) | instid1(VALU_DEP_4)
	v_cndmask_b32_e64 v1, v22, v23, s4
	v_cndmask_b32_e64 v21, 0x3f490fdb, v17, s4
	v_sub_f32_e32 v13, v13, v25
	s_delay_alu instid0(VALU_DEP_3) | instskip(SKIP_1) | instid1(VALU_DEP_2)
	v_cndmask_b32_e32 v1, v1, v24, vcc_lo
	s_and_b32 vcc_lo, s7, s5
	v_add_f32_e32 v13, 1.0, v13
	s_delay_alu instid0(VALU_DEP_2)
	v_cndmask_b32_e32 v21, v1, v21, vcc_lo
.LBB193_248:                            ;   in Loop: Header=BB193_145 Depth=1
	s_or_b32 exec_lo, exec_lo, s6
.LBB193_249:                            ;   in Loop: Header=BB193_145 Depth=1
	s_and_not1_saveexec_b32 s4, s27
	s_cbranch_execz .LBB193_255
; %bb.250:                              ;   in Loop: Header=BB193_145 Depth=1
	v_cmp_ngt_f32_e64 s5, 0x20000000, |v1|
	v_cmp_ngt_f32_e64 s6, 0x20000000, |v2|
                                        ; implicit-def: $vgpr13
	s_delay_alu instid0(VALU_DEP_1) | instskip(NEXT) | instid1(SALU_CYCLE_1)
	s_or_b32 s5, s6, s5
	s_and_saveexec_b32 s6, s5
	s_delay_alu instid0(SALU_CYCLE_1)
	s_xor_b32 s5, exec_lo, s6
; %bb.251:                              ;   in Loop: Header=BB193_145 Depth=1
	v_mul_f32_e32 v13, v1, v1
	s_delay_alu instid0(VALU_DEP_1)
	v_fmac_f32_e32 v13, v2, v2
; %bb.252:                              ;   in Loop: Header=BB193_145 Depth=1
	s_and_not1_saveexec_b32 s5, s5
; %bb.253:                              ;   in Loop: Header=BB193_145 Depth=1
	v_mul_f32_e32 v1, 4.0, v1
	v_mul_f32_e32 v13, 4.0, v2
	s_delay_alu instid0(VALU_DEP_2) | instskip(NEXT) | instid1(VALU_DEP_1)
	v_mul_f32_e32 v1, v1, v1
	v_fmac_f32_e32 v1, v13, v13
	s_delay_alu instid0(VALU_DEP_1)
	v_mul_f32_e32 v13, 0x3d800000, v1
; %bb.254:                              ;   in Loop: Header=BB193_145 Depth=1
	s_or_b32 exec_lo, exec_lo, s5
	s_delay_alu instid0(VALU_DEP_1) | instskip(SKIP_1) | instid1(VALU_DEP_1)
	v_cmp_gt_f32_e32 vcc_lo, 0x800000, v13
	v_cndmask_b32_e64 v1, 1.0, 0x4f800000, vcc_lo
	v_mul_f32_e32 v1, v13, v1
	s_delay_alu instid0(VALU_DEP_1) | instskip(SKIP_2) | instid1(VALU_DEP_1)
	v_log_f32_e32 v1, v1
	s_waitcnt_depctr 0xfff
	v_mul_f32_e32 v13, 0x3f317217, v1
	v_fma_f32 v21, 0x3f317217, v1, -v13
	s_delay_alu instid0(VALU_DEP_1) | instskip(NEXT) | instid1(VALU_DEP_1)
	v_fmac_f32_e32 v21, 0x3377d1cf, v1
	v_add_f32_e32 v13, v13, v21
	v_cndmask_b32_e64 v21, 0, 0x41b17218, vcc_lo
	v_cmp_gt_f32_e64 vcc_lo, 0x7f800000, |v1|
	s_delay_alu instid0(VALU_DEP_3) | instskip(NEXT) | instid1(VALU_DEP_1)
	v_cndmask_b32_e32 v1, v1, v13, vcc_lo
	v_sub_f32_e32 v13, v1, v21
	v_mov_b32_e32 v21, 0x7fc00000
.LBB193_255:                            ;   in Loop: Header=BB193_145 Depth=1
	s_or_b32 exec_lo, exec_lo, s4
                                        ; implicit-def: $vgpr1
                                        ; implicit-def: $vgpr22
	s_delay_alu instid0(SALU_CYCLE_1)
	s_mov_b32 s4, exec_lo
	v_cmpx_o_f32_e32 v16, v15
	s_xor_b32 s27, exec_lo, s4
	s_cbranch_execnz .LBB193_261
; %bb.256:                              ;   in Loop: Header=BB193_145 Depth=1
	s_and_not1_saveexec_b32 s4, s27
	s_cbranch_execnz .LBB193_288
.LBB193_257:                            ;   in Loop: Header=BB193_145 Depth=1
	s_or_b32 exec_lo, exec_lo, s4
	s_and_saveexec_b32 s4, s0
	s_delay_alu instid0(SALU_CYCLE_1)
	s_xor_b32 s0, exec_lo, s4
	s_cbranch_execnz .LBB193_293
.LBB193_258:                            ;   in Loop: Header=BB193_145 Depth=1
	s_or_b32 exec_lo, exec_lo, s0
	s_and_saveexec_b32 s0, s1
	s_cbranch_execnz .LBB193_294
.LBB193_259:                            ;   in Loop: Header=BB193_145 Depth=1
	s_or_b32 exec_lo, exec_lo, s0
	s_and_saveexec_b32 s0, s2
	s_cbranch_execnz .LBB193_295
.LBB193_260:                            ;   in Loop: Header=BB193_145 Depth=1
	s_or_b32 exec_lo, exec_lo, s0
	s_and_saveexec_b32 s0, s3
	s_cbranch_execz .LBB193_144
	s_branch .LBB193_296
.LBB193_261:                            ;   in Loop: Header=BB193_145 Depth=1
	v_cmp_lt_f32_e64 s4, |v15|, |v16|
                                        ; implicit-def: $vgpr1
                                        ; implicit-def: $vgpr22
	s_mov_b32 s5, exec_lo
	s_delay_alu instid0(VALU_DEP_1) | instskip(NEXT) | instid1(VALU_DEP_1)
	v_cndmask_b32_e64 v23, |v16|, |v15|, s4
	v_cmpx_nlt_f32_e32 0x77f684df, v23
	s_xor_b32 s28, exec_lo, s5
	s_cbranch_execz .LBB193_285
; %bb.262:                              ;   in Loop: Header=BB193_145 Depth=1
	v_and_b32_e32 v1, 0x7fffffff, v16
                                        ; implicit-def: $vgpr22
	s_mov_b32 s5, exec_lo
	s_delay_alu instid0(VALU_DEP_1) | instskip(NEXT) | instid1(VALU_DEP_1)
	v_cndmask_b32_e64 v24, |v15|, v1, s4
                                        ; implicit-def: $vgpr1
	v_cmpx_neq_f32_e32 1.0, v24
	s_xor_b32 s29, exec_lo, s5
	s_cbranch_execz .LBB193_278
; %bb.263:                              ;   in Loop: Header=BB193_145 Depth=1
	v_dual_max_f32 v1, v23, v23 :: v_dual_max_f32 v22, v24, v24
	s_delay_alu instid0(VALU_DEP_1) | instskip(SKIP_1) | instid1(VALU_DEP_2)
	v_min_f32_e32 v25, v22, v1
	v_max_f32_e32 v1, v22, v1
                                        ; implicit-def: $vgpr22
	v_cmp_ngt_f32_e32 vcc_lo, 0x358637bd, v25
	s_delay_alu instid0(VALU_DEP_2) | instskip(NEXT) | instid1(VALU_DEP_1)
	v_cmp_nlt_f32_e64 s5, 0x49742400, v1
                                        ; implicit-def: $vgpr1
	s_and_b32 s5, s5, vcc_lo
	s_delay_alu instid0(SALU_CYCLE_1) | instskip(NEXT) | instid1(SALU_CYCLE_1)
	s_and_saveexec_b32 s6, s5
	s_xor_b32 s30, exec_lo, s6
	s_cbranch_execz .LBB193_275
; %bb.264:                              ;   in Loop: Header=BB193_145 Depth=1
                                        ; implicit-def: $vgpr1
                                        ; implicit-def: $vgpr22
	s_mov_b32 s5, exec_lo
	v_cmpx_le_f32_e32 1.0, v24
	s_xor_b32 s6, exec_lo, s5
	s_cbranch_execz .LBB193_266
; %bb.265:                              ;   in Loop: Header=BB193_145 Depth=1
	v_add_f32_e32 v1, -1.0, v24
	v_add_f32_e32 v22, 1.0, v24
	v_cmp_class_f32_e64 s7, v15, 0x204
	s_delay_alu instid0(VALU_DEP_2) | instskip(NEXT) | instid1(VALU_DEP_1)
	v_mul_f32_e32 v1, v1, v22
	v_fmac_f32_e32 v1, v23, v23
	s_delay_alu instid0(VALU_DEP_1) | instskip(SKIP_1) | instid1(VALU_DEP_2)
	v_add_f32_e32 v24, 1.0, v1
	v_cmp_neq_f32_e64 s5, -1.0, v1
	v_cvt_f64_f32_e32 v[22:23], v24
	s_delay_alu instid0(VALU_DEP_1) | instskip(SKIP_1) | instid1(VALU_DEP_1)
	v_frexp_exp_i32_f64_e32 v22, v[22:23]
	v_frexp_mant_f32_e32 v23, v24
	v_cmp_gt_f32_e32 vcc_lo, 0x3f2aaaab, v23
	v_add_f32_e32 v23, -1.0, v24
	s_delay_alu instid0(VALU_DEP_1) | instskip(NEXT) | instid1(VALU_DEP_1)
	v_dual_sub_f32 v26, v23, v24 :: v_dual_sub_f32 v23, v1, v23
	v_add_f32_e32 v26, 1.0, v26
	s_delay_alu instid0(VALU_DEP_1) | instskip(SKIP_2) | instid1(VALU_DEP_2)
	v_add_f32_e32 v23, v23, v26
	v_subrev_co_ci_u32_e32 v22, vcc_lo, 0, v22, vcc_lo
	v_cmp_eq_f32_e32 vcc_lo, 0x7f800000, v1
	v_sub_nc_u32_e32 v25, 0, v22
	v_cvt_f32_i32_e32 v22, v22
	s_delay_alu instid0(VALU_DEP_2) | instskip(SKIP_1) | instid1(VALU_DEP_2)
	v_ldexp_f32 v24, v24, v25
	v_ldexp_f32 v23, v23, v25
	v_add_f32_e32 v27, 1.0, v24
	s_delay_alu instid0(VALU_DEP_1) | instskip(NEXT) | instid1(VALU_DEP_1)
	v_add_f32_e32 v26, -1.0, v27
	v_dual_sub_f32 v26, v24, v26 :: v_dual_add_f32 v25, -1.0, v24
	s_delay_alu instid0(VALU_DEP_1) | instskip(NEXT) | instid1(VALU_DEP_2)
	v_add_f32_e32 v26, v23, v26
	v_add_f32_e32 v28, 1.0, v25
	s_delay_alu instid0(VALU_DEP_1) | instskip(NEXT) | instid1(VALU_DEP_1)
	v_sub_f32_e32 v24, v24, v28
	v_add_f32_e32 v23, v23, v24
	s_delay_alu instid0(VALU_DEP_1) | instskip(NEXT) | instid1(VALU_DEP_1)
	v_dual_add_f32 v29, v25, v23 :: v_dual_add_f32 v28, v27, v26
	v_sub_f32_e32 v25, v29, v25
	s_delay_alu instid0(VALU_DEP_2) | instskip(SKIP_1) | instid1(VALU_DEP_1)
	v_rcp_f32_e32 v24, v28
	v_sub_f32_e32 v27, v28, v27
	v_dual_sub_f32 v26, v26, v27 :: v_dual_sub_f32 v23, v23, v25
	s_waitcnt_depctr 0xfff
	v_mul_f32_e32 v30, v29, v24
	s_delay_alu instid0(VALU_DEP_1) | instskip(NEXT) | instid1(VALU_DEP_1)
	v_mul_f32_e32 v31, v28, v30
	v_fma_f32 v27, v30, v28, -v31
	s_delay_alu instid0(VALU_DEP_1) | instskip(NEXT) | instid1(VALU_DEP_1)
	v_fmac_f32_e32 v27, v30, v26
	v_add_f32_e32 v32, v31, v27
	s_delay_alu instid0(VALU_DEP_1) | instskip(SKIP_1) | instid1(VALU_DEP_2)
	v_sub_f32_e32 v33, v29, v32
	v_sub_f32_e32 v25, v32, v31
	;; [unrolled: 1-line block ×3, first 2 shown]
	s_delay_alu instid0(VALU_DEP_2) | instskip(NEXT) | instid1(VALU_DEP_2)
	v_sub_f32_e32 v25, v25, v27
	v_sub_f32_e32 v29, v29, v32
	s_delay_alu instid0(VALU_DEP_1) | instskip(NEXT) | instid1(VALU_DEP_1)
	v_add_f32_e32 v23, v23, v29
	v_add_f32_e32 v23, v25, v23
	s_delay_alu instid0(VALU_DEP_1) | instskip(NEXT) | instid1(VALU_DEP_1)
	v_add_f32_e32 v25, v33, v23
	v_mul_f32_e32 v27, v24, v25
	s_delay_alu instid0(VALU_DEP_1) | instskip(NEXT) | instid1(VALU_DEP_1)
	v_dual_sub_f32 v32, v33, v25 :: v_dual_mul_f32 v29, v28, v27
	v_add_f32_e32 v23, v23, v32
	s_delay_alu instid0(VALU_DEP_2) | instskip(NEXT) | instid1(VALU_DEP_1)
	v_fma_f32 v28, v27, v28, -v29
	v_fmac_f32_e32 v28, v27, v26
	s_delay_alu instid0(VALU_DEP_1) | instskip(NEXT) | instid1(VALU_DEP_1)
	v_add_f32_e32 v26, v29, v28
	v_sub_f32_e32 v31, v25, v26
	v_sub_f32_e32 v29, v26, v29
	s_delay_alu instid0(VALU_DEP_2) | instskip(NEXT) | instid1(VALU_DEP_1)
	v_sub_f32_e32 v25, v25, v31
	v_sub_f32_e32 v25, v25, v26
	s_delay_alu instid0(VALU_DEP_3) | instskip(SKIP_1) | instid1(VALU_DEP_3)
	v_sub_f32_e32 v26, v29, v28
	v_max_f32_e64 v28, |v16|, |v16|
	v_add_f32_e32 v23, v23, v25
	v_add_f32_e32 v25, v30, v27
	s_delay_alu instid0(VALU_DEP_1) | instskip(NEXT) | instid1(VALU_DEP_1)
	v_dual_add_f32 v23, v26, v23 :: v_dual_sub_f32 v26, v25, v30
	v_add_f32_e32 v23, v31, v23
	s_delay_alu instid0(VALU_DEP_2) | instskip(SKIP_1) | instid1(VALU_DEP_3)
	v_sub_f32_e32 v26, v27, v26
	v_mul_f32_e32 v31, 0x3f317218, v22
	v_mul_f32_e32 v23, v24, v23
	s_delay_alu instid0(VALU_DEP_2) | instskip(NEXT) | instid1(VALU_DEP_1)
	v_fma_f32 v32, 0x3f317218, v22, -v31
	v_dual_add_f32 v23, v26, v23 :: v_dual_fmac_f32 v32, 0xb102e308, v22
	s_delay_alu instid0(VALU_DEP_1) | instskip(NEXT) | instid1(VALU_DEP_1)
	v_add_f32_e32 v24, v25, v23
	v_mul_f32_e32 v26, v24, v24
	v_ldexp_f32 v30, v24, 1
	s_delay_alu instid0(VALU_DEP_2) | instskip(SKIP_2) | instid1(VALU_DEP_3)
	v_fmaak_f32 v27, s21, v26, 0x3ecc95a3
	v_mul_f32_e32 v29, v24, v26
	v_sub_f32_e32 v24, v24, v25
	v_fmaak_f32 v26, v26, v27, 0x3f2aaada
	v_max_f32_e64 v27, |v15|, |v15|
	s_delay_alu instid0(VALU_DEP_2) | instskip(NEXT) | instid1(VALU_DEP_2)
	v_dual_sub_f32 v23, v23, v24 :: v_dual_mul_f32 v26, v29, v26
	v_max_f32_e32 v29, v27, v28
	v_min_f32_e32 v27, v27, v28
	s_delay_alu instid0(VALU_DEP_3) | instskip(NEXT) | instid1(VALU_DEP_4)
	v_ldexp_f32 v23, v23, 1
	v_add_f32_e32 v25, v30, v26
	s_delay_alu instid0(VALU_DEP_4) | instskip(SKIP_1) | instid1(VALU_DEP_3)
	v_frexp_mant_f32_e32 v28, v29
	v_frexp_exp_i32_f32_e32 v29, v29
	v_sub_f32_e32 v24, v25, v30
	s_delay_alu instid0(VALU_DEP_3) | instskip(SKIP_1) | instid1(VALU_DEP_2)
	v_rcp_f32_e32 v28, v28
	v_frexp_exp_i32_f32_e32 v30, v27
	v_sub_f32_e32 v24, v26, v24
	v_frexp_mant_f32_e32 v26, v27
	s_delay_alu instid0(VALU_DEP_3) | instskip(NEXT) | instid1(VALU_DEP_3)
	v_sub_nc_u32_e32 v27, v30, v29
	v_add_f32_e32 v22, v23, v24
	v_add_f32_e32 v24, v31, v32
	s_delay_alu instid0(VALU_DEP_1) | instskip(NEXT) | instid1(VALU_DEP_1)
	v_sub_f32_e32 v31, v24, v31
	v_sub_f32_e32 v31, v32, v31
	s_delay_alu instid0(TRANS32_DEP_1) | instid1(VALU_DEP_4)
	v_dual_mul_f32 v23, v26, v28 :: v_dual_add_f32 v26, v25, v22
	s_delay_alu instid0(VALU_DEP_1) | instskip(NEXT) | instid1(VALU_DEP_2)
	v_ldexp_f32 v23, v23, v27
	v_add_f32_e32 v27, v24, v26
	s_delay_alu instid0(VALU_DEP_2) | instskip(NEXT) | instid1(VALU_DEP_1)
	v_dual_sub_f32 v25, v26, v25 :: v_dual_mul_f32 v28, v23, v23
	v_dual_sub_f32 v29, v27, v24 :: v_dual_sub_f32 v22, v22, v25
	s_delay_alu instid0(VALU_DEP_1) | instskip(SKIP_1) | instid1(VALU_DEP_3)
	v_dual_fmaak_f32 v30, s26, v28, 0xbc7a590c :: v_dual_sub_f32 v33, v27, v29
	v_sub_f32_e32 v25, v26, v29
	v_add_f32_e32 v29, v31, v22
	s_delay_alu instid0(VALU_DEP_3) | instskip(NEXT) | instid1(VALU_DEP_4)
	v_fmaak_f32 v30, v28, v30, 0x3d29fb3f
	v_sub_f32_e32 v24, v24, v33
	s_delay_alu instid0(VALU_DEP_2) | instskip(NEXT) | instid1(VALU_DEP_1)
	v_fmaak_f32 v26, v28, v30, 0xbd97d4d7
	v_dual_add_f32 v24, v25, v24 :: v_dual_fmaak_f32 v25, v28, v26, 0x3dd931b2
	v_sub_f32_e32 v26, v29, v31
	s_delay_alu instid0(VALU_DEP_2) | instskip(NEXT) | instid1(VALU_DEP_1)
	v_dual_add_f32 v24, v29, v24 :: v_dual_fmaak_f32 v25, v28, v25, 0xbe1160e6
	v_dual_sub_f32 v29, v29, v26 :: v_dual_add_f32 v30, v27, v24
	s_delay_alu instid0(VALU_DEP_2) | instskip(NEXT) | instid1(VALU_DEP_2)
	v_dual_sub_f32 v22, v22, v26 :: v_dual_fmaak_f32 v25, v28, v25, 0x3e4cb8bf
	v_dual_sub_f32 v26, v31, v29 :: v_dual_sub_f32 v27, v30, v27
	s_delay_alu instid0(VALU_DEP_1) | instskip(NEXT) | instid1(VALU_DEP_2)
	v_dual_fmaak_f32 v25, v28, v25, 0xbeaaaa62 :: v_dual_add_f32 v22, v22, v26
	v_sub_f32_e32 v24, v24, v27
	s_delay_alu instid0(VALU_DEP_1) | instskip(NEXT) | instid1(VALU_DEP_1)
	v_dual_mul_f32 v25, v28, v25 :: v_dual_add_f32 v22, v22, v24
	v_dual_fmac_f32 v23, v23, v25 :: v_dual_add_f32 v22, v30, v22
	s_delay_alu instid0(VALU_DEP_1) | instskip(NEXT) | instid1(VALU_DEP_2)
	v_sub_f32_e32 v24, 0x3fc90fdb, v23
	v_cndmask_b32_e32 v22, v22, v1, vcc_lo
	v_cmp_gt_i32_e32 vcc_lo, 0, v15
	s_delay_alu instid0(VALU_DEP_3) | instskip(SKIP_2) | instid1(VALU_DEP_3)
	v_cndmask_b32_e64 v23, v23, v24, s4
	v_cndmask_b32_e64 v24, 0, 0x40490fdb, vcc_lo
	v_cmp_ngt_f32_e32 vcc_lo, -1.0, v1
	v_sub_f32_e32 v25, 0x40490fdb, v23
	v_cndmask_b32_e32 v22, 0x7fc00000, v22, vcc_lo
	v_cmp_gt_f32_e32 vcc_lo, 0, v15
	s_delay_alu instid0(VALU_DEP_2) | instskip(NEXT) | instid1(VALU_DEP_4)
	v_cndmask_b32_e64 v15, 0xff800000, v22, s5
	v_cndmask_b32_e32 v22, v23, v25, vcc_lo
	v_cndmask_b32_e32 v23, 0x3f490fdb, v17, vcc_lo
	v_cmp_gt_f32_e64 vcc_lo, 0x33800000, |v1|
	v_cmp_class_f32_e64 s5, v16, 0x204
	v_cndmask_b32_e32 v1, v15, v1, vcc_lo
	v_cmp_eq_f32_e32 vcc_lo, 0, v16
	s_delay_alu instid0(VALU_DEP_2) | instskip(SKIP_2) | instid1(VALU_DEP_1)
	v_mul_f32_e32 v1, 0.5, v1
	v_cndmask_b32_e32 v15, v22, v24, vcc_lo
	s_and_b32 vcc_lo, s5, s7
                                        ; implicit-def: $vgpr24
	v_cndmask_b32_e32 v22, v15, v23, vcc_lo
                                        ; implicit-def: $vgpr23
.LBB193_266:                            ;   in Loop: Header=BB193_145 Depth=1
	s_and_not1_saveexec_b32 s31, s6
	s_cbranch_execz .LBB193_274
; %bb.267:                              ;   in Loop: Header=BB193_145 Depth=1
	v_mul_f32_e32 v25, v23, v23
                                        ; implicit-def: $vgpr1
                                        ; implicit-def: $vgpr22
	s_mov_b32 s5, exec_lo
	s_delay_alu instid0(VALU_DEP_1) | instskip(NEXT) | instid1(VALU_DEP_1)
	v_fmac_f32_e32 v25, v24, v24
	v_cmpx_ge_f32_e32 0x3f333333, v25
	s_xor_b32 s6, exec_lo, s5
	s_cbranch_execz .LBB193_269
; %bb.268:                              ;   in Loop: Header=BB193_145 Depth=1
	v_max_f32_e64 v1, |v16|, |v16|
	v_max_f32_e64 v22, |v15|, |v15|
	v_cmp_gt_f32_e32 vcc_lo, 0x800000, v25
	v_cmp_gt_i32_e64 s5, 0, v15
	v_cmp_class_f32_e64 s7, v15, 0x204
	v_cmp_class_f32_e64 s8, v16, 0x204
	v_max_f32_e32 v23, v22, v1
	v_min_f32_e32 v1, v22, v1
	v_cndmask_b32_e64 v26, 0, 0x41b17218, vcc_lo
	s_delay_alu instid0(VALU_DEP_3) | instskip(SKIP_1) | instid1(VALU_DEP_2)
	v_frexp_mant_f32_e32 v24, v23
	v_frexp_exp_i32_f32_e32 v23, v23
	v_rcp_f32_e32 v22, v24
	v_frexp_exp_i32_f32_e32 v24, v1
	v_frexp_mant_f32_e32 v1, v1
	s_delay_alu instid0(VALU_DEP_2) | instskip(SKIP_4) | instid1(VALU_DEP_2)
	v_sub_nc_u32_e32 v23, v24, v23
	v_cndmask_b32_e64 v24, 1.0, 0x4f800000, vcc_lo
	s_waitcnt_depctr 0xfff
	v_mul_f32_e32 v1, v1, v22
	v_mul_f32_e32 v24, v25, v24
	v_ldexp_f32 v1, v1, v23
	s_delay_alu instid0(VALU_DEP_2) | instskip(NEXT) | instid1(VALU_DEP_1)
	v_log_f32_e32 v24, v24
	v_mul_f32_e32 v22, v1, v1
	s_delay_alu instid0(VALU_DEP_1) | instskip(SKIP_3) | instid1(VALU_DEP_1)
	v_fmaak_f32 v23, s26, v22, 0xbc7a590c
	s_waitcnt_depctr 0xfff
	v_cmp_gt_f32_e64 vcc_lo, 0x7f800000, |v24|
	v_fmaak_f32 v23, v22, v23, 0x3d29fb3f
	v_fmaak_f32 v23, v22, v23, 0xbd97d4d7
	s_delay_alu instid0(VALU_DEP_1) | instskip(NEXT) | instid1(VALU_DEP_1)
	v_fmaak_f32 v23, v22, v23, 0x3dd931b2
	v_fmaak_f32 v23, v22, v23, 0xbe1160e6
	s_delay_alu instid0(VALU_DEP_1) | instskip(NEXT) | instid1(VALU_DEP_1)
	v_fmaak_f32 v23, v22, v23, 0x3e4cb8bf
	v_fmaak_f32 v23, v22, v23, 0xbeaaaa62
	s_delay_alu instid0(VALU_DEP_1) | instskip(NEXT) | instid1(VALU_DEP_1)
	v_dual_mul_f32 v22, v22, v23 :: v_dual_mul_f32 v23, 0x3f317217, v24
	v_fmac_f32_e32 v1, v1, v22
	s_delay_alu instid0(VALU_DEP_2) | instskip(NEXT) | instid1(VALU_DEP_1)
	v_fma_f32 v22, 0x3f317217, v24, -v23
	v_fmac_f32_e32 v22, 0x3377d1cf, v24
	s_delay_alu instid0(VALU_DEP_1) | instskip(NEXT) | instid1(VALU_DEP_1)
	v_dual_sub_f32 v25, 0x3fc90fdb, v1 :: v_dual_add_f32 v22, v23, v22
	v_cndmask_b32_e64 v1, v1, v25, s4
	v_cndmask_b32_e64 v23, 0, 0x40490fdb, s5
	v_cmp_eq_f32_e64 s5, 0, v16
	s_delay_alu instid0(VALU_DEP_3) | instskip(SKIP_1) | instid1(VALU_DEP_2)
	v_dual_cndmask_b32 v22, v24, v22 :: v_dual_sub_f32 v25, 0x40490fdb, v1
	v_cmp_gt_f32_e32 vcc_lo, 0, v15
                                        ; implicit-def: $vgpr24
	v_sub_f32_e32 v15, v22, v26
	s_delay_alu instid0(VALU_DEP_3) | instskip(NEXT) | instid1(VALU_DEP_1)
	v_cndmask_b32_e32 v1, v1, v25, vcc_lo
	v_cndmask_b32_e64 v22, v1, v23, s5
	v_cndmask_b32_e32 v23, 0x3f490fdb, v17, vcc_lo
	s_and_b32 vcc_lo, s8, s7
	v_mul_f32_e32 v1, 0.5, v15
	s_delay_alu instid0(VALU_DEP_2)
	v_cndmask_b32_e32 v22, v22, v23, vcc_lo
                                        ; implicit-def: $vgpr23
.LBB193_269:                            ;   in Loop: Header=BB193_145 Depth=1
	s_and_not1_saveexec_b32 s33, s6
	s_cbranch_execz .LBB193_273
; %bb.270:                              ;   in Loop: Header=BB193_145 Depth=1
	v_and_b32_e32 v25, 0x7fff0000, v23
	v_and_b32_e32 v22, 0x7fff0000, v24
	s_mov_b32 s34, 0
	s_delay_alu instid0(VALU_DEP_2) | instskip(SKIP_1) | instid1(VALU_DEP_3)
	v_sub_f32_e32 v26, v23, v25
	v_mul_f32_e32 v23, v25, v25
	v_mul_f32_e32 v1, v22, v22
	v_sub_f32_e32 v24, v24, v22
	s_delay_alu instid0(VALU_DEP_1) | instskip(NEXT) | instid1(VALU_DEP_1)
	v_dual_add_f32 v32, v25, v25 :: v_dual_and_b32 v27, 0xffff0000, v24
	v_dual_sub_f32 v25, v24, v27 :: v_dual_and_b32 v28, 0xffff0000, v26
	s_delay_alu instid0(VALU_DEP_1) | instskip(SKIP_2) | instid1(VALU_DEP_3)
	v_dual_add_f32 v29, v22, v22 :: v_dual_mul_f32 v22, v32, v28
	v_dual_sub_f32 v33, v26, v28 :: v_dual_mul_f32 v24, v27, v27
	v_add_f32_e32 v26, v27, v27
	v_dual_mul_f32 v31, v29, v27 :: v_dual_add_f32 v34, v28, v28
	v_dual_mul_f32 v30, v28, v28 :: v_dual_mul_f32 v27, v29, v25
	s_delay_alu instid0(VALU_DEP_4) | instskip(NEXT) | instid1(VALU_DEP_4)
	v_mul_f32_e32 v29, v32, v33
	v_mul_f32_e32 v28, v26, v25
	;; [unrolled: 1-line block ×5, first 2 shown]
.LBB193_271:                            ;   Parent Loop BB193_145 Depth=1
                                        ; =>  This Inner Loop Header: Depth=2
	v_cmp_nlt_f32_e32 vcc_lo, v1, v23
	s_delay_alu instid0(VALU_DEP_2) | instskip(SKIP_1) | instid1(VALU_DEP_2)
	v_dual_mov_b32 v34, v32 :: v_dual_cndmask_b32 v33, v1, v23
	v_cndmask_b32_e32 v1, v23, v1, vcc_lo
	v_cmp_nlt_f32_e64 s5, v33, v31
	s_delay_alu instid0(VALU_DEP_1) | instskip(SKIP_2) | instid1(VALU_DEP_2)
	v_cndmask_b32_e64 v32, v33, v31, s5
	v_cndmask_b32_e64 v23, v31, v33, s5
	s_and_b32 s35, vcc_lo, s5
	v_cmp_nlt_f32_e64 s6, v32, v22
	s_delay_alu instid0(VALU_DEP_1) | instskip(SKIP_1) | instid1(VALU_DEP_2)
	v_cndmask_b32_e64 v35, v32, v22, s6
	v_cndmask_b32_e64 v31, v22, v32, s6
	v_cmp_nlt_f32_e64 s7, v35, v24
	s_delay_alu instid0(VALU_DEP_1) | instskip(SKIP_2) | instid1(VALU_DEP_2)
	v_cndmask_b32_e64 v33, v35, v24, s7
	v_cndmask_b32_e64 v22, v24, v35, s7
	s_and_b32 s36, s6, s7
	v_cmp_nlt_f32_e64 s8, v33, v30
	s_delay_alu instid0(VALU_DEP_1) | instskip(SKIP_1) | instid1(VALU_DEP_2)
	v_cndmask_b32_e64 v36, v33, v30, s8
	v_cndmask_b32_e64 v24, v30, v33, s8
	v_cmp_nlt_f32_e64 s9, v36, v27
	s_delay_alu instid0(VALU_DEP_1) | instskip(SKIP_2) | instid1(VALU_DEP_2)
	v_cndmask_b32_e64 v37, v36, v27, s9
	s_and_b32 s7, s8, s9
	v_cndmask_b32_e64 v30, v27, v36, s9
	v_cmp_nlt_f32_e64 s10, v37, v29
	s_delay_alu instid0(VALU_DEP_1) | instskip(SKIP_2) | instid1(VALU_DEP_2)
	v_cndmask_b32_e64 v38, v37, v29, s10
	s_and_b32 s7, s7, s10
	v_cndmask_b32_e64 v27, v29, v37, s10
	v_cmp_nlt_f32_e32 vcc_lo, v38, v28
	v_cndmask_b32_e32 v39, v38, v28, vcc_lo
	s_and_b32 s8, s7, vcc_lo
	v_cndmask_b32_e32 v29, v28, v38, vcc_lo
	s_delay_alu instid0(VALU_DEP_2) | instskip(NEXT) | instid1(VALU_DEP_1)
	v_cmp_nlt_f32_e64 s5, v39, v26
	v_cndmask_b32_e64 v35, v39, v26, s5
	s_and_b32 s8, s8, s5
	v_cndmask_b32_e64 v28, v26, v39, s5
	s_delay_alu instid0(VALU_DEP_2) | instskip(NEXT) | instid1(VALU_DEP_1)
	v_cmp_nlt_f32_e64 s6, v35, v25
	v_cndmask_b32_e64 v33, v35, v25, s6
	s_and_b32 s8, s8, s6
	v_cndmask_b32_e64 v26, v25, v35, s6
	s_delay_alu instid0(VALU_DEP_2) | instskip(NEXT) | instid1(VALU_DEP_1)
	v_cmp_nlt_f32_e64 s7, v33, v34
	s_and_b32 s8, s8, s7
	v_cndmask_b32_e64 v32, v33, v34, s7
	s_and_b32 s5, s8, s36
	v_cndmask_b32_e64 v25, v34, v33, s7
	s_and_b32 s5, s5, s35
	s_delay_alu instid0(SALU_CYCLE_1) | instskip(NEXT) | instid1(SALU_CYCLE_1)
	s_and_b32 s5, exec_lo, s5
	s_or_b32 s34, s5, s34
	s_delay_alu instid0(SALU_CYCLE_1)
	s_and_not1_b32 exec_lo, exec_lo, s34
	s_cbranch_execnz .LBB193_271
; %bb.272:                              ;   in Loop: Header=BB193_145 Depth=1
	s_or_b32 exec_lo, exec_lo, s34
	v_add_f32_e32 v1, -1.0, v1
	v_cmp_class_f32_e64 s6, v15, 0x204
	s_delay_alu instid0(VALU_DEP_2) | instskip(NEXT) | instid1(VALU_DEP_1)
	v_add_f32_e32 v1, v1, v23
	v_add_f32_e32 v1, v1, v31
	s_delay_alu instid0(VALU_DEP_1) | instskip(NEXT) | instid1(VALU_DEP_1)
	v_add_f32_e32 v1, v1, v22
	v_add_f32_e32 v1, v1, v24
	s_delay_alu instid0(VALU_DEP_1) | instskip(NEXT) | instid1(VALU_DEP_1)
	;; [unrolled: 3-line block ×5, first 2 shown]
	v_add_f32_e32 v1, v32, v1
	v_add_f32_e32 v24, 1.0, v1
	s_delay_alu instid0(VALU_DEP_1) | instskip(NEXT) | instid1(VALU_DEP_1)
	v_cvt_f64_f32_e32 v[22:23], v24
	v_frexp_exp_i32_f64_e32 v22, v[22:23]
	v_frexp_mant_f32_e32 v23, v24
	s_delay_alu instid0(VALU_DEP_1) | instskip(SKIP_1) | instid1(VALU_DEP_1)
	v_cmp_gt_f32_e32 vcc_lo, 0x3f2aaaab, v23
	v_add_f32_e32 v23, -1.0, v24
	v_dual_sub_f32 v26, v23, v24 :: v_dual_sub_f32 v23, v1, v23
	s_delay_alu instid0(VALU_DEP_1) | instskip(NEXT) | instid1(VALU_DEP_1)
	v_add_f32_e32 v26, 1.0, v26
	v_add_f32_e32 v23, v23, v26
	v_subrev_co_ci_u32_e32 v22, vcc_lo, 0, v22, vcc_lo
	s_delay_alu instid0(VALU_DEP_1) | instskip(SKIP_1) | instid1(VALU_DEP_2)
	v_sub_nc_u32_e32 v25, 0, v22
	v_cvt_f32_i32_e32 v22, v22
	v_ldexp_f32 v24, v24, v25
	v_ldexp_f32 v23, v23, v25
	s_delay_alu instid0(VALU_DEP_2) | instskip(NEXT) | instid1(VALU_DEP_1)
	v_add_f32_e32 v27, 1.0, v24
	v_dual_add_f32 v25, -1.0, v24 :: v_dual_add_f32 v26, -1.0, v27
	s_delay_alu instid0(VALU_DEP_1) | instskip(NEXT) | instid1(VALU_DEP_2)
	v_add_f32_e32 v28, 1.0, v25
	v_sub_f32_e32 v26, v24, v26
	s_delay_alu instid0(VALU_DEP_2) | instskip(NEXT) | instid1(VALU_DEP_2)
	v_sub_f32_e32 v24, v24, v28
	v_add_f32_e32 v26, v23, v26
	s_delay_alu instid0(VALU_DEP_2) | instskip(NEXT) | instid1(VALU_DEP_1)
	v_add_f32_e32 v23, v23, v24
	v_dual_add_f32 v28, v27, v26 :: v_dual_add_f32 v29, v25, v23
	s_delay_alu instid0(VALU_DEP_1) | instskip(SKIP_1) | instid1(VALU_DEP_1)
	v_rcp_f32_e32 v24, v28
	v_sub_f32_e32 v27, v28, v27
	v_dual_sub_f32 v25, v29, v25 :: v_dual_sub_f32 v26, v26, v27
	s_waitcnt_depctr 0xfff
	v_dual_sub_f32 v23, v23, v25 :: v_dual_mul_f32 v30, v29, v24
	v_cmp_eq_f32_e32 vcc_lo, 0x7f800000, v1
	v_cmp_neq_f32_e64 s5, -1.0, v1
	s_delay_alu instid0(VALU_DEP_3) | instskip(NEXT) | instid1(VALU_DEP_1)
	v_mul_f32_e32 v31, v28, v30
	v_fma_f32 v27, v30, v28, -v31
	s_delay_alu instid0(VALU_DEP_1) | instskip(NEXT) | instid1(VALU_DEP_1)
	v_fmac_f32_e32 v27, v30, v26
	v_add_f32_e32 v32, v31, v27
	s_delay_alu instid0(VALU_DEP_1) | instskip(SKIP_1) | instid1(VALU_DEP_2)
	v_sub_f32_e32 v33, v29, v32
	v_sub_f32_e32 v25, v32, v31
	v_sub_f32_e32 v29, v29, v33
	s_delay_alu instid0(VALU_DEP_2) | instskip(NEXT) | instid1(VALU_DEP_2)
	v_sub_f32_e32 v25, v25, v27
	v_sub_f32_e32 v29, v29, v32
	s_delay_alu instid0(VALU_DEP_1) | instskip(NEXT) | instid1(VALU_DEP_1)
	v_add_f32_e32 v23, v23, v29
	v_add_f32_e32 v23, v25, v23
	s_delay_alu instid0(VALU_DEP_1) | instskip(NEXT) | instid1(VALU_DEP_1)
	v_add_f32_e32 v25, v33, v23
	v_mul_f32_e32 v27, v24, v25
	s_delay_alu instid0(VALU_DEP_1) | instskip(NEXT) | instid1(VALU_DEP_1)
	v_dual_sub_f32 v32, v33, v25 :: v_dual_mul_f32 v29, v28, v27
	v_add_f32_e32 v23, v23, v32
	s_delay_alu instid0(VALU_DEP_2) | instskip(NEXT) | instid1(VALU_DEP_1)
	v_fma_f32 v28, v27, v28, -v29
	v_fmac_f32_e32 v28, v27, v26
	s_delay_alu instid0(VALU_DEP_1) | instskip(NEXT) | instid1(VALU_DEP_1)
	v_add_f32_e32 v26, v29, v28
	v_sub_f32_e32 v31, v25, v26
	v_sub_f32_e32 v29, v26, v29
	s_delay_alu instid0(VALU_DEP_2) | instskip(NEXT) | instid1(VALU_DEP_1)
	v_sub_f32_e32 v25, v25, v31
	v_sub_f32_e32 v25, v25, v26
	s_delay_alu instid0(VALU_DEP_3) | instskip(SKIP_1) | instid1(VALU_DEP_3)
	v_sub_f32_e32 v26, v29, v28
	v_max_f32_e64 v28, |v16|, |v16|
	v_add_f32_e32 v23, v23, v25
	v_add_f32_e32 v25, v30, v27
	s_delay_alu instid0(VALU_DEP_1) | instskip(NEXT) | instid1(VALU_DEP_1)
	v_dual_add_f32 v23, v26, v23 :: v_dual_sub_f32 v26, v25, v30
	v_add_f32_e32 v23, v31, v23
	s_delay_alu instid0(VALU_DEP_2) | instskip(SKIP_1) | instid1(VALU_DEP_3)
	v_sub_f32_e32 v26, v27, v26
	v_mul_f32_e32 v31, 0x3f317218, v22
	v_mul_f32_e32 v23, v24, v23
	s_delay_alu instid0(VALU_DEP_2) | instskip(NEXT) | instid1(VALU_DEP_1)
	v_fma_f32 v32, 0x3f317218, v22, -v31
	v_dual_add_f32 v23, v26, v23 :: v_dual_fmac_f32 v32, 0xb102e308, v22
	s_delay_alu instid0(VALU_DEP_1) | instskip(NEXT) | instid1(VALU_DEP_1)
	v_add_f32_e32 v24, v25, v23
	v_mul_f32_e32 v26, v24, v24
	v_ldexp_f32 v30, v24, 1
	s_delay_alu instid0(VALU_DEP_2) | instskip(SKIP_2) | instid1(VALU_DEP_3)
	v_fmaak_f32 v27, s21, v26, 0x3ecc95a3
	v_mul_f32_e32 v29, v24, v26
	v_sub_f32_e32 v24, v24, v25
	v_fmaak_f32 v26, v26, v27, 0x3f2aaada
	v_max_f32_e64 v27, |v15|, |v15|
	s_delay_alu instid0(VALU_DEP_2) | instskip(NEXT) | instid1(VALU_DEP_2)
	v_dual_sub_f32 v23, v23, v24 :: v_dual_mul_f32 v26, v29, v26
	v_max_f32_e32 v29, v27, v28
	v_min_f32_e32 v27, v27, v28
	s_delay_alu instid0(VALU_DEP_3) | instskip(NEXT) | instid1(VALU_DEP_4)
	v_ldexp_f32 v23, v23, 1
	v_add_f32_e32 v25, v30, v26
	s_delay_alu instid0(VALU_DEP_4) | instskip(SKIP_1) | instid1(VALU_DEP_3)
	v_frexp_mant_f32_e32 v28, v29
	v_frexp_exp_i32_f32_e32 v29, v29
	v_sub_f32_e32 v24, v25, v30
	s_delay_alu instid0(VALU_DEP_3) | instskip(SKIP_1) | instid1(VALU_DEP_2)
	v_rcp_f32_e32 v28, v28
	v_frexp_exp_i32_f32_e32 v30, v27
	v_sub_f32_e32 v24, v26, v24
	v_frexp_mant_f32_e32 v26, v27
	s_delay_alu instid0(VALU_DEP_3) | instskip(NEXT) | instid1(VALU_DEP_3)
	v_sub_nc_u32_e32 v27, v30, v29
	v_add_f32_e32 v22, v23, v24
	s_waitcnt_depctr 0xfff
	v_mul_f32_e32 v23, v26, v28
	v_add_f32_e32 v24, v31, v32
	v_add_f32_e32 v26, v25, v22
	s_delay_alu instid0(VALU_DEP_3) | instskip(NEXT) | instid1(VALU_DEP_3)
	v_ldexp_f32 v23, v23, v27
	v_sub_f32_e32 v31, v24, v31
	s_delay_alu instid0(VALU_DEP_2) | instskip(SKIP_1) | instid1(VALU_DEP_3)
	v_dual_add_f32 v27, v24, v26 :: v_dual_mul_f32 v28, v23, v23
	v_sub_f32_e32 v25, v26, v25
	v_sub_f32_e32 v31, v32, v31
	s_delay_alu instid0(VALU_DEP_3) | instskip(NEXT) | instid1(VALU_DEP_4)
	v_sub_f32_e32 v29, v27, v24
	v_fmaak_f32 v30, s26, v28, 0xbc7a590c
	s_delay_alu instid0(VALU_DEP_4) | instskip(NEXT) | instid1(VALU_DEP_2)
	v_sub_f32_e32 v22, v22, v25
	v_dual_sub_f32 v33, v27, v29 :: v_dual_fmaak_f32 v30, v28, v30, 0x3d29fb3f
	v_sub_f32_e32 v25, v26, v29
	s_delay_alu instid0(VALU_DEP_2) | instskip(NEXT) | instid1(VALU_DEP_3)
	v_dual_add_f32 v29, v31, v22 :: v_dual_sub_f32 v24, v24, v33
	v_fmaak_f32 v26, v28, v30, 0xbd97d4d7
	s_delay_alu instid0(VALU_DEP_1) | instskip(NEXT) | instid1(VALU_DEP_3)
	v_dual_add_f32 v24, v25, v24 :: v_dual_fmaak_f32 v25, v28, v26, 0x3dd931b2
	v_sub_f32_e32 v26, v29, v31
	s_delay_alu instid0(VALU_DEP_2) | instskip(NEXT) | instid1(VALU_DEP_2)
	v_dual_add_f32 v24, v29, v24 :: v_dual_fmaak_f32 v25, v28, v25, 0xbe1160e6
	v_sub_f32_e32 v29, v29, v26
	v_sub_f32_e32 v22, v22, v26
	s_delay_alu instid0(VALU_DEP_3) | instskip(NEXT) | instid1(VALU_DEP_1)
	v_dual_add_f32 v30, v27, v24 :: v_dual_fmaak_f32 v25, v28, v25, 0x3e4cb8bf
	v_dual_sub_f32 v26, v31, v29 :: v_dual_sub_f32 v27, v30, v27
	s_delay_alu instid0(VALU_DEP_1) | instskip(NEXT) | instid1(VALU_DEP_2)
	v_dual_fmaak_f32 v25, v28, v25, 0xbeaaaa62 :: v_dual_add_f32 v22, v22, v26
	v_sub_f32_e32 v24, v24, v27
	s_delay_alu instid0(VALU_DEP_1) | instskip(NEXT) | instid1(VALU_DEP_1)
	v_dual_mul_f32 v25, v28, v25 :: v_dual_add_f32 v22, v22, v24
	v_dual_fmac_f32 v23, v23, v25 :: v_dual_add_f32 v22, v30, v22
	s_delay_alu instid0(VALU_DEP_1) | instskip(NEXT) | instid1(VALU_DEP_2)
	v_sub_f32_e32 v24, 0x3fc90fdb, v23
	v_cndmask_b32_e32 v22, v22, v1, vcc_lo
	v_cmp_gt_i32_e32 vcc_lo, 0, v15
	s_delay_alu instid0(VALU_DEP_3) | instskip(SKIP_2) | instid1(VALU_DEP_3)
	v_cndmask_b32_e64 v23, v23, v24, s4
	v_cndmask_b32_e64 v24, 0, 0x40490fdb, vcc_lo
	v_cmp_ngt_f32_e32 vcc_lo, -1.0, v1
	v_sub_f32_e32 v25, 0x40490fdb, v23
	v_cndmask_b32_e32 v22, 0x7fc00000, v22, vcc_lo
	v_cmp_gt_f32_e32 vcc_lo, 0, v15
	s_delay_alu instid0(VALU_DEP_2) | instskip(NEXT) | instid1(VALU_DEP_4)
	v_cndmask_b32_e64 v15, 0xff800000, v22, s5
	v_cndmask_b32_e32 v22, v23, v25, vcc_lo
	v_cndmask_b32_e32 v23, 0x3f490fdb, v17, vcc_lo
	v_cmp_gt_f32_e64 vcc_lo, 0x33800000, |v1|
	v_cmp_class_f32_e64 s5, v16, 0x204
	v_cndmask_b32_e32 v1, v15, v1, vcc_lo
	v_cmp_eq_f32_e32 vcc_lo, 0, v16
	s_delay_alu instid0(VALU_DEP_2) | instskip(SKIP_2) | instid1(VALU_DEP_1)
	v_mul_f32_e32 v1, 0.5, v1
	v_cndmask_b32_e32 v15, v22, v24, vcc_lo
	s_and_b32 vcc_lo, s5, s6
	v_cndmask_b32_e32 v22, v15, v23, vcc_lo
.LBB193_273:                            ;   in Loop: Header=BB193_145 Depth=1
	s_or_b32 exec_lo, exec_lo, s33
.LBB193_274:                            ;   in Loop: Header=BB193_145 Depth=1
	s_delay_alu instid0(SALU_CYCLE_1)
	s_or_b32 exec_lo, exec_lo, s31
.LBB193_275:                            ;   in Loop: Header=BB193_145 Depth=1
	s_and_not1_saveexec_b32 s6, s30
	s_cbranch_execz .LBB193_277
; %bb.276:                              ;   in Loop: Header=BB193_145 Depth=1
	v_max_f32_e64 v1, |v16|, |v16|
	v_max_f32_e64 v24, |v15|, |v15|
	v_cmp_gt_i32_e64 s5, 0, v15
	v_cmp_class_f32_e64 s7, v15, 0x204
	v_cmp_class_f32_e64 s8, v16, 0x204
	s_delay_alu instid0(VALU_DEP_4) | instskip(SKIP_1) | instid1(VALU_DEP_2)
	v_max_f32_e32 v25, v24, v1
	v_min_f32_e32 v1, v24, v1
	v_cvt_f64_f32_e32 v[22:23], v25
	v_frexp_exp_i32_f32_e32 v24, v25
	s_delay_alu instid0(VALU_DEP_3) | instskip(SKIP_1) | instid1(VALU_DEP_2)
	v_frexp_exp_i32_f32_e32 v26, v1
	v_frexp_mant_f32_e32 v1, v1
	v_sub_nc_u32_e32 v24, v26, v24
	v_frexp_exp_i32_f64_e32 v22, v[22:23]
	v_frexp_mant_f32_e32 v23, v25
	s_delay_alu instid0(VALU_DEP_1) | instskip(SKIP_2) | instid1(VALU_DEP_1)
	v_rcp_f32_e32 v23, v23
	s_waitcnt_depctr 0xfff
	v_mul_f32_e32 v1, v1, v23
	v_ldexp_f32 v1, v1, v24
	s_delay_alu instid0(VALU_DEP_1) | instskip(SKIP_1) | instid1(VALU_DEP_1)
	v_mul_f32_e32 v26, v1, v1
	v_sub_nc_u32_e32 v27, 0, v22
	v_ldexp_f32 v23, |v16|, v27
	v_ldexp_f32 v24, |v15|, v27
	s_delay_alu instid0(VALU_DEP_2) | instskip(NEXT) | instid1(VALU_DEP_1)
	v_mul_f32_e32 v23, v23, v23
	v_dual_fmac_f32 v23, v24, v24 :: v_dual_fmaak_f32 v24, s26, v26, 0xbc7a590c
	v_cmp_neq_f32_e32 vcc_lo, 0x7f800000, v25
	s_delay_alu instid0(VALU_DEP_2) | instskip(NEXT) | instid1(VALU_DEP_2)
	v_sqrt_f32_e32 v23, v23
	v_fmaak_f32 v24, v26, v24, 0x3d29fb3f
	s_delay_alu instid0(VALU_DEP_1) | instskip(SKIP_3) | instid1(VALU_DEP_2)
	v_fmaak_f32 v24, v26, v24, 0xbd97d4d7
	s_waitcnt_depctr 0xfff
	v_ldexp_f32 v22, v23, v22
	v_fmaak_f32 v23, v26, v24, 0x3dd931b2
	v_cndmask_b32_e32 v22, 0x7f800000, v22, vcc_lo
	s_delay_alu instid0(VALU_DEP_2) | instskip(NEXT) | instid1(VALU_DEP_2)
	v_fmaak_f32 v23, v26, v23, 0xbe1160e6
	v_cmp_gt_f32_e32 vcc_lo, 0x800000, v22
	s_delay_alu instid0(VALU_DEP_2) | instskip(SKIP_1) | instid1(VALU_DEP_2)
	v_fmaak_f32 v23, v26, v23, 0x3e4cb8bf
	v_cndmask_b32_e64 v24, 1.0, 0x4f800000, vcc_lo
	v_fmaak_f32 v23, v26, v23, 0xbeaaaa62
	s_delay_alu instid0(VALU_DEP_1) | instskip(NEXT) | instid1(VALU_DEP_1)
	v_mul_f32_e32 v23, v26, v23
	v_dual_mul_f32 v22, v22, v24 :: v_dual_fmac_f32 v1, v1, v23
	s_delay_alu instid0(VALU_DEP_1) | instskip(NEXT) | instid1(VALU_DEP_1)
	v_log_f32_e32 v22, v22
	v_sub_f32_e32 v24, 0x3fc90fdb, v1
	s_delay_alu instid0(VALU_DEP_1) | instskip(SKIP_4) | instid1(VALU_DEP_3)
	v_cndmask_b32_e64 v1, v1, v24, s4
	s_waitcnt_depctr 0xfff
	v_mul_f32_e32 v23, 0x3f317217, v22
	v_cndmask_b32_e64 v24, 0, 0x40490fdb, s5
	v_cmp_gt_f32_e64 s5, 0, v15
	v_fma_f32 v25, 0x3f317217, v22, -v23
	s_delay_alu instid0(VALU_DEP_1) | instskip(NEXT) | instid1(VALU_DEP_1)
	v_fmac_f32_e32 v25, 0x3377d1cf, v22
	v_add_f32_e32 v15, v23, v25
	v_cndmask_b32_e64 v25, 0, 0x41b17218, vcc_lo
	v_cmp_gt_f32_e64 vcc_lo, 0x7f800000, |v22|
	v_sub_f32_e32 v26, 0x40490fdb, v1
	v_cndmask_b32_e64 v23, 0x3f490fdb, v17, s5
	v_cndmask_b32_e32 v15, v22, v15, vcc_lo
	s_delay_alu instid0(VALU_DEP_3) | instskip(SKIP_1) | instid1(VALU_DEP_2)
	v_cndmask_b32_e64 v1, v1, v26, s5
	v_cmp_eq_f32_e32 vcc_lo, 0, v16
	v_cndmask_b32_e32 v22, v1, v24, vcc_lo
	s_and_b32 vcc_lo, s8, s7
	s_delay_alu instid0(VALU_DEP_1)
	v_dual_sub_f32 v1, v15, v25 :: v_dual_cndmask_b32 v22, v22, v23
.LBB193_277:                            ;   in Loop: Header=BB193_145 Depth=1
	s_or_b32 exec_lo, exec_lo, s6
                                        ; implicit-def: $vgpr23
.LBB193_278:                            ;   in Loop: Header=BB193_145 Depth=1
	s_and_not1_saveexec_b32 s6, s29
	s_cbranch_execz .LBB193_284
; %bb.279:                              ;   in Loop: Header=BB193_145 Depth=1
                                        ; implicit-def: $vgpr1
                                        ; implicit-def: $vgpr22
	s_mov_b32 s5, exec_lo
	v_cmpx_ngt_f32_e32 0x1fec1e4a, v23
	s_xor_b32 s7, exec_lo, s5
	s_cbranch_execz .LBB193_281
; %bb.280:                              ;   in Loop: Header=BB193_145 Depth=1
	v_mul_f32_e32 v1, v23, v23
	v_cmp_class_f32_e64 s8, v15, 0x204
	v_cmp_gt_f32_e64 s5, 0, v15
	v_cmp_class_f32_e64 s10, v16, 0x204
	s_delay_alu instid0(VALU_DEP_4) | instskip(NEXT) | instid1(VALU_DEP_1)
	v_add_f32_e32 v24, 1.0, v1
	v_cvt_f64_f32_e32 v[22:23], v24
	s_delay_alu instid0(VALU_DEP_1) | instskip(SKIP_1) | instid1(VALU_DEP_1)
	v_frexp_exp_i32_f64_e32 v22, v[22:23]
	v_frexp_mant_f32_e32 v23, v24
	v_cmp_gt_f32_e32 vcc_lo, 0x3f2aaaab, v23
	v_add_f32_e32 v23, -1.0, v24
	s_delay_alu instid0(VALU_DEP_1) | instskip(NEXT) | instid1(VALU_DEP_1)
	v_sub_f32_e32 v26, v23, v24
	v_dual_add_f32 v26, 1.0, v26 :: v_dual_sub_f32 v23, v1, v23
	v_cmp_gt_f32_e64 s9, 0x33800000, |v1|
	s_delay_alu instid0(VALU_DEP_2) | instskip(SKIP_2) | instid1(VALU_DEP_2)
	v_add_f32_e32 v23, v23, v26
	v_subrev_co_ci_u32_e32 v22, vcc_lo, 0, v22, vcc_lo
	v_cmp_gt_i32_e32 vcc_lo, 0, v15
	v_sub_nc_u32_e32 v25, 0, v22
	v_cvt_f32_i32_e32 v22, v22
	s_delay_alu instid0(VALU_DEP_2) | instskip(SKIP_1) | instid1(VALU_DEP_2)
	v_ldexp_f32 v24, v24, v25
	v_ldexp_f32 v23, v23, v25
	v_add_f32_e32 v27, 1.0, v24
	s_delay_alu instid0(VALU_DEP_1) | instskip(NEXT) | instid1(VALU_DEP_1)
	v_add_f32_e32 v26, -1.0, v27
	v_dual_sub_f32 v26, v24, v26 :: v_dual_add_f32 v25, -1.0, v24
	s_delay_alu instid0(VALU_DEP_1) | instskip(NEXT) | instid1(VALU_DEP_2)
	v_add_f32_e32 v26, v23, v26
	v_add_f32_e32 v28, 1.0, v25
	s_delay_alu instid0(VALU_DEP_1) | instskip(NEXT) | instid1(VALU_DEP_1)
	v_sub_f32_e32 v24, v24, v28
	v_add_f32_e32 v23, v23, v24
	s_delay_alu instid0(VALU_DEP_1) | instskip(NEXT) | instid1(VALU_DEP_1)
	v_dual_add_f32 v29, v25, v23 :: v_dual_add_f32 v28, v27, v26
	v_rcp_f32_e32 v24, v28
	v_sub_f32_e32 v27, v27, v28
	s_delay_alu instid0(VALU_DEP_1) | instskip(SKIP_2) | instid1(VALU_DEP_1)
	v_dual_add_f32 v26, v26, v27 :: v_dual_sub_f32 v25, v25, v29
	s_waitcnt_depctr 0xfff
	v_dual_mul_f32 v30, v29, v24 :: v_dual_add_f32 v23, v23, v25
	v_mul_f32_e32 v31, v28, v30
	s_delay_alu instid0(VALU_DEP_1) | instskip(NEXT) | instid1(VALU_DEP_1)
	v_fma_f32 v27, v30, v28, -v31
	v_fmac_f32_e32 v27, v30, v26
	s_delay_alu instid0(VALU_DEP_1) | instskip(NEXT) | instid1(VALU_DEP_1)
	v_add_f32_e32 v32, v31, v27
	v_sub_f32_e32 v33, v29, v32
	s_delay_alu instid0(VALU_DEP_1) | instskip(SKIP_1) | instid1(VALU_DEP_2)
	v_sub_f32_e32 v29, v29, v33
	v_sub_f32_e32 v25, v32, v31
	;; [unrolled: 1-line block ×3, first 2 shown]
	s_delay_alu instid0(VALU_DEP_2) | instskip(NEXT) | instid1(VALU_DEP_2)
	v_sub_f32_e32 v25, v25, v27
	v_add_f32_e32 v23, v23, v29
	s_delay_alu instid0(VALU_DEP_1) | instskip(NEXT) | instid1(VALU_DEP_1)
	v_add_f32_e32 v23, v25, v23
	v_add_f32_e32 v25, v33, v23
	s_delay_alu instid0(VALU_DEP_1) | instskip(NEXT) | instid1(VALU_DEP_1)
	v_mul_f32_e32 v27, v24, v25
	v_dual_sub_f32 v32, v33, v25 :: v_dual_mul_f32 v29, v28, v27
	s_delay_alu instid0(VALU_DEP_1) | instskip(NEXT) | instid1(VALU_DEP_2)
	v_add_f32_e32 v23, v23, v32
	v_fma_f32 v28, v27, v28, -v29
	s_delay_alu instid0(VALU_DEP_1) | instskip(NEXT) | instid1(VALU_DEP_1)
	v_fmac_f32_e32 v28, v27, v26
	v_add_f32_e32 v26, v29, v28
	s_delay_alu instid0(VALU_DEP_1) | instskip(SKIP_1) | instid1(VALU_DEP_2)
	v_sub_f32_e32 v31, v25, v26
	v_sub_f32_e32 v29, v26, v29
	;; [unrolled: 1-line block ×3, first 2 shown]
	s_delay_alu instid0(VALU_DEP_1) | instskip(NEXT) | instid1(VALU_DEP_1)
	v_sub_f32_e32 v25, v25, v26
	v_dual_sub_f32 v26, v29, v28 :: v_dual_add_f32 v23, v23, v25
	v_add_f32_e32 v25, v30, v27
	s_delay_alu instid0(VALU_DEP_1) | instskip(NEXT) | instid1(VALU_DEP_1)
	v_dual_add_f32 v23, v26, v23 :: v_dual_sub_f32 v26, v25, v30
	v_add_f32_e32 v23, v31, v23
	s_delay_alu instid0(VALU_DEP_2) | instskip(SKIP_1) | instid1(VALU_DEP_3)
	v_sub_f32_e32 v26, v27, v26
	v_max_f32_e64 v27, |v15|, |v15|
	v_mul_f32_e32 v23, v24, v23
	v_max_f32_e64 v24, |v16|, |v16|
	s_delay_alu instid0(VALU_DEP_2) | instskip(NEXT) | instid1(VALU_DEP_2)
	v_add_f32_e32 v23, v26, v23
	v_max_f32_e32 v29, v27, v24
	v_min_f32_e32 v24, v27, v24
	s_delay_alu instid0(VALU_DEP_3) | instskip(NEXT) | instid1(VALU_DEP_3)
	v_add_f32_e32 v26, v25, v23
	v_frexp_mant_f32_e32 v31, v29
	v_frexp_exp_i32_f32_e32 v27, v29
	s_delay_alu instid0(VALU_DEP_3) | instskip(SKIP_1) | instid1(VALU_DEP_2)
	v_mul_f32_e32 v28, v26, v26
	v_ldexp_f32 v32, v26, 1
	v_dual_sub_f32 v25, v26, v25 :: v_dual_fmaak_f32 v30, s21, v28, 0x3ecc95a3
	v_mul_f32_e32 v29, v26, v28
	s_delay_alu instid0(VALU_DEP_2) | instskip(SKIP_3) | instid1(VALU_DEP_3)
	v_dual_sub_f32 v23, v23, v25 :: v_dual_fmaak_f32 v28, v28, v30, 0x3f2aaada
	v_rcp_f32_e32 v30, v31
	v_frexp_exp_i32_f32_e32 v31, v24
	v_frexp_mant_f32_e32 v24, v24
	v_ldexp_f32 v23, v23, 1
	v_dual_mul_f32 v28, v29, v28 :: v_dual_mul_f32 v29, 0x3f317218, v22
	s_delay_alu instid0(VALU_DEP_4) | instskip(NEXT) | instid1(VALU_DEP_2)
	v_sub_nc_u32_e32 v27, v31, v27
	v_add_f32_e32 v26, v32, v28
	s_delay_alu instid0(TRANS32_DEP_1) | instid1(VALU_DEP_1)
	v_dual_mul_f32 v24, v24, v30 :: v_dual_sub_f32 v25, v26, v32
	s_delay_alu instid0(VALU_DEP_1) | instskip(SKIP_1) | instid1(VALU_DEP_3)
	v_ldexp_f32 v24, v24, v27
	v_fma_f32 v27, 0x3f317218, v22, -v29
	v_sub_f32_e32 v25, v28, v25
	s_delay_alu instid0(VALU_DEP_2) | instskip(NEXT) | instid1(VALU_DEP_1)
	v_dual_mul_f32 v28, v24, v24 :: v_dual_fmac_f32 v27, 0xb102e308, v22
	v_dual_add_f32 v22, v23, v25 :: v_dual_fmaak_f32 v23, s26, v28, 0xbc7a590c
	s_delay_alu instid0(VALU_DEP_1) | instskip(NEXT) | instid1(VALU_DEP_2)
	v_dual_add_f32 v25, v29, v27 :: v_dual_add_f32 v30, v26, v22
	v_fmaak_f32 v23, v28, v23, 0x3d29fb3f
	s_delay_alu instid0(VALU_DEP_2) | instskip(NEXT) | instid1(VALU_DEP_3)
	v_sub_f32_e32 v29, v25, v29
	v_add_f32_e32 v31, v25, v30
	s_delay_alu instid0(VALU_DEP_3) | instskip(NEXT) | instid1(VALU_DEP_3)
	v_dual_fmaak_f32 v23, v28, v23, 0xbd97d4d7 :: v_dual_sub_f32 v26, v30, v26
	v_sub_f32_e32 v27, v27, v29
	s_delay_alu instid0(VALU_DEP_2) | instskip(NEXT) | instid1(VALU_DEP_1)
	v_dual_sub_f32 v32, v31, v25 :: v_dual_fmaak_f32 v23, v28, v23, 0x3dd931b2
	v_dual_sub_f32 v22, v22, v26 :: v_dual_sub_f32 v33, v31, v32
	s_delay_alu instid0(VALU_DEP_2) | instskip(NEXT) | instid1(VALU_DEP_2)
	v_dual_fmaak_f32 v23, v28, v23, 0xbe1160e6 :: v_dual_sub_f32 v26, v30, v32
	v_add_f32_e32 v29, v27, v22
	s_delay_alu instid0(VALU_DEP_3) | instskip(NEXT) | instid1(VALU_DEP_3)
	v_sub_f32_e32 v25, v25, v33
	v_fmaak_f32 v23, v28, v23, 0x3e4cb8bf
	s_delay_alu instid0(VALU_DEP_2) | instskip(NEXT) | instid1(VALU_DEP_2)
	v_add_f32_e32 v25, v26, v25
	v_fmaak_f32 v23, v28, v23, 0xbeaaaa62
	v_sub_f32_e32 v26, v29, v27
	s_delay_alu instid0(VALU_DEP_3) | instskip(NEXT) | instid1(VALU_DEP_2)
	v_add_f32_e32 v25, v29, v25
	v_dual_mul_f32 v23, v28, v23 :: v_dual_sub_f32 v28, v29, v26
	s_delay_alu instid0(VALU_DEP_2) | instskip(NEXT) | instid1(VALU_DEP_2)
	v_dual_sub_f32 v22, v22, v26 :: v_dual_add_f32 v29, v31, v25
	v_dual_fmac_f32 v24, v24, v23 :: v_dual_sub_f32 v23, v27, v28
	s_delay_alu instid0(VALU_DEP_1) | instskip(NEXT) | instid1(VALU_DEP_1)
	v_dual_sub_f32 v26, v29, v31 :: v_dual_sub_f32 v27, 0x3fc90fdb, v24
	v_dual_add_f32 v22, v22, v23 :: v_dual_sub_f32 v23, v25, v26
	s_delay_alu instid0(VALU_DEP_2) | instskip(SKIP_2) | instid1(VALU_DEP_3)
	v_cndmask_b32_e64 v24, v24, v27, s4
	v_cndmask_b32_e64 v25, 0, 0x40490fdb, vcc_lo
	v_cmp_eq_f32_e32 vcc_lo, 0x7f800000, v1
	v_dual_add_f32 v22, v22, v23 :: v_dual_sub_f32 v23, 0x40490fdb, v24
	s_or_b32 vcc_lo, vcc_lo, s9
	s_delay_alu instid0(VALU_DEP_1) | instskip(NEXT) | instid1(VALU_DEP_2)
	v_add_f32_e32 v15, v29, v22
	v_cndmask_b32_e64 v22, v24, v23, s5
	v_cndmask_b32_e64 v23, 0x3f490fdb, v17, s5
	s_delay_alu instid0(VALU_DEP_3) | instskip(SKIP_1) | instid1(VALU_DEP_2)
	v_cndmask_b32_e32 v1, v15, v1, vcc_lo
	v_cmp_eq_f32_e32 vcc_lo, 0, v16
	v_mul_f32_e32 v1, 0.5, v1
	v_cndmask_b32_e32 v15, v22, v25, vcc_lo
	s_and_b32 vcc_lo, s10, s8
	s_delay_alu instid0(VALU_DEP_1)
	v_cndmask_b32_e32 v22, v15, v23, vcc_lo
                                        ; implicit-def: $vgpr23
.LBB193_281:                            ;   in Loop: Header=BB193_145 Depth=1
	s_and_not1_saveexec_b32 s7, s7
	s_cbranch_execz .LBB193_283
; %bb.282:                              ;   in Loop: Header=BB193_145 Depth=1
	v_max_f32_e64 v1, |v16|, |v16|
	v_max_f32_e64 v22, |v15|, |v15|
	v_cmp_gt_i32_e32 vcc_lo, 0, v15
	v_cmp_eq_f32_e64 s5, 0, v16
	v_cmp_class_f32_e64 s8, v15, 0x204
	v_cmp_class_f32_e64 s9, v16, 0x204
	v_max_f32_e32 v24, v22, v1
	v_min_f32_e32 v1, v22, v1
	s_delay_alu instid0(VALU_DEP_2) | instskip(NEXT) | instid1(VALU_DEP_1)
	v_frexp_mant_f32_e32 v25, v24
	v_rcp_f32_e32 v22, v25
	s_delay_alu instid0(VALU_DEP_2) | instskip(SKIP_4) | instid1(VALU_DEP_1)
	v_frexp_exp_i32_f32_e32 v25, v1
	v_frexp_mant_f32_e32 v1, v1
	s_waitcnt_depctr 0xfff
	v_mul_f32_e32 v1, v1, v22
	v_frexp_exp_i32_f32_e32 v24, v24
	v_sub_nc_u32_e32 v24, v25, v24
	s_delay_alu instid0(VALU_DEP_1) | instskip(NEXT) | instid1(VALU_DEP_1)
	v_ldexp_f32 v1, v1, v24
	v_mul_f32_e32 v22, v1, v1
	s_delay_alu instid0(VALU_DEP_1) | instskip(NEXT) | instid1(VALU_DEP_1)
	v_fmaak_f32 v24, s26, v22, 0xbc7a590c
	v_fmaak_f32 v24, v22, v24, 0x3d29fb3f
	s_delay_alu instid0(VALU_DEP_1) | instskip(NEXT) | instid1(VALU_DEP_1)
	v_fmaak_f32 v24, v22, v24, 0xbd97d4d7
	v_fmaak_f32 v24, v22, v24, 0x3dd931b2
	s_delay_alu instid0(VALU_DEP_1) | instskip(NEXT) | instid1(VALU_DEP_1)
	v_fmaak_f32 v24, v22, v24, 0xbe1160e6
	v_fmaak_f32 v24, v22, v24, 0x3e4cb8bf
	s_delay_alu instid0(VALU_DEP_1) | instskip(NEXT) | instid1(VALU_DEP_1)
	v_fmaak_f32 v24, v22, v24, 0xbeaaaa62
	v_mul_f32_e32 v22, v22, v24
	v_cndmask_b32_e64 v24, 0, 0x40490fdb, vcc_lo
	v_cmp_gt_f32_e32 vcc_lo, 0, v15
	s_delay_alu instid0(VALU_DEP_3) | instskip(NEXT) | instid1(VALU_DEP_1)
	v_fmac_f32_e32 v1, v1, v22
	v_sub_f32_e32 v22, 0x3fc90fdb, v1
	s_delay_alu instid0(VALU_DEP_1) | instskip(NEXT) | instid1(VALU_DEP_1)
	v_cndmask_b32_e64 v1, v1, v22, s4
	v_sub_f32_e32 v22, 0x40490fdb, v1
	s_delay_alu instid0(VALU_DEP_1) | instskip(NEXT) | instid1(VALU_DEP_1)
	v_dual_cndmask_b32 v1, v1, v22 :: v_dual_mul_f32 v22, 0.5, v23
	v_cndmask_b32_e64 v15, v1, v24, s5
	s_delay_alu instid0(VALU_DEP_2) | instskip(SKIP_1) | instid1(VALU_DEP_1)
	v_dual_mul_f32 v1, v23, v22 :: v_dual_cndmask_b32 v24, 0x3f490fdb, v17
	s_and_b32 vcc_lo, s9, s8
	v_cndmask_b32_e32 v22, v15, v24, vcc_lo
.LBB193_283:                            ;   in Loop: Header=BB193_145 Depth=1
	s_or_b32 exec_lo, exec_lo, s7
.LBB193_284:                            ;   in Loop: Header=BB193_145 Depth=1
	s_delay_alu instid0(SALU_CYCLE_1)
	s_or_b32 exec_lo, exec_lo, s6
.LBB193_285:                            ;   in Loop: Header=BB193_145 Depth=1
	s_and_not1_saveexec_b32 s6, s28
	s_cbranch_execz .LBB193_287
; %bb.286:                              ;   in Loop: Header=BB193_145 Depth=1
	v_div_scale_f32 v1, null, 0x402df854, 0x402df854, v15
	v_div_scale_f32 v22, null, 0x402df854, 0x402df854, v16
	v_div_scale_f32 v27, vcc_lo, v15, 0x402df854, v15
	s_delay_alu instid0(VALU_DEP_3) | instskip(NEXT) | instid1(VALU_DEP_2)
	v_rcp_f32_e32 v23, v1
	v_rcp_f32_e32 v24, v22
	v_cmp_class_f32_e64 s7, v16, 0x204
	s_waitcnt_depctr 0xfff
	v_fma_f32 v25, -v1, v23, 1.0
	v_fma_f32 v26, -v22, v24, 1.0
	s_delay_alu instid0(VALU_DEP_1) | instskip(SKIP_1) | instid1(VALU_DEP_2)
	v_dual_fmac_f32 v23, v25, v23 :: v_dual_fmac_f32 v24, v26, v24
	v_div_scale_f32 v25, s5, v16, 0x402df854, v16
	v_mul_f32_e32 v26, v27, v23
	s_delay_alu instid0(VALU_DEP_1) | instskip(NEXT) | instid1(VALU_DEP_1)
	v_fma_f32 v29, -v1, v26, v27
	v_fmac_f32_e32 v26, v29, v23
	s_delay_alu instid0(VALU_DEP_1) | instskip(NEXT) | instid1(VALU_DEP_1)
	v_fma_f32 v1, -v1, v26, v27
	v_div_fmas_f32 v1, v1, v23, v26
	v_max_f32_e64 v26, |v15|, |v15|
	v_mul_f32_e32 v28, v25, v24
	s_mov_b32 vcc_lo, s5
	v_cmp_class_f32_e64 s5, v15, 0x204
	v_div_fixup_f32 v1, v1, 0x402df854, v15
	s_delay_alu instid0(VALU_DEP_3) | instskip(NEXT) | instid1(VALU_DEP_1)
	v_fma_f32 v30, -v22, v28, v25
	v_fmac_f32_e32 v28, v30, v24
	s_delay_alu instid0(VALU_DEP_1) | instskip(NEXT) | instid1(VALU_DEP_1)
	v_fma_f32 v22, -v22, v28, v25
	v_div_fmas_f32 v22, v22, v24, v28
	s_delay_alu instid0(VALU_DEP_1) | instskip(NEXT) | instid1(VALU_DEP_1)
	v_div_fixup_f32 v24, v22, 0x402df854, v16
	v_max_f32_e64 v25, |v1|, |v24|
	s_delay_alu instid0(VALU_DEP_1) | instskip(SKIP_1) | instid1(VALU_DEP_2)
	v_cvt_f64_f32_e32 v[22:23], v25
	v_cmp_neq_f32_e32 vcc_lo, 0x7f800000, v25
	v_frexp_exp_i32_f64_e32 v22, v[22:23]
	v_max_f32_e64 v23, |v16|, |v16|
	s_delay_alu instid0(VALU_DEP_1) | instskip(SKIP_1) | instid1(VALU_DEP_2)
	v_max_f32_e32 v27, v26, v23
	v_min_f32_e32 v23, v26, v23
	v_frexp_mant_f32_e32 v28, v27
	v_frexp_exp_i32_f32_e32 v27, v27
	s_delay_alu instid0(VALU_DEP_2) | instskip(SKIP_1) | instid1(VALU_DEP_1)
	v_rcp_f32_e32 v26, v28
	v_sub_nc_u32_e32 v28, 0, v22
	v_ldexp_f32 v24, |v24|, v28
	v_ldexp_f32 v1, |v1|, v28
	s_delay_alu instid0(VALU_DEP_2) | instskip(SKIP_2) | instid1(VALU_DEP_2)
	v_mul_f32_e32 v24, v24, v24
	v_frexp_exp_i32_f32_e32 v29, v23
	v_frexp_mant_f32_e32 v23, v23
	v_sub_nc_u32_e32 v27, v29, v27
	s_delay_alu instid0(TRANS32_DEP_1) | instid1(VALU_DEP_2)
	v_mul_f32_e32 v23, v23, v26
	s_delay_alu instid0(VALU_DEP_1) | instskip(NEXT) | instid1(VALU_DEP_1)
	v_ldexp_f32 v23, v23, v27
	v_dual_fmac_f32 v24, v1, v1 :: v_dual_mul_f32 v1, v23, v23
	s_delay_alu instid0(VALU_DEP_1) | instskip(NEXT) | instid1(VALU_DEP_1)
	v_sqrt_f32_e32 v24, v24
	v_fmaak_f32 v26, s26, v1, 0xbc7a590c
	s_delay_alu instid0(VALU_DEP_1) | instskip(SKIP_2) | instid1(VALU_DEP_1)
	v_fmaak_f32 v26, v1, v26, 0x3d29fb3f
	s_waitcnt_depctr 0xfff
	v_ldexp_f32 v22, v24, v22
	v_cndmask_b32_e32 v22, 0x7f800000, v22, vcc_lo
	s_delay_alu instid0(VALU_DEP_1) | instskip(SKIP_1) | instid1(VALU_DEP_1)
	v_cmp_gt_f32_e32 vcc_lo, 0x800000, v22
	v_cndmask_b32_e64 v25, 1.0, 0x4f800000, vcc_lo
	v_mul_f32_e32 v22, v22, v25
	s_delay_alu instid0(VALU_DEP_1) | instskip(SKIP_2) | instid1(VALU_DEP_2)
	v_log_f32_e32 v22, v22
	v_fmaak_f32 v24, v1, v26, 0xbd97d4d7
	v_cndmask_b32_e64 v26, 0, 0x41b17218, vcc_lo
	v_fmaak_f32 v24, v1, v24, 0x3dd931b2
	s_waitcnt_depctr 0xfff
	v_cmp_gt_f32_e64 vcc_lo, 0x7f800000, |v22|
	v_fmaak_f32 v24, v1, v24, 0xbe1160e6
	s_delay_alu instid0(VALU_DEP_1) | instskip(NEXT) | instid1(VALU_DEP_1)
	v_fmaak_f32 v24, v1, v24, 0x3e4cb8bf
	v_fmaak_f32 v24, v1, v24, 0xbeaaaa62
	s_delay_alu instid0(VALU_DEP_1) | instskip(NEXT) | instid1(VALU_DEP_1)
	v_dual_mul_f32 v1, v1, v24 :: v_dual_mul_f32 v24, 0x3f317217, v22
	v_fmac_f32_e32 v23, v23, v1
	s_delay_alu instid0(VALU_DEP_2) | instskip(NEXT) | instid1(VALU_DEP_2)
	v_fma_f32 v1, 0x3f317217, v22, -v24
	v_sub_f32_e32 v25, 0x3fc90fdb, v23
	s_delay_alu instid0(VALU_DEP_2) | instskip(NEXT) | instid1(VALU_DEP_2)
	v_fmac_f32_e32 v1, 0x3377d1cf, v22
	v_cndmask_b32_e64 v23, v23, v25, s4
	v_cmp_gt_i32_e64 s4, 0, v15
	s_delay_alu instid0(VALU_DEP_3) | instskip(NEXT) | instid1(VALU_DEP_2)
	v_add_f32_e32 v1, v24, v1
	v_cndmask_b32_e64 v25, 0, 0x40490fdb, s4
	v_cmp_gt_f32_e64 s4, 0, v15
	s_delay_alu instid0(VALU_DEP_3) | instskip(SKIP_1) | instid1(VALU_DEP_3)
	v_dual_cndmask_b32 v1, v22, v1 :: v_dual_sub_f32 v24, 0x40490fdb, v23
	v_cmp_eq_f32_e32 vcc_lo, 0, v16
	v_cndmask_b32_e64 v22, 0x3f490fdb, v17, s4
	s_delay_alu instid0(VALU_DEP_3) | instskip(NEXT) | instid1(VALU_DEP_4)
	v_sub_f32_e32 v1, v1, v26
	v_cndmask_b32_e64 v15, v23, v24, s4
	s_delay_alu instid0(VALU_DEP_2) | instskip(NEXT) | instid1(VALU_DEP_2)
	v_add_f32_e32 v1, 1.0, v1
	v_cndmask_b32_e32 v15, v15, v25, vcc_lo
	s_and_b32 vcc_lo, s7, s5
	s_delay_alu instid0(VALU_DEP_1)
	v_cndmask_b32_e32 v22, v15, v22, vcc_lo
.LBB193_287:                            ;   in Loop: Header=BB193_145 Depth=1
	s_or_b32 exec_lo, exec_lo, s6
	s_and_not1_saveexec_b32 s4, s27
	s_cbranch_execz .LBB193_257
.LBB193_288:                            ;   in Loop: Header=BB193_145 Depth=1
	v_cmp_ngt_f32_e64 s5, 0x20000000, |v15|
	v_cmp_ngt_f32_e64 s6, 0x20000000, |v16|
                                        ; implicit-def: $vgpr1
	s_delay_alu instid0(VALU_DEP_1) | instskip(NEXT) | instid1(SALU_CYCLE_1)
	s_or_b32 s5, s6, s5
	s_and_saveexec_b32 s6, s5
	s_delay_alu instid0(SALU_CYCLE_1)
	s_xor_b32 s5, exec_lo, s6
; %bb.289:                              ;   in Loop: Header=BB193_145 Depth=1
	v_mul_f32_e32 v1, v15, v15
	s_delay_alu instid0(VALU_DEP_1)
	v_fmac_f32_e32 v1, v16, v16
; %bb.290:                              ;   in Loop: Header=BB193_145 Depth=1
	s_and_not1_saveexec_b32 s5, s5
; %bb.291:                              ;   in Loop: Header=BB193_145 Depth=1
	v_mul_f32_e32 v1, 4.0, v15
	v_mul_f32_e32 v15, 4.0, v16
	s_delay_alu instid0(VALU_DEP_2) | instskip(NEXT) | instid1(VALU_DEP_1)
	v_mul_f32_e32 v1, v1, v1
	v_fmac_f32_e32 v1, v15, v15
	s_delay_alu instid0(VALU_DEP_1)
	v_mul_f32_e32 v1, 0x3d800000, v1
; %bb.292:                              ;   in Loop: Header=BB193_145 Depth=1
	s_or_b32 exec_lo, exec_lo, s5
	s_delay_alu instid0(VALU_DEP_1) | instskip(SKIP_1) | instid1(VALU_DEP_1)
	v_cmp_gt_f32_e32 vcc_lo, 0x800000, v1
	v_cndmask_b32_e64 v15, 1.0, 0x4f800000, vcc_lo
	v_mul_f32_e32 v1, v1, v15
	s_delay_alu instid0(VALU_DEP_1) | instskip(SKIP_2) | instid1(VALU_DEP_1)
	v_log_f32_e32 v1, v1
	s_waitcnt_depctr 0xfff
	v_mul_f32_e32 v15, 0x3f317217, v1
	v_fma_f32 v22, 0x3f317217, v1, -v15
	s_delay_alu instid0(VALU_DEP_1) | instskip(NEXT) | instid1(VALU_DEP_1)
	v_fmac_f32_e32 v22, 0x3377d1cf, v1
	v_add_f32_e32 v15, v15, v22
	v_cndmask_b32_e64 v22, 0, 0x41b17218, vcc_lo
	v_cmp_gt_f32_e64 vcc_lo, 0x7f800000, |v1|
	s_delay_alu instid0(VALU_DEP_3) | instskip(NEXT) | instid1(VALU_DEP_1)
	v_cndmask_b32_e32 v1, v1, v15, vcc_lo
	v_dual_sub_f32 v1, v1, v22 :: v_dual_mov_b32 v22, 0x7fc00000
	s_or_b32 exec_lo, exec_lo, s4
	s_and_saveexec_b32 s4, s0
	s_delay_alu instid0(SALU_CYCLE_1)
	s_xor_b32 s0, exec_lo, s4
	s_cbranch_execz .LBB193_258
.LBB193_293:                            ;   in Loop: Header=BB193_145 Depth=1
	v_bfi_b32 v12, 0x7fffffff, v19, v12
	v_lshlrev_b64 v[3:4], 3, v[3:4]
	s_delay_alu instid0(VALU_DEP_2) | instskip(SKIP_1) | instid1(VALU_DEP_3)
	v_fma_f32 v15, 0, v12, v18
	v_fmac_f32_e32 v12, 0x80000000, v18
	v_add_co_u32 v3, vcc_lo, s19, v3
	s_delay_alu instid0(VALU_DEP_4) | instskip(NEXT) | instid1(VALU_DEP_3)
	v_add_co_ci_u32_e32 v4, vcc_lo, s20, v4, vcc_lo
	v_dual_mul_f32 v18, 0x3fb8aa3b, v15 :: v_dual_mul_f32 v19, 0x3fb8aa3b, v12
	global_store_b64 v[3:4], v[18:19], off
	s_or_b32 exec_lo, exec_lo, s0
	s_and_saveexec_b32 s0, s1
	s_cbranch_execz .LBB193_259
.LBB193_294:                            ;   in Loop: Header=BB193_145 Depth=1
	v_bfi_b32 v12, 0x7fffffff, v20, v14
	v_lshlrev_b64 v[3:4], 3, v[5:6]
	s_delay_alu instid0(VALU_DEP_2) | instskip(SKIP_1) | instid1(VALU_DEP_3)
	v_fma_f32 v14, 0, v12, v11
	v_fmac_f32_e32 v12, 0x80000000, v11
	v_add_co_u32 v3, vcc_lo, s19, v3
	s_delay_alu instid0(VALU_DEP_4) | instskip(NEXT) | instid1(VALU_DEP_3)
	v_add_co_ci_u32_e32 v4, vcc_lo, s20, v4, vcc_lo
	v_dual_mul_f32 v5, 0x3fb8aa3b, v14 :: v_dual_mul_f32 v6, 0x3fb8aa3b, v12
	global_store_b64 v[3:4], v[5:6], off
	s_or_b32 exec_lo, exec_lo, s0
	s_and_saveexec_b32 s0, s2
	s_cbranch_execz .LBB193_260
.LBB193_295:                            ;   in Loop: Header=BB193_145 Depth=1
	v_bfi_b32 v5, 0x7fffffff, v21, v2
	v_lshlrev_b64 v[2:3], 3, v[7:8]
	s_delay_alu instid0(VALU_DEP_2) | instskip(SKIP_1) | instid1(VALU_DEP_3)
	v_fma_f32 v4, 0, v5, v13
	v_fmac_f32_e32 v5, 0x80000000, v13
	v_add_co_u32 v2, vcc_lo, s19, v2
	s_delay_alu instid0(VALU_DEP_4) | instskip(NEXT) | instid1(VALU_DEP_3)
	v_add_co_ci_u32_e32 v3, vcc_lo, s20, v3, vcc_lo
	v_dual_mul_f32 v4, 0x3fb8aa3b, v4 :: v_dual_mul_f32 v5, 0x3fb8aa3b, v5
	global_store_b64 v[2:3], v[4:5], off
	s_or_b32 exec_lo, exec_lo, s0
	s_and_saveexec_b32 s0, s3
	s_cbranch_execz .LBB193_144
.LBB193_296:                            ;   in Loop: Header=BB193_145 Depth=1
	v_bfi_b32 v4, 0x7fffffff, v22, v16
	s_delay_alu instid0(VALU_DEP_1) | instskip(SKIP_2) | instid1(VALU_DEP_2)
	v_fma_f32 v3, 0, v4, v1
	v_fmac_f32_e32 v4, 0x80000000, v1
	v_lshlrev_b64 v[1:2], 3, v[9:10]
	v_dual_mul_f32 v3, 0x3fb8aa3b, v3 :: v_dual_mul_f32 v4, 0x3fb8aa3b, v4
	s_delay_alu instid0(VALU_DEP_2) | instskip(NEXT) | instid1(VALU_DEP_3)
	v_add_co_u32 v1, vcc_lo, s19, v1
	v_add_co_ci_u32_e32 v2, vcc_lo, s20, v2, vcc_lo
	global_store_b64 v[1:2], v[3:4], off
	s_branch .LBB193_144
.LBB193_297:
	s_nop 0
	s_sendmsg sendmsg(MSG_DEALLOC_VGPRS)
	s_endpgm
	.section	.rodata,"a",@progbits
	.p2align	6, 0x0
	.amdhsa_kernel _ZN2at6native12_GLOBAL__N_125multi_tensor_apply_kernelINS1_18TensorListMetadataILi2EEENS1_14UnaryOpFunctorIN3c107complexIfEELi2ELi1ELi1EEEJNS0_4Log2IS8_EEEEEvT_T0_DpT1_
		.amdhsa_group_segment_fixed_size 0
		.amdhsa_private_segment_fixed_size 0
		.amdhsa_kernarg_size 3408
		.amdhsa_user_sgpr_count 15
		.amdhsa_user_sgpr_dispatch_ptr 0
		.amdhsa_user_sgpr_queue_ptr 0
		.amdhsa_user_sgpr_kernarg_segment_ptr 1
		.amdhsa_user_sgpr_dispatch_id 0
		.amdhsa_user_sgpr_private_segment_size 0
		.amdhsa_wavefront_size32 1
		.amdhsa_uses_dynamic_stack 0
		.amdhsa_enable_private_segment 0
		.amdhsa_system_sgpr_workgroup_id_x 1
		.amdhsa_system_sgpr_workgroup_id_y 0
		.amdhsa_system_sgpr_workgroup_id_z 0
		.amdhsa_system_sgpr_workgroup_info 0
		.amdhsa_system_vgpr_workitem_id 0
		.amdhsa_next_free_vgpr 40
		.amdhsa_next_free_sgpr 37
		.amdhsa_reserve_vcc 1
		.amdhsa_float_round_mode_32 0
		.amdhsa_float_round_mode_16_64 0
		.amdhsa_float_denorm_mode_32 3
		.amdhsa_float_denorm_mode_16_64 3
		.amdhsa_dx10_clamp 1
		.amdhsa_ieee_mode 1
		.amdhsa_fp16_overflow 0
		.amdhsa_workgroup_processor_mode 1
		.amdhsa_memory_ordered 1
		.amdhsa_forward_progress 0
		.amdhsa_shared_vgpr_count 0
		.amdhsa_exception_fp_ieee_invalid_op 0
		.amdhsa_exception_fp_denorm_src 0
		.amdhsa_exception_fp_ieee_div_zero 0
		.amdhsa_exception_fp_ieee_overflow 0
		.amdhsa_exception_fp_ieee_underflow 0
		.amdhsa_exception_fp_ieee_inexact 0
		.amdhsa_exception_int_div_zero 0
	.end_amdhsa_kernel
	.section	.text._ZN2at6native12_GLOBAL__N_125multi_tensor_apply_kernelINS1_18TensorListMetadataILi2EEENS1_14UnaryOpFunctorIN3c107complexIfEELi2ELi1ELi1EEEJNS0_4Log2IS8_EEEEEvT_T0_DpT1_,"axG",@progbits,_ZN2at6native12_GLOBAL__N_125multi_tensor_apply_kernelINS1_18TensorListMetadataILi2EEENS1_14UnaryOpFunctorIN3c107complexIfEELi2ELi1ELi1EEEJNS0_4Log2IS8_EEEEEvT_T0_DpT1_,comdat
.Lfunc_end193:
	.size	_ZN2at6native12_GLOBAL__N_125multi_tensor_apply_kernelINS1_18TensorListMetadataILi2EEENS1_14UnaryOpFunctorIN3c107complexIfEELi2ELi1ELi1EEEJNS0_4Log2IS8_EEEEEvT_T0_DpT1_, .Lfunc_end193-_ZN2at6native12_GLOBAL__N_125multi_tensor_apply_kernelINS1_18TensorListMetadataILi2EEENS1_14UnaryOpFunctorIN3c107complexIfEELi2ELi1ELi1EEEJNS0_4Log2IS8_EEEEEvT_T0_DpT1_
                                        ; -- End function
	.section	.AMDGPU.csdata,"",@progbits
; Kernel info:
; codeLenInByte = 47688
; NumSgprs: 39
; NumVgprs: 40
; ScratchSize: 0
; MemoryBound: 1
; FloatMode: 240
; IeeeMode: 1
; LDSByteSize: 0 bytes/workgroup (compile time only)
; SGPRBlocks: 4
; VGPRBlocks: 4
; NumSGPRsForWavesPerEU: 39
; NumVGPRsForWavesPerEU: 40
; Occupancy: 16
; WaveLimiterHint : 0
; COMPUTE_PGM_RSRC2:SCRATCH_EN: 0
; COMPUTE_PGM_RSRC2:USER_SGPR: 15
; COMPUTE_PGM_RSRC2:TRAP_HANDLER: 0
; COMPUTE_PGM_RSRC2:TGID_X_EN: 1
; COMPUTE_PGM_RSRC2:TGID_Y_EN: 0
; COMPUTE_PGM_RSRC2:TGID_Z_EN: 0
; COMPUTE_PGM_RSRC2:TIDIG_COMP_CNT: 0
	.section	.text._ZN2at6native12_GLOBAL__N_125multi_tensor_apply_kernelINS1_18TensorListMetadataILi2EEENS1_14UnaryOpFunctorIN3c104HalfELi2ELi1ELi1EEEJNS0_4Log2IfEEEEEvT_T0_DpT1_,"axG",@progbits,_ZN2at6native12_GLOBAL__N_125multi_tensor_apply_kernelINS1_18TensorListMetadataILi2EEENS1_14UnaryOpFunctorIN3c104HalfELi2ELi1ELi1EEEJNS0_4Log2IfEEEEEvT_T0_DpT1_,comdat
	.globl	_ZN2at6native12_GLOBAL__N_125multi_tensor_apply_kernelINS1_18TensorListMetadataILi2EEENS1_14UnaryOpFunctorIN3c104HalfELi2ELi1ELi1EEEJNS0_4Log2IfEEEEEvT_T0_DpT1_ ; -- Begin function _ZN2at6native12_GLOBAL__N_125multi_tensor_apply_kernelINS1_18TensorListMetadataILi2EEENS1_14UnaryOpFunctorIN3c104HalfELi2ELi1ELi1EEEJNS0_4Log2IfEEEEEvT_T0_DpT1_
	.p2align	8
	.type	_ZN2at6native12_GLOBAL__N_125multi_tensor_apply_kernelINS1_18TensorListMetadataILi2EEENS1_14UnaryOpFunctorIN3c104HalfELi2ELi1ELi1EEEJNS0_4Log2IfEEEEEvT_T0_DpT1_,@function
_ZN2at6native12_GLOBAL__N_125multi_tensor_apply_kernelINS1_18TensorListMetadataILi2EEENS1_14UnaryOpFunctorIN3c104HalfELi2ELi1ELi1EEEJNS0_4Log2IfEEEEEvT_T0_DpT1_: ; @_ZN2at6native12_GLOBAL__N_125multi_tensor_apply_kernelINS1_18TensorListMetadataILi2EEENS1_14UnaryOpFunctorIN3c104HalfELi2ELi1ELi1EEEJNS0_4Log2IfEEEEEvT_T0_DpT1_
; %bb.0:
	v_mov_b32_e32 v1, s15
	s_add_u32 s2, s0, s15
	s_mul_hi_u32 s3, s15, 3
	s_mul_i32 s15, s15, 3
	s_addc_u32 s4, s1, 0
	global_load_u8 v1, v1, s[0:1] offset:1536
	s_add_u32 s2, s2, s15
	s_addc_u32 s3, s4, s3
	s_mov_b32 s17, 0
	s_load_b32 s2, s[2:3], 0x740
	s_mov_b32 s19, s17
	s_mov_b32 s21, s17
	s_waitcnt vmcnt(0)
	v_readfirstlane_b32 s5, v1
	s_delay_alu instid0(VALU_DEP_1)
	s_lshl_b32 s3, s5, 3
	s_clause 0x2
	s_load_b64 s[10:11], s[0:1], s3 offset:0x0
	s_load_b64 s[12:13], s[0:1], s3 offset:0x200
	;; [unrolled: 1-line block ×3, first 2 shown]
	s_waitcnt lgkmcnt(0)
	s_ashr_i32 s3, s2, 31
	s_delay_alu instid0(SALU_CYCLE_1) | instskip(NEXT) | instid1(SALU_CYCLE_1)
	s_lshl_b64 s[4:5], s[2:3], 17
	s_add_u32 s8, s10, s4
	s_addc_u32 s9, s11, s5
	s_and_b32 s16, s8, 7
	s_add_u32 s14, s12, s4
	s_addc_u32 s15, s13, s5
	s_and_b32 s18, s6, 3
	s_and_b32 s20, s14, 7
	s_or_b64 s[16:17], s[16:17], s[18:19]
	s_lshl_b64 s[2:3], s[2:3], 16
	s_or_b64 s[16:17], s[20:21], s[16:17]
	s_sub_u32 s6, s6, s2
	s_subb_u32 s7, s7, s3
	s_cmp_eq_u64 s[16:17], 0
	s_mov_b32 s2, -1
	s_cbranch_scc0 .LBB194_5
; %bb.1:
	v_dual_mov_b32 v2, 0 :: v_dual_lshlrev_b32 v1, 2, v0
	s_mov_b32 s16, exec_lo
	s_delay_alu instid0(VALU_DEP_1)
	v_cmpx_gt_i64_e64 s[6:7], v[1:2]
	s_cbranch_execz .LBB194_4
; %bb.2:
	s_load_b32 s2, s[0:1], 0xc5c
	v_lshlrev_b32_e32 v3, 3, v0
	s_mov_b32 s17, 0
	s_waitcnt lgkmcnt(0)
	s_and_b32 s2, s2, 0xffff
	s_delay_alu instid0(SALU_CYCLE_1)
	v_add_lshl_u32 v1, v0, s2, 2
	s_lshl_b32 s18, s2, 2
	s_lshl_b32 s19, s2, 3
	s_set_inst_prefetch_distance 0x1
	.p2align	6
.LBB194_3:                              ; =>This Inner Loop Header: Depth=1
	v_add_co_u32 v4, s2, s8, v3
	s_delay_alu instid0(VALU_DEP_1) | instskip(SKIP_1) | instid1(VALU_DEP_1)
	v_add_co_ci_u32_e64 v5, null, s9, 0, s2
	v_add_co_u32 v6, s2, s14, v3
	v_add_co_ci_u32_e64 v7, null, s15, 0, s2
	global_load_b64 v[4:5], v[4:5], off
	v_cmp_le_i64_e32 vcc_lo, s[6:7], v[1:2]
	v_cmp_lt_u64_e64 s2, 0xffff, v[1:2]
	v_add_co_u32 v1, s3, v1, s18
	s_delay_alu instid0(VALU_DEP_1) | instskip(NEXT) | instid1(VALU_DEP_3)
	v_add_co_ci_u32_e64 v2, s3, 0, v2, s3
	s_or_b32 s2, vcc_lo, s2
	s_add_u32 s8, s8, s19
	s_addc_u32 s9, s9, 0
	s_add_u32 s14, s14, s19
	s_addc_u32 s15, s15, 0
	s_and_b32 s2, exec_lo, s2
	s_delay_alu instid0(SALU_CYCLE_1)
	s_or_b32 s17, s2, s17
	s_waitcnt vmcnt(0)
	v_lshrrev_b32_e32 v8, 16, v5
	v_lshrrev_b32_e32 v9, 16, v4
	v_cvt_f32_f16_e32 v4, v4
	v_cvt_f32_f16_e32 v5, v5
	s_delay_alu instid0(VALU_DEP_4) | instskip(NEXT) | instid1(VALU_DEP_4)
	v_cvt_f32_f16_e32 v8, v8
	v_cvt_f32_f16_e32 v9, v9
	s_delay_alu instid0(VALU_DEP_4) | instskip(NEXT) | instid1(VALU_DEP_3)
	v_log_f32_e32 v4, v4
	v_log_f32_e32 v5, v5
	s_delay_alu instid0(VALU_DEP_2) | instskip(NEXT) | instid1(VALU_DEP_1)
	v_log_f32_e32 v8, v8
	v_log_f32_e32 v9, v9
	v_cvt_f16_f32_e32 v4, v4
	s_delay_alu instid0(TRANS32_DEP_3) | instskip(SKIP_3) | instid1(VALU_DEP_2)
	v_cvt_f16_f32_e32 v5, v5
	s_waitcnt_depctr 0xfff
	v_cvt_f16_f32_e32 v8, v8
	v_cvt_f16_f32_e32 v9, v9
	v_pack_b32_f16 v5, v5, v8
	s_delay_alu instid0(VALU_DEP_2)
	v_pack_b32_f16 v4, v4, v9
	global_store_b64 v[6:7], v[4:5], off
	s_and_not1_b32 exec_lo, exec_lo, s17
	s_cbranch_execnz .LBB194_3
.LBB194_4:
	s_set_inst_prefetch_distance 0x2
	s_or_b32 exec_lo, exec_lo, s16
	s_mov_b32 s2, 0
.LBB194_5:
	s_delay_alu instid0(SALU_CYCLE_1)
	s_and_not1_b32 vcc_lo, exec_lo, s2
	s_cbranch_vccnz .LBB194_25
; %bb.6:
	v_cmp_lt_i64_e64 s2, s[6:7], 1
	s_delay_alu instid0(VALU_DEP_1)
	s_and_b32 vcc_lo, exec_lo, s2
	s_cbranch_vccnz .LBB194_25
; %bb.7:
	s_load_b32 s0, s[0:1], 0xc5c
	v_dual_mov_b32 v10, 0 :: v_dual_lshlrev_b32 v9, 1, v0
	v_cmp_gt_u64_e64 s1, 0x10000, s[6:7]
	s_delay_alu instid0(VALU_DEP_2) | instskip(NEXT) | instid1(VALU_DEP_1)
	v_add_co_u32 v1, s2, s10, v9
	v_add_co_ci_u32_e64 v2, null, s11, 0, s2
	v_add_co_u32 v3, s2, s12, v9
	s_delay_alu instid0(VALU_DEP_1)
	v_add_co_ci_u32_e64 v4, null, s13, 0, s2
	s_waitcnt lgkmcnt(0)
	s_and_b32 s0, s0, 0xffff
	s_and_b32 s1, s1, exec_lo
	v_mad_u64_u32 v[7:8], null, s0, 6, v[9:10]
	s_cselect_b32 s9, s7, 0
	s_cselect_b32 s8, s6, 0x10000
	s_mul_i32 s2, s0, 3
	s_lshl_b32 s14, s0, 2
	s_lshl_b32 s1, s0, 1
	v_add_co_u32 v14, s3, s14, v9
	v_add_co_u32 v9, s2, s2, v0
	s_delay_alu instid0(VALU_DEP_1) | instskip(SKIP_3) | instid1(VALU_DEP_3)
	v_add_co_ci_u32_e64 v10, null, 0, 0, s2
	v_add_co_u32 v13, s2, v0, s0
	v_add_co_u32 v5, vcc_lo, s10, v7
	v_add_co_ci_u32_e32 v6, vcc_lo, s11, v8, vcc_lo
	v_lshlrev_b32_e32 v21, 1, v13
	v_add_co_u32 v7, vcc_lo, s12, v7
	v_add_co_ci_u32_e64 v15, null, 0, 0, s3
	v_add_co_ci_u32_e32 v8, vcc_lo, s13, v8, vcc_lo
	v_add_co_u32 v17, s1, s1, v0
	v_add_co_u32 v11, vcc_lo, s10, v14
	v_add_co_ci_u32_e64 v18, null, 0, 0, s1
	v_add_co_u32 v19, s1, s10, v21
	v_add_co_ci_u32_e32 v12, vcc_lo, s11, v15, vcc_lo
	v_add_co_u32 v14, vcc_lo, s12, v14
	v_add_co_ci_u32_e64 v20, null, s11, 0, s1
	v_add_co_u32 v21, s1, s12, v21
	v_add_co_ci_u32_e32 v15, vcc_lo, s13, v15, vcc_lo
	v_add_co_ci_u32_e64 v16, null, 0, 0, s2
	v_add_co_ci_u32_e64 v22, null, s13, 0, s1
	s_lshl_b32 s12, s0, 3
	s_mov_b64 s[10:11], 0
	s_branch .LBB194_9
.LBB194_8:                              ;   in Loop: Header=BB194_9 Depth=1
	s_or_b32 exec_lo, exec_lo, s0
	v_add_co_u32 v1, vcc_lo, v1, s12
	v_add_co_ci_u32_e32 v2, vcc_lo, 0, v2, vcc_lo
	v_add_co_u32 v3, vcc_lo, v3, s12
	v_add_co_ci_u32_e32 v4, vcc_lo, 0, v4, vcc_lo
	;; [unrolled: 2-line block ×5, first 2 shown]
	s_add_u32 s10, s10, s14
	v_add_co_u32 v14, vcc_lo, v14, s12
	s_addc_u32 s11, s11, 0
	v_add_co_ci_u32_e32 v15, vcc_lo, 0, v15, vcc_lo
	v_cmp_ge_i64_e64 s0, s[10:11], s[6:7]
	v_cmp_lt_u64_e64 s1, 0xffff, s[10:11]
	v_add_co_u32 v19, vcc_lo, v19, s12
	v_add_co_ci_u32_e32 v20, vcc_lo, 0, v20, vcc_lo
	v_add_co_u32 v21, vcc_lo, v21, s12
	v_add_co_ci_u32_e32 v22, vcc_lo, 0, v22, vcc_lo
	s_or_b32 s0, s0, s1
	s_delay_alu instid0(SALU_CYCLE_1)
	s_and_b32 vcc_lo, exec_lo, s0
	s_cbranch_vccnz .LBB194_25
.LBB194_9:                              ; =>This Inner Loop Header: Depth=1
	s_waitcnt vmcnt(0)
	v_add_co_u32 v23, s0, v0, s10
	s_delay_alu instid0(VALU_DEP_1) | instskip(NEXT) | instid1(VALU_DEP_1)
	v_add_co_ci_u32_e64 v24, null, 0, s11, s0
	v_cmp_gt_u64_e32 vcc_lo, s[8:9], v[23:24]
	v_mov_b32_e32 v24, 0
	s_and_saveexec_b32 s1, vcc_lo
	s_cbranch_execz .LBB194_11
; %bb.10:                               ;   in Loop: Header=BB194_9 Depth=1
	v_add_co_u32 v23, s0, v1, s4
	s_delay_alu instid0(VALU_DEP_1)
	v_add_co_ci_u32_e64 v24, s0, s5, v2, s0
	global_load_u16 v24, v[23:24], off
.LBB194_11:                             ;   in Loop: Header=BB194_9 Depth=1
	s_or_b32 exec_lo, exec_lo, s1
	v_add_co_u32 v25, s0, v13, s10
	s_delay_alu instid0(VALU_DEP_1) | instskip(NEXT) | instid1(VALU_DEP_1)
	v_add_co_ci_u32_e64 v26, s0, s11, v16, s0
	v_cmp_gt_u64_e64 s0, s[8:9], v[25:26]
	v_mov_b32_e32 v25, 0
	s_delay_alu instid0(VALU_DEP_2)
	s_and_saveexec_b32 s2, s0
	s_cbranch_execz .LBB194_13
; %bb.12:                               ;   in Loop: Header=BB194_9 Depth=1
	v_add_co_u32 v25, s1, v19, s4
	s_delay_alu instid0(VALU_DEP_1)
	v_add_co_ci_u32_e64 v26, s1, s5, v20, s1
	global_load_u16 v25, v[25:26], off
.LBB194_13:                             ;   in Loop: Header=BB194_9 Depth=1
	s_or_b32 exec_lo, exec_lo, s2
	v_add_co_u32 v26, s1, v17, s10
	s_delay_alu instid0(VALU_DEP_1) | instskip(SKIP_1) | instid1(VALU_DEP_2)
	v_add_co_ci_u32_e64 v27, s1, s11, v18, s1
	v_mov_b32_e32 v23, 0
	v_cmp_gt_u64_e64 s1, s[8:9], v[26:27]
	v_mov_b32_e32 v26, 0
	s_delay_alu instid0(VALU_DEP_2)
	s_and_saveexec_b32 s3, s1
	s_cbranch_execz .LBB194_15
; %bb.14:                               ;   in Loop: Header=BB194_9 Depth=1
	v_add_co_u32 v26, s2, v11, s4
	s_delay_alu instid0(VALU_DEP_1)
	v_add_co_ci_u32_e64 v27, s2, s5, v12, s2
	global_load_u16 v26, v[26:27], off
.LBB194_15:                             ;   in Loop: Header=BB194_9 Depth=1
	s_or_b32 exec_lo, exec_lo, s3
	v_add_co_u32 v27, s2, v9, s10
	s_delay_alu instid0(VALU_DEP_1) | instskip(NEXT) | instid1(VALU_DEP_1)
	v_add_co_ci_u32_e64 v28, s2, s11, v10, s2
	v_cmp_gt_u64_e64 s2, s[8:9], v[27:28]
	s_delay_alu instid0(VALU_DEP_1)
	s_and_saveexec_b32 s13, s2
	s_cbranch_execnz .LBB194_20
; %bb.16:                               ;   in Loop: Header=BB194_9 Depth=1
	s_or_b32 exec_lo, exec_lo, s13
	s_and_saveexec_b32 s3, vcc_lo
	s_cbranch_execnz .LBB194_21
.LBB194_17:                             ;   in Loop: Header=BB194_9 Depth=1
	s_or_b32 exec_lo, exec_lo, s3
	s_and_saveexec_b32 s3, s0
	s_cbranch_execnz .LBB194_22
.LBB194_18:                             ;   in Loop: Header=BB194_9 Depth=1
	s_or_b32 exec_lo, exec_lo, s3
	s_and_saveexec_b32 s0, s1
	s_cbranch_execnz .LBB194_23
.LBB194_19:                             ;   in Loop: Header=BB194_9 Depth=1
	s_or_b32 exec_lo, exec_lo, s0
	s_and_saveexec_b32 s0, s2
	s_cbranch_execz .LBB194_8
	s_branch .LBB194_24
.LBB194_20:                             ;   in Loop: Header=BB194_9 Depth=1
	v_add_co_u32 v27, s3, v5, s4
	s_delay_alu instid0(VALU_DEP_1)
	v_add_co_ci_u32_e64 v28, s3, s5, v6, s3
	global_load_u16 v23, v[27:28], off
	s_or_b32 exec_lo, exec_lo, s13
	s_and_saveexec_b32 s3, vcc_lo
	s_cbranch_execz .LBB194_17
.LBB194_21:                             ;   in Loop: Header=BB194_9 Depth=1
	s_waitcnt vmcnt(0)
	v_cvt_f32_f16_e32 v24, v24
	v_add_co_u32 v27, vcc_lo, v3, s4
	v_add_co_ci_u32_e32 v28, vcc_lo, s5, v4, vcc_lo
	s_delay_alu instid0(VALU_DEP_3)
	v_log_f32_e32 v24, v24
	s_waitcnt_depctr 0xfff
	v_cvt_f16_f32_e32 v24, v24
	global_store_b16 v[27:28], v24, off
	s_or_b32 exec_lo, exec_lo, s3
	s_and_saveexec_b32 s3, s0
	s_cbranch_execz .LBB194_18
.LBB194_22:                             ;   in Loop: Header=BB194_9 Depth=1
	s_waitcnt vmcnt(0)
	v_cvt_f32_f16_e32 v24, v25
	s_delay_alu instid0(VALU_DEP_1)
	v_log_f32_e32 v24, v24
	s_waitcnt_depctr 0xfff
	v_cvt_f16_f32_e32 v27, v24
	v_add_co_u32 v24, vcc_lo, v21, s4
	v_add_co_ci_u32_e32 v25, vcc_lo, s5, v22, vcc_lo
	global_store_b16 v[24:25], v27, off
	s_or_b32 exec_lo, exec_lo, s3
	s_and_saveexec_b32 s0, s1
	s_cbranch_execz .LBB194_19
.LBB194_23:                             ;   in Loop: Header=BB194_9 Depth=1
	s_waitcnt vmcnt(0)
	v_cvt_f32_f16_e32 v24, v26
	s_delay_alu instid0(VALU_DEP_1)
	v_log_f32_e32 v24, v24
	s_waitcnt_depctr 0xfff
	v_cvt_f16_f32_e32 v26, v24
	v_add_co_u32 v24, vcc_lo, v14, s4
	v_add_co_ci_u32_e32 v25, vcc_lo, s5, v15, vcc_lo
	global_store_b16 v[24:25], v26, off
	s_or_b32 exec_lo, exec_lo, s0
	s_and_saveexec_b32 s0, s2
	s_cbranch_execz .LBB194_8
.LBB194_24:                             ;   in Loop: Header=BB194_9 Depth=1
	s_waitcnt vmcnt(0)
	v_cvt_f32_f16_e32 v23, v23
	s_delay_alu instid0(VALU_DEP_1)
	v_log_f32_e32 v23, v23
	s_waitcnt_depctr 0xfff
	v_cvt_f16_f32_e32 v25, v23
	v_add_co_u32 v23, vcc_lo, v7, s4
	v_add_co_ci_u32_e32 v24, vcc_lo, s5, v8, vcc_lo
	global_store_b16 v[23:24], v25, off
	s_branch .LBB194_8
.LBB194_25:
	s_nop 0
	s_sendmsg sendmsg(MSG_DEALLOC_VGPRS)
	s_endpgm
	.section	.rodata,"a",@progbits
	.p2align	6, 0x0
	.amdhsa_kernel _ZN2at6native12_GLOBAL__N_125multi_tensor_apply_kernelINS1_18TensorListMetadataILi2EEENS1_14UnaryOpFunctorIN3c104HalfELi2ELi1ELi1EEEJNS0_4Log2IfEEEEEvT_T0_DpT1_
		.amdhsa_group_segment_fixed_size 0
		.amdhsa_private_segment_fixed_size 0
		.amdhsa_kernarg_size 3408
		.amdhsa_user_sgpr_count 15
		.amdhsa_user_sgpr_dispatch_ptr 0
		.amdhsa_user_sgpr_queue_ptr 0
		.amdhsa_user_sgpr_kernarg_segment_ptr 1
		.amdhsa_user_sgpr_dispatch_id 0
		.amdhsa_user_sgpr_private_segment_size 0
		.amdhsa_wavefront_size32 1
		.amdhsa_uses_dynamic_stack 0
		.amdhsa_enable_private_segment 0
		.amdhsa_system_sgpr_workgroup_id_x 1
		.amdhsa_system_sgpr_workgroup_id_y 0
		.amdhsa_system_sgpr_workgroup_id_z 0
		.amdhsa_system_sgpr_workgroup_info 0
		.amdhsa_system_vgpr_workitem_id 0
		.amdhsa_next_free_vgpr 29
		.amdhsa_next_free_sgpr 22
		.amdhsa_reserve_vcc 1
		.amdhsa_float_round_mode_32 0
		.amdhsa_float_round_mode_16_64 0
		.amdhsa_float_denorm_mode_32 3
		.amdhsa_float_denorm_mode_16_64 3
		.amdhsa_dx10_clamp 1
		.amdhsa_ieee_mode 1
		.amdhsa_fp16_overflow 0
		.amdhsa_workgroup_processor_mode 1
		.amdhsa_memory_ordered 1
		.amdhsa_forward_progress 0
		.amdhsa_shared_vgpr_count 0
		.amdhsa_exception_fp_ieee_invalid_op 0
		.amdhsa_exception_fp_denorm_src 0
		.amdhsa_exception_fp_ieee_div_zero 0
		.amdhsa_exception_fp_ieee_overflow 0
		.amdhsa_exception_fp_ieee_underflow 0
		.amdhsa_exception_fp_ieee_inexact 0
		.amdhsa_exception_int_div_zero 0
	.end_amdhsa_kernel
	.section	.text._ZN2at6native12_GLOBAL__N_125multi_tensor_apply_kernelINS1_18TensorListMetadataILi2EEENS1_14UnaryOpFunctorIN3c104HalfELi2ELi1ELi1EEEJNS0_4Log2IfEEEEEvT_T0_DpT1_,"axG",@progbits,_ZN2at6native12_GLOBAL__N_125multi_tensor_apply_kernelINS1_18TensorListMetadataILi2EEENS1_14UnaryOpFunctorIN3c104HalfELi2ELi1ELi1EEEJNS0_4Log2IfEEEEEvT_T0_DpT1_,comdat
.Lfunc_end194:
	.size	_ZN2at6native12_GLOBAL__N_125multi_tensor_apply_kernelINS1_18TensorListMetadataILi2EEENS1_14UnaryOpFunctorIN3c104HalfELi2ELi1ELi1EEEJNS0_4Log2IfEEEEEvT_T0_DpT1_, .Lfunc_end194-_ZN2at6native12_GLOBAL__N_125multi_tensor_apply_kernelINS1_18TensorListMetadataILi2EEENS1_14UnaryOpFunctorIN3c104HalfELi2ELi1ELi1EEEJNS0_4Log2IfEEEEEvT_T0_DpT1_
                                        ; -- End function
	.section	.AMDGPU.csdata,"",@progbits
; Kernel info:
; codeLenInByte = 1540
; NumSgprs: 24
; NumVgprs: 29
; ScratchSize: 0
; MemoryBound: 0
; FloatMode: 240
; IeeeMode: 1
; LDSByteSize: 0 bytes/workgroup (compile time only)
; SGPRBlocks: 2
; VGPRBlocks: 3
; NumSGPRsForWavesPerEU: 24
; NumVGPRsForWavesPerEU: 29
; Occupancy: 16
; WaveLimiterHint : 0
; COMPUTE_PGM_RSRC2:SCRATCH_EN: 0
; COMPUTE_PGM_RSRC2:USER_SGPR: 15
; COMPUTE_PGM_RSRC2:TRAP_HANDLER: 0
; COMPUTE_PGM_RSRC2:TGID_X_EN: 1
; COMPUTE_PGM_RSRC2:TGID_Y_EN: 0
; COMPUTE_PGM_RSRC2:TGID_Z_EN: 0
; COMPUTE_PGM_RSRC2:TIDIG_COMP_CNT: 0
	.section	.text._ZN2at6native12_GLOBAL__N_125multi_tensor_apply_kernelINS1_18TensorListMetadataILi2EEENS1_14UnaryOpFunctorIN3c108BFloat16ELi2ELi1ELi1EEEJNS0_4Log2IfEEEEEvT_T0_DpT1_,"axG",@progbits,_ZN2at6native12_GLOBAL__N_125multi_tensor_apply_kernelINS1_18TensorListMetadataILi2EEENS1_14UnaryOpFunctorIN3c108BFloat16ELi2ELi1ELi1EEEJNS0_4Log2IfEEEEEvT_T0_DpT1_,comdat
	.globl	_ZN2at6native12_GLOBAL__N_125multi_tensor_apply_kernelINS1_18TensorListMetadataILi2EEENS1_14UnaryOpFunctorIN3c108BFloat16ELi2ELi1ELi1EEEJNS0_4Log2IfEEEEEvT_T0_DpT1_ ; -- Begin function _ZN2at6native12_GLOBAL__N_125multi_tensor_apply_kernelINS1_18TensorListMetadataILi2EEENS1_14UnaryOpFunctorIN3c108BFloat16ELi2ELi1ELi1EEEJNS0_4Log2IfEEEEEvT_T0_DpT1_
	.p2align	8
	.type	_ZN2at6native12_GLOBAL__N_125multi_tensor_apply_kernelINS1_18TensorListMetadataILi2EEENS1_14UnaryOpFunctorIN3c108BFloat16ELi2ELi1ELi1EEEJNS0_4Log2IfEEEEEvT_T0_DpT1_,@function
_ZN2at6native12_GLOBAL__N_125multi_tensor_apply_kernelINS1_18TensorListMetadataILi2EEENS1_14UnaryOpFunctorIN3c108BFloat16ELi2ELi1ELi1EEEJNS0_4Log2IfEEEEEvT_T0_DpT1_: ; @_ZN2at6native12_GLOBAL__N_125multi_tensor_apply_kernelINS1_18TensorListMetadataILi2EEENS1_14UnaryOpFunctorIN3c108BFloat16ELi2ELi1ELi1EEEJNS0_4Log2IfEEEEEvT_T0_DpT1_
; %bb.0:
	v_mov_b32_e32 v1, s15
	s_add_u32 s2, s0, s15
	s_mul_hi_u32 s3, s15, 3
	s_mul_i32 s15, s15, 3
	s_addc_u32 s4, s1, 0
	global_load_u8 v1, v1, s[0:1] offset:1536
	s_add_u32 s2, s2, s15
	s_addc_u32 s3, s4, s3
	s_mov_b32 s7, 0
	s_load_b32 s2, s[2:3], 0x740
	s_mov_b32 s17, s7
	s_mov_b32 s11, s7
	s_waitcnt vmcnt(0)
	v_readfirstlane_b32 s5, v1
	s_delay_alu instid0(VALU_DEP_1)
	s_lshl_b32 s3, s5, 3
	s_clause 0x2
	s_load_b64 s[12:13], s[0:1], s3 offset:0x0
	s_load_b64 s[14:15], s[0:1], s3 offset:0x200
	;; [unrolled: 1-line block ×3, first 2 shown]
	s_waitcnt lgkmcnt(0)
	s_ashr_i32 s3, s2, 31
	s_delay_alu instid0(SALU_CYCLE_1) | instskip(SKIP_4) | instid1(SALU_CYCLE_1)
	s_lshl_b64 s[8:9], s[2:3], 17
	s_lshl_b64 s[2:3], s[2:3], 16
	s_and_b32 s6, s12, 7
	s_and_b32 s10, s14, 7
	;; [unrolled: 1-line block ×3, first 2 shown]
	s_or_b64 s[6:7], s[6:7], s[16:17]
	s_delay_alu instid0(SALU_CYCLE_1)
	s_or_b64 s[6:7], s[10:11], s[6:7]
	s_sub_u32 s10, s4, s2
	s_subb_u32 s11, s5, s3
	s_cmp_eq_u64 s[6:7], 0
	s_mov_b32 s2, -1
	s_cbranch_scc0 .LBB195_5
; %bb.1:
	v_dual_mov_b32 v2, 0 :: v_dual_lshlrev_b32 v1, 2, v0
	s_mov_b32 s7, exec_lo
	s_delay_alu instid0(VALU_DEP_1)
	v_cmpx_gt_i64_e64 s[10:11], v[1:2]
	s_cbranch_execz .LBB195_4
; %bb.2:
	s_load_b32 s2, s[0:1], 0xc5c
	v_lshlrev_b32_e32 v1, 3, v0
	s_mov_b32 s16, 0
	s_delay_alu instid0(VALU_DEP_1) | instskip(NEXT) | instid1(VALU_DEP_1)
	v_add_co_u32 v3, s3, s8, v1
	v_add_co_ci_u32_e64 v4, null, s9, 0, s3
	s_waitcnt lgkmcnt(0)
	s_and_b32 s2, s2, 0xffff
	s_delay_alu instid0(SALU_CYCLE_1)
	v_add_lshl_u32 v1, v0, s2, 2
	s_lshl_b32 s17, s2, 3
	s_lshl_b32 s18, s2, 2
.LBB195_3:                              ; =>This Inner Loop Header: Depth=1
	v_add_co_u32 v5, vcc_lo, s12, v3
	v_add_co_ci_u32_e32 v6, vcc_lo, s13, v4, vcc_lo
	v_add_co_u32 v7, vcc_lo, s14, v3
	v_add_co_ci_u32_e32 v8, vcc_lo, s15, v4, vcc_lo
	global_load_b64 v[5:6], v[5:6], off
	v_cmp_le_i64_e32 vcc_lo, s[10:11], v[1:2]
	v_cmp_lt_u64_e64 s2, 0xffff, v[1:2]
	v_add_co_u32 v3, s3, v3, s17
	s_delay_alu instid0(VALU_DEP_1) | instskip(SKIP_1) | instid1(VALU_DEP_4)
	v_add_co_ci_u32_e64 v4, s3, 0, v4, s3
	v_add_co_u32 v1, s3, v1, s18
	s_or_b32 s2, vcc_lo, s2
	v_add_co_ci_u32_e64 v2, s3, 0, v2, s3
	s_and_b32 s2, exec_lo, s2
	s_delay_alu instid0(SALU_CYCLE_1) | instskip(SKIP_2) | instid1(VALU_DEP_1)
	s_or_b32 s16, s2, s16
	s_waitcnt vmcnt(0)
	v_and_b32_e32 v10, 0xffff0000, v5
	v_cmp_gt_f32_e64 s5, 0x800000, v10
	s_delay_alu instid0(VALU_DEP_1) | instskip(SKIP_3) | instid1(VALU_DEP_4)
	v_cndmask_b32_e64 v12, 1.0, 0x4f800000, s5
	v_lshlrev_b32_e32 v9, 16, v5
	v_alignbit_b32 v5, v6, v5, 16
	v_cndmask_b32_e64 v14, 0, 0x42000000, s5
	v_mul_f32_e32 v10, v10, v12
	s_delay_alu instid0(VALU_DEP_4) | instskip(NEXT) | instid1(VALU_DEP_2)
	v_cmp_gt_f32_e64 s4, 0x800000, v9
	v_log_f32_e32 v10, v10
	s_delay_alu instid0(VALU_DEP_1) | instskip(SKIP_1) | instid1(VALU_DEP_2)
	v_cndmask_b32_e64 v11, 1.0, 0x4f800000, s4
	v_and_b32_e32 v5, 0xffff0000, v5
	v_mul_f32_e32 v9, v9, v11
	v_cndmask_b32_e64 v11, 0, 0x42000000, s4
	s_waitcnt_depctr 0xfff
	v_sub_f32_e32 v10, v10, v14
	v_cmp_gt_f32_e64 s4, 0x800000, v5
	v_log_f32_e32 v9, v9
	s_delay_alu instid0(VALU_DEP_2) | instskip(NEXT) | instid1(VALU_DEP_2)
	v_cmp_o_f32_e64 s5, v10, v10
	v_cndmask_b32_e64 v12, 1.0, 0x4f800000, s4
	s_delay_alu instid0(VALU_DEP_1) | instskip(NEXT) | instid1(VALU_DEP_1)
	v_dual_mul_f32 v5, v5, v12 :: v_dual_and_b32 v6, 0xffff0000, v6
	v_cmp_gt_f32_e64 s6, 0x800000, v6
	v_cndmask_b32_e64 v12, 0, 0x42000000, s4
	s_waitcnt_depctr 0xfff
	v_sub_f32_e32 v9, v9, v11
	v_log_f32_e32 v5, v5
	v_cndmask_b32_e64 v13, 1.0, 0x4f800000, s6
	s_delay_alu instid0(VALU_DEP_2) | instskip(SKIP_1) | instid1(VALU_DEP_3)
	v_bfe_u32 v11, v9, 16, 1
	v_cmp_o_f32_e64 s4, v9, v9
	v_mul_f32_e32 v6, v6, v13
	v_cndmask_b32_e64 v13, 0, 0x42000000, s6
	s_delay_alu instid0(VALU_DEP_4) | instskip(NEXT) | instid1(TRANS32_DEP_1)
	v_add3_u32 v11, v9, v11, 0x7fff
	v_sub_f32_e32 v5, v5, v12
	s_delay_alu instid0(VALU_DEP_4) | instskip(SKIP_1) | instid1(VALU_DEP_3)
	v_log_f32_e32 v6, v6
	v_bfe_u32 v12, v10, 16, 1
	v_lshrrev_b32_e32 v11, 16, v11
	s_delay_alu instid0(VALU_DEP_3) | instskip(NEXT) | instid1(VALU_DEP_3)
	v_bfe_u32 v14, v5, 16, 1
	v_add3_u32 v12, v10, v12, 0x7fff
	s_delay_alu instid0(VALU_DEP_3) | instskip(NEXT) | instid1(VALU_DEP_3)
	v_cndmask_b32_e64 v11, 0x7fc0, v11, s4
	v_add3_u32 v14, v5, v14, 0x7fff
	s_delay_alu instid0(TRANS32_DEP_1) | instskip(NEXT) | instid1(VALU_DEP_4)
	v_sub_f32_e32 v6, v6, v13
	v_and_b32_e32 v12, 0xffff0000, v12
	s_delay_alu instid0(VALU_DEP_3) | instskip(NEXT) | instid1(VALU_DEP_3)
	v_lshrrev_b32_e32 v9, 16, v14
	v_bfe_u32 v13, v6, 16, 1
	v_cmp_o_f32_e64 s4, v6, v6
	s_delay_alu instid0(VALU_DEP_4) | instskip(NEXT) | instid1(VALU_DEP_3)
	v_cndmask_b32_e64 v10, 0x7fc00000, v12, s5
	v_add3_u32 v13, v6, v13, 0x7fff
	s_delay_alu instid0(VALU_DEP_1) | instskip(NEXT) | instid1(VALU_DEP_1)
	v_and_b32_e32 v13, 0xffff0000, v13
	v_cndmask_b32_e64 v6, 0x7fc00000, v13, s4
	v_cmp_o_f32_e64 s4, v5, v5
	s_delay_alu instid0(VALU_DEP_1) | instskip(SKIP_1) | instid1(VALU_DEP_2)
	v_cndmask_b32_e64 v5, 0x7fc0, v9, s4
	v_or_b32_e32 v9, v11, v10
	v_or3_b32 v6, 0, v5, v6
	s_delay_alu instid0(VALU_DEP_2)
	v_or3_b32 v5, v9, 0, 0
	global_store_b64 v[7:8], v[5:6], off
	s_and_not1_b32 exec_lo, exec_lo, s16
	s_cbranch_execnz .LBB195_3
.LBB195_4:
	s_or_b32 exec_lo, exec_lo, s7
	s_mov_b32 s2, 0
.LBB195_5:
	s_delay_alu instid0(SALU_CYCLE_1)
	s_and_not1_b32 vcc_lo, exec_lo, s2
	s_cbranch_vccnz .LBB195_25
; %bb.6:
	v_cmp_lt_i64_e64 s2, s[10:11], 1
	s_delay_alu instid0(VALU_DEP_1)
	s_and_b32 vcc_lo, exec_lo, s2
	s_cbranch_vccnz .LBB195_25
; %bb.7:
	s_load_b32 s0, s[0:1], 0xc5c
	v_dual_mov_b32 v10, 0 :: v_dual_lshlrev_b32 v9, 1, v0
	v_cmp_gt_u64_e64 s1, 0x10000, s[10:11]
	s_mov_b64 s[6:7], 0
	s_delay_alu instid0(VALU_DEP_2) | instskip(NEXT) | instid1(VALU_DEP_1)
	v_add_co_u32 v1, s2, s12, v9
	v_add_co_ci_u32_e64 v2, null, s13, 0, s2
	v_add_co_u32 v3, s2, s14, v9
	s_delay_alu instid0(VALU_DEP_1)
	v_add_co_ci_u32_e64 v4, null, s15, 0, s2
	s_waitcnt lgkmcnt(0)
	s_and_b32 s0, s0, 0xffff
	s_and_b32 s1, s1, exec_lo
	v_mad_u64_u32 v[7:8], null, s0, 6, v[9:10]
	s_cselect_b32 s5, s11, 0
	s_cselect_b32 s4, s10, 0x10000
	s_mul_i32 s2, s0, 3
	s_lshl_b32 s16, s0, 2
	s_lshl_b32 s1, s0, 1
	v_add_co_u32 v14, s3, s16, v9
	v_add_co_u32 v9, s2, s2, v0
	s_delay_alu instid0(VALU_DEP_1) | instskip(SKIP_3) | instid1(VALU_DEP_3)
	v_add_co_ci_u32_e64 v10, null, 0, 0, s2
	v_add_co_u32 v13, s2, v0, s0
	v_add_co_u32 v5, vcc_lo, s12, v7
	v_add_co_ci_u32_e32 v6, vcc_lo, s13, v8, vcc_lo
	v_lshlrev_b32_e32 v21, 1, v13
	v_add_co_u32 v7, vcc_lo, s14, v7
	v_add_co_ci_u32_e64 v15, null, 0, 0, s3
	v_add_co_ci_u32_e32 v8, vcc_lo, s15, v8, vcc_lo
	v_add_co_u32 v17, s1, s1, v0
	v_add_co_u32 v11, vcc_lo, s12, v14
	v_add_co_ci_u32_e64 v18, null, 0, 0, s1
	v_add_co_u32 v19, s1, s12, v21
	v_add_co_ci_u32_e32 v12, vcc_lo, s13, v15, vcc_lo
	v_add_co_u32 v14, vcc_lo, s14, v14
	v_add_co_ci_u32_e64 v20, null, s13, 0, s1
	v_add_co_u32 v21, s1, s14, v21
	v_add_co_ci_u32_e32 v15, vcc_lo, s15, v15, vcc_lo
	v_add_co_ci_u32_e64 v16, null, 0, 0, s2
	v_add_co_ci_u32_e64 v22, null, s15, 0, s1
	s_lshl_b32 s12, s0, 3
	s_branch .LBB195_9
.LBB195_8:                              ;   in Loop: Header=BB195_9 Depth=1
	s_or_b32 exec_lo, exec_lo, s0
	v_add_co_u32 v1, vcc_lo, v1, s12
	v_add_co_ci_u32_e32 v2, vcc_lo, 0, v2, vcc_lo
	v_add_co_u32 v3, vcc_lo, v3, s12
	v_add_co_ci_u32_e32 v4, vcc_lo, 0, v4, vcc_lo
	;; [unrolled: 2-line block ×5, first 2 shown]
	s_add_u32 s6, s6, s16
	v_add_co_u32 v14, vcc_lo, v14, s12
	s_addc_u32 s7, s7, 0
	v_add_co_ci_u32_e32 v15, vcc_lo, 0, v15, vcc_lo
	v_cmp_ge_i64_e64 s0, s[6:7], s[10:11]
	v_cmp_lt_u64_e64 s1, 0xffff, s[6:7]
	v_add_co_u32 v19, vcc_lo, v19, s12
	v_add_co_ci_u32_e32 v20, vcc_lo, 0, v20, vcc_lo
	v_add_co_u32 v21, vcc_lo, v21, s12
	v_add_co_ci_u32_e32 v22, vcc_lo, 0, v22, vcc_lo
	s_or_b32 s0, s0, s1
	s_delay_alu instid0(SALU_CYCLE_1)
	s_and_b32 vcc_lo, exec_lo, s0
	s_cbranch_vccnz .LBB195_25
.LBB195_9:                              ; =>This Inner Loop Header: Depth=1
	s_waitcnt vmcnt(0)
	v_add_co_u32 v23, s0, v0, s6
	s_delay_alu instid0(VALU_DEP_1) | instskip(SKIP_1) | instid1(VALU_DEP_2)
	v_add_co_ci_u32_e64 v24, null, 0, s7, s0
	v_mov_b32_e32 v26, 0
	v_cmp_gt_u64_e64 s2, s[4:5], v[23:24]
	s_delay_alu instid0(VALU_DEP_1)
	s_and_saveexec_b32 s0, s2
	s_cbranch_execz .LBB195_11
; %bb.10:                               ;   in Loop: Header=BB195_9 Depth=1
	v_add_co_u32 v23, vcc_lo, v1, s8
	v_add_co_ci_u32_e32 v24, vcc_lo, s9, v2, vcc_lo
	global_load_u16 v26, v[23:24], off
.LBB195_11:                             ;   in Loop: Header=BB195_9 Depth=1
	s_or_b32 exec_lo, exec_lo, s0
	v_add_co_u32 v23, vcc_lo, v13, s6
	v_add_co_ci_u32_e32 v24, vcc_lo, s7, v16, vcc_lo
	v_mov_b32_e32 v25, 0
	s_delay_alu instid0(VALU_DEP_2) | instskip(NEXT) | instid1(VALU_DEP_1)
	v_cmp_gt_u64_e64 s1, s[4:5], v[23:24]
	s_and_saveexec_b32 s0, s1
	s_cbranch_execz .LBB195_13
; %bb.12:                               ;   in Loop: Header=BB195_9 Depth=1
	v_add_co_u32 v23, vcc_lo, v19, s8
	v_add_co_ci_u32_e32 v24, vcc_lo, s9, v20, vcc_lo
	global_load_u16 v25, v[23:24], off
.LBB195_13:                             ;   in Loop: Header=BB195_9 Depth=1
	s_or_b32 exec_lo, exec_lo, s0
	v_add_co_u32 v23, vcc_lo, v17, s6
	v_add_co_ci_u32_e32 v24, vcc_lo, s7, v18, vcc_lo
	s_delay_alu instid0(VALU_DEP_1) | instskip(SKIP_1) | instid1(VALU_DEP_2)
	v_cmp_gt_u64_e64 s0, s[4:5], v[23:24]
	v_dual_mov_b32 v23, 0 :: v_dual_mov_b32 v24, 0
	s_and_saveexec_b32 s3, s0
	s_cbranch_execz .LBB195_15
; %bb.14:                               ;   in Loop: Header=BB195_9 Depth=1
	v_add_co_u32 v27, vcc_lo, v11, s8
	v_add_co_ci_u32_e32 v28, vcc_lo, s9, v12, vcc_lo
	global_load_u16 v24, v[27:28], off
.LBB195_15:                             ;   in Loop: Header=BB195_9 Depth=1
	s_or_b32 exec_lo, exec_lo, s3
	v_add_co_u32 v27, vcc_lo, v9, s6
	v_add_co_ci_u32_e32 v28, vcc_lo, s7, v10, vcc_lo
	s_delay_alu instid0(VALU_DEP_1)
	v_cmp_gt_u64_e32 vcc_lo, s[4:5], v[27:28]
	s_and_saveexec_b32 s13, vcc_lo
	s_cbranch_execnz .LBB195_20
; %bb.16:                               ;   in Loop: Header=BB195_9 Depth=1
	s_or_b32 exec_lo, exec_lo, s13
	s_and_saveexec_b32 s3, s2
	s_cbranch_execnz .LBB195_21
.LBB195_17:                             ;   in Loop: Header=BB195_9 Depth=1
	s_or_b32 exec_lo, exec_lo, s3
	s_and_saveexec_b32 s2, s1
	s_cbranch_execnz .LBB195_22
.LBB195_18:                             ;   in Loop: Header=BB195_9 Depth=1
	s_or_b32 exec_lo, exec_lo, s2
	s_and_saveexec_b32 s1, s0
	s_cbranch_execnz .LBB195_23
.LBB195_19:                             ;   in Loop: Header=BB195_9 Depth=1
	s_or_b32 exec_lo, exec_lo, s1
	s_and_saveexec_b32 s0, vcc_lo
	s_cbranch_execz .LBB195_8
	s_branch .LBB195_24
.LBB195_20:                             ;   in Loop: Header=BB195_9 Depth=1
	v_add_co_u32 v27, s3, v5, s8
	s_delay_alu instid0(VALU_DEP_1)
	v_add_co_ci_u32_e64 v28, s3, s9, v6, s3
	global_load_u16 v23, v[27:28], off
	s_or_b32 exec_lo, exec_lo, s13
	s_and_saveexec_b32 s3, s2
	s_cbranch_execz .LBB195_17
.LBB195_21:                             ;   in Loop: Header=BB195_9 Depth=1
	s_waitcnt vmcnt(0)
	v_lshlrev_b32_e32 v26, 16, v26
	s_delay_alu instid0(VALU_DEP_1) | instskip(NEXT) | instid1(VALU_DEP_1)
	v_cmp_gt_f32_e64 s2, 0x800000, v26
	v_cndmask_b32_e64 v28, 1.0, 0x4f800000, s2
	v_cndmask_b32_e64 v27, 0, 0x42000000, s2
	s_delay_alu instid0(VALU_DEP_2) | instskip(NEXT) | instid1(VALU_DEP_1)
	v_mul_f32_e32 v26, v26, v28
	v_log_f32_e32 v26, v26
	s_waitcnt_depctr 0xfff
	v_sub_f32_e32 v26, v26, v27
	s_delay_alu instid0(VALU_DEP_1) | instskip(SKIP_1) | instid1(VALU_DEP_2)
	v_bfe_u32 v27, v26, 16, 1
	v_cmp_o_f32_e64 s2, v26, v26
	v_add3_u32 v27, v26, v27, 0x7fff
	s_delay_alu instid0(VALU_DEP_1) | instskip(NEXT) | instid1(VALU_DEP_1)
	v_lshrrev_b32_e32 v27, 16, v27
	v_cndmask_b32_e64 v28, 0x7fc0, v27, s2
	v_add_co_u32 v26, s2, v3, s8
	s_delay_alu instid0(VALU_DEP_1)
	v_add_co_ci_u32_e64 v27, s2, s9, v4, s2
	global_store_b16 v[26:27], v28, off
	s_or_b32 exec_lo, exec_lo, s3
	s_and_saveexec_b32 s2, s1
	s_cbranch_execz .LBB195_18
.LBB195_22:                             ;   in Loop: Header=BB195_9 Depth=1
	s_waitcnt vmcnt(0)
	v_lshlrev_b32_e32 v25, 16, v25
	s_delay_alu instid0(VALU_DEP_1) | instskip(NEXT) | instid1(VALU_DEP_1)
	v_cmp_gt_f32_e64 s1, 0x800000, v25
	v_cndmask_b32_e64 v27, 1.0, 0x4f800000, s1
	v_cndmask_b32_e64 v26, 0, 0x42000000, s1
	s_delay_alu instid0(VALU_DEP_2) | instskip(NEXT) | instid1(VALU_DEP_1)
	v_mul_f32_e32 v25, v25, v27
	v_log_f32_e32 v25, v25
	s_waitcnt_depctr 0xfff
	v_sub_f32_e32 v25, v25, v26
	s_delay_alu instid0(VALU_DEP_1) | instskip(SKIP_1) | instid1(VALU_DEP_2)
	v_bfe_u32 v26, v25, 16, 1
	v_cmp_o_f32_e64 s1, v25, v25
	v_add3_u32 v26, v25, v26, 0x7fff
	s_delay_alu instid0(VALU_DEP_1) | instskip(NEXT) | instid1(VALU_DEP_1)
	v_lshrrev_b32_e32 v26, 16, v26
	v_cndmask_b32_e64 v27, 0x7fc0, v26, s1
	v_add_co_u32 v25, s1, v21, s8
	s_delay_alu instid0(VALU_DEP_1)
	v_add_co_ci_u32_e64 v26, s1, s9, v22, s1
	global_store_b16 v[25:26], v27, off
	s_or_b32 exec_lo, exec_lo, s2
	s_and_saveexec_b32 s1, s0
	s_cbranch_execz .LBB195_19
.LBB195_23:                             ;   in Loop: Header=BB195_9 Depth=1
	s_waitcnt vmcnt(0)
	v_lshlrev_b32_e32 v24, 16, v24
	s_delay_alu instid0(VALU_DEP_1) | instskip(NEXT) | instid1(VALU_DEP_1)
	v_cmp_gt_f32_e64 s0, 0x800000, v24
	v_cndmask_b32_e64 v26, 1.0, 0x4f800000, s0
	v_cndmask_b32_e64 v25, 0, 0x42000000, s0
	s_delay_alu instid0(VALU_DEP_2) | instskip(NEXT) | instid1(VALU_DEP_1)
	v_mul_f32_e32 v24, v24, v26
	v_log_f32_e32 v24, v24
	s_waitcnt_depctr 0xfff
	v_sub_f32_e32 v24, v24, v25
	s_delay_alu instid0(VALU_DEP_1) | instskip(SKIP_1) | instid1(VALU_DEP_2)
	v_bfe_u32 v25, v24, 16, 1
	v_cmp_o_f32_e64 s0, v24, v24
	v_add3_u32 v25, v24, v25, 0x7fff
	s_delay_alu instid0(VALU_DEP_1) | instskip(NEXT) | instid1(VALU_DEP_1)
	v_lshrrev_b32_e32 v25, 16, v25
	v_cndmask_b32_e64 v26, 0x7fc0, v25, s0
	v_add_co_u32 v24, s0, v14, s8
	s_delay_alu instid0(VALU_DEP_1)
	v_add_co_ci_u32_e64 v25, s0, s9, v15, s0
	global_store_b16 v[24:25], v26, off
	s_or_b32 exec_lo, exec_lo, s1
	s_and_saveexec_b32 s0, vcc_lo
	s_cbranch_execz .LBB195_8
.LBB195_24:                             ;   in Loop: Header=BB195_9 Depth=1
	s_waitcnt vmcnt(0)
	v_lshlrev_b32_e32 v23, 16, v23
	s_delay_alu instid0(VALU_DEP_1) | instskip(SKIP_2) | instid1(VALU_DEP_2)
	v_cmp_gt_f32_e32 vcc_lo, 0x800000, v23
	v_cndmask_b32_e64 v25, 1.0, 0x4f800000, vcc_lo
	v_cndmask_b32_e64 v24, 0, 0x42000000, vcc_lo
	v_mul_f32_e32 v23, v23, v25
	s_delay_alu instid0(VALU_DEP_1) | instskip(SKIP_2) | instid1(VALU_DEP_1)
	v_log_f32_e32 v23, v23
	s_waitcnt_depctr 0xfff
	v_sub_f32_e32 v23, v23, v24
	v_bfe_u32 v24, v23, 16, 1
	v_cmp_o_f32_e32 vcc_lo, v23, v23
	s_delay_alu instid0(VALU_DEP_2) | instskip(NEXT) | instid1(VALU_DEP_1)
	v_add3_u32 v24, v23, v24, 0x7fff
	v_lshrrev_b32_e32 v24, 16, v24
	s_delay_alu instid0(VALU_DEP_1)
	v_cndmask_b32_e32 v25, 0x7fc0, v24, vcc_lo
	v_add_co_u32 v23, vcc_lo, v7, s8
	v_add_co_ci_u32_e32 v24, vcc_lo, s9, v8, vcc_lo
	global_store_b16 v[23:24], v25, off
	s_branch .LBB195_8
.LBB195_25:
	s_nop 0
	s_sendmsg sendmsg(MSG_DEALLOC_VGPRS)
	s_endpgm
	.section	.rodata,"a",@progbits
	.p2align	6, 0x0
	.amdhsa_kernel _ZN2at6native12_GLOBAL__N_125multi_tensor_apply_kernelINS1_18TensorListMetadataILi2EEENS1_14UnaryOpFunctorIN3c108BFloat16ELi2ELi1ELi1EEEJNS0_4Log2IfEEEEEvT_T0_DpT1_
		.amdhsa_group_segment_fixed_size 0
		.amdhsa_private_segment_fixed_size 0
		.amdhsa_kernarg_size 3408
		.amdhsa_user_sgpr_count 15
		.amdhsa_user_sgpr_dispatch_ptr 0
		.amdhsa_user_sgpr_queue_ptr 0
		.amdhsa_user_sgpr_kernarg_segment_ptr 1
		.amdhsa_user_sgpr_dispatch_id 0
		.amdhsa_user_sgpr_private_segment_size 0
		.amdhsa_wavefront_size32 1
		.amdhsa_uses_dynamic_stack 0
		.amdhsa_enable_private_segment 0
		.amdhsa_system_sgpr_workgroup_id_x 1
		.amdhsa_system_sgpr_workgroup_id_y 0
		.amdhsa_system_sgpr_workgroup_id_z 0
		.amdhsa_system_sgpr_workgroup_info 0
		.amdhsa_system_vgpr_workitem_id 0
		.amdhsa_next_free_vgpr 29
		.amdhsa_next_free_sgpr 19
		.amdhsa_reserve_vcc 1
		.amdhsa_float_round_mode_32 0
		.amdhsa_float_round_mode_16_64 0
		.amdhsa_float_denorm_mode_32 3
		.amdhsa_float_denorm_mode_16_64 3
		.amdhsa_dx10_clamp 1
		.amdhsa_ieee_mode 1
		.amdhsa_fp16_overflow 0
		.amdhsa_workgroup_processor_mode 1
		.amdhsa_memory_ordered 1
		.amdhsa_forward_progress 0
		.amdhsa_shared_vgpr_count 0
		.amdhsa_exception_fp_ieee_invalid_op 0
		.amdhsa_exception_fp_denorm_src 0
		.amdhsa_exception_fp_ieee_div_zero 0
		.amdhsa_exception_fp_ieee_overflow 0
		.amdhsa_exception_fp_ieee_underflow 0
		.amdhsa_exception_fp_ieee_inexact 0
		.amdhsa_exception_int_div_zero 0
	.end_amdhsa_kernel
	.section	.text._ZN2at6native12_GLOBAL__N_125multi_tensor_apply_kernelINS1_18TensorListMetadataILi2EEENS1_14UnaryOpFunctorIN3c108BFloat16ELi2ELi1ELi1EEEJNS0_4Log2IfEEEEEvT_T0_DpT1_,"axG",@progbits,_ZN2at6native12_GLOBAL__N_125multi_tensor_apply_kernelINS1_18TensorListMetadataILi2EEENS1_14UnaryOpFunctorIN3c108BFloat16ELi2ELi1ELi1EEEJNS0_4Log2IfEEEEEvT_T0_DpT1_,comdat
.Lfunc_end195:
	.size	_ZN2at6native12_GLOBAL__N_125multi_tensor_apply_kernelINS1_18TensorListMetadataILi2EEENS1_14UnaryOpFunctorIN3c108BFloat16ELi2ELi1ELi1EEEJNS0_4Log2IfEEEEEvT_T0_DpT1_, .Lfunc_end195-_ZN2at6native12_GLOBAL__N_125multi_tensor_apply_kernelINS1_18TensorListMetadataILi2EEENS1_14UnaryOpFunctorIN3c108BFloat16ELi2ELi1ELi1EEEJNS0_4Log2IfEEEEEvT_T0_DpT1_
                                        ; -- End function
	.section	.AMDGPU.csdata,"",@progbits
; Kernel info:
; codeLenInByte = 2288
; NumSgprs: 21
; NumVgprs: 29
; ScratchSize: 0
; MemoryBound: 0
; FloatMode: 240
; IeeeMode: 1
; LDSByteSize: 0 bytes/workgroup (compile time only)
; SGPRBlocks: 2
; VGPRBlocks: 3
; NumSGPRsForWavesPerEU: 21
; NumVGPRsForWavesPerEU: 29
; Occupancy: 16
; WaveLimiterHint : 0
; COMPUTE_PGM_RSRC2:SCRATCH_EN: 0
; COMPUTE_PGM_RSRC2:USER_SGPR: 15
; COMPUTE_PGM_RSRC2:TRAP_HANDLER: 0
; COMPUTE_PGM_RSRC2:TGID_X_EN: 1
; COMPUTE_PGM_RSRC2:TGID_Y_EN: 0
; COMPUTE_PGM_RSRC2:TGID_Z_EN: 0
; COMPUTE_PGM_RSRC2:TIDIG_COMP_CNT: 0
	.section	.text._ZN2at6native12_GLOBAL__N_125multi_tensor_apply_kernelINS1_18TensorListMetadataILi1EEENS1_14UnaryOpFunctorIdLi1ELi1ELi0EEEJNS0_4Log2IdEEEEEvT_T0_DpT1_,"axG",@progbits,_ZN2at6native12_GLOBAL__N_125multi_tensor_apply_kernelINS1_18TensorListMetadataILi1EEENS1_14UnaryOpFunctorIdLi1ELi1ELi0EEEJNS0_4Log2IdEEEEEvT_T0_DpT1_,comdat
	.globl	_ZN2at6native12_GLOBAL__N_125multi_tensor_apply_kernelINS1_18TensorListMetadataILi1EEENS1_14UnaryOpFunctorIdLi1ELi1ELi0EEEJNS0_4Log2IdEEEEEvT_T0_DpT1_ ; -- Begin function _ZN2at6native12_GLOBAL__N_125multi_tensor_apply_kernelINS1_18TensorListMetadataILi1EEENS1_14UnaryOpFunctorIdLi1ELi1ELi0EEEJNS0_4Log2IdEEEEEvT_T0_DpT1_
	.p2align	8
	.type	_ZN2at6native12_GLOBAL__N_125multi_tensor_apply_kernelINS1_18TensorListMetadataILi1EEENS1_14UnaryOpFunctorIdLi1ELi1ELi0EEEJNS0_4Log2IdEEEEEvT_T0_DpT1_,@function
_ZN2at6native12_GLOBAL__N_125multi_tensor_apply_kernelINS1_18TensorListMetadataILi1EEENS1_14UnaryOpFunctorIdLi1ELi1ELi0EEEJNS0_4Log2IdEEEEEvT_T0_DpT1_: ; @_ZN2at6native12_GLOBAL__N_125multi_tensor_apply_kernelINS1_18TensorListMetadataILi1EEENS1_14UnaryOpFunctorIdLi1ELi1ELi0EEEJNS0_4Log2IdEEEEEvT_T0_DpT1_
; %bb.0:
	v_mov_b32_e32 v1, s15
	s_add_u32 s2, s0, s15
	s_mul_hi_u32 s3, s15, 3
	s_mul_i32 s15, s15, 3
	s_addc_u32 s4, s1, 0
	global_load_u8 v1, v1, s[0:1] offset:1760
	s_add_u32 s2, s2, s15
	s_addc_u32 s3, s4, s3
	s_mov_b32 s13, 0
	s_load_b32 s2, s[2:3], 0x820
	s_waitcnt vmcnt(0)
	v_readfirstlane_b32 s5, v1
	s_delay_alu instid0(VALU_DEP_1)
	s_lshl_b32 s3, s5, 3
	s_clause 0x1
	s_load_b64 s[8:9], s[0:1], s3 offset:0x0
	s_load_b64 s[4:5], s[0:1], s3 offset:0x370
	s_waitcnt lgkmcnt(0)
	s_ashr_i32 s3, s2, 31
	s_delay_alu instid0(SALU_CYCLE_1)
	s_lshl_b64 s[10:11], s[2:3], 19
	s_lshl_b64 s[2:3], s[2:3], 16
	s_and_b32 s12, s8, 31
	s_sub_u32 s6, s4, s2
	s_subb_u32 s7, s5, s3
	s_and_b32 s2, s4, 3
	s_mov_b32 s3, s13
	s_delay_alu instid0(SALU_CYCLE_1) | instskip(NEXT) | instid1(SALU_CYCLE_1)
	s_or_b64 s[2:3], s[12:13], s[2:3]
	s_cmp_eq_u64 s[2:3], 0
	s_cbranch_scc1 .LBB196_21
; %bb.1:
	v_cmp_lt_i64_e64 s2, s[6:7], 1
	s_delay_alu instid0(VALU_DEP_1)
	s_and_b32 vcc_lo, exec_lo, s2
	s_cbranch_vccnz .LBB196_20
; %bb.2:
	s_load_b32 s2, s[0:1], 0xd3c
	v_cmp_gt_u64_e64 s3, 0x10000, s[6:7]
	v_dual_mov_b32 v1, 0 :: v_dual_lshlrev_b32 v2, 3, v0
	s_mov_b32 s14, 0x55555555
	s_mov_b32 s16, 0x6b47b09a
	;; [unrolled: 1-line block ×16, first 2 shown]
	s_waitcnt lgkmcnt(0)
	s_and_b32 s2, s2, 0xffff
	s_and_b32 s3, s3, exec_lo
	v_add_co_u32 v15, s5, v0, s2
	s_mul_i32 s4, s2, 3
	s_cselect_b32 s13, s7, 0
	s_cselect_b32 s12, s6, 0x10000
	s_lshl_b32 s3, s2, 1
	s_lshl_b32 s33, s2, 2
	s_add_u32 s34, s8, s10
	v_add_co_u32 v16, s4, s4, v0
	s_delay_alu instid0(VALU_DEP_1)
	v_add_co_ci_u32_e64 v17, null, 0, 0, s4
	v_add_co_u32 v3, s4, s34, v2
	v_lshlrev_b32_e32 v2, 3, v15
	v_add_co_u32 v18, s3, s3, v0
	s_addc_u32 s35, s9, s11
	v_add_co_ci_u32_e64 v19, null, 0, 0, s3
	s_delay_alu instid0(VALU_DEP_3)
	v_add_co_u32 v5, s3, s34, v2
	v_add_co_ci_u32_e64 v4, null, s35, 0, s4
	v_add_co_ci_u32_e64 v20, null, 0, 0, s5
	;; [unrolled: 1-line block ×3, first 2 shown]
	s_mul_i32 s38, s2, 24
	s_lshl_b32 s39, s2, 5
	s_mov_b32 s29, 0x3ff71547
	s_mov_b32 s31, 0x3c7777d0
	s_lshl_b32 s40, s2, 4
	s_mov_b64 s[34:35], 0
	s_mov_b32 s36, 0x55555780
	s_branch .LBB196_4
.LBB196_3:                              ;   in Loop: Header=BB196_4 Depth=1
	s_or_b32 exec_lo, exec_lo, s2
	s_add_u32 s34, s34, s33
	s_addc_u32 s35, s35, 0
	v_add_co_u32 v3, vcc_lo, v3, s39
	v_cmp_lt_i64_e64 s2, s[34:35], s[6:7]
	v_cmp_gt_u64_e64 s3, 0x10000, s[34:35]
	v_add_co_ci_u32_e32 v4, vcc_lo, 0, v4, vcc_lo
	v_add_co_u32 v5, vcc_lo, v5, s39
	v_add_co_ci_u32_e32 v6, vcc_lo, 0, v6, vcc_lo
	s_delay_alu instid0(VALU_DEP_4) | instskip(NEXT) | instid1(SALU_CYCLE_1)
	s_and_b32 s2, s2, s3
	s_and_b32 vcc_lo, exec_lo, s2
	s_cbranch_vccz .LBB196_20
.LBB196_4:                              ; =>This Inner Loop Header: Depth=1
	s_waitcnt vmcnt(0)
	v_add_co_u32 v7, s2, v0, s34
	s_delay_alu instid0(VALU_DEP_1) | instskip(SKIP_2) | instid1(VALU_DEP_3)
	v_add_co_ci_u32_e64 v8, null, 0, s35, s2
	v_mov_b32_e32 v11, 0
	v_mov_b32_e32 v12, 0
	v_cmp_gt_u64_e64 s4, s[12:13], v[7:8]
	s_delay_alu instid0(VALU_DEP_2) | instskip(NEXT) | instid1(VALU_DEP_2)
	v_dual_mov_b32 v14, v12 :: v_dual_mov_b32 v13, v11
	s_and_saveexec_b32 s2, s4
	s_cbranch_execz .LBB196_6
; %bb.5:                                ;   in Loop: Header=BB196_4 Depth=1
	global_load_b64 v[13:14], v[3:4], off
.LBB196_6:                              ;   in Loop: Header=BB196_4 Depth=1
	s_or_b32 exec_lo, exec_lo, s2
	v_add_co_u32 v7, vcc_lo, v15, s34
	v_add_co_ci_u32_e32 v8, vcc_lo, s35, v20, vcc_lo
	s_delay_alu instid0(VALU_DEP_1) | instskip(NEXT) | instid1(VALU_DEP_1)
	v_cmp_gt_u64_e64 s3, s[12:13], v[7:8]
	s_and_saveexec_b32 s2, s3
	s_cbranch_execz .LBB196_8
; %bb.7:                                ;   in Loop: Header=BB196_4 Depth=1
	global_load_b64 v[11:12], v[5:6], off
.LBB196_8:                              ;   in Loop: Header=BB196_4 Depth=1
	s_or_b32 exec_lo, exec_lo, s2
	v_add_co_u32 v9, vcc_lo, v18, s34
	v_add_co_ci_u32_e32 v10, vcc_lo, s35, v19, vcc_lo
	v_mov_b32_e32 v7, 0
	v_mov_b32_e32 v8, 0
	s_delay_alu instid0(VALU_DEP_3) | instskip(NEXT) | instid1(VALU_DEP_2)
	v_cmp_gt_u64_e64 s2, s[12:13], v[9:10]
	v_dual_mov_b32 v10, v8 :: v_dual_mov_b32 v9, v7
	s_delay_alu instid0(VALU_DEP_2)
	s_and_saveexec_b32 s5, s2
	s_cbranch_execz .LBB196_10
; %bb.9:                                ;   in Loop: Header=BB196_4 Depth=1
	v_add_co_u32 v9, vcc_lo, v3, s40
	v_add_co_ci_u32_e32 v10, vcc_lo, 0, v4, vcc_lo
	global_load_b64 v[9:10], v[9:10], off
.LBB196_10:                             ;   in Loop: Header=BB196_4 Depth=1
	s_or_b32 exec_lo, exec_lo, s5
	v_add_co_u32 v21, vcc_lo, v16, s34
	v_add_co_ci_u32_e32 v22, vcc_lo, s35, v17, vcc_lo
	s_delay_alu instid0(VALU_DEP_1)
	v_cmp_gt_u64_e32 vcc_lo, s[12:13], v[21:22]
	s_and_saveexec_b32 s37, vcc_lo
	s_cbranch_execnz .LBB196_15
; %bb.11:                               ;   in Loop: Header=BB196_4 Depth=1
	s_or_b32 exec_lo, exec_lo, s37
	s_and_saveexec_b32 s5, s4
	s_cbranch_execnz .LBB196_16
.LBB196_12:                             ;   in Loop: Header=BB196_4 Depth=1
	s_or_b32 exec_lo, exec_lo, s5
	s_and_saveexec_b32 s4, s3
	s_cbranch_execnz .LBB196_17
.LBB196_13:                             ;   in Loop: Header=BB196_4 Depth=1
	s_or_b32 exec_lo, exec_lo, s4
	s_and_saveexec_b32 s3, s2
	s_cbranch_execnz .LBB196_18
.LBB196_14:                             ;   in Loop: Header=BB196_4 Depth=1
	s_or_b32 exec_lo, exec_lo, s3
	s_and_saveexec_b32 s2, vcc_lo
	s_cbranch_execz .LBB196_3
	s_branch .LBB196_19
.LBB196_15:                             ;   in Loop: Header=BB196_4 Depth=1
	v_add_co_u32 v7, s5, v3, s38
	s_delay_alu instid0(VALU_DEP_1)
	v_add_co_ci_u32_e64 v8, s5, 0, v4, s5
	global_load_b64 v[7:8], v[7:8], off
	s_or_b32 exec_lo, exec_lo, s37
	s_and_saveexec_b32 s5, s4
	s_cbranch_execz .LBB196_12
.LBB196_16:                             ;   in Loop: Header=BB196_4 Depth=1
	s_waitcnt vmcnt(0)
	v_frexp_mant_f64_e32 v[21:22], v[13:14]
	s_mov_b32 s37, s15
	s_delay_alu instid0(VALU_DEP_1) | instskip(NEXT) | instid1(VALU_DEP_1)
	v_cmp_gt_f64_e64 s4, s[14:15], v[21:22]
	v_cndmask_b32_e64 v2, 0x3ff00000, 2.0, s4
	s_delay_alu instid0(VALU_DEP_1) | instskip(SKIP_1) | instid1(VALU_DEP_2)
	v_mul_f64 v[21:22], v[21:22], v[1:2]
	v_frexp_exp_i32_f64_e32 v2, v[13:14]
	v_add_f64 v[23:24], v[21:22], 1.0
	v_add_f64 v[29:30], v[21:22], -1.0
	s_delay_alu instid0(VALU_DEP_3) | instskip(SKIP_1) | instid1(VALU_DEP_4)
	v_subrev_co_ci_u32_e64 v2, s4, 0, v2, s4
	v_cmp_class_f64_e64 s4, v[13:14], 0x204
	v_rcp_f64_e32 v[25:26], v[23:24]
	v_add_f64 v[31:32], v[23:24], -1.0
	s_delay_alu instid0(VALU_DEP_1) | instskip(SKIP_2) | instid1(VALU_DEP_1)
	v_add_f64 v[21:22], v[21:22], -v[31:32]
	s_waitcnt_depctr 0xfff
	v_fma_f64 v[27:28], -v[23:24], v[25:26], 1.0
	v_fma_f64 v[25:26], v[27:28], v[25:26], v[25:26]
	s_delay_alu instid0(VALU_DEP_1) | instskip(NEXT) | instid1(VALU_DEP_1)
	v_fma_f64 v[27:28], -v[23:24], v[25:26], 1.0
	v_fma_f64 v[25:26], v[27:28], v[25:26], v[25:26]
	s_delay_alu instid0(VALU_DEP_1) | instskip(NEXT) | instid1(VALU_DEP_1)
	v_mul_f64 v[27:28], v[29:30], v[25:26]
	v_mul_f64 v[33:34], v[23:24], v[27:28]
	s_delay_alu instid0(VALU_DEP_1) | instskip(NEXT) | instid1(VALU_DEP_1)
	v_fma_f64 v[23:24], v[27:28], v[23:24], -v[33:34]
	v_fma_f64 v[21:22], v[27:28], v[21:22], v[23:24]
	s_delay_alu instid0(VALU_DEP_1) | instskip(NEXT) | instid1(VALU_DEP_1)
	v_add_f64 v[23:24], v[33:34], v[21:22]
	v_add_f64 v[31:32], v[29:30], -v[23:24]
	v_add_f64 v[33:34], v[23:24], -v[33:34]
	s_delay_alu instid0(VALU_DEP_2) | instskip(NEXT) | instid1(VALU_DEP_2)
	v_add_f64 v[29:30], v[29:30], -v[31:32]
	v_add_f64 v[21:22], v[33:34], -v[21:22]
	s_delay_alu instid0(VALU_DEP_2) | instskip(NEXT) | instid1(VALU_DEP_1)
	v_add_f64 v[23:24], v[29:30], -v[23:24]
	v_add_f64 v[21:22], v[21:22], v[23:24]
	s_delay_alu instid0(VALU_DEP_1) | instskip(NEXT) | instid1(VALU_DEP_1)
	v_add_f64 v[21:22], v[31:32], v[21:22]
	v_mul_f64 v[21:22], v[25:26], v[21:22]
	s_delay_alu instid0(VALU_DEP_1) | instskip(NEXT) | instid1(VALU_DEP_1)
	v_add_f64 v[23:24], v[27:28], v[21:22]
	v_mul_f64 v[25:26], v[23:24], v[23:24]
	s_delay_alu instid0(VALU_DEP_1) | instskip(SKIP_1) | instid1(VALU_DEP_2)
	v_fma_f64 v[29:30], v[25:26], s[18:19], s[16:17]
	v_mul_f64 v[31:32], v[23:24], v[25:26]
	v_fma_f64 v[29:30], v[25:26], v[29:30], s[20:21]
	s_delay_alu instid0(VALU_DEP_1) | instskip(NEXT) | instid1(VALU_DEP_1)
	v_fma_f64 v[29:30], v[25:26], v[29:30], s[22:23]
	v_fma_f64 v[29:30], v[25:26], v[29:30], s[24:25]
	s_delay_alu instid0(VALU_DEP_1) | instskip(NEXT) | instid1(VALU_DEP_1)
	v_fma_f64 v[29:30], v[25:26], v[29:30], s[26:27]
	v_fma_f64 v[25:26], v[25:26], v[29:30], s[36:37]
	v_ldexp_f64 v[29:30], v[23:24], 1
	v_add_f64 v[23:24], v[23:24], -v[27:28]
	s_delay_alu instid0(VALU_DEP_3) | instskip(NEXT) | instid1(VALU_DEP_2)
	v_mul_f64 v[25:26], v[31:32], v[25:26]
	v_add_f64 v[21:22], v[21:22], -v[23:24]
	s_delay_alu instid0(VALU_DEP_2) | instskip(NEXT) | instid1(VALU_DEP_2)
	v_add_f64 v[27:28], v[29:30], v[25:26]
	v_ldexp_f64 v[21:22], v[21:22], 1
	s_delay_alu instid0(VALU_DEP_2) | instskip(NEXT) | instid1(VALU_DEP_1)
	v_add_f64 v[23:24], v[27:28], -v[29:30]
	v_add_f64 v[23:24], v[25:26], -v[23:24]
	s_delay_alu instid0(VALU_DEP_1) | instskip(NEXT) | instid1(VALU_DEP_1)
	v_add_f64 v[21:22], v[21:22], v[23:24]
	v_add_f64 v[23:24], v[27:28], v[21:22]
	s_delay_alu instid0(VALU_DEP_1) | instskip(SKIP_1) | instid1(VALU_DEP_2)
	v_add_f64 v[25:26], v[23:24], -v[27:28]
	v_mul_f64 v[27:28], v[23:24], s[28:29]
	v_add_f64 v[21:22], v[21:22], -v[25:26]
	s_delay_alu instid0(VALU_DEP_2) | instskip(NEXT) | instid1(VALU_DEP_1)
	v_fma_f64 v[25:26], v[23:24], s[28:29], -v[27:28]
	v_fma_f64 v[21:22], v[21:22], s[28:29], v[25:26]
	s_delay_alu instid0(VALU_DEP_1) | instskip(SKIP_1) | instid1(VALU_DEP_2)
	v_fma_f64 v[21:22], v[23:24], s[30:31], v[21:22]
	v_cvt_f64_i32_e32 v[23:24], v2
	v_add_f64 v[25:26], v[27:28], v[21:22]
	s_delay_alu instid0(VALU_DEP_1) | instskip(SKIP_1) | instid1(VALU_DEP_2)
	v_add_f64 v[29:30], v[25:26], v[23:24]
	v_add_f64 v[27:28], v[25:26], -v[27:28]
	v_add_f64 v[31:32], v[29:30], -v[23:24]
	s_delay_alu instid0(VALU_DEP_2) | instskip(NEXT) | instid1(VALU_DEP_2)
	v_add_f64 v[21:22], v[21:22], -v[27:28]
	v_add_f64 v[33:34], v[31:32], -v[29:30]
	;; [unrolled: 1-line block ×3, first 2 shown]
	s_delay_alu instid0(VALU_DEP_2) | instskip(NEXT) | instid1(VALU_DEP_1)
	v_add_f64 v[23:24], v[33:34], v[23:24]
	v_add_f64 v[23:24], v[25:26], v[23:24]
	s_delay_alu instid0(VALU_DEP_1) | instskip(NEXT) | instid1(VALU_DEP_1)
	v_add_f64 v[21:22], v[21:22], v[23:24]
	v_add_f64 v[21:22], v[29:30], v[21:22]
	s_delay_alu instid0(VALU_DEP_1) | instskip(NEXT) | instid1(VALU_DEP_2)
	v_cndmask_b32_e64 v2, v21, v13, s4
	v_cndmask_b32_e64 v21, v22, v14, s4
	v_cmp_ngt_f64_e64 s4, 0, v[13:14]
	s_delay_alu instid0(VALU_DEP_1) | instskip(SKIP_1) | instid1(VALU_DEP_1)
	v_cndmask_b32_e64 v22, 0x7ff80000, v21, s4
	v_cmp_nge_f64_e64 s4, 0, v[13:14]
	v_cndmask_b32_e64 v21, 0, v2, s4
	v_cmp_neq_f64_e64 s4, 0, v[13:14]
	s_delay_alu instid0(VALU_DEP_1)
	v_cndmask_b32_e64 v22, 0xfff00000, v22, s4
	global_store_b64 v[3:4], v[21:22], off
	s_or_b32 exec_lo, exec_lo, s5
	s_and_saveexec_b32 s4, s3
	s_cbranch_execz .LBB196_13
.LBB196_17:                             ;   in Loop: Header=BB196_4 Depth=1
	s_waitcnt vmcnt(0)
	v_frexp_mant_f64_e32 v[13:14], v[11:12]
	s_mov_b32 s37, s15
	s_delay_alu instid0(VALU_DEP_1) | instskip(NEXT) | instid1(VALU_DEP_1)
	v_cmp_gt_f64_e64 s3, s[14:15], v[13:14]
	v_cndmask_b32_e64 v2, 0x3ff00000, 2.0, s3
	s_delay_alu instid0(VALU_DEP_1) | instskip(SKIP_1) | instid1(VALU_DEP_2)
	v_mul_f64 v[13:14], v[13:14], v[1:2]
	v_frexp_exp_i32_f64_e32 v2, v[11:12]
	v_add_f64 v[21:22], v[13:14], 1.0
	v_add_f64 v[27:28], v[13:14], -1.0
	s_delay_alu instid0(VALU_DEP_3) | instskip(SKIP_1) | instid1(VALU_DEP_4)
	v_subrev_co_ci_u32_e64 v2, s3, 0, v2, s3
	v_cmp_class_f64_e64 s3, v[11:12], 0x204
	v_rcp_f64_e32 v[23:24], v[21:22]
	v_add_f64 v[29:30], v[21:22], -1.0
	s_delay_alu instid0(VALU_DEP_1) | instskip(SKIP_2) | instid1(VALU_DEP_1)
	v_add_f64 v[13:14], v[13:14], -v[29:30]
	s_waitcnt_depctr 0xfff
	v_fma_f64 v[25:26], -v[21:22], v[23:24], 1.0
	v_fma_f64 v[23:24], v[25:26], v[23:24], v[23:24]
	s_delay_alu instid0(VALU_DEP_1) | instskip(NEXT) | instid1(VALU_DEP_1)
	v_fma_f64 v[25:26], -v[21:22], v[23:24], 1.0
	v_fma_f64 v[23:24], v[25:26], v[23:24], v[23:24]
	s_delay_alu instid0(VALU_DEP_1) | instskip(NEXT) | instid1(VALU_DEP_1)
	v_mul_f64 v[25:26], v[27:28], v[23:24]
	v_mul_f64 v[31:32], v[21:22], v[25:26]
	s_delay_alu instid0(VALU_DEP_1) | instskip(NEXT) | instid1(VALU_DEP_1)
	v_fma_f64 v[21:22], v[25:26], v[21:22], -v[31:32]
	v_fma_f64 v[13:14], v[25:26], v[13:14], v[21:22]
	s_delay_alu instid0(VALU_DEP_1) | instskip(NEXT) | instid1(VALU_DEP_1)
	v_add_f64 v[21:22], v[31:32], v[13:14]
	v_add_f64 v[29:30], v[27:28], -v[21:22]
	v_add_f64 v[31:32], v[21:22], -v[31:32]
	s_delay_alu instid0(VALU_DEP_2) | instskip(NEXT) | instid1(VALU_DEP_2)
	v_add_f64 v[27:28], v[27:28], -v[29:30]
	v_add_f64 v[13:14], v[31:32], -v[13:14]
	s_delay_alu instid0(VALU_DEP_2) | instskip(NEXT) | instid1(VALU_DEP_1)
	v_add_f64 v[21:22], v[27:28], -v[21:22]
	v_add_f64 v[13:14], v[13:14], v[21:22]
	s_delay_alu instid0(VALU_DEP_1) | instskip(NEXT) | instid1(VALU_DEP_1)
	v_add_f64 v[13:14], v[29:30], v[13:14]
	v_mul_f64 v[13:14], v[23:24], v[13:14]
	s_delay_alu instid0(VALU_DEP_1) | instskip(NEXT) | instid1(VALU_DEP_1)
	v_add_f64 v[21:22], v[25:26], v[13:14]
	v_mul_f64 v[23:24], v[21:22], v[21:22]
	s_delay_alu instid0(VALU_DEP_1) | instskip(SKIP_1) | instid1(VALU_DEP_2)
	v_fma_f64 v[27:28], v[23:24], s[18:19], s[16:17]
	v_mul_f64 v[29:30], v[21:22], v[23:24]
	v_fma_f64 v[27:28], v[23:24], v[27:28], s[20:21]
	s_delay_alu instid0(VALU_DEP_1) | instskip(NEXT) | instid1(VALU_DEP_1)
	v_fma_f64 v[27:28], v[23:24], v[27:28], s[22:23]
	v_fma_f64 v[27:28], v[23:24], v[27:28], s[24:25]
	s_delay_alu instid0(VALU_DEP_1) | instskip(NEXT) | instid1(VALU_DEP_1)
	v_fma_f64 v[27:28], v[23:24], v[27:28], s[26:27]
	v_fma_f64 v[23:24], v[23:24], v[27:28], s[36:37]
	v_ldexp_f64 v[27:28], v[21:22], 1
	v_add_f64 v[21:22], v[21:22], -v[25:26]
	s_delay_alu instid0(VALU_DEP_3) | instskip(NEXT) | instid1(VALU_DEP_2)
	v_mul_f64 v[23:24], v[29:30], v[23:24]
	v_add_f64 v[13:14], v[13:14], -v[21:22]
	s_delay_alu instid0(VALU_DEP_2) | instskip(NEXT) | instid1(VALU_DEP_2)
	v_add_f64 v[25:26], v[27:28], v[23:24]
	v_ldexp_f64 v[13:14], v[13:14], 1
	s_delay_alu instid0(VALU_DEP_2) | instskip(NEXT) | instid1(VALU_DEP_1)
	v_add_f64 v[21:22], v[25:26], -v[27:28]
	v_add_f64 v[21:22], v[23:24], -v[21:22]
	s_delay_alu instid0(VALU_DEP_1) | instskip(NEXT) | instid1(VALU_DEP_1)
	v_add_f64 v[13:14], v[13:14], v[21:22]
	v_add_f64 v[21:22], v[25:26], v[13:14]
	s_delay_alu instid0(VALU_DEP_1) | instskip(SKIP_1) | instid1(VALU_DEP_2)
	v_add_f64 v[23:24], v[21:22], -v[25:26]
	v_mul_f64 v[25:26], v[21:22], s[28:29]
	v_add_f64 v[13:14], v[13:14], -v[23:24]
	s_delay_alu instid0(VALU_DEP_2) | instskip(NEXT) | instid1(VALU_DEP_1)
	v_fma_f64 v[23:24], v[21:22], s[28:29], -v[25:26]
	v_fma_f64 v[13:14], v[13:14], s[28:29], v[23:24]
	s_delay_alu instid0(VALU_DEP_1) | instskip(SKIP_1) | instid1(VALU_DEP_2)
	v_fma_f64 v[13:14], v[21:22], s[30:31], v[13:14]
	v_cvt_f64_i32_e32 v[21:22], v2
	v_add_f64 v[23:24], v[25:26], v[13:14]
	s_delay_alu instid0(VALU_DEP_1) | instskip(SKIP_1) | instid1(VALU_DEP_2)
	v_add_f64 v[27:28], v[23:24], v[21:22]
	v_add_f64 v[25:26], v[23:24], -v[25:26]
	v_add_f64 v[29:30], v[27:28], -v[21:22]
	s_delay_alu instid0(VALU_DEP_2) | instskip(NEXT) | instid1(VALU_DEP_2)
	v_add_f64 v[13:14], v[13:14], -v[25:26]
	v_add_f64 v[31:32], v[29:30], -v[27:28]
	;; [unrolled: 1-line block ×3, first 2 shown]
	s_delay_alu instid0(VALU_DEP_2) | instskip(NEXT) | instid1(VALU_DEP_1)
	v_add_f64 v[21:22], v[31:32], v[21:22]
	v_add_f64 v[21:22], v[23:24], v[21:22]
	s_delay_alu instid0(VALU_DEP_1) | instskip(NEXT) | instid1(VALU_DEP_1)
	v_add_f64 v[13:14], v[13:14], v[21:22]
	v_add_f64 v[13:14], v[27:28], v[13:14]
	s_delay_alu instid0(VALU_DEP_1) | instskip(NEXT) | instid1(VALU_DEP_2)
	v_cndmask_b32_e64 v2, v13, v11, s3
	v_cndmask_b32_e64 v13, v14, v12, s3
	v_cmp_ngt_f64_e64 s3, 0, v[11:12]
	s_delay_alu instid0(VALU_DEP_1) | instskip(SKIP_1) | instid1(VALU_DEP_1)
	v_cndmask_b32_e64 v14, 0x7ff80000, v13, s3
	v_cmp_nge_f64_e64 s3, 0, v[11:12]
	v_cndmask_b32_e64 v13, 0, v2, s3
	v_cmp_neq_f64_e64 s3, 0, v[11:12]
	s_delay_alu instid0(VALU_DEP_1)
	v_cndmask_b32_e64 v14, 0xfff00000, v14, s3
	global_store_b64 v[5:6], v[13:14], off
	s_or_b32 exec_lo, exec_lo, s4
	s_and_saveexec_b32 s3, s2
	s_cbranch_execz .LBB196_14
.LBB196_18:                             ;   in Loop: Header=BB196_4 Depth=1
	s_waitcnt vmcnt(0)
	v_frexp_mant_f64_e32 v[11:12], v[9:10]
	s_mov_b32 s37, s15
	s_delay_alu instid0(VALU_DEP_1) | instskip(NEXT) | instid1(VALU_DEP_1)
	v_cmp_gt_f64_e64 s2, s[14:15], v[11:12]
	v_cndmask_b32_e64 v2, 0x3ff00000, 2.0, s2
	s_delay_alu instid0(VALU_DEP_1) | instskip(SKIP_1) | instid1(VALU_DEP_2)
	v_mul_f64 v[11:12], v[11:12], v[1:2]
	v_frexp_exp_i32_f64_e32 v2, v[9:10]
	v_add_f64 v[13:14], v[11:12], 1.0
	v_add_f64 v[25:26], v[11:12], -1.0
	s_delay_alu instid0(VALU_DEP_3) | instskip(SKIP_1) | instid1(VALU_DEP_4)
	v_subrev_co_ci_u32_e64 v2, s2, 0, v2, s2
	v_cmp_class_f64_e64 s2, v[9:10], 0x204
	v_rcp_f64_e32 v[21:22], v[13:14]
	v_add_f64 v[27:28], v[13:14], -1.0
	s_delay_alu instid0(VALU_DEP_1) | instskip(SKIP_2) | instid1(VALU_DEP_1)
	v_add_f64 v[11:12], v[11:12], -v[27:28]
	s_waitcnt_depctr 0xfff
	v_fma_f64 v[23:24], -v[13:14], v[21:22], 1.0
	v_fma_f64 v[21:22], v[23:24], v[21:22], v[21:22]
	s_delay_alu instid0(VALU_DEP_1) | instskip(NEXT) | instid1(VALU_DEP_1)
	v_fma_f64 v[23:24], -v[13:14], v[21:22], 1.0
	v_fma_f64 v[21:22], v[23:24], v[21:22], v[21:22]
	s_delay_alu instid0(VALU_DEP_1) | instskip(NEXT) | instid1(VALU_DEP_1)
	v_mul_f64 v[23:24], v[25:26], v[21:22]
	v_mul_f64 v[29:30], v[13:14], v[23:24]
	s_delay_alu instid0(VALU_DEP_1) | instskip(NEXT) | instid1(VALU_DEP_1)
	v_fma_f64 v[13:14], v[23:24], v[13:14], -v[29:30]
	v_fma_f64 v[11:12], v[23:24], v[11:12], v[13:14]
	s_delay_alu instid0(VALU_DEP_1) | instskip(NEXT) | instid1(VALU_DEP_1)
	v_add_f64 v[13:14], v[29:30], v[11:12]
	v_add_f64 v[27:28], v[25:26], -v[13:14]
	v_add_f64 v[29:30], v[13:14], -v[29:30]
	s_delay_alu instid0(VALU_DEP_2) | instskip(NEXT) | instid1(VALU_DEP_2)
	v_add_f64 v[25:26], v[25:26], -v[27:28]
	v_add_f64 v[11:12], v[29:30], -v[11:12]
	s_delay_alu instid0(VALU_DEP_2) | instskip(NEXT) | instid1(VALU_DEP_1)
	v_add_f64 v[13:14], v[25:26], -v[13:14]
	v_add_f64 v[11:12], v[11:12], v[13:14]
	s_delay_alu instid0(VALU_DEP_1) | instskip(NEXT) | instid1(VALU_DEP_1)
	v_add_f64 v[11:12], v[27:28], v[11:12]
	v_mul_f64 v[11:12], v[21:22], v[11:12]
	s_delay_alu instid0(VALU_DEP_1) | instskip(NEXT) | instid1(VALU_DEP_1)
	v_add_f64 v[13:14], v[23:24], v[11:12]
	v_mul_f64 v[21:22], v[13:14], v[13:14]
	s_delay_alu instid0(VALU_DEP_1) | instskip(SKIP_1) | instid1(VALU_DEP_2)
	v_fma_f64 v[25:26], v[21:22], s[18:19], s[16:17]
	v_mul_f64 v[27:28], v[13:14], v[21:22]
	v_fma_f64 v[25:26], v[21:22], v[25:26], s[20:21]
	s_delay_alu instid0(VALU_DEP_1) | instskip(NEXT) | instid1(VALU_DEP_1)
	v_fma_f64 v[25:26], v[21:22], v[25:26], s[22:23]
	v_fma_f64 v[25:26], v[21:22], v[25:26], s[24:25]
	s_delay_alu instid0(VALU_DEP_1) | instskip(NEXT) | instid1(VALU_DEP_1)
	v_fma_f64 v[25:26], v[21:22], v[25:26], s[26:27]
	v_fma_f64 v[21:22], v[21:22], v[25:26], s[36:37]
	v_ldexp_f64 v[25:26], v[13:14], 1
	v_add_f64 v[13:14], v[13:14], -v[23:24]
	s_delay_alu instid0(VALU_DEP_3) | instskip(NEXT) | instid1(VALU_DEP_2)
	v_mul_f64 v[21:22], v[27:28], v[21:22]
	v_add_f64 v[11:12], v[11:12], -v[13:14]
	s_delay_alu instid0(VALU_DEP_2) | instskip(NEXT) | instid1(VALU_DEP_2)
	v_add_f64 v[23:24], v[25:26], v[21:22]
	v_ldexp_f64 v[11:12], v[11:12], 1
	s_delay_alu instid0(VALU_DEP_2) | instskip(NEXT) | instid1(VALU_DEP_1)
	v_add_f64 v[13:14], v[23:24], -v[25:26]
	v_add_f64 v[13:14], v[21:22], -v[13:14]
	s_delay_alu instid0(VALU_DEP_1) | instskip(NEXT) | instid1(VALU_DEP_1)
	v_add_f64 v[11:12], v[11:12], v[13:14]
	v_add_f64 v[13:14], v[23:24], v[11:12]
	s_delay_alu instid0(VALU_DEP_1) | instskip(SKIP_1) | instid1(VALU_DEP_2)
	v_add_f64 v[21:22], v[13:14], -v[23:24]
	v_mul_f64 v[23:24], v[13:14], s[28:29]
	v_add_f64 v[11:12], v[11:12], -v[21:22]
	s_delay_alu instid0(VALU_DEP_2) | instskip(NEXT) | instid1(VALU_DEP_1)
	v_fma_f64 v[21:22], v[13:14], s[28:29], -v[23:24]
	v_fma_f64 v[11:12], v[11:12], s[28:29], v[21:22]
	s_delay_alu instid0(VALU_DEP_1) | instskip(SKIP_1) | instid1(VALU_DEP_2)
	v_fma_f64 v[11:12], v[13:14], s[30:31], v[11:12]
	v_cvt_f64_i32_e32 v[13:14], v2
	v_add_f64 v[21:22], v[23:24], v[11:12]
	s_delay_alu instid0(VALU_DEP_1) | instskip(SKIP_1) | instid1(VALU_DEP_2)
	v_add_f64 v[25:26], v[21:22], v[13:14]
	v_add_f64 v[23:24], v[21:22], -v[23:24]
	v_add_f64 v[27:28], v[25:26], -v[13:14]
	s_delay_alu instid0(VALU_DEP_2) | instskip(NEXT) | instid1(VALU_DEP_2)
	v_add_f64 v[11:12], v[11:12], -v[23:24]
	v_add_f64 v[29:30], v[27:28], -v[25:26]
	;; [unrolled: 1-line block ×3, first 2 shown]
	s_delay_alu instid0(VALU_DEP_2) | instskip(NEXT) | instid1(VALU_DEP_1)
	v_add_f64 v[13:14], v[29:30], v[13:14]
	v_add_f64 v[13:14], v[21:22], v[13:14]
	s_delay_alu instid0(VALU_DEP_1) | instskip(NEXT) | instid1(VALU_DEP_1)
	v_add_f64 v[11:12], v[11:12], v[13:14]
	v_add_f64 v[11:12], v[25:26], v[11:12]
	s_delay_alu instid0(VALU_DEP_1) | instskip(NEXT) | instid1(VALU_DEP_2)
	v_cndmask_b32_e64 v2, v11, v9, s2
	v_cndmask_b32_e64 v11, v12, v10, s2
	v_cmp_ngt_f64_e64 s2, 0, v[9:10]
	s_delay_alu instid0(VALU_DEP_1) | instskip(SKIP_1) | instid1(VALU_DEP_1)
	v_cndmask_b32_e64 v12, 0x7ff80000, v11, s2
	v_cmp_nge_f64_e64 s2, 0, v[9:10]
	v_cndmask_b32_e64 v11, 0, v2, s2
	v_cmp_neq_f64_e64 s2, 0, v[9:10]
	s_delay_alu instid0(VALU_DEP_1) | instskip(SKIP_1) | instid1(VALU_DEP_1)
	v_cndmask_b32_e64 v12, 0xfff00000, v12, s2
	v_add_co_u32 v9, s2, v3, s40
	v_add_co_ci_u32_e64 v10, s2, 0, v4, s2
	global_store_b64 v[9:10], v[11:12], off
	s_or_b32 exec_lo, exec_lo, s3
	s_and_saveexec_b32 s2, vcc_lo
	s_cbranch_execz .LBB196_3
.LBB196_19:                             ;   in Loop: Header=BB196_4 Depth=1
	s_waitcnt vmcnt(0)
	v_frexp_mant_f64_e32 v[9:10], v[7:8]
	s_mov_b32 s37, s15
	s_delay_alu instid0(VALU_DEP_1) | instskip(SKIP_1) | instid1(VALU_DEP_1)
	v_cmp_gt_f64_e32 vcc_lo, s[14:15], v[9:10]
	v_cndmask_b32_e64 v2, 0x3ff00000, 2.0, vcc_lo
	v_mul_f64 v[9:10], v[9:10], v[1:2]
	v_frexp_exp_i32_f64_e32 v2, v[7:8]
	s_delay_alu instid0(VALU_DEP_2) | instskip(SKIP_1) | instid1(VALU_DEP_3)
	v_add_f64 v[11:12], v[9:10], 1.0
	v_add_f64 v[23:24], v[9:10], -1.0
	v_subrev_co_ci_u32_e32 v2, vcc_lo, 0, v2, vcc_lo
	v_cmp_class_f64_e64 vcc_lo, v[7:8], 0x204
	s_delay_alu instid0(VALU_DEP_4) | instskip(SKIP_1) | instid1(VALU_DEP_1)
	v_rcp_f64_e32 v[13:14], v[11:12]
	v_add_f64 v[25:26], v[11:12], -1.0
	v_add_f64 v[9:10], v[9:10], -v[25:26]
	s_waitcnt_depctr 0xfff
	v_fma_f64 v[21:22], -v[11:12], v[13:14], 1.0
	s_delay_alu instid0(VALU_DEP_1) | instskip(NEXT) | instid1(VALU_DEP_1)
	v_fma_f64 v[13:14], v[21:22], v[13:14], v[13:14]
	v_fma_f64 v[21:22], -v[11:12], v[13:14], 1.0
	s_delay_alu instid0(VALU_DEP_1) | instskip(NEXT) | instid1(VALU_DEP_1)
	v_fma_f64 v[13:14], v[21:22], v[13:14], v[13:14]
	v_mul_f64 v[21:22], v[23:24], v[13:14]
	s_delay_alu instid0(VALU_DEP_1) | instskip(NEXT) | instid1(VALU_DEP_1)
	v_mul_f64 v[27:28], v[11:12], v[21:22]
	v_fma_f64 v[11:12], v[21:22], v[11:12], -v[27:28]
	s_delay_alu instid0(VALU_DEP_1) | instskip(NEXT) | instid1(VALU_DEP_1)
	v_fma_f64 v[9:10], v[21:22], v[9:10], v[11:12]
	v_add_f64 v[11:12], v[27:28], v[9:10]
	s_delay_alu instid0(VALU_DEP_1) | instskip(SKIP_1) | instid1(VALU_DEP_2)
	v_add_f64 v[25:26], v[23:24], -v[11:12]
	v_add_f64 v[27:28], v[11:12], -v[27:28]
	;; [unrolled: 1-line block ×3, first 2 shown]
	s_delay_alu instid0(VALU_DEP_2) | instskip(NEXT) | instid1(VALU_DEP_2)
	v_add_f64 v[9:10], v[27:28], -v[9:10]
	v_add_f64 v[11:12], v[23:24], -v[11:12]
	s_delay_alu instid0(VALU_DEP_1) | instskip(NEXT) | instid1(VALU_DEP_1)
	v_add_f64 v[9:10], v[9:10], v[11:12]
	v_add_f64 v[9:10], v[25:26], v[9:10]
	s_delay_alu instid0(VALU_DEP_1) | instskip(NEXT) | instid1(VALU_DEP_1)
	v_mul_f64 v[9:10], v[13:14], v[9:10]
	v_add_f64 v[11:12], v[21:22], v[9:10]
	s_delay_alu instid0(VALU_DEP_1) | instskip(NEXT) | instid1(VALU_DEP_1)
	v_mul_f64 v[13:14], v[11:12], v[11:12]
	v_fma_f64 v[23:24], v[13:14], s[18:19], s[16:17]
	v_mul_f64 v[25:26], v[11:12], v[13:14]
	s_delay_alu instid0(VALU_DEP_2) | instskip(NEXT) | instid1(VALU_DEP_1)
	v_fma_f64 v[23:24], v[13:14], v[23:24], s[20:21]
	v_fma_f64 v[23:24], v[13:14], v[23:24], s[22:23]
	s_delay_alu instid0(VALU_DEP_1) | instskip(NEXT) | instid1(VALU_DEP_1)
	v_fma_f64 v[23:24], v[13:14], v[23:24], s[24:25]
	v_fma_f64 v[23:24], v[13:14], v[23:24], s[26:27]
	s_delay_alu instid0(VALU_DEP_1) | instskip(SKIP_2) | instid1(VALU_DEP_3)
	v_fma_f64 v[13:14], v[13:14], v[23:24], s[36:37]
	v_ldexp_f64 v[23:24], v[11:12], 1
	v_add_f64 v[11:12], v[11:12], -v[21:22]
	v_mul_f64 v[13:14], v[25:26], v[13:14]
	s_delay_alu instid0(VALU_DEP_2) | instskip(NEXT) | instid1(VALU_DEP_2)
	v_add_f64 v[9:10], v[9:10], -v[11:12]
	v_add_f64 v[21:22], v[23:24], v[13:14]
	s_delay_alu instid0(VALU_DEP_2) | instskip(NEXT) | instid1(VALU_DEP_2)
	v_ldexp_f64 v[9:10], v[9:10], 1
	v_add_f64 v[11:12], v[21:22], -v[23:24]
	s_delay_alu instid0(VALU_DEP_1) | instskip(NEXT) | instid1(VALU_DEP_1)
	v_add_f64 v[11:12], v[13:14], -v[11:12]
	v_add_f64 v[9:10], v[9:10], v[11:12]
	s_delay_alu instid0(VALU_DEP_1) | instskip(NEXT) | instid1(VALU_DEP_1)
	v_add_f64 v[11:12], v[21:22], v[9:10]
	v_add_f64 v[13:14], v[11:12], -v[21:22]
	v_mul_f64 v[21:22], v[11:12], s[28:29]
	s_delay_alu instid0(VALU_DEP_2) | instskip(NEXT) | instid1(VALU_DEP_2)
	v_add_f64 v[9:10], v[9:10], -v[13:14]
	v_fma_f64 v[13:14], v[11:12], s[28:29], -v[21:22]
	s_delay_alu instid0(VALU_DEP_1) | instskip(NEXT) | instid1(VALU_DEP_1)
	v_fma_f64 v[9:10], v[9:10], s[28:29], v[13:14]
	v_fma_f64 v[9:10], v[11:12], s[30:31], v[9:10]
	v_cvt_f64_i32_e32 v[11:12], v2
	s_delay_alu instid0(VALU_DEP_2) | instskip(NEXT) | instid1(VALU_DEP_1)
	v_add_f64 v[13:14], v[21:22], v[9:10]
	v_add_f64 v[23:24], v[13:14], v[11:12]
	v_add_f64 v[21:22], v[13:14], -v[21:22]
	s_delay_alu instid0(VALU_DEP_2) | instskip(NEXT) | instid1(VALU_DEP_2)
	v_add_f64 v[25:26], v[23:24], -v[11:12]
	v_add_f64 v[9:10], v[9:10], -v[21:22]
	s_delay_alu instid0(VALU_DEP_2) | instskip(SKIP_1) | instid1(VALU_DEP_2)
	v_add_f64 v[27:28], v[25:26], -v[23:24]
	v_add_f64 v[13:14], v[13:14], -v[25:26]
	v_add_f64 v[11:12], v[27:28], v[11:12]
	s_delay_alu instid0(VALU_DEP_1) | instskip(NEXT) | instid1(VALU_DEP_1)
	v_add_f64 v[11:12], v[13:14], v[11:12]
	v_add_f64 v[9:10], v[9:10], v[11:12]
	s_delay_alu instid0(VALU_DEP_1) | instskip(NEXT) | instid1(VALU_DEP_1)
	v_add_f64 v[9:10], v[23:24], v[9:10]
	v_dual_cndmask_b32 v2, v9, v7 :: v_dual_cndmask_b32 v9, v10, v8
	v_cmp_ngt_f64_e32 vcc_lo, 0, v[7:8]
	s_delay_alu instid0(VALU_DEP_2) | instskip(SKIP_1) | instid1(VALU_DEP_4)
	v_cndmask_b32_e32 v10, 0x7ff80000, v9, vcc_lo
	v_cmp_nge_f64_e32 vcc_lo, 0, v[7:8]
	v_cndmask_b32_e32 v9, 0, v2, vcc_lo
	v_cmp_neq_f64_e32 vcc_lo, 0, v[7:8]
	s_delay_alu instid0(VALU_DEP_4)
	v_cndmask_b32_e32 v10, 0xfff00000, v10, vcc_lo
	v_add_co_u32 v7, vcc_lo, v3, s38
	v_add_co_ci_u32_e32 v8, vcc_lo, 0, v4, vcc_lo
	global_store_b64 v[7:8], v[9:10], off
	s_branch .LBB196_3
.LBB196_20:
	s_cbranch_execz .LBB196_22
	s_branch .LBB196_25
.LBB196_21:
.LBB196_22:
	s_waitcnt vmcnt(0)
	v_dual_mov_b32 v8, 0 :: v_dual_lshlrev_b32 v1, 2, v0
	s_mov_b32 s5, 0
	s_mov_b32 s2, exec_lo
	s_delay_alu instid0(VALU_DEP_1) | instskip(NEXT) | instid1(VALU_DEP_1)
	v_mov_b32_e32 v2, v8
	v_cmpx_gt_i64_e64 s[6:7], v[1:2]
	s_cbranch_execz .LBB196_25
; %bb.23:
	s_load_b32 s0, s[0:1], 0xd3c
	v_lshlrev_b32_e32 v1, 5, v0
	v_mov_b32_e32 v11, v8
	s_mov_b32 s12, 0x6b47b09a
	s_mov_b32 s14, 0xbf559e2b
	;; [unrolled: 1-line block ×15, first 2 shown]
	s_waitcnt lgkmcnt(0)
	s_and_b32 s0, s0, 0xffff
	s_delay_alu instid0(SALU_CYCLE_1) | instskip(SKIP_4) | instid1(VALU_DEP_1)
	s_lshl_b32 s28, s0, 2
	s_add_u32 s1, s8, s10
	v_add_lshl_u32 v10, v0, s0, 2
	s_addc_u32 s2, s9, s11
	v_add_co_u32 v0, s1, s1, v1
	v_add_co_ci_u32_e64 v1, null, s2, 0, s1
	s_mov_b32 s10, 0x55555555
	s_delay_alu instid0(VALU_DEP_2) | instskip(NEXT) | instid1(VALU_DEP_2)
	v_add_co_u32 v12, vcc_lo, v0, 16
	v_add_co_ci_u32_e32 v13, vcc_lo, 0, v1, vcc_lo
	s_mov_b32 s11, 0x3fe55555
	s_mov_b32 s8, 0xffda0d24
	s_lshl_b32 s29, s0, 5
	s_mov_b32 s9, 0x3c7777d0
	s_mov_b32 s27, s11
.LBB196_24:                             ; =>This Inner Loop Header: Depth=1
	s_clause 0x1
	global_load_b128 v[4:7], v[12:13], off offset:-16
	global_load_b128 v[0:3], v[12:13], off
	v_cmp_lt_u64_e64 s3, 0xffff, v[10:11]
	s_waitcnt vmcnt(1)
	v_frexp_mant_f64_e32 v[14:15], v[4:5]
	v_frexp_mant_f64_e32 v[16:17], v[6:7]
	s_waitcnt vmcnt(0)
	v_frexp_mant_f64_e32 v[18:19], v[0:1]
	v_frexp_mant_f64_e32 v[20:21], v[2:3]
	v_cmp_ngt_f64_e64 s4, 0, v[4:5]
	v_cmp_gt_f64_e32 vcc_lo, s[10:11], v[14:15]
	v_cmp_gt_f64_e64 s0, s[10:11], v[16:17]
	v_cmp_gt_f64_e64 s1, s[10:11], v[18:19]
	v_cmp_gt_f64_e64 s2, s[10:11], v[20:21]
	v_cndmask_b32_e64 v9, 0x3ff00000, 2.0, vcc_lo
	s_delay_alu instid0(VALU_DEP_1) | instskip(SKIP_1) | instid1(VALU_DEP_1)
	v_mul_f64 v[14:15], v[14:15], v[8:9]
	v_cndmask_b32_e64 v9, 0x3ff00000, 2.0, s0
	v_mul_f64 v[16:17], v[16:17], v[8:9]
	v_cndmask_b32_e64 v9, 0x3ff00000, 2.0, s1
	s_delay_alu instid0(VALU_DEP_1) | instskip(SKIP_1) | instid1(VALU_DEP_1)
	v_mul_f64 v[18:19], v[18:19], v[8:9]
	v_cndmask_b32_e64 v9, 0x3ff00000, 2.0, s2
	v_mul_f64 v[20:21], v[20:21], v[8:9]
	v_frexp_exp_i32_f64_e32 v9, v[4:5]
	v_add_f64 v[22:23], v[14:15], 1.0
	v_add_f64 v[46:47], v[14:15], -1.0
	v_add_f64 v[24:25], v[16:17], 1.0
	v_add_f64 v[26:27], v[18:19], 1.0
	;; [unrolled: 1-line block ×3, first 2 shown]
	v_subrev_co_ci_u32_e32 v9, vcc_lo, 0, v9, vcc_lo
	v_rcp_f64_e32 v[30:31], v[22:23]
	v_add_f64 v[54:55], v[22:23], -1.0
	v_rcp_f64_e32 v[32:33], v[24:25]
	v_add_f64 v[58:59], v[24:25], -1.0
	;; [unrolled: 2-line block ×4, first 2 shown]
	s_delay_alu instid0(VALU_DEP_4) | instskip(SKIP_1) | instid1(TRANS32_DEP_3)
	v_add_f64 v[14:15], v[14:15], -v[54:55]
	v_fma_f64 v[38:39], -v[22:23], v[30:31], 1.0
	v_fma_f64 v[40:41], -v[24:25], v[32:33], 1.0
	s_delay_alu instid0(TRANS32_DEP_2)
	v_fma_f64 v[42:43], -v[26:27], v[34:35], 1.0
	s_waitcnt_depctr 0xfff
	v_fma_f64 v[44:45], -v[28:29], v[36:37], 1.0
	v_fma_f64 v[30:31], v[38:39], v[30:31], v[30:31]
	v_fma_f64 v[32:33], v[40:41], v[32:33], v[32:33]
	;; [unrolled: 1-line block ×3, first 2 shown]
	s_delay_alu instid0(VALU_DEP_4) | instskip(NEXT) | instid1(VALU_DEP_4)
	v_fma_f64 v[36:37], v[44:45], v[36:37], v[36:37]
	v_fma_f64 v[38:39], -v[22:23], v[30:31], 1.0
	s_delay_alu instid0(VALU_DEP_4) | instskip(NEXT) | instid1(VALU_DEP_4)
	v_fma_f64 v[40:41], -v[24:25], v[32:33], 1.0
	v_fma_f64 v[42:43], -v[26:27], v[34:35], 1.0
	s_delay_alu instid0(VALU_DEP_4) | instskip(NEXT) | instid1(VALU_DEP_4)
	v_fma_f64 v[44:45], -v[28:29], v[36:37], 1.0
	v_fma_f64 v[30:31], v[38:39], v[30:31], v[30:31]
	v_add_f64 v[38:39], v[16:17], -1.0
	v_add_f64 v[16:17], v[16:17], -v[58:59]
	v_fma_f64 v[32:33], v[40:41], v[32:33], v[32:33]
	v_add_f64 v[40:41], v[18:19], -1.0
	v_add_f64 v[18:19], v[18:19], -v[62:63]
	;; [unrolled: 3-line block ×3, first 2 shown]
	v_fma_f64 v[36:37], v[44:45], v[36:37], v[36:37]
	v_mul_f64 v[44:45], v[46:47], v[30:31]
	v_mul_f64 v[48:49], v[38:39], v[32:33]
	;; [unrolled: 1-line block ×3, first 2 shown]
	s_delay_alu instid0(VALU_DEP_4) | instskip(NEXT) | instid1(VALU_DEP_4)
	v_mul_f64 v[52:53], v[42:43], v[36:37]
	v_mul_f64 v[56:57], v[22:23], v[44:45]
	s_delay_alu instid0(VALU_DEP_4) | instskip(NEXT) | instid1(VALU_DEP_4)
	v_mul_f64 v[60:61], v[24:25], v[48:49]
	v_mul_f64 v[64:65], v[26:27], v[50:51]
	s_delay_alu instid0(VALU_DEP_4) | instskip(NEXT) | instid1(VALU_DEP_4)
	v_mul_f64 v[68:69], v[28:29], v[52:53]
	v_fma_f64 v[22:23], v[44:45], v[22:23], -v[56:57]
	s_delay_alu instid0(VALU_DEP_4) | instskip(NEXT) | instid1(VALU_DEP_4)
	v_fma_f64 v[24:25], v[48:49], v[24:25], -v[60:61]
	v_fma_f64 v[26:27], v[50:51], v[26:27], -v[64:65]
	s_delay_alu instid0(VALU_DEP_4) | instskip(NEXT) | instid1(VALU_DEP_4)
	v_fma_f64 v[28:29], v[52:53], v[28:29], -v[68:69]
	v_fma_f64 v[14:15], v[44:45], v[14:15], v[22:23]
	s_delay_alu instid0(VALU_DEP_4) | instskip(NEXT) | instid1(VALU_DEP_4)
	v_fma_f64 v[16:17], v[48:49], v[16:17], v[24:25]
	v_fma_f64 v[18:19], v[50:51], v[18:19], v[26:27]
	s_delay_alu instid0(VALU_DEP_4) | instskip(NEXT) | instid1(VALU_DEP_4)
	v_fma_f64 v[20:21], v[52:53], v[20:21], v[28:29]
	v_add_f64 v[22:23], v[56:57], v[14:15]
	s_delay_alu instid0(VALU_DEP_4) | instskip(NEXT) | instid1(VALU_DEP_4)
	v_add_f64 v[24:25], v[60:61], v[16:17]
	v_add_f64 v[26:27], v[64:65], v[18:19]
	s_delay_alu instid0(VALU_DEP_4) | instskip(NEXT) | instid1(VALU_DEP_4)
	v_add_f64 v[28:29], v[68:69], v[20:21]
	v_add_f64 v[54:55], v[46:47], -v[22:23]
	v_add_f64 v[56:57], v[22:23], -v[56:57]
	;; [unrolled: 1-line block ×20, first 2 shown]
	s_delay_alu instid0(VALU_DEP_4) | instskip(NEXT) | instid1(VALU_DEP_4)
	v_add_f64 v[14:15], v[14:15], v[22:23]
	v_add_f64 v[16:17], v[16:17], v[24:25]
	s_delay_alu instid0(VALU_DEP_4) | instskip(NEXT) | instid1(VALU_DEP_4)
	v_add_f64 v[18:19], v[18:19], v[26:27]
	v_add_f64 v[20:21], v[20:21], v[28:29]
	;; [unrolled: 3-line block ×4, first 2 shown]
	s_delay_alu instid0(VALU_DEP_4) | instskip(NEXT) | instid1(VALU_DEP_4)
	v_mul_f64 v[14:15], v[30:31], v[14:15]
	v_mul_f64 v[16:17], v[32:33], v[16:17]
	s_delay_alu instid0(VALU_DEP_4) | instskip(NEXT) | instid1(VALU_DEP_4)
	v_mul_f64 v[18:19], v[34:35], v[18:19]
	v_mul_f64 v[20:21], v[36:37], v[20:21]
	s_delay_alu instid0(VALU_DEP_4) | instskip(NEXT) | instid1(VALU_DEP_4)
	v_add_f64 v[22:23], v[44:45], v[14:15]
	v_add_f64 v[24:25], v[48:49], v[16:17]
	s_delay_alu instid0(VALU_DEP_4) | instskip(NEXT) | instid1(VALU_DEP_4)
	v_add_f64 v[26:27], v[50:51], v[18:19]
	v_add_f64 v[28:29], v[52:53], v[20:21]
	s_delay_alu instid0(VALU_DEP_4) | instskip(NEXT) | instid1(VALU_DEP_4)
	v_mul_f64 v[30:31], v[22:23], v[22:23]
	v_mul_f64 v[32:33], v[24:25], v[24:25]
	s_delay_alu instid0(VALU_DEP_4) | instskip(NEXT) | instid1(VALU_DEP_4)
	v_mul_f64 v[34:35], v[26:27], v[26:27]
	v_mul_f64 v[36:37], v[28:29], v[28:29]
	s_delay_alu instid0(VALU_DEP_4)
	v_fma_f64 v[38:39], v[30:31], s[14:15], s[12:13]
	v_mul_f64 v[54:55], v[22:23], v[30:31]
	v_fma_f64 v[40:41], v[32:33], s[14:15], s[12:13]
	v_fma_f64 v[42:43], v[34:35], s[14:15], s[12:13]
	;; [unrolled: 1-line block ×4, first 2 shown]
	s_delay_alu instid0(VALU_DEP_4) | instskip(NEXT) | instid1(VALU_DEP_4)
	v_fma_f64 v[40:41], v[32:33], v[40:41], s[16:17]
	v_fma_f64 v[42:43], v[34:35], v[42:43], s[16:17]
	s_delay_alu instid0(VALU_DEP_4) | instskip(NEXT) | instid1(VALU_DEP_4)
	v_fma_f64 v[46:47], v[36:37], v[46:47], s[16:17]
	v_fma_f64 v[38:39], v[30:31], v[38:39], s[18:19]
	;; [unrolled: 3-line block ×8, first 2 shown]
	v_mul_f64 v[38:39], v[24:25], v[32:33]
	v_fma_f64 v[32:33], v[32:33], v[40:41], s[26:27]
	v_mul_f64 v[40:41], v[26:27], v[34:35]
	v_fma_f64 v[34:35], v[34:35], v[42:43], s[26:27]
	;; [unrolled: 2-line block ×3, first 2 shown]
	v_ldexp_f64 v[46:47], v[22:23], 1
	v_add_f64 v[22:23], v[22:23], -v[44:45]
	v_mul_f64 v[30:31], v[54:55], v[30:31]
	v_ldexp_f64 v[54:55], v[24:25], 1
	v_add_f64 v[24:25], v[24:25], -v[48:49]
	v_mul_f64 v[32:33], v[38:39], v[32:33]
	;; [unrolled: 3-line block ×4, first 2 shown]
	v_add_f64 v[14:15], v[14:15], -v[22:23]
	v_add_f64 v[42:43], v[46:47], v[30:31]
	v_add_f64 v[16:17], v[16:17], -v[24:25]
	v_add_f64 v[44:45], v[54:55], v[32:33]
	;; [unrolled: 2-line block ×4, first 2 shown]
	v_ldexp_f64 v[14:15], v[14:15], 1
	v_add_f64 v[22:23], v[42:43], -v[46:47]
	v_ldexp_f64 v[16:17], v[16:17], 1
	v_add_f64 v[24:25], v[44:45], -v[54:55]
	v_ldexp_f64 v[18:19], v[18:19], 1
	v_add_f64 v[26:27], v[48:49], -v[38:39]
	v_ldexp_f64 v[20:21], v[20:21], 1
	v_add_f64 v[28:29], v[50:51], -v[40:41]
	v_add_f64 v[22:23], v[30:31], -v[22:23]
	v_add_f64 v[24:25], v[32:33], -v[24:25]
	;; [unrolled: 1-line block ×3, first 2 shown]
	s_delay_alu instid0(VALU_DEP_4) | instskip(NEXT) | instid1(VALU_DEP_4)
	v_add_f64 v[28:29], v[36:37], -v[28:29]
	v_add_f64 v[14:15], v[14:15], v[22:23]
	s_delay_alu instid0(VALU_DEP_4) | instskip(NEXT) | instid1(VALU_DEP_4)
	v_add_f64 v[16:17], v[16:17], v[24:25]
	v_add_f64 v[18:19], v[18:19], v[26:27]
	s_delay_alu instid0(VALU_DEP_4) | instskip(NEXT) | instid1(VALU_DEP_4)
	v_add_f64 v[20:21], v[20:21], v[28:29]
	v_add_f64 v[22:23], v[42:43], v[14:15]
	s_delay_alu instid0(VALU_DEP_4) | instskip(NEXT) | instid1(VALU_DEP_4)
	v_add_f64 v[24:25], v[44:45], v[16:17]
	v_add_f64 v[26:27], v[48:49], v[18:19]
	s_delay_alu instid0(VALU_DEP_4) | instskip(NEXT) | instid1(VALU_DEP_4)
	v_add_f64 v[28:29], v[50:51], v[20:21]
	v_add_f64 v[30:31], v[22:23], -v[42:43]
	v_mul_f64 v[32:33], v[22:23], s[24:25]
	v_add_f64 v[34:35], v[24:25], -v[44:45]
	v_mul_f64 v[36:37], v[24:25], s[24:25]
	;; [unrolled: 2-line block ×4, first 2 shown]
	v_add_f64 v[14:15], v[14:15], -v[30:31]
	v_fma_f64 v[30:31], v[22:23], s[24:25], -v[32:33]
	v_add_f64 v[16:17], v[16:17], -v[34:35]
	v_fma_f64 v[34:35], v[24:25], s[24:25], -v[36:37]
	;; [unrolled: 2-line block ×4, first 2 shown]
	v_fma_f64 v[14:15], v[14:15], s[24:25], v[30:31]
	v_frexp_exp_i32_f64_e32 v30, v[6:7]
	v_frexp_exp_i32_f64_e32 v31, v[0:1]
	v_fma_f64 v[16:17], v[16:17], s[24:25], v[34:35]
	v_frexp_exp_i32_f64_e32 v34, v[2:3]
	v_fma_f64 v[18:19], v[18:19], s[24:25], v[38:39]
	v_fma_f64 v[20:21], v[20:21], s[24:25], v[42:43]
	;; [unrolled: 1-line block ×3, first 2 shown]
	v_cvt_f64_i32_e32 v[22:23], v9
	v_subrev_co_ci_u32_e64 v9, vcc_lo, 0, v30, s0
	v_cmp_class_f64_e64 s0, v[6:7], 0x204
	v_fma_f64 v[16:17], v[24:25], s[8:9], v[16:17]
	v_subrev_co_ci_u32_e64 v38, vcc_lo, 0, v34, s2
	v_cmp_class_f64_e64 s2, v[2:3], 0x204
	v_fma_f64 v[18:19], v[26:27], s[8:9], v[18:19]
	v_cvt_f64_i32_e32 v[26:27], v9
	v_subrev_co_ci_u32_e64 v9, vcc_lo, 0, v31, s1
	v_cvt_f64_i32_e32 v[38:39], v38
	v_cmp_class_f64_e64 vcc_lo, v[4:5], 0x204
	v_fma_f64 v[20:21], v[28:29], s[8:9], v[20:21]
	s_delay_alu instid0(VALU_DEP_4)
	v_cvt_f64_i32_e32 v[30:31], v9
	v_cmp_class_f64_e64 s1, v[0:1], 0x204
	v_add_f64 v[24:25], v[32:33], v[14:15]
	v_add_f64 v[28:29], v[36:37], v[16:17]
	;; [unrolled: 1-line block ×4, first 2 shown]
	s_delay_alu instid0(VALU_DEP_4)
	v_add_f64 v[46:47], v[24:25], v[22:23]
	v_add_f64 v[32:33], v[24:25], -v[32:33]
	v_add_f64 v[48:49], v[28:29], v[26:27]
	v_add_f64 v[36:37], v[28:29], -v[36:37]
	;; [unrolled: 2-line block ×4, first 2 shown]
	v_add_f64 v[54:55], v[46:47], -v[22:23]
	v_add_f64 v[14:15], v[14:15], -v[32:33]
	;; [unrolled: 1-line block ×16, first 2 shown]
	v_add_f64 v[22:23], v[62:63], v[22:23]
	v_add_f64 v[26:27], v[64:65], v[26:27]
	;; [unrolled: 1-line block ×4, first 2 shown]
	s_delay_alu instid0(VALU_DEP_4) | instskip(NEXT) | instid1(VALU_DEP_4)
	v_add_f64 v[22:23], v[24:25], v[22:23]
	v_add_f64 v[24:25], v[28:29], v[26:27]
	s_delay_alu instid0(VALU_DEP_4) | instskip(NEXT) | instid1(VALU_DEP_4)
	v_add_f64 v[26:27], v[34:35], v[30:31]
	v_add_f64 v[28:29], v[42:43], v[38:39]
	;; [unrolled: 3-line block ×6, first 2 shown]
	s_delay_alu instid0(VALU_DEP_4)
	v_dual_cndmask_b32 v9, v14, v4 :: v_dual_cndmask_b32 v14, v15, v5
	v_cmp_le_i64_e32 vcc_lo, s[6:7], v[10:11]
	v_cndmask_b32_e64 v16, v16, v6, s0
	v_cndmask_b32_e64 v17, v17, v7, s0
	v_cmp_nge_f64_e64 s0, 0, v[4:5]
	v_cndmask_b32_e64 v15, 0x7ff80000, v14, s4
	s_delay_alu instid0(VALU_DEP_2) | instskip(SKIP_3) | instid1(VALU_DEP_3)
	v_cndmask_b32_e64 v14, 0, v9, s0
	v_cmp_neq_f64_e64 s0, 0, v[4:5]
	v_cndmask_b32_e64 v9, v19, v1, s1
	v_cndmask_b32_e64 v5, v18, v0, s1
	;; [unrolled: 1-line block ×3, first 2 shown]
	v_cmp_ngt_f64_e64 s0, 0, v[6:7]
	s_delay_alu instid0(VALU_DEP_1) | instskip(SKIP_1) | instid1(VALU_DEP_1)
	v_cndmask_b32_e64 v4, 0x7ff80000, v17, s0
	v_cmp_nge_f64_e64 s0, 0, v[6:7]
	v_cndmask_b32_e64 v16, 0, v16, s0
	v_cmp_neq_f64_e64 s0, 0, v[6:7]
	v_cndmask_b32_e64 v7, v21, v3, s2
	v_cndmask_b32_e64 v6, v20, v2, s2
	s_delay_alu instid0(VALU_DEP_3) | instskip(SKIP_1) | instid1(VALU_DEP_1)
	v_cndmask_b32_e64 v17, 0xfff00000, v4, s0
	v_cmp_ngt_f64_e64 s0, 0, v[0:1]
	v_cndmask_b32_e64 v9, 0x7ff80000, v9, s0
	v_cmp_nge_f64_e64 s0, 0, v[0:1]
	s_delay_alu instid0(VALU_DEP_1) | instskip(SKIP_1) | instid1(VALU_DEP_1)
	v_cndmask_b32_e64 v4, 0, v5, s0
	v_cmp_ngt_f64_e64 s0, 0, v[2:3]
	v_cndmask_b32_e64 v7, 0x7ff80000, v7, s0
	v_cmp_neq_f64_e64 s0, 0, v[0:1]
	s_delay_alu instid0(VALU_DEP_1) | instskip(SKIP_1) | instid1(VALU_DEP_1)
	v_cndmask_b32_e64 v5, 0xfff00000, v9, s0
	v_cmp_nge_f64_e64 s0, 0, v[2:3]
	v_cndmask_b32_e64 v6, 0, v6, s0
	v_cmp_neq_f64_e64 s0, 0, v[2:3]
	s_delay_alu instid0(VALU_DEP_1) | instskip(SKIP_1) | instid1(VALU_DEP_1)
	v_cndmask_b32_e64 v7, 0xfff00000, v7, s0
	v_add_co_u32 v10, s0, v10, s28
	v_add_co_ci_u32_e64 v11, s0, 0, v11, s0
	s_or_b32 s0, vcc_lo, s3
	s_clause 0x1
	global_store_b128 v[12:13], v[14:17], off offset:-16
	global_store_b128 v[12:13], v[4:7], off
	v_add_co_u32 v12, vcc_lo, v12, s29
	v_add_co_ci_u32_e32 v13, vcc_lo, 0, v13, vcc_lo
	s_and_b32 s0, exec_lo, s0
	s_delay_alu instid0(SALU_CYCLE_1) | instskip(NEXT) | instid1(SALU_CYCLE_1)
	s_or_b32 s5, s0, s5
	s_and_not1_b32 exec_lo, exec_lo, s5
	s_cbranch_execnz .LBB196_24
.LBB196_25:
	s_nop 0
	s_sendmsg sendmsg(MSG_DEALLOC_VGPRS)
	s_endpgm
	.section	.rodata,"a",@progbits
	.p2align	6, 0x0
	.amdhsa_kernel _ZN2at6native12_GLOBAL__N_125multi_tensor_apply_kernelINS1_18TensorListMetadataILi1EEENS1_14UnaryOpFunctorIdLi1ELi1ELi0EEEJNS0_4Log2IdEEEEEvT_T0_DpT1_
		.amdhsa_group_segment_fixed_size 0
		.amdhsa_private_segment_fixed_size 0
		.amdhsa_kernarg_size 3632
		.amdhsa_user_sgpr_count 15
		.amdhsa_user_sgpr_dispatch_ptr 0
		.amdhsa_user_sgpr_queue_ptr 0
		.amdhsa_user_sgpr_kernarg_segment_ptr 1
		.amdhsa_user_sgpr_dispatch_id 0
		.amdhsa_user_sgpr_private_segment_size 0
		.amdhsa_wavefront_size32 1
		.amdhsa_uses_dynamic_stack 0
		.amdhsa_enable_private_segment 0
		.amdhsa_system_sgpr_workgroup_id_x 1
		.amdhsa_system_sgpr_workgroup_id_y 0
		.amdhsa_system_sgpr_workgroup_id_z 0
		.amdhsa_system_sgpr_workgroup_info 0
		.amdhsa_system_vgpr_workitem_id 0
		.amdhsa_next_free_vgpr 70
		.amdhsa_next_free_sgpr 41
		.amdhsa_reserve_vcc 1
		.amdhsa_float_round_mode_32 0
		.amdhsa_float_round_mode_16_64 0
		.amdhsa_float_denorm_mode_32 3
		.amdhsa_float_denorm_mode_16_64 3
		.amdhsa_dx10_clamp 1
		.amdhsa_ieee_mode 1
		.amdhsa_fp16_overflow 0
		.amdhsa_workgroup_processor_mode 1
		.amdhsa_memory_ordered 1
		.amdhsa_forward_progress 0
		.amdhsa_shared_vgpr_count 0
		.amdhsa_exception_fp_ieee_invalid_op 0
		.amdhsa_exception_fp_denorm_src 0
		.amdhsa_exception_fp_ieee_div_zero 0
		.amdhsa_exception_fp_ieee_overflow 0
		.amdhsa_exception_fp_ieee_underflow 0
		.amdhsa_exception_fp_ieee_inexact 0
		.amdhsa_exception_int_div_zero 0
	.end_amdhsa_kernel
	.section	.text._ZN2at6native12_GLOBAL__N_125multi_tensor_apply_kernelINS1_18TensorListMetadataILi1EEENS1_14UnaryOpFunctorIdLi1ELi1ELi0EEEJNS0_4Log2IdEEEEEvT_T0_DpT1_,"axG",@progbits,_ZN2at6native12_GLOBAL__N_125multi_tensor_apply_kernelINS1_18TensorListMetadataILi1EEENS1_14UnaryOpFunctorIdLi1ELi1ELi0EEEJNS0_4Log2IdEEEEEvT_T0_DpT1_,comdat
.Lfunc_end196:
	.size	_ZN2at6native12_GLOBAL__N_125multi_tensor_apply_kernelINS1_18TensorListMetadataILi1EEENS1_14UnaryOpFunctorIdLi1ELi1ELi0EEEJNS0_4Log2IdEEEEEvT_T0_DpT1_, .Lfunc_end196-_ZN2at6native12_GLOBAL__N_125multi_tensor_apply_kernelINS1_18TensorListMetadataILi1EEENS1_14UnaryOpFunctorIdLi1ELi1ELi0EEEJNS0_4Log2IdEEEEEvT_T0_DpT1_
                                        ; -- End function
	.section	.AMDGPU.csdata,"",@progbits
; Kernel info:
; codeLenInByte = 6816
; NumSgprs: 43
; NumVgprs: 70
; ScratchSize: 0
; MemoryBound: 0
; FloatMode: 240
; IeeeMode: 1
; LDSByteSize: 0 bytes/workgroup (compile time only)
; SGPRBlocks: 5
; VGPRBlocks: 8
; NumSGPRsForWavesPerEU: 43
; NumVGPRsForWavesPerEU: 70
; Occupancy: 16
; WaveLimiterHint : 0
; COMPUTE_PGM_RSRC2:SCRATCH_EN: 0
; COMPUTE_PGM_RSRC2:USER_SGPR: 15
; COMPUTE_PGM_RSRC2:TRAP_HANDLER: 0
; COMPUTE_PGM_RSRC2:TGID_X_EN: 1
; COMPUTE_PGM_RSRC2:TGID_Y_EN: 0
; COMPUTE_PGM_RSRC2:TGID_Z_EN: 0
; COMPUTE_PGM_RSRC2:TIDIG_COMP_CNT: 0
	.section	.text._ZN2at6native12_GLOBAL__N_125multi_tensor_apply_kernelINS1_18TensorListMetadataILi1EEENS1_14UnaryOpFunctorIfLi1ELi1ELi0EEEJNS0_4Log2IfEEEEEvT_T0_DpT1_,"axG",@progbits,_ZN2at6native12_GLOBAL__N_125multi_tensor_apply_kernelINS1_18TensorListMetadataILi1EEENS1_14UnaryOpFunctorIfLi1ELi1ELi0EEEJNS0_4Log2IfEEEEEvT_T0_DpT1_,comdat
	.globl	_ZN2at6native12_GLOBAL__N_125multi_tensor_apply_kernelINS1_18TensorListMetadataILi1EEENS1_14UnaryOpFunctorIfLi1ELi1ELi0EEEJNS0_4Log2IfEEEEEvT_T0_DpT1_ ; -- Begin function _ZN2at6native12_GLOBAL__N_125multi_tensor_apply_kernelINS1_18TensorListMetadataILi1EEENS1_14UnaryOpFunctorIfLi1ELi1ELi0EEEJNS0_4Log2IfEEEEEvT_T0_DpT1_
	.p2align	8
	.type	_ZN2at6native12_GLOBAL__N_125multi_tensor_apply_kernelINS1_18TensorListMetadataILi1EEENS1_14UnaryOpFunctorIfLi1ELi1ELi0EEEJNS0_4Log2IfEEEEEvT_T0_DpT1_,@function
_ZN2at6native12_GLOBAL__N_125multi_tensor_apply_kernelINS1_18TensorListMetadataILi1EEENS1_14UnaryOpFunctorIfLi1ELi1ELi0EEEJNS0_4Log2IfEEEEEvT_T0_DpT1_: ; @_ZN2at6native12_GLOBAL__N_125multi_tensor_apply_kernelINS1_18TensorListMetadataILi1EEENS1_14UnaryOpFunctorIfLi1ELi1ELi0EEEJNS0_4Log2IfEEEEEvT_T0_DpT1_
; %bb.0:
	v_mov_b32_e32 v1, s15
	s_add_u32 s2, s0, s15
	s_mul_hi_u32 s3, s15, 3
	s_mul_i32 s15, s15, 3
	s_addc_u32 s4, s1, 0
	global_load_u8 v1, v1, s[0:1] offset:1760
	s_add_u32 s2, s2, s15
	s_addc_u32 s3, s4, s3
	s_mov_b32 s13, 0
	s_load_b32 s2, s[2:3], 0x820
	s_waitcnt vmcnt(0)
	v_readfirstlane_b32 s5, v1
	s_delay_alu instid0(VALU_DEP_1)
	s_lshl_b32 s3, s5, 3
	s_clause 0x1
	s_load_b64 s[8:9], s[0:1], s3 offset:0x0
	s_load_b64 s[4:5], s[0:1], s3 offset:0x370
	s_waitcnt lgkmcnt(0)
	s_ashr_i32 s3, s2, 31
	s_delay_alu instid0(SALU_CYCLE_1)
	s_lshl_b64 s[10:11], s[2:3], 18
	s_lshl_b64 s[2:3], s[2:3], 16
	s_and_b32 s12, s8, 15
	s_sub_u32 s6, s4, s2
	s_subb_u32 s7, s5, s3
	s_and_b32 s2, s4, 3
	s_mov_b32 s3, s13
	s_delay_alu instid0(SALU_CYCLE_1) | instskip(NEXT) | instid1(SALU_CYCLE_1)
	s_or_b64 s[2:3], s[12:13], s[2:3]
	s_cmp_eq_u64 s[2:3], 0
	s_cbranch_scc1 .LBB197_21
; %bb.1:
	v_cmp_lt_i64_e64 s2, s[6:7], 1
	s_delay_alu instid0(VALU_DEP_1)
	s_and_b32 vcc_lo, exec_lo, s2
	s_cbranch_vccnz .LBB197_20
; %bb.2:
	s_load_b32 s2, s[0:1], 0xd3c
	v_cmp_gt_u64_e64 s3, 0x10000, s[6:7]
	v_lshlrev_b32_e32 v1, 2, v0
	s_waitcnt lgkmcnt(0)
	s_and_b32 s2, s2, 0xffff
	s_delay_alu instid0(VALU_DEP_2)
	s_and_b32 s3, s3, exec_lo
	v_add_co_u32 v5, s5, v0, s2
	s_cselect_b32 s13, s7, 0
	s_cselect_b32 s12, s6, 0x10000
	s_lshl_b32 s3, s2, 1
	s_lshl_b32 s16, s2, 2
	v_lshlrev_b32_e32 v3, 2, v5
	v_add_co_ci_u32_e64 v6, null, 0, 0, s5
	s_add_u32 s5, s8, s10
	v_add_co_u32 v9, s3, s3, v0
	s_mul_i32 s4, s2, 3
	s_addc_u32 s14, s9, s11
	v_add_co_ci_u32_e64 v10, null, 0, 0, s3
	v_add_co_u32 v1, s3, s5, v1
	v_add_co_u32 v7, s4, s4, v0
	v_add_co_ci_u32_e64 v2, null, s14, 0, s3
	v_add_co_u32 v3, s3, s5, v3
	v_add_co_ci_u32_e64 v8, null, 0, 0, s4
	v_add_co_ci_u32_e64 v4, null, s14, 0, s3
	s_lshl_b32 s17, s2, 4
	s_mul_i32 s18, s2, 12
	s_lshl_b32 s19, s2, 3
	s_mov_b64 s[14:15], 0
	s_branch .LBB197_4
.LBB197_3:                              ;   in Loop: Header=BB197_4 Depth=1
	s_or_b32 exec_lo, exec_lo, s2
	s_add_u32 s14, s14, s16
	s_addc_u32 s15, s15, 0
	v_add_co_u32 v1, vcc_lo, v1, s17
	v_cmp_lt_i64_e64 s2, s[14:15], s[6:7]
	v_cmp_gt_u64_e64 s3, 0x10000, s[14:15]
	v_add_co_ci_u32_e32 v2, vcc_lo, 0, v2, vcc_lo
	v_add_co_u32 v3, vcc_lo, v3, s17
	v_add_co_ci_u32_e32 v4, vcc_lo, 0, v4, vcc_lo
	s_delay_alu instid0(VALU_DEP_4) | instskip(NEXT) | instid1(SALU_CYCLE_1)
	s_and_b32 s2, s2, s3
	s_and_b32 vcc_lo, exec_lo, s2
	s_cbranch_vccz .LBB197_20
.LBB197_4:                              ; =>This Inner Loop Header: Depth=1
	s_waitcnt vmcnt(0)
	v_add_co_u32 v11, s2, v0, s14
	s_delay_alu instid0(VALU_DEP_1) | instskip(NEXT) | instid1(VALU_DEP_1)
	v_add_co_ci_u32_e64 v12, null, 0, s15, s2
	v_cmp_gt_u64_e32 vcc_lo, s[12:13], v[11:12]
	v_mov_b32_e32 v12, 0
	s_and_saveexec_b32 s2, vcc_lo
	s_cbranch_execz .LBB197_6
; %bb.5:                                ;   in Loop: Header=BB197_4 Depth=1
	global_load_b32 v12, v[1:2], off
.LBB197_6:                              ;   in Loop: Header=BB197_4 Depth=1
	s_or_b32 exec_lo, exec_lo, s2
	v_add_co_u32 v13, s2, v5, s14
	s_delay_alu instid0(VALU_DEP_1) | instskip(NEXT) | instid1(VALU_DEP_1)
	v_add_co_ci_u32_e64 v14, s2, s15, v6, s2
	v_cmp_gt_u64_e64 s2, s[12:13], v[13:14]
	v_mov_b32_e32 v13, 0
	s_delay_alu instid0(VALU_DEP_2)
	s_and_saveexec_b32 s3, s2
	s_cbranch_execz .LBB197_8
; %bb.7:                                ;   in Loop: Header=BB197_4 Depth=1
	global_load_b32 v13, v[3:4], off
.LBB197_8:                              ;   in Loop: Header=BB197_4 Depth=1
	s_or_b32 exec_lo, exec_lo, s3
	v_add_co_u32 v14, s3, v9, s14
	s_delay_alu instid0(VALU_DEP_1) | instskip(SKIP_1) | instid1(VALU_DEP_2)
	v_add_co_ci_u32_e64 v15, s3, s15, v10, s3
	v_mov_b32_e32 v11, 0
	v_cmp_gt_u64_e64 s3, s[12:13], v[14:15]
	v_mov_b32_e32 v14, 0
	s_delay_alu instid0(VALU_DEP_2)
	s_and_saveexec_b32 s5, s3
	s_cbranch_execz .LBB197_10
; %bb.9:                                ;   in Loop: Header=BB197_4 Depth=1
	v_add_co_u32 v14, s4, v1, s19
	s_delay_alu instid0(VALU_DEP_1)
	v_add_co_ci_u32_e64 v15, s4, 0, v2, s4
	global_load_b32 v14, v[14:15], off
.LBB197_10:                             ;   in Loop: Header=BB197_4 Depth=1
	s_or_b32 exec_lo, exec_lo, s5
	v_add_co_u32 v15, s4, v7, s14
	s_delay_alu instid0(VALU_DEP_1) | instskip(NEXT) | instid1(VALU_DEP_1)
	v_add_co_ci_u32_e64 v16, s4, s15, v8, s4
	v_cmp_gt_u64_e64 s4, s[12:13], v[15:16]
	s_delay_alu instid0(VALU_DEP_1)
	s_and_saveexec_b32 s20, s4
	s_cbranch_execnz .LBB197_15
; %bb.11:                               ;   in Loop: Header=BB197_4 Depth=1
	s_or_b32 exec_lo, exec_lo, s20
	s_and_saveexec_b32 s5, vcc_lo
	s_cbranch_execnz .LBB197_16
.LBB197_12:                             ;   in Loop: Header=BB197_4 Depth=1
	s_or_b32 exec_lo, exec_lo, s5
	s_and_saveexec_b32 s5, s2
	s_cbranch_execnz .LBB197_17
.LBB197_13:                             ;   in Loop: Header=BB197_4 Depth=1
	s_or_b32 exec_lo, exec_lo, s5
	s_and_saveexec_b32 s2, s3
	s_cbranch_execnz .LBB197_18
.LBB197_14:                             ;   in Loop: Header=BB197_4 Depth=1
	s_or_b32 exec_lo, exec_lo, s2
	s_and_saveexec_b32 s2, s4
	s_cbranch_execz .LBB197_3
	s_branch .LBB197_19
.LBB197_15:                             ;   in Loop: Header=BB197_4 Depth=1
	v_add_co_u32 v15, s5, v1, s18
	s_delay_alu instid0(VALU_DEP_1)
	v_add_co_ci_u32_e64 v16, s5, 0, v2, s5
	global_load_b32 v11, v[15:16], off
	s_or_b32 exec_lo, exec_lo, s20
	s_and_saveexec_b32 s5, vcc_lo
	s_cbranch_execz .LBB197_12
.LBB197_16:                             ;   in Loop: Header=BB197_4 Depth=1
	s_waitcnt vmcnt(0)
	v_cmp_gt_f32_e32 vcc_lo, 0x800000, v12
	v_cndmask_b32_e64 v16, 1.0, 0x4f800000, vcc_lo
	v_cndmask_b32_e64 v15, 0, 0x42000000, vcc_lo
	s_delay_alu instid0(VALU_DEP_2) | instskip(NEXT) | instid1(VALU_DEP_1)
	v_mul_f32_e32 v12, v12, v16
	v_log_f32_e32 v12, v12
	s_waitcnt_depctr 0xfff
	v_sub_f32_e32 v12, v12, v15
	global_store_b32 v[1:2], v12, off
	s_or_b32 exec_lo, exec_lo, s5
	s_and_saveexec_b32 s5, s2
	s_cbranch_execz .LBB197_13
.LBB197_17:                             ;   in Loop: Header=BB197_4 Depth=1
	s_waitcnt vmcnt(0)
	v_cmp_gt_f32_e32 vcc_lo, 0x800000, v13
	v_cndmask_b32_e64 v15, 1.0, 0x4f800000, vcc_lo
	v_cndmask_b32_e64 v12, 0, 0x42000000, vcc_lo
	s_delay_alu instid0(VALU_DEP_2) | instskip(NEXT) | instid1(VALU_DEP_1)
	v_mul_f32_e32 v13, v13, v15
	v_log_f32_e32 v13, v13
	s_waitcnt_depctr 0xfff
	v_sub_f32_e32 v12, v13, v12
	global_store_b32 v[3:4], v12, off
	s_or_b32 exec_lo, exec_lo, s5
	s_and_saveexec_b32 s2, s3
	s_cbranch_execz .LBB197_14
.LBB197_18:                             ;   in Loop: Header=BB197_4 Depth=1
	s_waitcnt vmcnt(0)
	v_cmp_gt_f32_e32 vcc_lo, 0x800000, v14
	v_cndmask_b32_e64 v13, 1.0, 0x4f800000, vcc_lo
	v_cndmask_b32_e64 v12, 0, 0x42000000, vcc_lo
	s_delay_alu instid0(VALU_DEP_2) | instskip(NEXT) | instid1(VALU_DEP_1)
	v_mul_f32_e32 v13, v14, v13
	v_log_f32_e32 v13, v13
	s_waitcnt_depctr 0xfff
	v_sub_f32_e32 v14, v13, v12
	v_add_co_u32 v12, vcc_lo, v1, s19
	v_add_co_ci_u32_e32 v13, vcc_lo, 0, v2, vcc_lo
	global_store_b32 v[12:13], v14, off
	s_or_b32 exec_lo, exec_lo, s2
	s_and_saveexec_b32 s2, s4
	s_cbranch_execz .LBB197_3
.LBB197_19:                             ;   in Loop: Header=BB197_4 Depth=1
	s_waitcnt vmcnt(0)
	v_cmp_gt_f32_e32 vcc_lo, 0x800000, v11
	v_cndmask_b32_e64 v13, 1.0, 0x4f800000, vcc_lo
	v_cndmask_b32_e64 v12, 0, 0x42000000, vcc_lo
	s_delay_alu instid0(VALU_DEP_2) | instskip(NEXT) | instid1(VALU_DEP_1)
	v_mul_f32_e32 v11, v11, v13
	v_log_f32_e32 v11, v11
	s_waitcnt_depctr 0xfff
	v_sub_f32_e32 v13, v11, v12
	v_add_co_u32 v11, vcc_lo, v1, s18
	v_add_co_ci_u32_e32 v12, vcc_lo, 0, v2, vcc_lo
	global_store_b32 v[11:12], v13, off
	s_branch .LBB197_3
.LBB197_20:
	s_cbranch_execz .LBB197_22
	s_branch .LBB197_25
.LBB197_21:
.LBB197_22:
	v_dual_mov_b32 v2, 0 :: v_dual_lshlrev_b32 v1, 2, v0
	s_mov_b32 s3, 0
	s_mov_b32 s2, exec_lo
	s_delay_alu instid0(VALU_DEP_1)
	v_cmpx_gt_i64_e64 s[6:7], v[1:2]
	s_cbranch_execz .LBB197_25
; %bb.23:
	s_load_b32 s0, s[0:1], 0xd3c
	v_lshlrev_b32_e32 v1, 4, v0
	s_waitcnt lgkmcnt(0)
	s_and_b32 s0, s0, 0xffff
	s_delay_alu instid0(SALU_CYCLE_1) | instskip(SKIP_3) | instid1(VALU_DEP_1)
	s_lshl_b32 s4, s0, 2
	s_add_u32 s1, s8, s10
	s_addc_u32 s2, s9, s11
	v_add_co_u32 v3, s1, s1, v1
	v_add_co_ci_u32_e64 v4, null, s2, 0, s1
	v_add_lshl_u32 v1, v0, s0, 2
	s_delay_alu instid0(VALU_DEP_3) | instskip(NEXT) | instid1(VALU_DEP_3)
	v_add_co_u32 v3, vcc_lo, v3, 8
	v_add_co_ci_u32_e32 v4, vcc_lo, 0, v4, vcc_lo
	s_lshl_b32 s5, s0, 4
.LBB197_24:                             ; =>This Inner Loop Header: Depth=1
	global_load_b128 v[5:8], v[3:4], off offset:-8
	s_waitcnt vmcnt(0)
	v_cmp_gt_f32_e32 vcc_lo, 0x800000, v5
	v_cmp_gt_f32_e64 s0, 0x800000, v6
	v_cmp_gt_f32_e64 s1, 0x800000, v7
	v_cmp_gt_f32_e64 s2, 0x800000, v8
	v_cndmask_b32_e64 v12, 1.0, 0x4f800000, vcc_lo
	s_delay_alu instid0(VALU_DEP_4) | instskip(NEXT) | instid1(VALU_DEP_4)
	v_cndmask_b32_e64 v13, 1.0, 0x4f800000, s0
	v_cndmask_b32_e64 v14, 1.0, 0x4f800000, s1
	s_delay_alu instid0(VALU_DEP_4) | instskip(SKIP_1) | instid1(VALU_DEP_4)
	v_cndmask_b32_e64 v15, 1.0, 0x4f800000, s2
	v_cndmask_b32_e64 v0, 0, 0x42000000, vcc_lo
	v_dual_mul_f32 v5, v5, v12 :: v_dual_mul_f32 v6, v6, v13
	s_delay_alu instid0(VALU_DEP_3) | instskip(SKIP_1) | instid1(VALU_DEP_3)
	v_dual_mul_f32 v7, v7, v14 :: v_dual_mul_f32 v8, v8, v15
	v_cndmask_b32_e64 v9, 0, 0x42000000, s0
	v_log_f32_e32 v5, v5
	s_delay_alu instid0(VALU_DEP_3) | instskip(NEXT) | instid1(VALU_DEP_2)
	v_log_f32_e32 v6, v6
	v_log_f32_e32 v7, v7
	v_log_f32_e32 v8, v8
	v_cndmask_b32_e64 v10, 0, 0x42000000, s1
	v_cndmask_b32_e64 v11, 0, 0x42000000, s2
	v_cmp_le_i64_e32 vcc_lo, s[6:7], v[1:2]
	v_cmp_lt_u64_e64 s0, 0xffff, v[1:2]
	v_add_co_u32 v1, s1, v1, s4
	s_delay_alu instid0(TRANS32_DEP_3) | instskip(NEXT) | instid1(TRANS32_DEP_1)
	v_dual_sub_f32 v5, v5, v0 :: v_dual_sub_f32 v6, v6, v9
	v_dual_sub_f32 v7, v7, v10 :: v_dual_sub_f32 v8, v8, v11
	s_delay_alu instid0(VALU_DEP_4)
	s_or_b32 s0, vcc_lo, s0
	v_add_co_ci_u32_e64 v2, s1, 0, v2, s1
	s_and_b32 s0, exec_lo, s0
	global_store_b128 v[3:4], v[5:8], off offset:-8
	v_add_co_u32 v3, vcc_lo, v3, s5
	v_add_co_ci_u32_e32 v4, vcc_lo, 0, v4, vcc_lo
	s_or_b32 s3, s0, s3
	s_delay_alu instid0(SALU_CYCLE_1)
	s_and_not1_b32 exec_lo, exec_lo, s3
	s_cbranch_execnz .LBB197_24
.LBB197_25:
	s_nop 0
	s_sendmsg sendmsg(MSG_DEALLOC_VGPRS)
	s_endpgm
	.section	.rodata,"a",@progbits
	.p2align	6, 0x0
	.amdhsa_kernel _ZN2at6native12_GLOBAL__N_125multi_tensor_apply_kernelINS1_18TensorListMetadataILi1EEENS1_14UnaryOpFunctorIfLi1ELi1ELi0EEEJNS0_4Log2IfEEEEEvT_T0_DpT1_
		.amdhsa_group_segment_fixed_size 0
		.amdhsa_private_segment_fixed_size 0
		.amdhsa_kernarg_size 3632
		.amdhsa_user_sgpr_count 15
		.amdhsa_user_sgpr_dispatch_ptr 0
		.amdhsa_user_sgpr_queue_ptr 0
		.amdhsa_user_sgpr_kernarg_segment_ptr 1
		.amdhsa_user_sgpr_dispatch_id 0
		.amdhsa_user_sgpr_private_segment_size 0
		.amdhsa_wavefront_size32 1
		.amdhsa_uses_dynamic_stack 0
		.amdhsa_enable_private_segment 0
		.amdhsa_system_sgpr_workgroup_id_x 1
		.amdhsa_system_sgpr_workgroup_id_y 0
		.amdhsa_system_sgpr_workgroup_id_z 0
		.amdhsa_system_sgpr_workgroup_info 0
		.amdhsa_system_vgpr_workitem_id 0
		.amdhsa_next_free_vgpr 17
		.amdhsa_next_free_sgpr 21
		.amdhsa_reserve_vcc 1
		.amdhsa_float_round_mode_32 0
		.amdhsa_float_round_mode_16_64 0
		.amdhsa_float_denorm_mode_32 3
		.amdhsa_float_denorm_mode_16_64 3
		.amdhsa_dx10_clamp 1
		.amdhsa_ieee_mode 1
		.amdhsa_fp16_overflow 0
		.amdhsa_workgroup_processor_mode 1
		.amdhsa_memory_ordered 1
		.amdhsa_forward_progress 0
		.amdhsa_shared_vgpr_count 0
		.amdhsa_exception_fp_ieee_invalid_op 0
		.amdhsa_exception_fp_denorm_src 0
		.amdhsa_exception_fp_ieee_div_zero 0
		.amdhsa_exception_fp_ieee_overflow 0
		.amdhsa_exception_fp_ieee_underflow 0
		.amdhsa_exception_fp_ieee_inexact 0
		.amdhsa_exception_int_div_zero 0
	.end_amdhsa_kernel
	.section	.text._ZN2at6native12_GLOBAL__N_125multi_tensor_apply_kernelINS1_18TensorListMetadataILi1EEENS1_14UnaryOpFunctorIfLi1ELi1ELi0EEEJNS0_4Log2IfEEEEEvT_T0_DpT1_,"axG",@progbits,_ZN2at6native12_GLOBAL__N_125multi_tensor_apply_kernelINS1_18TensorListMetadataILi1EEENS1_14UnaryOpFunctorIfLi1ELi1ELi0EEEJNS0_4Log2IfEEEEEvT_T0_DpT1_,comdat
.Lfunc_end197:
	.size	_ZN2at6native12_GLOBAL__N_125multi_tensor_apply_kernelINS1_18TensorListMetadataILi1EEENS1_14UnaryOpFunctorIfLi1ELi1ELi0EEEJNS0_4Log2IfEEEEEvT_T0_DpT1_, .Lfunc_end197-_ZN2at6native12_GLOBAL__N_125multi_tensor_apply_kernelINS1_18TensorListMetadataILi1EEENS1_14UnaryOpFunctorIfLi1ELi1ELi0EEEJNS0_4Log2IfEEEEEvT_T0_DpT1_
                                        ; -- End function
	.section	.AMDGPU.csdata,"",@progbits
; Kernel info:
; codeLenInByte = 1488
; NumSgprs: 23
; NumVgprs: 17
; ScratchSize: 0
; MemoryBound: 0
; FloatMode: 240
; IeeeMode: 1
; LDSByteSize: 0 bytes/workgroup (compile time only)
; SGPRBlocks: 2
; VGPRBlocks: 2
; NumSGPRsForWavesPerEU: 23
; NumVGPRsForWavesPerEU: 17
; Occupancy: 16
; WaveLimiterHint : 0
; COMPUTE_PGM_RSRC2:SCRATCH_EN: 0
; COMPUTE_PGM_RSRC2:USER_SGPR: 15
; COMPUTE_PGM_RSRC2:TRAP_HANDLER: 0
; COMPUTE_PGM_RSRC2:TGID_X_EN: 1
; COMPUTE_PGM_RSRC2:TGID_Y_EN: 0
; COMPUTE_PGM_RSRC2:TGID_Z_EN: 0
; COMPUTE_PGM_RSRC2:TIDIG_COMP_CNT: 0
	.section	.text._ZN2at6native12_GLOBAL__N_125multi_tensor_apply_kernelINS1_18TensorListMetadataILi1EEENS1_14UnaryOpFunctorIN3c107complexIdEELi1ELi1ELi0EEEJNS0_4Log2IS8_EEEEEvT_T0_DpT1_,"axG",@progbits,_ZN2at6native12_GLOBAL__N_125multi_tensor_apply_kernelINS1_18TensorListMetadataILi1EEENS1_14UnaryOpFunctorIN3c107complexIdEELi1ELi1ELi0EEEJNS0_4Log2IS8_EEEEEvT_T0_DpT1_,comdat
	.globl	_ZN2at6native12_GLOBAL__N_125multi_tensor_apply_kernelINS1_18TensorListMetadataILi1EEENS1_14UnaryOpFunctorIN3c107complexIdEELi1ELi1ELi0EEEJNS0_4Log2IS8_EEEEEvT_T0_DpT1_ ; -- Begin function _ZN2at6native12_GLOBAL__N_125multi_tensor_apply_kernelINS1_18TensorListMetadataILi1EEENS1_14UnaryOpFunctorIN3c107complexIdEELi1ELi1ELi0EEEJNS0_4Log2IS8_EEEEEvT_T0_DpT1_
	.p2align	8
	.type	_ZN2at6native12_GLOBAL__N_125multi_tensor_apply_kernelINS1_18TensorListMetadataILi1EEENS1_14UnaryOpFunctorIN3c107complexIdEELi1ELi1ELi0EEEJNS0_4Log2IS8_EEEEEvT_T0_DpT1_,@function
_ZN2at6native12_GLOBAL__N_125multi_tensor_apply_kernelINS1_18TensorListMetadataILi1EEENS1_14UnaryOpFunctorIN3c107complexIdEELi1ELi1ELi0EEEJNS0_4Log2IS8_EEEEEvT_T0_DpT1_: ; @_ZN2at6native12_GLOBAL__N_125multi_tensor_apply_kernelINS1_18TensorListMetadataILi1EEENS1_14UnaryOpFunctorIN3c107complexIdEELi1ELi1ELi0EEEJNS0_4Log2IS8_EEEEEvT_T0_DpT1_
; %bb.0:
	v_mov_b32_e32 v1, s15
	s_add_u32 s2, s0, s15
	s_mul_hi_u32 s3, s15, 3
	s_mul_i32 s15, s15, 3
	s_addc_u32 s4, s1, 0
	global_load_u8 v1, v1, s[0:1] offset:1760
	s_add_u32 s2, s2, s15
	s_addc_u32 s3, s4, s3
	s_mov_b32 s11, 0
	s_load_b32 s2, s[2:3], 0x820
	s_waitcnt vmcnt(0)
	v_readfirstlane_b32 s5, v1
	s_delay_alu instid0(VALU_DEP_1)
	s_lshl_b32 s3, s5, 3
	s_clause 0x1
	s_load_b64 s[4:5], s[0:1], s3 offset:0x0
	s_load_b64 s[6:7], s[0:1], s3 offset:0x370
	s_waitcnt lgkmcnt(0)
	s_ashr_i32 s3, s2, 31
	s_delay_alu instid0(SALU_CYCLE_1) | instskip(NEXT) | instid1(SALU_CYCLE_1)
	s_lshl_b64 s[8:9], s[2:3], 20
	s_add_u32 s33, s4, s8
	s_addc_u32 s102, s5, s9
	s_lshl_b64 s[2:3], s[2:3], 16
	s_and_b32 s10, s33, 63
	s_sub_u32 s18, s6, s2
	s_subb_u32 s19, s7, s3
	s_and_b32 s2, s6, 3
	s_mov_b32 s3, s11
	s_delay_alu instid0(SALU_CYCLE_1) | instskip(NEXT) | instid1(SALU_CYCLE_1)
	s_or_b64 s[2:3], s[10:11], s[2:3]
	s_cmp_eq_u64 s[2:3], 0
	s_cbranch_scc1 .LBB198_157
; %bb.1:
	v_cmp_lt_i64_e64 s2, s[18:19], 1
	s_delay_alu instid0(VALU_DEP_1)
	s_and_b32 vcc_lo, exec_lo, s2
	s_cbranch_vccnz .LBB198_156
; %bb.2:
	s_load_b32 s2, s[0:1], 0xd3c
	v_cmp_gt_u64_e64 s3, 0x10000, s[18:19]
	v_dual_mov_b32 v17, 0 :: v_dual_mov_b32 v60, 0x4002d97c
	v_mov_b32_e32 v59, 0x7f3321d2
	s_mov_b32 s20, 0x85ebc8a0
	s_mov_b32 s14, 0x4ad4b81f
	;; [unrolled: 1-line block ×15, first 2 shown]
	s_waitcnt lgkmcnt(0)
	s_and_b32 s103, s2, 0xffff
	s_and_b32 s2, s3, exec_lo
	s_mov_b32 s56, 0xa595c56f
	s_mov_b32 s58, 0xa57d9582
	;; [unrolled: 1-line block ×24, first 2 shown]
	s_cselect_b32 s35, s19, 0
	s_cselect_b32 s34, s18, 0x10000
	s_lshl_b32 s104, s103, 1
	s_mul_i32 vcc_hi, s103, 3
	s_lshl_b32 s90, s103, 2
	s_mov_b32 s37, 0x3fc7474d
	s_mov_b32 s39, 0x3fcc71c0
	;; [unrolled: 1-line block ×29, first 2 shown]
	s_mov_b64 s[98:99], 0
	s_mov_b32 s100, 0x55555780
	s_mov_b32 s17, 0x400921fb
	s_branch .LBB198_4
.LBB198_3:                              ;   in Loop: Header=BB198_4 Depth=1
	s_or_b32 exec_lo, exec_lo, s2
	s_add_u32 s98, s98, s90
	s_addc_u32 s99, s99, 0
	s_delay_alu instid0(SALU_CYCLE_1) | instskip(SKIP_1) | instid1(VALU_DEP_1)
	v_cmp_ge_i64_e64 s2, s[98:99], s[18:19]
	v_cmp_lt_u64_e64 s3, 0xffff, s[98:99]
	s_or_b32 s2, s2, s3
	s_delay_alu instid0(SALU_CYCLE_1)
	s_and_b32 vcc_lo, exec_lo, s2
	s_cbranch_vccnz .LBB198_156
.LBB198_4:                              ; =>This Loop Header: Depth=1
                                        ;     Child Loop BB198_23 Depth 2
                                        ;     Child Loop BB198_57 Depth 2
	;; [unrolled: 1-line block ×4, first 2 shown]
	v_add_co_u32 v5, s2, s98, v0
	s_delay_alu instid0(VALU_DEP_1) | instskip(SKIP_2) | instid1(VALU_DEP_3)
	v_add_co_ci_u32_e64 v6, null, s99, 0, s2
	v_mov_b32_e32 v3, 0
	v_mov_b32_e32 v4, 0
	v_cmp_gt_u64_e64 s2, s[34:35], v[5:6]
	v_lshlrev_b64 v[19:20], 4, v[5:6]
	s_delay_alu instid0(VALU_DEP_3) | instskip(SKIP_1) | instid1(VALU_DEP_4)
	v_dual_mov_b32 v12, v4 :: v_dual_mov_b32 v11, v3
	v_dual_mov_b32 v10, v4 :: v_dual_mov_b32 v9, v3
	s_and_saveexec_b32 s3, s2
	s_cbranch_execz .LBB198_6
; %bb.5:                                ;   in Loop: Header=BB198_4 Depth=1
	s_delay_alu instid0(VALU_DEP_3)
	v_add_co_u32 v1, vcc_lo, s33, v19
	v_add_co_ci_u32_e32 v2, vcc_lo, s102, v20, vcc_lo
	global_load_b128 v[9:12], v[1:2], off
.LBB198_6:                              ;   in Loop: Header=BB198_4 Depth=1
	s_or_b32 exec_lo, exec_lo, s3
	v_add_co_u32 v1, vcc_lo, v5, s103
	v_add_co_ci_u32_e32 v2, vcc_lo, 0, v6, vcc_lo
	s_delay_alu instid0(VALU_DEP_1) | instskip(SKIP_2) | instid1(VALU_DEP_3)
	v_cmp_gt_u64_e64 s3, s[34:35], v[1:2]
	v_lshlrev_b64 v[21:22], 4, v[1:2]
	v_dual_mov_b32 v1, v3 :: v_dual_mov_b32 v2, v4
	s_and_saveexec_b32 s4, s3
	s_cbranch_execz .LBB198_8
; %bb.7:                                ;   in Loop: Header=BB198_4 Depth=1
	s_delay_alu instid0(VALU_DEP_2) | instskip(NEXT) | instid1(VALU_DEP_3)
	v_add_co_u32 v1, vcc_lo, s33, v21
	v_add_co_ci_u32_e32 v2, vcc_lo, s102, v22, vcc_lo
	global_load_b128 v[1:4], v[1:2], off
.LBB198_8:                              ;   in Loop: Header=BB198_4 Depth=1
	s_or_b32 exec_lo, exec_lo, s4
	v_add_co_u32 v13, vcc_lo, v5, s104
	v_add_co_ci_u32_e32 v14, vcc_lo, 0, v6, vcc_lo
	v_mov_b32_e32 v7, 0
	v_mov_b32_e32 v8, 0
	s_delay_alu instid0(VALU_DEP_3) | instskip(SKIP_1) | instid1(VALU_DEP_3)
	v_cmp_gt_u64_e64 s4, s[34:35], v[13:14]
	v_lshlrev_b64 v[23:24], 4, v[13:14]
	v_dual_mov_b32 v16, v8 :: v_dual_mov_b32 v15, v7
	v_dual_mov_b32 v14, v8 :: v_dual_mov_b32 v13, v7
	s_delay_alu instid0(VALU_DEP_4)
	s_and_saveexec_b32 s5, s4
	s_cbranch_execz .LBB198_10
; %bb.9:                                ;   in Loop: Header=BB198_4 Depth=1
	s_delay_alu instid0(VALU_DEP_3)
	v_add_co_u32 v13, vcc_lo, s33, v23
	v_add_co_ci_u32_e32 v14, vcc_lo, s102, v24, vcc_lo
	global_load_b128 v[13:16], v[13:14], off
.LBB198_10:                             ;   in Loop: Header=BB198_4 Depth=1
	s_or_b32 exec_lo, exec_lo, s5
	v_add_co_u32 v5, vcc_lo, v5, vcc_hi
	v_add_co_ci_u32_e32 v6, vcc_lo, 0, v6, vcc_lo
	s_delay_alu instid0(VALU_DEP_1) | instskip(SKIP_2) | instid1(VALU_DEP_3)
	v_cmp_gt_u64_e64 s5, s[34:35], v[5:6]
	v_lshlrev_b64 v[25:26], 4, v[5:6]
	v_dual_mov_b32 v5, v7 :: v_dual_mov_b32 v6, v8
	s_and_saveexec_b32 s6, s5
	s_cbranch_execz .LBB198_12
; %bb.11:                               ;   in Loop: Header=BB198_4 Depth=1
	s_delay_alu instid0(VALU_DEP_2) | instskip(NEXT) | instid1(VALU_DEP_3)
	v_add_co_u32 v5, vcc_lo, s33, v25
	v_add_co_ci_u32_e32 v6, vcc_lo, s102, v26, vcc_lo
	global_load_b128 v[5:8], v[5:6], off
.LBB198_12:                             ;   in Loop: Header=BB198_4 Depth=1
	s_or_b32 exec_lo, exec_lo, s6
                                        ; implicit-def: $vgpr27_vgpr28
                                        ; implicit-def: $vgpr29_vgpr30
	s_delay_alu instid0(SALU_CYCLE_1)
	s_mov_b32 s6, exec_lo
	s_waitcnt vmcnt(0)
	v_cmpx_o_f64_e32 v[9:10], v[11:12]
	s_xor_b32 s91, exec_lo, s6
	s_cbranch_execz .LBB198_40
; %bb.13:                               ;   in Loop: Header=BB198_4 Depth=1
	v_cmp_lt_f64_e64 s6, |v[9:10]|, |v[11:12]|
	v_and_b32_e32 v18, 0x7fffffff, v10
	v_dual_mov_b32 v32, v11 :: v_dual_and_b32 v31, 0x7fffffff, v12
                                        ; implicit-def: $vgpr27_vgpr28
                                        ; implicit-def: $vgpr29_vgpr30
	s_mov_b32 s7, exec_lo
	s_delay_alu instid0(VALU_DEP_1) | instskip(NEXT) | instid1(VALU_DEP_2)
	v_cndmask_b32_e64 v34, v31, v18, s6
	v_cndmask_b32_e64 v33, v32, v9, s6
	s_delay_alu instid0(VALU_DEP_1)
	v_cmpx_nlt_f64_e32 s[20:21], v[33:34]
	s_xor_b32 s22, exec_lo, s7
	s_cbranch_execz .LBB198_37
; %bb.14:                               ;   in Loop: Header=BB198_4 Depth=1
	v_cndmask_b32_e64 v36, v18, v31, s6
	v_cndmask_b32_e64 v35, v9, v32, s6
                                        ; implicit-def: $vgpr27_vgpr28
                                        ; implicit-def: $vgpr29_vgpr30
	s_mov_b32 s7, exec_lo
	s_delay_alu instid0(VALU_DEP_1)
	v_cmpx_neq_f64_e32 1.0, v[35:36]
	s_xor_b32 s23, exec_lo, s7
	s_cbranch_execz .LBB198_30
; %bb.15:                               ;   in Loop: Header=BB198_4 Depth=1
	v_max_f64 v[27:28], v[33:34], v[33:34]
	v_max_f64 v[29:30], v[35:36], v[35:36]
	s_mov_b32 s8, 0xc57e649a
	s_mov_b32 s9, 0x4a511b0e
	s_delay_alu instid0(VALU_DEP_1) | instskip(SKIP_1) | instid1(VALU_DEP_2)
	v_min_f64 v[31:32], v[29:30], v[27:28]
	v_max_f64 v[27:28], v[29:30], v[27:28]
                                        ; implicit-def: $vgpr29_vgpr30
	v_cmp_ngt_f64_e32 vcc_lo, s[14:15], v[31:32]
	s_delay_alu instid0(VALU_DEP_2) | instskip(NEXT) | instid1(VALU_DEP_1)
	v_cmp_nlt_f64_e64 s7, s[8:9], v[27:28]
                                        ; implicit-def: $vgpr27_vgpr28
	s_and_b32 s7, s7, vcc_lo
	s_delay_alu instid0(SALU_CYCLE_1) | instskip(NEXT) | instid1(SALU_CYCLE_1)
	s_and_saveexec_b32 s8, s7
	s_xor_b32 s24, exec_lo, s8
	s_cbranch_execz .LBB198_27
; %bb.16:                               ;   in Loop: Header=BB198_4 Depth=1
                                        ; implicit-def: $vgpr27_vgpr28
                                        ; implicit-def: $vgpr29_vgpr30
	s_mov_b32 s7, exec_lo
	v_cmpx_le_f64_e32 1.0, v[35:36]
	s_xor_b32 s8, exec_lo, s7
	s_cbranch_execz .LBB198_18
; %bb.17:                               ;   in Loop: Header=BB198_4 Depth=1
	v_add_f64 v[27:28], v[35:36], -1.0
	v_add_f64 v[29:30], v[35:36], 1.0
	s_mov_b32 s101, s27
	s_mov_b32 s16, s88
	v_cmp_gt_i32_e64 s7, 0, v10
	v_cmp_class_f64_e64 s10, v[9:10], 0x204
	v_cmp_class_f64_e64 s9, v[11:12], 0x204
	s_delay_alu instid0(VALU_DEP_4) | instskip(NEXT) | instid1(VALU_DEP_1)
	v_mul_f64 v[27:28], v[27:28], v[29:30]
	v_fma_f64 v[28:29], v[33:34], v[33:34], v[27:28]
	s_delay_alu instid0(VALU_DEP_1) | instskip(NEXT) | instid1(VALU_DEP_1)
	v_add_f64 v[30:31], v[28:29], 1.0
	v_frexp_mant_f64_e32 v[32:33], v[30:31]
	v_frexp_exp_i32_f64_e32 v18, v[30:31]
	v_add_f64 v[34:35], v[30:31], -1.0
	s_delay_alu instid0(VALU_DEP_3) | instskip(NEXT) | instid1(VALU_DEP_2)
	v_cmp_gt_f64_e32 vcc_lo, s[26:27], v[32:33]
	v_add_f64 v[32:33], v[34:35], -v[30:31]
	v_add_f64 v[34:35], v[28:29], -v[34:35]
	v_subrev_co_ci_u32_e32 v18, vcc_lo, 0, v18, vcc_lo
	s_delay_alu instid0(VALU_DEP_3) | instskip(NEXT) | instid1(VALU_DEP_2)
	v_add_f64 v[32:33], v[32:33], 1.0
	v_sub_nc_u32_e32 v27, 0, v18
	s_delay_alu instid0(VALU_DEP_1) | instskip(NEXT) | instid1(VALU_DEP_3)
	v_ldexp_f64 v[30:31], v[30:31], v27
	v_add_f64 v[32:33], v[34:35], v[32:33]
	s_delay_alu instid0(VALU_DEP_2) | instskip(SKIP_1) | instid1(VALU_DEP_3)
	v_add_f64 v[36:37], v[30:31], 1.0
	v_add_f64 v[42:43], v[30:31], -1.0
	v_ldexp_f64 v[32:33], v[32:33], v27
	s_delay_alu instid0(VALU_DEP_3) | instskip(NEXT) | instid1(VALU_DEP_3)
	v_add_f64 v[34:35], v[36:37], -1.0
	v_add_f64 v[44:45], v[42:43], 1.0
	s_delay_alu instid0(VALU_DEP_2) | instskip(NEXT) | instid1(VALU_DEP_2)
	v_add_f64 v[34:35], v[30:31], -v[34:35]
	v_add_f64 v[30:31], v[30:31], -v[44:45]
	s_delay_alu instid0(VALU_DEP_2) | instskip(NEXT) | instid1(VALU_DEP_2)
	v_add_f64 v[34:35], v[32:33], v[34:35]
	v_add_f64 v[30:31], v[32:33], v[30:31]
	s_delay_alu instid0(VALU_DEP_2) | instskip(NEXT) | instid1(VALU_DEP_2)
	v_add_f64 v[38:39], v[36:37], v[34:35]
	v_add_f64 v[44:45], v[42:43], v[30:31]
	s_delay_alu instid0(VALU_DEP_2) | instskip(SKIP_1) | instid1(VALU_DEP_2)
	v_rcp_f64_e32 v[40:41], v[38:39]
	v_add_f64 v[36:37], v[38:39], -v[36:37]
	v_add_f64 v[42:43], v[44:45], -v[42:43]
	s_delay_alu instid0(VALU_DEP_2) | instskip(SKIP_3) | instid1(VALU_DEP_2)
	v_add_f64 v[34:35], v[34:35], -v[36:37]
	s_waitcnt_depctr 0xfff
	v_fma_f64 v[46:47], -v[38:39], v[40:41], 1.0
	v_add_f64 v[30:31], v[30:31], -v[42:43]
	v_fma_f64 v[40:41], v[46:47], v[40:41], v[40:41]
	s_delay_alu instid0(VALU_DEP_1) | instskip(NEXT) | instid1(VALU_DEP_1)
	v_fma_f64 v[32:33], -v[38:39], v[40:41], 1.0
	v_fma_f64 v[32:33], v[32:33], v[40:41], v[40:41]
	s_delay_alu instid0(VALU_DEP_1) | instskip(NEXT) | instid1(VALU_DEP_1)
	v_mul_f64 v[40:41], v[44:45], v[32:33]
	v_mul_f64 v[46:47], v[38:39], v[40:41]
	s_delay_alu instid0(VALU_DEP_1) | instskip(NEXT) | instid1(VALU_DEP_1)
	v_fma_f64 v[36:37], v[40:41], v[38:39], -v[46:47]
	v_fma_f64 v[36:37], v[40:41], v[34:35], v[36:37]
	s_delay_alu instid0(VALU_DEP_1) | instskip(NEXT) | instid1(VALU_DEP_1)
	v_add_f64 v[48:49], v[46:47], v[36:37]
	v_add_f64 v[50:51], v[44:45], -v[48:49]
	v_add_f64 v[42:43], v[48:49], -v[46:47]
	v_max_f64 v[46:47], |v[11:12]|, |v[11:12]|
	s_delay_alu instid0(VALU_DEP_3) | instskip(NEXT) | instid1(VALU_DEP_3)
	v_add_f64 v[44:45], v[44:45], -v[50:51]
	v_add_f64 v[36:37], v[42:43], -v[36:37]
	s_delay_alu instid0(VALU_DEP_2) | instskip(SKIP_2) | instid1(VALU_DEP_1)
	v_add_f64 v[44:45], v[44:45], -v[48:49]
	v_max_f64 v[48:49], |v[9:10]|, |v[9:10]|
	v_cndmask_b32_e64 v9, 0x3fe921fb, v60, s7
	v_bfi_b32 v9, 0x7fffffff, v9, v12
	s_delay_alu instid0(VALU_DEP_4) | instskip(NEXT) | instid1(VALU_DEP_4)
	v_add_f64 v[30:31], v[30:31], v[44:45]
	v_max_f64 v[52:53], v[48:49], v[46:47]
	v_min_f64 v[46:47], v[48:49], v[46:47]
	s_delay_alu instid0(VALU_DEP_3) | instskip(NEXT) | instid1(VALU_DEP_1)
	v_add_f64 v[30:31], v[36:37], v[30:31]
	v_add_f64 v[36:37], v[50:51], v[30:31]
	s_delay_alu instid0(VALU_DEP_1) | instskip(SKIP_1) | instid1(VALU_DEP_2)
	v_mul_f64 v[42:43], v[32:33], v[36:37]
	v_add_f64 v[50:51], v[50:51], -v[36:37]
	v_mul_f64 v[44:45], v[38:39], v[42:43]
	s_delay_alu instid0(VALU_DEP_2) | instskip(NEXT) | instid1(VALU_DEP_2)
	v_add_f64 v[30:31], v[30:31], v[50:51]
	v_fma_f64 v[38:39], v[42:43], v[38:39], -v[44:45]
	s_delay_alu instid0(VALU_DEP_1) | instskip(SKIP_1) | instid1(VALU_DEP_2)
	v_fma_f64 v[34:35], v[42:43], v[34:35], v[38:39]
	v_div_scale_f64 v[38:39], null, v[52:53], v[52:53], v[46:47]
	v_add_f64 v[48:49], v[44:45], v[34:35]
	s_delay_alu instid0(VALU_DEP_2) | instskip(NEXT) | instid1(VALU_DEP_1)
	v_rcp_f64_e32 v[54:55], v[38:39]
	v_add_f64 v[56:57], v[36:37], -v[48:49]
	v_add_f64 v[44:45], v[48:49], -v[44:45]
	s_waitcnt_depctr 0xfff
	v_fma_f64 v[61:62], -v[38:39], v[54:55], 1.0
	v_add_f64 v[36:37], v[36:37], -v[56:57]
	v_add_f64 v[34:35], v[44:45], -v[34:35]
	s_delay_alu instid0(VALU_DEP_3) | instskip(NEXT) | instid1(VALU_DEP_3)
	v_fma_f64 v[54:55], v[54:55], v[61:62], v[54:55]
	v_add_f64 v[36:37], v[36:37], -v[48:49]
	s_delay_alu instid0(VALU_DEP_2) | instskip(NEXT) | instid1(VALU_DEP_2)
	v_fma_f64 v[48:49], -v[38:39], v[54:55], 1.0
	v_add_f64 v[30:31], v[30:31], v[36:37]
	v_div_scale_f64 v[36:37], vcc_lo, v[46:47], v[52:53], v[46:47]
	s_delay_alu instid0(VALU_DEP_3) | instskip(SKIP_1) | instid1(VALU_DEP_4)
	v_fma_f64 v[44:45], v[54:55], v[48:49], v[54:55]
	v_add_f64 v[48:49], v[40:41], v[42:43]
	v_add_f64 v[30:31], v[34:35], v[30:31]
	s_delay_alu instid0(VALU_DEP_3) | instskip(NEXT) | instid1(VALU_DEP_3)
	v_mul_f64 v[34:35], v[36:37], v[44:45]
	v_add_f64 v[40:41], v[48:49], -v[40:41]
	s_delay_alu instid0(VALU_DEP_3) | instskip(NEXT) | instid1(VALU_DEP_3)
	v_add_f64 v[30:31], v[56:57], v[30:31]
	v_fma_f64 v[36:37], -v[38:39], v[34:35], v[36:37]
	s_delay_alu instid0(VALU_DEP_3) | instskip(NEXT) | instid1(VALU_DEP_3)
	v_add_f64 v[38:39], v[42:43], -v[40:41]
	v_mul_f64 v[30:31], v[32:33], v[30:31]
	s_delay_alu instid0(VALU_DEP_3) | instskip(SKIP_1) | instid1(VALU_DEP_3)
	v_div_fmas_f64 v[32:33], v[36:37], v[44:45], v[34:35]
	v_cmp_eq_f64_e32 vcc_lo, 0x7ff00000, v[28:29]
	v_add_f64 v[30:31], v[38:39], v[30:31]
	s_delay_alu instid0(VALU_DEP_3) | instskip(NEXT) | instid1(VALU_DEP_2)
	v_div_fixup_f64 v[32:33], v[32:33], v[52:53], v[46:47]
	v_add_f64 v[34:35], v[48:49], v[30:31]
	s_delay_alu instid0(VALU_DEP_2) | instskip(NEXT) | instid1(VALU_DEP_2)
	v_mul_f64 v[36:37], v[32:33], v[32:33]
	v_mul_f64 v[38:39], v[34:35], v[34:35]
	s_delay_alu instid0(VALU_DEP_2) | instskip(NEXT) | instid1(VALU_DEP_2)
	v_fma_f64 v[40:41], v[36:37], s[50:51], s[48:49]
	v_fma_f64 v[42:43], v[38:39], s[30:31], s[28:29]
	v_mul_f64 v[44:45], v[34:35], v[38:39]
	s_delay_alu instid0(VALU_DEP_3) | instskip(NEXT) | instid1(VALU_DEP_3)
	v_fma_f64 v[40:41], v[36:37], v[40:41], s[52:53]
	v_fma_f64 v[42:43], v[38:39], v[42:43], s[36:37]
	s_delay_alu instid0(VALU_DEP_2) | instskip(NEXT) | instid1(VALU_DEP_2)
	v_fma_f64 v[40:41], v[36:37], v[40:41], s[54:55]
	v_fma_f64 v[42:43], v[38:39], v[42:43], s[38:39]
	s_delay_alu instid0(VALU_DEP_2) | instskip(NEXT) | instid1(VALU_DEP_2)
	;; [unrolled: 3-line block ×4, first 2 shown]
	v_fma_f64 v[40:41], v[36:37], v[40:41], s[60:61]
	v_fma_f64 v[38:39], v[38:39], v[42:43], s[100:101]
	v_ldexp_f64 v[42:43], v[34:35], 1
	v_add_f64 v[34:35], v[34:35], -v[48:49]
	s_delay_alu instid0(VALU_DEP_4) | instskip(NEXT) | instid1(VALU_DEP_4)
	v_fma_f64 v[40:41], v[36:37], v[40:41], s[62:63]
	v_mul_f64 v[38:39], v[44:45], v[38:39]
	v_cvt_f64_i32_e32 v[44:45], v18
	s_delay_alu instid0(VALU_DEP_4) | instskip(NEXT) | instid1(VALU_DEP_4)
	v_add_f64 v[30:31], v[30:31], -v[34:35]
	v_fma_f64 v[40:41], v[36:37], v[40:41], s[64:65]
	v_ashrrev_i32_e32 v18, 31, v10
	s_delay_alu instid0(VALU_DEP_1) | instskip(SKIP_4) | instid1(VALU_DEP_4)
	v_and_b32_e32 v10, 0x400921fb, v18
	v_add_f64 v[46:47], v[42:43], v[38:39]
	v_mul_f64 v[48:49], v[44:45], s[44:45]
	v_ldexp_f64 v[30:31], v[30:31], 1
	v_fma_f64 v[40:41], v[36:37], v[40:41], s[66:67]
	v_add_f64 v[34:35], v[46:47], -v[42:43]
	s_delay_alu instid0(VALU_DEP_4) | instskip(NEXT) | instid1(VALU_DEP_3)
	v_fma_f64 v[42:43], v[44:45], s[44:45], -v[48:49]
	v_fma_f64 v[40:41], v[36:37], v[40:41], s[68:69]
	s_delay_alu instid0(VALU_DEP_3) | instskip(NEXT) | instid1(VALU_DEP_2)
	v_add_f64 v[34:35], v[38:39], -v[34:35]
	v_fma_f64 v[38:39], v[36:37], v[40:41], s[70:71]
	s_delay_alu instid0(VALU_DEP_4) | instskip(NEXT) | instid1(VALU_DEP_3)
	v_fma_f64 v[40:41], v[44:45], s[46:47], v[42:43]
	v_add_f64 v[30:31], v[30:31], v[34:35]
	s_delay_alu instid0(VALU_DEP_3) | instskip(NEXT) | instid1(VALU_DEP_3)
	v_fma_f64 v[34:35], v[36:37], v[38:39], s[72:73]
	v_add_f64 v[38:39], v[48:49], v[40:41]
	s_delay_alu instid0(VALU_DEP_3) | instskip(NEXT) | instid1(VALU_DEP_3)
	v_add_f64 v[42:43], v[46:47], v[30:31]
	v_fma_f64 v[34:35], v[36:37], v[34:35], s[74:75]
	s_delay_alu instid0(VALU_DEP_3) | instskip(NEXT) | instid1(VALU_DEP_3)
	v_add_f64 v[48:49], v[38:39], -v[48:49]
	v_add_f64 v[44:45], v[38:39], v[42:43]
	v_add_f64 v[46:47], v[42:43], -v[46:47]
	s_delay_alu instid0(VALU_DEP_4) | instskip(NEXT) | instid1(VALU_DEP_4)
	v_fma_f64 v[34:35], v[36:37], v[34:35], s[76:77]
	v_add_f64 v[40:41], v[40:41], -v[48:49]
	s_delay_alu instid0(VALU_DEP_4) | instskip(NEXT) | instid1(VALU_DEP_4)
	v_add_f64 v[50:51], v[44:45], -v[38:39]
	v_add_f64 v[30:31], v[30:31], -v[46:47]
	s_delay_alu instid0(VALU_DEP_4) | instskip(NEXT) | instid1(VALU_DEP_3)
	v_fma_f64 v[34:35], v[36:37], v[34:35], s[78:79]
	v_add_f64 v[52:53], v[44:45], -v[50:51]
	v_add_f64 v[42:43], v[42:43], -v[50:51]
	s_delay_alu instid0(VALU_DEP_4) | instskip(NEXT) | instid1(VALU_DEP_4)
	v_add_f64 v[46:47], v[40:41], v[30:31]
	v_fma_f64 v[34:35], v[36:37], v[34:35], s[80:81]
	s_delay_alu instid0(VALU_DEP_4) | instskip(NEXT) | instid1(VALU_DEP_2)
	v_add_f64 v[38:39], v[38:39], -v[52:53]
	v_fma_f64 v[34:35], v[36:37], v[34:35], s[82:83]
	s_delay_alu instid0(VALU_DEP_2) | instskip(SKIP_1) | instid1(VALU_DEP_3)
	v_add_f64 v[38:39], v[42:43], v[38:39]
	v_add_f64 v[42:43], v[46:47], -v[40:41]
	v_fma_f64 v[34:35], v[36:37], v[34:35], s[84:85]
	s_delay_alu instid0(VALU_DEP_3) | instskip(NEXT) | instid1(VALU_DEP_3)
	v_add_f64 v[38:39], v[46:47], v[38:39]
	v_add_f64 v[46:47], v[46:47], -v[42:43]
	v_add_f64 v[30:31], v[30:31], -v[42:43]
	s_delay_alu instid0(VALU_DEP_4) | instskip(NEXT) | instid1(VALU_DEP_4)
	v_fma_f64 v[34:35], v[36:37], v[34:35], s[86:87]
	v_add_f64 v[48:49], v[44:45], v[38:39]
	s_delay_alu instid0(VALU_DEP_2) | instskip(SKIP_1) | instid1(VALU_DEP_3)
	v_mul_f64 v[34:35], v[36:37], v[34:35]
	v_add_f64 v[36:37], v[40:41], -v[46:47]
	v_add_f64 v[40:41], v[48:49], -v[44:45]
	s_delay_alu instid0(VALU_DEP_3) | instskip(NEXT) | instid1(VALU_DEP_3)
	v_fma_f64 v[32:33], v[32:33], v[34:35], v[32:33]
	v_add_f64 v[30:31], v[30:31], v[36:37]
	s_delay_alu instid0(VALU_DEP_3) | instskip(NEXT) | instid1(VALU_DEP_3)
	v_add_f64 v[34:35], v[38:39], -v[40:41]
	v_add_f64 v[36:37], -v[32:33], s[88:89]
	s_delay_alu instid0(VALU_DEP_2) | instskip(NEXT) | instid1(VALU_DEP_2)
	v_add_f64 v[30:31], v[30:31], v[34:35]
	v_cndmask_b32_e64 v33, v33, v37, s6
	s_delay_alu instid0(VALU_DEP_3) | instskip(SKIP_1) | instid1(VALU_DEP_2)
	v_cndmask_b32_e64 v32, v32, v36, s6
	v_cndmask_b32_e64 v36, 0x54442d18, v59, s7
	v_add_f64 v[34:35], -v[32:33], s[16:17]
	v_add_f64 v[30:31], v[48:49], v[30:31]
	v_and_b32_e32 v27, 0x54442d18, v18
	s_delay_alu instid0(VALU_DEP_3) | instskip(NEXT) | instid1(VALU_DEP_4)
	v_cndmask_b32_e64 v34, v32, v34, s7
	v_cndmask_b32_e64 v18, v33, v35, s7
	v_cmp_nge_f64_e64 s7, -1.0, v[28:29]
	v_dual_cndmask_b32 v30, v30, v28 :: v_dual_cndmask_b32 v31, v31, v29
	v_cmp_eq_f64_e32 vcc_lo, 0, v[11:12]
	s_delay_alu instid0(VALU_DEP_2) | instskip(SKIP_3) | instid1(VALU_DEP_4)
	v_mul_f64 v[31:32], v[30:31], 0.5
	v_cndmask_b32_e32 v33, v34, v27, vcc_lo
	v_cndmask_b32_e32 v10, v18, v10, vcc_lo
	v_cmp_ngt_f64_e32 vcc_lo, -1.0, v[28:29]
	v_cndmask_b32_e64 v27, 0, v31, s7
	v_cmp_neq_f64_e64 s7, -1.0, v[28:29]
	v_cndmask_b32_e32 v18, 0x7ff80000, v32, vcc_lo
	s_and_b32 vcc_lo, s9, s10
	v_dual_cndmask_b32 v29, v33, v36 :: v_dual_cndmask_b32 v30, v10, v9
	s_delay_alu instid0(VALU_DEP_2)
	v_cndmask_b32_e64 v28, 0xfff00000, v18, s7
                                        ; implicit-def: $vgpr33_vgpr34
                                        ; implicit-def: $vgpr35_vgpr36
.LBB198_18:                             ;   in Loop: Header=BB198_4 Depth=1
	s_and_not1_saveexec_b32 s25, s8
	s_cbranch_execz .LBB198_26
; %bb.19:                               ;   in Loop: Header=BB198_4 Depth=1
	v_mul_f64 v[27:28], v[33:34], v[33:34]
	s_mov_b32 s8, 0x66666666
	s_mov_b32 s9, 0x3fe66666
                                        ; implicit-def: $vgpr29_vgpr30
	s_mov_b32 s7, exec_lo
	s_delay_alu instid0(VALU_DEP_1) | instskip(NEXT) | instid1(VALU_DEP_1)
	v_fma_f64 v[31:32], v[35:36], v[35:36], v[27:28]
                                        ; implicit-def: $vgpr27_vgpr28
	v_cmpx_ge_f64_e32 s[8:9], v[31:32]
	s_xor_b32 s9, exec_lo, s7
	s_cbranch_execz .LBB198_21
; %bb.20:                               ;   in Loop: Header=BB198_4 Depth=1
	v_frexp_mant_f64_e32 v[27:28], v[31:32]
	v_max_f64 v[39:40], |v[9:10]|, |v[9:10]|
	s_mov_b32 s101, s27
	s_mov_b32 s16, s88
	v_cmp_class_f64_e64 s10, v[11:12], 0x204
	v_cmp_class_f64_e64 s11, v[9:10], 0x204
	v_cmp_neq_f64_e64 s8, 0, v[31:32]
	v_cmp_gt_f64_e64 s7, s[26:27], v[27:28]
	s_delay_alu instid0(VALU_DEP_1) | instskip(NEXT) | instid1(VALU_DEP_1)
	v_cndmask_b32_e64 v18, 0x3ff00000, 2.0, s7
	v_mul_f64 v[27:28], v[27:28], v[17:18]
	v_frexp_exp_i32_f64_e32 v18, v[31:32]
	s_delay_alu instid0(VALU_DEP_2) | instskip(SKIP_1) | instid1(VALU_DEP_2)
	v_add_f64 v[29:30], v[27:28], 1.0
	v_add_f64 v[37:38], v[27:28], -1.0
	v_rcp_f64_e32 v[33:34], v[29:30]
	s_waitcnt_depctr 0xfff
	v_fma_f64 v[35:36], -v[29:30], v[33:34], 1.0
	s_delay_alu instid0(VALU_DEP_1) | instskip(NEXT) | instid1(VALU_DEP_1)
	v_fma_f64 v[33:34], v[35:36], v[33:34], v[33:34]
	v_fma_f64 v[35:36], -v[29:30], v[33:34], 1.0
	s_delay_alu instid0(VALU_DEP_1) | instskip(SKIP_1) | instid1(VALU_DEP_2)
	v_fma_f64 v[33:34], v[35:36], v[33:34], v[33:34]
	v_max_f64 v[35:36], |v[11:12]|, |v[11:12]|
	v_mul_f64 v[41:42], v[37:38], v[33:34]
	s_delay_alu instid0(VALU_DEP_2) | instskip(SKIP_2) | instid1(VALU_DEP_4)
	v_max_f64 v[43:44], v[39:40], v[35:36]
	v_min_f64 v[35:36], v[39:40], v[35:36]
	v_add_f64 v[39:40], v[29:30], -1.0
	v_mul_f64 v[45:46], v[29:30], v[41:42]
	s_delay_alu instid0(VALU_DEP_3) | instskip(NEXT) | instid1(VALU_DEP_3)
	v_div_scale_f64 v[47:48], null, v[43:44], v[43:44], v[35:36]
	v_add_f64 v[27:28], v[27:28], -v[39:40]
	v_div_scale_f64 v[53:54], vcc_lo, v[35:36], v[43:44], v[35:36]
	s_delay_alu instid0(VALU_DEP_4) | instskip(NEXT) | instid1(VALU_DEP_4)
	v_fma_f64 v[29:30], v[41:42], v[29:30], -v[45:46]
	v_rcp_f64_e32 v[39:40], v[47:48]
	s_delay_alu instid0(VALU_DEP_1) | instskip(SKIP_3) | instid1(VALU_DEP_2)
	v_fma_f64 v[27:28], v[41:42], v[27:28], v[29:30]
	s_waitcnt_depctr 0xfff
	v_fma_f64 v[29:30], -v[47:48], v[39:40], 1.0
	v_add_f64 v[49:50], v[45:46], v[27:28]
	v_fma_f64 v[29:30], v[39:40], v[29:30], v[39:40]
	s_delay_alu instid0(VALU_DEP_2) | instskip(SKIP_1) | instid1(VALU_DEP_3)
	v_add_f64 v[39:40], v[37:38], -v[49:50]
	v_add_f64 v[45:46], v[49:50], -v[45:46]
	v_fma_f64 v[51:52], -v[47:48], v[29:30], 1.0
	s_delay_alu instid0(VALU_DEP_3) | instskip(NEXT) | instid1(VALU_DEP_3)
	v_add_f64 v[37:38], v[37:38], -v[39:40]
	v_add_f64 v[27:28], v[45:46], -v[27:28]
	s_delay_alu instid0(VALU_DEP_3) | instskip(NEXT) | instid1(VALU_DEP_3)
	v_fma_f64 v[29:30], v[29:30], v[51:52], v[29:30]
	v_add_f64 v[37:38], v[37:38], -v[49:50]
	s_delay_alu instid0(VALU_DEP_2) | instskip(NEXT) | instid1(VALU_DEP_2)
	v_mul_f64 v[45:46], v[53:54], v[29:30]
	v_add_f64 v[27:28], v[27:28], v[37:38]
	s_delay_alu instid0(VALU_DEP_2) | instskip(NEXT) | instid1(VALU_DEP_2)
	v_fma_f64 v[37:38], -v[47:48], v[45:46], v[53:54]
	v_add_f64 v[27:28], v[39:40], v[27:28]
	s_delay_alu instid0(VALU_DEP_2)
	v_div_fmas_f64 v[29:30], v[37:38], v[29:30], v[45:46]
	v_subrev_co_ci_u32_e64 v18, vcc_lo, 0, v18, s7
	v_cmp_eq_f64_e64 s7, 0, v[11:12]
	v_cmp_gt_i32_e32 vcc_lo, 0, v10
	v_mul_f64 v[27:28], v[33:34], v[27:28]
	v_div_fixup_f64 v[29:30], v[29:30], v[43:44], v[35:36]
	s_delay_alu instid0(VALU_DEP_2) | instskip(NEXT) | instid1(VALU_DEP_2)
	v_add_f64 v[33:34], v[41:42], v[27:28]
	v_mul_f64 v[35:36], v[29:30], v[29:30]
	s_delay_alu instid0(VALU_DEP_2) | instskip(NEXT) | instid1(VALU_DEP_2)
	v_mul_f64 v[37:38], v[33:34], v[33:34]
	v_fma_f64 v[39:40], v[35:36], s[50:51], s[48:49]
	s_delay_alu instid0(VALU_DEP_2) | instskip(SKIP_1) | instid1(VALU_DEP_3)
	v_fma_f64 v[43:44], v[37:38], s[30:31], s[28:29]
	v_mul_f64 v[45:46], v[33:34], v[37:38]
	v_fma_f64 v[39:40], v[35:36], v[39:40], s[52:53]
	s_delay_alu instid0(VALU_DEP_3) | instskip(NEXT) | instid1(VALU_DEP_2)
	v_fma_f64 v[43:44], v[37:38], v[43:44], s[36:37]
	v_fma_f64 v[39:40], v[35:36], v[39:40], s[54:55]
	s_delay_alu instid0(VALU_DEP_2) | instskip(NEXT) | instid1(VALU_DEP_2)
	v_fma_f64 v[43:44], v[37:38], v[43:44], s[38:39]
	v_fma_f64 v[39:40], v[35:36], v[39:40], s[56:57]
	s_delay_alu instid0(VALU_DEP_2) | instskip(NEXT) | instid1(VALU_DEP_2)
	;; [unrolled: 3-line block ×3, first 2 shown]
	v_fma_f64 v[43:44], v[37:38], v[43:44], s[42:43]
	v_fma_f64 v[39:40], v[35:36], v[39:40], s[60:61]
	s_delay_alu instid0(VALU_DEP_2) | instskip(SKIP_2) | instid1(VALU_DEP_4)
	v_fma_f64 v[37:38], v[37:38], v[43:44], s[100:101]
	v_ldexp_f64 v[43:44], v[33:34], 1
	v_add_f64 v[33:34], v[33:34], -v[41:42]
	v_fma_f64 v[39:40], v[35:36], v[39:40], s[62:63]
	s_delay_alu instid0(VALU_DEP_4) | instskip(SKIP_1) | instid1(VALU_DEP_4)
	v_mul_f64 v[37:38], v[45:46], v[37:38]
	v_cvt_f64_i32_e32 v[45:46], v18
	v_add_f64 v[27:28], v[27:28], -v[33:34]
	v_ashrrev_i32_e32 v18, 31, v10
	v_fma_f64 v[39:40], v[35:36], v[39:40], s[64:65]
	v_add_f64 v[41:42], v[43:44], v[37:38]
	v_mul_f64 v[47:48], v[45:46], s[44:45]
	v_ldexp_f64 v[27:28], v[27:28], 1
	s_delay_alu instid0(VALU_DEP_4) | instskip(NEXT) | instid1(VALU_DEP_4)
	v_fma_f64 v[39:40], v[35:36], v[39:40], s[66:67]
	v_add_f64 v[33:34], v[41:42], -v[43:44]
	s_delay_alu instid0(VALU_DEP_4) | instskip(NEXT) | instid1(VALU_DEP_3)
	v_fma_f64 v[43:44], v[45:46], s[44:45], -v[47:48]
	v_fma_f64 v[39:40], v[35:36], v[39:40], s[68:69]
	s_delay_alu instid0(VALU_DEP_3) | instskip(NEXT) | instid1(VALU_DEP_2)
	v_add_f64 v[33:34], v[37:38], -v[33:34]
	v_fma_f64 v[37:38], v[35:36], v[39:40], s[70:71]
	s_delay_alu instid0(VALU_DEP_4) | instskip(NEXT) | instid1(VALU_DEP_3)
	v_fma_f64 v[39:40], v[45:46], s[46:47], v[43:44]
	v_add_f64 v[27:28], v[27:28], v[33:34]
	s_delay_alu instid0(VALU_DEP_3) | instskip(NEXT) | instid1(VALU_DEP_3)
	v_fma_f64 v[33:34], v[35:36], v[37:38], s[72:73]
	v_add_f64 v[37:38], v[47:48], v[39:40]
	s_delay_alu instid0(VALU_DEP_3) | instskip(NEXT) | instid1(VALU_DEP_3)
	v_add_f64 v[43:44], v[41:42], v[27:28]
	v_fma_f64 v[33:34], v[35:36], v[33:34], s[74:75]
	s_delay_alu instid0(VALU_DEP_3) | instskip(NEXT) | instid1(VALU_DEP_3)
	v_add_f64 v[47:48], v[37:38], -v[47:48]
	v_add_f64 v[45:46], v[37:38], v[43:44]
	v_add_f64 v[41:42], v[43:44], -v[41:42]
	s_delay_alu instid0(VALU_DEP_4) | instskip(NEXT) | instid1(VALU_DEP_4)
	v_fma_f64 v[33:34], v[35:36], v[33:34], s[76:77]
	v_add_f64 v[39:40], v[39:40], -v[47:48]
	s_delay_alu instid0(VALU_DEP_4) | instskip(NEXT) | instid1(VALU_DEP_4)
	v_add_f64 v[49:50], v[45:46], -v[37:38]
	v_add_f64 v[27:28], v[27:28], -v[41:42]
	s_delay_alu instid0(VALU_DEP_4) | instskip(NEXT) | instid1(VALU_DEP_3)
	v_fma_f64 v[33:34], v[35:36], v[33:34], s[78:79]
	v_add_f64 v[51:52], v[45:46], -v[49:50]
	v_add_f64 v[41:42], v[43:44], -v[49:50]
	s_delay_alu instid0(VALU_DEP_4) | instskip(NEXT) | instid1(VALU_DEP_4)
	v_add_f64 v[43:44], v[39:40], v[27:28]
	v_fma_f64 v[33:34], v[35:36], v[33:34], s[80:81]
	s_delay_alu instid0(VALU_DEP_4) | instskip(NEXT) | instid1(VALU_DEP_2)
	v_add_f64 v[37:38], v[37:38], -v[51:52]
	v_fma_f64 v[33:34], v[35:36], v[33:34], s[82:83]
	s_delay_alu instid0(VALU_DEP_2) | instskip(SKIP_1) | instid1(VALU_DEP_3)
	v_add_f64 v[37:38], v[41:42], v[37:38]
	v_add_f64 v[41:42], v[43:44], -v[39:40]
	v_fma_f64 v[33:34], v[35:36], v[33:34], s[84:85]
	s_delay_alu instid0(VALU_DEP_3) | instskip(NEXT) | instid1(VALU_DEP_3)
	v_add_f64 v[37:38], v[43:44], v[37:38]
	v_add_f64 v[43:44], v[43:44], -v[41:42]
	v_add_f64 v[27:28], v[27:28], -v[41:42]
	s_delay_alu instid0(VALU_DEP_4) | instskip(NEXT) | instid1(VALU_DEP_4)
	v_fma_f64 v[33:34], v[35:36], v[33:34], s[86:87]
	v_add_f64 v[47:48], v[45:46], v[37:38]
	s_delay_alu instid0(VALU_DEP_2) | instskip(SKIP_1) | instid1(VALU_DEP_3)
	v_mul_f64 v[33:34], v[35:36], v[33:34]
	v_add_f64 v[35:36], v[39:40], -v[43:44]
	v_add_f64 v[39:40], v[47:48], -v[45:46]
	s_delay_alu instid0(VALU_DEP_3) | instskip(NEXT) | instid1(VALU_DEP_3)
	v_fma_f64 v[29:30], v[29:30], v[33:34], v[29:30]
	v_add_f64 v[27:28], v[27:28], v[35:36]
	s_delay_alu instid0(VALU_DEP_3) | instskip(NEXT) | instid1(VALU_DEP_3)
	v_add_f64 v[33:34], v[37:38], -v[39:40]
	v_add_f64 v[35:36], -v[29:30], s[88:89]
	s_delay_alu instid0(VALU_DEP_2) | instskip(NEXT) | instid1(VALU_DEP_2)
	v_add_f64 v[27:28], v[27:28], v[33:34]
	v_cndmask_b32_e64 v30, v30, v36, s6
	s_delay_alu instid0(VALU_DEP_3) | instskip(SKIP_2) | instid1(VALU_DEP_3)
	v_cndmask_b32_e64 v29, v29, v35, s6
	v_dual_cndmask_b32 v35, 0x54442d18, v59 :: v_dual_and_b32 v36, 0x54442d18, v18
	v_and_b32_e32 v18, 0x400921fb, v18
	v_add_f64 v[33:34], -v[29:30], s[16:17]
	v_add_f64 v[27:28], v[47:48], v[27:28]
	s_delay_alu instid0(VALU_DEP_2) | instskip(NEXT) | instid1(VALU_DEP_1)
	v_cndmask_b32_e32 v29, v29, v33, vcc_lo
	v_cndmask_b32_e64 v29, v29, v36, s7
	s_delay_alu instid0(VALU_DEP_3) | instskip(SKIP_4) | instid1(VALU_DEP_3)
	v_mul_f64 v[9:10], v[27:28], 0.5
	v_cndmask_b32_e32 v27, 0x3fe921fb, v60, vcc_lo
	v_cndmask_b32_e32 v28, v30, v34, vcc_lo
	s_and_b32 vcc_lo, s10, s11
                                        ; implicit-def: $vgpr33_vgpr34
	v_cndmask_b32_e32 v29, v29, v35, vcc_lo
	v_bfi_b32 v27, 0x7fffffff, v27, v12
	s_delay_alu instid0(VALU_DEP_3) | instskip(NEXT) | instid1(VALU_DEP_1)
	v_cndmask_b32_e64 v18, v28, v18, s7
                                        ; implicit-def: $vgpr35_vgpr36
	v_cndmask_b32_e32 v30, v18, v27, vcc_lo
	v_cndmask_b32_e64 v28, 0xfff00000, v10, s8
	v_cndmask_b32_e64 v27, 0, v9, s8
.LBB198_21:                             ;   in Loop: Header=BB198_4 Depth=1
	s_and_not1_saveexec_b32 s92, s9
	s_cbranch_execz .LBB198_25
; %bb.22:                               ;   in Loop: Header=BB198_4 Depth=1
	v_dual_mov_b32 v29, v17 :: v_dual_and_b32 v18, 0x7ffffff8, v36
	v_and_b32_e32 v30, 0x7ffffff8, v34
	s_mov_b32 s93, 0
	s_delay_alu instid0(VALU_DEP_2) | instskip(SKIP_1) | instid1(VALU_DEP_3)
	v_add_f64 v[27:28], v[35:36], -v[17:18]
	v_mov_b32_e32 v35, v17
	v_add_f64 v[31:32], v[33:34], -v[29:30]
	v_mov_b32_e32 v37, v17
	v_add_f64 v[39:40], v[17:18], v[17:18]
	v_add_f64 v[47:48], v[29:30], v[29:30]
	v_mul_f64 v[33:34], v[29:30], v[29:30]
	v_and_b32_e32 v36, -8, v28
	v_and_b32_e32 v38, -8, v32
	s_delay_alu instid0(VALU_DEP_2) | instskip(SKIP_1) | instid1(VALU_DEP_3)
	v_add_f64 v[49:50], v[27:28], -v[35:36]
	v_add_f64 v[53:54], v[35:36], v[35:36]
	v_add_f64 v[51:52], v[31:32], -v[37:38]
	v_add_f64 v[55:56], v[37:38], v[37:38]
	v_mul_f64 v[27:28], v[17:18], v[17:18]
	v_mul_f64 v[45:46], v[39:40], v[35:36]
	;; [unrolled: 1-line block ×11, first 2 shown]
.LBB198_23:                             ;   Parent Loop BB198_4 Depth=1
                                        ; =>  This Inner Loop Header: Depth=2
	v_cmp_nlt_f64_e32 vcc_lo, v[27:28], v[33:34]
	v_dual_cndmask_b32 v52, v28, v34 :: v_dual_cndmask_b32 v51, v27, v33
	v_dual_cndmask_b32 v28, v34, v28 :: v_dual_cndmask_b32 v27, v33, v27
	s_delay_alu instid0(VALU_DEP_2) | instskip(NEXT) | instid1(VALU_DEP_1)
	v_cmp_nlt_f64_e64 s7, v[51:52], v[45:46]
	v_cndmask_b32_e64 v54, v52, v46, s7
	v_cndmask_b32_e64 v53, v51, v45, s7
	;; [unrolled: 1-line block ×4, first 2 shown]
	s_and_b32 s7, vcc_lo, s7
	s_delay_alu instid0(VALU_DEP_3) | instskip(NEXT) | instid1(VALU_DEP_1)
	v_cmp_nlt_f64_e64 s8, v[53:54], v[31:32]
	v_cndmask_b32_e64 v52, v54, v32, s8
	v_cndmask_b32_e64 v51, v53, v31, s8
	;; [unrolled: 1-line block ×4, first 2 shown]
	s_delay_alu instid0(VALU_DEP_3) | instskip(NEXT) | instid1(VALU_DEP_1)
	v_cmp_nlt_f64_e64 s9, v[51:52], v[43:44]
	v_cndmask_b32_e64 v54, v52, v44, s9
	v_cndmask_b32_e64 v53, v51, v43, s9
	;; [unrolled: 1-line block ×4, first 2 shown]
	s_and_b32 s8, s8, s9
	s_delay_alu instid0(VALU_DEP_3) | instskip(NEXT) | instid1(VALU_DEP_1)
	v_cmp_nlt_f64_e64 s10, v[53:54], v[29:30]
	v_cndmask_b32_e64 v52, v54, v30, s10
	v_cndmask_b32_e64 v51, v53, v29, s10
	;; [unrolled: 1-line block ×4, first 2 shown]
	s_delay_alu instid0(VALU_DEP_3) | instskip(NEXT) | instid1(VALU_DEP_1)
	v_cmp_nlt_f64_e64 s11, v[51:52], v[41:42]
	v_cndmask_b32_e64 v54, v52, v42, s11
	v_cndmask_b32_e64 v53, v51, v41, s11
	v_cndmask_b32_e64 v30, v42, v52, s11
	v_cndmask_b32_e64 v29, v41, v51, s11
	s_and_b32 s9, s10, s11
	s_delay_alu instid0(VALU_DEP_3) | instskip(NEXT) | instid1(VALU_DEP_1)
	v_cmp_nlt_f64_e64 s12, v[53:54], v[39:40]
	v_cndmask_b32_e64 v52, v54, v40, s12
	v_cndmask_b32_e64 v51, v53, v39, s12
	v_cndmask_b32_e64 v42, v40, v54, s12
	v_cndmask_b32_e64 v41, v39, v53, s12
	s_and_b32 s9, s9, s12
	s_delay_alu instid0(VALU_DEP_3) | instskip(NEXT) | instid1(VALU_DEP_1)
	v_cmp_nlt_f64_e64 s13, v[51:52], v[37:38]
	v_cndmask_b32_e64 v54, v52, v38, s13
	v_cndmask_b32_e64 v53, v51, v37, s13
	v_cndmask_b32_e64 v40, v38, v52, s13
	v_cndmask_b32_e64 v39, v37, v51, s13
	s_and_b32 s9, s9, s13
	s_delay_alu instid0(VALU_DEP_3) | instskip(NEXT) | instid1(VALU_DEP_1)
	v_cmp_nlt_f64_e64 s14, v[53:54], v[35:36]
	v_cndmask_b32_e64 v52, v54, v36, s14
	v_cndmask_b32_e64 v51, v53, v35, s14
	v_cndmask_b32_e64 v38, v36, v54, s14
	v_cndmask_b32_e64 v37, v35, v53, s14
	s_and_b32 s9, s9, s14
	s_delay_alu instid0(VALU_DEP_3) | instskip(NEXT) | instid1(VALU_DEP_1)
	v_cmp_nlt_f64_e64 s15, v[51:52], v[47:48]
	v_cndmask_b32_e64 v54, v52, v48, s15
	v_cndmask_b32_e64 v53, v51, v47, s15
	s_and_b32 s9, s9, s15
	v_cndmask_b32_e64 v36, v48, v52, s15
	v_cndmask_b32_e64 v35, v47, v51, s15
	s_delay_alu instid0(VALU_DEP_3) | instskip(NEXT) | instid1(VALU_DEP_1)
	v_cmp_nlt_f64_e64 s16, v[53:54], v[49:50]
	v_cndmask_b32_e64 v52, v54, v50, s16
	v_cndmask_b32_e64 v51, v53, v49, s16
	s_and_b32 s9, s9, s16
	v_cndmask_b32_e64 v48, v50, v54, s16
	s_and_b32 s8, s9, s8
	;; [unrolled: 2-line block ×3, first 2 shown]
	v_dual_mov_b32 v49, v51 :: v_dual_mov_b32 v50, v52
	s_and_b32 s7, exec_lo, s7
	s_delay_alu instid0(SALU_CYCLE_1) | instskip(NEXT) | instid1(SALU_CYCLE_1)
	s_or_b32 s93, s7, s93
	s_and_not1_b32 exec_lo, exec_lo, s93
	s_cbranch_execnz .LBB198_23
; %bb.24:                               ;   in Loop: Header=BB198_4 Depth=1
	s_or_b32 exec_lo, exec_lo, s93
	v_add_f64 v[27:28], v[27:28], -1.0
	s_mov_b32 s101, s27
	s_mov_b32 s16, s88
	v_cmp_gt_i32_e64 s7, 0, v10
	v_cmp_class_f64_e64 s9, v[9:10], 0x204
	v_cmp_class_f64_e64 s8, v[11:12], 0x204
	s_mov_b32 s14, 0x4ad4b81f
	s_mov_b32 s15, 0x358dee7a
	s_delay_alu instid0(VALU_DEP_4) | instskip(NEXT) | instid1(VALU_DEP_1)
	v_add_f64 v[27:28], v[27:28], v[33:34]
	v_add_f64 v[27:28], v[27:28], v[45:46]
	s_delay_alu instid0(VALU_DEP_1) | instskip(NEXT) | instid1(VALU_DEP_1)
	v_add_f64 v[27:28], v[27:28], v[31:32]
	v_add_f64 v[27:28], v[27:28], v[43:44]
	s_delay_alu instid0(VALU_DEP_1) | instskip(NEXT) | instid1(VALU_DEP_1)
	;; [unrolled: 3-line block ×5, first 2 shown]
	v_add_f64 v[28:29], v[51:52], v[27:28]
	v_add_f64 v[30:31], v[28:29], 1.0
	s_delay_alu instid0(VALU_DEP_1) | instskip(SKIP_2) | instid1(VALU_DEP_3)
	v_frexp_mant_f64_e32 v[32:33], v[30:31]
	v_frexp_exp_i32_f64_e32 v18, v[30:31]
	v_add_f64 v[34:35], v[30:31], -1.0
	v_cmp_gt_f64_e32 vcc_lo, s[26:27], v[32:33]
	s_delay_alu instid0(VALU_DEP_2) | instskip(SKIP_2) | instid1(VALU_DEP_3)
	v_add_f64 v[32:33], v[34:35], -v[30:31]
	v_add_f64 v[34:35], v[28:29], -v[34:35]
	v_subrev_co_ci_u32_e32 v18, vcc_lo, 0, v18, vcc_lo
	v_add_f64 v[32:33], v[32:33], 1.0
	s_delay_alu instid0(VALU_DEP_2) | instskip(NEXT) | instid1(VALU_DEP_1)
	v_sub_nc_u32_e32 v27, 0, v18
	v_ldexp_f64 v[30:31], v[30:31], v27
	s_delay_alu instid0(VALU_DEP_3) | instskip(NEXT) | instid1(VALU_DEP_2)
	v_add_f64 v[32:33], v[34:35], v[32:33]
	v_add_f64 v[36:37], v[30:31], 1.0
	v_add_f64 v[42:43], v[30:31], -1.0
	s_delay_alu instid0(VALU_DEP_3) | instskip(NEXT) | instid1(VALU_DEP_3)
	v_ldexp_f64 v[32:33], v[32:33], v27
	v_add_f64 v[34:35], v[36:37], -1.0
	s_delay_alu instid0(VALU_DEP_3) | instskip(NEXT) | instid1(VALU_DEP_2)
	v_add_f64 v[44:45], v[42:43], 1.0
	v_add_f64 v[34:35], v[30:31], -v[34:35]
	s_delay_alu instid0(VALU_DEP_2) | instskip(NEXT) | instid1(VALU_DEP_2)
	v_add_f64 v[30:31], v[30:31], -v[44:45]
	v_add_f64 v[34:35], v[32:33], v[34:35]
	s_delay_alu instid0(VALU_DEP_2) | instskip(NEXT) | instid1(VALU_DEP_2)
	v_add_f64 v[30:31], v[32:33], v[30:31]
	v_add_f64 v[38:39], v[36:37], v[34:35]
	s_delay_alu instid0(VALU_DEP_2) | instskip(NEXT) | instid1(VALU_DEP_2)
	v_add_f64 v[44:45], v[42:43], v[30:31]
	v_rcp_f64_e32 v[40:41], v[38:39]
	v_add_f64 v[36:37], v[38:39], -v[36:37]
	s_delay_alu instid0(VALU_DEP_2) | instskip(NEXT) | instid1(VALU_DEP_2)
	v_add_f64 v[42:43], v[44:45], -v[42:43]
	v_add_f64 v[34:35], v[34:35], -v[36:37]
	s_waitcnt_depctr 0xfff
	v_fma_f64 v[46:47], -v[38:39], v[40:41], 1.0
	v_add_f64 v[30:31], v[30:31], -v[42:43]
	s_delay_alu instid0(VALU_DEP_2) | instskip(NEXT) | instid1(VALU_DEP_1)
	v_fma_f64 v[40:41], v[46:47], v[40:41], v[40:41]
	v_fma_f64 v[32:33], -v[38:39], v[40:41], 1.0
	s_delay_alu instid0(VALU_DEP_1) | instskip(NEXT) | instid1(VALU_DEP_1)
	v_fma_f64 v[32:33], v[32:33], v[40:41], v[40:41]
	v_mul_f64 v[40:41], v[44:45], v[32:33]
	s_delay_alu instid0(VALU_DEP_1) | instskip(NEXT) | instid1(VALU_DEP_1)
	v_mul_f64 v[46:47], v[38:39], v[40:41]
	v_fma_f64 v[36:37], v[40:41], v[38:39], -v[46:47]
	s_delay_alu instid0(VALU_DEP_1) | instskip(NEXT) | instid1(VALU_DEP_1)
	v_fma_f64 v[36:37], v[40:41], v[34:35], v[36:37]
	v_add_f64 v[48:49], v[46:47], v[36:37]
	s_delay_alu instid0(VALU_DEP_1) | instskip(SKIP_2) | instid1(VALU_DEP_3)
	v_add_f64 v[50:51], v[44:45], -v[48:49]
	v_add_f64 v[42:43], v[48:49], -v[46:47]
	v_max_f64 v[46:47], |v[11:12]|, |v[11:12]|
	v_add_f64 v[44:45], v[44:45], -v[50:51]
	s_delay_alu instid0(VALU_DEP_3) | instskip(NEXT) | instid1(VALU_DEP_2)
	v_add_f64 v[36:37], v[42:43], -v[36:37]
	v_add_f64 v[44:45], v[44:45], -v[48:49]
	v_max_f64 v[48:49], |v[9:10]|, |v[9:10]|
	v_cndmask_b32_e64 v9, 0x3fe921fb, v60, s7
	s_delay_alu instid0(VALU_DEP_1) | instskip(NEXT) | instid1(VALU_DEP_4)
	v_bfi_b32 v9, 0x7fffffff, v9, v12
	v_add_f64 v[30:31], v[30:31], v[44:45]
	s_delay_alu instid0(VALU_DEP_4) | instskip(SKIP_1) | instid1(VALU_DEP_3)
	v_max_f64 v[52:53], v[48:49], v[46:47]
	v_min_f64 v[46:47], v[48:49], v[46:47]
	v_add_f64 v[30:31], v[36:37], v[30:31]
	s_delay_alu instid0(VALU_DEP_1) | instskip(NEXT) | instid1(VALU_DEP_1)
	v_add_f64 v[36:37], v[50:51], v[30:31]
	v_mul_f64 v[42:43], v[32:33], v[36:37]
	v_add_f64 v[50:51], v[50:51], -v[36:37]
	s_delay_alu instid0(VALU_DEP_2) | instskip(NEXT) | instid1(VALU_DEP_2)
	v_mul_f64 v[44:45], v[38:39], v[42:43]
	v_add_f64 v[30:31], v[30:31], v[50:51]
	s_delay_alu instid0(VALU_DEP_2) | instskip(NEXT) | instid1(VALU_DEP_1)
	v_fma_f64 v[38:39], v[42:43], v[38:39], -v[44:45]
	v_fma_f64 v[34:35], v[42:43], v[34:35], v[38:39]
	v_div_scale_f64 v[38:39], null, v[52:53], v[52:53], v[46:47]
	s_delay_alu instid0(VALU_DEP_2) | instskip(NEXT) | instid1(VALU_DEP_2)
	v_add_f64 v[48:49], v[44:45], v[34:35]
	v_rcp_f64_e32 v[54:55], v[38:39]
	s_delay_alu instid0(VALU_DEP_1)
	v_add_f64 v[56:57], v[36:37], -v[48:49]
	v_add_f64 v[44:45], v[48:49], -v[44:45]
	s_waitcnt_depctr 0xfff
	v_fma_f64 v[61:62], -v[38:39], v[54:55], 1.0
	v_add_f64 v[36:37], v[36:37], -v[56:57]
	v_add_f64 v[34:35], v[44:45], -v[34:35]
	s_delay_alu instid0(VALU_DEP_3) | instskip(NEXT) | instid1(VALU_DEP_3)
	v_fma_f64 v[54:55], v[54:55], v[61:62], v[54:55]
	v_add_f64 v[36:37], v[36:37], -v[48:49]
	s_delay_alu instid0(VALU_DEP_2) | instskip(NEXT) | instid1(VALU_DEP_2)
	v_fma_f64 v[48:49], -v[38:39], v[54:55], 1.0
	v_add_f64 v[30:31], v[30:31], v[36:37]
	v_div_scale_f64 v[36:37], vcc_lo, v[46:47], v[52:53], v[46:47]
	s_delay_alu instid0(VALU_DEP_3) | instskip(SKIP_1) | instid1(VALU_DEP_4)
	v_fma_f64 v[44:45], v[54:55], v[48:49], v[54:55]
	v_add_f64 v[48:49], v[40:41], v[42:43]
	v_add_f64 v[30:31], v[34:35], v[30:31]
	s_delay_alu instid0(VALU_DEP_3) | instskip(NEXT) | instid1(VALU_DEP_3)
	v_mul_f64 v[34:35], v[36:37], v[44:45]
	v_add_f64 v[40:41], v[48:49], -v[40:41]
	s_delay_alu instid0(VALU_DEP_3) | instskip(NEXT) | instid1(VALU_DEP_3)
	v_add_f64 v[30:31], v[56:57], v[30:31]
	v_fma_f64 v[36:37], -v[38:39], v[34:35], v[36:37]
	s_delay_alu instid0(VALU_DEP_3) | instskip(NEXT) | instid1(VALU_DEP_3)
	v_add_f64 v[38:39], v[42:43], -v[40:41]
	v_mul_f64 v[30:31], v[32:33], v[30:31]
	s_delay_alu instid0(VALU_DEP_3) | instskip(SKIP_1) | instid1(VALU_DEP_3)
	v_div_fmas_f64 v[32:33], v[36:37], v[44:45], v[34:35]
	v_cmp_eq_f64_e32 vcc_lo, 0x7ff00000, v[28:29]
	v_add_f64 v[30:31], v[38:39], v[30:31]
	s_delay_alu instid0(VALU_DEP_3) | instskip(NEXT) | instid1(VALU_DEP_2)
	v_div_fixup_f64 v[32:33], v[32:33], v[52:53], v[46:47]
	v_add_f64 v[34:35], v[48:49], v[30:31]
	s_delay_alu instid0(VALU_DEP_2) | instskip(NEXT) | instid1(VALU_DEP_2)
	v_mul_f64 v[36:37], v[32:33], v[32:33]
	v_mul_f64 v[38:39], v[34:35], v[34:35]
	s_delay_alu instid0(VALU_DEP_2) | instskip(NEXT) | instid1(VALU_DEP_2)
	v_fma_f64 v[40:41], v[36:37], s[50:51], s[48:49]
	v_fma_f64 v[42:43], v[38:39], s[30:31], s[28:29]
	v_mul_f64 v[44:45], v[34:35], v[38:39]
	s_delay_alu instid0(VALU_DEP_3) | instskip(NEXT) | instid1(VALU_DEP_3)
	v_fma_f64 v[40:41], v[36:37], v[40:41], s[52:53]
	v_fma_f64 v[42:43], v[38:39], v[42:43], s[36:37]
	s_delay_alu instid0(VALU_DEP_2) | instskip(NEXT) | instid1(VALU_DEP_2)
	v_fma_f64 v[40:41], v[36:37], v[40:41], s[54:55]
	v_fma_f64 v[42:43], v[38:39], v[42:43], s[38:39]
	s_delay_alu instid0(VALU_DEP_2) | instskip(NEXT) | instid1(VALU_DEP_2)
	;; [unrolled: 3-line block ×4, first 2 shown]
	v_fma_f64 v[40:41], v[36:37], v[40:41], s[60:61]
	v_fma_f64 v[38:39], v[38:39], v[42:43], s[100:101]
	v_ldexp_f64 v[42:43], v[34:35], 1
	v_add_f64 v[34:35], v[34:35], -v[48:49]
	s_delay_alu instid0(VALU_DEP_4) | instskip(NEXT) | instid1(VALU_DEP_4)
	v_fma_f64 v[40:41], v[36:37], v[40:41], s[62:63]
	v_mul_f64 v[38:39], v[44:45], v[38:39]
	v_cvt_f64_i32_e32 v[44:45], v18
	s_delay_alu instid0(VALU_DEP_4) | instskip(NEXT) | instid1(VALU_DEP_4)
	v_add_f64 v[30:31], v[30:31], -v[34:35]
	v_fma_f64 v[40:41], v[36:37], v[40:41], s[64:65]
	v_ashrrev_i32_e32 v18, 31, v10
	s_delay_alu instid0(VALU_DEP_1) | instskip(SKIP_4) | instid1(VALU_DEP_4)
	v_and_b32_e32 v10, 0x400921fb, v18
	v_add_f64 v[46:47], v[42:43], v[38:39]
	v_mul_f64 v[48:49], v[44:45], s[44:45]
	v_ldexp_f64 v[30:31], v[30:31], 1
	v_fma_f64 v[40:41], v[36:37], v[40:41], s[66:67]
	v_add_f64 v[34:35], v[46:47], -v[42:43]
	s_delay_alu instid0(VALU_DEP_4) | instskip(NEXT) | instid1(VALU_DEP_3)
	v_fma_f64 v[42:43], v[44:45], s[44:45], -v[48:49]
	v_fma_f64 v[40:41], v[36:37], v[40:41], s[68:69]
	s_delay_alu instid0(VALU_DEP_3) | instskip(NEXT) | instid1(VALU_DEP_2)
	v_add_f64 v[34:35], v[38:39], -v[34:35]
	v_fma_f64 v[38:39], v[36:37], v[40:41], s[70:71]
	s_delay_alu instid0(VALU_DEP_4) | instskip(NEXT) | instid1(VALU_DEP_3)
	v_fma_f64 v[40:41], v[44:45], s[46:47], v[42:43]
	v_add_f64 v[30:31], v[30:31], v[34:35]
	s_delay_alu instid0(VALU_DEP_3) | instskip(NEXT) | instid1(VALU_DEP_3)
	v_fma_f64 v[34:35], v[36:37], v[38:39], s[72:73]
	v_add_f64 v[38:39], v[48:49], v[40:41]
	s_delay_alu instid0(VALU_DEP_3) | instskip(NEXT) | instid1(VALU_DEP_3)
	v_add_f64 v[42:43], v[46:47], v[30:31]
	v_fma_f64 v[34:35], v[36:37], v[34:35], s[74:75]
	s_delay_alu instid0(VALU_DEP_3) | instskip(NEXT) | instid1(VALU_DEP_3)
	v_add_f64 v[48:49], v[38:39], -v[48:49]
	v_add_f64 v[44:45], v[38:39], v[42:43]
	v_add_f64 v[46:47], v[42:43], -v[46:47]
	s_delay_alu instid0(VALU_DEP_4) | instskip(NEXT) | instid1(VALU_DEP_4)
	v_fma_f64 v[34:35], v[36:37], v[34:35], s[76:77]
	v_add_f64 v[40:41], v[40:41], -v[48:49]
	s_delay_alu instid0(VALU_DEP_4) | instskip(NEXT) | instid1(VALU_DEP_4)
	v_add_f64 v[50:51], v[44:45], -v[38:39]
	v_add_f64 v[30:31], v[30:31], -v[46:47]
	s_delay_alu instid0(VALU_DEP_4) | instskip(NEXT) | instid1(VALU_DEP_3)
	v_fma_f64 v[34:35], v[36:37], v[34:35], s[78:79]
	v_add_f64 v[52:53], v[44:45], -v[50:51]
	v_add_f64 v[42:43], v[42:43], -v[50:51]
	s_delay_alu instid0(VALU_DEP_4) | instskip(NEXT) | instid1(VALU_DEP_4)
	v_add_f64 v[46:47], v[40:41], v[30:31]
	v_fma_f64 v[34:35], v[36:37], v[34:35], s[80:81]
	s_delay_alu instid0(VALU_DEP_4) | instskip(NEXT) | instid1(VALU_DEP_2)
	v_add_f64 v[38:39], v[38:39], -v[52:53]
	v_fma_f64 v[34:35], v[36:37], v[34:35], s[82:83]
	s_delay_alu instid0(VALU_DEP_2) | instskip(SKIP_1) | instid1(VALU_DEP_3)
	v_add_f64 v[38:39], v[42:43], v[38:39]
	v_add_f64 v[42:43], v[46:47], -v[40:41]
	v_fma_f64 v[34:35], v[36:37], v[34:35], s[84:85]
	s_delay_alu instid0(VALU_DEP_3) | instskip(NEXT) | instid1(VALU_DEP_3)
	v_add_f64 v[38:39], v[46:47], v[38:39]
	v_add_f64 v[46:47], v[46:47], -v[42:43]
	v_add_f64 v[30:31], v[30:31], -v[42:43]
	s_delay_alu instid0(VALU_DEP_4) | instskip(NEXT) | instid1(VALU_DEP_4)
	v_fma_f64 v[34:35], v[36:37], v[34:35], s[86:87]
	v_add_f64 v[48:49], v[44:45], v[38:39]
	s_delay_alu instid0(VALU_DEP_2) | instskip(SKIP_1) | instid1(VALU_DEP_3)
	v_mul_f64 v[34:35], v[36:37], v[34:35]
	v_add_f64 v[36:37], v[40:41], -v[46:47]
	v_add_f64 v[40:41], v[48:49], -v[44:45]
	s_delay_alu instid0(VALU_DEP_3) | instskip(NEXT) | instid1(VALU_DEP_3)
	v_fma_f64 v[32:33], v[32:33], v[34:35], v[32:33]
	v_add_f64 v[30:31], v[30:31], v[36:37]
	s_delay_alu instid0(VALU_DEP_3) | instskip(NEXT) | instid1(VALU_DEP_3)
	v_add_f64 v[34:35], v[38:39], -v[40:41]
	v_add_f64 v[36:37], -v[32:33], s[88:89]
	s_delay_alu instid0(VALU_DEP_2) | instskip(NEXT) | instid1(VALU_DEP_2)
	v_add_f64 v[30:31], v[30:31], v[34:35]
	v_cndmask_b32_e64 v33, v33, v37, s6
	s_delay_alu instid0(VALU_DEP_3) | instskip(SKIP_1) | instid1(VALU_DEP_2)
	v_cndmask_b32_e64 v32, v32, v36, s6
	v_cndmask_b32_e64 v36, 0x54442d18, v59, s7
	v_add_f64 v[34:35], -v[32:33], s[16:17]
	v_add_f64 v[30:31], v[48:49], v[30:31]
	v_and_b32_e32 v27, 0x54442d18, v18
	s_delay_alu instid0(VALU_DEP_3) | instskip(NEXT) | instid1(VALU_DEP_4)
	v_cndmask_b32_e64 v34, v32, v34, s7
	v_cndmask_b32_e64 v18, v33, v35, s7
	v_cmp_nge_f64_e64 s7, -1.0, v[28:29]
	v_dual_cndmask_b32 v30, v30, v28 :: v_dual_cndmask_b32 v31, v31, v29
	v_cmp_eq_f64_e32 vcc_lo, 0, v[11:12]
	s_delay_alu instid0(VALU_DEP_2) | instskip(SKIP_3) | instid1(VALU_DEP_4)
	v_mul_f64 v[31:32], v[30:31], 0.5
	v_cndmask_b32_e32 v33, v34, v27, vcc_lo
	v_cndmask_b32_e32 v10, v18, v10, vcc_lo
	v_cmp_ngt_f64_e32 vcc_lo, -1.0, v[28:29]
	v_cndmask_b32_e64 v27, 0, v31, s7
	v_cmp_neq_f64_e64 s7, -1.0, v[28:29]
	v_cndmask_b32_e32 v18, 0x7ff80000, v32, vcc_lo
	s_and_b32 vcc_lo, s8, s9
	v_dual_cndmask_b32 v29, v33, v36 :: v_dual_cndmask_b32 v30, v10, v9
	s_delay_alu instid0(VALU_DEP_2)
	v_cndmask_b32_e64 v28, 0xfff00000, v18, s7
.LBB198_25:                             ;   in Loop: Header=BB198_4 Depth=1
	s_or_b32 exec_lo, exec_lo, s92
.LBB198_26:                             ;   in Loop: Header=BB198_4 Depth=1
	s_delay_alu instid0(SALU_CYCLE_1)
	s_or_b32 exec_lo, exec_lo, s25
.LBB198_27:                             ;   in Loop: Header=BB198_4 Depth=1
	s_and_not1_saveexec_b32 s9, s24
	s_cbranch_execz .LBB198_29
; %bb.28:                               ;   in Loop: Header=BB198_4 Depth=1
	v_max_f64 v[27:28], |v[11:12]|, |v[11:12]|
	v_max_f64 v[29:30], |v[9:10]|, |v[9:10]|
	v_cmp_class_f64_e64 s10, v[9:10], 0x204
	v_cmp_class_f64_e64 s11, v[11:12], 0x204
	s_mov_b32 s101, s27
	s_mov_b32 s16, s88
	v_cmp_eq_f64_e64 s8, 0, v[11:12]
	s_delay_alu instid0(VALU_DEP_4) | instskip(SKIP_1) | instid1(VALU_DEP_4)
	v_max_f64 v[31:32], v[29:30], v[27:28]
	v_min_f64 v[27:28], v[29:30], v[27:28]
	s_or_b32 s12, s11, s10
	s_delay_alu instid0(VALU_DEP_2) | instskip(NEXT) | instid1(VALU_DEP_1)
	v_frexp_exp_i32_f64_e32 v18, v[31:32]
	v_sub_nc_u32_e32 v35, 0, v18
	s_delay_alu instid0(VALU_DEP_1) | instskip(SKIP_1) | instid1(VALU_DEP_2)
	v_ldexp_f64 v[33:34], |v[11:12]|, v35
	v_ldexp_f64 v[35:36], |v[9:10]|, v35
	v_mul_f64 v[33:34], v[33:34], v[33:34]
	s_delay_alu instid0(VALU_DEP_1) | instskip(NEXT) | instid1(VALU_DEP_1)
	v_fma_f64 v[33:34], v[35:36], v[35:36], v[33:34]
	v_rsq_f64_e32 v[35:36], v[33:34]
	v_cmp_eq_f64_e32 vcc_lo, 0, v[33:34]
	s_waitcnt_depctr 0xfff
	v_mul_f64 v[37:38], v[33:34], v[35:36]
	v_mul_f64 v[35:36], v[35:36], 0.5
	s_delay_alu instid0(VALU_DEP_1) | instskip(NEXT) | instid1(VALU_DEP_1)
	v_fma_f64 v[39:40], -v[35:36], v[37:38], 0.5
	v_fma_f64 v[37:38], v[37:38], v[39:40], v[37:38]
	v_fma_f64 v[35:36], v[35:36], v[39:40], v[35:36]
	s_delay_alu instid0(VALU_DEP_2) | instskip(NEXT) | instid1(VALU_DEP_1)
	v_fma_f64 v[39:40], -v[37:38], v[37:38], v[33:34]
	v_fma_f64 v[35:36], v[39:40], v[35:36], v[37:38]
	s_delay_alu instid0(VALU_DEP_1) | instskip(SKIP_1) | instid1(VALU_DEP_2)
	v_dual_cndmask_b32 v34, v36, v34 :: v_dual_cndmask_b32 v33, v35, v33
	v_div_scale_f64 v[55:56], vcc_lo, v[27:28], v[31:32], v[27:28]
	v_ldexp_f64 v[33:34], v[33:34], v18
	s_delay_alu instid0(VALU_DEP_1) | instskip(NEXT) | instid1(VALU_DEP_2)
	v_cndmask_b32_e64 v36, v34, 0x7ff00000, s12
	v_cndmask_b32_e64 v35, v33, 0, s12
	s_delay_alu instid0(VALU_DEP_1) | instskip(SKIP_1) | instid1(VALU_DEP_2)
	v_frexp_mant_f64_e32 v[37:38], v[35:36]
	v_frexp_exp_i32_f64_e32 v9, v[35:36]
	v_cmp_gt_f64_e64 s7, s[26:27], v[37:38]
	s_delay_alu instid0(VALU_DEP_1) | instskip(NEXT) | instid1(VALU_DEP_1)
	v_cndmask_b32_e64 v18, 0x3ff00000, 2.0, s7
	v_mul_f64 v[37:38], v[37:38], v[17:18]
	s_delay_alu instid0(VALU_DEP_1) | instskip(SKIP_1) | instid1(VALU_DEP_2)
	v_add_f64 v[39:40], v[37:38], 1.0
	v_add_f64 v[45:46], v[37:38], -1.0
	v_rcp_f64_e32 v[41:42], v[39:40]
	v_add_f64 v[47:48], v[39:40], -1.0
	s_delay_alu instid0(VALU_DEP_1) | instskip(SKIP_2) | instid1(VALU_DEP_1)
	v_add_f64 v[37:38], v[37:38], -v[47:48]
	s_waitcnt_depctr 0xfff
	v_fma_f64 v[43:44], -v[39:40], v[41:42], 1.0
	v_fma_f64 v[41:42], v[43:44], v[41:42], v[41:42]
	s_delay_alu instid0(VALU_DEP_1) | instskip(NEXT) | instid1(VALU_DEP_1)
	v_fma_f64 v[43:44], -v[39:40], v[41:42], 1.0
	v_fma_f64 v[41:42], v[43:44], v[41:42], v[41:42]
	v_div_scale_f64 v[43:44], null, v[31:32], v[31:32], v[27:28]
	s_delay_alu instid0(VALU_DEP_2) | instskip(NEXT) | instid1(VALU_DEP_2)
	v_mul_f64 v[29:30], v[45:46], v[41:42]
	v_rcp_f64_e32 v[51:52], v[43:44]
	s_delay_alu instid0(VALU_DEP_1) | instskip(SKIP_3) | instid1(VALU_DEP_1)
	v_mul_f64 v[49:50], v[39:40], v[29:30]
	s_waitcnt_depctr 0xfff
	v_fma_f64 v[47:48], -v[43:44], v[51:52], 1.0
	v_fma_f64 v[39:40], v[29:30], v[39:40], -v[49:50]
	v_fma_f64 v[37:38], v[29:30], v[37:38], v[39:40]
	s_delay_alu instid0(VALU_DEP_3) | instskip(NEXT) | instid1(VALU_DEP_2)
	v_fma_f64 v[39:40], v[51:52], v[47:48], v[51:52]
	v_add_f64 v[47:48], v[49:50], v[37:38]
	s_delay_alu instid0(VALU_DEP_2) | instskip(NEXT) | instid1(VALU_DEP_2)
	v_fma_f64 v[51:52], -v[43:44], v[39:40], 1.0
	v_add_f64 v[53:54], v[45:46], -v[47:48]
	s_delay_alu instid0(VALU_DEP_2) | instskip(SKIP_1) | instid1(VALU_DEP_3)
	v_fma_f64 v[39:40], v[39:40], v[51:52], v[39:40]
	v_add_f64 v[49:50], v[47:48], -v[49:50]
	v_add_f64 v[45:46], v[45:46], -v[53:54]
	s_delay_alu instid0(VALU_DEP_3) | instskip(NEXT) | instid1(VALU_DEP_3)
	v_mul_f64 v[51:52], v[55:56], v[39:40]
	v_add_f64 v[37:38], v[49:50], -v[37:38]
	s_delay_alu instid0(VALU_DEP_3) | instskip(NEXT) | instid1(VALU_DEP_3)
	v_add_f64 v[45:46], v[45:46], -v[47:48]
	v_fma_f64 v[43:44], -v[43:44], v[51:52], v[55:56]
	s_delay_alu instid0(VALU_DEP_2) | instskip(NEXT) | instid1(VALU_DEP_2)
	v_add_f64 v[37:38], v[37:38], v[45:46]
	v_div_fmas_f64 v[39:40], v[43:44], v[39:40], v[51:52]
	v_subrev_co_ci_u32_e64 v9, vcc_lo, 0, v9, s7
	v_cmp_class_f64_e64 s7, v[33:34], 0x204
	v_cmp_gt_i32_e32 vcc_lo, 0, v10
	v_add_f64 v[37:38], v[53:54], v[37:38]
	v_div_fixup_f64 v[27:28], v[39:40], v[31:32], v[27:28]
	s_delay_alu instid0(VALU_DEP_2) | instskip(NEXT) | instid1(VALU_DEP_2)
	v_mul_f64 v[31:32], v[41:42], v[37:38]
	v_mul_f64 v[37:38], v[27:28], v[27:28]
	s_delay_alu instid0(VALU_DEP_2) | instskip(NEXT) | instid1(VALU_DEP_2)
	v_add_f64 v[39:40], v[29:30], v[31:32]
	v_fma_f64 v[41:42], v[37:38], s[50:51], s[48:49]
	s_delay_alu instid0(VALU_DEP_2) | instskip(NEXT) | instid1(VALU_DEP_2)
	v_mul_f64 v[43:44], v[39:40], v[39:40]
	v_fma_f64 v[41:42], v[37:38], v[41:42], s[52:53]
	v_add_f64 v[29:30], v[39:40], -v[29:30]
	s_delay_alu instid0(VALU_DEP_3) | instskip(NEXT) | instid1(VALU_DEP_3)
	v_fma_f64 v[45:46], v[43:44], s[30:31], s[28:29]
	v_fma_f64 v[41:42], v[37:38], v[41:42], s[54:55]
	v_mul_f64 v[47:48], v[39:40], v[43:44]
	s_delay_alu instid0(VALU_DEP_4) | instskip(NEXT) | instid1(VALU_DEP_4)
	v_add_f64 v[29:30], v[31:32], -v[29:30]
	v_fma_f64 v[45:46], v[43:44], v[45:46], s[36:37]
	s_delay_alu instid0(VALU_DEP_4) | instskip(NEXT) | instid1(VALU_DEP_3)
	v_fma_f64 v[41:42], v[37:38], v[41:42], s[56:57]
	v_ldexp_f64 v[29:30], v[29:30], 1
	s_delay_alu instid0(VALU_DEP_3) | instskip(NEXT) | instid1(VALU_DEP_3)
	v_fma_f64 v[45:46], v[43:44], v[45:46], s[38:39]
	v_fma_f64 v[41:42], v[37:38], v[41:42], s[58:59]
	s_delay_alu instid0(VALU_DEP_2) | instskip(NEXT) | instid1(VALU_DEP_2)
	v_fma_f64 v[45:46], v[43:44], v[45:46], s[40:41]
	v_fma_f64 v[41:42], v[37:38], v[41:42], s[60:61]
	s_delay_alu instid0(VALU_DEP_2) | instskip(NEXT) | instid1(VALU_DEP_2)
	;; [unrolled: 3-line block ×3, first 2 shown]
	v_fma_f64 v[43:44], v[43:44], v[45:46], s[100:101]
	v_fma_f64 v[41:42], v[37:38], v[41:42], s[64:65]
	v_ldexp_f64 v[45:46], v[39:40], 1
	s_delay_alu instid0(VALU_DEP_3) | instskip(NEXT) | instid1(VALU_DEP_3)
	v_mul_f64 v[43:44], v[47:48], v[43:44]
	v_fma_f64 v[41:42], v[37:38], v[41:42], s[66:67]
	v_cvt_f64_i32_e32 v[47:48], v9
	v_ashrrev_i32_e32 v9, 31, v10
	v_cndmask_b32_e32 v10, 0x54442d18, v59, vcc_lo
	v_add_f64 v[39:40], v[45:46], v[43:44]
	v_fma_f64 v[41:42], v[37:38], v[41:42], s[68:69]
	v_mul_f64 v[49:50], v[47:48], s[44:45]
	s_delay_alu instid0(VALU_DEP_3) | instskip(NEXT) | instid1(VALU_DEP_3)
	v_add_f64 v[31:32], v[39:40], -v[45:46]
	v_fma_f64 v[41:42], v[37:38], v[41:42], s[70:71]
	s_delay_alu instid0(VALU_DEP_3) | instskip(NEXT) | instid1(VALU_DEP_3)
	v_fma_f64 v[45:46], v[47:48], s[44:45], -v[49:50]
	v_add_f64 v[31:32], v[43:44], -v[31:32]
	s_delay_alu instid0(VALU_DEP_3) | instskip(NEXT) | instid1(VALU_DEP_3)
	v_fma_f64 v[41:42], v[37:38], v[41:42], s[72:73]
	v_fma_f64 v[43:44], v[47:48], s[46:47], v[45:46]
	s_delay_alu instid0(VALU_DEP_3) | instskip(NEXT) | instid1(VALU_DEP_3)
	v_add_f64 v[29:30], v[29:30], v[31:32]
	v_fma_f64 v[31:32], v[37:38], v[41:42], s[74:75]
	s_delay_alu instid0(VALU_DEP_3) | instskip(NEXT) | instid1(VALU_DEP_3)
	v_add_f64 v[41:42], v[49:50], v[43:44]
	v_add_f64 v[45:46], v[39:40], v[29:30]
	s_delay_alu instid0(VALU_DEP_3) | instskip(NEXT) | instid1(VALU_DEP_3)
	v_fma_f64 v[31:32], v[37:38], v[31:32], s[76:77]
	v_add_f64 v[49:50], v[41:42], -v[49:50]
	s_delay_alu instid0(VALU_DEP_3) | instskip(NEXT) | instid1(VALU_DEP_3)
	v_add_f64 v[47:48], v[41:42], v[45:46]
	v_fma_f64 v[31:32], v[37:38], v[31:32], s[78:79]
	v_add_f64 v[39:40], v[45:46], -v[39:40]
	s_delay_alu instid0(VALU_DEP_4) | instskip(NEXT) | instid1(VALU_DEP_4)
	v_add_f64 v[43:44], v[43:44], -v[49:50]
	v_add_f64 v[51:52], v[47:48], -v[41:42]
	s_delay_alu instid0(VALU_DEP_4) | instskip(NEXT) | instid1(VALU_DEP_4)
	v_fma_f64 v[31:32], v[37:38], v[31:32], s[80:81]
	v_add_f64 v[29:30], v[29:30], -v[39:40]
	s_delay_alu instid0(VALU_DEP_3) | instskip(NEXT) | instid1(VALU_DEP_3)
	v_add_f64 v[53:54], v[47:48], -v[51:52]
	v_fma_f64 v[31:32], v[37:38], v[31:32], s[82:83]
	v_add_f64 v[39:40], v[45:46], -v[51:52]
	s_delay_alu instid0(VALU_DEP_4) | instskip(NEXT) | instid1(VALU_DEP_4)
	v_add_f64 v[45:46], v[43:44], v[29:30]
	v_add_f64 v[41:42], v[41:42], -v[53:54]
	s_delay_alu instid0(VALU_DEP_4) | instskip(NEXT) | instid1(VALU_DEP_2)
	v_fma_f64 v[31:32], v[37:38], v[31:32], s[84:85]
	v_add_f64 v[39:40], v[39:40], v[41:42]
	s_delay_alu instid0(VALU_DEP_2) | instskip(SKIP_1) | instid1(VALU_DEP_3)
	v_fma_f64 v[31:32], v[37:38], v[31:32], s[86:87]
	v_add_f64 v[41:42], v[45:46], -v[43:44]
	v_add_f64 v[39:40], v[45:46], v[39:40]
	s_delay_alu instid0(VALU_DEP_3) | instskip(NEXT) | instid1(VALU_DEP_3)
	v_mul_f64 v[31:32], v[37:38], v[31:32]
	v_add_f64 v[37:38], v[45:46], -v[41:42]
	v_add_f64 v[29:30], v[29:30], -v[41:42]
	s_delay_alu instid0(VALU_DEP_4) | instskip(NEXT) | instid1(VALU_DEP_4)
	v_add_f64 v[45:46], v[47:48], v[39:40]
	v_fma_f64 v[27:28], v[27:28], v[31:32], v[27:28]
	s_delay_alu instid0(VALU_DEP_4) | instskip(NEXT) | instid1(VALU_DEP_3)
	v_add_f64 v[31:32], v[43:44], -v[37:38]
	v_add_f64 v[37:38], v[45:46], -v[47:48]
	s_delay_alu instid0(VALU_DEP_3) | instskip(NEXT) | instid1(VALU_DEP_3)
	v_add_f64 v[41:42], -v[27:28], s[88:89]
	v_add_f64 v[29:30], v[29:30], v[31:32]
	s_delay_alu instid0(VALU_DEP_3) | instskip(NEXT) | instid1(VALU_DEP_3)
	v_add_f64 v[31:32], v[39:40], -v[37:38]
	v_cndmask_b32_e64 v28, v28, v42, s6
	s_delay_alu instid0(VALU_DEP_4) | instskip(NEXT) | instid1(VALU_DEP_3)
	v_cndmask_b32_e64 v27, v27, v41, s6
	v_add_f64 v[29:30], v[29:30], v[31:32]
	s_delay_alu instid0(VALU_DEP_2) | instskip(SKIP_2) | instid1(VALU_DEP_4)
	v_add_f64 v[31:32], -v[27:28], s[16:17]
	v_and_b32_e32 v18, 0x54442d18, v9
	v_and_b32_e32 v9, 0x400921fb, v9
	v_add_f64 v[29:30], v[45:46], v[29:30]
	s_delay_alu instid0(VALU_DEP_4) | instskip(SKIP_2) | instid1(VALU_DEP_3)
	v_dual_cndmask_b32 v28, v28, v32 :: v_dual_cndmask_b32 v27, v27, v31
	v_cndmask_b32_e32 v31, 0x3fe921fb, v60, vcc_lo
	v_cmp_ngt_f64_e32 vcc_lo, 0, v[35:36]
	v_cndmask_b32_e64 v9, v28, v9, s8
	s_delay_alu instid0(VALU_DEP_4) | instskip(NEXT) | instid1(VALU_DEP_4)
	v_cndmask_b32_e64 v18, v27, v18, s8
	v_bfi_b32 v31, 0x7fffffff, v31, v12
	v_cndmask_b32_e64 v30, v30, v34, s7
	v_cndmask_b32_e64 v29, v29, v33, s7
	v_cmp_nge_f64_e64 s7, 0, v[35:36]
	s_delay_alu instid0(VALU_DEP_3) | instskip(NEXT) | instid1(VALU_DEP_3)
	v_cndmask_b32_e64 v30, v30, 0x7ff00000, s12
	v_cndmask_b32_e64 v27, v29, 0, s12
	s_delay_alu instid0(VALU_DEP_2) | instskip(SKIP_2) | instid1(VALU_DEP_3)
	v_cndmask_b32_e32 v28, 0x7ff80000, v30, vcc_lo
	s_and_b32 vcc_lo, s11, s10
	v_dual_cndmask_b32 v30, v9, v31 :: v_dual_cndmask_b32 v29, v18, v10
	v_cndmask_b32_e64 v27, 0, v27, s7
	v_cmp_neq_f64_e64 s7, 0, v[35:36]
	s_delay_alu instid0(VALU_DEP_1)
	v_cndmask_b32_e64 v28, 0xfff00000, v28, s7
.LBB198_29:                             ;   in Loop: Header=BB198_4 Depth=1
	s_or_b32 exec_lo, exec_lo, s9
                                        ; implicit-def: $vgpr33_vgpr34
.LBB198_30:                             ;   in Loop: Header=BB198_4 Depth=1
	s_and_not1_saveexec_b32 s9, s23
	s_cbranch_execz .LBB198_36
; %bb.31:                               ;   in Loop: Header=BB198_4 Depth=1
	s_mov_b32 s10, 0x6a3f9475
	s_mov_b32 s11, 0x20ca2fe7
                                        ; implicit-def: $vgpr27_vgpr28
                                        ; implicit-def: $vgpr29_vgpr30
	s_mov_b32 s7, exec_lo
	v_cmpx_ngt_f64_e32 s[10:11], v[33:34]
	s_xor_b32 s10, exec_lo, s7
	s_cbranch_execz .LBB198_33
; %bb.32:                               ;   in Loop: Header=BB198_4 Depth=1
	v_mul_f64 v[27:28], v[33:34], v[33:34]
	s_mov_b32 s101, s27
	s_mov_b32 s16, s88
	v_cmp_eq_f64_e64 s8, 0, v[11:12]
	v_cmp_class_f64_e64 s11, v[11:12], 0x204
	v_cmp_class_f64_e64 s12, v[9:10], 0x204
	v_cmp_gt_i32_e64 s7, 0, v10
	v_add_f64 v[29:30], v[27:28], 1.0
	s_delay_alu instid0(VALU_DEP_1) | instskip(SKIP_2) | instid1(VALU_DEP_3)
	v_frexp_mant_f64_e32 v[31:32], v[29:30]
	v_frexp_exp_i32_f64_e32 v18, v[29:30]
	v_add_f64 v[33:34], v[29:30], -1.0
	v_cmp_gt_f64_e32 vcc_lo, s[26:27], v[31:32]
	s_delay_alu instid0(VALU_DEP_2) | instskip(SKIP_2) | instid1(VALU_DEP_3)
	v_add_f64 v[31:32], v[33:34], -v[29:30]
	v_add_f64 v[33:34], v[27:28], -v[33:34]
	v_subrev_co_ci_u32_e32 v18, vcc_lo, 0, v18, vcc_lo
	v_add_f64 v[31:32], v[31:32], 1.0
	s_delay_alu instid0(VALU_DEP_2) | instskip(NEXT) | instid1(VALU_DEP_1)
	v_sub_nc_u32_e32 v37, 0, v18
	v_ldexp_f64 v[29:30], v[29:30], v37
	s_delay_alu instid0(VALU_DEP_3) | instskip(NEXT) | instid1(VALU_DEP_2)
	v_add_f64 v[31:32], v[33:34], v[31:32]
	v_add_f64 v[35:36], v[29:30], 1.0
	v_add_f64 v[41:42], v[29:30], -1.0
	s_delay_alu instid0(VALU_DEP_3) | instskip(NEXT) | instid1(VALU_DEP_3)
	v_ldexp_f64 v[31:32], v[31:32], v37
	v_add_f64 v[33:34], v[35:36], -1.0
	s_delay_alu instid0(VALU_DEP_3) | instskip(NEXT) | instid1(VALU_DEP_2)
	v_add_f64 v[43:44], v[41:42], 1.0
	v_add_f64 v[33:34], v[29:30], -v[33:34]
	s_delay_alu instid0(VALU_DEP_2) | instskip(NEXT) | instid1(VALU_DEP_2)
	v_add_f64 v[29:30], v[29:30], -v[43:44]
	v_add_f64 v[33:34], v[31:32], v[33:34]
	s_delay_alu instid0(VALU_DEP_2) | instskip(NEXT) | instid1(VALU_DEP_2)
	v_add_f64 v[29:30], v[31:32], v[29:30]
	v_add_f64 v[37:38], v[35:36], v[33:34]
	s_delay_alu instid0(VALU_DEP_2) | instskip(NEXT) | instid1(VALU_DEP_2)
	v_add_f64 v[43:44], v[41:42], v[29:30]
	v_rcp_f64_e32 v[39:40], v[37:38]
	v_add_f64 v[35:36], v[35:36], -v[37:38]
	s_delay_alu instid0(VALU_DEP_2) | instskip(NEXT) | instid1(VALU_DEP_2)
	v_add_f64 v[41:42], v[41:42], -v[43:44]
	v_add_f64 v[33:34], v[33:34], v[35:36]
	s_waitcnt_depctr 0xfff
	v_fma_f64 v[45:46], -v[37:38], v[39:40], 1.0
	v_add_f64 v[29:30], v[29:30], v[41:42]
	s_delay_alu instid0(VALU_DEP_2) | instskip(NEXT) | instid1(VALU_DEP_1)
	v_fma_f64 v[39:40], v[45:46], v[39:40], v[39:40]
	v_fma_f64 v[31:32], -v[37:38], v[39:40], 1.0
	s_delay_alu instid0(VALU_DEP_1) | instskip(NEXT) | instid1(VALU_DEP_1)
	v_fma_f64 v[31:32], v[31:32], v[39:40], v[39:40]
	v_mul_f64 v[39:40], v[43:44], v[31:32]
	s_delay_alu instid0(VALU_DEP_1) | instskip(NEXT) | instid1(VALU_DEP_1)
	v_mul_f64 v[45:46], v[37:38], v[39:40]
	v_fma_f64 v[35:36], v[39:40], v[37:38], -v[45:46]
	s_delay_alu instid0(VALU_DEP_1) | instskip(NEXT) | instid1(VALU_DEP_1)
	v_fma_f64 v[35:36], v[39:40], v[33:34], v[35:36]
	v_add_f64 v[47:48], v[45:46], v[35:36]
	s_delay_alu instid0(VALU_DEP_1) | instskip(SKIP_2) | instid1(VALU_DEP_3)
	v_add_f64 v[49:50], v[43:44], -v[47:48]
	v_add_f64 v[41:42], v[47:48], -v[45:46]
	v_max_f64 v[45:46], |v[11:12]|, |v[11:12]|
	v_add_f64 v[43:44], v[43:44], -v[49:50]
	s_delay_alu instid0(VALU_DEP_3) | instskip(NEXT) | instid1(VALU_DEP_2)
	v_add_f64 v[35:36], v[41:42], -v[35:36]
	v_add_f64 v[43:44], v[43:44], -v[47:48]
	v_max_f64 v[47:48], |v[9:10]|, |v[9:10]|
	s_delay_alu instid0(VALU_DEP_2) | instskip(NEXT) | instid1(VALU_DEP_2)
	v_add_f64 v[29:30], v[29:30], v[43:44]
	v_max_f64 v[51:52], v[47:48], v[45:46]
	v_min_f64 v[45:46], v[47:48], v[45:46]
	s_delay_alu instid0(VALU_DEP_3) | instskip(NEXT) | instid1(VALU_DEP_1)
	v_add_f64 v[29:30], v[35:36], v[29:30]
	v_add_f64 v[35:36], v[49:50], v[29:30]
	s_delay_alu instid0(VALU_DEP_1) | instskip(SKIP_1) | instid1(VALU_DEP_2)
	v_mul_f64 v[41:42], v[31:32], v[35:36]
	v_add_f64 v[49:50], v[49:50], -v[35:36]
	v_mul_f64 v[43:44], v[37:38], v[41:42]
	s_delay_alu instid0(VALU_DEP_2) | instskip(NEXT) | instid1(VALU_DEP_2)
	v_add_f64 v[29:30], v[29:30], v[49:50]
	v_fma_f64 v[37:38], v[41:42], v[37:38], -v[43:44]
	s_delay_alu instid0(VALU_DEP_1) | instskip(SKIP_1) | instid1(VALU_DEP_2)
	v_fma_f64 v[33:34], v[41:42], v[33:34], v[37:38]
	v_div_scale_f64 v[37:38], null, v[51:52], v[51:52], v[45:46]
	v_add_f64 v[47:48], v[43:44], v[33:34]
	s_delay_alu instid0(VALU_DEP_2) | instskip(NEXT) | instid1(VALU_DEP_1)
	v_rcp_f64_e32 v[53:54], v[37:38]
	v_add_f64 v[55:56], v[35:36], -v[47:48]
	v_add_f64 v[43:44], v[47:48], -v[43:44]
	s_waitcnt_depctr 0xfff
	v_fma_f64 v[57:58], -v[37:38], v[53:54], 1.0
	v_add_f64 v[35:36], v[35:36], -v[55:56]
	v_add_f64 v[33:34], v[43:44], -v[33:34]
	s_delay_alu instid0(VALU_DEP_3) | instskip(NEXT) | instid1(VALU_DEP_3)
	v_fma_f64 v[53:54], v[53:54], v[57:58], v[53:54]
	v_add_f64 v[35:36], v[35:36], -v[47:48]
	s_delay_alu instid0(VALU_DEP_2) | instskip(NEXT) | instid1(VALU_DEP_2)
	v_fma_f64 v[47:48], -v[37:38], v[53:54], 1.0
	v_add_f64 v[29:30], v[29:30], v[35:36]
	v_div_scale_f64 v[35:36], vcc_lo, v[45:46], v[51:52], v[45:46]
	s_delay_alu instid0(VALU_DEP_3) | instskip(SKIP_1) | instid1(VALU_DEP_4)
	v_fma_f64 v[43:44], v[53:54], v[47:48], v[53:54]
	v_add_f64 v[47:48], v[39:40], v[41:42]
	v_add_f64 v[29:30], v[33:34], v[29:30]
	s_delay_alu instid0(VALU_DEP_3) | instskip(NEXT) | instid1(VALU_DEP_3)
	v_mul_f64 v[33:34], v[35:36], v[43:44]
	v_add_f64 v[39:40], v[47:48], -v[39:40]
	s_delay_alu instid0(VALU_DEP_3) | instskip(NEXT) | instid1(VALU_DEP_3)
	v_add_f64 v[29:30], v[55:56], v[29:30]
	v_fma_f64 v[35:36], -v[37:38], v[33:34], v[35:36]
	s_delay_alu instid0(VALU_DEP_3) | instskip(NEXT) | instid1(VALU_DEP_3)
	v_add_f64 v[37:38], v[41:42], -v[39:40]
	v_mul_f64 v[29:30], v[31:32], v[29:30]
	s_delay_alu instid0(VALU_DEP_3) | instskip(SKIP_1) | instid1(VALU_DEP_3)
	v_div_fmas_f64 v[31:32], v[35:36], v[43:44], v[33:34]
	v_cmp_eq_f64_e32 vcc_lo, 0x7ff00000, v[27:28]
	v_add_f64 v[29:30], v[37:38], v[29:30]
	s_delay_alu instid0(VALU_DEP_3) | instskip(NEXT) | instid1(VALU_DEP_2)
	v_div_fixup_f64 v[31:32], v[31:32], v[51:52], v[45:46]
	v_add_f64 v[33:34], v[47:48], v[29:30]
	s_delay_alu instid0(VALU_DEP_2) | instskip(NEXT) | instid1(VALU_DEP_2)
	v_mul_f64 v[35:36], v[31:32], v[31:32]
	v_mul_f64 v[37:38], v[33:34], v[33:34]
	s_delay_alu instid0(VALU_DEP_2) | instskip(NEXT) | instid1(VALU_DEP_2)
	v_fma_f64 v[39:40], v[35:36], s[50:51], s[48:49]
	v_fma_f64 v[41:42], v[37:38], s[30:31], s[28:29]
	v_mul_f64 v[43:44], v[33:34], v[37:38]
	s_delay_alu instid0(VALU_DEP_3) | instskip(NEXT) | instid1(VALU_DEP_3)
	v_fma_f64 v[39:40], v[35:36], v[39:40], s[52:53]
	v_fma_f64 v[41:42], v[37:38], v[41:42], s[36:37]
	s_delay_alu instid0(VALU_DEP_2) | instskip(NEXT) | instid1(VALU_DEP_2)
	v_fma_f64 v[39:40], v[35:36], v[39:40], s[54:55]
	v_fma_f64 v[41:42], v[37:38], v[41:42], s[38:39]
	s_delay_alu instid0(VALU_DEP_2) | instskip(NEXT) | instid1(VALU_DEP_2)
	;; [unrolled: 3-line block ×4, first 2 shown]
	v_fma_f64 v[39:40], v[35:36], v[39:40], s[60:61]
	v_fma_f64 v[37:38], v[37:38], v[41:42], s[100:101]
	v_ldexp_f64 v[41:42], v[33:34], 1
	v_add_f64 v[33:34], v[33:34], -v[47:48]
	s_delay_alu instid0(VALU_DEP_4) | instskip(NEXT) | instid1(VALU_DEP_4)
	v_fma_f64 v[39:40], v[35:36], v[39:40], s[62:63]
	v_mul_f64 v[37:38], v[43:44], v[37:38]
	v_cvt_f64_i32_e32 v[43:44], v18
	s_delay_alu instid0(VALU_DEP_4) | instskip(NEXT) | instid1(VALU_DEP_4)
	v_add_f64 v[29:30], v[29:30], -v[33:34]
	v_fma_f64 v[39:40], v[35:36], v[39:40], s[64:65]
	v_ashrrev_i32_e32 v18, 31, v10
	v_add_f64 v[45:46], v[41:42], v[37:38]
	v_mul_f64 v[47:48], v[43:44], s[44:45]
	v_ldexp_f64 v[29:30], v[29:30], 1
	v_fma_f64 v[39:40], v[35:36], v[39:40], s[66:67]
	s_delay_alu instid0(VALU_DEP_4) | instskip(NEXT) | instid1(VALU_DEP_4)
	v_add_f64 v[33:34], v[45:46], -v[41:42]
	v_fma_f64 v[41:42], v[43:44], s[44:45], -v[47:48]
	s_delay_alu instid0(VALU_DEP_3) | instskip(NEXT) | instid1(VALU_DEP_3)
	v_fma_f64 v[39:40], v[35:36], v[39:40], s[68:69]
	v_add_f64 v[33:34], v[37:38], -v[33:34]
	s_delay_alu instid0(VALU_DEP_2) | instskip(NEXT) | instid1(VALU_DEP_4)
	v_fma_f64 v[37:38], v[35:36], v[39:40], s[70:71]
	v_fma_f64 v[39:40], v[43:44], s[46:47], v[41:42]
	s_delay_alu instid0(VALU_DEP_3) | instskip(NEXT) | instid1(VALU_DEP_3)
	v_add_f64 v[29:30], v[29:30], v[33:34]
	v_fma_f64 v[33:34], v[35:36], v[37:38], s[72:73]
	s_delay_alu instid0(VALU_DEP_3) | instskip(NEXT) | instid1(VALU_DEP_3)
	v_add_f64 v[37:38], v[47:48], v[39:40]
	v_add_f64 v[41:42], v[45:46], v[29:30]
	s_delay_alu instid0(VALU_DEP_3) | instskip(NEXT) | instid1(VALU_DEP_3)
	v_fma_f64 v[33:34], v[35:36], v[33:34], s[74:75]
	v_add_f64 v[47:48], v[37:38], -v[47:48]
	s_delay_alu instid0(VALU_DEP_3) | instskip(SKIP_1) | instid1(VALU_DEP_4)
	v_add_f64 v[43:44], v[37:38], v[41:42]
	v_add_f64 v[45:46], v[41:42], -v[45:46]
	v_fma_f64 v[33:34], v[35:36], v[33:34], s[76:77]
	s_delay_alu instid0(VALU_DEP_4) | instskip(NEXT) | instid1(VALU_DEP_4)
	v_add_f64 v[39:40], v[39:40], -v[47:48]
	v_add_f64 v[49:50], v[43:44], -v[37:38]
	s_delay_alu instid0(VALU_DEP_4) | instskip(NEXT) | instid1(VALU_DEP_4)
	v_add_f64 v[29:30], v[29:30], -v[45:46]
	v_fma_f64 v[33:34], v[35:36], v[33:34], s[78:79]
	s_delay_alu instid0(VALU_DEP_3) | instskip(SKIP_1) | instid1(VALU_DEP_4)
	v_add_f64 v[51:52], v[43:44], -v[49:50]
	v_add_f64 v[41:42], v[41:42], -v[49:50]
	v_add_f64 v[45:46], v[39:40], v[29:30]
	s_delay_alu instid0(VALU_DEP_4) | instskip(NEXT) | instid1(VALU_DEP_4)
	v_fma_f64 v[33:34], v[35:36], v[33:34], s[80:81]
	v_add_f64 v[37:38], v[37:38], -v[51:52]
	s_delay_alu instid0(VALU_DEP_2) | instskip(NEXT) | instid1(VALU_DEP_2)
	v_fma_f64 v[33:34], v[35:36], v[33:34], s[82:83]
	v_add_f64 v[37:38], v[41:42], v[37:38]
	v_add_f64 v[41:42], v[45:46], -v[39:40]
	s_delay_alu instid0(VALU_DEP_3) | instskip(NEXT) | instid1(VALU_DEP_3)
	v_fma_f64 v[33:34], v[35:36], v[33:34], s[84:85]
	v_add_f64 v[37:38], v[45:46], v[37:38]
	s_delay_alu instid0(VALU_DEP_3) | instskip(SKIP_1) | instid1(VALU_DEP_4)
	v_add_f64 v[45:46], v[45:46], -v[41:42]
	v_add_f64 v[29:30], v[29:30], -v[41:42]
	v_fma_f64 v[33:34], v[35:36], v[33:34], s[86:87]
	s_delay_alu instid0(VALU_DEP_4) | instskip(NEXT) | instid1(VALU_DEP_2)
	v_add_f64 v[47:48], v[43:44], v[37:38]
	v_mul_f64 v[33:34], v[35:36], v[33:34]
	v_add_f64 v[35:36], v[39:40], -v[45:46]
	s_delay_alu instid0(VALU_DEP_3) | instskip(NEXT) | instid1(VALU_DEP_3)
	v_add_f64 v[39:40], v[47:48], -v[43:44]
	v_fma_f64 v[31:32], v[31:32], v[33:34], v[31:32]
	s_delay_alu instid0(VALU_DEP_3) | instskip(NEXT) | instid1(VALU_DEP_3)
	v_add_f64 v[29:30], v[29:30], v[35:36]
	v_add_f64 v[33:34], v[37:38], -v[39:40]
	s_delay_alu instid0(VALU_DEP_3) | instskip(NEXT) | instid1(VALU_DEP_2)
	v_add_f64 v[35:36], -v[31:32], s[88:89]
	v_add_f64 v[29:30], v[29:30], v[33:34]
	s_delay_alu instid0(VALU_DEP_2) | instskip(NEXT) | instid1(VALU_DEP_3)
	v_cndmask_b32_e64 v32, v32, v36, s6
	v_cndmask_b32_e64 v31, v31, v35, s6
	;; [unrolled: 1-line block ×3, first 2 shown]
	s_delay_alu instid0(VALU_DEP_2) | instskip(SKIP_2) | instid1(VALU_DEP_3)
	v_add_f64 v[33:34], -v[31:32], s[16:17]
	v_add_f64 v[29:30], v[47:48], v[29:30]
	v_and_b32_e32 v36, 0x54442d18, v18
	v_cndmask_b32_e64 v31, v31, v33, s7
	s_delay_alu instid0(VALU_DEP_3) | instskip(NEXT) | instid1(VALU_DEP_2)
	v_cndmask_b32_e32 v9, v29, v27, vcc_lo
	v_cndmask_b32_e64 v29, v31, v36, s8
	v_cndmask_b32_e32 v10, v30, v28, vcc_lo
	s_and_b32 vcc_lo, s11, s12
	s_delay_alu instid0(VALU_DEP_2) | instskip(NEXT) | instid1(VALU_DEP_2)
	v_cndmask_b32_e32 v29, v29, v35, vcc_lo
	v_mul_f64 v[27:28], v[9:10], 0.5
	v_cndmask_b32_e64 v9, 0x3fe921fb, v60, s7
	v_and_b32_e32 v10, 0x400921fb, v18
	v_cndmask_b32_e64 v18, v32, v34, s7
                                        ; implicit-def: $vgpr33_vgpr34
	s_delay_alu instid0(VALU_DEP_3) | instskip(NEXT) | instid1(VALU_DEP_2)
	v_bfi_b32 v9, 0x7fffffff, v9, v12
	v_cndmask_b32_e64 v10, v18, v10, s8
	s_delay_alu instid0(VALU_DEP_1)
	v_cndmask_b32_e32 v30, v10, v9, vcc_lo
.LBB198_33:                             ;   in Loop: Header=BB198_4 Depth=1
	s_and_not1_saveexec_b32 s8, s10
	s_cbranch_execz .LBB198_35
; %bb.34:                               ;   in Loop: Header=BB198_4 Depth=1
	v_max_f64 v[27:28], |v[11:12]|, |v[11:12]|
	v_max_f64 v[29:30], |v[9:10]|, |v[9:10]|
	s_mov_b32 s16, s88
	v_cmp_eq_f64_e64 s7, 0, v[11:12]
	v_cmp_class_f64_e64 s10, v[11:12], 0x204
	v_cmp_class_f64_e64 s11, v[9:10], 0x204
	v_ashrrev_i32_e32 v18, 31, v10
	v_max_f64 v[31:32], v[29:30], v[27:28]
	v_min_f64 v[27:28], v[29:30], v[27:28]
	s_delay_alu instid0(VALU_DEP_1) | instskip(SKIP_1) | instid1(VALU_DEP_2)
	v_div_scale_f64 v[29:30], null, v[31:32], v[31:32], v[27:28]
	v_div_scale_f64 v[39:40], vcc_lo, v[27:28], v[31:32], v[27:28]
	v_rcp_f64_e32 v[35:36], v[29:30]
	s_waitcnt_depctr 0xfff
	v_fma_f64 v[37:38], -v[29:30], v[35:36], 1.0
	s_delay_alu instid0(VALU_DEP_1) | instskip(NEXT) | instid1(VALU_DEP_1)
	v_fma_f64 v[35:36], v[35:36], v[37:38], v[35:36]
	v_fma_f64 v[37:38], -v[29:30], v[35:36], 1.0
	s_delay_alu instid0(VALU_DEP_1) | instskip(NEXT) | instid1(VALU_DEP_1)
	v_fma_f64 v[35:36], v[35:36], v[37:38], v[35:36]
	v_mul_f64 v[37:38], v[39:40], v[35:36]
	s_delay_alu instid0(VALU_DEP_1) | instskip(NEXT) | instid1(VALU_DEP_1)
	v_fma_f64 v[29:30], -v[29:30], v[37:38], v[39:40]
	v_div_fmas_f64 v[29:30], v[29:30], v[35:36], v[37:38]
	v_cmp_gt_i32_e32 vcc_lo, 0, v10
	v_and_b32_e32 v36, 0x54442d18, v18
	v_and_b32_e32 v10, 0x400921fb, v18
	v_cndmask_b32_e32 v35, 0x54442d18, v59, vcc_lo
	v_cndmask_b32_e32 v9, 0x3fe921fb, v60, vcc_lo
	s_delay_alu instid0(VALU_DEP_1) | instskip(SKIP_1) | instid1(VALU_DEP_1)
	v_bfi_b32 v9, 0x7fffffff, v9, v12
	v_div_fixup_f64 v[27:28], v[29:30], v[31:32], v[27:28]
	v_mul_f64 v[29:30], v[27:28], v[27:28]
	s_delay_alu instid0(VALU_DEP_1) | instskip(NEXT) | instid1(VALU_DEP_1)
	v_fma_f64 v[31:32], v[29:30], s[50:51], s[48:49]
	v_fma_f64 v[31:32], v[29:30], v[31:32], s[52:53]
	s_delay_alu instid0(VALU_DEP_1) | instskip(NEXT) | instid1(VALU_DEP_1)
	v_fma_f64 v[31:32], v[29:30], v[31:32], s[54:55]
	v_fma_f64 v[31:32], v[29:30], v[31:32], s[56:57]
	;; [unrolled: 3-line block ×9, first 2 shown]
	s_delay_alu instid0(VALU_DEP_1) | instskip(NEXT) | instid1(VALU_DEP_1)
	v_fma_f64 v[31:32], v[29:30], v[31:32], s[86:87]
	v_mul_f64 v[29:30], v[29:30], v[31:32]
	s_delay_alu instid0(VALU_DEP_1) | instskip(NEXT) | instid1(VALU_DEP_1)
	v_fma_f64 v[27:28], v[27:28], v[29:30], v[27:28]
	v_add_f64 v[29:30], -v[27:28], s[88:89]
	s_delay_alu instid0(VALU_DEP_1) | instskip(NEXT) | instid1(VALU_DEP_2)
	v_cndmask_b32_e64 v30, v28, v30, s6
	v_cndmask_b32_e64 v29, v27, v29, s6
	v_mul_f64 v[27:28], v[33:34], 0.5
	s_delay_alu instid0(VALU_DEP_2) | instskip(NEXT) | instid1(VALU_DEP_2)
	v_add_f64 v[31:32], -v[29:30], s[16:17]
	v_mul_f64 v[27:28], v[33:34], v[27:28]
	s_delay_alu instid0(VALU_DEP_2) | instskip(NEXT) | instid1(VALU_DEP_1)
	v_cndmask_b32_e32 v29, v29, v31, vcc_lo
	v_cndmask_b32_e64 v29, v29, v36, s7
	s_delay_alu instid0(VALU_DEP_4) | instskip(SKIP_1) | instid1(VALU_DEP_2)
	v_cndmask_b32_e32 v18, v30, v32, vcc_lo
	s_and_b32 vcc_lo, s10, s11
	v_cndmask_b32_e32 v29, v29, v35, vcc_lo
	s_delay_alu instid0(VALU_DEP_2) | instskip(NEXT) | instid1(VALU_DEP_1)
	v_cndmask_b32_e64 v10, v18, v10, s7
	v_cndmask_b32_e32 v30, v10, v9, vcc_lo
.LBB198_35:                             ;   in Loop: Header=BB198_4 Depth=1
	s_or_b32 exec_lo, exec_lo, s8
.LBB198_36:                             ;   in Loop: Header=BB198_4 Depth=1
	s_delay_alu instid0(SALU_CYCLE_1)
	s_or_b32 exec_lo, exec_lo, s9
.LBB198_37:                             ;   in Loop: Header=BB198_4 Depth=1
	s_and_not1_saveexec_b32 s9, s22
	s_cbranch_execz .LBB198_39
; %bb.38:                               ;   in Loop: Header=BB198_4 Depth=1
	v_div_scale_f64 v[27:28], null, s[94:95], s[94:95], v[9:10]
	v_div_scale_f64 v[29:30], null, s[94:95], s[94:95], v[11:12]
	v_div_scale_f64 v[39:40], vcc_lo, v[9:10], s[94:95], v[9:10]
	v_max_f64 v[45:46], |v[9:10]|, |v[9:10]|
	s_mov_b32 s101, s27
	s_mov_b32 s16, s88
	s_delay_alu instid0(VALU_DEP_4) | instskip(NEXT) | instid1(VALU_DEP_3)
	v_rcp_f64_e32 v[31:32], v[27:28]
	v_rcp_f64_e32 v[33:34], v[29:30]
	s_waitcnt_depctr 0xfff
	v_fma_f64 v[35:36], -v[27:28], v[31:32], 1.0
	v_fma_f64 v[37:38], -v[29:30], v[33:34], 1.0
	s_delay_alu instid0(VALU_DEP_2) | instskip(NEXT) | instid1(VALU_DEP_2)
	v_fma_f64 v[31:32], v[31:32], v[35:36], v[31:32]
	v_fma_f64 v[33:34], v[33:34], v[37:38], v[33:34]
	s_delay_alu instid0(VALU_DEP_2) | instskip(NEXT) | instid1(VALU_DEP_2)
	v_fma_f64 v[35:36], -v[27:28], v[31:32], 1.0
	v_fma_f64 v[37:38], -v[29:30], v[33:34], 1.0
	s_delay_alu instid0(VALU_DEP_2) | instskip(SKIP_1) | instid1(VALU_DEP_3)
	v_fma_f64 v[31:32], v[31:32], v[35:36], v[31:32]
	v_div_scale_f64 v[35:36], s7, v[11:12], s[94:95], v[11:12]
	v_fma_f64 v[33:34], v[33:34], v[37:38], v[33:34]
	s_delay_alu instid0(VALU_DEP_3) | instskip(NEXT) | instid1(VALU_DEP_2)
	v_mul_f64 v[37:38], v[39:40], v[31:32]
	v_mul_f64 v[41:42], v[35:36], v[33:34]
	s_delay_alu instid0(VALU_DEP_2) | instskip(NEXT) | instid1(VALU_DEP_2)
	v_fma_f64 v[27:28], -v[27:28], v[37:38], v[39:40]
	v_fma_f64 v[29:30], -v[29:30], v[41:42], v[35:36]
	s_delay_alu instid0(VALU_DEP_2) | instskip(SKIP_1) | instid1(VALU_DEP_2)
	v_div_fmas_f64 v[27:28], v[27:28], v[31:32], v[37:38]
	s_mov_b32 vcc_lo, s7
	v_div_fmas_f64 v[29:30], v[29:30], v[33:34], v[41:42]
	s_delay_alu instid0(VALU_DEP_2) | instskip(NEXT) | instid1(VALU_DEP_2)
	v_div_fixup_f64 v[27:28], v[27:28], s[94:95], v[9:10]
	v_div_fixup_f64 v[29:30], v[29:30], s[94:95], v[11:12]
	s_delay_alu instid0(VALU_DEP_2) | instskip(NEXT) | instid1(VALU_DEP_2)
	v_cmp_class_f64_e64 s8, v[27:28], 0x204
	v_max_f64 v[31:32], |v[27:28]|, |v[29:30]|
	v_cmp_o_f64_e64 s7, v[27:28], v[29:30]
	v_cmp_class_f64_e64 s10, v[29:30], 0x204
	s_delay_alu instid0(VALU_DEP_3) | instskip(NEXT) | instid1(VALU_DEP_2)
	v_frexp_exp_i32_f64_e32 v18, v[31:32]
	s_or_b32 s10, s10, s8
	s_delay_alu instid0(VALU_DEP_1) | instskip(NEXT) | instid1(VALU_DEP_1)
	v_sub_nc_u32_e32 v33, 0, v18
	v_ldexp_f64 v[31:32], |v[29:30]|, v33
	v_ldexp_f64 v[33:34], |v[27:28]|, v33
	s_delay_alu instid0(VALU_DEP_2) | instskip(NEXT) | instid1(VALU_DEP_1)
	v_mul_f64 v[31:32], v[31:32], v[31:32]
	v_fma_f64 v[31:32], v[33:34], v[33:34], v[31:32]
	s_delay_alu instid0(VALU_DEP_1) | instskip(SKIP_4) | instid1(VALU_DEP_1)
	v_rsq_f64_e32 v[33:34], v[31:32]
	v_cmp_eq_f64_e32 vcc_lo, 0, v[31:32]
	s_waitcnt_depctr 0xfff
	v_mul_f64 v[35:36], v[31:32], v[33:34]
	v_mul_f64 v[33:34], v[33:34], 0.5
	v_fma_f64 v[37:38], -v[33:34], v[35:36], 0.5
	s_delay_alu instid0(VALU_DEP_1) | instskip(SKIP_1) | instid1(VALU_DEP_2)
	v_fma_f64 v[35:36], v[35:36], v[37:38], v[35:36]
	v_fma_f64 v[33:34], v[33:34], v[37:38], v[33:34]
	v_fma_f64 v[37:38], -v[35:36], v[35:36], v[31:32]
	s_delay_alu instid0(VALU_DEP_1) | instskip(NEXT) | instid1(VALU_DEP_1)
	v_fma_f64 v[33:34], v[37:38], v[33:34], v[35:36]
	v_dual_cndmask_b32 v32, v34, v32 :: v_dual_cndmask_b32 v31, v33, v31
	s_delay_alu instid0(VALU_DEP_1) | instskip(NEXT) | instid1(VALU_DEP_1)
	v_ldexp_f64 v[31:32], v[31:32], v18
	v_cndmask_b32_e64 v27, 0, v31, s7
	s_delay_alu instid0(VALU_DEP_2) | instskip(SKIP_1) | instid1(VALU_DEP_3)
	v_cndmask_b32_e64 v57, 0x7ff80000, v32, s7
	v_and_b32_e32 v32, 0x7fffffff, v32
	v_cndmask_b32_e64 v28, v27, 0, s10
	s_delay_alu instid0(VALU_DEP_3) | instskip(NEXT) | instid1(VALU_DEP_1)
	v_cndmask_b32_e64 v29, v57, 0x7ff00000, s10
	v_frexp_mant_f64_e32 v[33:34], v[28:29]
	s_delay_alu instid0(VALU_DEP_1) | instskip(NEXT) | instid1(VALU_DEP_1)
	v_cmp_gt_f64_e64 s8, s[26:27], v[33:34]
	v_cndmask_b32_e64 v18, 0x3ff00000, 2.0, s8
	s_delay_alu instid0(VALU_DEP_1) | instskip(SKIP_1) | instid1(VALU_DEP_2)
	v_mul_f64 v[33:34], v[33:34], v[17:18]
	v_frexp_exp_i32_f64_e32 v18, v[28:29]
	v_add_f64 v[35:36], v[33:34], 1.0
	v_add_f64 v[41:42], v[33:34], -1.0
	s_delay_alu instid0(VALU_DEP_2) | instskip(SKIP_1) | instid1(VALU_DEP_1)
	v_rcp_f64_e32 v[37:38], v[35:36]
	v_add_f64 v[47:48], v[35:36], -1.0
	v_add_f64 v[33:34], v[33:34], -v[47:48]
	s_waitcnt_depctr 0xfff
	v_fma_f64 v[39:40], -v[35:36], v[37:38], 1.0
	s_delay_alu instid0(VALU_DEP_1) | instskip(NEXT) | instid1(VALU_DEP_1)
	v_fma_f64 v[37:38], v[39:40], v[37:38], v[37:38]
	v_fma_f64 v[39:40], -v[35:36], v[37:38], 1.0
	s_delay_alu instid0(VALU_DEP_1) | instskip(SKIP_1) | instid1(VALU_DEP_2)
	v_fma_f64 v[37:38], v[39:40], v[37:38], v[37:38]
	v_max_f64 v[39:40], |v[11:12]|, |v[11:12]|
	v_mul_f64 v[43:44], v[41:42], v[37:38]
	s_delay_alu instid0(VALU_DEP_2) | instskip(SKIP_1) | instid1(VALU_DEP_3)
	v_max_f64 v[51:52], v[45:46], v[39:40]
	v_min_f64 v[39:40], v[45:46], v[39:40]
	v_mul_f64 v[49:50], v[35:36], v[43:44]
	s_delay_alu instid0(VALU_DEP_2) | instskip(NEXT) | instid1(VALU_DEP_2)
	v_div_scale_f64 v[45:46], null, v[51:52], v[51:52], v[39:40]
	v_fma_f64 v[35:36], v[43:44], v[35:36], -v[49:50]
	s_delay_alu instid0(VALU_DEP_1) | instskip(NEXT) | instid1(VALU_DEP_3)
	v_fma_f64 v[33:34], v[43:44], v[33:34], v[35:36]
	v_rcp_f64_e32 v[35:36], v[45:46]
	s_delay_alu instid0(VALU_DEP_1) | instskip(SKIP_4) | instid1(VALU_DEP_3)
	v_add_f64 v[47:48], v[49:50], v[33:34]
	s_waitcnt_depctr 0xfff
	v_fma_f64 v[53:54], -v[45:46], v[35:36], 1.0
	v_add_f64 v[55:56], v[41:42], -v[47:48]
	v_add_f64 v[49:50], v[47:48], -v[49:50]
	v_fma_f64 v[35:36], v[35:36], v[53:54], v[35:36]
	s_delay_alu instid0(VALU_DEP_3) | instskip(NEXT) | instid1(VALU_DEP_3)
	v_add_f64 v[41:42], v[41:42], -v[55:56]
	v_add_f64 v[33:34], v[49:50], -v[33:34]
	s_delay_alu instid0(VALU_DEP_3) | instskip(NEXT) | instid1(VALU_DEP_3)
	v_fma_f64 v[53:54], -v[45:46], v[35:36], 1.0
	v_add_f64 v[41:42], v[41:42], -v[47:48]
	v_div_scale_f64 v[47:48], vcc_lo, v[39:40], v[51:52], v[39:40]
	s_delay_alu instid0(VALU_DEP_3) | instskip(NEXT) | instid1(VALU_DEP_3)
	v_fma_f64 v[35:36], v[35:36], v[53:54], v[35:36]
	v_add_f64 v[33:34], v[33:34], v[41:42]
	s_delay_alu instid0(VALU_DEP_2) | instskip(NEXT) | instid1(VALU_DEP_2)
	v_mul_f64 v[41:42], v[47:48], v[35:36]
	v_add_f64 v[33:34], v[55:56], v[33:34]
	s_delay_alu instid0(VALU_DEP_2) | instskip(NEXT) | instid1(VALU_DEP_2)
	v_fma_f64 v[45:46], -v[45:46], v[41:42], v[47:48]
	v_mul_f64 v[33:34], v[37:38], v[33:34]
	s_delay_alu instid0(VALU_DEP_2)
	v_div_fmas_f64 v[35:36], v[45:46], v[35:36], v[41:42]
	v_subrev_co_ci_u32_e64 v18, vcc_lo, 0, v18, s8
	v_cmp_eq_f64_e32 vcc_lo, 0x7ff00000, v[31:32]
	v_cmp_class_f64_e64 s8, v[9:10], 0x204
	v_add_f64 v[37:38], v[43:44], v[33:34]
	v_div_fixup_f64 v[35:36], v[35:36], v[51:52], v[39:40]
	s_and_b32 vcc_lo, s7, vcc_lo
	v_cmp_class_f64_e64 s7, v[11:12], 0x204
	s_delay_alu instid0(VALU_DEP_3) | instskip(NEXT) | instid1(VALU_DEP_3)
	v_mul_f64 v[39:40], v[37:38], v[37:38]
	v_mul_f64 v[41:42], v[35:36], v[35:36]
	s_delay_alu instid0(VALU_DEP_2) | instskip(SKIP_1) | instid1(VALU_DEP_3)
	v_fma_f64 v[45:46], v[39:40], s[30:31], s[28:29]
	v_mul_f64 v[49:50], v[37:38], v[39:40]
	v_fma_f64 v[47:48], v[41:42], s[50:51], s[48:49]
	s_delay_alu instid0(VALU_DEP_3) | instskip(NEXT) | instid1(VALU_DEP_2)
	v_fma_f64 v[45:46], v[39:40], v[45:46], s[36:37]
	v_fma_f64 v[47:48], v[41:42], v[47:48], s[52:53]
	s_delay_alu instid0(VALU_DEP_2) | instskip(NEXT) | instid1(VALU_DEP_2)
	v_fma_f64 v[45:46], v[39:40], v[45:46], s[38:39]
	v_fma_f64 v[47:48], v[41:42], v[47:48], s[54:55]
	s_delay_alu instid0(VALU_DEP_2) | instskip(NEXT) | instid1(VALU_DEP_2)
	;; [unrolled: 3-line block ×4, first 2 shown]
	v_fma_f64 v[39:40], v[39:40], v[45:46], s[100:101]
	v_fma_f64 v[45:46], v[41:42], v[47:48], s[60:61]
	v_ldexp_f64 v[47:48], v[37:38], 1
	v_add_f64 v[37:38], v[37:38], -v[43:44]
	s_delay_alu instid0(VALU_DEP_4)
	v_mul_f64 v[39:40], v[49:50], v[39:40]
	v_cvt_f64_i32_e32 v[49:50], v18
	v_ashrrev_i32_e32 v18, 31, v10
	v_fma_f64 v[45:46], v[41:42], v[45:46], s[62:63]
	v_add_f64 v[33:34], v[33:34], -v[37:38]
	v_add_f64 v[43:44], v[47:48], v[39:40]
	v_mul_f64 v[51:52], v[49:50], s[44:45]
	s_delay_alu instid0(VALU_DEP_4) | instskip(NEXT) | instid1(VALU_DEP_4)
	v_fma_f64 v[45:46], v[41:42], v[45:46], s[64:65]
	v_ldexp_f64 v[33:34], v[33:34], 1
	s_delay_alu instid0(VALU_DEP_4) | instskip(NEXT) | instid1(VALU_DEP_4)
	v_add_f64 v[37:38], v[43:44], -v[47:48]
	v_fma_f64 v[47:48], v[49:50], s[44:45], -v[51:52]
	s_delay_alu instid0(VALU_DEP_4) | instskip(NEXT) | instid1(VALU_DEP_3)
	v_fma_f64 v[45:46], v[41:42], v[45:46], s[66:67]
	v_add_f64 v[37:38], v[39:40], -v[37:38]
	s_delay_alu instid0(VALU_DEP_2) | instskip(NEXT) | instid1(VALU_DEP_4)
	v_fma_f64 v[39:40], v[41:42], v[45:46], s[68:69]
	v_fma_f64 v[45:46], v[49:50], s[46:47], v[47:48]
	s_delay_alu instid0(VALU_DEP_3) | instskip(NEXT) | instid1(VALU_DEP_3)
	v_add_f64 v[33:34], v[33:34], v[37:38]
	v_fma_f64 v[37:38], v[41:42], v[39:40], s[70:71]
	s_delay_alu instid0(VALU_DEP_3) | instskip(NEXT) | instid1(VALU_DEP_3)
	v_add_f64 v[39:40], v[51:52], v[45:46]
	v_add_f64 v[47:48], v[43:44], v[33:34]
	s_delay_alu instid0(VALU_DEP_3) | instskip(NEXT) | instid1(VALU_DEP_3)
	v_fma_f64 v[37:38], v[41:42], v[37:38], s[72:73]
	v_add_f64 v[51:52], v[39:40], -v[51:52]
	s_delay_alu instid0(VALU_DEP_3) | instskip(SKIP_1) | instid1(VALU_DEP_4)
	v_add_f64 v[49:50], v[39:40], v[47:48]
	v_add_f64 v[43:44], v[47:48], -v[43:44]
	v_fma_f64 v[37:38], v[41:42], v[37:38], s[74:75]
	s_delay_alu instid0(VALU_DEP_4) | instskip(NEXT) | instid1(VALU_DEP_4)
	v_add_f64 v[45:46], v[45:46], -v[51:52]
	v_add_f64 v[53:54], v[49:50], -v[39:40]
	s_delay_alu instid0(VALU_DEP_4) | instskip(NEXT) | instid1(VALU_DEP_4)
	v_add_f64 v[33:34], v[33:34], -v[43:44]
	v_fma_f64 v[37:38], v[41:42], v[37:38], s[76:77]
	s_delay_alu instid0(VALU_DEP_3) | instskip(SKIP_1) | instid1(VALU_DEP_4)
	v_add_f64 v[55:56], v[49:50], -v[53:54]
	v_add_f64 v[43:44], v[47:48], -v[53:54]
	v_add_f64 v[47:48], v[45:46], v[33:34]
	s_delay_alu instid0(VALU_DEP_4) | instskip(NEXT) | instid1(VALU_DEP_4)
	v_fma_f64 v[37:38], v[41:42], v[37:38], s[78:79]
	v_add_f64 v[39:40], v[39:40], -v[55:56]
	s_delay_alu instid0(VALU_DEP_2) | instskip(NEXT) | instid1(VALU_DEP_2)
	v_fma_f64 v[37:38], v[41:42], v[37:38], s[80:81]
	v_add_f64 v[39:40], v[43:44], v[39:40]
	v_add_f64 v[43:44], v[47:48], -v[45:46]
	s_delay_alu instid0(VALU_DEP_3) | instskip(NEXT) | instid1(VALU_DEP_3)
	v_fma_f64 v[37:38], v[41:42], v[37:38], s[82:83]
	v_add_f64 v[39:40], v[47:48], v[39:40]
	s_delay_alu instid0(VALU_DEP_3) | instskip(SKIP_1) | instid1(VALU_DEP_4)
	v_add_f64 v[47:48], v[47:48], -v[43:44]
	v_add_f64 v[33:34], v[33:34], -v[43:44]
	v_fma_f64 v[37:38], v[41:42], v[37:38], s[84:85]
	s_delay_alu instid0(VALU_DEP_4) | instskip(NEXT) | instid1(VALU_DEP_4)
	v_add_f64 v[51:52], v[49:50], v[39:40]
	v_add_f64 v[43:44], v[45:46], -v[47:48]
	s_delay_alu instid0(VALU_DEP_3) | instskip(NEXT) | instid1(VALU_DEP_3)
	v_fma_f64 v[37:38], v[41:42], v[37:38], s[86:87]
	v_add_f64 v[45:46], v[51:52], -v[49:50]
	s_delay_alu instid0(VALU_DEP_3) | instskip(NEXT) | instid1(VALU_DEP_3)
	v_add_f64 v[33:34], v[33:34], v[43:44]
	v_mul_f64 v[37:38], v[41:42], v[37:38]
	s_delay_alu instid0(VALU_DEP_3) | instskip(NEXT) | instid1(VALU_DEP_2)
	v_add_f64 v[39:40], v[39:40], -v[45:46]
	v_fma_f64 v[35:36], v[35:36], v[37:38], v[35:36]
	s_delay_alu instid0(VALU_DEP_2) | instskip(NEXT) | instid1(VALU_DEP_2)
	v_add_f64 v[33:34], v[33:34], v[39:40]
	v_add_f64 v[37:38], -v[35:36], s[88:89]
	s_delay_alu instid0(VALU_DEP_2) | instskip(NEXT) | instid1(VALU_DEP_2)
	v_add_f64 v[30:31], v[51:52], v[33:34]
	v_cndmask_b32_e64 v33, v36, v38, s6
	s_delay_alu instid0(VALU_DEP_3) | instskip(SKIP_1) | instid1(VALU_DEP_2)
	v_cndmask_b32_e64 v32, v35, v37, s6
	v_cmp_eq_f64_e64 s6, 0, v[11:12]
	v_add_f64 v[34:35], -v[32:33], s[16:17]
	v_dual_cndmask_b32 v31, v31, v57 :: v_dual_cndmask_b32 v30, v30, v27
	v_and_b32_e32 v27, 0x54442d18, v18
	v_cmp_gt_i32_e32 vcc_lo, 0, v10
	s_delay_alu instid0(VALU_DEP_3) | instskip(SKIP_3) | instid1(VALU_DEP_2)
	v_add_f64 v[30:31], v[30:31], 1.0
	v_cndmask_b32_e32 v36, 0x54442d18, v59, vcc_lo
	v_cndmask_b32_e32 v32, v32, v34, vcc_lo
	;; [unrolled: 1-line block ×3, first 2 shown]
	v_cndmask_b32_e64 v32, v32, v27, s6
	v_and_b32_e32 v10, 0x400921fb, v18
	v_cndmask_b32_e32 v18, v33, v35, vcc_lo
	v_cmp_ngt_f64_e32 vcc_lo, 0, v[28:29]
	v_bfi_b32 v9, 0x7fffffff, v9, v12
	s_delay_alu instid0(VALU_DEP_3) | instskip(SKIP_3) | instid1(VALU_DEP_1)
	v_cndmask_b32_e64 v10, v18, v10, s6
	v_cmp_nge_f64_e64 s6, 0, v[28:29]
	v_cndmask_b32_e64 v18, v30, 0, s10
	v_cndmask_b32_e64 v31, v31, 0x7ff00000, s10
	v_cndmask_b32_e32 v31, 0x7ff80000, v31, vcc_lo
	s_and_b32 vcc_lo, s7, s8
	v_cndmask_b32_e32 v30, v10, v9, vcc_lo
	v_cndmask_b32_e64 v27, 0, v18, s6
	v_cmp_neq_f64_e64 s6, 0, v[28:29]
	v_cndmask_b32_e32 v29, v32, v36, vcc_lo
	s_delay_alu instid0(VALU_DEP_2)
	v_cndmask_b32_e64 v28, 0xfff00000, v31, s6
.LBB198_39:                             ;   in Loop: Header=BB198_4 Depth=1
	s_or_b32 exec_lo, exec_lo, s9
.LBB198_40:                             ;   in Loop: Header=BB198_4 Depth=1
	s_and_not1_saveexec_b32 s6, s91
	s_cbranch_execz .LBB198_46
; %bb.41:                               ;   in Loop: Header=BB198_4 Depth=1
	v_cmp_ngt_f64_e64 s7, 0x20000000, |v[9:10]|
	v_cmp_ngt_f64_e64 s8, 0x20000000, |v[11:12]|
                                        ; implicit-def: $vgpr31_vgpr32
	s_delay_alu instid0(VALU_DEP_1) | instskip(NEXT) | instid1(SALU_CYCLE_1)
	s_or_b32 s7, s8, s7
	s_and_saveexec_b32 s8, s7
	s_delay_alu instid0(SALU_CYCLE_1)
	s_xor_b32 s7, exec_lo, s8
; %bb.42:                               ;   in Loop: Header=BB198_4 Depth=1
	v_mul_f64 v[9:10], v[9:10], v[9:10]
	s_delay_alu instid0(VALU_DEP_1)
	v_fma_f64 v[31:32], v[11:12], v[11:12], v[9:10]
; %bb.43:                               ;   in Loop: Header=BB198_4 Depth=1
	s_and_not1_saveexec_b32 s7, s7
; %bb.44:                               ;   in Loop: Header=BB198_4 Depth=1
	v_mul_f64 v[9:10], v[9:10], 4.0
	v_mul_f64 v[27:28], v[11:12], 4.0
	s_delay_alu instid0(VALU_DEP_2) | instskip(NEXT) | instid1(VALU_DEP_1)
	v_mul_f64 v[9:10], v[9:10], v[9:10]
	v_fma_f64 v[9:10], v[27:28], v[27:28], v[9:10]
	s_delay_alu instid0(VALU_DEP_1)
	v_ldexp_f64 v[31:32], v[9:10], -4
; %bb.45:                               ;   in Loop: Header=BB198_4 Depth=1
	s_or_b32 exec_lo, exec_lo, s7
	s_delay_alu instid0(VALU_DEP_1) | instskip(SKIP_2) | instid1(VALU_DEP_2)
	v_frexp_mant_f64_e32 v[9:10], v[31:32]
	s_mov_b32 s101, s27
	v_frexp_exp_i32_f64_e32 v11, v[31:32]
	v_cmp_gt_f64_e32 vcc_lo, s[26:27], v[9:10]
	v_cndmask_b32_e64 v18, 0x3ff00000, 2.0, vcc_lo
	s_delay_alu instid0(VALU_DEP_3) | instskip(SKIP_1) | instid1(VALU_DEP_3)
	v_subrev_co_ci_u32_e32 v11, vcc_lo, 0, v11, vcc_lo
	v_cmp_class_f64_e64 vcc_lo, v[31:32], 0x204
	v_mul_f64 v[9:10], v[9:10], v[17:18]
	s_delay_alu instid0(VALU_DEP_1) | instskip(SKIP_1) | instid1(VALU_DEP_2)
	v_add_f64 v[27:28], v[9:10], 1.0
	v_add_f64 v[35:36], v[9:10], -1.0
	v_rcp_f64_e32 v[29:30], v[27:28]
	v_add_f64 v[37:38], v[27:28], -1.0
	s_delay_alu instid0(VALU_DEP_1) | instskip(SKIP_2) | instid1(VALU_DEP_1)
	v_add_f64 v[9:10], v[9:10], -v[37:38]
	s_waitcnt_depctr 0xfff
	v_fma_f64 v[33:34], -v[27:28], v[29:30], 1.0
	v_fma_f64 v[29:30], v[33:34], v[29:30], v[29:30]
	s_delay_alu instid0(VALU_DEP_1) | instskip(NEXT) | instid1(VALU_DEP_1)
	v_fma_f64 v[33:34], -v[27:28], v[29:30], 1.0
	v_fma_f64 v[29:30], v[33:34], v[29:30], v[29:30]
	s_delay_alu instid0(VALU_DEP_1) | instskip(NEXT) | instid1(VALU_DEP_1)
	v_mul_f64 v[33:34], v[35:36], v[29:30]
	v_mul_f64 v[39:40], v[27:28], v[33:34]
	s_delay_alu instid0(VALU_DEP_1) | instskip(NEXT) | instid1(VALU_DEP_1)
	v_fma_f64 v[27:28], v[33:34], v[27:28], -v[39:40]
	v_fma_f64 v[9:10], v[33:34], v[9:10], v[27:28]
	s_delay_alu instid0(VALU_DEP_1) | instskip(NEXT) | instid1(VALU_DEP_1)
	v_add_f64 v[27:28], v[39:40], v[9:10]
	v_add_f64 v[37:38], v[35:36], -v[27:28]
	v_add_f64 v[39:40], v[27:28], -v[39:40]
	s_delay_alu instid0(VALU_DEP_2) | instskip(NEXT) | instid1(VALU_DEP_2)
	v_add_f64 v[35:36], v[35:36], -v[37:38]
	v_add_f64 v[9:10], v[39:40], -v[9:10]
	s_delay_alu instid0(VALU_DEP_2) | instskip(NEXT) | instid1(VALU_DEP_1)
	v_add_f64 v[27:28], v[35:36], -v[27:28]
	v_add_f64 v[9:10], v[9:10], v[27:28]
	s_delay_alu instid0(VALU_DEP_1) | instskip(NEXT) | instid1(VALU_DEP_1)
	v_add_f64 v[9:10], v[37:38], v[9:10]
	v_mul_f64 v[9:10], v[29:30], v[9:10]
	s_delay_alu instid0(VALU_DEP_1) | instskip(NEXT) | instid1(VALU_DEP_1)
	v_add_f64 v[27:28], v[33:34], v[9:10]
	v_mul_f64 v[29:30], v[27:28], v[27:28]
	s_delay_alu instid0(VALU_DEP_1) | instskip(SKIP_1) | instid1(VALU_DEP_2)
	v_fma_f64 v[35:36], v[29:30], s[30:31], s[28:29]
	v_mul_f64 v[37:38], v[27:28], v[29:30]
	v_fma_f64 v[35:36], v[29:30], v[35:36], s[36:37]
	s_delay_alu instid0(VALU_DEP_1) | instskip(NEXT) | instid1(VALU_DEP_1)
	v_fma_f64 v[35:36], v[29:30], v[35:36], s[38:39]
	v_fma_f64 v[35:36], v[29:30], v[35:36], s[40:41]
	s_delay_alu instid0(VALU_DEP_1) | instskip(NEXT) | instid1(VALU_DEP_1)
	v_fma_f64 v[35:36], v[29:30], v[35:36], s[42:43]
	v_fma_f64 v[29:30], v[29:30], v[35:36], s[100:101]
	v_ldexp_f64 v[35:36], v[27:28], 1
	v_add_f64 v[27:28], v[27:28], -v[33:34]
	s_delay_alu instid0(VALU_DEP_3) | instskip(SKIP_1) | instid1(VALU_DEP_3)
	v_mul_f64 v[29:30], v[37:38], v[29:30]
	v_cvt_f64_i32_e32 v[37:38], v11
	v_add_f64 v[9:10], v[9:10], -v[27:28]
	s_delay_alu instid0(VALU_DEP_3) | instskip(NEXT) | instid1(VALU_DEP_3)
	v_add_f64 v[33:34], v[35:36], v[29:30]
	v_mul_f64 v[39:40], v[37:38], s[44:45]
	s_delay_alu instid0(VALU_DEP_3) | instskip(NEXT) | instid1(VALU_DEP_3)
	v_ldexp_f64 v[9:10], v[9:10], 1
	v_add_f64 v[27:28], v[33:34], -v[35:36]
	s_delay_alu instid0(VALU_DEP_3) | instskip(NEXT) | instid1(VALU_DEP_2)
	v_fma_f64 v[35:36], v[37:38], s[44:45], -v[39:40]
	v_add_f64 v[27:28], v[29:30], -v[27:28]
	s_delay_alu instid0(VALU_DEP_2) | instskip(NEXT) | instid1(VALU_DEP_2)
	v_fma_f64 v[29:30], v[37:38], s[46:47], v[35:36]
	v_add_f64 v[9:10], v[9:10], v[27:28]
	s_delay_alu instid0(VALU_DEP_2) | instskip(NEXT) | instid1(VALU_DEP_2)
	v_add_f64 v[27:28], v[39:40], v[29:30]
	v_add_f64 v[35:36], v[33:34], v[9:10]
	s_delay_alu instid0(VALU_DEP_2) | instskip(NEXT) | instid1(VALU_DEP_2)
	v_add_f64 v[39:40], v[27:28], -v[39:40]
	v_add_f64 v[37:38], v[27:28], v[35:36]
	v_add_f64 v[33:34], v[35:36], -v[33:34]
	s_delay_alu instid0(VALU_DEP_3) | instskip(NEXT) | instid1(VALU_DEP_3)
	v_add_f64 v[29:30], v[29:30], -v[39:40]
	v_add_f64 v[41:42], v[37:38], -v[27:28]
	s_delay_alu instid0(VALU_DEP_3) | instskip(NEXT) | instid1(VALU_DEP_2)
	v_add_f64 v[9:10], v[9:10], -v[33:34]
	v_add_f64 v[43:44], v[37:38], -v[41:42]
	;; [unrolled: 1-line block ×3, first 2 shown]
	s_delay_alu instid0(VALU_DEP_3) | instskip(NEXT) | instid1(VALU_DEP_3)
	v_add_f64 v[35:36], v[29:30], v[9:10]
	v_add_f64 v[27:28], v[27:28], -v[43:44]
	s_delay_alu instid0(VALU_DEP_1) | instskip(NEXT) | instid1(VALU_DEP_3)
	v_add_f64 v[27:28], v[33:34], v[27:28]
	v_add_f64 v[33:34], v[35:36], -v[29:30]
	s_delay_alu instid0(VALU_DEP_2) | instskip(NEXT) | instid1(VALU_DEP_2)
	v_add_f64 v[27:28], v[35:36], v[27:28]
	v_add_f64 v[35:36], v[35:36], -v[33:34]
	v_add_f64 v[9:10], v[9:10], -v[33:34]
	s_delay_alu instid0(VALU_DEP_3) | instskip(NEXT) | instid1(VALU_DEP_3)
	v_add_f64 v[39:40], v[37:38], v[27:28]
	v_add_f64 v[29:30], v[29:30], -v[35:36]
	s_delay_alu instid0(VALU_DEP_2) | instskip(NEXT) | instid1(VALU_DEP_2)
	v_add_f64 v[33:34], v[39:40], -v[37:38]
	v_add_f64 v[9:10], v[9:10], v[29:30]
	v_mov_b32_e32 v29, 0
	v_mov_b32_e32 v30, 0x7ff80000
	s_delay_alu instid0(VALU_DEP_4) | instskip(NEXT) | instid1(VALU_DEP_1)
	v_add_f64 v[27:28], v[27:28], -v[33:34]
	v_add_f64 v[9:10], v[9:10], v[27:28]
	s_delay_alu instid0(VALU_DEP_1) | instskip(NEXT) | instid1(VALU_DEP_1)
	v_add_f64 v[9:10], v[39:40], v[9:10]
	v_dual_cndmask_b32 v9, v9, v31 :: v_dual_cndmask_b32 v10, v10, v32
	v_cmp_ngt_f64_e32 vcc_lo, 0, v[31:32]
	s_delay_alu instid0(VALU_DEP_2) | instskip(SKIP_1) | instid1(VALU_DEP_4)
	v_cndmask_b32_e32 v10, 0x7ff80000, v10, vcc_lo
	v_cmp_nge_f64_e32 vcc_lo, 0, v[31:32]
	v_cndmask_b32_e32 v27, 0, v9, vcc_lo
	v_cmp_neq_f64_e32 vcc_lo, 0, v[31:32]
	s_delay_alu instid0(VALU_DEP_4)
	v_cndmask_b32_e32 v28, 0xfff00000, v10, vcc_lo
.LBB198_46:                             ;   in Loop: Header=BB198_4 Depth=1
	s_or_b32 exec_lo, exec_lo, s6
                                        ; implicit-def: $vgpr9_vgpr10
                                        ; implicit-def: $vgpr31_vgpr32
	s_delay_alu instid0(SALU_CYCLE_1)
	s_mov_b32 s6, exec_lo
	v_cmpx_o_f64_e32 v[1:2], v[3:4]
	s_xor_b32 s91, exec_lo, s6
	s_cbranch_execz .LBB198_74
; %bb.47:                               ;   in Loop: Header=BB198_4 Depth=1
	v_cmp_lt_f64_e64 s6, |v[1:2]|, |v[3:4]|
	v_and_b32_e32 v11, 0x7fffffff, v2
	v_dual_mov_b32 v33, v3 :: v_dual_and_b32 v18, 0x7fffffff, v4
                                        ; implicit-def: $vgpr9_vgpr10
                                        ; implicit-def: $vgpr31_vgpr32
	s_mov_b32 s7, exec_lo
	s_delay_alu instid0(VALU_DEP_1) | instskip(NEXT) | instid1(VALU_DEP_2)
	v_cndmask_b32_e64 v36, v18, v11, s6
	v_cndmask_b32_e64 v35, v33, v1, s6
	s_delay_alu instid0(VALU_DEP_1)
	v_cmpx_nlt_f64_e32 s[20:21], v[35:36]
	s_xor_b32 s22, exec_lo, s7
	s_cbranch_execz .LBB198_71
; %bb.48:                               ;   in Loop: Header=BB198_4 Depth=1
	v_cndmask_b32_e64 v38, v11, v18, s6
	v_cndmask_b32_e64 v37, v1, v33, s6
                                        ; implicit-def: $vgpr9_vgpr10
                                        ; implicit-def: $vgpr31_vgpr32
	s_mov_b32 s7, exec_lo
	s_delay_alu instid0(VALU_DEP_1)
	v_cmpx_neq_f64_e32 1.0, v[37:38]
	s_xor_b32 s23, exec_lo, s7
	s_cbranch_execz .LBB198_64
; %bb.49:                               ;   in Loop: Header=BB198_4 Depth=1
	v_max_f64 v[9:10], v[35:36], v[35:36]
	v_max_f64 v[31:32], v[37:38], v[37:38]
	s_mov_b32 s8, 0xc57e649a
	s_mov_b32 s9, 0x4a511b0e
	s_delay_alu instid0(VALU_DEP_1) | instskip(SKIP_1) | instid1(VALU_DEP_2)
	v_min_f64 v[33:34], v[31:32], v[9:10]
	v_max_f64 v[9:10], v[31:32], v[9:10]
                                        ; implicit-def: $vgpr31_vgpr32
	v_cmp_ngt_f64_e32 vcc_lo, s[14:15], v[33:34]
	s_delay_alu instid0(VALU_DEP_2) | instskip(NEXT) | instid1(VALU_DEP_1)
	v_cmp_nlt_f64_e64 s7, s[8:9], v[9:10]
                                        ; implicit-def: $vgpr9_vgpr10
	s_and_b32 s7, s7, vcc_lo
	s_delay_alu instid0(SALU_CYCLE_1) | instskip(NEXT) | instid1(SALU_CYCLE_1)
	s_and_saveexec_b32 s8, s7
	s_xor_b32 s24, exec_lo, s8
	s_cbranch_execz .LBB198_61
; %bb.50:                               ;   in Loop: Header=BB198_4 Depth=1
                                        ; implicit-def: $vgpr9_vgpr10
                                        ; implicit-def: $vgpr31_vgpr32
	s_mov_b32 s7, exec_lo
	v_cmpx_le_f64_e32 1.0, v[37:38]
	s_xor_b32 s8, exec_lo, s7
	s_cbranch_execz .LBB198_52
; %bb.51:                               ;   in Loop: Header=BB198_4 Depth=1
	v_add_f64 v[9:10], v[37:38], -1.0
	v_add_f64 v[31:32], v[37:38], 1.0
	s_mov_b32 s101, s27
	s_mov_b32 s16, s88
	v_cmp_gt_i32_e64 s7, 0, v2
	v_cmp_class_f64_e64 s10, v[1:2], 0x204
	v_cmp_class_f64_e64 s9, v[3:4], 0x204
	s_delay_alu instid0(VALU_DEP_4) | instskip(NEXT) | instid1(VALU_DEP_1)
	v_mul_f64 v[9:10], v[9:10], v[31:32]
	v_fma_f64 v[10:11], v[35:36], v[35:36], v[9:10]
	s_delay_alu instid0(VALU_DEP_1) | instskip(NEXT) | instid1(VALU_DEP_1)
	v_add_f64 v[31:32], v[10:11], 1.0
	v_frexp_mant_f64_e32 v[33:34], v[31:32]
	v_frexp_exp_i32_f64_e32 v9, v[31:32]
	v_add_f64 v[35:36], v[31:32], -1.0
	s_delay_alu instid0(VALU_DEP_3) | instskip(NEXT) | instid1(VALU_DEP_2)
	v_cmp_gt_f64_e32 vcc_lo, s[26:27], v[33:34]
	v_add_f64 v[33:34], v[35:36], -v[31:32]
	v_add_f64 v[35:36], v[10:11], -v[35:36]
	v_subrev_co_ci_u32_e32 v9, vcc_lo, 0, v9, vcc_lo
	s_delay_alu instid0(VALU_DEP_3) | instskip(NEXT) | instid1(VALU_DEP_2)
	v_add_f64 v[33:34], v[33:34], 1.0
	v_sub_nc_u32_e32 v18, 0, v9
	s_delay_alu instid0(VALU_DEP_1) | instskip(NEXT) | instid1(VALU_DEP_3)
	v_ldexp_f64 v[31:32], v[31:32], v18
	v_add_f64 v[33:34], v[35:36], v[33:34]
	s_delay_alu instid0(VALU_DEP_2) | instskip(SKIP_1) | instid1(VALU_DEP_3)
	v_add_f64 v[37:38], v[31:32], 1.0
	v_add_f64 v[43:44], v[31:32], -1.0
	v_ldexp_f64 v[33:34], v[33:34], v18
	v_cndmask_b32_e64 v18, 0x54442d18, v59, s7
	s_delay_alu instid0(VALU_DEP_4) | instskip(NEXT) | instid1(VALU_DEP_4)
	v_add_f64 v[35:36], v[37:38], -1.0
	v_add_f64 v[45:46], v[43:44], 1.0
	s_delay_alu instid0(VALU_DEP_2) | instskip(NEXT) | instid1(VALU_DEP_2)
	v_add_f64 v[35:36], v[31:32], -v[35:36]
	v_add_f64 v[31:32], v[31:32], -v[45:46]
	s_delay_alu instid0(VALU_DEP_2) | instskip(NEXT) | instid1(VALU_DEP_2)
	v_add_f64 v[35:36], v[33:34], v[35:36]
	v_add_f64 v[31:32], v[33:34], v[31:32]
	s_delay_alu instid0(VALU_DEP_2) | instskip(NEXT) | instid1(VALU_DEP_2)
	v_add_f64 v[39:40], v[37:38], v[35:36]
	v_add_f64 v[45:46], v[43:44], v[31:32]
	s_delay_alu instid0(VALU_DEP_2) | instskip(SKIP_1) | instid1(VALU_DEP_2)
	v_rcp_f64_e32 v[41:42], v[39:40]
	v_add_f64 v[37:38], v[39:40], -v[37:38]
	v_add_f64 v[43:44], v[45:46], -v[43:44]
	s_delay_alu instid0(VALU_DEP_2) | instskip(SKIP_3) | instid1(VALU_DEP_2)
	v_add_f64 v[35:36], v[35:36], -v[37:38]
	s_waitcnt_depctr 0xfff
	v_fma_f64 v[47:48], -v[39:40], v[41:42], 1.0
	v_add_f64 v[31:32], v[31:32], -v[43:44]
	v_fma_f64 v[41:42], v[47:48], v[41:42], v[41:42]
	s_delay_alu instid0(VALU_DEP_1) | instskip(NEXT) | instid1(VALU_DEP_1)
	v_fma_f64 v[33:34], -v[39:40], v[41:42], 1.0
	v_fma_f64 v[33:34], v[33:34], v[41:42], v[41:42]
	s_delay_alu instid0(VALU_DEP_1) | instskip(NEXT) | instid1(VALU_DEP_1)
	v_mul_f64 v[41:42], v[45:46], v[33:34]
	v_mul_f64 v[47:48], v[39:40], v[41:42]
	s_delay_alu instid0(VALU_DEP_1) | instskip(NEXT) | instid1(VALU_DEP_1)
	v_fma_f64 v[37:38], v[41:42], v[39:40], -v[47:48]
	v_fma_f64 v[37:38], v[41:42], v[35:36], v[37:38]
	s_delay_alu instid0(VALU_DEP_1) | instskip(NEXT) | instid1(VALU_DEP_1)
	v_add_f64 v[49:50], v[47:48], v[37:38]
	v_add_f64 v[51:52], v[45:46], -v[49:50]
	v_add_f64 v[43:44], v[49:50], -v[47:48]
	v_max_f64 v[47:48], |v[3:4]|, |v[3:4]|
	s_delay_alu instid0(VALU_DEP_3) | instskip(NEXT) | instid1(VALU_DEP_3)
	v_add_f64 v[45:46], v[45:46], -v[51:52]
	v_add_f64 v[37:38], v[43:44], -v[37:38]
	s_delay_alu instid0(VALU_DEP_2) | instskip(SKIP_2) | instid1(VALU_DEP_1)
	v_add_f64 v[45:46], v[45:46], -v[49:50]
	v_max_f64 v[49:50], |v[1:2]|, |v[1:2]|
	v_cndmask_b32_e64 v1, 0x3fe921fb, v60, s7
	v_bfi_b32 v1, 0x7fffffff, v1, v4
	s_delay_alu instid0(VALU_DEP_4) | instskip(NEXT) | instid1(VALU_DEP_4)
	v_add_f64 v[31:32], v[31:32], v[45:46]
	v_max_f64 v[53:54], v[49:50], v[47:48]
	v_min_f64 v[47:48], v[49:50], v[47:48]
	s_delay_alu instid0(VALU_DEP_3) | instskip(NEXT) | instid1(VALU_DEP_1)
	v_add_f64 v[31:32], v[37:38], v[31:32]
	v_add_f64 v[37:38], v[51:52], v[31:32]
	s_delay_alu instid0(VALU_DEP_1) | instskip(SKIP_1) | instid1(VALU_DEP_2)
	v_mul_f64 v[43:44], v[33:34], v[37:38]
	v_add_f64 v[51:52], v[51:52], -v[37:38]
	v_mul_f64 v[45:46], v[39:40], v[43:44]
	s_delay_alu instid0(VALU_DEP_2) | instskip(NEXT) | instid1(VALU_DEP_2)
	v_add_f64 v[31:32], v[31:32], v[51:52]
	v_fma_f64 v[39:40], v[43:44], v[39:40], -v[45:46]
	s_delay_alu instid0(VALU_DEP_1) | instskip(SKIP_1) | instid1(VALU_DEP_2)
	v_fma_f64 v[35:36], v[43:44], v[35:36], v[39:40]
	v_div_scale_f64 v[39:40], null, v[53:54], v[53:54], v[47:48]
	v_add_f64 v[49:50], v[45:46], v[35:36]
	s_delay_alu instid0(VALU_DEP_2) | instskip(NEXT) | instid1(VALU_DEP_1)
	v_rcp_f64_e32 v[55:56], v[39:40]
	v_add_f64 v[57:58], v[37:38], -v[49:50]
	v_add_f64 v[45:46], v[49:50], -v[45:46]
	s_waitcnt_depctr 0xfff
	v_fma_f64 v[61:62], -v[39:40], v[55:56], 1.0
	v_add_f64 v[37:38], v[37:38], -v[57:58]
	v_add_f64 v[35:36], v[45:46], -v[35:36]
	s_delay_alu instid0(VALU_DEP_3) | instskip(NEXT) | instid1(VALU_DEP_3)
	v_fma_f64 v[55:56], v[55:56], v[61:62], v[55:56]
	v_add_f64 v[37:38], v[37:38], -v[49:50]
	s_delay_alu instid0(VALU_DEP_2) | instskip(NEXT) | instid1(VALU_DEP_2)
	v_fma_f64 v[49:50], -v[39:40], v[55:56], 1.0
	v_add_f64 v[31:32], v[31:32], v[37:38]
	v_div_scale_f64 v[37:38], vcc_lo, v[47:48], v[53:54], v[47:48]
	s_delay_alu instid0(VALU_DEP_3) | instskip(SKIP_1) | instid1(VALU_DEP_4)
	v_fma_f64 v[45:46], v[55:56], v[49:50], v[55:56]
	v_add_f64 v[49:50], v[41:42], v[43:44]
	v_add_f64 v[31:32], v[35:36], v[31:32]
	s_delay_alu instid0(VALU_DEP_3) | instskip(NEXT) | instid1(VALU_DEP_3)
	v_mul_f64 v[35:36], v[37:38], v[45:46]
	v_add_f64 v[41:42], v[49:50], -v[41:42]
	s_delay_alu instid0(VALU_DEP_3) | instskip(NEXT) | instid1(VALU_DEP_3)
	v_add_f64 v[31:32], v[57:58], v[31:32]
	v_fma_f64 v[37:38], -v[39:40], v[35:36], v[37:38]
	s_delay_alu instid0(VALU_DEP_3) | instskip(NEXT) | instid1(VALU_DEP_3)
	v_add_f64 v[39:40], v[43:44], -v[41:42]
	v_mul_f64 v[31:32], v[33:34], v[31:32]
	s_delay_alu instid0(VALU_DEP_3) | instskip(SKIP_1) | instid1(VALU_DEP_3)
	v_div_fmas_f64 v[33:34], v[37:38], v[45:46], v[35:36]
	v_cmp_eq_f64_e32 vcc_lo, 0x7ff00000, v[10:11]
	v_add_f64 v[31:32], v[39:40], v[31:32]
	s_delay_alu instid0(VALU_DEP_3) | instskip(NEXT) | instid1(VALU_DEP_2)
	v_div_fixup_f64 v[33:34], v[33:34], v[53:54], v[47:48]
	v_add_f64 v[35:36], v[49:50], v[31:32]
	s_delay_alu instid0(VALU_DEP_2) | instskip(NEXT) | instid1(VALU_DEP_2)
	v_mul_f64 v[37:38], v[33:34], v[33:34]
	v_mul_f64 v[39:40], v[35:36], v[35:36]
	s_delay_alu instid0(VALU_DEP_2) | instskip(NEXT) | instid1(VALU_DEP_2)
	v_fma_f64 v[41:42], v[37:38], s[50:51], s[48:49]
	v_fma_f64 v[43:44], v[39:40], s[30:31], s[28:29]
	v_mul_f64 v[45:46], v[35:36], v[39:40]
	s_delay_alu instid0(VALU_DEP_3) | instskip(NEXT) | instid1(VALU_DEP_3)
	v_fma_f64 v[41:42], v[37:38], v[41:42], s[52:53]
	v_fma_f64 v[43:44], v[39:40], v[43:44], s[36:37]
	s_delay_alu instid0(VALU_DEP_2) | instskip(NEXT) | instid1(VALU_DEP_2)
	v_fma_f64 v[41:42], v[37:38], v[41:42], s[54:55]
	v_fma_f64 v[43:44], v[39:40], v[43:44], s[38:39]
	s_delay_alu instid0(VALU_DEP_2) | instskip(NEXT) | instid1(VALU_DEP_2)
	;; [unrolled: 3-line block ×4, first 2 shown]
	v_fma_f64 v[41:42], v[37:38], v[41:42], s[60:61]
	v_fma_f64 v[39:40], v[39:40], v[43:44], s[100:101]
	v_ldexp_f64 v[43:44], v[35:36], 1
	v_add_f64 v[35:36], v[35:36], -v[49:50]
	s_delay_alu instid0(VALU_DEP_4) | instskip(NEXT) | instid1(VALU_DEP_4)
	v_fma_f64 v[41:42], v[37:38], v[41:42], s[62:63]
	v_mul_f64 v[39:40], v[45:46], v[39:40]
	v_cvt_f64_i32_e32 v[45:46], v9
	s_delay_alu instid0(VALU_DEP_4) | instskip(NEXT) | instid1(VALU_DEP_4)
	v_add_f64 v[31:32], v[31:32], -v[35:36]
	v_fma_f64 v[41:42], v[37:38], v[41:42], s[64:65]
	v_ashrrev_i32_e32 v9, 31, v2
	s_delay_alu instid0(VALU_DEP_1) | instskip(SKIP_4) | instid1(VALU_DEP_4)
	v_and_b32_e32 v2, 0x400921fb, v9
	v_add_f64 v[47:48], v[43:44], v[39:40]
	v_mul_f64 v[49:50], v[45:46], s[44:45]
	v_ldexp_f64 v[31:32], v[31:32], 1
	v_fma_f64 v[41:42], v[37:38], v[41:42], s[66:67]
	v_add_f64 v[35:36], v[47:48], -v[43:44]
	s_delay_alu instid0(VALU_DEP_4) | instskip(NEXT) | instid1(VALU_DEP_3)
	v_fma_f64 v[43:44], v[45:46], s[44:45], -v[49:50]
	v_fma_f64 v[41:42], v[37:38], v[41:42], s[68:69]
	s_delay_alu instid0(VALU_DEP_3) | instskip(NEXT) | instid1(VALU_DEP_2)
	v_add_f64 v[35:36], v[39:40], -v[35:36]
	v_fma_f64 v[39:40], v[37:38], v[41:42], s[70:71]
	s_delay_alu instid0(VALU_DEP_4) | instskip(NEXT) | instid1(VALU_DEP_3)
	v_fma_f64 v[41:42], v[45:46], s[46:47], v[43:44]
	v_add_f64 v[31:32], v[31:32], v[35:36]
	s_delay_alu instid0(VALU_DEP_3) | instskip(NEXT) | instid1(VALU_DEP_3)
	v_fma_f64 v[35:36], v[37:38], v[39:40], s[72:73]
	v_add_f64 v[39:40], v[49:50], v[41:42]
	s_delay_alu instid0(VALU_DEP_3) | instskip(NEXT) | instid1(VALU_DEP_3)
	v_add_f64 v[43:44], v[47:48], v[31:32]
	v_fma_f64 v[35:36], v[37:38], v[35:36], s[74:75]
	s_delay_alu instid0(VALU_DEP_3) | instskip(NEXT) | instid1(VALU_DEP_3)
	v_add_f64 v[49:50], v[39:40], -v[49:50]
	v_add_f64 v[45:46], v[39:40], v[43:44]
	v_add_f64 v[47:48], v[43:44], -v[47:48]
	s_delay_alu instid0(VALU_DEP_4) | instskip(NEXT) | instid1(VALU_DEP_4)
	v_fma_f64 v[35:36], v[37:38], v[35:36], s[76:77]
	v_add_f64 v[41:42], v[41:42], -v[49:50]
	s_delay_alu instid0(VALU_DEP_4) | instskip(NEXT) | instid1(VALU_DEP_4)
	v_add_f64 v[51:52], v[45:46], -v[39:40]
	v_add_f64 v[31:32], v[31:32], -v[47:48]
	s_delay_alu instid0(VALU_DEP_4) | instskip(NEXT) | instid1(VALU_DEP_3)
	v_fma_f64 v[35:36], v[37:38], v[35:36], s[78:79]
	v_add_f64 v[53:54], v[45:46], -v[51:52]
	v_add_f64 v[43:44], v[43:44], -v[51:52]
	s_delay_alu instid0(VALU_DEP_4) | instskip(NEXT) | instid1(VALU_DEP_4)
	v_add_f64 v[47:48], v[41:42], v[31:32]
	v_fma_f64 v[35:36], v[37:38], v[35:36], s[80:81]
	s_delay_alu instid0(VALU_DEP_4) | instskip(NEXT) | instid1(VALU_DEP_2)
	v_add_f64 v[39:40], v[39:40], -v[53:54]
	v_fma_f64 v[35:36], v[37:38], v[35:36], s[82:83]
	s_delay_alu instid0(VALU_DEP_2) | instskip(SKIP_1) | instid1(VALU_DEP_3)
	v_add_f64 v[39:40], v[43:44], v[39:40]
	v_add_f64 v[43:44], v[47:48], -v[41:42]
	v_fma_f64 v[35:36], v[37:38], v[35:36], s[84:85]
	s_delay_alu instid0(VALU_DEP_3) | instskip(NEXT) | instid1(VALU_DEP_3)
	v_add_f64 v[39:40], v[47:48], v[39:40]
	v_add_f64 v[47:48], v[47:48], -v[43:44]
	v_add_f64 v[31:32], v[31:32], -v[43:44]
	s_delay_alu instid0(VALU_DEP_4) | instskip(NEXT) | instid1(VALU_DEP_4)
	v_fma_f64 v[35:36], v[37:38], v[35:36], s[86:87]
	v_add_f64 v[49:50], v[45:46], v[39:40]
	s_delay_alu instid0(VALU_DEP_2) | instskip(SKIP_1) | instid1(VALU_DEP_3)
	v_mul_f64 v[35:36], v[37:38], v[35:36]
	v_add_f64 v[37:38], v[41:42], -v[47:48]
	v_add_f64 v[41:42], v[49:50], -v[45:46]
	s_delay_alu instid0(VALU_DEP_3) | instskip(NEXT) | instid1(VALU_DEP_3)
	v_fma_f64 v[33:34], v[33:34], v[35:36], v[33:34]
	v_add_f64 v[31:32], v[31:32], v[37:38]
	s_delay_alu instid0(VALU_DEP_3) | instskip(NEXT) | instid1(VALU_DEP_3)
	v_add_f64 v[35:36], v[39:40], -v[41:42]
	v_add_f64 v[37:38], -v[33:34], s[88:89]
	s_delay_alu instid0(VALU_DEP_2) | instskip(NEXT) | instid1(VALU_DEP_2)
	v_add_f64 v[31:32], v[31:32], v[35:36]
	v_cndmask_b32_e64 v34, v34, v38, s6
	s_delay_alu instid0(VALU_DEP_3) | instskip(NEXT) | instid1(VALU_DEP_1)
	v_cndmask_b32_e64 v33, v33, v37, s6
	v_add_f64 v[35:36], -v[33:34], s[16:17]
	s_delay_alu instid0(VALU_DEP_4) | instskip(SKIP_1) | instid1(VALU_DEP_3)
	v_add_f64 v[31:32], v[49:50], v[31:32]
	v_and_b32_e32 v37, 0x54442d18, v9
	v_cndmask_b32_e64 v33, v33, v35, s7
	s_delay_alu instid0(VALU_DEP_4) | instskip(SKIP_3) | instid1(VALU_DEP_2)
	v_cndmask_b32_e64 v9, v34, v36, s7
	v_cmp_nge_f64_e64 s7, -1.0, v[10:11]
                                        ; implicit-def: $vgpr35_vgpr36
	v_dual_cndmask_b32 v32, v32, v11 :: v_dual_cndmask_b32 v31, v31, v10
	v_cmp_eq_f64_e32 vcc_lo, 0, v[3:4]
	v_mul_f64 v[31:32], v[31:32], 0.5
	v_cndmask_b32_e32 v33, v33, v37, vcc_lo
	v_cndmask_b32_e32 v2, v9, v2, vcc_lo
	v_cmp_ngt_f64_e32 vcc_lo, -1.0, v[10:11]
                                        ; implicit-def: $vgpr37_vgpr38
	s_delay_alu instid0(VALU_DEP_4) | instskip(SKIP_4) | instid1(VALU_DEP_2)
	v_cndmask_b32_e64 v9, 0, v31, s7
	v_cmp_neq_f64_e64 s7, -1.0, v[10:11]
	v_cndmask_b32_e32 v34, 0x7ff80000, v32, vcc_lo
	s_and_b32 vcc_lo, s9, s10
	v_dual_cndmask_b32 v32, v2, v1 :: v_dual_cndmask_b32 v31, v33, v18
	v_cndmask_b32_e64 v10, 0xfff00000, v34, s7
.LBB198_52:                             ;   in Loop: Header=BB198_4 Depth=1
	s_and_not1_saveexec_b32 s25, s8
	s_cbranch_execz .LBB198_60
; %bb.53:                               ;   in Loop: Header=BB198_4 Depth=1
	v_mul_f64 v[9:10], v[35:36], v[35:36]
	s_mov_b32 s8, 0x66666666
	s_mov_b32 s9, 0x3fe66666
                                        ; implicit-def: $vgpr31_vgpr32
	s_mov_b32 s7, exec_lo
	s_delay_alu instid0(VALU_DEP_1) | instskip(NEXT) | instid1(VALU_DEP_1)
	v_fma_f64 v[33:34], v[37:38], v[37:38], v[9:10]
                                        ; implicit-def: $vgpr9_vgpr10
	v_cmpx_ge_f64_e32 s[8:9], v[33:34]
	s_xor_b32 s9, exec_lo, s7
	s_cbranch_execz .LBB198_55
; %bb.54:                               ;   in Loop: Header=BB198_4 Depth=1
	v_frexp_mant_f64_e32 v[9:10], v[33:34]
	v_max_f64 v[41:42], |v[1:2]|, |v[1:2]|
	s_mov_b32 s101, s27
	v_frexp_exp_i32_f64_e32 v11, v[33:34]
	s_mov_b32 s16, s88
	v_cmp_class_f64_e64 s10, v[3:4], 0x204
	v_cmp_class_f64_e64 s11, v[1:2], 0x204
	v_cmp_neq_f64_e64 s8, 0, v[33:34]
	v_cmp_gt_f64_e64 s7, s[26:27], v[9:10]
	s_delay_alu instid0(VALU_DEP_1) | instskip(NEXT) | instid1(VALU_DEP_1)
	v_cndmask_b32_e64 v18, 0x3ff00000, 2.0, s7
	v_mul_f64 v[9:10], v[9:10], v[17:18]
	s_delay_alu instid0(VALU_DEP_1) | instskip(SKIP_1) | instid1(VALU_DEP_2)
	v_add_f64 v[31:32], v[9:10], 1.0
	v_add_f64 v[39:40], v[9:10], -1.0
	v_rcp_f64_e32 v[35:36], v[31:32]
	s_waitcnt_depctr 0xfff
	v_fma_f64 v[37:38], -v[31:32], v[35:36], 1.0
	s_delay_alu instid0(VALU_DEP_1) | instskip(NEXT) | instid1(VALU_DEP_1)
	v_fma_f64 v[35:36], v[37:38], v[35:36], v[35:36]
	v_fma_f64 v[37:38], -v[31:32], v[35:36], 1.0
	s_delay_alu instid0(VALU_DEP_1) | instskip(SKIP_1) | instid1(VALU_DEP_2)
	v_fma_f64 v[35:36], v[37:38], v[35:36], v[35:36]
	v_max_f64 v[37:38], |v[3:4]|, |v[3:4]|
	v_mul_f64 v[43:44], v[39:40], v[35:36]
	s_delay_alu instid0(VALU_DEP_2) | instskip(SKIP_2) | instid1(VALU_DEP_4)
	v_max_f64 v[45:46], v[41:42], v[37:38]
	v_min_f64 v[37:38], v[41:42], v[37:38]
	v_add_f64 v[41:42], v[31:32], -1.0
	v_mul_f64 v[47:48], v[31:32], v[43:44]
	s_delay_alu instid0(VALU_DEP_3) | instskip(NEXT) | instid1(VALU_DEP_3)
	v_div_scale_f64 v[49:50], null, v[45:46], v[45:46], v[37:38]
	v_add_f64 v[9:10], v[9:10], -v[41:42]
	v_div_scale_f64 v[55:56], vcc_lo, v[37:38], v[45:46], v[37:38]
	s_delay_alu instid0(VALU_DEP_4) | instskip(NEXT) | instid1(VALU_DEP_4)
	v_fma_f64 v[31:32], v[43:44], v[31:32], -v[47:48]
	v_rcp_f64_e32 v[41:42], v[49:50]
	s_delay_alu instid0(VALU_DEP_1) | instskip(SKIP_3) | instid1(VALU_DEP_2)
	v_fma_f64 v[9:10], v[43:44], v[9:10], v[31:32]
	s_waitcnt_depctr 0xfff
	v_fma_f64 v[31:32], -v[49:50], v[41:42], 1.0
	v_add_f64 v[51:52], v[47:48], v[9:10]
	v_fma_f64 v[31:32], v[41:42], v[31:32], v[41:42]
	s_delay_alu instid0(VALU_DEP_2) | instskip(SKIP_1) | instid1(VALU_DEP_3)
	v_add_f64 v[41:42], v[39:40], -v[51:52]
	v_add_f64 v[47:48], v[51:52], -v[47:48]
	v_fma_f64 v[53:54], -v[49:50], v[31:32], 1.0
	s_delay_alu instid0(VALU_DEP_3) | instskip(NEXT) | instid1(VALU_DEP_3)
	v_add_f64 v[39:40], v[39:40], -v[41:42]
	v_add_f64 v[9:10], v[47:48], -v[9:10]
	s_delay_alu instid0(VALU_DEP_3) | instskip(NEXT) | instid1(VALU_DEP_3)
	v_fma_f64 v[31:32], v[31:32], v[53:54], v[31:32]
	v_add_f64 v[39:40], v[39:40], -v[51:52]
	s_delay_alu instid0(VALU_DEP_2) | instskip(NEXT) | instid1(VALU_DEP_2)
	v_mul_f64 v[47:48], v[55:56], v[31:32]
	v_add_f64 v[9:10], v[9:10], v[39:40]
	s_delay_alu instid0(VALU_DEP_2) | instskip(NEXT) | instid1(VALU_DEP_2)
	v_fma_f64 v[39:40], -v[49:50], v[47:48], v[55:56]
	v_add_f64 v[9:10], v[41:42], v[9:10]
	s_delay_alu instid0(VALU_DEP_2)
	v_div_fmas_f64 v[31:32], v[39:40], v[31:32], v[47:48]
	v_subrev_co_ci_u32_e64 v11, vcc_lo, 0, v11, s7
	v_cmp_eq_f64_e64 s7, 0, v[3:4]
	v_cmp_gt_i32_e32 vcc_lo, 0, v2
	v_cndmask_b32_e32 v18, 0x54442d18, v59, vcc_lo
	v_mul_f64 v[9:10], v[35:36], v[9:10]
	v_div_fixup_f64 v[31:32], v[31:32], v[45:46], v[37:38]
	s_delay_alu instid0(VALU_DEP_2) | instskip(NEXT) | instid1(VALU_DEP_2)
	v_add_f64 v[35:36], v[43:44], v[9:10]
	v_mul_f64 v[37:38], v[31:32], v[31:32]
	s_delay_alu instid0(VALU_DEP_2) | instskip(NEXT) | instid1(VALU_DEP_2)
	v_mul_f64 v[39:40], v[35:36], v[35:36]
	v_fma_f64 v[41:42], v[37:38], s[50:51], s[48:49]
	s_delay_alu instid0(VALU_DEP_2) | instskip(SKIP_1) | instid1(VALU_DEP_3)
	v_fma_f64 v[45:46], v[39:40], s[30:31], s[28:29]
	v_mul_f64 v[47:48], v[35:36], v[39:40]
	v_fma_f64 v[41:42], v[37:38], v[41:42], s[52:53]
	s_delay_alu instid0(VALU_DEP_3) | instskip(NEXT) | instid1(VALU_DEP_2)
	v_fma_f64 v[45:46], v[39:40], v[45:46], s[36:37]
	v_fma_f64 v[41:42], v[37:38], v[41:42], s[54:55]
	s_delay_alu instid0(VALU_DEP_2) | instskip(NEXT) | instid1(VALU_DEP_2)
	v_fma_f64 v[45:46], v[39:40], v[45:46], s[38:39]
	v_fma_f64 v[41:42], v[37:38], v[41:42], s[56:57]
	s_delay_alu instid0(VALU_DEP_2) | instskip(NEXT) | instid1(VALU_DEP_2)
	;; [unrolled: 3-line block ×3, first 2 shown]
	v_fma_f64 v[45:46], v[39:40], v[45:46], s[42:43]
	v_fma_f64 v[41:42], v[37:38], v[41:42], s[60:61]
	s_delay_alu instid0(VALU_DEP_2) | instskip(SKIP_2) | instid1(VALU_DEP_4)
	v_fma_f64 v[39:40], v[39:40], v[45:46], s[100:101]
	v_ldexp_f64 v[45:46], v[35:36], 1
	v_add_f64 v[35:36], v[35:36], -v[43:44]
	v_fma_f64 v[41:42], v[37:38], v[41:42], s[62:63]
	s_delay_alu instid0(VALU_DEP_4) | instskip(SKIP_1) | instid1(VALU_DEP_4)
	v_mul_f64 v[39:40], v[47:48], v[39:40]
	v_cvt_f64_i32_e32 v[47:48], v11
	v_add_f64 v[9:10], v[9:10], -v[35:36]
	v_ashrrev_i32_e32 v11, 31, v2
	v_fma_f64 v[41:42], v[37:38], v[41:42], s[64:65]
	v_add_f64 v[43:44], v[45:46], v[39:40]
	v_mul_f64 v[49:50], v[47:48], s[44:45]
	v_ldexp_f64 v[9:10], v[9:10], 1
	s_delay_alu instid0(VALU_DEP_4) | instskip(NEXT) | instid1(VALU_DEP_4)
	v_fma_f64 v[41:42], v[37:38], v[41:42], s[66:67]
	v_add_f64 v[35:36], v[43:44], -v[45:46]
	s_delay_alu instid0(VALU_DEP_4) | instskip(NEXT) | instid1(VALU_DEP_3)
	v_fma_f64 v[45:46], v[47:48], s[44:45], -v[49:50]
	v_fma_f64 v[41:42], v[37:38], v[41:42], s[68:69]
	s_delay_alu instid0(VALU_DEP_3) | instskip(NEXT) | instid1(VALU_DEP_2)
	v_add_f64 v[35:36], v[39:40], -v[35:36]
	v_fma_f64 v[39:40], v[37:38], v[41:42], s[70:71]
	s_delay_alu instid0(VALU_DEP_4) | instskip(NEXT) | instid1(VALU_DEP_3)
	v_fma_f64 v[41:42], v[47:48], s[46:47], v[45:46]
	v_add_f64 v[9:10], v[9:10], v[35:36]
	s_delay_alu instid0(VALU_DEP_3) | instskip(NEXT) | instid1(VALU_DEP_3)
	v_fma_f64 v[35:36], v[37:38], v[39:40], s[72:73]
	v_add_f64 v[39:40], v[49:50], v[41:42]
	s_delay_alu instid0(VALU_DEP_3) | instskip(NEXT) | instid1(VALU_DEP_3)
	v_add_f64 v[45:46], v[43:44], v[9:10]
	v_fma_f64 v[35:36], v[37:38], v[35:36], s[74:75]
	s_delay_alu instid0(VALU_DEP_3) | instskip(NEXT) | instid1(VALU_DEP_3)
	v_add_f64 v[49:50], v[39:40], -v[49:50]
	v_add_f64 v[47:48], v[39:40], v[45:46]
	v_add_f64 v[43:44], v[45:46], -v[43:44]
	s_delay_alu instid0(VALU_DEP_4) | instskip(NEXT) | instid1(VALU_DEP_4)
	v_fma_f64 v[35:36], v[37:38], v[35:36], s[76:77]
	v_add_f64 v[41:42], v[41:42], -v[49:50]
	s_delay_alu instid0(VALU_DEP_4) | instskip(NEXT) | instid1(VALU_DEP_4)
	v_add_f64 v[51:52], v[47:48], -v[39:40]
	v_add_f64 v[9:10], v[9:10], -v[43:44]
	s_delay_alu instid0(VALU_DEP_4) | instskip(NEXT) | instid1(VALU_DEP_3)
	v_fma_f64 v[35:36], v[37:38], v[35:36], s[78:79]
	v_add_f64 v[53:54], v[47:48], -v[51:52]
	v_add_f64 v[43:44], v[45:46], -v[51:52]
	s_delay_alu instid0(VALU_DEP_4) | instskip(NEXT) | instid1(VALU_DEP_4)
	v_add_f64 v[45:46], v[41:42], v[9:10]
	v_fma_f64 v[35:36], v[37:38], v[35:36], s[80:81]
	s_delay_alu instid0(VALU_DEP_4) | instskip(NEXT) | instid1(VALU_DEP_2)
	v_add_f64 v[39:40], v[39:40], -v[53:54]
	v_fma_f64 v[35:36], v[37:38], v[35:36], s[82:83]
	s_delay_alu instid0(VALU_DEP_2) | instskip(SKIP_1) | instid1(VALU_DEP_3)
	v_add_f64 v[39:40], v[43:44], v[39:40]
	v_add_f64 v[43:44], v[45:46], -v[41:42]
	v_fma_f64 v[35:36], v[37:38], v[35:36], s[84:85]
	s_delay_alu instid0(VALU_DEP_3) | instskip(NEXT) | instid1(VALU_DEP_3)
	v_add_f64 v[39:40], v[45:46], v[39:40]
	v_add_f64 v[45:46], v[45:46], -v[43:44]
	v_add_f64 v[9:10], v[9:10], -v[43:44]
	s_delay_alu instid0(VALU_DEP_4) | instskip(NEXT) | instid1(VALU_DEP_4)
	v_fma_f64 v[35:36], v[37:38], v[35:36], s[86:87]
	v_add_f64 v[49:50], v[47:48], v[39:40]
	s_delay_alu instid0(VALU_DEP_2) | instskip(SKIP_1) | instid1(VALU_DEP_3)
	v_mul_f64 v[35:36], v[37:38], v[35:36]
	v_add_f64 v[37:38], v[41:42], -v[45:46]
	v_add_f64 v[41:42], v[49:50], -v[47:48]
	s_delay_alu instid0(VALU_DEP_3) | instskip(NEXT) | instid1(VALU_DEP_3)
	v_fma_f64 v[31:32], v[31:32], v[35:36], v[31:32]
	v_add_f64 v[9:10], v[9:10], v[37:38]
	s_delay_alu instid0(VALU_DEP_3) | instskip(NEXT) | instid1(VALU_DEP_3)
	v_add_f64 v[35:36], v[39:40], -v[41:42]
	v_add_f64 v[37:38], -v[31:32], s[88:89]
	s_delay_alu instid0(VALU_DEP_2) | instskip(NEXT) | instid1(VALU_DEP_2)
	v_add_f64 v[9:10], v[9:10], v[35:36]
	v_cndmask_b32_e64 v32, v32, v38, s6
	s_delay_alu instid0(VALU_DEP_3) | instskip(NEXT) | instid1(VALU_DEP_1)
	v_cndmask_b32_e64 v31, v31, v37, s6
	v_add_f64 v[35:36], -v[31:32], s[16:17]
	s_delay_alu instid0(VALU_DEP_4) | instskip(NEXT) | instid1(VALU_DEP_2)
	v_add_f64 v[9:10], v[49:50], v[9:10]
	v_cndmask_b32_e32 v31, v31, v35, vcc_lo
	s_delay_alu instid0(VALU_DEP_2) | instskip(SKIP_2) | instid1(VALU_DEP_2)
	v_mul_f64 v[1:2], v[9:10], 0.5
	v_cndmask_b32_e32 v9, 0x3fe921fb, v60, vcc_lo
	v_and_b32_e32 v10, 0x400921fb, v11
	v_bfi_b32 v9, 0x7fffffff, v9, v4
	v_and_b32_e32 v37, 0x54442d18, v11
	v_cndmask_b32_e32 v11, v32, v36, vcc_lo
	s_and_b32 vcc_lo, s10, s11
                                        ; implicit-def: $vgpr35_vgpr36
	s_delay_alu instid0(VALU_DEP_1) | instskip(NEXT) | instid1(VALU_DEP_1)
	v_cndmask_b32_e64 v10, v11, v10, s7
	v_cndmask_b32_e32 v32, v10, v9, vcc_lo
	v_cndmask_b32_e64 v31, v31, v37, s7
                                        ; implicit-def: $vgpr37_vgpr38
	s_delay_alu instid0(VALU_DEP_1)
	v_cndmask_b32_e32 v31, v31, v18, vcc_lo
	v_cndmask_b32_e64 v10, 0xfff00000, v2, s8
	v_cndmask_b32_e64 v9, 0, v1, s8
.LBB198_55:                             ;   in Loop: Header=BB198_4 Depth=1
	s_and_not1_saveexec_b32 s92, s9
	s_cbranch_execz .LBB198_59
; %bb.56:                               ;   in Loop: Header=BB198_4 Depth=1
	v_dual_mov_b32 v31, v17 :: v_dual_and_b32 v18, 0x7ffffff8, v38
	v_and_b32_e32 v32, 0x7ffffff8, v36
	s_mov_b32 s93, 0
	s_delay_alu instid0(VALU_DEP_2) | instskip(SKIP_1) | instid1(VALU_DEP_3)
	v_add_f64 v[9:10], v[37:38], -v[17:18]
	v_mov_b32_e32 v37, v17
	v_add_f64 v[33:34], v[35:36], -v[31:32]
	v_mov_b32_e32 v39, v17
	v_add_f64 v[41:42], v[17:18], v[17:18]
	v_add_f64 v[49:50], v[31:32], v[31:32]
	v_mul_f64 v[35:36], v[31:32], v[31:32]
	v_and_b32_e32 v38, -8, v10
	v_and_b32_e32 v40, -8, v34
	s_delay_alu instid0(VALU_DEP_2) | instskip(SKIP_1) | instid1(VALU_DEP_3)
	v_add_f64 v[51:52], v[9:10], -v[37:38]
	v_add_f64 v[55:56], v[37:38], v[37:38]
	v_add_f64 v[53:54], v[33:34], -v[39:40]
	v_add_f64 v[57:58], v[39:40], v[39:40]
	v_mul_f64 v[9:10], v[17:18], v[17:18]
	v_mul_f64 v[47:48], v[41:42], v[37:38]
	;; [unrolled: 1-line block ×11, first 2 shown]
.LBB198_57:                             ;   Parent Loop BB198_4 Depth=1
                                        ; =>  This Inner Loop Header: Depth=2
	v_cmp_nlt_f64_e32 vcc_lo, v[9:10], v[35:36]
	v_dual_cndmask_b32 v54, v10, v36 :: v_dual_cndmask_b32 v53, v9, v35
	v_dual_cndmask_b32 v10, v36, v10 :: v_dual_cndmask_b32 v9, v35, v9
	s_delay_alu instid0(VALU_DEP_2) | instskip(NEXT) | instid1(VALU_DEP_1)
	v_cmp_nlt_f64_e64 s7, v[53:54], v[47:48]
	v_cndmask_b32_e64 v56, v54, v48, s7
	v_cndmask_b32_e64 v55, v53, v47, s7
	;; [unrolled: 1-line block ×4, first 2 shown]
	s_and_b32 s7, vcc_lo, s7
	s_delay_alu instid0(VALU_DEP_3) | instskip(NEXT) | instid1(VALU_DEP_1)
	v_cmp_nlt_f64_e64 s8, v[55:56], v[33:34]
	v_cndmask_b32_e64 v54, v56, v34, s8
	v_cndmask_b32_e64 v53, v55, v33, s8
	;; [unrolled: 1-line block ×4, first 2 shown]
	s_delay_alu instid0(VALU_DEP_3) | instskip(NEXT) | instid1(VALU_DEP_1)
	v_cmp_nlt_f64_e64 s9, v[53:54], v[45:46]
	v_cndmask_b32_e64 v56, v54, v46, s9
	v_cndmask_b32_e64 v55, v53, v45, s9
	;; [unrolled: 1-line block ×4, first 2 shown]
	s_and_b32 s8, s8, s9
	s_delay_alu instid0(VALU_DEP_3) | instskip(NEXT) | instid1(VALU_DEP_1)
	v_cmp_nlt_f64_e64 s10, v[55:56], v[31:32]
	v_cndmask_b32_e64 v54, v56, v32, s10
	v_cndmask_b32_e64 v53, v55, v31, s10
	;; [unrolled: 1-line block ×4, first 2 shown]
	s_delay_alu instid0(VALU_DEP_3) | instskip(NEXT) | instid1(VALU_DEP_1)
	v_cmp_nlt_f64_e64 s11, v[53:54], v[43:44]
	v_cndmask_b32_e64 v56, v54, v44, s11
	v_cndmask_b32_e64 v55, v53, v43, s11
	v_cndmask_b32_e64 v32, v44, v54, s11
	v_cndmask_b32_e64 v31, v43, v53, s11
	s_and_b32 s9, s10, s11
	s_delay_alu instid0(VALU_DEP_3) | instskip(NEXT) | instid1(VALU_DEP_1)
	v_cmp_nlt_f64_e64 s12, v[55:56], v[41:42]
	v_cndmask_b32_e64 v54, v56, v42, s12
	v_cndmask_b32_e64 v53, v55, v41, s12
	v_cndmask_b32_e64 v44, v42, v56, s12
	v_cndmask_b32_e64 v43, v41, v55, s12
	s_and_b32 s9, s9, s12
	;; [unrolled: 7-line block ×4, first 2 shown]
	s_delay_alu instid0(VALU_DEP_3) | instskip(NEXT) | instid1(VALU_DEP_1)
	v_cmp_nlt_f64_e64 s15, v[53:54], v[49:50]
	v_cndmask_b32_e64 v56, v54, v50, s15
	v_cndmask_b32_e64 v55, v53, v49, s15
	s_and_b32 s9, s9, s15
	v_cndmask_b32_e64 v38, v50, v54, s15
	v_cndmask_b32_e64 v37, v49, v53, s15
	s_delay_alu instid0(VALU_DEP_3) | instskip(NEXT) | instid1(VALU_DEP_1)
	v_cmp_nlt_f64_e64 s16, v[55:56], v[51:52]
	v_cndmask_b32_e64 v54, v56, v52, s16
	v_cndmask_b32_e64 v53, v55, v51, s16
	s_and_b32 s9, s9, s16
	v_cndmask_b32_e64 v50, v52, v56, s16
	s_and_b32 s8, s9, s8
	;; [unrolled: 2-line block ×3, first 2 shown]
	v_dual_mov_b32 v51, v53 :: v_dual_mov_b32 v52, v54
	s_and_b32 s7, exec_lo, s7
	s_delay_alu instid0(SALU_CYCLE_1) | instskip(NEXT) | instid1(SALU_CYCLE_1)
	s_or_b32 s93, s7, s93
	s_and_not1_b32 exec_lo, exec_lo, s93
	s_cbranch_execnz .LBB198_57
; %bb.58:                               ;   in Loop: Header=BB198_4 Depth=1
	s_or_b32 exec_lo, exec_lo, s93
	v_add_f64 v[9:10], v[9:10], -1.0
	s_mov_b32 s101, s27
	s_mov_b32 s16, s88
	v_cmp_gt_i32_e64 s7, 0, v2
	v_cmp_class_f64_e64 s9, v[1:2], 0x204
	v_cmp_class_f64_e64 s8, v[3:4], 0x204
	s_mov_b32 s14, 0x4ad4b81f
	s_mov_b32 s15, 0x358dee7a
	s_delay_alu instid0(VALU_DEP_4) | instskip(NEXT) | instid1(VALU_DEP_1)
	v_add_f64 v[9:10], v[9:10], v[35:36]
	v_add_f64 v[9:10], v[9:10], v[47:48]
	s_delay_alu instid0(VALU_DEP_1) | instskip(NEXT) | instid1(VALU_DEP_1)
	v_add_f64 v[9:10], v[9:10], v[33:34]
	v_add_f64 v[9:10], v[9:10], v[45:46]
	s_delay_alu instid0(VALU_DEP_1) | instskip(NEXT) | instid1(VALU_DEP_1)
	;; [unrolled: 3-line block ×5, first 2 shown]
	v_add_f64 v[10:11], v[53:54], v[9:10]
	v_add_f64 v[31:32], v[10:11], 1.0
	s_delay_alu instid0(VALU_DEP_1) | instskip(SKIP_2) | instid1(VALU_DEP_3)
	v_frexp_mant_f64_e32 v[33:34], v[31:32]
	v_frexp_exp_i32_f64_e32 v9, v[31:32]
	v_add_f64 v[35:36], v[31:32], -1.0
	v_cmp_gt_f64_e32 vcc_lo, s[26:27], v[33:34]
	s_delay_alu instid0(VALU_DEP_2) | instskip(SKIP_2) | instid1(VALU_DEP_3)
	v_add_f64 v[33:34], v[35:36], -v[31:32]
	v_add_f64 v[35:36], v[10:11], -v[35:36]
	v_subrev_co_ci_u32_e32 v9, vcc_lo, 0, v9, vcc_lo
	v_add_f64 v[33:34], v[33:34], 1.0
	s_delay_alu instid0(VALU_DEP_2) | instskip(NEXT) | instid1(VALU_DEP_1)
	v_sub_nc_u32_e32 v18, 0, v9
	v_ldexp_f64 v[31:32], v[31:32], v18
	s_delay_alu instid0(VALU_DEP_3) | instskip(NEXT) | instid1(VALU_DEP_2)
	v_add_f64 v[33:34], v[35:36], v[33:34]
	v_add_f64 v[37:38], v[31:32], 1.0
	v_add_f64 v[43:44], v[31:32], -1.0
	s_delay_alu instid0(VALU_DEP_3) | instskip(SKIP_1) | instid1(VALU_DEP_4)
	v_ldexp_f64 v[33:34], v[33:34], v18
	v_cndmask_b32_e64 v18, 0x54442d18, v59, s7
	v_add_f64 v[35:36], v[37:38], -1.0
	s_delay_alu instid0(VALU_DEP_4) | instskip(NEXT) | instid1(VALU_DEP_2)
	v_add_f64 v[45:46], v[43:44], 1.0
	v_add_f64 v[35:36], v[31:32], -v[35:36]
	s_delay_alu instid0(VALU_DEP_2) | instskip(NEXT) | instid1(VALU_DEP_2)
	v_add_f64 v[31:32], v[31:32], -v[45:46]
	v_add_f64 v[35:36], v[33:34], v[35:36]
	s_delay_alu instid0(VALU_DEP_2) | instskip(NEXT) | instid1(VALU_DEP_2)
	v_add_f64 v[31:32], v[33:34], v[31:32]
	v_add_f64 v[39:40], v[37:38], v[35:36]
	s_delay_alu instid0(VALU_DEP_2) | instskip(NEXT) | instid1(VALU_DEP_2)
	v_add_f64 v[45:46], v[43:44], v[31:32]
	v_rcp_f64_e32 v[41:42], v[39:40]
	v_add_f64 v[37:38], v[39:40], -v[37:38]
	s_delay_alu instid0(VALU_DEP_2) | instskip(NEXT) | instid1(VALU_DEP_2)
	v_add_f64 v[43:44], v[45:46], -v[43:44]
	v_add_f64 v[35:36], v[35:36], -v[37:38]
	s_waitcnt_depctr 0xfff
	v_fma_f64 v[47:48], -v[39:40], v[41:42], 1.0
	v_add_f64 v[31:32], v[31:32], -v[43:44]
	s_delay_alu instid0(VALU_DEP_2) | instskip(NEXT) | instid1(VALU_DEP_1)
	v_fma_f64 v[41:42], v[47:48], v[41:42], v[41:42]
	v_fma_f64 v[33:34], -v[39:40], v[41:42], 1.0
	s_delay_alu instid0(VALU_DEP_1) | instskip(NEXT) | instid1(VALU_DEP_1)
	v_fma_f64 v[33:34], v[33:34], v[41:42], v[41:42]
	v_mul_f64 v[41:42], v[45:46], v[33:34]
	s_delay_alu instid0(VALU_DEP_1) | instskip(NEXT) | instid1(VALU_DEP_1)
	v_mul_f64 v[47:48], v[39:40], v[41:42]
	v_fma_f64 v[37:38], v[41:42], v[39:40], -v[47:48]
	s_delay_alu instid0(VALU_DEP_1) | instskip(NEXT) | instid1(VALU_DEP_1)
	v_fma_f64 v[37:38], v[41:42], v[35:36], v[37:38]
	v_add_f64 v[49:50], v[47:48], v[37:38]
	s_delay_alu instid0(VALU_DEP_1) | instskip(SKIP_2) | instid1(VALU_DEP_3)
	v_add_f64 v[51:52], v[45:46], -v[49:50]
	v_add_f64 v[43:44], v[49:50], -v[47:48]
	v_max_f64 v[47:48], |v[3:4]|, |v[3:4]|
	v_add_f64 v[45:46], v[45:46], -v[51:52]
	s_delay_alu instid0(VALU_DEP_3) | instskip(NEXT) | instid1(VALU_DEP_2)
	v_add_f64 v[37:38], v[43:44], -v[37:38]
	v_add_f64 v[45:46], v[45:46], -v[49:50]
	v_max_f64 v[49:50], |v[1:2]|, |v[1:2]|
	v_cndmask_b32_e64 v1, 0x3fe921fb, v60, s7
	s_delay_alu instid0(VALU_DEP_1) | instskip(NEXT) | instid1(VALU_DEP_4)
	v_bfi_b32 v1, 0x7fffffff, v1, v4
	v_add_f64 v[31:32], v[31:32], v[45:46]
	s_delay_alu instid0(VALU_DEP_4) | instskip(SKIP_1) | instid1(VALU_DEP_3)
	v_max_f64 v[53:54], v[49:50], v[47:48]
	v_min_f64 v[47:48], v[49:50], v[47:48]
	v_add_f64 v[31:32], v[37:38], v[31:32]
	s_delay_alu instid0(VALU_DEP_1) | instskip(NEXT) | instid1(VALU_DEP_1)
	v_add_f64 v[37:38], v[51:52], v[31:32]
	v_mul_f64 v[43:44], v[33:34], v[37:38]
	v_add_f64 v[51:52], v[51:52], -v[37:38]
	s_delay_alu instid0(VALU_DEP_2) | instskip(NEXT) | instid1(VALU_DEP_2)
	v_mul_f64 v[45:46], v[39:40], v[43:44]
	v_add_f64 v[31:32], v[31:32], v[51:52]
	s_delay_alu instid0(VALU_DEP_2) | instskip(NEXT) | instid1(VALU_DEP_1)
	v_fma_f64 v[39:40], v[43:44], v[39:40], -v[45:46]
	v_fma_f64 v[35:36], v[43:44], v[35:36], v[39:40]
	v_div_scale_f64 v[39:40], null, v[53:54], v[53:54], v[47:48]
	s_delay_alu instid0(VALU_DEP_2) | instskip(NEXT) | instid1(VALU_DEP_2)
	v_add_f64 v[49:50], v[45:46], v[35:36]
	v_rcp_f64_e32 v[55:56], v[39:40]
	s_delay_alu instid0(VALU_DEP_1)
	v_add_f64 v[57:58], v[37:38], -v[49:50]
	v_add_f64 v[45:46], v[49:50], -v[45:46]
	s_waitcnt_depctr 0xfff
	v_fma_f64 v[61:62], -v[39:40], v[55:56], 1.0
	v_add_f64 v[37:38], v[37:38], -v[57:58]
	v_add_f64 v[35:36], v[45:46], -v[35:36]
	s_delay_alu instid0(VALU_DEP_3) | instskip(NEXT) | instid1(VALU_DEP_3)
	v_fma_f64 v[55:56], v[55:56], v[61:62], v[55:56]
	v_add_f64 v[37:38], v[37:38], -v[49:50]
	s_delay_alu instid0(VALU_DEP_2) | instskip(NEXT) | instid1(VALU_DEP_2)
	v_fma_f64 v[49:50], -v[39:40], v[55:56], 1.0
	v_add_f64 v[31:32], v[31:32], v[37:38]
	v_div_scale_f64 v[37:38], vcc_lo, v[47:48], v[53:54], v[47:48]
	s_delay_alu instid0(VALU_DEP_3) | instskip(SKIP_1) | instid1(VALU_DEP_4)
	v_fma_f64 v[45:46], v[55:56], v[49:50], v[55:56]
	v_add_f64 v[49:50], v[41:42], v[43:44]
	v_add_f64 v[31:32], v[35:36], v[31:32]
	s_delay_alu instid0(VALU_DEP_3) | instskip(NEXT) | instid1(VALU_DEP_3)
	v_mul_f64 v[35:36], v[37:38], v[45:46]
	v_add_f64 v[41:42], v[49:50], -v[41:42]
	s_delay_alu instid0(VALU_DEP_3) | instskip(NEXT) | instid1(VALU_DEP_3)
	v_add_f64 v[31:32], v[57:58], v[31:32]
	v_fma_f64 v[37:38], -v[39:40], v[35:36], v[37:38]
	s_delay_alu instid0(VALU_DEP_3) | instskip(NEXT) | instid1(VALU_DEP_3)
	v_add_f64 v[39:40], v[43:44], -v[41:42]
	v_mul_f64 v[31:32], v[33:34], v[31:32]
	s_delay_alu instid0(VALU_DEP_3) | instskip(SKIP_1) | instid1(VALU_DEP_3)
	v_div_fmas_f64 v[33:34], v[37:38], v[45:46], v[35:36]
	v_cmp_eq_f64_e32 vcc_lo, 0x7ff00000, v[10:11]
	v_add_f64 v[31:32], v[39:40], v[31:32]
	s_delay_alu instid0(VALU_DEP_3) | instskip(NEXT) | instid1(VALU_DEP_2)
	v_div_fixup_f64 v[33:34], v[33:34], v[53:54], v[47:48]
	v_add_f64 v[35:36], v[49:50], v[31:32]
	s_delay_alu instid0(VALU_DEP_2) | instskip(NEXT) | instid1(VALU_DEP_2)
	v_mul_f64 v[37:38], v[33:34], v[33:34]
	v_mul_f64 v[39:40], v[35:36], v[35:36]
	s_delay_alu instid0(VALU_DEP_2) | instskip(NEXT) | instid1(VALU_DEP_2)
	v_fma_f64 v[41:42], v[37:38], s[50:51], s[48:49]
	v_fma_f64 v[43:44], v[39:40], s[30:31], s[28:29]
	v_mul_f64 v[45:46], v[35:36], v[39:40]
	s_delay_alu instid0(VALU_DEP_3) | instskip(NEXT) | instid1(VALU_DEP_3)
	v_fma_f64 v[41:42], v[37:38], v[41:42], s[52:53]
	v_fma_f64 v[43:44], v[39:40], v[43:44], s[36:37]
	s_delay_alu instid0(VALU_DEP_2) | instskip(NEXT) | instid1(VALU_DEP_2)
	v_fma_f64 v[41:42], v[37:38], v[41:42], s[54:55]
	v_fma_f64 v[43:44], v[39:40], v[43:44], s[38:39]
	s_delay_alu instid0(VALU_DEP_2) | instskip(NEXT) | instid1(VALU_DEP_2)
	;; [unrolled: 3-line block ×4, first 2 shown]
	v_fma_f64 v[41:42], v[37:38], v[41:42], s[60:61]
	v_fma_f64 v[39:40], v[39:40], v[43:44], s[100:101]
	v_ldexp_f64 v[43:44], v[35:36], 1
	v_add_f64 v[35:36], v[35:36], -v[49:50]
	s_delay_alu instid0(VALU_DEP_4) | instskip(NEXT) | instid1(VALU_DEP_4)
	v_fma_f64 v[41:42], v[37:38], v[41:42], s[62:63]
	v_mul_f64 v[39:40], v[45:46], v[39:40]
	v_cvt_f64_i32_e32 v[45:46], v9
	s_delay_alu instid0(VALU_DEP_4) | instskip(NEXT) | instid1(VALU_DEP_4)
	v_add_f64 v[31:32], v[31:32], -v[35:36]
	v_fma_f64 v[41:42], v[37:38], v[41:42], s[64:65]
	v_ashrrev_i32_e32 v9, 31, v2
	s_delay_alu instid0(VALU_DEP_1) | instskip(SKIP_4) | instid1(VALU_DEP_4)
	v_and_b32_e32 v2, 0x400921fb, v9
	v_add_f64 v[47:48], v[43:44], v[39:40]
	v_mul_f64 v[49:50], v[45:46], s[44:45]
	v_ldexp_f64 v[31:32], v[31:32], 1
	v_fma_f64 v[41:42], v[37:38], v[41:42], s[66:67]
	v_add_f64 v[35:36], v[47:48], -v[43:44]
	s_delay_alu instid0(VALU_DEP_4) | instskip(NEXT) | instid1(VALU_DEP_3)
	v_fma_f64 v[43:44], v[45:46], s[44:45], -v[49:50]
	v_fma_f64 v[41:42], v[37:38], v[41:42], s[68:69]
	s_delay_alu instid0(VALU_DEP_3) | instskip(NEXT) | instid1(VALU_DEP_2)
	v_add_f64 v[35:36], v[39:40], -v[35:36]
	v_fma_f64 v[39:40], v[37:38], v[41:42], s[70:71]
	s_delay_alu instid0(VALU_DEP_4) | instskip(NEXT) | instid1(VALU_DEP_3)
	v_fma_f64 v[41:42], v[45:46], s[46:47], v[43:44]
	v_add_f64 v[31:32], v[31:32], v[35:36]
	s_delay_alu instid0(VALU_DEP_3) | instskip(NEXT) | instid1(VALU_DEP_3)
	v_fma_f64 v[35:36], v[37:38], v[39:40], s[72:73]
	v_add_f64 v[39:40], v[49:50], v[41:42]
	s_delay_alu instid0(VALU_DEP_3) | instskip(NEXT) | instid1(VALU_DEP_3)
	v_add_f64 v[43:44], v[47:48], v[31:32]
	v_fma_f64 v[35:36], v[37:38], v[35:36], s[74:75]
	s_delay_alu instid0(VALU_DEP_3) | instskip(NEXT) | instid1(VALU_DEP_3)
	v_add_f64 v[49:50], v[39:40], -v[49:50]
	v_add_f64 v[45:46], v[39:40], v[43:44]
	v_add_f64 v[47:48], v[43:44], -v[47:48]
	s_delay_alu instid0(VALU_DEP_4) | instskip(NEXT) | instid1(VALU_DEP_4)
	v_fma_f64 v[35:36], v[37:38], v[35:36], s[76:77]
	v_add_f64 v[41:42], v[41:42], -v[49:50]
	s_delay_alu instid0(VALU_DEP_4) | instskip(NEXT) | instid1(VALU_DEP_4)
	v_add_f64 v[51:52], v[45:46], -v[39:40]
	v_add_f64 v[31:32], v[31:32], -v[47:48]
	s_delay_alu instid0(VALU_DEP_4) | instskip(NEXT) | instid1(VALU_DEP_3)
	v_fma_f64 v[35:36], v[37:38], v[35:36], s[78:79]
	v_add_f64 v[53:54], v[45:46], -v[51:52]
	v_add_f64 v[43:44], v[43:44], -v[51:52]
	s_delay_alu instid0(VALU_DEP_4) | instskip(NEXT) | instid1(VALU_DEP_4)
	v_add_f64 v[47:48], v[41:42], v[31:32]
	v_fma_f64 v[35:36], v[37:38], v[35:36], s[80:81]
	s_delay_alu instid0(VALU_DEP_4) | instskip(NEXT) | instid1(VALU_DEP_2)
	v_add_f64 v[39:40], v[39:40], -v[53:54]
	v_fma_f64 v[35:36], v[37:38], v[35:36], s[82:83]
	s_delay_alu instid0(VALU_DEP_2) | instskip(SKIP_1) | instid1(VALU_DEP_3)
	v_add_f64 v[39:40], v[43:44], v[39:40]
	v_add_f64 v[43:44], v[47:48], -v[41:42]
	v_fma_f64 v[35:36], v[37:38], v[35:36], s[84:85]
	s_delay_alu instid0(VALU_DEP_3) | instskip(NEXT) | instid1(VALU_DEP_3)
	v_add_f64 v[39:40], v[47:48], v[39:40]
	v_add_f64 v[47:48], v[47:48], -v[43:44]
	v_add_f64 v[31:32], v[31:32], -v[43:44]
	s_delay_alu instid0(VALU_DEP_4) | instskip(NEXT) | instid1(VALU_DEP_4)
	v_fma_f64 v[35:36], v[37:38], v[35:36], s[86:87]
	v_add_f64 v[49:50], v[45:46], v[39:40]
	s_delay_alu instid0(VALU_DEP_2) | instskip(SKIP_1) | instid1(VALU_DEP_3)
	v_mul_f64 v[35:36], v[37:38], v[35:36]
	v_add_f64 v[37:38], v[41:42], -v[47:48]
	v_add_f64 v[41:42], v[49:50], -v[45:46]
	s_delay_alu instid0(VALU_DEP_3) | instskip(NEXT) | instid1(VALU_DEP_3)
	v_fma_f64 v[33:34], v[33:34], v[35:36], v[33:34]
	v_add_f64 v[31:32], v[31:32], v[37:38]
	s_delay_alu instid0(VALU_DEP_3) | instskip(NEXT) | instid1(VALU_DEP_3)
	v_add_f64 v[35:36], v[39:40], -v[41:42]
	v_add_f64 v[37:38], -v[33:34], s[88:89]
	s_delay_alu instid0(VALU_DEP_2) | instskip(NEXT) | instid1(VALU_DEP_2)
	v_add_f64 v[31:32], v[31:32], v[35:36]
	v_cndmask_b32_e64 v34, v34, v38, s6
	s_delay_alu instid0(VALU_DEP_3) | instskip(NEXT) | instid1(VALU_DEP_1)
	v_cndmask_b32_e64 v33, v33, v37, s6
	v_add_f64 v[35:36], -v[33:34], s[16:17]
	s_delay_alu instid0(VALU_DEP_4) | instskip(SKIP_1) | instid1(VALU_DEP_3)
	v_add_f64 v[31:32], v[49:50], v[31:32]
	v_and_b32_e32 v37, 0x54442d18, v9
	v_cndmask_b32_e64 v33, v33, v35, s7
	s_delay_alu instid0(VALU_DEP_4) | instskip(SKIP_3) | instid1(VALU_DEP_2)
	v_cndmask_b32_e64 v9, v34, v36, s7
	v_cmp_nge_f64_e64 s7, -1.0, v[10:11]
	v_dual_cndmask_b32 v32, v32, v11 :: v_dual_cndmask_b32 v31, v31, v10
	v_cmp_eq_f64_e32 vcc_lo, 0, v[3:4]
	v_mul_f64 v[31:32], v[31:32], 0.5
	v_cndmask_b32_e32 v33, v33, v37, vcc_lo
	v_cndmask_b32_e32 v2, v9, v2, vcc_lo
	v_cmp_ngt_f64_e32 vcc_lo, -1.0, v[10:11]
	s_delay_alu instid0(VALU_DEP_4) | instskip(SKIP_4) | instid1(VALU_DEP_2)
	v_cndmask_b32_e64 v9, 0, v31, s7
	v_cmp_neq_f64_e64 s7, -1.0, v[10:11]
	v_cndmask_b32_e32 v34, 0x7ff80000, v32, vcc_lo
	s_and_b32 vcc_lo, s8, s9
	v_dual_cndmask_b32 v32, v2, v1 :: v_dual_cndmask_b32 v31, v33, v18
	v_cndmask_b32_e64 v10, 0xfff00000, v34, s7
.LBB198_59:                             ;   in Loop: Header=BB198_4 Depth=1
	s_or_b32 exec_lo, exec_lo, s92
.LBB198_60:                             ;   in Loop: Header=BB198_4 Depth=1
	s_delay_alu instid0(SALU_CYCLE_1)
	s_or_b32 exec_lo, exec_lo, s25
.LBB198_61:                             ;   in Loop: Header=BB198_4 Depth=1
	s_and_not1_saveexec_b32 s9, s24
	s_cbranch_execz .LBB198_63
; %bb.62:                               ;   in Loop: Header=BB198_4 Depth=1
	v_max_f64 v[9:10], |v[3:4]|, |v[3:4]|
	v_max_f64 v[31:32], |v[1:2]|, |v[1:2]|
	v_cmp_class_f64_e64 s10, v[1:2], 0x204
	v_cmp_class_f64_e64 s11, v[3:4], 0x204
	s_mov_b32 s101, s27
	s_mov_b32 s16, s88
	v_cmp_eq_f64_e64 s8, 0, v[3:4]
	s_delay_alu instid0(VALU_DEP_4) | instskip(SKIP_1) | instid1(VALU_DEP_4)
	v_max_f64 v[33:34], v[31:32], v[9:10]
	v_min_f64 v[9:10], v[31:32], v[9:10]
	s_or_b32 s12, s11, s10
	s_delay_alu instid0(VALU_DEP_2) | instskip(NEXT) | instid1(VALU_DEP_1)
	v_frexp_exp_i32_f64_e32 v11, v[33:34]
	v_sub_nc_u32_e32 v18, 0, v11
	s_delay_alu instid0(VALU_DEP_1) | instskip(SKIP_1) | instid1(VALU_DEP_2)
	v_ldexp_f64 v[35:36], |v[3:4]|, v18
	v_ldexp_f64 v[37:38], |v[1:2]|, v18
	v_mul_f64 v[35:36], v[35:36], v[35:36]
	s_delay_alu instid0(VALU_DEP_1) | instskip(NEXT) | instid1(VALU_DEP_1)
	v_fma_f64 v[35:36], v[37:38], v[37:38], v[35:36]
	v_rsq_f64_e32 v[37:38], v[35:36]
	v_cmp_eq_f64_e32 vcc_lo, 0, v[35:36]
	s_waitcnt_depctr 0xfff
	v_mul_f64 v[39:40], v[35:36], v[37:38]
	v_mul_f64 v[37:38], v[37:38], 0.5
	s_delay_alu instid0(VALU_DEP_1) | instskip(NEXT) | instid1(VALU_DEP_1)
	v_fma_f64 v[41:42], -v[37:38], v[39:40], 0.5
	v_fma_f64 v[39:40], v[39:40], v[41:42], v[39:40]
	v_fma_f64 v[37:38], v[37:38], v[41:42], v[37:38]
	s_delay_alu instid0(VALU_DEP_2) | instskip(NEXT) | instid1(VALU_DEP_1)
	v_fma_f64 v[41:42], -v[39:40], v[39:40], v[35:36]
	v_fma_f64 v[37:38], v[41:42], v[37:38], v[39:40]
	s_delay_alu instid0(VALU_DEP_1) | instskip(SKIP_1) | instid1(VALU_DEP_2)
	v_dual_cndmask_b32 v36, v38, v36 :: v_dual_cndmask_b32 v35, v37, v35
	v_div_scale_f64 v[57:58], vcc_lo, v[9:10], v[33:34], v[9:10]
	v_ldexp_f64 v[35:36], v[35:36], v11
	s_delay_alu instid0(VALU_DEP_1) | instskip(NEXT) | instid1(VALU_DEP_2)
	v_cndmask_b32_e64 v38, v36, 0x7ff00000, s12
	v_cndmask_b32_e64 v37, v35, 0, s12
	s_delay_alu instid0(VALU_DEP_1) | instskip(SKIP_1) | instid1(VALU_DEP_2)
	v_frexp_mant_f64_e32 v[39:40], v[37:38]
	v_frexp_exp_i32_f64_e32 v1, v[37:38]
	v_cmp_gt_f64_e64 s7, s[26:27], v[39:40]
	s_delay_alu instid0(VALU_DEP_1) | instskip(NEXT) | instid1(VALU_DEP_1)
	v_cndmask_b32_e64 v18, 0x3ff00000, 2.0, s7
	v_mul_f64 v[39:40], v[39:40], v[17:18]
	s_delay_alu instid0(VALU_DEP_1) | instskip(SKIP_1) | instid1(VALU_DEP_2)
	v_add_f64 v[41:42], v[39:40], 1.0
	v_add_f64 v[47:48], v[39:40], -1.0
	v_rcp_f64_e32 v[43:44], v[41:42]
	v_add_f64 v[49:50], v[41:42], -1.0
	s_delay_alu instid0(VALU_DEP_1) | instskip(SKIP_2) | instid1(VALU_DEP_1)
	v_add_f64 v[39:40], v[39:40], -v[49:50]
	s_waitcnt_depctr 0xfff
	v_fma_f64 v[45:46], -v[41:42], v[43:44], 1.0
	v_fma_f64 v[43:44], v[45:46], v[43:44], v[43:44]
	s_delay_alu instid0(VALU_DEP_1) | instskip(NEXT) | instid1(VALU_DEP_1)
	v_fma_f64 v[45:46], -v[41:42], v[43:44], 1.0
	v_fma_f64 v[43:44], v[45:46], v[43:44], v[43:44]
	v_div_scale_f64 v[45:46], null, v[33:34], v[33:34], v[9:10]
	s_delay_alu instid0(VALU_DEP_2) | instskip(NEXT) | instid1(VALU_DEP_2)
	v_mul_f64 v[31:32], v[47:48], v[43:44]
	v_rcp_f64_e32 v[53:54], v[45:46]
	s_delay_alu instid0(VALU_DEP_1) | instskip(SKIP_3) | instid1(VALU_DEP_1)
	v_mul_f64 v[51:52], v[41:42], v[31:32]
	s_waitcnt_depctr 0xfff
	v_fma_f64 v[49:50], -v[45:46], v[53:54], 1.0
	v_fma_f64 v[41:42], v[31:32], v[41:42], -v[51:52]
	v_fma_f64 v[39:40], v[31:32], v[39:40], v[41:42]
	s_delay_alu instid0(VALU_DEP_3) | instskip(NEXT) | instid1(VALU_DEP_2)
	v_fma_f64 v[41:42], v[53:54], v[49:50], v[53:54]
	v_add_f64 v[49:50], v[51:52], v[39:40]
	s_delay_alu instid0(VALU_DEP_2) | instskip(NEXT) | instid1(VALU_DEP_2)
	v_fma_f64 v[53:54], -v[45:46], v[41:42], 1.0
	v_add_f64 v[55:56], v[47:48], -v[49:50]
	s_delay_alu instid0(VALU_DEP_2) | instskip(SKIP_1) | instid1(VALU_DEP_3)
	v_fma_f64 v[41:42], v[41:42], v[53:54], v[41:42]
	v_add_f64 v[51:52], v[49:50], -v[51:52]
	v_add_f64 v[47:48], v[47:48], -v[55:56]
	s_delay_alu instid0(VALU_DEP_3) | instskip(NEXT) | instid1(VALU_DEP_3)
	v_mul_f64 v[53:54], v[57:58], v[41:42]
	v_add_f64 v[39:40], v[51:52], -v[39:40]
	s_delay_alu instid0(VALU_DEP_3) | instskip(NEXT) | instid1(VALU_DEP_3)
	v_add_f64 v[47:48], v[47:48], -v[49:50]
	v_fma_f64 v[45:46], -v[45:46], v[53:54], v[57:58]
	s_delay_alu instid0(VALU_DEP_2) | instskip(NEXT) | instid1(VALU_DEP_2)
	v_add_f64 v[39:40], v[39:40], v[47:48]
	v_div_fmas_f64 v[41:42], v[45:46], v[41:42], v[53:54]
	v_subrev_co_ci_u32_e64 v1, vcc_lo, 0, v1, s7
	v_cmp_class_f64_e64 s7, v[35:36], 0x204
	v_cmp_gt_i32_e32 vcc_lo, 0, v2
	v_cndmask_b32_e32 v18, 0x3fe921fb, v60, vcc_lo
	s_delay_alu instid0(VALU_DEP_1) | instskip(SKIP_2) | instid1(VALU_DEP_2)
	v_bfi_b32 v18, 0x7fffffff, v18, v4
	v_add_f64 v[39:40], v[55:56], v[39:40]
	v_div_fixup_f64 v[9:10], v[41:42], v[33:34], v[9:10]
	v_mul_f64 v[33:34], v[43:44], v[39:40]
	s_delay_alu instid0(VALU_DEP_2) | instskip(NEXT) | instid1(VALU_DEP_2)
	v_mul_f64 v[39:40], v[9:10], v[9:10]
	v_add_f64 v[41:42], v[31:32], v[33:34]
	s_delay_alu instid0(VALU_DEP_2) | instskip(NEXT) | instid1(VALU_DEP_2)
	v_fma_f64 v[43:44], v[39:40], s[50:51], s[48:49]
	v_mul_f64 v[45:46], v[41:42], v[41:42]
	s_delay_alu instid0(VALU_DEP_2) | instskip(SKIP_1) | instid1(VALU_DEP_3)
	v_fma_f64 v[43:44], v[39:40], v[43:44], s[52:53]
	v_add_f64 v[31:32], v[41:42], -v[31:32]
	v_fma_f64 v[47:48], v[45:46], s[30:31], s[28:29]
	s_delay_alu instid0(VALU_DEP_3) | instskip(SKIP_1) | instid1(VALU_DEP_4)
	v_fma_f64 v[43:44], v[39:40], v[43:44], s[54:55]
	v_mul_f64 v[49:50], v[41:42], v[45:46]
	v_add_f64 v[31:32], v[33:34], -v[31:32]
	s_delay_alu instid0(VALU_DEP_4) | instskip(NEXT) | instid1(VALU_DEP_4)
	v_fma_f64 v[47:48], v[45:46], v[47:48], s[36:37]
	v_fma_f64 v[43:44], v[39:40], v[43:44], s[56:57]
	s_delay_alu instid0(VALU_DEP_3) | instskip(NEXT) | instid1(VALU_DEP_3)
	v_ldexp_f64 v[31:32], v[31:32], 1
	v_fma_f64 v[47:48], v[45:46], v[47:48], s[38:39]
	s_delay_alu instid0(VALU_DEP_3) | instskip(NEXT) | instid1(VALU_DEP_2)
	v_fma_f64 v[43:44], v[39:40], v[43:44], s[58:59]
	v_fma_f64 v[47:48], v[45:46], v[47:48], s[40:41]
	s_delay_alu instid0(VALU_DEP_2) | instskip(NEXT) | instid1(VALU_DEP_2)
	v_fma_f64 v[43:44], v[39:40], v[43:44], s[60:61]
	v_fma_f64 v[47:48], v[45:46], v[47:48], s[42:43]
	s_delay_alu instid0(VALU_DEP_2) | instskip(NEXT) | instid1(VALU_DEP_2)
	v_fma_f64 v[43:44], v[39:40], v[43:44], s[62:63]
	v_fma_f64 v[45:46], v[45:46], v[47:48], s[100:101]
	s_delay_alu instid0(VALU_DEP_2) | instskip(SKIP_1) | instid1(VALU_DEP_3)
	v_fma_f64 v[43:44], v[39:40], v[43:44], s[64:65]
	v_ldexp_f64 v[47:48], v[41:42], 1
	v_mul_f64 v[45:46], v[49:50], v[45:46]
	s_delay_alu instid0(VALU_DEP_3) | instskip(SKIP_2) | instid1(VALU_DEP_1)
	v_fma_f64 v[43:44], v[39:40], v[43:44], s[66:67]
	v_cvt_f64_i32_e32 v[49:50], v1
	v_ashrrev_i32_e32 v1, 31, v2
	v_dual_cndmask_b32 v2, 0x54442d18, v59 :: v_dual_and_b32 v11, 0x54442d18, v1
	v_and_b32_e32 v1, 0x400921fb, v1
	v_add_f64 v[41:42], v[47:48], v[45:46]
	v_fma_f64 v[43:44], v[39:40], v[43:44], s[68:69]
	v_mul_f64 v[51:52], v[49:50], s[44:45]
	s_delay_alu instid0(VALU_DEP_3) | instskip(NEXT) | instid1(VALU_DEP_3)
	v_add_f64 v[33:34], v[41:42], -v[47:48]
	v_fma_f64 v[43:44], v[39:40], v[43:44], s[70:71]
	s_delay_alu instid0(VALU_DEP_3) | instskip(NEXT) | instid1(VALU_DEP_3)
	v_fma_f64 v[47:48], v[49:50], s[44:45], -v[51:52]
	v_add_f64 v[33:34], v[45:46], -v[33:34]
	s_delay_alu instid0(VALU_DEP_3) | instskip(NEXT) | instid1(VALU_DEP_3)
	v_fma_f64 v[43:44], v[39:40], v[43:44], s[72:73]
	v_fma_f64 v[45:46], v[49:50], s[46:47], v[47:48]
	s_delay_alu instid0(VALU_DEP_3) | instskip(NEXT) | instid1(VALU_DEP_3)
	v_add_f64 v[31:32], v[31:32], v[33:34]
	v_fma_f64 v[33:34], v[39:40], v[43:44], s[74:75]
	s_delay_alu instid0(VALU_DEP_3) | instskip(NEXT) | instid1(VALU_DEP_3)
	v_add_f64 v[43:44], v[51:52], v[45:46]
	v_add_f64 v[47:48], v[41:42], v[31:32]
	s_delay_alu instid0(VALU_DEP_3) | instskip(NEXT) | instid1(VALU_DEP_3)
	v_fma_f64 v[33:34], v[39:40], v[33:34], s[76:77]
	v_add_f64 v[51:52], v[43:44], -v[51:52]
	s_delay_alu instid0(VALU_DEP_3) | instskip(NEXT) | instid1(VALU_DEP_3)
	v_add_f64 v[49:50], v[43:44], v[47:48]
	v_fma_f64 v[33:34], v[39:40], v[33:34], s[78:79]
	v_add_f64 v[41:42], v[47:48], -v[41:42]
	s_delay_alu instid0(VALU_DEP_4) | instskip(NEXT) | instid1(VALU_DEP_4)
	v_add_f64 v[45:46], v[45:46], -v[51:52]
	v_add_f64 v[53:54], v[49:50], -v[43:44]
	s_delay_alu instid0(VALU_DEP_4) | instskip(NEXT) | instid1(VALU_DEP_4)
	v_fma_f64 v[33:34], v[39:40], v[33:34], s[80:81]
	v_add_f64 v[31:32], v[31:32], -v[41:42]
	s_delay_alu instid0(VALU_DEP_3) | instskip(NEXT) | instid1(VALU_DEP_3)
	v_add_f64 v[55:56], v[49:50], -v[53:54]
	v_fma_f64 v[33:34], v[39:40], v[33:34], s[82:83]
	v_add_f64 v[41:42], v[47:48], -v[53:54]
	s_delay_alu instid0(VALU_DEP_4) | instskip(NEXT) | instid1(VALU_DEP_4)
	v_add_f64 v[47:48], v[45:46], v[31:32]
	v_add_f64 v[43:44], v[43:44], -v[55:56]
	s_delay_alu instid0(VALU_DEP_4) | instskip(NEXT) | instid1(VALU_DEP_2)
	v_fma_f64 v[33:34], v[39:40], v[33:34], s[84:85]
	v_add_f64 v[41:42], v[41:42], v[43:44]
	s_delay_alu instid0(VALU_DEP_2) | instskip(SKIP_1) | instid1(VALU_DEP_3)
	v_fma_f64 v[33:34], v[39:40], v[33:34], s[86:87]
	v_add_f64 v[43:44], v[47:48], -v[45:46]
	v_add_f64 v[41:42], v[47:48], v[41:42]
	s_delay_alu instid0(VALU_DEP_3) | instskip(NEXT) | instid1(VALU_DEP_3)
	v_mul_f64 v[33:34], v[39:40], v[33:34]
	v_add_f64 v[39:40], v[47:48], -v[43:44]
	v_add_f64 v[31:32], v[31:32], -v[43:44]
	s_delay_alu instid0(VALU_DEP_4) | instskip(NEXT) | instid1(VALU_DEP_4)
	v_add_f64 v[47:48], v[49:50], v[41:42]
	v_fma_f64 v[9:10], v[9:10], v[33:34], v[9:10]
	s_delay_alu instid0(VALU_DEP_4) | instskip(NEXT) | instid1(VALU_DEP_3)
	v_add_f64 v[33:34], v[45:46], -v[39:40]
	v_add_f64 v[39:40], v[47:48], -v[49:50]
	s_delay_alu instid0(VALU_DEP_3) | instskip(NEXT) | instid1(VALU_DEP_3)
	v_add_f64 v[43:44], -v[9:10], s[88:89]
	v_add_f64 v[31:32], v[31:32], v[33:34]
	s_delay_alu instid0(VALU_DEP_3) | instskip(NEXT) | instid1(VALU_DEP_3)
	v_add_f64 v[33:34], v[41:42], -v[39:40]
	v_cndmask_b32_e64 v10, v10, v44, s6
	s_delay_alu instid0(VALU_DEP_4) | instskip(NEXT) | instid1(VALU_DEP_3)
	v_cndmask_b32_e64 v9, v9, v43, s6
	v_add_f64 v[31:32], v[31:32], v[33:34]
	s_delay_alu instid0(VALU_DEP_2) | instskip(NEXT) | instid1(VALU_DEP_2)
	v_add_f64 v[33:34], -v[9:10], s[16:17]
	v_add_f64 v[31:32], v[47:48], v[31:32]
	s_delay_alu instid0(VALU_DEP_2) | instskip(SKIP_1) | instid1(VALU_DEP_2)
	v_dual_cndmask_b32 v9, v9, v33 :: v_dual_cndmask_b32 v10, v10, v34
	v_cmp_ngt_f64_e32 vcc_lo, 0, v[37:38]
	v_cndmask_b32_e64 v11, v9, v11, s8
	s_delay_alu instid0(VALU_DEP_3) | instskip(SKIP_3) | instid1(VALU_DEP_3)
	v_cndmask_b32_e64 v1, v10, v1, s8
	v_cndmask_b32_e64 v32, v32, v36, s7
	;; [unrolled: 1-line block ×3, first 2 shown]
	v_cmp_nge_f64_e64 s7, 0, v[37:38]
	v_cndmask_b32_e64 v32, v32, 0x7ff00000, s12
	s_delay_alu instid0(VALU_DEP_3) | instskip(NEXT) | instid1(VALU_DEP_2)
	v_cndmask_b32_e64 v9, v31, 0, s12
	v_cndmask_b32_e32 v10, 0x7ff80000, v32, vcc_lo
	s_and_b32 vcc_lo, s11, s10
	v_cndmask_b32_e32 v32, v1, v18, vcc_lo
	v_cndmask_b32_e32 v31, v11, v2, vcc_lo
	v_cndmask_b32_e64 v9, 0, v9, s7
	v_cmp_neq_f64_e64 s7, 0, v[37:38]
	s_delay_alu instid0(VALU_DEP_1)
	v_cndmask_b32_e64 v10, 0xfff00000, v10, s7
.LBB198_63:                             ;   in Loop: Header=BB198_4 Depth=1
	s_or_b32 exec_lo, exec_lo, s9
                                        ; implicit-def: $vgpr35_vgpr36
.LBB198_64:                             ;   in Loop: Header=BB198_4 Depth=1
	s_and_not1_saveexec_b32 s9, s23
	s_cbranch_execz .LBB198_70
; %bb.65:                               ;   in Loop: Header=BB198_4 Depth=1
	s_mov_b32 s10, 0x6a3f9475
	s_mov_b32 s11, 0x20ca2fe7
                                        ; implicit-def: $vgpr9_vgpr10
                                        ; implicit-def: $vgpr31_vgpr32
	s_mov_b32 s7, exec_lo
	v_cmpx_ngt_f64_e32 s[10:11], v[35:36]
	s_xor_b32 s10, exec_lo, s7
	s_cbranch_execz .LBB198_67
; %bb.66:                               ;   in Loop: Header=BB198_4 Depth=1
	v_mul_f64 v[9:10], v[35:36], v[35:36]
	s_mov_b32 s101, s27
	s_mov_b32 s16, s88
	v_cmp_eq_f64_e64 s8, 0, v[3:4]
	v_cmp_class_f64_e64 s11, v[3:4], 0x204
	v_cmp_class_f64_e64 s12, v[1:2], 0x204
	v_cmp_gt_i32_e64 s7, 0, v2
	v_add_f64 v[31:32], v[9:10], 1.0
	s_delay_alu instid0(VALU_DEP_1) | instskip(SKIP_2) | instid1(VALU_DEP_3)
	v_frexp_mant_f64_e32 v[33:34], v[31:32]
	v_frexp_exp_i32_f64_e32 v11, v[31:32]
	v_add_f64 v[35:36], v[31:32], -1.0
	v_cmp_gt_f64_e32 vcc_lo, s[26:27], v[33:34]
	s_delay_alu instid0(VALU_DEP_2) | instskip(SKIP_2) | instid1(VALU_DEP_3)
	v_add_f64 v[33:34], v[35:36], -v[31:32]
	v_add_f64 v[35:36], v[9:10], -v[35:36]
	v_subrev_co_ci_u32_e32 v11, vcc_lo, 0, v11, vcc_lo
	v_add_f64 v[33:34], v[33:34], 1.0
	s_delay_alu instid0(VALU_DEP_2) | instskip(NEXT) | instid1(VALU_DEP_1)
	v_sub_nc_u32_e32 v18, 0, v11
	v_ldexp_f64 v[31:32], v[31:32], v18
	s_delay_alu instid0(VALU_DEP_3) | instskip(NEXT) | instid1(VALU_DEP_2)
	v_add_f64 v[33:34], v[35:36], v[33:34]
	v_add_f64 v[37:38], v[31:32], 1.0
	v_add_f64 v[43:44], v[31:32], -1.0
	s_delay_alu instid0(VALU_DEP_3) | instskip(SKIP_1) | instid1(VALU_DEP_4)
	v_ldexp_f64 v[33:34], v[33:34], v18
	v_cndmask_b32_e64 v18, 0x54442d18, v59, s7
	v_add_f64 v[35:36], v[37:38], -1.0
	s_delay_alu instid0(VALU_DEP_4) | instskip(NEXT) | instid1(VALU_DEP_2)
	v_add_f64 v[45:46], v[43:44], 1.0
	v_add_f64 v[35:36], v[31:32], -v[35:36]
	s_delay_alu instid0(VALU_DEP_2) | instskip(NEXT) | instid1(VALU_DEP_2)
	v_add_f64 v[31:32], v[31:32], -v[45:46]
	v_add_f64 v[35:36], v[33:34], v[35:36]
	s_delay_alu instid0(VALU_DEP_2) | instskip(NEXT) | instid1(VALU_DEP_2)
	v_add_f64 v[31:32], v[33:34], v[31:32]
	v_add_f64 v[39:40], v[37:38], v[35:36]
	s_delay_alu instid0(VALU_DEP_2) | instskip(NEXT) | instid1(VALU_DEP_2)
	v_add_f64 v[45:46], v[43:44], v[31:32]
	v_rcp_f64_e32 v[41:42], v[39:40]
	v_add_f64 v[37:38], v[37:38], -v[39:40]
	s_delay_alu instid0(VALU_DEP_2) | instskip(NEXT) | instid1(VALU_DEP_2)
	v_add_f64 v[43:44], v[43:44], -v[45:46]
	v_add_f64 v[35:36], v[35:36], v[37:38]
	s_waitcnt_depctr 0xfff
	v_fma_f64 v[47:48], -v[39:40], v[41:42], 1.0
	v_add_f64 v[31:32], v[31:32], v[43:44]
	s_delay_alu instid0(VALU_DEP_2) | instskip(NEXT) | instid1(VALU_DEP_1)
	v_fma_f64 v[41:42], v[47:48], v[41:42], v[41:42]
	v_fma_f64 v[33:34], -v[39:40], v[41:42], 1.0
	s_delay_alu instid0(VALU_DEP_1) | instskip(NEXT) | instid1(VALU_DEP_1)
	v_fma_f64 v[33:34], v[33:34], v[41:42], v[41:42]
	v_mul_f64 v[41:42], v[45:46], v[33:34]
	s_delay_alu instid0(VALU_DEP_1) | instskip(NEXT) | instid1(VALU_DEP_1)
	v_mul_f64 v[47:48], v[39:40], v[41:42]
	v_fma_f64 v[37:38], v[41:42], v[39:40], -v[47:48]
	s_delay_alu instid0(VALU_DEP_1) | instskip(NEXT) | instid1(VALU_DEP_1)
	v_fma_f64 v[37:38], v[41:42], v[35:36], v[37:38]
	v_add_f64 v[49:50], v[47:48], v[37:38]
	s_delay_alu instid0(VALU_DEP_1) | instskip(SKIP_2) | instid1(VALU_DEP_3)
	v_add_f64 v[51:52], v[45:46], -v[49:50]
	v_add_f64 v[43:44], v[49:50], -v[47:48]
	v_max_f64 v[47:48], |v[3:4]|, |v[3:4]|
	v_add_f64 v[45:46], v[45:46], -v[51:52]
	s_delay_alu instid0(VALU_DEP_3) | instskip(NEXT) | instid1(VALU_DEP_2)
	v_add_f64 v[37:38], v[43:44], -v[37:38]
	v_add_f64 v[45:46], v[45:46], -v[49:50]
	v_max_f64 v[49:50], |v[1:2]|, |v[1:2]|
	s_delay_alu instid0(VALU_DEP_2) | instskip(NEXT) | instid1(VALU_DEP_2)
	v_add_f64 v[31:32], v[31:32], v[45:46]
	v_max_f64 v[53:54], v[49:50], v[47:48]
	v_min_f64 v[47:48], v[49:50], v[47:48]
	s_delay_alu instid0(VALU_DEP_3) | instskip(NEXT) | instid1(VALU_DEP_1)
	v_add_f64 v[31:32], v[37:38], v[31:32]
	v_add_f64 v[37:38], v[51:52], v[31:32]
	s_delay_alu instid0(VALU_DEP_1) | instskip(SKIP_1) | instid1(VALU_DEP_2)
	v_mul_f64 v[43:44], v[33:34], v[37:38]
	v_add_f64 v[51:52], v[51:52], -v[37:38]
	v_mul_f64 v[45:46], v[39:40], v[43:44]
	s_delay_alu instid0(VALU_DEP_2) | instskip(NEXT) | instid1(VALU_DEP_2)
	v_add_f64 v[31:32], v[31:32], v[51:52]
	v_fma_f64 v[39:40], v[43:44], v[39:40], -v[45:46]
	s_delay_alu instid0(VALU_DEP_1) | instskip(SKIP_1) | instid1(VALU_DEP_2)
	v_fma_f64 v[35:36], v[43:44], v[35:36], v[39:40]
	v_div_scale_f64 v[39:40], null, v[53:54], v[53:54], v[47:48]
	v_add_f64 v[49:50], v[45:46], v[35:36]
	s_delay_alu instid0(VALU_DEP_2) | instskip(NEXT) | instid1(VALU_DEP_1)
	v_rcp_f64_e32 v[55:56], v[39:40]
	v_add_f64 v[57:58], v[37:38], -v[49:50]
	v_add_f64 v[45:46], v[49:50], -v[45:46]
	s_waitcnt_depctr 0xfff
	v_fma_f64 v[61:62], -v[39:40], v[55:56], 1.0
	v_add_f64 v[37:38], v[37:38], -v[57:58]
	v_add_f64 v[35:36], v[45:46], -v[35:36]
	s_delay_alu instid0(VALU_DEP_3) | instskip(NEXT) | instid1(VALU_DEP_3)
	v_fma_f64 v[55:56], v[55:56], v[61:62], v[55:56]
	v_add_f64 v[37:38], v[37:38], -v[49:50]
	s_delay_alu instid0(VALU_DEP_2) | instskip(NEXT) | instid1(VALU_DEP_2)
	v_fma_f64 v[49:50], -v[39:40], v[55:56], 1.0
	v_add_f64 v[31:32], v[31:32], v[37:38]
	v_div_scale_f64 v[37:38], vcc_lo, v[47:48], v[53:54], v[47:48]
	s_delay_alu instid0(VALU_DEP_3) | instskip(SKIP_1) | instid1(VALU_DEP_4)
	v_fma_f64 v[45:46], v[55:56], v[49:50], v[55:56]
	v_add_f64 v[49:50], v[41:42], v[43:44]
	v_add_f64 v[31:32], v[35:36], v[31:32]
	s_delay_alu instid0(VALU_DEP_3) | instskip(NEXT) | instid1(VALU_DEP_3)
	v_mul_f64 v[35:36], v[37:38], v[45:46]
	v_add_f64 v[41:42], v[49:50], -v[41:42]
	s_delay_alu instid0(VALU_DEP_3) | instskip(NEXT) | instid1(VALU_DEP_3)
	v_add_f64 v[31:32], v[57:58], v[31:32]
	v_fma_f64 v[37:38], -v[39:40], v[35:36], v[37:38]
	s_delay_alu instid0(VALU_DEP_3) | instskip(NEXT) | instid1(VALU_DEP_3)
	v_add_f64 v[39:40], v[43:44], -v[41:42]
	v_mul_f64 v[31:32], v[33:34], v[31:32]
	s_delay_alu instid0(VALU_DEP_3) | instskip(SKIP_1) | instid1(VALU_DEP_3)
	v_div_fmas_f64 v[33:34], v[37:38], v[45:46], v[35:36]
	v_cmp_eq_f64_e32 vcc_lo, 0x7ff00000, v[9:10]
	v_add_f64 v[31:32], v[39:40], v[31:32]
	s_delay_alu instid0(VALU_DEP_3) | instskip(NEXT) | instid1(VALU_DEP_2)
	v_div_fixup_f64 v[33:34], v[33:34], v[53:54], v[47:48]
	v_add_f64 v[35:36], v[49:50], v[31:32]
	s_delay_alu instid0(VALU_DEP_2) | instskip(NEXT) | instid1(VALU_DEP_2)
	v_mul_f64 v[37:38], v[33:34], v[33:34]
	v_mul_f64 v[39:40], v[35:36], v[35:36]
	s_delay_alu instid0(VALU_DEP_2) | instskip(NEXT) | instid1(VALU_DEP_2)
	v_fma_f64 v[41:42], v[37:38], s[50:51], s[48:49]
	v_fma_f64 v[43:44], v[39:40], s[30:31], s[28:29]
	v_mul_f64 v[45:46], v[35:36], v[39:40]
	s_delay_alu instid0(VALU_DEP_3) | instskip(NEXT) | instid1(VALU_DEP_3)
	v_fma_f64 v[41:42], v[37:38], v[41:42], s[52:53]
	v_fma_f64 v[43:44], v[39:40], v[43:44], s[36:37]
	s_delay_alu instid0(VALU_DEP_2) | instskip(NEXT) | instid1(VALU_DEP_2)
	v_fma_f64 v[41:42], v[37:38], v[41:42], s[54:55]
	v_fma_f64 v[43:44], v[39:40], v[43:44], s[38:39]
	s_delay_alu instid0(VALU_DEP_2) | instskip(NEXT) | instid1(VALU_DEP_2)
	;; [unrolled: 3-line block ×4, first 2 shown]
	v_fma_f64 v[41:42], v[37:38], v[41:42], s[60:61]
	v_fma_f64 v[39:40], v[39:40], v[43:44], s[100:101]
	v_ldexp_f64 v[43:44], v[35:36], 1
	v_add_f64 v[35:36], v[35:36], -v[49:50]
	s_delay_alu instid0(VALU_DEP_4) | instskip(NEXT) | instid1(VALU_DEP_4)
	v_fma_f64 v[41:42], v[37:38], v[41:42], s[62:63]
	v_mul_f64 v[39:40], v[45:46], v[39:40]
	v_cvt_f64_i32_e32 v[45:46], v11
	s_delay_alu instid0(VALU_DEP_4) | instskip(NEXT) | instid1(VALU_DEP_4)
	v_add_f64 v[31:32], v[31:32], -v[35:36]
	v_fma_f64 v[41:42], v[37:38], v[41:42], s[64:65]
	v_ashrrev_i32_e32 v11, 31, v2
	v_add_f64 v[47:48], v[43:44], v[39:40]
	v_mul_f64 v[49:50], v[45:46], s[44:45]
	v_ldexp_f64 v[31:32], v[31:32], 1
	v_fma_f64 v[41:42], v[37:38], v[41:42], s[66:67]
	s_delay_alu instid0(VALU_DEP_4) | instskip(NEXT) | instid1(VALU_DEP_4)
	v_add_f64 v[35:36], v[47:48], -v[43:44]
	v_fma_f64 v[43:44], v[45:46], s[44:45], -v[49:50]
	s_delay_alu instid0(VALU_DEP_3) | instskip(NEXT) | instid1(VALU_DEP_3)
	v_fma_f64 v[41:42], v[37:38], v[41:42], s[68:69]
	v_add_f64 v[35:36], v[39:40], -v[35:36]
	s_delay_alu instid0(VALU_DEP_2) | instskip(NEXT) | instid1(VALU_DEP_4)
	v_fma_f64 v[39:40], v[37:38], v[41:42], s[70:71]
	v_fma_f64 v[41:42], v[45:46], s[46:47], v[43:44]
	s_delay_alu instid0(VALU_DEP_3) | instskip(NEXT) | instid1(VALU_DEP_3)
	v_add_f64 v[31:32], v[31:32], v[35:36]
	v_fma_f64 v[35:36], v[37:38], v[39:40], s[72:73]
	s_delay_alu instid0(VALU_DEP_3) | instskip(NEXT) | instid1(VALU_DEP_3)
	v_add_f64 v[39:40], v[49:50], v[41:42]
	v_add_f64 v[43:44], v[47:48], v[31:32]
	s_delay_alu instid0(VALU_DEP_3) | instskip(NEXT) | instid1(VALU_DEP_3)
	v_fma_f64 v[35:36], v[37:38], v[35:36], s[74:75]
	v_add_f64 v[49:50], v[39:40], -v[49:50]
	s_delay_alu instid0(VALU_DEP_3) | instskip(SKIP_1) | instid1(VALU_DEP_4)
	v_add_f64 v[45:46], v[39:40], v[43:44]
	v_add_f64 v[47:48], v[43:44], -v[47:48]
	v_fma_f64 v[35:36], v[37:38], v[35:36], s[76:77]
	s_delay_alu instid0(VALU_DEP_4) | instskip(NEXT) | instid1(VALU_DEP_4)
	v_add_f64 v[41:42], v[41:42], -v[49:50]
	v_add_f64 v[51:52], v[45:46], -v[39:40]
	s_delay_alu instid0(VALU_DEP_4) | instskip(NEXT) | instid1(VALU_DEP_4)
	v_add_f64 v[31:32], v[31:32], -v[47:48]
	v_fma_f64 v[35:36], v[37:38], v[35:36], s[78:79]
	s_delay_alu instid0(VALU_DEP_3) | instskip(SKIP_1) | instid1(VALU_DEP_4)
	v_add_f64 v[53:54], v[45:46], -v[51:52]
	v_add_f64 v[43:44], v[43:44], -v[51:52]
	v_add_f64 v[47:48], v[41:42], v[31:32]
	s_delay_alu instid0(VALU_DEP_4) | instskip(NEXT) | instid1(VALU_DEP_4)
	v_fma_f64 v[35:36], v[37:38], v[35:36], s[80:81]
	v_add_f64 v[39:40], v[39:40], -v[53:54]
	s_delay_alu instid0(VALU_DEP_2) | instskip(NEXT) | instid1(VALU_DEP_2)
	v_fma_f64 v[35:36], v[37:38], v[35:36], s[82:83]
	v_add_f64 v[39:40], v[43:44], v[39:40]
	v_add_f64 v[43:44], v[47:48], -v[41:42]
	s_delay_alu instid0(VALU_DEP_3) | instskip(NEXT) | instid1(VALU_DEP_3)
	v_fma_f64 v[35:36], v[37:38], v[35:36], s[84:85]
	v_add_f64 v[39:40], v[47:48], v[39:40]
	s_delay_alu instid0(VALU_DEP_3) | instskip(SKIP_1) | instid1(VALU_DEP_4)
	v_add_f64 v[47:48], v[47:48], -v[43:44]
	v_add_f64 v[31:32], v[31:32], -v[43:44]
	v_fma_f64 v[35:36], v[37:38], v[35:36], s[86:87]
	s_delay_alu instid0(VALU_DEP_4) | instskip(NEXT) | instid1(VALU_DEP_2)
	v_add_f64 v[49:50], v[45:46], v[39:40]
	v_mul_f64 v[35:36], v[37:38], v[35:36]
	v_add_f64 v[37:38], v[41:42], -v[47:48]
	s_delay_alu instid0(VALU_DEP_3) | instskip(NEXT) | instid1(VALU_DEP_3)
	v_add_f64 v[41:42], v[49:50], -v[45:46]
	v_fma_f64 v[33:34], v[33:34], v[35:36], v[33:34]
	s_delay_alu instid0(VALU_DEP_3) | instskip(NEXT) | instid1(VALU_DEP_3)
	v_add_f64 v[31:32], v[31:32], v[37:38]
	v_add_f64 v[35:36], v[39:40], -v[41:42]
	s_delay_alu instid0(VALU_DEP_3) | instskip(NEXT) | instid1(VALU_DEP_2)
	v_add_f64 v[37:38], -v[33:34], s[88:89]
	v_add_f64 v[31:32], v[31:32], v[35:36]
	s_delay_alu instid0(VALU_DEP_2) | instskip(NEXT) | instid1(VALU_DEP_3)
	v_cndmask_b32_e64 v34, v34, v38, s6
	v_cndmask_b32_e64 v33, v33, v37, s6
	s_delay_alu instid0(VALU_DEP_1) | instskip(NEXT) | instid1(VALU_DEP_4)
	v_add_f64 v[35:36], -v[33:34], s[16:17]
	v_add_f64 v[31:32], v[49:50], v[31:32]
	v_and_b32_e32 v37, 0x54442d18, v11
	s_delay_alu instid0(VALU_DEP_3) | instskip(NEXT) | instid1(VALU_DEP_3)
	v_cndmask_b32_e64 v33, v33, v35, s7
	v_dual_cndmask_b32 v2, v32, v10 :: v_dual_cndmask_b32 v1, v31, v9
	s_delay_alu instid0(VALU_DEP_2) | instskip(SKIP_1) | instid1(VALU_DEP_2)
	v_cndmask_b32_e64 v31, v33, v37, s8
	s_and_b32 vcc_lo, s11, s12
	v_mul_f64 v[9:10], v[1:2], 0.5
	v_and_b32_e32 v2, 0x400921fb, v11
	v_cndmask_b32_e64 v1, 0x3fe921fb, v60, s7
	v_cndmask_b32_e64 v11, v34, v36, s7
                                        ; implicit-def: $vgpr35_vgpr36
	v_cndmask_b32_e32 v31, v31, v18, vcc_lo
	s_delay_alu instid0(VALU_DEP_3) | instskip(NEXT) | instid1(VALU_DEP_3)
	v_bfi_b32 v1, 0x7fffffff, v1, v4
	v_cndmask_b32_e64 v2, v11, v2, s8
	s_delay_alu instid0(VALU_DEP_1)
	v_cndmask_b32_e32 v32, v2, v1, vcc_lo
.LBB198_67:                             ;   in Loop: Header=BB198_4 Depth=1
	s_and_not1_saveexec_b32 s8, s10
	s_cbranch_execz .LBB198_69
; %bb.68:                               ;   in Loop: Header=BB198_4 Depth=1
	v_max_f64 v[9:10], |v[3:4]|, |v[3:4]|
	v_max_f64 v[31:32], |v[1:2]|, |v[1:2]|
	s_mov_b32 s16, s88
	v_cmp_eq_f64_e64 s7, 0, v[3:4]
	v_cmp_class_f64_e64 s10, v[3:4], 0x204
	v_cmp_class_f64_e64 s11, v[1:2], 0x204
	v_ashrrev_i32_e32 v18, 31, v2
	v_max_f64 v[33:34], v[31:32], v[9:10]
	v_min_f64 v[9:10], v[31:32], v[9:10]
	s_delay_alu instid0(VALU_DEP_1) | instskip(SKIP_1) | instid1(VALU_DEP_2)
	v_div_scale_f64 v[31:32], null, v[33:34], v[33:34], v[9:10]
	v_div_scale_f64 v[41:42], vcc_lo, v[9:10], v[33:34], v[9:10]
	v_rcp_f64_e32 v[37:38], v[31:32]
	s_waitcnt_depctr 0xfff
	v_fma_f64 v[39:40], -v[31:32], v[37:38], 1.0
	s_delay_alu instid0(VALU_DEP_1) | instskip(NEXT) | instid1(VALU_DEP_1)
	v_fma_f64 v[37:38], v[37:38], v[39:40], v[37:38]
	v_fma_f64 v[39:40], -v[31:32], v[37:38], 1.0
	s_delay_alu instid0(VALU_DEP_1) | instskip(NEXT) | instid1(VALU_DEP_1)
	v_fma_f64 v[37:38], v[37:38], v[39:40], v[37:38]
	v_mul_f64 v[39:40], v[41:42], v[37:38]
	s_delay_alu instid0(VALU_DEP_1) | instskip(NEXT) | instid1(VALU_DEP_1)
	v_fma_f64 v[31:32], -v[31:32], v[39:40], v[41:42]
	v_div_fmas_f64 v[31:32], v[31:32], v[37:38], v[39:40]
	v_cmp_gt_i32_e32 vcc_lo, 0, v2
	v_and_b32_e32 v38, 0x54442d18, v18
	v_and_b32_e32 v2, 0x400921fb, v18
	v_cndmask_b32_e32 v1, 0x3fe921fb, v60, vcc_lo
	v_cndmask_b32_e32 v37, 0x54442d18, v59, vcc_lo
	s_delay_alu instid0(VALU_DEP_2) | instskip(SKIP_1) | instid1(VALU_DEP_1)
	v_bfi_b32 v1, 0x7fffffff, v1, v4
	v_div_fixup_f64 v[9:10], v[31:32], v[33:34], v[9:10]
	v_mul_f64 v[31:32], v[9:10], v[9:10]
	s_delay_alu instid0(VALU_DEP_1) | instskip(NEXT) | instid1(VALU_DEP_1)
	v_fma_f64 v[33:34], v[31:32], s[50:51], s[48:49]
	v_fma_f64 v[33:34], v[31:32], v[33:34], s[52:53]
	s_delay_alu instid0(VALU_DEP_1) | instskip(NEXT) | instid1(VALU_DEP_1)
	v_fma_f64 v[33:34], v[31:32], v[33:34], s[54:55]
	v_fma_f64 v[33:34], v[31:32], v[33:34], s[56:57]
	;; [unrolled: 3-line block ×9, first 2 shown]
	s_delay_alu instid0(VALU_DEP_1) | instskip(NEXT) | instid1(VALU_DEP_1)
	v_fma_f64 v[33:34], v[31:32], v[33:34], s[86:87]
	v_mul_f64 v[31:32], v[31:32], v[33:34]
	v_mul_f64 v[33:34], v[35:36], 0.5
	s_delay_alu instid0(VALU_DEP_2) | instskip(NEXT) | instid1(VALU_DEP_1)
	v_fma_f64 v[9:10], v[9:10], v[31:32], v[9:10]
	v_add_f64 v[31:32], -v[9:10], s[88:89]
	s_delay_alu instid0(VALU_DEP_1) | instskip(NEXT) | instid1(VALU_DEP_2)
	v_cndmask_b32_e64 v11, v10, v32, s6
	v_cndmask_b32_e64 v10, v9, v31, s6
	s_delay_alu instid0(VALU_DEP_1) | instskip(NEXT) | instid1(VALU_DEP_1)
	v_add_f64 v[31:32], -v[10:11], s[16:17]
	v_cndmask_b32_e32 v31, v10, v31, vcc_lo
	v_mul_f64 v[9:10], v[35:36], v[33:34]
	s_delay_alu instid0(VALU_DEP_3) | instskip(SKIP_1) | instid1(VALU_DEP_3)
	v_cndmask_b32_e32 v11, v11, v32, vcc_lo
	s_and_b32 vcc_lo, s10, s11
	v_cndmask_b32_e64 v18, v31, v38, s7
	s_delay_alu instid0(VALU_DEP_2) | instskip(NEXT) | instid1(VALU_DEP_2)
	v_cndmask_b32_e64 v2, v11, v2, s7
	v_cndmask_b32_e32 v31, v18, v37, vcc_lo
	s_delay_alu instid0(VALU_DEP_2)
	v_cndmask_b32_e32 v32, v2, v1, vcc_lo
.LBB198_69:                             ;   in Loop: Header=BB198_4 Depth=1
	s_or_b32 exec_lo, exec_lo, s8
.LBB198_70:                             ;   in Loop: Header=BB198_4 Depth=1
	s_delay_alu instid0(SALU_CYCLE_1)
	s_or_b32 exec_lo, exec_lo, s9
.LBB198_71:                             ;   in Loop: Header=BB198_4 Depth=1
	s_and_not1_saveexec_b32 s9, s22
	s_cbranch_execz .LBB198_73
; %bb.72:                               ;   in Loop: Header=BB198_4 Depth=1
	v_div_scale_f64 v[9:10], null, s[94:95], s[94:95], v[1:2]
	v_div_scale_f64 v[31:32], null, s[94:95], s[94:95], v[3:4]
	v_div_scale_f64 v[41:42], vcc_lo, v[1:2], s[94:95], v[1:2]
	v_max_f64 v[45:46], |v[1:2]|, |v[1:2]|
	s_mov_b32 s101, s27
	s_mov_b32 s16, s88
	s_delay_alu instid0(VALU_DEP_4) | instskip(NEXT) | instid1(VALU_DEP_3)
	v_rcp_f64_e32 v[33:34], v[9:10]
	v_rcp_f64_e32 v[35:36], v[31:32]
	s_waitcnt_depctr 0xfff
	v_fma_f64 v[37:38], -v[9:10], v[33:34], 1.0
	v_fma_f64 v[39:40], -v[31:32], v[35:36], 1.0
	s_delay_alu instid0(VALU_DEP_2) | instskip(NEXT) | instid1(VALU_DEP_2)
	v_fma_f64 v[33:34], v[33:34], v[37:38], v[33:34]
	v_fma_f64 v[35:36], v[35:36], v[39:40], v[35:36]
	s_delay_alu instid0(VALU_DEP_2) | instskip(NEXT) | instid1(VALU_DEP_2)
	v_fma_f64 v[37:38], -v[9:10], v[33:34], 1.0
	v_fma_f64 v[39:40], -v[31:32], v[35:36], 1.0
	s_delay_alu instid0(VALU_DEP_2) | instskip(SKIP_1) | instid1(VALU_DEP_3)
	v_fma_f64 v[33:34], v[33:34], v[37:38], v[33:34]
	v_div_scale_f64 v[37:38], s7, v[3:4], s[94:95], v[3:4]
	v_fma_f64 v[35:36], v[35:36], v[39:40], v[35:36]
	s_delay_alu instid0(VALU_DEP_3) | instskip(NEXT) | instid1(VALU_DEP_2)
	v_mul_f64 v[39:40], v[41:42], v[33:34]
	v_mul_f64 v[43:44], v[37:38], v[35:36]
	s_delay_alu instid0(VALU_DEP_2) | instskip(NEXT) | instid1(VALU_DEP_2)
	v_fma_f64 v[9:10], -v[9:10], v[39:40], v[41:42]
	v_fma_f64 v[31:32], -v[31:32], v[43:44], v[37:38]
	s_delay_alu instid0(VALU_DEP_2) | instskip(SKIP_1) | instid1(VALU_DEP_2)
	v_div_fmas_f64 v[9:10], v[9:10], v[33:34], v[39:40]
	s_mov_b32 vcc_lo, s7
	v_div_fmas_f64 v[31:32], v[31:32], v[35:36], v[43:44]
	s_delay_alu instid0(VALU_DEP_2) | instskip(NEXT) | instid1(VALU_DEP_2)
	v_div_fixup_f64 v[9:10], v[9:10], s[94:95], v[1:2]
	v_div_fixup_f64 v[31:32], v[31:32], s[94:95], v[3:4]
	s_delay_alu instid0(VALU_DEP_2) | instskip(NEXT) | instid1(VALU_DEP_2)
	v_cmp_class_f64_e64 s8, v[9:10], 0x204
	v_max_f64 v[33:34], |v[9:10]|, |v[31:32]|
	v_cmp_o_f64_e64 s7, v[9:10], v[31:32]
	v_cmp_class_f64_e64 s10, v[31:32], 0x204
	s_delay_alu instid0(VALU_DEP_3) | instskip(NEXT) | instid1(VALU_DEP_2)
	v_frexp_exp_i32_f64_e32 v11, v[33:34]
	s_or_b32 s10, s10, s8
	s_delay_alu instid0(VALU_DEP_1) | instskip(NEXT) | instid1(VALU_DEP_1)
	v_sub_nc_u32_e32 v18, 0, v11
	v_ldexp_f64 v[33:34], |v[31:32]|, v18
	v_ldexp_f64 v[35:36], |v[9:10]|, v18
	s_delay_alu instid0(VALU_DEP_2) | instskip(NEXT) | instid1(VALU_DEP_1)
	v_mul_f64 v[33:34], v[33:34], v[33:34]
	v_fma_f64 v[33:34], v[35:36], v[35:36], v[33:34]
	s_delay_alu instid0(VALU_DEP_1) | instskip(SKIP_4) | instid1(VALU_DEP_1)
	v_rsq_f64_e32 v[35:36], v[33:34]
	v_cmp_eq_f64_e32 vcc_lo, 0, v[33:34]
	s_waitcnt_depctr 0xfff
	v_mul_f64 v[37:38], v[33:34], v[35:36]
	v_mul_f64 v[35:36], v[35:36], 0.5
	v_fma_f64 v[39:40], -v[35:36], v[37:38], 0.5
	s_delay_alu instid0(VALU_DEP_1) | instskip(SKIP_1) | instid1(VALU_DEP_2)
	v_fma_f64 v[37:38], v[37:38], v[39:40], v[37:38]
	v_fma_f64 v[35:36], v[35:36], v[39:40], v[35:36]
	v_fma_f64 v[39:40], -v[37:38], v[37:38], v[33:34]
	s_delay_alu instid0(VALU_DEP_1) | instskip(NEXT) | instid1(VALU_DEP_1)
	v_fma_f64 v[35:36], v[39:40], v[35:36], v[37:38]
	v_dual_cndmask_b32 v34, v36, v34 :: v_dual_cndmask_b32 v33, v35, v33
	s_delay_alu instid0(VALU_DEP_1) | instskip(NEXT) | instid1(VALU_DEP_1)
	v_ldexp_f64 v[33:34], v[33:34], v11
	v_cndmask_b32_e64 v9, 0, v33, s7
	s_delay_alu instid0(VALU_DEP_2) | instskip(NEXT) | instid1(VALU_DEP_2)
	v_cndmask_b32_e64 v57, 0x7ff80000, v34, s7
	v_cndmask_b32_e64 v10, v9, 0, s10
	s_delay_alu instid0(VALU_DEP_2) | instskip(NEXT) | instid1(VALU_DEP_1)
	v_cndmask_b32_e64 v11, v57, 0x7ff00000, s10
	v_frexp_mant_f64_e32 v[31:32], v[10:11]
	s_delay_alu instid0(VALU_DEP_1) | instskip(NEXT) | instid1(VALU_DEP_1)
	v_cmp_gt_f64_e64 s8, s[26:27], v[31:32]
	v_cndmask_b32_e64 v18, 0x3ff00000, 2.0, s8
	s_delay_alu instid0(VALU_DEP_1) | instskip(SKIP_1) | instid1(VALU_DEP_2)
	v_mul_f64 v[31:32], v[31:32], v[17:18]
	v_frexp_exp_i32_f64_e32 v18, v[10:11]
	v_add_f64 v[35:36], v[31:32], 1.0
	v_add_f64 v[41:42], v[31:32], -1.0
	s_delay_alu instid0(VALU_DEP_2) | instskip(SKIP_1) | instid1(VALU_DEP_1)
	v_rcp_f64_e32 v[37:38], v[35:36]
	v_add_f64 v[47:48], v[35:36], -1.0
	v_add_f64 v[31:32], v[31:32], -v[47:48]
	s_waitcnt_depctr 0xfff
	v_fma_f64 v[39:40], -v[35:36], v[37:38], 1.0
	s_delay_alu instid0(VALU_DEP_1) | instskip(NEXT) | instid1(VALU_DEP_1)
	v_fma_f64 v[37:38], v[39:40], v[37:38], v[37:38]
	v_fma_f64 v[39:40], -v[35:36], v[37:38], 1.0
	s_delay_alu instid0(VALU_DEP_1) | instskip(SKIP_1) | instid1(VALU_DEP_2)
	v_fma_f64 v[37:38], v[39:40], v[37:38], v[37:38]
	v_max_f64 v[39:40], |v[3:4]|, |v[3:4]|
	v_mul_f64 v[43:44], v[41:42], v[37:38]
	s_delay_alu instid0(VALU_DEP_2) | instskip(SKIP_1) | instid1(VALU_DEP_3)
	v_max_f64 v[51:52], v[45:46], v[39:40]
	v_min_f64 v[39:40], v[45:46], v[39:40]
	v_mul_f64 v[49:50], v[35:36], v[43:44]
	s_delay_alu instid0(VALU_DEP_2) | instskip(NEXT) | instid1(VALU_DEP_2)
	v_div_scale_f64 v[45:46], null, v[51:52], v[51:52], v[39:40]
	v_fma_f64 v[35:36], v[43:44], v[35:36], -v[49:50]
	s_delay_alu instid0(VALU_DEP_1) | instskip(NEXT) | instid1(VALU_DEP_3)
	v_fma_f64 v[31:32], v[43:44], v[31:32], v[35:36]
	v_rcp_f64_e32 v[35:36], v[45:46]
	s_delay_alu instid0(VALU_DEP_1) | instskip(SKIP_4) | instid1(VALU_DEP_3)
	v_add_f64 v[47:48], v[49:50], v[31:32]
	s_waitcnt_depctr 0xfff
	v_fma_f64 v[53:54], -v[45:46], v[35:36], 1.0
	v_add_f64 v[55:56], v[41:42], -v[47:48]
	v_add_f64 v[49:50], v[47:48], -v[49:50]
	v_fma_f64 v[35:36], v[35:36], v[53:54], v[35:36]
	s_delay_alu instid0(VALU_DEP_3) | instskip(NEXT) | instid1(VALU_DEP_3)
	v_add_f64 v[41:42], v[41:42], -v[55:56]
	v_add_f64 v[31:32], v[49:50], -v[31:32]
	s_delay_alu instid0(VALU_DEP_3) | instskip(NEXT) | instid1(VALU_DEP_3)
	v_fma_f64 v[53:54], -v[45:46], v[35:36], 1.0
	v_add_f64 v[41:42], v[41:42], -v[47:48]
	v_div_scale_f64 v[47:48], vcc_lo, v[39:40], v[51:52], v[39:40]
	s_delay_alu instid0(VALU_DEP_3) | instskip(NEXT) | instid1(VALU_DEP_3)
	v_fma_f64 v[35:36], v[35:36], v[53:54], v[35:36]
	v_add_f64 v[31:32], v[31:32], v[41:42]
	s_delay_alu instid0(VALU_DEP_2) | instskip(NEXT) | instid1(VALU_DEP_2)
	v_mul_f64 v[41:42], v[47:48], v[35:36]
	v_add_f64 v[31:32], v[55:56], v[31:32]
	s_delay_alu instid0(VALU_DEP_2) | instskip(NEXT) | instid1(VALU_DEP_2)
	v_fma_f64 v[45:46], -v[45:46], v[41:42], v[47:48]
	v_mul_f64 v[31:32], v[37:38], v[31:32]
	s_delay_alu instid0(VALU_DEP_2) | instskip(SKIP_2) | instid1(VALU_DEP_4)
	v_div_fmas_f64 v[35:36], v[45:46], v[35:36], v[41:42]
	v_subrev_co_ci_u32_e64 v18, vcc_lo, 0, v18, s8
	v_cmp_class_f64_e64 s8, v[1:2], 0x204
	v_add_f64 v[37:38], v[43:44], v[31:32]
	s_delay_alu instid0(VALU_DEP_4) | instskip(NEXT) | instid1(VALU_DEP_2)
	v_div_fixup_f64 v[35:36], v[35:36], v[51:52], v[39:40]
	v_mul_f64 v[39:40], v[37:38], v[37:38]
	s_delay_alu instid0(VALU_DEP_2) | instskip(NEXT) | instid1(VALU_DEP_2)
	v_mul_f64 v[41:42], v[35:36], v[35:36]
	v_fma_f64 v[45:46], v[39:40], s[30:31], s[28:29]
	v_mul_f64 v[49:50], v[37:38], v[39:40]
	s_delay_alu instid0(VALU_DEP_3) | instskip(NEXT) | instid1(VALU_DEP_3)
	v_fma_f64 v[47:48], v[41:42], s[50:51], s[48:49]
	v_fma_f64 v[45:46], v[39:40], v[45:46], s[36:37]
	s_delay_alu instid0(VALU_DEP_2) | instskip(NEXT) | instid1(VALU_DEP_2)
	v_fma_f64 v[47:48], v[41:42], v[47:48], s[52:53]
	v_fma_f64 v[45:46], v[39:40], v[45:46], s[38:39]
	s_delay_alu instid0(VALU_DEP_2) | instskip(NEXT) | instid1(VALU_DEP_2)
	;; [unrolled: 3-line block ×4, first 2 shown]
	v_fma_f64 v[47:48], v[41:42], v[47:48], s[58:59]
	v_fma_f64 v[39:40], v[39:40], v[45:46], s[100:101]
	s_delay_alu instid0(VALU_DEP_2) | instskip(SKIP_2) | instid1(VALU_DEP_4)
	v_fma_f64 v[45:46], v[41:42], v[47:48], s[60:61]
	v_ldexp_f64 v[47:48], v[37:38], 1
	v_add_f64 v[37:38], v[37:38], -v[43:44]
	v_mul_f64 v[39:40], v[49:50], v[39:40]
	v_cvt_f64_i32_e32 v[49:50], v18
	v_ashrrev_i32_e32 v18, 31, v2
	v_fma_f64 v[45:46], v[41:42], v[45:46], s[62:63]
	v_add_f64 v[31:32], v[31:32], -v[37:38]
	v_add_f64 v[43:44], v[47:48], v[39:40]
	v_mul_f64 v[51:52], v[49:50], s[44:45]
	s_delay_alu instid0(VALU_DEP_4) | instskip(NEXT) | instid1(VALU_DEP_4)
	v_fma_f64 v[45:46], v[41:42], v[45:46], s[64:65]
	v_ldexp_f64 v[31:32], v[31:32], 1
	s_delay_alu instid0(VALU_DEP_4) | instskip(NEXT) | instid1(VALU_DEP_4)
	v_add_f64 v[37:38], v[43:44], -v[47:48]
	v_fma_f64 v[47:48], v[49:50], s[44:45], -v[51:52]
	s_delay_alu instid0(VALU_DEP_4) | instskip(NEXT) | instid1(VALU_DEP_3)
	v_fma_f64 v[45:46], v[41:42], v[45:46], s[66:67]
	v_add_f64 v[37:38], v[39:40], -v[37:38]
	s_delay_alu instid0(VALU_DEP_2) | instskip(NEXT) | instid1(VALU_DEP_4)
	v_fma_f64 v[39:40], v[41:42], v[45:46], s[68:69]
	v_fma_f64 v[45:46], v[49:50], s[46:47], v[47:48]
	s_delay_alu instid0(VALU_DEP_3) | instskip(NEXT) | instid1(VALU_DEP_3)
	v_add_f64 v[31:32], v[31:32], v[37:38]
	v_fma_f64 v[37:38], v[41:42], v[39:40], s[70:71]
	s_delay_alu instid0(VALU_DEP_3) | instskip(NEXT) | instid1(VALU_DEP_3)
	v_add_f64 v[39:40], v[51:52], v[45:46]
	v_add_f64 v[47:48], v[43:44], v[31:32]
	s_delay_alu instid0(VALU_DEP_3) | instskip(NEXT) | instid1(VALU_DEP_3)
	v_fma_f64 v[37:38], v[41:42], v[37:38], s[72:73]
	v_add_f64 v[51:52], v[39:40], -v[51:52]
	s_delay_alu instid0(VALU_DEP_3) | instskip(SKIP_1) | instid1(VALU_DEP_4)
	v_add_f64 v[49:50], v[39:40], v[47:48]
	v_add_f64 v[43:44], v[47:48], -v[43:44]
	v_fma_f64 v[37:38], v[41:42], v[37:38], s[74:75]
	s_delay_alu instid0(VALU_DEP_4) | instskip(NEXT) | instid1(VALU_DEP_4)
	v_add_f64 v[45:46], v[45:46], -v[51:52]
	v_add_f64 v[53:54], v[49:50], -v[39:40]
	s_delay_alu instid0(VALU_DEP_4) | instskip(NEXT) | instid1(VALU_DEP_4)
	v_add_f64 v[31:32], v[31:32], -v[43:44]
	v_fma_f64 v[37:38], v[41:42], v[37:38], s[76:77]
	s_delay_alu instid0(VALU_DEP_3) | instskip(SKIP_1) | instid1(VALU_DEP_4)
	v_add_f64 v[55:56], v[49:50], -v[53:54]
	v_add_f64 v[43:44], v[47:48], -v[53:54]
	v_add_f64 v[47:48], v[45:46], v[31:32]
	s_delay_alu instid0(VALU_DEP_4) | instskip(NEXT) | instid1(VALU_DEP_4)
	v_fma_f64 v[37:38], v[41:42], v[37:38], s[78:79]
	v_add_f64 v[39:40], v[39:40], -v[55:56]
	s_delay_alu instid0(VALU_DEP_2) | instskip(NEXT) | instid1(VALU_DEP_2)
	v_fma_f64 v[37:38], v[41:42], v[37:38], s[80:81]
	v_add_f64 v[39:40], v[43:44], v[39:40]
	v_add_f64 v[43:44], v[47:48], -v[45:46]
	s_delay_alu instid0(VALU_DEP_3) | instskip(NEXT) | instid1(VALU_DEP_3)
	v_fma_f64 v[37:38], v[41:42], v[37:38], s[82:83]
	v_add_f64 v[39:40], v[47:48], v[39:40]
	s_delay_alu instid0(VALU_DEP_3) | instskip(SKIP_1) | instid1(VALU_DEP_4)
	v_add_f64 v[47:48], v[47:48], -v[43:44]
	v_add_f64 v[31:32], v[31:32], -v[43:44]
	v_fma_f64 v[37:38], v[41:42], v[37:38], s[84:85]
	s_delay_alu instid0(VALU_DEP_4) | instskip(NEXT) | instid1(VALU_DEP_4)
	v_add_f64 v[51:52], v[49:50], v[39:40]
	v_add_f64 v[43:44], v[45:46], -v[47:48]
	s_delay_alu instid0(VALU_DEP_3) | instskip(NEXT) | instid1(VALU_DEP_3)
	v_fma_f64 v[37:38], v[41:42], v[37:38], s[86:87]
	v_add_f64 v[45:46], v[51:52], -v[49:50]
	s_delay_alu instid0(VALU_DEP_3) | instskip(NEXT) | instid1(VALU_DEP_3)
	v_add_f64 v[31:32], v[31:32], v[43:44]
	v_mul_f64 v[37:38], v[41:42], v[37:38]
	s_delay_alu instid0(VALU_DEP_3) | instskip(NEXT) | instid1(VALU_DEP_2)
	v_add_f64 v[39:40], v[39:40], -v[45:46]
	v_fma_f64 v[35:36], v[35:36], v[37:38], v[35:36]
	s_delay_alu instid0(VALU_DEP_2) | instskip(NEXT) | instid1(VALU_DEP_2)
	v_add_f64 v[31:32], v[31:32], v[39:40]
	v_add_f64 v[37:38], -v[35:36], s[88:89]
	s_delay_alu instid0(VALU_DEP_2) | instskip(SKIP_1) | instid1(VALU_DEP_1)
	v_add_f64 v[31:32], v[51:52], v[31:32]
	v_and_b32_e32 v34, 0x7fffffff, v34
	v_cmp_eq_f64_e32 vcc_lo, 0x7ff00000, v[33:34]
	s_delay_alu instid0(VALU_DEP_4) | instskip(SKIP_2) | instid1(VALU_DEP_2)
	v_cndmask_b32_e64 v34, v36, v38, s6
	v_cndmask_b32_e64 v33, v35, v37, s6
	v_cmp_eq_f64_e64 s6, 0, v[3:4]
	v_add_f64 v[35:36], -v[33:34], s[16:17]
	s_and_b32 vcc_lo, s7, vcc_lo
	v_cmp_class_f64_e64 s7, v[3:4], 0x204
	v_cndmask_b32_e32 v31, v31, v9, vcc_lo
	v_dual_cndmask_b32 v32, v32, v57 :: v_dual_and_b32 v9, 0x54442d18, v18
	v_cmp_gt_i32_e32 vcc_lo, 0, v2
	v_and_b32_e32 v2, 0x400921fb, v18
	s_delay_alu instid0(VALU_DEP_3) | instskip(SKIP_3) | instid1(VALU_DEP_3)
	v_add_f64 v[31:32], v[31:32], 1.0
	v_cndmask_b32_e32 v33, v33, v35, vcc_lo
	v_cndmask_b32_e32 v37, 0x54442d18, v59, vcc_lo
	v_cndmask_b32_e32 v1, 0x3fe921fb, v60, vcc_lo
	v_cndmask_b32_e64 v33, v33, v9, s6
	v_cndmask_b32_e32 v18, v34, v36, vcc_lo
	v_cmp_ngt_f64_e32 vcc_lo, 0, v[10:11]
	s_delay_alu instid0(VALU_DEP_4) | instskip(NEXT) | instid1(VALU_DEP_3)
	v_bfi_b32 v1, 0x7fffffff, v1, v4
	v_cndmask_b32_e64 v2, v18, v2, s6
	v_cmp_nge_f64_e64 s6, 0, v[10:11]
	v_cndmask_b32_e64 v9, v31, 0, s10
	v_cndmask_b32_e64 v32, v32, 0x7ff00000, s10
	s_delay_alu instid0(VALU_DEP_1)
	v_cndmask_b32_e32 v18, 0x7ff80000, v32, vcc_lo
	s_and_b32 vcc_lo, s7, s8
	v_cndmask_b32_e32 v31, v33, v37, vcc_lo
	v_cndmask_b32_e32 v32, v2, v1, vcc_lo
	v_cndmask_b32_e64 v9, 0, v9, s6
	v_cmp_neq_f64_e64 s6, 0, v[10:11]
	s_delay_alu instid0(VALU_DEP_1)
	v_cndmask_b32_e64 v10, 0xfff00000, v18, s6
.LBB198_73:                             ;   in Loop: Header=BB198_4 Depth=1
	s_or_b32 exec_lo, exec_lo, s9
.LBB198_74:                             ;   in Loop: Header=BB198_4 Depth=1
	s_and_not1_saveexec_b32 s6, s91
	s_cbranch_execz .LBB198_80
; %bb.75:                               ;   in Loop: Header=BB198_4 Depth=1
	v_cmp_ngt_f64_e64 s7, 0x20000000, |v[1:2]|
	v_cmp_ngt_f64_e64 s8, 0x20000000, |v[3:4]|
                                        ; implicit-def: $vgpr10_vgpr11
	s_delay_alu instid0(VALU_DEP_1) | instskip(NEXT) | instid1(SALU_CYCLE_1)
	s_or_b32 s7, s8, s7
	s_and_saveexec_b32 s8, s7
	s_delay_alu instid0(SALU_CYCLE_1)
	s_xor_b32 s7, exec_lo, s8
; %bb.76:                               ;   in Loop: Header=BB198_4 Depth=1
	v_mul_f64 v[1:2], v[1:2], v[1:2]
	s_delay_alu instid0(VALU_DEP_1)
	v_fma_f64 v[10:11], v[3:4], v[3:4], v[1:2]
; %bb.77:                               ;   in Loop: Header=BB198_4 Depth=1
	s_and_not1_saveexec_b32 s7, s7
; %bb.78:                               ;   in Loop: Header=BB198_4 Depth=1
	v_mul_f64 v[1:2], v[1:2], 4.0
	v_mul_f64 v[9:10], v[3:4], 4.0
	s_delay_alu instid0(VALU_DEP_2) | instskip(NEXT) | instid1(VALU_DEP_1)
	v_mul_f64 v[1:2], v[1:2], v[1:2]
	v_fma_f64 v[1:2], v[9:10], v[9:10], v[1:2]
	s_delay_alu instid0(VALU_DEP_1)
	v_ldexp_f64 v[10:11], v[1:2], -4
; %bb.79:                               ;   in Loop: Header=BB198_4 Depth=1
	s_or_b32 exec_lo, exec_lo, s7
	s_delay_alu instid0(VALU_DEP_1) | instskip(SKIP_2) | instid1(VALU_DEP_2)
	v_frexp_mant_f64_e32 v[1:2], v[10:11]
	s_mov_b32 s101, s27
	v_frexp_exp_i32_f64_e32 v3, v[10:11]
	v_cmp_gt_f64_e32 vcc_lo, s[26:27], v[1:2]
	v_cndmask_b32_e64 v18, 0x3ff00000, 2.0, vcc_lo
	s_delay_alu instid0(VALU_DEP_3) | instskip(SKIP_1) | instid1(VALU_DEP_3)
	v_subrev_co_ci_u32_e32 v3, vcc_lo, 0, v3, vcc_lo
	v_cmp_class_f64_e64 vcc_lo, v[10:11], 0x204
	v_mul_f64 v[1:2], v[1:2], v[17:18]
	s_delay_alu instid0(VALU_DEP_1) | instskip(SKIP_1) | instid1(VALU_DEP_2)
	v_add_f64 v[31:32], v[1:2], 1.0
	v_add_f64 v[37:38], v[1:2], -1.0
	v_rcp_f64_e32 v[33:34], v[31:32]
	v_add_f64 v[39:40], v[31:32], -1.0
	s_delay_alu instid0(VALU_DEP_1) | instskip(SKIP_2) | instid1(VALU_DEP_1)
	v_add_f64 v[1:2], v[1:2], -v[39:40]
	s_waitcnt_depctr 0xfff
	v_fma_f64 v[35:36], -v[31:32], v[33:34], 1.0
	v_fma_f64 v[33:34], v[35:36], v[33:34], v[33:34]
	s_delay_alu instid0(VALU_DEP_1) | instskip(NEXT) | instid1(VALU_DEP_1)
	v_fma_f64 v[35:36], -v[31:32], v[33:34], 1.0
	v_fma_f64 v[33:34], v[35:36], v[33:34], v[33:34]
	s_delay_alu instid0(VALU_DEP_1) | instskip(NEXT) | instid1(VALU_DEP_1)
	v_mul_f64 v[35:36], v[37:38], v[33:34]
	v_mul_f64 v[41:42], v[31:32], v[35:36]
	s_delay_alu instid0(VALU_DEP_1) | instskip(NEXT) | instid1(VALU_DEP_1)
	v_fma_f64 v[31:32], v[35:36], v[31:32], -v[41:42]
	v_fma_f64 v[1:2], v[35:36], v[1:2], v[31:32]
	s_delay_alu instid0(VALU_DEP_1) | instskip(NEXT) | instid1(VALU_DEP_1)
	v_add_f64 v[31:32], v[41:42], v[1:2]
	v_add_f64 v[39:40], v[37:38], -v[31:32]
	v_add_f64 v[41:42], v[31:32], -v[41:42]
	s_delay_alu instid0(VALU_DEP_2) | instskip(NEXT) | instid1(VALU_DEP_2)
	v_add_f64 v[37:38], v[37:38], -v[39:40]
	v_add_f64 v[1:2], v[41:42], -v[1:2]
	s_delay_alu instid0(VALU_DEP_2) | instskip(NEXT) | instid1(VALU_DEP_1)
	v_add_f64 v[31:32], v[37:38], -v[31:32]
	v_add_f64 v[1:2], v[1:2], v[31:32]
	s_delay_alu instid0(VALU_DEP_1) | instskip(NEXT) | instid1(VALU_DEP_1)
	v_add_f64 v[1:2], v[39:40], v[1:2]
	v_mul_f64 v[1:2], v[33:34], v[1:2]
	s_delay_alu instid0(VALU_DEP_1) | instskip(NEXT) | instid1(VALU_DEP_1)
	v_add_f64 v[31:32], v[35:36], v[1:2]
	v_mul_f64 v[33:34], v[31:32], v[31:32]
	s_delay_alu instid0(VALU_DEP_1) | instskip(SKIP_1) | instid1(VALU_DEP_2)
	v_fma_f64 v[37:38], v[33:34], s[30:31], s[28:29]
	v_mul_f64 v[39:40], v[31:32], v[33:34]
	v_fma_f64 v[37:38], v[33:34], v[37:38], s[36:37]
	s_delay_alu instid0(VALU_DEP_1) | instskip(NEXT) | instid1(VALU_DEP_1)
	v_fma_f64 v[37:38], v[33:34], v[37:38], s[38:39]
	v_fma_f64 v[37:38], v[33:34], v[37:38], s[40:41]
	s_delay_alu instid0(VALU_DEP_1) | instskip(NEXT) | instid1(VALU_DEP_1)
	v_fma_f64 v[37:38], v[33:34], v[37:38], s[42:43]
	v_fma_f64 v[33:34], v[33:34], v[37:38], s[100:101]
	v_ldexp_f64 v[37:38], v[31:32], 1
	v_add_f64 v[31:32], v[31:32], -v[35:36]
	s_delay_alu instid0(VALU_DEP_3) | instskip(SKIP_1) | instid1(VALU_DEP_3)
	v_mul_f64 v[33:34], v[39:40], v[33:34]
	v_cvt_f64_i32_e32 v[39:40], v3
	v_add_f64 v[1:2], v[1:2], -v[31:32]
	s_delay_alu instid0(VALU_DEP_3) | instskip(NEXT) | instid1(VALU_DEP_3)
	v_add_f64 v[35:36], v[37:38], v[33:34]
	v_mul_f64 v[41:42], v[39:40], s[44:45]
	s_delay_alu instid0(VALU_DEP_3) | instskip(NEXT) | instid1(VALU_DEP_3)
	v_ldexp_f64 v[1:2], v[1:2], 1
	v_add_f64 v[31:32], v[35:36], -v[37:38]
	s_delay_alu instid0(VALU_DEP_3) | instskip(NEXT) | instid1(VALU_DEP_2)
	v_fma_f64 v[37:38], v[39:40], s[44:45], -v[41:42]
	v_add_f64 v[31:32], v[33:34], -v[31:32]
	s_delay_alu instid0(VALU_DEP_2) | instskip(NEXT) | instid1(VALU_DEP_2)
	v_fma_f64 v[33:34], v[39:40], s[46:47], v[37:38]
	v_add_f64 v[1:2], v[1:2], v[31:32]
	s_delay_alu instid0(VALU_DEP_2) | instskip(NEXT) | instid1(VALU_DEP_2)
	v_add_f64 v[31:32], v[41:42], v[33:34]
	v_add_f64 v[37:38], v[35:36], v[1:2]
	s_delay_alu instid0(VALU_DEP_2) | instskip(NEXT) | instid1(VALU_DEP_2)
	v_add_f64 v[41:42], v[31:32], -v[41:42]
	v_add_f64 v[39:40], v[31:32], v[37:38]
	v_add_f64 v[35:36], v[37:38], -v[35:36]
	s_delay_alu instid0(VALU_DEP_3) | instskip(NEXT) | instid1(VALU_DEP_3)
	v_add_f64 v[33:34], v[33:34], -v[41:42]
	v_add_f64 v[43:44], v[39:40], -v[31:32]
	s_delay_alu instid0(VALU_DEP_3) | instskip(NEXT) | instid1(VALU_DEP_2)
	v_add_f64 v[1:2], v[1:2], -v[35:36]
	v_add_f64 v[45:46], v[39:40], -v[43:44]
	;; [unrolled: 1-line block ×3, first 2 shown]
	s_delay_alu instid0(VALU_DEP_3) | instskip(NEXT) | instid1(VALU_DEP_3)
	v_add_f64 v[37:38], v[33:34], v[1:2]
	v_add_f64 v[31:32], v[31:32], -v[45:46]
	s_delay_alu instid0(VALU_DEP_1) | instskip(NEXT) | instid1(VALU_DEP_3)
	v_add_f64 v[31:32], v[35:36], v[31:32]
	v_add_f64 v[35:36], v[37:38], -v[33:34]
	s_delay_alu instid0(VALU_DEP_2) | instskip(NEXT) | instid1(VALU_DEP_2)
	v_add_f64 v[31:32], v[37:38], v[31:32]
	v_add_f64 v[37:38], v[37:38], -v[35:36]
	v_add_f64 v[1:2], v[1:2], -v[35:36]
	s_delay_alu instid0(VALU_DEP_3) | instskip(NEXT) | instid1(VALU_DEP_3)
	v_add_f64 v[41:42], v[39:40], v[31:32]
	v_add_f64 v[33:34], v[33:34], -v[37:38]
	s_delay_alu instid0(VALU_DEP_2) | instskip(NEXT) | instid1(VALU_DEP_2)
	v_add_f64 v[35:36], v[41:42], -v[39:40]
	v_add_f64 v[1:2], v[1:2], v[33:34]
	s_delay_alu instid0(VALU_DEP_2) | instskip(NEXT) | instid1(VALU_DEP_1)
	v_add_f64 v[31:32], v[31:32], -v[35:36]
	v_add_f64 v[1:2], v[1:2], v[31:32]
	v_mov_b32_e32 v31, 0
	v_mov_b32_e32 v32, 0x7ff80000
	s_delay_alu instid0(VALU_DEP_3) | instskip(NEXT) | instid1(VALU_DEP_1)
	v_add_f64 v[1:2], v[41:42], v[1:2]
	v_dual_cndmask_b32 v1, v1, v10 :: v_dual_cndmask_b32 v2, v2, v11
	v_cmp_ngt_f64_e32 vcc_lo, 0, v[10:11]
	s_delay_alu instid0(VALU_DEP_2) | instskip(SKIP_1) | instid1(VALU_DEP_4)
	v_cndmask_b32_e32 v2, 0x7ff80000, v2, vcc_lo
	v_cmp_nge_f64_e32 vcc_lo, 0, v[10:11]
	v_cndmask_b32_e32 v9, 0, v1, vcc_lo
	v_cmp_neq_f64_e32 vcc_lo, 0, v[10:11]
	s_delay_alu instid0(VALU_DEP_4)
	v_cndmask_b32_e32 v10, 0xfff00000, v2, vcc_lo
.LBB198_80:                             ;   in Loop: Header=BB198_4 Depth=1
	s_or_b32 exec_lo, exec_lo, s6
                                        ; implicit-def: $vgpr1_vgpr2
                                        ; implicit-def: $vgpr33_vgpr34
	s_delay_alu instid0(SALU_CYCLE_1)
	s_mov_b32 s6, exec_lo
	v_cmpx_o_f64_e32 v[13:14], v[15:16]
	s_xor_b32 s91, exec_lo, s6
	s_cbranch_execz .LBB198_108
; %bb.81:                               ;   in Loop: Header=BB198_4 Depth=1
	v_cmp_lt_f64_e64 s6, |v[13:14]|, |v[15:16]|
	v_dual_mov_b32 v18, v15 :: v_dual_and_b32 v3, 0x7fffffff, v14
	v_and_b32_e32 v11, 0x7fffffff, v16
                                        ; implicit-def: $vgpr1_vgpr2
                                        ; implicit-def: $vgpr33_vgpr34
	s_mov_b32 s7, exec_lo
	s_delay_alu instid0(VALU_DEP_1) | instskip(NEXT) | instid1(VALU_DEP_3)
	v_cndmask_b32_e64 v38, v11, v3, s6
	v_cndmask_b32_e64 v37, v18, v13, s6
	s_delay_alu instid0(VALU_DEP_1)
	v_cmpx_nlt_f64_e32 s[20:21], v[37:38]
	s_xor_b32 s22, exec_lo, s7
	s_cbranch_execz .LBB198_105
; %bb.82:                               ;   in Loop: Header=BB198_4 Depth=1
	v_cndmask_b32_e64 v40, v3, v11, s6
	v_cndmask_b32_e64 v39, v13, v18, s6
                                        ; implicit-def: $vgpr1_vgpr2
                                        ; implicit-def: $vgpr33_vgpr34
	s_mov_b32 s7, exec_lo
	s_delay_alu instid0(VALU_DEP_1)
	v_cmpx_neq_f64_e32 1.0, v[39:40]
	s_xor_b32 s23, exec_lo, s7
	s_cbranch_execz .LBB198_98
; %bb.83:                               ;   in Loop: Header=BB198_4 Depth=1
	v_max_f64 v[1:2], v[37:38], v[37:38]
	v_max_f64 v[33:34], v[39:40], v[39:40]
	s_mov_b32 s8, 0xc57e649a
	s_mov_b32 s9, 0x4a511b0e
	s_delay_alu instid0(VALU_DEP_1) | instskip(SKIP_1) | instid1(VALU_DEP_2)
	v_min_f64 v[35:36], v[33:34], v[1:2]
	v_max_f64 v[1:2], v[33:34], v[1:2]
                                        ; implicit-def: $vgpr33_vgpr34
	v_cmp_ngt_f64_e32 vcc_lo, s[14:15], v[35:36]
	s_delay_alu instid0(VALU_DEP_2) | instskip(NEXT) | instid1(VALU_DEP_1)
	v_cmp_nlt_f64_e64 s7, s[8:9], v[1:2]
                                        ; implicit-def: $vgpr1_vgpr2
	s_and_b32 s7, s7, vcc_lo
	s_delay_alu instid0(SALU_CYCLE_1) | instskip(NEXT) | instid1(SALU_CYCLE_1)
	s_and_saveexec_b32 s8, s7
	s_xor_b32 s24, exec_lo, s8
	s_cbranch_execz .LBB198_95
; %bb.84:                               ;   in Loop: Header=BB198_4 Depth=1
                                        ; implicit-def: $vgpr1_vgpr2
                                        ; implicit-def: $vgpr33_vgpr34
	s_mov_b32 s7, exec_lo
	v_cmpx_le_f64_e32 1.0, v[39:40]
	s_xor_b32 s8, exec_lo, s7
	s_cbranch_execz .LBB198_86
; %bb.85:                               ;   in Loop: Header=BB198_4 Depth=1
	v_add_f64 v[1:2], v[39:40], -1.0
	v_add_f64 v[33:34], v[39:40], 1.0
	s_mov_b32 s101, s27
	s_mov_b32 s16, s88
	v_cmp_gt_i32_e64 s7, 0, v14
	v_cmp_class_f64_e64 s10, v[13:14], 0x204
	v_cmp_class_f64_e64 s9, v[15:16], 0x204
	s_delay_alu instid0(VALU_DEP_4) | instskip(NEXT) | instid1(VALU_DEP_1)
	v_mul_f64 v[1:2], v[1:2], v[33:34]
	v_fma_f64 v[2:3], v[37:38], v[37:38], v[1:2]
	s_delay_alu instid0(VALU_DEP_1) | instskip(NEXT) | instid1(VALU_DEP_1)
	v_add_f64 v[33:34], v[2:3], 1.0
	v_frexp_mant_f64_e32 v[35:36], v[33:34]
	v_frexp_exp_i32_f64_e32 v1, v[33:34]
	v_add_f64 v[37:38], v[33:34], -1.0
	s_delay_alu instid0(VALU_DEP_3) | instskip(NEXT) | instid1(VALU_DEP_2)
	v_cmp_gt_f64_e32 vcc_lo, s[26:27], v[35:36]
	v_add_f64 v[35:36], v[37:38], -v[33:34]
	v_add_f64 v[37:38], v[2:3], -v[37:38]
	v_subrev_co_ci_u32_e32 v1, vcc_lo, 0, v1, vcc_lo
	s_delay_alu instid0(VALU_DEP_3) | instskip(NEXT) | instid1(VALU_DEP_2)
	v_add_f64 v[35:36], v[35:36], 1.0
	v_sub_nc_u32_e32 v11, 0, v1
	s_delay_alu instid0(VALU_DEP_1) | instskip(NEXT) | instid1(VALU_DEP_3)
	v_ldexp_f64 v[33:34], v[33:34], v11
	v_add_f64 v[35:36], v[37:38], v[35:36]
	s_delay_alu instid0(VALU_DEP_2) | instskip(SKIP_1) | instid1(VALU_DEP_3)
	v_add_f64 v[39:40], v[33:34], 1.0
	v_add_f64 v[45:46], v[33:34], -1.0
	v_ldexp_f64 v[35:36], v[35:36], v11
	v_cndmask_b32_e64 v11, 0x54442d18, v59, s7
	s_delay_alu instid0(VALU_DEP_4) | instskip(NEXT) | instid1(VALU_DEP_4)
	v_add_f64 v[37:38], v[39:40], -1.0
	v_add_f64 v[47:48], v[45:46], 1.0
	s_delay_alu instid0(VALU_DEP_2) | instskip(NEXT) | instid1(VALU_DEP_2)
	v_add_f64 v[37:38], v[33:34], -v[37:38]
	v_add_f64 v[33:34], v[33:34], -v[47:48]
	s_delay_alu instid0(VALU_DEP_2) | instskip(NEXT) | instid1(VALU_DEP_2)
	v_add_f64 v[37:38], v[35:36], v[37:38]
	v_add_f64 v[33:34], v[35:36], v[33:34]
	s_delay_alu instid0(VALU_DEP_2) | instskip(NEXT) | instid1(VALU_DEP_2)
	v_add_f64 v[41:42], v[39:40], v[37:38]
	v_add_f64 v[47:48], v[45:46], v[33:34]
	s_delay_alu instid0(VALU_DEP_2) | instskip(SKIP_1) | instid1(VALU_DEP_2)
	v_rcp_f64_e32 v[43:44], v[41:42]
	v_add_f64 v[39:40], v[41:42], -v[39:40]
	v_add_f64 v[45:46], v[47:48], -v[45:46]
	s_delay_alu instid0(VALU_DEP_2) | instskip(SKIP_3) | instid1(VALU_DEP_2)
	v_add_f64 v[37:38], v[37:38], -v[39:40]
	s_waitcnt_depctr 0xfff
	v_fma_f64 v[49:50], -v[41:42], v[43:44], 1.0
	v_add_f64 v[33:34], v[33:34], -v[45:46]
	v_fma_f64 v[43:44], v[49:50], v[43:44], v[43:44]
	s_delay_alu instid0(VALU_DEP_1) | instskip(NEXT) | instid1(VALU_DEP_1)
	v_fma_f64 v[35:36], -v[41:42], v[43:44], 1.0
	v_fma_f64 v[35:36], v[35:36], v[43:44], v[43:44]
	s_delay_alu instid0(VALU_DEP_1) | instskip(NEXT) | instid1(VALU_DEP_1)
	v_mul_f64 v[43:44], v[47:48], v[35:36]
	v_mul_f64 v[49:50], v[41:42], v[43:44]
	s_delay_alu instid0(VALU_DEP_1) | instskip(NEXT) | instid1(VALU_DEP_1)
	v_fma_f64 v[39:40], v[43:44], v[41:42], -v[49:50]
	v_fma_f64 v[39:40], v[43:44], v[37:38], v[39:40]
	s_delay_alu instid0(VALU_DEP_1) | instskip(NEXT) | instid1(VALU_DEP_1)
	v_add_f64 v[51:52], v[49:50], v[39:40]
	v_add_f64 v[53:54], v[47:48], -v[51:52]
	v_add_f64 v[45:46], v[51:52], -v[49:50]
	v_max_f64 v[49:50], |v[15:16]|, |v[15:16]|
	s_delay_alu instid0(VALU_DEP_3) | instskip(NEXT) | instid1(VALU_DEP_3)
	v_add_f64 v[47:48], v[47:48], -v[53:54]
	v_add_f64 v[39:40], v[45:46], -v[39:40]
	s_delay_alu instid0(VALU_DEP_2) | instskip(SKIP_2) | instid1(VALU_DEP_1)
	v_add_f64 v[47:48], v[47:48], -v[51:52]
	v_max_f64 v[51:52], |v[13:14]|, |v[13:14]|
	v_cndmask_b32_e64 v13, 0x3fe921fb, v60, s7
	v_bfi_b32 v13, 0x7fffffff, v13, v16
	s_delay_alu instid0(VALU_DEP_4) | instskip(NEXT) | instid1(VALU_DEP_4)
	v_add_f64 v[33:34], v[33:34], v[47:48]
	v_max_f64 v[55:56], v[51:52], v[49:50]
	v_min_f64 v[49:50], v[51:52], v[49:50]
	s_delay_alu instid0(VALU_DEP_3) | instskip(NEXT) | instid1(VALU_DEP_1)
	v_add_f64 v[33:34], v[39:40], v[33:34]
	v_add_f64 v[39:40], v[53:54], v[33:34]
	s_delay_alu instid0(VALU_DEP_1) | instskip(SKIP_1) | instid1(VALU_DEP_2)
	v_mul_f64 v[45:46], v[35:36], v[39:40]
	v_add_f64 v[53:54], v[53:54], -v[39:40]
	v_mul_f64 v[47:48], v[41:42], v[45:46]
	s_delay_alu instid0(VALU_DEP_2) | instskip(NEXT) | instid1(VALU_DEP_2)
	v_add_f64 v[33:34], v[33:34], v[53:54]
	v_fma_f64 v[41:42], v[45:46], v[41:42], -v[47:48]
	s_delay_alu instid0(VALU_DEP_1) | instskip(SKIP_1) | instid1(VALU_DEP_2)
	v_fma_f64 v[37:38], v[45:46], v[37:38], v[41:42]
	v_div_scale_f64 v[41:42], null, v[55:56], v[55:56], v[49:50]
	v_add_f64 v[51:52], v[47:48], v[37:38]
	s_delay_alu instid0(VALU_DEP_2) | instskip(NEXT) | instid1(VALU_DEP_1)
	v_rcp_f64_e32 v[57:58], v[41:42]
	v_add_f64 v[61:62], v[39:40], -v[51:52]
	v_add_f64 v[47:48], v[51:52], -v[47:48]
	s_waitcnt_depctr 0xfff
	v_fma_f64 v[63:64], -v[41:42], v[57:58], 1.0
	v_add_f64 v[39:40], v[39:40], -v[61:62]
	v_add_f64 v[37:38], v[47:48], -v[37:38]
	s_delay_alu instid0(VALU_DEP_3) | instskip(NEXT) | instid1(VALU_DEP_3)
	v_fma_f64 v[57:58], v[57:58], v[63:64], v[57:58]
	v_add_f64 v[39:40], v[39:40], -v[51:52]
	s_delay_alu instid0(VALU_DEP_2) | instskip(NEXT) | instid1(VALU_DEP_2)
	v_fma_f64 v[51:52], -v[41:42], v[57:58], 1.0
	v_add_f64 v[33:34], v[33:34], v[39:40]
	v_div_scale_f64 v[39:40], vcc_lo, v[49:50], v[55:56], v[49:50]
	s_delay_alu instid0(VALU_DEP_3) | instskip(SKIP_1) | instid1(VALU_DEP_4)
	v_fma_f64 v[47:48], v[57:58], v[51:52], v[57:58]
	v_add_f64 v[51:52], v[43:44], v[45:46]
	v_add_f64 v[33:34], v[37:38], v[33:34]
	s_delay_alu instid0(VALU_DEP_3) | instskip(NEXT) | instid1(VALU_DEP_3)
	v_mul_f64 v[37:38], v[39:40], v[47:48]
	v_add_f64 v[43:44], v[51:52], -v[43:44]
	s_delay_alu instid0(VALU_DEP_3) | instskip(NEXT) | instid1(VALU_DEP_3)
	v_add_f64 v[33:34], v[61:62], v[33:34]
	v_fma_f64 v[39:40], -v[41:42], v[37:38], v[39:40]
	s_delay_alu instid0(VALU_DEP_3) | instskip(NEXT) | instid1(VALU_DEP_3)
	v_add_f64 v[41:42], v[45:46], -v[43:44]
	v_mul_f64 v[33:34], v[35:36], v[33:34]
	s_delay_alu instid0(VALU_DEP_3) | instskip(SKIP_1) | instid1(VALU_DEP_3)
	v_div_fmas_f64 v[35:36], v[39:40], v[47:48], v[37:38]
	v_cmp_eq_f64_e32 vcc_lo, 0x7ff00000, v[2:3]
	v_add_f64 v[33:34], v[41:42], v[33:34]
	s_delay_alu instid0(VALU_DEP_3) | instskip(NEXT) | instid1(VALU_DEP_2)
	v_div_fixup_f64 v[35:36], v[35:36], v[55:56], v[49:50]
	v_add_f64 v[37:38], v[51:52], v[33:34]
	s_delay_alu instid0(VALU_DEP_2) | instskip(NEXT) | instid1(VALU_DEP_2)
	v_mul_f64 v[39:40], v[35:36], v[35:36]
	v_mul_f64 v[41:42], v[37:38], v[37:38]
	s_delay_alu instid0(VALU_DEP_2) | instskip(NEXT) | instid1(VALU_DEP_2)
	v_fma_f64 v[43:44], v[39:40], s[50:51], s[48:49]
	v_fma_f64 v[45:46], v[41:42], s[30:31], s[28:29]
	v_mul_f64 v[47:48], v[37:38], v[41:42]
	s_delay_alu instid0(VALU_DEP_3) | instskip(NEXT) | instid1(VALU_DEP_3)
	v_fma_f64 v[43:44], v[39:40], v[43:44], s[52:53]
	v_fma_f64 v[45:46], v[41:42], v[45:46], s[36:37]
	s_delay_alu instid0(VALU_DEP_2) | instskip(NEXT) | instid1(VALU_DEP_2)
	v_fma_f64 v[43:44], v[39:40], v[43:44], s[54:55]
	v_fma_f64 v[45:46], v[41:42], v[45:46], s[38:39]
	s_delay_alu instid0(VALU_DEP_2) | instskip(NEXT) | instid1(VALU_DEP_2)
	;; [unrolled: 3-line block ×4, first 2 shown]
	v_fma_f64 v[43:44], v[39:40], v[43:44], s[60:61]
	v_fma_f64 v[41:42], v[41:42], v[45:46], s[100:101]
	v_ldexp_f64 v[45:46], v[37:38], 1
	v_add_f64 v[37:38], v[37:38], -v[51:52]
	s_delay_alu instid0(VALU_DEP_4) | instskip(NEXT) | instid1(VALU_DEP_4)
	v_fma_f64 v[43:44], v[39:40], v[43:44], s[62:63]
	v_mul_f64 v[41:42], v[47:48], v[41:42]
	v_cvt_f64_i32_e32 v[47:48], v1
	s_delay_alu instid0(VALU_DEP_4) | instskip(NEXT) | instid1(VALU_DEP_4)
	v_add_f64 v[33:34], v[33:34], -v[37:38]
	v_fma_f64 v[43:44], v[39:40], v[43:44], s[64:65]
	v_ashrrev_i32_e32 v1, 31, v14
	v_add_f64 v[49:50], v[45:46], v[41:42]
	v_mul_f64 v[51:52], v[47:48], s[44:45]
	v_ldexp_f64 v[33:34], v[33:34], 1
	v_fma_f64 v[43:44], v[39:40], v[43:44], s[66:67]
	s_delay_alu instid0(VALU_DEP_4) | instskip(NEXT) | instid1(VALU_DEP_4)
	v_add_f64 v[37:38], v[49:50], -v[45:46]
	v_fma_f64 v[45:46], v[47:48], s[44:45], -v[51:52]
	s_delay_alu instid0(VALU_DEP_3) | instskip(NEXT) | instid1(VALU_DEP_3)
	v_fma_f64 v[43:44], v[39:40], v[43:44], s[68:69]
	v_add_f64 v[37:38], v[41:42], -v[37:38]
	s_delay_alu instid0(VALU_DEP_2) | instskip(NEXT) | instid1(VALU_DEP_4)
	v_fma_f64 v[41:42], v[39:40], v[43:44], s[70:71]
	v_fma_f64 v[43:44], v[47:48], s[46:47], v[45:46]
	s_delay_alu instid0(VALU_DEP_3) | instskip(NEXT) | instid1(VALU_DEP_3)
	v_add_f64 v[33:34], v[33:34], v[37:38]
	v_fma_f64 v[37:38], v[39:40], v[41:42], s[72:73]
	s_delay_alu instid0(VALU_DEP_3) | instskip(NEXT) | instid1(VALU_DEP_3)
	v_add_f64 v[41:42], v[51:52], v[43:44]
	v_add_f64 v[45:46], v[49:50], v[33:34]
	s_delay_alu instid0(VALU_DEP_3) | instskip(NEXT) | instid1(VALU_DEP_3)
	v_fma_f64 v[37:38], v[39:40], v[37:38], s[74:75]
	v_add_f64 v[51:52], v[41:42], -v[51:52]
	s_delay_alu instid0(VALU_DEP_3) | instskip(SKIP_1) | instid1(VALU_DEP_4)
	v_add_f64 v[47:48], v[41:42], v[45:46]
	v_add_f64 v[49:50], v[45:46], -v[49:50]
	v_fma_f64 v[37:38], v[39:40], v[37:38], s[76:77]
	s_delay_alu instid0(VALU_DEP_4) | instskip(NEXT) | instid1(VALU_DEP_4)
	v_add_f64 v[43:44], v[43:44], -v[51:52]
	v_add_f64 v[53:54], v[47:48], -v[41:42]
	s_delay_alu instid0(VALU_DEP_4) | instskip(NEXT) | instid1(VALU_DEP_4)
	v_add_f64 v[33:34], v[33:34], -v[49:50]
	v_fma_f64 v[37:38], v[39:40], v[37:38], s[78:79]
	s_delay_alu instid0(VALU_DEP_3) | instskip(SKIP_1) | instid1(VALU_DEP_4)
	v_add_f64 v[55:56], v[47:48], -v[53:54]
	v_add_f64 v[45:46], v[45:46], -v[53:54]
	v_add_f64 v[49:50], v[43:44], v[33:34]
	s_delay_alu instid0(VALU_DEP_4) | instskip(NEXT) | instid1(VALU_DEP_4)
	v_fma_f64 v[37:38], v[39:40], v[37:38], s[80:81]
	v_add_f64 v[41:42], v[41:42], -v[55:56]
	s_delay_alu instid0(VALU_DEP_2) | instskip(NEXT) | instid1(VALU_DEP_2)
	v_fma_f64 v[37:38], v[39:40], v[37:38], s[82:83]
	v_add_f64 v[41:42], v[45:46], v[41:42]
	v_add_f64 v[45:46], v[49:50], -v[43:44]
	s_delay_alu instid0(VALU_DEP_3) | instskip(NEXT) | instid1(VALU_DEP_3)
	v_fma_f64 v[37:38], v[39:40], v[37:38], s[84:85]
	v_add_f64 v[41:42], v[49:50], v[41:42]
	s_delay_alu instid0(VALU_DEP_3) | instskip(SKIP_1) | instid1(VALU_DEP_4)
	v_add_f64 v[49:50], v[49:50], -v[45:46]
	v_add_f64 v[33:34], v[33:34], -v[45:46]
	v_fma_f64 v[37:38], v[39:40], v[37:38], s[86:87]
	s_delay_alu instid0(VALU_DEP_4) | instskip(NEXT) | instid1(VALU_DEP_2)
	v_add_f64 v[51:52], v[47:48], v[41:42]
	v_mul_f64 v[37:38], v[39:40], v[37:38]
	v_add_f64 v[39:40], v[43:44], -v[49:50]
	s_delay_alu instid0(VALU_DEP_3) | instskip(NEXT) | instid1(VALU_DEP_3)
	v_add_f64 v[43:44], v[51:52], -v[47:48]
	v_fma_f64 v[35:36], v[35:36], v[37:38], v[35:36]
	s_delay_alu instid0(VALU_DEP_3) | instskip(NEXT) | instid1(VALU_DEP_3)
	v_add_f64 v[33:34], v[33:34], v[39:40]
	v_add_f64 v[37:38], v[41:42], -v[43:44]
	s_delay_alu instid0(VALU_DEP_3) | instskip(NEXT) | instid1(VALU_DEP_2)
	v_add_f64 v[39:40], -v[35:36], s[88:89]
	v_add_f64 v[33:34], v[33:34], v[37:38]
	s_delay_alu instid0(VALU_DEP_2) | instskip(NEXT) | instid1(VALU_DEP_3)
	v_cndmask_b32_e64 v36, v36, v40, s6
	v_cndmask_b32_e64 v35, v35, v39, s6
                                        ; implicit-def: $vgpr39_vgpr40
	s_delay_alu instid0(VALU_DEP_1) | instskip(NEXT) | instid1(VALU_DEP_4)
	v_add_f64 v[37:38], -v[35:36], s[16:17]
	v_add_f64 v[33:34], v[51:52], v[33:34]
	v_and_b32_e32 v18, 0x54442d18, v1
	v_and_b32_e32 v1, 0x400921fb, v1
	s_delay_alu instid0(VALU_DEP_4) | instskip(SKIP_4) | instid1(VALU_DEP_2)
	v_cndmask_b32_e64 v35, v35, v37, s7
	v_cndmask_b32_e64 v14, v36, v38, s7
	v_cmp_nge_f64_e64 s7, -1.0, v[2:3]
                                        ; implicit-def: $vgpr37_vgpr38
	v_dual_cndmask_b32 v33, v33, v2 :: v_dual_cndmask_b32 v34, v34, v3
	v_cmp_eq_f64_e32 vcc_lo, 0, v[15:16]
	v_mul_f64 v[33:34], v[33:34], 0.5
	v_dual_cndmask_b32 v18, v35, v18 :: v_dual_cndmask_b32 v1, v14, v1
	v_cmp_ngt_f64_e32 vcc_lo, -1.0, v[2:3]
	s_delay_alu instid0(VALU_DEP_3) | instskip(SKIP_1) | instid1(VALU_DEP_3)
	v_cndmask_b32_e32 v14, 0x7ff80000, v34, vcc_lo
	s_and_b32 vcc_lo, s9, s10
	v_cndmask_b32_e32 v34, v1, v13, vcc_lo
	v_cndmask_b32_e64 v1, 0, v33, s7
	v_cndmask_b32_e32 v33, v18, v11, vcc_lo
	v_cmp_neq_f64_e64 s7, -1.0, v[2:3]
	s_delay_alu instid0(VALU_DEP_1)
	v_cndmask_b32_e64 v2, 0xfff00000, v14, s7
.LBB198_86:                             ;   in Loop: Header=BB198_4 Depth=1
	s_and_not1_saveexec_b32 s25, s8
	s_cbranch_execz .LBB198_94
; %bb.87:                               ;   in Loop: Header=BB198_4 Depth=1
	v_mul_f64 v[1:2], v[37:38], v[37:38]
	s_mov_b32 s8, 0x66666666
	s_mov_b32 s9, 0x3fe66666
                                        ; implicit-def: $vgpr33_vgpr34
	s_mov_b32 s7, exec_lo
	s_delay_alu instid0(VALU_DEP_1) | instskip(NEXT) | instid1(VALU_DEP_1)
	v_fma_f64 v[35:36], v[39:40], v[39:40], v[1:2]
                                        ; implicit-def: $vgpr1_vgpr2
	v_cmpx_ge_f64_e32 s[8:9], v[35:36]
	s_xor_b32 s9, exec_lo, s7
	s_cbranch_execz .LBB198_89
; %bb.88:                               ;   in Loop: Header=BB198_4 Depth=1
	v_frexp_mant_f64_e32 v[1:2], v[35:36]
	v_max_f64 v[43:44], |v[13:14]|, |v[13:14]|
	s_mov_b32 s101, s27
	v_frexp_exp_i32_f64_e32 v3, v[35:36]
	s_mov_b32 s16, s88
	v_cmp_class_f64_e64 s10, v[15:16], 0x204
	v_cmp_class_f64_e64 s11, v[13:14], 0x204
	v_cmp_neq_f64_e64 s8, 0, v[35:36]
	v_cmp_gt_f64_e64 s7, s[26:27], v[1:2]
	s_delay_alu instid0(VALU_DEP_1) | instskip(NEXT) | instid1(VALU_DEP_1)
	v_cndmask_b32_e64 v18, 0x3ff00000, 2.0, s7
	v_mul_f64 v[1:2], v[1:2], v[17:18]
	s_delay_alu instid0(VALU_DEP_1) | instskip(SKIP_1) | instid1(VALU_DEP_2)
	v_add_f64 v[33:34], v[1:2], 1.0
	v_add_f64 v[41:42], v[1:2], -1.0
	v_rcp_f64_e32 v[37:38], v[33:34]
	s_waitcnt_depctr 0xfff
	v_fma_f64 v[39:40], -v[33:34], v[37:38], 1.0
	s_delay_alu instid0(VALU_DEP_1) | instskip(NEXT) | instid1(VALU_DEP_1)
	v_fma_f64 v[37:38], v[39:40], v[37:38], v[37:38]
	v_fma_f64 v[39:40], -v[33:34], v[37:38], 1.0
	s_delay_alu instid0(VALU_DEP_1) | instskip(SKIP_1) | instid1(VALU_DEP_2)
	v_fma_f64 v[37:38], v[39:40], v[37:38], v[37:38]
	v_max_f64 v[39:40], |v[15:16]|, |v[15:16]|
	v_mul_f64 v[45:46], v[41:42], v[37:38]
	s_delay_alu instid0(VALU_DEP_2) | instskip(SKIP_2) | instid1(VALU_DEP_4)
	v_max_f64 v[47:48], v[43:44], v[39:40]
	v_min_f64 v[39:40], v[43:44], v[39:40]
	v_add_f64 v[43:44], v[33:34], -1.0
	v_mul_f64 v[49:50], v[33:34], v[45:46]
	s_delay_alu instid0(VALU_DEP_3) | instskip(NEXT) | instid1(VALU_DEP_3)
	v_div_scale_f64 v[51:52], null, v[47:48], v[47:48], v[39:40]
	v_add_f64 v[1:2], v[1:2], -v[43:44]
	v_div_scale_f64 v[57:58], vcc_lo, v[39:40], v[47:48], v[39:40]
	s_delay_alu instid0(VALU_DEP_4) | instskip(NEXT) | instid1(VALU_DEP_4)
	v_fma_f64 v[33:34], v[45:46], v[33:34], -v[49:50]
	v_rcp_f64_e32 v[43:44], v[51:52]
	s_delay_alu instid0(VALU_DEP_1) | instskip(SKIP_3) | instid1(VALU_DEP_2)
	v_fma_f64 v[1:2], v[45:46], v[1:2], v[33:34]
	s_waitcnt_depctr 0xfff
	v_fma_f64 v[33:34], -v[51:52], v[43:44], 1.0
	v_add_f64 v[53:54], v[49:50], v[1:2]
	v_fma_f64 v[33:34], v[43:44], v[33:34], v[43:44]
	s_delay_alu instid0(VALU_DEP_2) | instskip(SKIP_1) | instid1(VALU_DEP_3)
	v_add_f64 v[43:44], v[41:42], -v[53:54]
	v_add_f64 v[49:50], v[53:54], -v[49:50]
	v_fma_f64 v[55:56], -v[51:52], v[33:34], 1.0
	s_delay_alu instid0(VALU_DEP_3) | instskip(NEXT) | instid1(VALU_DEP_3)
	v_add_f64 v[41:42], v[41:42], -v[43:44]
	v_add_f64 v[1:2], v[49:50], -v[1:2]
	s_delay_alu instid0(VALU_DEP_3) | instskip(NEXT) | instid1(VALU_DEP_3)
	v_fma_f64 v[33:34], v[33:34], v[55:56], v[33:34]
	v_add_f64 v[41:42], v[41:42], -v[53:54]
	s_delay_alu instid0(VALU_DEP_2) | instskip(NEXT) | instid1(VALU_DEP_2)
	v_mul_f64 v[49:50], v[57:58], v[33:34]
	v_add_f64 v[1:2], v[1:2], v[41:42]
	s_delay_alu instid0(VALU_DEP_2) | instskip(NEXT) | instid1(VALU_DEP_2)
	v_fma_f64 v[41:42], -v[51:52], v[49:50], v[57:58]
	v_add_f64 v[1:2], v[43:44], v[1:2]
	s_delay_alu instid0(VALU_DEP_2)
	v_div_fmas_f64 v[33:34], v[41:42], v[33:34], v[49:50]
	v_subrev_co_ci_u32_e64 v3, vcc_lo, 0, v3, s7
	v_cmp_eq_f64_e64 s7, 0, v[15:16]
	v_cmp_gt_i32_e32 vcc_lo, 0, v14
	v_cndmask_b32_e32 v13, 0x3fe921fb, v60, vcc_lo
	v_cndmask_b32_e32 v11, 0x54442d18, v59, vcc_lo
	s_delay_alu instid0(VALU_DEP_2) | instskip(SKIP_2) | instid1(VALU_DEP_2)
	v_bfi_b32 v13, 0x7fffffff, v13, v16
	v_mul_f64 v[1:2], v[37:38], v[1:2]
	v_div_fixup_f64 v[33:34], v[33:34], v[47:48], v[39:40]
	v_add_f64 v[37:38], v[45:46], v[1:2]
	s_delay_alu instid0(VALU_DEP_2) | instskip(NEXT) | instid1(VALU_DEP_2)
	v_mul_f64 v[39:40], v[33:34], v[33:34]
	v_mul_f64 v[41:42], v[37:38], v[37:38]
	s_delay_alu instid0(VALU_DEP_2) | instskip(NEXT) | instid1(VALU_DEP_2)
	v_fma_f64 v[43:44], v[39:40], s[50:51], s[48:49]
	v_fma_f64 v[47:48], v[41:42], s[30:31], s[28:29]
	v_mul_f64 v[49:50], v[37:38], v[41:42]
	s_delay_alu instid0(VALU_DEP_3) | instskip(NEXT) | instid1(VALU_DEP_3)
	v_fma_f64 v[43:44], v[39:40], v[43:44], s[52:53]
	v_fma_f64 v[47:48], v[41:42], v[47:48], s[36:37]
	s_delay_alu instid0(VALU_DEP_2) | instskip(NEXT) | instid1(VALU_DEP_2)
	v_fma_f64 v[43:44], v[39:40], v[43:44], s[54:55]
	v_fma_f64 v[47:48], v[41:42], v[47:48], s[38:39]
	s_delay_alu instid0(VALU_DEP_2) | instskip(NEXT) | instid1(VALU_DEP_2)
	v_fma_f64 v[43:44], v[39:40], v[43:44], s[56:57]
	v_fma_f64 v[47:48], v[41:42], v[47:48], s[40:41]
	s_delay_alu instid0(VALU_DEP_2) | instskip(NEXT) | instid1(VALU_DEP_2)
	v_fma_f64 v[43:44], v[39:40], v[43:44], s[58:59]
	v_fma_f64 v[47:48], v[41:42], v[47:48], s[42:43]
	s_delay_alu instid0(VALU_DEP_2) | instskip(NEXT) | instid1(VALU_DEP_2)
	v_fma_f64 v[43:44], v[39:40], v[43:44], s[60:61]
	v_fma_f64 v[41:42], v[41:42], v[47:48], s[100:101]
	v_ldexp_f64 v[47:48], v[37:38], 1
	v_add_f64 v[37:38], v[37:38], -v[45:46]
	s_delay_alu instid0(VALU_DEP_4) | instskip(NEXT) | instid1(VALU_DEP_4)
	v_fma_f64 v[43:44], v[39:40], v[43:44], s[62:63]
	v_mul_f64 v[41:42], v[49:50], v[41:42]
	v_cvt_f64_i32_e32 v[49:50], v3
	s_delay_alu instid0(VALU_DEP_4)
	v_add_f64 v[1:2], v[1:2], -v[37:38]
	v_ashrrev_i32_e32 v3, 31, v14
	v_fma_f64 v[43:44], v[39:40], v[43:44], s[64:65]
	v_add_f64 v[45:46], v[47:48], v[41:42]
	v_mul_f64 v[51:52], v[49:50], s[44:45]
	v_ldexp_f64 v[1:2], v[1:2], 1
	s_delay_alu instid0(VALU_DEP_4) | instskip(NEXT) | instid1(VALU_DEP_4)
	v_fma_f64 v[43:44], v[39:40], v[43:44], s[66:67]
	v_add_f64 v[37:38], v[45:46], -v[47:48]
	s_delay_alu instid0(VALU_DEP_4) | instskip(NEXT) | instid1(VALU_DEP_3)
	v_fma_f64 v[47:48], v[49:50], s[44:45], -v[51:52]
	v_fma_f64 v[43:44], v[39:40], v[43:44], s[68:69]
	s_delay_alu instid0(VALU_DEP_3) | instskip(NEXT) | instid1(VALU_DEP_2)
	v_add_f64 v[37:38], v[41:42], -v[37:38]
	v_fma_f64 v[41:42], v[39:40], v[43:44], s[70:71]
	s_delay_alu instid0(VALU_DEP_4) | instskip(NEXT) | instid1(VALU_DEP_3)
	v_fma_f64 v[43:44], v[49:50], s[46:47], v[47:48]
	v_add_f64 v[1:2], v[1:2], v[37:38]
	s_delay_alu instid0(VALU_DEP_3) | instskip(NEXT) | instid1(VALU_DEP_3)
	v_fma_f64 v[37:38], v[39:40], v[41:42], s[72:73]
	v_add_f64 v[41:42], v[51:52], v[43:44]
	s_delay_alu instid0(VALU_DEP_3) | instskip(NEXT) | instid1(VALU_DEP_3)
	v_add_f64 v[47:48], v[45:46], v[1:2]
	v_fma_f64 v[37:38], v[39:40], v[37:38], s[74:75]
	s_delay_alu instid0(VALU_DEP_3) | instskip(NEXT) | instid1(VALU_DEP_3)
	v_add_f64 v[51:52], v[41:42], -v[51:52]
	v_add_f64 v[49:50], v[41:42], v[47:48]
	v_add_f64 v[45:46], v[47:48], -v[45:46]
	s_delay_alu instid0(VALU_DEP_4) | instskip(NEXT) | instid1(VALU_DEP_4)
	v_fma_f64 v[37:38], v[39:40], v[37:38], s[76:77]
	v_add_f64 v[43:44], v[43:44], -v[51:52]
	s_delay_alu instid0(VALU_DEP_4) | instskip(NEXT) | instid1(VALU_DEP_4)
	v_add_f64 v[53:54], v[49:50], -v[41:42]
	v_add_f64 v[1:2], v[1:2], -v[45:46]
	s_delay_alu instid0(VALU_DEP_4) | instskip(NEXT) | instid1(VALU_DEP_3)
	v_fma_f64 v[37:38], v[39:40], v[37:38], s[78:79]
	v_add_f64 v[55:56], v[49:50], -v[53:54]
	v_add_f64 v[45:46], v[47:48], -v[53:54]
	s_delay_alu instid0(VALU_DEP_4) | instskip(NEXT) | instid1(VALU_DEP_4)
	v_add_f64 v[47:48], v[43:44], v[1:2]
	v_fma_f64 v[37:38], v[39:40], v[37:38], s[80:81]
	s_delay_alu instid0(VALU_DEP_4) | instskip(NEXT) | instid1(VALU_DEP_2)
	v_add_f64 v[41:42], v[41:42], -v[55:56]
	v_fma_f64 v[37:38], v[39:40], v[37:38], s[82:83]
	s_delay_alu instid0(VALU_DEP_2) | instskip(SKIP_1) | instid1(VALU_DEP_3)
	v_add_f64 v[41:42], v[45:46], v[41:42]
	v_add_f64 v[45:46], v[47:48], -v[43:44]
	v_fma_f64 v[37:38], v[39:40], v[37:38], s[84:85]
	s_delay_alu instid0(VALU_DEP_3) | instskip(NEXT) | instid1(VALU_DEP_3)
	v_add_f64 v[41:42], v[47:48], v[41:42]
	v_add_f64 v[47:48], v[47:48], -v[45:46]
	v_add_f64 v[1:2], v[1:2], -v[45:46]
	s_delay_alu instid0(VALU_DEP_4) | instskip(NEXT) | instid1(VALU_DEP_4)
	v_fma_f64 v[37:38], v[39:40], v[37:38], s[86:87]
	v_add_f64 v[51:52], v[49:50], v[41:42]
	s_delay_alu instid0(VALU_DEP_2) | instskip(SKIP_1) | instid1(VALU_DEP_3)
	v_mul_f64 v[37:38], v[39:40], v[37:38]
	v_add_f64 v[39:40], v[43:44], -v[47:48]
	v_add_f64 v[43:44], v[51:52], -v[49:50]
	s_delay_alu instid0(VALU_DEP_3) | instskip(NEXT) | instid1(VALU_DEP_3)
	v_fma_f64 v[33:34], v[33:34], v[37:38], v[33:34]
	v_add_f64 v[1:2], v[1:2], v[39:40]
	s_delay_alu instid0(VALU_DEP_3) | instskip(NEXT) | instid1(VALU_DEP_3)
	v_add_f64 v[37:38], v[41:42], -v[43:44]
	v_add_f64 v[39:40], -v[33:34], s[88:89]
	s_delay_alu instid0(VALU_DEP_2) | instskip(NEXT) | instid1(VALU_DEP_2)
	v_add_f64 v[1:2], v[1:2], v[37:38]
	v_cndmask_b32_e64 v34, v34, v40, s6
	s_delay_alu instid0(VALU_DEP_3) | instskip(NEXT) | instid1(VALU_DEP_1)
	v_cndmask_b32_e64 v33, v33, v39, s6
                                        ; implicit-def: $vgpr39_vgpr40
	v_add_f64 v[37:38], -v[33:34], s[16:17]
	v_and_b32_e32 v18, 0x54442d18, v3
	v_and_b32_e32 v3, 0x400921fb, v3
	v_add_f64 v[1:2], v[51:52], v[1:2]
	s_delay_alu instid0(VALU_DEP_4) | instskip(SKIP_1) | instid1(VALU_DEP_1)
	v_dual_cndmask_b32 v14, v34, v38 :: v_dual_cndmask_b32 v33, v33, v37
	s_and_b32 vcc_lo, s10, s11
                                        ; implicit-def: $vgpr37_vgpr38
	v_cndmask_b32_e64 v3, v14, v3, s7
	s_delay_alu instid0(VALU_DEP_2) | instskip(NEXT) | instid1(VALU_DEP_1)
	v_cndmask_b32_e64 v18, v33, v18, s7
	v_dual_cndmask_b32 v34, v3, v13 :: v_dual_cndmask_b32 v33, v18, v11
	v_mul_f64 v[1:2], v[1:2], 0.5
	s_delay_alu instid0(VALU_DEP_1) | instskip(NEXT) | instid1(VALU_DEP_2)
	v_cndmask_b32_e64 v2, 0xfff00000, v2, s8
	v_cndmask_b32_e64 v1, 0, v1, s8
.LBB198_89:                             ;   in Loop: Header=BB198_4 Depth=1
	s_and_not1_saveexec_b32 s92, s9
	s_cbranch_execz .LBB198_93
; %bb.90:                               ;   in Loop: Header=BB198_4 Depth=1
	v_dual_mov_b32 v33, v17 :: v_dual_and_b32 v18, 0x7ffffff8, v40
	v_and_b32_e32 v34, 0x7ffffff8, v38
	s_mov_b32 s93, 0
	s_delay_alu instid0(VALU_DEP_2) | instskip(SKIP_1) | instid1(VALU_DEP_3)
	v_add_f64 v[1:2], v[39:40], -v[17:18]
	v_mov_b32_e32 v39, v17
	v_add_f64 v[35:36], v[37:38], -v[33:34]
	v_mov_b32_e32 v41, v17
	v_add_f64 v[43:44], v[17:18], v[17:18]
	v_add_f64 v[51:52], v[33:34], v[33:34]
	v_mul_f64 v[37:38], v[33:34], v[33:34]
	v_and_b32_e32 v40, -8, v2
	v_and_b32_e32 v42, -8, v36
	s_delay_alu instid0(VALU_DEP_2) | instskip(SKIP_1) | instid1(VALU_DEP_3)
	v_add_f64 v[53:54], v[1:2], -v[39:40]
	v_add_f64 v[57:58], v[39:40], v[39:40]
	v_add_f64 v[55:56], v[35:36], -v[41:42]
	v_add_f64 v[61:62], v[41:42], v[41:42]
	v_mul_f64 v[1:2], v[17:18], v[17:18]
	v_mul_f64 v[49:50], v[43:44], v[39:40]
	;; [unrolled: 1-line block ×11, first 2 shown]
.LBB198_91:                             ;   Parent Loop BB198_4 Depth=1
                                        ; =>  This Inner Loop Header: Depth=2
	v_cmp_nlt_f64_e32 vcc_lo, v[1:2], v[37:38]
	v_dual_cndmask_b32 v56, v2, v38 :: v_dual_cndmask_b32 v55, v1, v37
	v_dual_cndmask_b32 v2, v38, v2 :: v_dual_cndmask_b32 v1, v37, v1
	s_delay_alu instid0(VALU_DEP_2) | instskip(NEXT) | instid1(VALU_DEP_1)
	v_cmp_nlt_f64_e64 s7, v[55:56], v[49:50]
	v_cndmask_b32_e64 v58, v56, v50, s7
	v_cndmask_b32_e64 v57, v55, v49, s7
	;; [unrolled: 1-line block ×4, first 2 shown]
	s_and_b32 s7, vcc_lo, s7
	s_delay_alu instid0(VALU_DEP_3) | instskip(NEXT) | instid1(VALU_DEP_1)
	v_cmp_nlt_f64_e64 s8, v[57:58], v[35:36]
	v_cndmask_b32_e64 v56, v58, v36, s8
	v_cndmask_b32_e64 v55, v57, v35, s8
	;; [unrolled: 1-line block ×4, first 2 shown]
	s_delay_alu instid0(VALU_DEP_3) | instskip(NEXT) | instid1(VALU_DEP_1)
	v_cmp_nlt_f64_e64 s9, v[55:56], v[47:48]
	v_cndmask_b32_e64 v58, v56, v48, s9
	v_cndmask_b32_e64 v57, v55, v47, s9
	;; [unrolled: 1-line block ×4, first 2 shown]
	s_and_b32 s8, s8, s9
	s_delay_alu instid0(VALU_DEP_3) | instskip(NEXT) | instid1(VALU_DEP_1)
	v_cmp_nlt_f64_e64 s10, v[57:58], v[33:34]
	v_cndmask_b32_e64 v56, v58, v34, s10
	v_cndmask_b32_e64 v55, v57, v33, s10
	;; [unrolled: 1-line block ×4, first 2 shown]
	s_delay_alu instid0(VALU_DEP_3) | instskip(NEXT) | instid1(VALU_DEP_1)
	v_cmp_nlt_f64_e64 s11, v[55:56], v[45:46]
	v_cndmask_b32_e64 v58, v56, v46, s11
	v_cndmask_b32_e64 v57, v55, v45, s11
	v_cndmask_b32_e64 v34, v46, v56, s11
	v_cndmask_b32_e64 v33, v45, v55, s11
	s_and_b32 s9, s10, s11
	s_delay_alu instid0(VALU_DEP_3) | instskip(NEXT) | instid1(VALU_DEP_1)
	v_cmp_nlt_f64_e64 s12, v[57:58], v[43:44]
	v_cndmask_b32_e64 v56, v58, v44, s12
	v_cndmask_b32_e64 v55, v57, v43, s12
	v_cndmask_b32_e64 v46, v44, v58, s12
	v_cndmask_b32_e64 v45, v43, v57, s12
	s_and_b32 s9, s9, s12
	;; [unrolled: 7-line block ×4, first 2 shown]
	s_delay_alu instid0(VALU_DEP_3) | instskip(NEXT) | instid1(VALU_DEP_1)
	v_cmp_nlt_f64_e64 s15, v[55:56], v[51:52]
	v_cndmask_b32_e64 v58, v56, v52, s15
	v_cndmask_b32_e64 v57, v55, v51, s15
	s_and_b32 s9, s9, s15
	v_cndmask_b32_e64 v40, v52, v56, s15
	v_cndmask_b32_e64 v39, v51, v55, s15
	s_delay_alu instid0(VALU_DEP_3) | instskip(NEXT) | instid1(VALU_DEP_1)
	v_cmp_nlt_f64_e64 s16, v[57:58], v[53:54]
	v_cndmask_b32_e64 v56, v58, v54, s16
	v_cndmask_b32_e64 v55, v57, v53, s16
	s_and_b32 s9, s9, s16
	v_cndmask_b32_e64 v52, v54, v58, s16
	s_and_b32 s8, s9, s8
	;; [unrolled: 2-line block ×3, first 2 shown]
	v_dual_mov_b32 v53, v55 :: v_dual_mov_b32 v54, v56
	s_and_b32 s7, exec_lo, s7
	s_delay_alu instid0(SALU_CYCLE_1) | instskip(NEXT) | instid1(SALU_CYCLE_1)
	s_or_b32 s93, s7, s93
	s_and_not1_b32 exec_lo, exec_lo, s93
	s_cbranch_execnz .LBB198_91
; %bb.92:                               ;   in Loop: Header=BB198_4 Depth=1
	s_or_b32 exec_lo, exec_lo, s93
	v_add_f64 v[1:2], v[1:2], -1.0
	s_mov_b32 s101, s27
	s_mov_b32 s16, s88
	v_cmp_gt_i32_e64 s7, 0, v14
	v_cmp_class_f64_e64 s9, v[13:14], 0x204
	v_cmp_class_f64_e64 s8, v[15:16], 0x204
	s_mov_b32 s14, 0x4ad4b81f
	s_mov_b32 s15, 0x358dee7a
	s_delay_alu instid0(VALU_DEP_4) | instskip(NEXT) | instid1(VALU_DEP_1)
	v_add_f64 v[1:2], v[1:2], v[37:38]
	v_add_f64 v[1:2], v[1:2], v[49:50]
	s_delay_alu instid0(VALU_DEP_1) | instskip(NEXT) | instid1(VALU_DEP_1)
	v_add_f64 v[1:2], v[1:2], v[35:36]
	v_add_f64 v[1:2], v[1:2], v[47:48]
	s_delay_alu instid0(VALU_DEP_1) | instskip(NEXT) | instid1(VALU_DEP_1)
	;; [unrolled: 3-line block ×5, first 2 shown]
	v_add_f64 v[2:3], v[55:56], v[1:2]
	v_add_f64 v[33:34], v[2:3], 1.0
	s_delay_alu instid0(VALU_DEP_1) | instskip(SKIP_2) | instid1(VALU_DEP_3)
	v_frexp_mant_f64_e32 v[35:36], v[33:34]
	v_frexp_exp_i32_f64_e32 v1, v[33:34]
	v_add_f64 v[37:38], v[33:34], -1.0
	v_cmp_gt_f64_e32 vcc_lo, s[26:27], v[35:36]
	s_delay_alu instid0(VALU_DEP_2) | instskip(SKIP_2) | instid1(VALU_DEP_3)
	v_add_f64 v[35:36], v[37:38], -v[33:34]
	v_add_f64 v[37:38], v[2:3], -v[37:38]
	v_subrev_co_ci_u32_e32 v1, vcc_lo, 0, v1, vcc_lo
	v_add_f64 v[35:36], v[35:36], 1.0
	s_delay_alu instid0(VALU_DEP_2) | instskip(NEXT) | instid1(VALU_DEP_1)
	v_sub_nc_u32_e32 v11, 0, v1
	v_ldexp_f64 v[33:34], v[33:34], v11
	s_delay_alu instid0(VALU_DEP_3) | instskip(NEXT) | instid1(VALU_DEP_2)
	v_add_f64 v[35:36], v[37:38], v[35:36]
	v_add_f64 v[39:40], v[33:34], 1.0
	v_add_f64 v[45:46], v[33:34], -1.0
	s_delay_alu instid0(VALU_DEP_3) | instskip(SKIP_1) | instid1(VALU_DEP_4)
	v_ldexp_f64 v[35:36], v[35:36], v11
	v_cndmask_b32_e64 v11, 0x54442d18, v59, s7
	v_add_f64 v[37:38], v[39:40], -1.0
	s_delay_alu instid0(VALU_DEP_4) | instskip(NEXT) | instid1(VALU_DEP_2)
	v_add_f64 v[47:48], v[45:46], 1.0
	v_add_f64 v[37:38], v[33:34], -v[37:38]
	s_delay_alu instid0(VALU_DEP_2) | instskip(NEXT) | instid1(VALU_DEP_2)
	v_add_f64 v[33:34], v[33:34], -v[47:48]
	v_add_f64 v[37:38], v[35:36], v[37:38]
	s_delay_alu instid0(VALU_DEP_2) | instskip(NEXT) | instid1(VALU_DEP_2)
	v_add_f64 v[33:34], v[35:36], v[33:34]
	v_add_f64 v[41:42], v[39:40], v[37:38]
	s_delay_alu instid0(VALU_DEP_2) | instskip(NEXT) | instid1(VALU_DEP_2)
	v_add_f64 v[47:48], v[45:46], v[33:34]
	v_rcp_f64_e32 v[43:44], v[41:42]
	v_add_f64 v[39:40], v[41:42], -v[39:40]
	s_delay_alu instid0(VALU_DEP_2) | instskip(NEXT) | instid1(VALU_DEP_2)
	v_add_f64 v[45:46], v[47:48], -v[45:46]
	v_add_f64 v[37:38], v[37:38], -v[39:40]
	s_waitcnt_depctr 0xfff
	v_fma_f64 v[49:50], -v[41:42], v[43:44], 1.0
	v_add_f64 v[33:34], v[33:34], -v[45:46]
	s_delay_alu instid0(VALU_DEP_2) | instskip(NEXT) | instid1(VALU_DEP_1)
	v_fma_f64 v[43:44], v[49:50], v[43:44], v[43:44]
	v_fma_f64 v[35:36], -v[41:42], v[43:44], 1.0
	s_delay_alu instid0(VALU_DEP_1) | instskip(NEXT) | instid1(VALU_DEP_1)
	v_fma_f64 v[35:36], v[35:36], v[43:44], v[43:44]
	v_mul_f64 v[43:44], v[47:48], v[35:36]
	s_delay_alu instid0(VALU_DEP_1) | instskip(NEXT) | instid1(VALU_DEP_1)
	v_mul_f64 v[49:50], v[41:42], v[43:44]
	v_fma_f64 v[39:40], v[43:44], v[41:42], -v[49:50]
	s_delay_alu instid0(VALU_DEP_1) | instskip(NEXT) | instid1(VALU_DEP_1)
	v_fma_f64 v[39:40], v[43:44], v[37:38], v[39:40]
	v_add_f64 v[51:52], v[49:50], v[39:40]
	s_delay_alu instid0(VALU_DEP_1) | instskip(SKIP_2) | instid1(VALU_DEP_3)
	v_add_f64 v[53:54], v[47:48], -v[51:52]
	v_add_f64 v[45:46], v[51:52], -v[49:50]
	v_max_f64 v[49:50], |v[15:16]|, |v[15:16]|
	v_add_f64 v[47:48], v[47:48], -v[53:54]
	s_delay_alu instid0(VALU_DEP_3) | instskip(NEXT) | instid1(VALU_DEP_2)
	v_add_f64 v[39:40], v[45:46], -v[39:40]
	v_add_f64 v[47:48], v[47:48], -v[51:52]
	v_max_f64 v[51:52], |v[13:14]|, |v[13:14]|
	v_cndmask_b32_e64 v13, 0x3fe921fb, v60, s7
	s_delay_alu instid0(VALU_DEP_1) | instskip(NEXT) | instid1(VALU_DEP_4)
	v_bfi_b32 v13, 0x7fffffff, v13, v16
	v_add_f64 v[33:34], v[33:34], v[47:48]
	s_delay_alu instid0(VALU_DEP_4) | instskip(SKIP_1) | instid1(VALU_DEP_3)
	v_max_f64 v[55:56], v[51:52], v[49:50]
	v_min_f64 v[49:50], v[51:52], v[49:50]
	v_add_f64 v[33:34], v[39:40], v[33:34]
	s_delay_alu instid0(VALU_DEP_1) | instskip(NEXT) | instid1(VALU_DEP_1)
	v_add_f64 v[39:40], v[53:54], v[33:34]
	v_mul_f64 v[45:46], v[35:36], v[39:40]
	v_add_f64 v[53:54], v[53:54], -v[39:40]
	s_delay_alu instid0(VALU_DEP_2) | instskip(NEXT) | instid1(VALU_DEP_2)
	v_mul_f64 v[47:48], v[41:42], v[45:46]
	v_add_f64 v[33:34], v[33:34], v[53:54]
	s_delay_alu instid0(VALU_DEP_2) | instskip(NEXT) | instid1(VALU_DEP_1)
	v_fma_f64 v[41:42], v[45:46], v[41:42], -v[47:48]
	v_fma_f64 v[37:38], v[45:46], v[37:38], v[41:42]
	v_div_scale_f64 v[41:42], null, v[55:56], v[55:56], v[49:50]
	s_delay_alu instid0(VALU_DEP_2) | instskip(NEXT) | instid1(VALU_DEP_2)
	v_add_f64 v[51:52], v[47:48], v[37:38]
	v_rcp_f64_e32 v[57:58], v[41:42]
	s_delay_alu instid0(VALU_DEP_1)
	v_add_f64 v[61:62], v[39:40], -v[51:52]
	v_add_f64 v[47:48], v[51:52], -v[47:48]
	s_waitcnt_depctr 0xfff
	v_fma_f64 v[63:64], -v[41:42], v[57:58], 1.0
	v_add_f64 v[39:40], v[39:40], -v[61:62]
	v_add_f64 v[37:38], v[47:48], -v[37:38]
	s_delay_alu instid0(VALU_DEP_3) | instskip(NEXT) | instid1(VALU_DEP_3)
	v_fma_f64 v[57:58], v[57:58], v[63:64], v[57:58]
	v_add_f64 v[39:40], v[39:40], -v[51:52]
	s_delay_alu instid0(VALU_DEP_2) | instskip(NEXT) | instid1(VALU_DEP_2)
	v_fma_f64 v[51:52], -v[41:42], v[57:58], 1.0
	v_add_f64 v[33:34], v[33:34], v[39:40]
	v_div_scale_f64 v[39:40], vcc_lo, v[49:50], v[55:56], v[49:50]
	s_delay_alu instid0(VALU_DEP_3) | instskip(SKIP_1) | instid1(VALU_DEP_4)
	v_fma_f64 v[47:48], v[57:58], v[51:52], v[57:58]
	v_add_f64 v[51:52], v[43:44], v[45:46]
	v_add_f64 v[33:34], v[37:38], v[33:34]
	s_delay_alu instid0(VALU_DEP_3) | instskip(NEXT) | instid1(VALU_DEP_3)
	v_mul_f64 v[37:38], v[39:40], v[47:48]
	v_add_f64 v[43:44], v[51:52], -v[43:44]
	s_delay_alu instid0(VALU_DEP_3) | instskip(NEXT) | instid1(VALU_DEP_3)
	v_add_f64 v[33:34], v[61:62], v[33:34]
	v_fma_f64 v[39:40], -v[41:42], v[37:38], v[39:40]
	s_delay_alu instid0(VALU_DEP_3) | instskip(NEXT) | instid1(VALU_DEP_3)
	v_add_f64 v[41:42], v[45:46], -v[43:44]
	v_mul_f64 v[33:34], v[35:36], v[33:34]
	s_delay_alu instid0(VALU_DEP_3) | instskip(SKIP_1) | instid1(VALU_DEP_3)
	v_div_fmas_f64 v[35:36], v[39:40], v[47:48], v[37:38]
	v_cmp_eq_f64_e32 vcc_lo, 0x7ff00000, v[2:3]
	v_add_f64 v[33:34], v[41:42], v[33:34]
	s_delay_alu instid0(VALU_DEP_3) | instskip(NEXT) | instid1(VALU_DEP_2)
	v_div_fixup_f64 v[35:36], v[35:36], v[55:56], v[49:50]
	v_add_f64 v[37:38], v[51:52], v[33:34]
	s_delay_alu instid0(VALU_DEP_2) | instskip(NEXT) | instid1(VALU_DEP_2)
	v_mul_f64 v[39:40], v[35:36], v[35:36]
	v_mul_f64 v[41:42], v[37:38], v[37:38]
	s_delay_alu instid0(VALU_DEP_2) | instskip(NEXT) | instid1(VALU_DEP_2)
	v_fma_f64 v[43:44], v[39:40], s[50:51], s[48:49]
	v_fma_f64 v[45:46], v[41:42], s[30:31], s[28:29]
	v_mul_f64 v[47:48], v[37:38], v[41:42]
	s_delay_alu instid0(VALU_DEP_3) | instskip(NEXT) | instid1(VALU_DEP_3)
	v_fma_f64 v[43:44], v[39:40], v[43:44], s[52:53]
	v_fma_f64 v[45:46], v[41:42], v[45:46], s[36:37]
	s_delay_alu instid0(VALU_DEP_2) | instskip(NEXT) | instid1(VALU_DEP_2)
	v_fma_f64 v[43:44], v[39:40], v[43:44], s[54:55]
	v_fma_f64 v[45:46], v[41:42], v[45:46], s[38:39]
	s_delay_alu instid0(VALU_DEP_2) | instskip(NEXT) | instid1(VALU_DEP_2)
	;; [unrolled: 3-line block ×4, first 2 shown]
	v_fma_f64 v[43:44], v[39:40], v[43:44], s[60:61]
	v_fma_f64 v[41:42], v[41:42], v[45:46], s[100:101]
	v_ldexp_f64 v[45:46], v[37:38], 1
	v_add_f64 v[37:38], v[37:38], -v[51:52]
	s_delay_alu instid0(VALU_DEP_4) | instskip(NEXT) | instid1(VALU_DEP_4)
	v_fma_f64 v[43:44], v[39:40], v[43:44], s[62:63]
	v_mul_f64 v[41:42], v[47:48], v[41:42]
	v_cvt_f64_i32_e32 v[47:48], v1
	s_delay_alu instid0(VALU_DEP_4) | instskip(NEXT) | instid1(VALU_DEP_4)
	v_add_f64 v[33:34], v[33:34], -v[37:38]
	v_fma_f64 v[43:44], v[39:40], v[43:44], s[64:65]
	v_ashrrev_i32_e32 v1, 31, v14
	v_add_f64 v[49:50], v[45:46], v[41:42]
	v_mul_f64 v[51:52], v[47:48], s[44:45]
	v_ldexp_f64 v[33:34], v[33:34], 1
	v_fma_f64 v[43:44], v[39:40], v[43:44], s[66:67]
	s_delay_alu instid0(VALU_DEP_4) | instskip(NEXT) | instid1(VALU_DEP_4)
	v_add_f64 v[37:38], v[49:50], -v[45:46]
	v_fma_f64 v[45:46], v[47:48], s[44:45], -v[51:52]
	s_delay_alu instid0(VALU_DEP_3) | instskip(NEXT) | instid1(VALU_DEP_3)
	v_fma_f64 v[43:44], v[39:40], v[43:44], s[68:69]
	v_add_f64 v[37:38], v[41:42], -v[37:38]
	s_delay_alu instid0(VALU_DEP_2) | instskip(NEXT) | instid1(VALU_DEP_4)
	v_fma_f64 v[41:42], v[39:40], v[43:44], s[70:71]
	v_fma_f64 v[43:44], v[47:48], s[46:47], v[45:46]
	s_delay_alu instid0(VALU_DEP_3) | instskip(NEXT) | instid1(VALU_DEP_3)
	v_add_f64 v[33:34], v[33:34], v[37:38]
	v_fma_f64 v[37:38], v[39:40], v[41:42], s[72:73]
	s_delay_alu instid0(VALU_DEP_3) | instskip(NEXT) | instid1(VALU_DEP_3)
	v_add_f64 v[41:42], v[51:52], v[43:44]
	v_add_f64 v[45:46], v[49:50], v[33:34]
	s_delay_alu instid0(VALU_DEP_3) | instskip(NEXT) | instid1(VALU_DEP_3)
	v_fma_f64 v[37:38], v[39:40], v[37:38], s[74:75]
	v_add_f64 v[51:52], v[41:42], -v[51:52]
	s_delay_alu instid0(VALU_DEP_3) | instskip(SKIP_1) | instid1(VALU_DEP_4)
	v_add_f64 v[47:48], v[41:42], v[45:46]
	v_add_f64 v[49:50], v[45:46], -v[49:50]
	v_fma_f64 v[37:38], v[39:40], v[37:38], s[76:77]
	s_delay_alu instid0(VALU_DEP_4) | instskip(NEXT) | instid1(VALU_DEP_4)
	v_add_f64 v[43:44], v[43:44], -v[51:52]
	v_add_f64 v[53:54], v[47:48], -v[41:42]
	s_delay_alu instid0(VALU_DEP_4) | instskip(NEXT) | instid1(VALU_DEP_4)
	v_add_f64 v[33:34], v[33:34], -v[49:50]
	v_fma_f64 v[37:38], v[39:40], v[37:38], s[78:79]
	s_delay_alu instid0(VALU_DEP_3) | instskip(SKIP_1) | instid1(VALU_DEP_4)
	v_add_f64 v[55:56], v[47:48], -v[53:54]
	v_add_f64 v[45:46], v[45:46], -v[53:54]
	v_add_f64 v[49:50], v[43:44], v[33:34]
	s_delay_alu instid0(VALU_DEP_4) | instskip(NEXT) | instid1(VALU_DEP_4)
	v_fma_f64 v[37:38], v[39:40], v[37:38], s[80:81]
	v_add_f64 v[41:42], v[41:42], -v[55:56]
	s_delay_alu instid0(VALU_DEP_2) | instskip(NEXT) | instid1(VALU_DEP_2)
	v_fma_f64 v[37:38], v[39:40], v[37:38], s[82:83]
	v_add_f64 v[41:42], v[45:46], v[41:42]
	v_add_f64 v[45:46], v[49:50], -v[43:44]
	s_delay_alu instid0(VALU_DEP_3) | instskip(NEXT) | instid1(VALU_DEP_3)
	v_fma_f64 v[37:38], v[39:40], v[37:38], s[84:85]
	v_add_f64 v[41:42], v[49:50], v[41:42]
	s_delay_alu instid0(VALU_DEP_3) | instskip(SKIP_1) | instid1(VALU_DEP_4)
	v_add_f64 v[49:50], v[49:50], -v[45:46]
	v_add_f64 v[33:34], v[33:34], -v[45:46]
	v_fma_f64 v[37:38], v[39:40], v[37:38], s[86:87]
	s_delay_alu instid0(VALU_DEP_4) | instskip(NEXT) | instid1(VALU_DEP_2)
	v_add_f64 v[51:52], v[47:48], v[41:42]
	v_mul_f64 v[37:38], v[39:40], v[37:38]
	v_add_f64 v[39:40], v[43:44], -v[49:50]
	s_delay_alu instid0(VALU_DEP_3) | instskip(NEXT) | instid1(VALU_DEP_3)
	v_add_f64 v[43:44], v[51:52], -v[47:48]
	v_fma_f64 v[35:36], v[35:36], v[37:38], v[35:36]
	s_delay_alu instid0(VALU_DEP_3) | instskip(NEXT) | instid1(VALU_DEP_3)
	v_add_f64 v[33:34], v[33:34], v[39:40]
	v_add_f64 v[37:38], v[41:42], -v[43:44]
	s_delay_alu instid0(VALU_DEP_3) | instskip(NEXT) | instid1(VALU_DEP_2)
	v_add_f64 v[39:40], -v[35:36], s[88:89]
	v_add_f64 v[33:34], v[33:34], v[37:38]
	s_delay_alu instid0(VALU_DEP_2) | instskip(NEXT) | instid1(VALU_DEP_3)
	v_cndmask_b32_e64 v36, v36, v40, s6
	v_cndmask_b32_e64 v35, v35, v39, s6
	s_delay_alu instid0(VALU_DEP_1) | instskip(NEXT) | instid1(VALU_DEP_4)
	v_add_f64 v[37:38], -v[35:36], s[16:17]
	v_add_f64 v[33:34], v[51:52], v[33:34]
	v_and_b32_e32 v18, 0x54442d18, v1
	v_and_b32_e32 v1, 0x400921fb, v1
	s_delay_alu instid0(VALU_DEP_4) | instskip(SKIP_4) | instid1(VALU_DEP_2)
	v_cndmask_b32_e64 v35, v35, v37, s7
	v_cndmask_b32_e64 v14, v36, v38, s7
	v_cmp_nge_f64_e64 s7, -1.0, v[2:3]
	v_dual_cndmask_b32 v33, v33, v2 :: v_dual_cndmask_b32 v34, v34, v3
	v_cmp_eq_f64_e32 vcc_lo, 0, v[15:16]
	v_mul_f64 v[33:34], v[33:34], 0.5
	v_dual_cndmask_b32 v18, v35, v18 :: v_dual_cndmask_b32 v1, v14, v1
	v_cmp_ngt_f64_e32 vcc_lo, -1.0, v[2:3]
	s_delay_alu instid0(VALU_DEP_3) | instskip(SKIP_1) | instid1(VALU_DEP_3)
	v_cndmask_b32_e32 v14, 0x7ff80000, v34, vcc_lo
	s_and_b32 vcc_lo, s8, s9
	v_cndmask_b32_e32 v34, v1, v13, vcc_lo
	v_cndmask_b32_e64 v1, 0, v33, s7
	v_cndmask_b32_e32 v33, v18, v11, vcc_lo
	v_cmp_neq_f64_e64 s7, -1.0, v[2:3]
	s_delay_alu instid0(VALU_DEP_1)
	v_cndmask_b32_e64 v2, 0xfff00000, v14, s7
.LBB198_93:                             ;   in Loop: Header=BB198_4 Depth=1
	s_or_b32 exec_lo, exec_lo, s92
.LBB198_94:                             ;   in Loop: Header=BB198_4 Depth=1
	s_delay_alu instid0(SALU_CYCLE_1)
	s_or_b32 exec_lo, exec_lo, s25
.LBB198_95:                             ;   in Loop: Header=BB198_4 Depth=1
	s_and_not1_saveexec_b32 s9, s24
	s_cbranch_execz .LBB198_97
; %bb.96:                               ;   in Loop: Header=BB198_4 Depth=1
	v_max_f64 v[1:2], |v[15:16]|, |v[15:16]|
	v_max_f64 v[33:34], |v[13:14]|, |v[13:14]|
	v_cmp_class_f64_e64 s10, v[13:14], 0x204
	v_cmp_class_f64_e64 s11, v[15:16], 0x204
	s_mov_b32 s101, s27
	s_mov_b32 s16, s88
	v_cmp_eq_f64_e64 s8, 0, v[15:16]
	s_delay_alu instid0(VALU_DEP_4) | instskip(SKIP_1) | instid1(VALU_DEP_4)
	v_max_f64 v[35:36], v[33:34], v[1:2]
	v_min_f64 v[1:2], v[33:34], v[1:2]
	s_or_b32 s12, s11, s10
	s_delay_alu instid0(VALU_DEP_2) | instskip(NEXT) | instid1(VALU_DEP_1)
	v_frexp_exp_i32_f64_e32 v3, v[35:36]
	v_sub_nc_u32_e32 v11, 0, v3
	s_delay_alu instid0(VALU_DEP_1) | instskip(SKIP_1) | instid1(VALU_DEP_2)
	v_ldexp_f64 v[37:38], |v[15:16]|, v11
	v_ldexp_f64 v[39:40], |v[13:14]|, v11
	v_mul_f64 v[37:38], v[37:38], v[37:38]
	s_delay_alu instid0(VALU_DEP_1) | instskip(NEXT) | instid1(VALU_DEP_1)
	v_fma_f64 v[37:38], v[39:40], v[39:40], v[37:38]
	v_rsq_f64_e32 v[39:40], v[37:38]
	v_cmp_eq_f64_e32 vcc_lo, 0, v[37:38]
	s_waitcnt_depctr 0xfff
	v_mul_f64 v[41:42], v[37:38], v[39:40]
	v_mul_f64 v[39:40], v[39:40], 0.5
	s_delay_alu instid0(VALU_DEP_1) | instskip(NEXT) | instid1(VALU_DEP_1)
	v_fma_f64 v[43:44], -v[39:40], v[41:42], 0.5
	v_fma_f64 v[41:42], v[41:42], v[43:44], v[41:42]
	v_fma_f64 v[39:40], v[39:40], v[43:44], v[39:40]
	s_delay_alu instid0(VALU_DEP_2) | instskip(NEXT) | instid1(VALU_DEP_1)
	v_fma_f64 v[43:44], -v[41:42], v[41:42], v[37:38]
	v_fma_f64 v[39:40], v[43:44], v[39:40], v[41:42]
	s_delay_alu instid0(VALU_DEP_1) | instskip(SKIP_1) | instid1(VALU_DEP_2)
	v_dual_cndmask_b32 v38, v40, v38 :: v_dual_cndmask_b32 v37, v39, v37
	v_div_scale_f64 v[61:62], vcc_lo, v[1:2], v[35:36], v[1:2]
	v_ldexp_f64 v[37:38], v[37:38], v3
	s_delay_alu instid0(VALU_DEP_1) | instskip(NEXT) | instid1(VALU_DEP_2)
	v_cndmask_b32_e64 v40, v38, 0x7ff00000, s12
	v_cndmask_b32_e64 v39, v37, 0, s12
	s_delay_alu instid0(VALU_DEP_1) | instskip(SKIP_1) | instid1(VALU_DEP_2)
	v_frexp_mant_f64_e32 v[41:42], v[39:40]
	v_frexp_exp_i32_f64_e32 v3, v[39:40]
	v_cmp_gt_f64_e64 s7, s[26:27], v[41:42]
	s_delay_alu instid0(VALU_DEP_1) | instskip(NEXT) | instid1(VALU_DEP_1)
	v_cndmask_b32_e64 v18, 0x3ff00000, 2.0, s7
	v_mul_f64 v[41:42], v[41:42], v[17:18]
	s_delay_alu instid0(VALU_DEP_1) | instskip(SKIP_1) | instid1(VALU_DEP_2)
	v_add_f64 v[43:44], v[41:42], 1.0
	v_add_f64 v[49:50], v[41:42], -1.0
	v_rcp_f64_e32 v[45:46], v[43:44]
	v_add_f64 v[51:52], v[43:44], -1.0
	s_delay_alu instid0(VALU_DEP_1) | instskip(SKIP_2) | instid1(VALU_DEP_1)
	v_add_f64 v[41:42], v[41:42], -v[51:52]
	s_waitcnt_depctr 0xfff
	v_fma_f64 v[47:48], -v[43:44], v[45:46], 1.0
	v_fma_f64 v[45:46], v[47:48], v[45:46], v[45:46]
	s_delay_alu instid0(VALU_DEP_1) | instskip(NEXT) | instid1(VALU_DEP_1)
	v_fma_f64 v[47:48], -v[43:44], v[45:46], 1.0
	v_fma_f64 v[45:46], v[47:48], v[45:46], v[45:46]
	v_div_scale_f64 v[47:48], null, v[35:36], v[35:36], v[1:2]
	s_delay_alu instid0(VALU_DEP_2) | instskip(NEXT) | instid1(VALU_DEP_2)
	v_mul_f64 v[33:34], v[49:50], v[45:46]
	v_rcp_f64_e32 v[55:56], v[47:48]
	s_delay_alu instid0(VALU_DEP_1) | instskip(SKIP_3) | instid1(VALU_DEP_1)
	v_mul_f64 v[53:54], v[43:44], v[33:34]
	s_waitcnt_depctr 0xfff
	v_fma_f64 v[51:52], -v[47:48], v[55:56], 1.0
	v_fma_f64 v[43:44], v[33:34], v[43:44], -v[53:54]
	v_fma_f64 v[41:42], v[33:34], v[41:42], v[43:44]
	s_delay_alu instid0(VALU_DEP_3) | instskip(NEXT) | instid1(VALU_DEP_2)
	v_fma_f64 v[43:44], v[55:56], v[51:52], v[55:56]
	v_add_f64 v[51:52], v[53:54], v[41:42]
	s_delay_alu instid0(VALU_DEP_2) | instskip(NEXT) | instid1(VALU_DEP_2)
	v_fma_f64 v[55:56], -v[47:48], v[43:44], 1.0
	v_add_f64 v[57:58], v[49:50], -v[51:52]
	s_delay_alu instid0(VALU_DEP_2) | instskip(SKIP_1) | instid1(VALU_DEP_3)
	v_fma_f64 v[43:44], v[43:44], v[55:56], v[43:44]
	v_add_f64 v[53:54], v[51:52], -v[53:54]
	v_add_f64 v[49:50], v[49:50], -v[57:58]
	s_delay_alu instid0(VALU_DEP_3) | instskip(NEXT) | instid1(VALU_DEP_3)
	v_mul_f64 v[55:56], v[61:62], v[43:44]
	v_add_f64 v[41:42], v[53:54], -v[41:42]
	s_delay_alu instid0(VALU_DEP_3) | instskip(NEXT) | instid1(VALU_DEP_3)
	v_add_f64 v[49:50], v[49:50], -v[51:52]
	v_fma_f64 v[47:48], -v[47:48], v[55:56], v[61:62]
	s_delay_alu instid0(VALU_DEP_2) | instskip(NEXT) | instid1(VALU_DEP_2)
	v_add_f64 v[41:42], v[41:42], v[49:50]
	v_div_fmas_f64 v[43:44], v[47:48], v[43:44], v[55:56]
	v_subrev_co_ci_u32_e64 v3, vcc_lo, 0, v3, s7
	v_cmp_class_f64_e64 s7, v[37:38], 0x204
	v_cmp_gt_i32_e32 vcc_lo, 0, v14
	v_cndmask_b32_e32 v11, 0x54442d18, v59, vcc_lo
	v_add_f64 v[41:42], v[57:58], v[41:42]
	v_div_fixup_f64 v[1:2], v[43:44], v[35:36], v[1:2]
	s_delay_alu instid0(VALU_DEP_2) | instskip(NEXT) | instid1(VALU_DEP_2)
	v_mul_f64 v[35:36], v[45:46], v[41:42]
	v_mul_f64 v[41:42], v[1:2], v[1:2]
	s_delay_alu instid0(VALU_DEP_2) | instskip(NEXT) | instid1(VALU_DEP_2)
	v_add_f64 v[43:44], v[33:34], v[35:36]
	v_fma_f64 v[45:46], v[41:42], s[50:51], s[48:49]
	s_delay_alu instid0(VALU_DEP_2) | instskip(NEXT) | instid1(VALU_DEP_2)
	v_mul_f64 v[47:48], v[43:44], v[43:44]
	v_fma_f64 v[45:46], v[41:42], v[45:46], s[52:53]
	v_add_f64 v[33:34], v[43:44], -v[33:34]
	s_delay_alu instid0(VALU_DEP_3) | instskip(NEXT) | instid1(VALU_DEP_3)
	v_fma_f64 v[49:50], v[47:48], s[30:31], s[28:29]
	v_fma_f64 v[45:46], v[41:42], v[45:46], s[54:55]
	v_mul_f64 v[51:52], v[43:44], v[47:48]
	s_delay_alu instid0(VALU_DEP_4) | instskip(NEXT) | instid1(VALU_DEP_4)
	v_add_f64 v[33:34], v[35:36], -v[33:34]
	v_fma_f64 v[49:50], v[47:48], v[49:50], s[36:37]
	s_delay_alu instid0(VALU_DEP_4) | instskip(NEXT) | instid1(VALU_DEP_3)
	v_fma_f64 v[45:46], v[41:42], v[45:46], s[56:57]
	v_ldexp_f64 v[33:34], v[33:34], 1
	s_delay_alu instid0(VALU_DEP_3) | instskip(NEXT) | instid1(VALU_DEP_3)
	v_fma_f64 v[49:50], v[47:48], v[49:50], s[38:39]
	v_fma_f64 v[45:46], v[41:42], v[45:46], s[58:59]
	s_delay_alu instid0(VALU_DEP_2) | instskip(NEXT) | instid1(VALU_DEP_2)
	v_fma_f64 v[49:50], v[47:48], v[49:50], s[40:41]
	v_fma_f64 v[45:46], v[41:42], v[45:46], s[60:61]
	s_delay_alu instid0(VALU_DEP_2) | instskip(NEXT) | instid1(VALU_DEP_2)
	;; [unrolled: 3-line block ×3, first 2 shown]
	v_fma_f64 v[47:48], v[47:48], v[49:50], s[100:101]
	v_fma_f64 v[45:46], v[41:42], v[45:46], s[64:65]
	v_ldexp_f64 v[49:50], v[43:44], 1
	s_delay_alu instid0(VALU_DEP_3) | instskip(NEXT) | instid1(VALU_DEP_3)
	v_mul_f64 v[47:48], v[51:52], v[47:48]
	v_fma_f64 v[45:46], v[41:42], v[45:46], s[66:67]
	v_cvt_f64_i32_e32 v[51:52], v3
	v_ashrrev_i32_e32 v3, 31, v14
	v_cndmask_b32_e32 v14, 0x3fe921fb, v60, vcc_lo
	s_delay_alu instid0(VALU_DEP_1) | instskip(SKIP_3) | instid1(VALU_DEP_3)
	v_bfi_b32 v14, 0x7fffffff, v14, v16
	v_add_f64 v[43:44], v[49:50], v[47:48]
	v_fma_f64 v[45:46], v[41:42], v[45:46], s[68:69]
	v_mul_f64 v[53:54], v[51:52], s[44:45]
	v_add_f64 v[35:36], v[43:44], -v[49:50]
	s_delay_alu instid0(VALU_DEP_3) | instskip(NEXT) | instid1(VALU_DEP_3)
	v_fma_f64 v[45:46], v[41:42], v[45:46], s[70:71]
	v_fma_f64 v[49:50], v[51:52], s[44:45], -v[53:54]
	s_delay_alu instid0(VALU_DEP_3) | instskip(NEXT) | instid1(VALU_DEP_3)
	v_add_f64 v[35:36], v[47:48], -v[35:36]
	v_fma_f64 v[45:46], v[41:42], v[45:46], s[72:73]
	s_delay_alu instid0(VALU_DEP_3) | instskip(NEXT) | instid1(VALU_DEP_3)
	v_fma_f64 v[47:48], v[51:52], s[46:47], v[49:50]
	v_add_f64 v[33:34], v[33:34], v[35:36]
	s_delay_alu instid0(VALU_DEP_3) | instskip(NEXT) | instid1(VALU_DEP_3)
	v_fma_f64 v[35:36], v[41:42], v[45:46], s[74:75]
	v_add_f64 v[45:46], v[53:54], v[47:48]
	s_delay_alu instid0(VALU_DEP_3) | instskip(NEXT) | instid1(VALU_DEP_3)
	v_add_f64 v[49:50], v[43:44], v[33:34]
	v_fma_f64 v[35:36], v[41:42], v[35:36], s[76:77]
	s_delay_alu instid0(VALU_DEP_3) | instskip(NEXT) | instid1(VALU_DEP_3)
	v_add_f64 v[53:54], v[45:46], -v[53:54]
	v_add_f64 v[51:52], v[45:46], v[49:50]
	s_delay_alu instid0(VALU_DEP_3) | instskip(SKIP_1) | instid1(VALU_DEP_4)
	v_fma_f64 v[35:36], v[41:42], v[35:36], s[78:79]
	v_add_f64 v[43:44], v[49:50], -v[43:44]
	v_add_f64 v[47:48], v[47:48], -v[53:54]
	s_delay_alu instid0(VALU_DEP_4) | instskip(NEXT) | instid1(VALU_DEP_4)
	v_add_f64 v[55:56], v[51:52], -v[45:46]
	v_fma_f64 v[35:36], v[41:42], v[35:36], s[80:81]
	s_delay_alu instid0(VALU_DEP_4) | instskip(NEXT) | instid1(VALU_DEP_3)
	v_add_f64 v[33:34], v[33:34], -v[43:44]
	v_add_f64 v[57:58], v[51:52], -v[55:56]
	s_delay_alu instid0(VALU_DEP_3) | instskip(SKIP_1) | instid1(VALU_DEP_4)
	v_fma_f64 v[35:36], v[41:42], v[35:36], s[82:83]
	v_add_f64 v[43:44], v[49:50], -v[55:56]
	v_add_f64 v[49:50], v[47:48], v[33:34]
	s_delay_alu instid0(VALU_DEP_4) | instskip(NEXT) | instid1(VALU_DEP_4)
	v_add_f64 v[45:46], v[45:46], -v[57:58]
	v_fma_f64 v[35:36], v[41:42], v[35:36], s[84:85]
	s_delay_alu instid0(VALU_DEP_2) | instskip(NEXT) | instid1(VALU_DEP_2)
	v_add_f64 v[43:44], v[43:44], v[45:46]
	v_fma_f64 v[35:36], v[41:42], v[35:36], s[86:87]
	v_add_f64 v[45:46], v[49:50], -v[47:48]
	s_delay_alu instid0(VALU_DEP_3) | instskip(NEXT) | instid1(VALU_DEP_3)
	v_add_f64 v[43:44], v[49:50], v[43:44]
	v_mul_f64 v[35:36], v[41:42], v[35:36]
	s_delay_alu instid0(VALU_DEP_3) | instskip(SKIP_1) | instid1(VALU_DEP_4)
	v_add_f64 v[41:42], v[49:50], -v[45:46]
	v_add_f64 v[33:34], v[33:34], -v[45:46]
	v_add_f64 v[49:50], v[51:52], v[43:44]
	s_delay_alu instid0(VALU_DEP_4) | instskip(NEXT) | instid1(VALU_DEP_4)
	v_fma_f64 v[1:2], v[1:2], v[35:36], v[1:2]
	v_add_f64 v[35:36], v[47:48], -v[41:42]
	s_delay_alu instid0(VALU_DEP_3) | instskip(NEXT) | instid1(VALU_DEP_3)
	v_add_f64 v[41:42], v[49:50], -v[51:52]
	v_add_f64 v[45:46], -v[1:2], s[88:89]
	s_delay_alu instid0(VALU_DEP_3) | instskip(NEXT) | instid1(VALU_DEP_3)
	v_add_f64 v[33:34], v[33:34], v[35:36]
	v_add_f64 v[35:36], v[43:44], -v[41:42]
	s_delay_alu instid0(VALU_DEP_3) | instskip(NEXT) | instid1(VALU_DEP_4)
	v_cndmask_b32_e64 v2, v2, v46, s6
	v_cndmask_b32_e64 v1, v1, v45, s6
	s_delay_alu instid0(VALU_DEP_3) | instskip(NEXT) | instid1(VALU_DEP_2)
	v_add_f64 v[33:34], v[33:34], v[35:36]
	v_add_f64 v[35:36], -v[1:2], s[16:17]
	v_and_b32_e32 v13, 0x54442d18, v3
	v_and_b32_e32 v3, 0x400921fb, v3
	s_delay_alu instid0(VALU_DEP_4) | instskip(NEXT) | instid1(VALU_DEP_4)
	v_add_f64 v[33:34], v[49:50], v[33:34]
	v_dual_cndmask_b32 v1, v1, v35 :: v_dual_cndmask_b32 v2, v2, v36
	v_cmp_ngt_f64_e32 vcc_lo, 0, v[39:40]
	s_delay_alu instid0(VALU_DEP_2) | instskip(NEXT) | instid1(VALU_DEP_3)
	v_cndmask_b32_e64 v13, v1, v13, s8
	v_cndmask_b32_e64 v1, v2, v3, s8
	;; [unrolled: 1-line block ×4, first 2 shown]
	v_cmp_nge_f64_e64 s7, 0, v[39:40]
	s_delay_alu instid0(VALU_DEP_3) | instskip(NEXT) | instid1(VALU_DEP_3)
	v_cndmask_b32_e64 v18, v18, 0x7ff00000, s12
	v_cndmask_b32_e64 v2, v33, 0, s12
	s_delay_alu instid0(VALU_DEP_2)
	v_cndmask_b32_e32 v3, 0x7ff80000, v18, vcc_lo
	s_and_b32 vcc_lo, s11, s10
	v_cndmask_b32_e32 v34, v1, v14, vcc_lo
	v_cndmask_b32_e32 v33, v13, v11, vcc_lo
	v_cndmask_b32_e64 v1, 0, v2, s7
	v_cmp_neq_f64_e64 s7, 0, v[39:40]
	s_delay_alu instid0(VALU_DEP_1)
	v_cndmask_b32_e64 v2, 0xfff00000, v3, s7
.LBB198_97:                             ;   in Loop: Header=BB198_4 Depth=1
	s_or_b32 exec_lo, exec_lo, s9
                                        ; implicit-def: $vgpr37_vgpr38
.LBB198_98:                             ;   in Loop: Header=BB198_4 Depth=1
	s_and_not1_saveexec_b32 s9, s23
	s_cbranch_execz .LBB198_104
; %bb.99:                               ;   in Loop: Header=BB198_4 Depth=1
	s_mov_b32 s10, 0x6a3f9475
	s_mov_b32 s11, 0x20ca2fe7
                                        ; implicit-def: $vgpr1_vgpr2
                                        ; implicit-def: $vgpr33_vgpr34
	s_mov_b32 s7, exec_lo
	v_cmpx_ngt_f64_e32 s[10:11], v[37:38]
	s_xor_b32 s10, exec_lo, s7
	s_cbranch_execz .LBB198_101
; %bb.100:                              ;   in Loop: Header=BB198_4 Depth=1
	v_mul_f64 v[1:2], v[37:38], v[37:38]
	s_mov_b32 s101, s27
	s_mov_b32 s16, s88
	v_cmp_eq_f64_e64 s8, 0, v[15:16]
	v_cmp_class_f64_e64 s11, v[15:16], 0x204
	v_cmp_class_f64_e64 s12, v[13:14], 0x204
	v_cmp_gt_i32_e64 s7, 0, v14
	v_add_f64 v[33:34], v[1:2], 1.0
	s_delay_alu instid0(VALU_DEP_1) | instskip(SKIP_2) | instid1(VALU_DEP_3)
	v_frexp_mant_f64_e32 v[35:36], v[33:34]
	v_frexp_exp_i32_f64_e32 v3, v[33:34]
	v_add_f64 v[37:38], v[33:34], -1.0
	v_cmp_gt_f64_e32 vcc_lo, s[26:27], v[35:36]
	s_delay_alu instid0(VALU_DEP_2) | instskip(SKIP_2) | instid1(VALU_DEP_3)
	v_add_f64 v[35:36], v[37:38], -v[33:34]
	v_add_f64 v[37:38], v[1:2], -v[37:38]
	v_subrev_co_ci_u32_e32 v3, vcc_lo, 0, v3, vcc_lo
	v_add_f64 v[35:36], v[35:36], 1.0
	s_delay_alu instid0(VALU_DEP_2) | instskip(NEXT) | instid1(VALU_DEP_1)
	v_sub_nc_u32_e32 v11, 0, v3
	v_ldexp_f64 v[33:34], v[33:34], v11
	s_delay_alu instid0(VALU_DEP_3) | instskip(NEXT) | instid1(VALU_DEP_2)
	v_add_f64 v[35:36], v[37:38], v[35:36]
	v_add_f64 v[39:40], v[33:34], 1.0
	v_add_f64 v[45:46], v[33:34], -1.0
	s_delay_alu instid0(VALU_DEP_3) | instskip(SKIP_1) | instid1(VALU_DEP_4)
	v_ldexp_f64 v[35:36], v[35:36], v11
	v_cndmask_b32_e64 v11, 0x54442d18, v59, s7
	v_add_f64 v[37:38], v[39:40], -1.0
	s_delay_alu instid0(VALU_DEP_4) | instskip(NEXT) | instid1(VALU_DEP_2)
	v_add_f64 v[47:48], v[45:46], 1.0
	v_add_f64 v[37:38], v[33:34], -v[37:38]
	s_delay_alu instid0(VALU_DEP_2) | instskip(NEXT) | instid1(VALU_DEP_2)
	v_add_f64 v[33:34], v[33:34], -v[47:48]
	v_add_f64 v[37:38], v[35:36], v[37:38]
	s_delay_alu instid0(VALU_DEP_2) | instskip(NEXT) | instid1(VALU_DEP_2)
	v_add_f64 v[33:34], v[35:36], v[33:34]
	v_add_f64 v[41:42], v[39:40], v[37:38]
	s_delay_alu instid0(VALU_DEP_2) | instskip(NEXT) | instid1(VALU_DEP_2)
	v_add_f64 v[47:48], v[45:46], v[33:34]
	v_rcp_f64_e32 v[43:44], v[41:42]
	v_add_f64 v[39:40], v[39:40], -v[41:42]
	s_delay_alu instid0(VALU_DEP_2) | instskip(NEXT) | instid1(VALU_DEP_2)
	v_add_f64 v[45:46], v[45:46], -v[47:48]
	v_add_f64 v[37:38], v[37:38], v[39:40]
	s_waitcnt_depctr 0xfff
	v_fma_f64 v[49:50], -v[41:42], v[43:44], 1.0
	v_add_f64 v[33:34], v[33:34], v[45:46]
	s_delay_alu instid0(VALU_DEP_2) | instskip(NEXT) | instid1(VALU_DEP_1)
	v_fma_f64 v[43:44], v[49:50], v[43:44], v[43:44]
	v_fma_f64 v[35:36], -v[41:42], v[43:44], 1.0
	s_delay_alu instid0(VALU_DEP_1) | instskip(NEXT) | instid1(VALU_DEP_1)
	v_fma_f64 v[35:36], v[35:36], v[43:44], v[43:44]
	v_mul_f64 v[43:44], v[47:48], v[35:36]
	s_delay_alu instid0(VALU_DEP_1) | instskip(NEXT) | instid1(VALU_DEP_1)
	v_mul_f64 v[49:50], v[41:42], v[43:44]
	v_fma_f64 v[39:40], v[43:44], v[41:42], -v[49:50]
	s_delay_alu instid0(VALU_DEP_1) | instskip(NEXT) | instid1(VALU_DEP_1)
	v_fma_f64 v[39:40], v[43:44], v[37:38], v[39:40]
	v_add_f64 v[51:52], v[49:50], v[39:40]
	s_delay_alu instid0(VALU_DEP_1) | instskip(SKIP_2) | instid1(VALU_DEP_3)
	v_add_f64 v[53:54], v[47:48], -v[51:52]
	v_add_f64 v[45:46], v[51:52], -v[49:50]
	v_max_f64 v[49:50], |v[15:16]|, |v[15:16]|
	v_add_f64 v[47:48], v[47:48], -v[53:54]
	s_delay_alu instid0(VALU_DEP_3) | instskip(NEXT) | instid1(VALU_DEP_2)
	v_add_f64 v[39:40], v[45:46], -v[39:40]
	v_add_f64 v[47:48], v[47:48], -v[51:52]
	v_max_f64 v[51:52], |v[13:14]|, |v[13:14]|
	v_cndmask_b32_e64 v13, 0x3fe921fb, v60, s7
	s_delay_alu instid0(VALU_DEP_1) | instskip(NEXT) | instid1(VALU_DEP_4)
	v_bfi_b32 v13, 0x7fffffff, v13, v16
	v_add_f64 v[33:34], v[33:34], v[47:48]
	s_delay_alu instid0(VALU_DEP_4) | instskip(SKIP_1) | instid1(VALU_DEP_3)
	v_max_f64 v[55:56], v[51:52], v[49:50]
	v_min_f64 v[49:50], v[51:52], v[49:50]
	v_add_f64 v[33:34], v[39:40], v[33:34]
	s_delay_alu instid0(VALU_DEP_1) | instskip(NEXT) | instid1(VALU_DEP_1)
	v_add_f64 v[39:40], v[53:54], v[33:34]
	v_mul_f64 v[45:46], v[35:36], v[39:40]
	v_add_f64 v[53:54], v[53:54], -v[39:40]
	s_delay_alu instid0(VALU_DEP_2) | instskip(NEXT) | instid1(VALU_DEP_2)
	v_mul_f64 v[47:48], v[41:42], v[45:46]
	v_add_f64 v[33:34], v[33:34], v[53:54]
	s_delay_alu instid0(VALU_DEP_2) | instskip(NEXT) | instid1(VALU_DEP_1)
	v_fma_f64 v[41:42], v[45:46], v[41:42], -v[47:48]
	v_fma_f64 v[37:38], v[45:46], v[37:38], v[41:42]
	v_div_scale_f64 v[41:42], null, v[55:56], v[55:56], v[49:50]
	s_delay_alu instid0(VALU_DEP_2) | instskip(NEXT) | instid1(VALU_DEP_2)
	v_add_f64 v[51:52], v[47:48], v[37:38]
	v_rcp_f64_e32 v[57:58], v[41:42]
	s_delay_alu instid0(VALU_DEP_1)
	v_add_f64 v[61:62], v[39:40], -v[51:52]
	v_add_f64 v[47:48], v[51:52], -v[47:48]
	s_waitcnt_depctr 0xfff
	v_fma_f64 v[63:64], -v[41:42], v[57:58], 1.0
	v_add_f64 v[39:40], v[39:40], -v[61:62]
	v_add_f64 v[37:38], v[47:48], -v[37:38]
	s_delay_alu instid0(VALU_DEP_3) | instskip(NEXT) | instid1(VALU_DEP_3)
	v_fma_f64 v[57:58], v[57:58], v[63:64], v[57:58]
	v_add_f64 v[39:40], v[39:40], -v[51:52]
	s_delay_alu instid0(VALU_DEP_2) | instskip(NEXT) | instid1(VALU_DEP_2)
	v_fma_f64 v[51:52], -v[41:42], v[57:58], 1.0
	v_add_f64 v[33:34], v[33:34], v[39:40]
	v_div_scale_f64 v[39:40], vcc_lo, v[49:50], v[55:56], v[49:50]
	s_delay_alu instid0(VALU_DEP_3) | instskip(SKIP_1) | instid1(VALU_DEP_4)
	v_fma_f64 v[47:48], v[57:58], v[51:52], v[57:58]
	v_add_f64 v[51:52], v[43:44], v[45:46]
	v_add_f64 v[33:34], v[37:38], v[33:34]
	s_delay_alu instid0(VALU_DEP_3) | instskip(NEXT) | instid1(VALU_DEP_3)
	v_mul_f64 v[37:38], v[39:40], v[47:48]
	v_add_f64 v[43:44], v[51:52], -v[43:44]
	s_delay_alu instid0(VALU_DEP_3) | instskip(NEXT) | instid1(VALU_DEP_3)
	v_add_f64 v[33:34], v[61:62], v[33:34]
	v_fma_f64 v[39:40], -v[41:42], v[37:38], v[39:40]
	s_delay_alu instid0(VALU_DEP_3) | instskip(NEXT) | instid1(VALU_DEP_3)
	v_add_f64 v[41:42], v[45:46], -v[43:44]
	v_mul_f64 v[33:34], v[35:36], v[33:34]
	s_delay_alu instid0(VALU_DEP_3) | instskip(SKIP_1) | instid1(VALU_DEP_3)
	v_div_fmas_f64 v[35:36], v[39:40], v[47:48], v[37:38]
	v_cmp_eq_f64_e32 vcc_lo, 0x7ff00000, v[1:2]
	v_add_f64 v[33:34], v[41:42], v[33:34]
	s_delay_alu instid0(VALU_DEP_3) | instskip(NEXT) | instid1(VALU_DEP_2)
	v_div_fixup_f64 v[35:36], v[35:36], v[55:56], v[49:50]
	v_add_f64 v[37:38], v[51:52], v[33:34]
	s_delay_alu instid0(VALU_DEP_2) | instskip(NEXT) | instid1(VALU_DEP_2)
	v_mul_f64 v[39:40], v[35:36], v[35:36]
	v_mul_f64 v[41:42], v[37:38], v[37:38]
	s_delay_alu instid0(VALU_DEP_2) | instskip(NEXT) | instid1(VALU_DEP_2)
	v_fma_f64 v[43:44], v[39:40], s[50:51], s[48:49]
	v_fma_f64 v[45:46], v[41:42], s[30:31], s[28:29]
	v_mul_f64 v[47:48], v[37:38], v[41:42]
	s_delay_alu instid0(VALU_DEP_3) | instskip(NEXT) | instid1(VALU_DEP_3)
	v_fma_f64 v[43:44], v[39:40], v[43:44], s[52:53]
	v_fma_f64 v[45:46], v[41:42], v[45:46], s[36:37]
	s_delay_alu instid0(VALU_DEP_2) | instskip(NEXT) | instid1(VALU_DEP_2)
	v_fma_f64 v[43:44], v[39:40], v[43:44], s[54:55]
	v_fma_f64 v[45:46], v[41:42], v[45:46], s[38:39]
	s_delay_alu instid0(VALU_DEP_2) | instskip(NEXT) | instid1(VALU_DEP_2)
	;; [unrolled: 3-line block ×4, first 2 shown]
	v_fma_f64 v[43:44], v[39:40], v[43:44], s[60:61]
	v_fma_f64 v[41:42], v[41:42], v[45:46], s[100:101]
	v_ldexp_f64 v[45:46], v[37:38], 1
	v_add_f64 v[37:38], v[37:38], -v[51:52]
	s_delay_alu instid0(VALU_DEP_4) | instskip(NEXT) | instid1(VALU_DEP_4)
	v_fma_f64 v[43:44], v[39:40], v[43:44], s[62:63]
	v_mul_f64 v[41:42], v[47:48], v[41:42]
	v_cvt_f64_i32_e32 v[47:48], v3
	s_delay_alu instid0(VALU_DEP_4) | instskip(NEXT) | instid1(VALU_DEP_4)
	v_add_f64 v[33:34], v[33:34], -v[37:38]
	v_fma_f64 v[43:44], v[39:40], v[43:44], s[64:65]
	v_ashrrev_i32_e32 v3, 31, v14
	v_add_f64 v[49:50], v[45:46], v[41:42]
	v_mul_f64 v[51:52], v[47:48], s[44:45]
	v_ldexp_f64 v[33:34], v[33:34], 1
	v_fma_f64 v[43:44], v[39:40], v[43:44], s[66:67]
	s_delay_alu instid0(VALU_DEP_4) | instskip(NEXT) | instid1(VALU_DEP_4)
	v_add_f64 v[37:38], v[49:50], -v[45:46]
	v_fma_f64 v[45:46], v[47:48], s[44:45], -v[51:52]
	s_delay_alu instid0(VALU_DEP_3) | instskip(NEXT) | instid1(VALU_DEP_3)
	v_fma_f64 v[43:44], v[39:40], v[43:44], s[68:69]
	v_add_f64 v[37:38], v[41:42], -v[37:38]
	s_delay_alu instid0(VALU_DEP_2) | instskip(NEXT) | instid1(VALU_DEP_4)
	v_fma_f64 v[41:42], v[39:40], v[43:44], s[70:71]
	v_fma_f64 v[43:44], v[47:48], s[46:47], v[45:46]
	s_delay_alu instid0(VALU_DEP_3) | instskip(NEXT) | instid1(VALU_DEP_3)
	v_add_f64 v[33:34], v[33:34], v[37:38]
	v_fma_f64 v[37:38], v[39:40], v[41:42], s[72:73]
	s_delay_alu instid0(VALU_DEP_3) | instskip(NEXT) | instid1(VALU_DEP_3)
	v_add_f64 v[41:42], v[51:52], v[43:44]
	v_add_f64 v[45:46], v[49:50], v[33:34]
	s_delay_alu instid0(VALU_DEP_3) | instskip(NEXT) | instid1(VALU_DEP_3)
	v_fma_f64 v[37:38], v[39:40], v[37:38], s[74:75]
	v_add_f64 v[51:52], v[41:42], -v[51:52]
	s_delay_alu instid0(VALU_DEP_3) | instskip(SKIP_1) | instid1(VALU_DEP_4)
	v_add_f64 v[47:48], v[41:42], v[45:46]
	v_add_f64 v[49:50], v[45:46], -v[49:50]
	v_fma_f64 v[37:38], v[39:40], v[37:38], s[76:77]
	s_delay_alu instid0(VALU_DEP_4) | instskip(NEXT) | instid1(VALU_DEP_4)
	v_add_f64 v[43:44], v[43:44], -v[51:52]
	v_add_f64 v[53:54], v[47:48], -v[41:42]
	s_delay_alu instid0(VALU_DEP_4) | instskip(NEXT) | instid1(VALU_DEP_4)
	v_add_f64 v[33:34], v[33:34], -v[49:50]
	v_fma_f64 v[37:38], v[39:40], v[37:38], s[78:79]
	s_delay_alu instid0(VALU_DEP_3) | instskip(SKIP_1) | instid1(VALU_DEP_4)
	v_add_f64 v[55:56], v[47:48], -v[53:54]
	v_add_f64 v[45:46], v[45:46], -v[53:54]
	v_add_f64 v[49:50], v[43:44], v[33:34]
	s_delay_alu instid0(VALU_DEP_4) | instskip(NEXT) | instid1(VALU_DEP_4)
	v_fma_f64 v[37:38], v[39:40], v[37:38], s[80:81]
	v_add_f64 v[41:42], v[41:42], -v[55:56]
	s_delay_alu instid0(VALU_DEP_2) | instskip(NEXT) | instid1(VALU_DEP_2)
	v_fma_f64 v[37:38], v[39:40], v[37:38], s[82:83]
	v_add_f64 v[41:42], v[45:46], v[41:42]
	v_add_f64 v[45:46], v[49:50], -v[43:44]
	s_delay_alu instid0(VALU_DEP_3) | instskip(NEXT) | instid1(VALU_DEP_3)
	v_fma_f64 v[37:38], v[39:40], v[37:38], s[84:85]
	v_add_f64 v[41:42], v[49:50], v[41:42]
	s_delay_alu instid0(VALU_DEP_3) | instskip(SKIP_1) | instid1(VALU_DEP_4)
	v_add_f64 v[49:50], v[49:50], -v[45:46]
	v_add_f64 v[33:34], v[33:34], -v[45:46]
	v_fma_f64 v[37:38], v[39:40], v[37:38], s[86:87]
	s_delay_alu instid0(VALU_DEP_4) | instskip(NEXT) | instid1(VALU_DEP_2)
	v_add_f64 v[51:52], v[47:48], v[41:42]
	v_mul_f64 v[37:38], v[39:40], v[37:38]
	v_add_f64 v[39:40], v[43:44], -v[49:50]
	s_delay_alu instid0(VALU_DEP_3) | instskip(NEXT) | instid1(VALU_DEP_3)
	v_add_f64 v[43:44], v[51:52], -v[47:48]
	v_fma_f64 v[35:36], v[35:36], v[37:38], v[35:36]
	s_delay_alu instid0(VALU_DEP_3) | instskip(NEXT) | instid1(VALU_DEP_3)
	v_add_f64 v[33:34], v[33:34], v[39:40]
	v_add_f64 v[37:38], v[41:42], -v[43:44]
	s_delay_alu instid0(VALU_DEP_3) | instskip(NEXT) | instid1(VALU_DEP_2)
	v_add_f64 v[39:40], -v[35:36], s[88:89]
	v_add_f64 v[33:34], v[33:34], v[37:38]
	s_delay_alu instid0(VALU_DEP_2) | instskip(NEXT) | instid1(VALU_DEP_3)
	v_cndmask_b32_e64 v36, v36, v40, s6
	v_cndmask_b32_e64 v35, v35, v39, s6
	s_delay_alu instid0(VALU_DEP_1) | instskip(NEXT) | instid1(VALU_DEP_4)
	v_add_f64 v[37:38], -v[35:36], s[16:17]
	v_add_f64 v[33:34], v[51:52], v[33:34]
	v_and_b32_e32 v18, 0x54442d18, v3
	v_and_b32_e32 v3, 0x400921fb, v3
	s_delay_alu instid0(VALU_DEP_4) | instskip(SKIP_1) | instid1(VALU_DEP_1)
	v_cndmask_b32_e64 v35, v35, v37, s7
	v_cndmask_b32_e64 v14, v36, v38, s7
                                        ; implicit-def: $vgpr37_vgpr38
	v_cndmask_b32_e64 v3, v14, v3, s8
	v_dual_cndmask_b32 v1, v33, v1 :: v_dual_cndmask_b32 v2, v34, v2
	s_delay_alu instid0(VALU_DEP_4) | instskip(SKIP_1) | instid1(VALU_DEP_3)
	v_cndmask_b32_e64 v18, v35, v18, s8
	s_and_b32 vcc_lo, s11, s12
	v_cndmask_b32_e32 v34, v3, v13, vcc_lo
	s_delay_alu instid0(VALU_DEP_3) | instskip(NEXT) | instid1(VALU_DEP_3)
	v_mul_f64 v[1:2], v[1:2], 0.5
	v_cndmask_b32_e32 v33, v18, v11, vcc_lo
.LBB198_101:                            ;   in Loop: Header=BB198_4 Depth=1
	s_and_not1_saveexec_b32 s8, s10
	s_cbranch_execz .LBB198_103
; %bb.102:                              ;   in Loop: Header=BB198_4 Depth=1
	v_max_f64 v[1:2], |v[15:16]|, |v[15:16]|
	v_max_f64 v[33:34], |v[13:14]|, |v[13:14]|
	s_mov_b32 s16, s88
	v_cmp_class_f64_e64 s10, v[15:16], 0x204
	v_cmp_class_f64_e64 s11, v[13:14], 0x204
	v_cmp_eq_f64_e64 s7, 0, v[15:16]
	v_ashrrev_i32_e32 v11, 31, v14
	v_max_f64 v[35:36], v[33:34], v[1:2]
	v_min_f64 v[1:2], v[33:34], v[1:2]
	s_delay_alu instid0(VALU_DEP_1) | instskip(SKIP_1) | instid1(VALU_DEP_2)
	v_div_scale_f64 v[33:34], null, v[35:36], v[35:36], v[1:2]
	v_div_scale_f64 v[43:44], vcc_lo, v[1:2], v[35:36], v[1:2]
	v_rcp_f64_e32 v[39:40], v[33:34]
	s_waitcnt_depctr 0xfff
	v_fma_f64 v[41:42], -v[33:34], v[39:40], 1.0
	s_delay_alu instid0(VALU_DEP_1) | instskip(NEXT) | instid1(VALU_DEP_1)
	v_fma_f64 v[39:40], v[39:40], v[41:42], v[39:40]
	v_fma_f64 v[41:42], -v[33:34], v[39:40], 1.0
	s_delay_alu instid0(VALU_DEP_1) | instskip(NEXT) | instid1(VALU_DEP_1)
	v_fma_f64 v[39:40], v[39:40], v[41:42], v[39:40]
	v_mul_f64 v[41:42], v[43:44], v[39:40]
	s_delay_alu instid0(VALU_DEP_1) | instskip(NEXT) | instid1(VALU_DEP_1)
	v_fma_f64 v[33:34], -v[33:34], v[41:42], v[43:44]
	v_div_fmas_f64 v[33:34], v[33:34], v[39:40], v[41:42]
	v_cmp_gt_i32_e32 vcc_lo, 0, v14
	v_cndmask_b32_e32 v13, 0x3fe921fb, v60, vcc_lo
	v_cndmask_b32_e32 v18, 0x54442d18, v59, vcc_lo
	s_delay_alu instid0(VALU_DEP_2) | instskip(SKIP_1) | instid1(VALU_DEP_1)
	v_bfi_b32 v13, 0x7fffffff, v13, v16
	v_div_fixup_f64 v[1:2], v[33:34], v[35:36], v[1:2]
	v_mul_f64 v[33:34], v[1:2], v[1:2]
	s_delay_alu instid0(VALU_DEP_1) | instskip(NEXT) | instid1(VALU_DEP_1)
	v_fma_f64 v[35:36], v[33:34], s[50:51], s[48:49]
	v_fma_f64 v[35:36], v[33:34], v[35:36], s[52:53]
	s_delay_alu instid0(VALU_DEP_1) | instskip(NEXT) | instid1(VALU_DEP_1)
	v_fma_f64 v[35:36], v[33:34], v[35:36], s[54:55]
	v_fma_f64 v[35:36], v[33:34], v[35:36], s[56:57]
	;; [unrolled: 3-line block ×9, first 2 shown]
	s_delay_alu instid0(VALU_DEP_1) | instskip(NEXT) | instid1(VALU_DEP_1)
	v_fma_f64 v[35:36], v[33:34], v[35:36], s[86:87]
	v_mul_f64 v[33:34], v[33:34], v[35:36]
	v_mul_f64 v[35:36], v[37:38], 0.5
	s_delay_alu instid0(VALU_DEP_2) | instskip(NEXT) | instid1(VALU_DEP_1)
	v_fma_f64 v[1:2], v[1:2], v[33:34], v[1:2]
	v_add_f64 v[33:34], -v[1:2], s[88:89]
	s_delay_alu instid0(VALU_DEP_1) | instskip(NEXT) | instid1(VALU_DEP_2)
	v_cndmask_b32_e64 v3, v2, v34, s6
	v_cndmask_b32_e64 v2, v1, v33, s6
	s_delay_alu instid0(VALU_DEP_1) | instskip(NEXT) | instid1(VALU_DEP_1)
	v_add_f64 v[33:34], -v[2:3], s[16:17]
	v_cndmask_b32_e32 v33, v2, v33, vcc_lo
	v_mul_f64 v[1:2], v[37:38], v[35:36]
	s_delay_alu instid0(VALU_DEP_3) | instskip(SKIP_3) | instid1(VALU_DEP_1)
	v_cndmask_b32_e32 v3, v3, v34, vcc_lo
	s_and_b32 vcc_lo, s10, s11
	v_and_b32_e32 v39, 0x54442d18, v11
	v_and_b32_e32 v11, 0x400921fb, v11
	v_cndmask_b32_e64 v3, v3, v11, s7
	s_delay_alu instid0(VALU_DEP_1) | instskip(NEXT) | instid1(VALU_DEP_4)
	v_cndmask_b32_e32 v34, v3, v13, vcc_lo
	v_cndmask_b32_e64 v14, v33, v39, s7
	s_delay_alu instid0(VALU_DEP_1)
	v_cndmask_b32_e32 v33, v14, v18, vcc_lo
.LBB198_103:                            ;   in Loop: Header=BB198_4 Depth=1
	s_or_b32 exec_lo, exec_lo, s8
.LBB198_104:                            ;   in Loop: Header=BB198_4 Depth=1
	s_delay_alu instid0(SALU_CYCLE_1)
	s_or_b32 exec_lo, exec_lo, s9
.LBB198_105:                            ;   in Loop: Header=BB198_4 Depth=1
	s_and_not1_saveexec_b32 s9, s22
	s_cbranch_execz .LBB198_107
; %bb.106:                              ;   in Loop: Header=BB198_4 Depth=1
	v_div_scale_f64 v[1:2], null, s[94:95], s[94:95], v[13:14]
	v_div_scale_f64 v[33:34], null, s[94:95], s[94:95], v[15:16]
	v_div_scale_f64 v[43:44], vcc_lo, v[13:14], s[94:95], v[13:14]
	v_max_f64 v[47:48], |v[13:14]|, |v[13:14]|
	s_mov_b32 s101, s27
	s_mov_b32 s16, s88
	s_delay_alu instid0(VALU_DEP_4) | instskip(NEXT) | instid1(VALU_DEP_3)
	v_rcp_f64_e32 v[35:36], v[1:2]
	v_rcp_f64_e32 v[37:38], v[33:34]
	s_waitcnt_depctr 0xfff
	v_fma_f64 v[39:40], -v[1:2], v[35:36], 1.0
	v_fma_f64 v[41:42], -v[33:34], v[37:38], 1.0
	s_delay_alu instid0(VALU_DEP_2) | instskip(NEXT) | instid1(VALU_DEP_2)
	v_fma_f64 v[35:36], v[35:36], v[39:40], v[35:36]
	v_fma_f64 v[37:38], v[37:38], v[41:42], v[37:38]
	s_delay_alu instid0(VALU_DEP_2) | instskip(NEXT) | instid1(VALU_DEP_2)
	v_fma_f64 v[39:40], -v[1:2], v[35:36], 1.0
	v_fma_f64 v[41:42], -v[33:34], v[37:38], 1.0
	s_delay_alu instid0(VALU_DEP_2) | instskip(SKIP_1) | instid1(VALU_DEP_3)
	v_fma_f64 v[35:36], v[35:36], v[39:40], v[35:36]
	v_div_scale_f64 v[39:40], s7, v[15:16], s[94:95], v[15:16]
	v_fma_f64 v[37:38], v[37:38], v[41:42], v[37:38]
	s_delay_alu instid0(VALU_DEP_3) | instskip(NEXT) | instid1(VALU_DEP_2)
	v_mul_f64 v[41:42], v[43:44], v[35:36]
	v_mul_f64 v[45:46], v[39:40], v[37:38]
	s_delay_alu instid0(VALU_DEP_2) | instskip(NEXT) | instid1(VALU_DEP_2)
	v_fma_f64 v[1:2], -v[1:2], v[41:42], v[43:44]
	v_fma_f64 v[33:34], -v[33:34], v[45:46], v[39:40]
	s_delay_alu instid0(VALU_DEP_2) | instskip(SKIP_1) | instid1(VALU_DEP_2)
	v_div_fmas_f64 v[1:2], v[1:2], v[35:36], v[41:42]
	s_mov_b32 vcc_lo, s7
	v_div_fmas_f64 v[33:34], v[33:34], v[37:38], v[45:46]
	s_delay_alu instid0(VALU_DEP_2) | instskip(NEXT) | instid1(VALU_DEP_2)
	v_div_fixup_f64 v[1:2], v[1:2], s[94:95], v[13:14]
	v_div_fixup_f64 v[33:34], v[33:34], s[94:95], v[15:16]
	s_delay_alu instid0(VALU_DEP_2) | instskip(NEXT) | instid1(VALU_DEP_2)
	v_cmp_class_f64_e64 s8, v[1:2], 0x204
	v_max_f64 v[35:36], |v[1:2]|, |v[33:34]|
	v_cmp_o_f64_e64 s7, v[1:2], v[33:34]
	v_cmp_class_f64_e64 s10, v[33:34], 0x204
	s_delay_alu instid0(VALU_DEP_3) | instskip(NEXT) | instid1(VALU_DEP_2)
	v_frexp_exp_i32_f64_e32 v3, v[35:36]
	s_or_b32 s10, s10, s8
	s_delay_alu instid0(VALU_DEP_1) | instskip(NEXT) | instid1(VALU_DEP_1)
	v_sub_nc_u32_e32 v11, 0, v3
	v_ldexp_f64 v[35:36], |v[33:34]|, v11
	v_ldexp_f64 v[37:38], |v[1:2]|, v11
	s_delay_alu instid0(VALU_DEP_2) | instskip(NEXT) | instid1(VALU_DEP_1)
	v_mul_f64 v[35:36], v[35:36], v[35:36]
	v_fma_f64 v[35:36], v[37:38], v[37:38], v[35:36]
	s_delay_alu instid0(VALU_DEP_1) | instskip(SKIP_4) | instid1(VALU_DEP_1)
	v_rsq_f64_e32 v[37:38], v[35:36]
	v_cmp_eq_f64_e32 vcc_lo, 0, v[35:36]
	s_waitcnt_depctr 0xfff
	v_mul_f64 v[39:40], v[35:36], v[37:38]
	v_mul_f64 v[37:38], v[37:38], 0.5
	v_fma_f64 v[41:42], -v[37:38], v[39:40], 0.5
	s_delay_alu instid0(VALU_DEP_1) | instskip(SKIP_1) | instid1(VALU_DEP_2)
	v_fma_f64 v[39:40], v[39:40], v[41:42], v[39:40]
	v_fma_f64 v[37:38], v[37:38], v[41:42], v[37:38]
	v_fma_f64 v[41:42], -v[39:40], v[39:40], v[35:36]
	s_delay_alu instid0(VALU_DEP_1) | instskip(NEXT) | instid1(VALU_DEP_1)
	v_fma_f64 v[37:38], v[41:42], v[37:38], v[39:40]
	v_dual_cndmask_b32 v36, v38, v36 :: v_dual_cndmask_b32 v35, v37, v35
	s_delay_alu instid0(VALU_DEP_1) | instskip(NEXT) | instid1(VALU_DEP_1)
	v_ldexp_f64 v[35:36], v[35:36], v3
	v_cndmask_b32_e64 v1, 0, v35, s7
	s_delay_alu instid0(VALU_DEP_2) | instskip(NEXT) | instid1(VALU_DEP_2)
	v_cndmask_b32_e64 v11, 0x7ff80000, v36, s7
	v_cndmask_b32_e64 v2, v1, 0, s10
	s_delay_alu instid0(VALU_DEP_2) | instskip(NEXT) | instid1(VALU_DEP_1)
	v_cndmask_b32_e64 v3, v11, 0x7ff00000, s10
	v_frexp_mant_f64_e32 v[33:34], v[2:3]
	s_delay_alu instid0(VALU_DEP_1) | instskip(NEXT) | instid1(VALU_DEP_1)
	v_cmp_gt_f64_e64 s8, s[26:27], v[33:34]
	v_cndmask_b32_e64 v18, 0x3ff00000, 2.0, s8
	s_delay_alu instid0(VALU_DEP_1) | instskip(SKIP_1) | instid1(VALU_DEP_2)
	v_mul_f64 v[33:34], v[33:34], v[17:18]
	v_frexp_exp_i32_f64_e32 v18, v[2:3]
	v_add_f64 v[37:38], v[33:34], 1.0
	v_add_f64 v[43:44], v[33:34], -1.0
	s_delay_alu instid0(VALU_DEP_2) | instskip(SKIP_1) | instid1(VALU_DEP_1)
	v_rcp_f64_e32 v[39:40], v[37:38]
	v_add_f64 v[49:50], v[37:38], -1.0
	v_add_f64 v[33:34], v[33:34], -v[49:50]
	s_waitcnt_depctr 0xfff
	v_fma_f64 v[41:42], -v[37:38], v[39:40], 1.0
	s_delay_alu instid0(VALU_DEP_1) | instskip(NEXT) | instid1(VALU_DEP_1)
	v_fma_f64 v[39:40], v[41:42], v[39:40], v[39:40]
	v_fma_f64 v[41:42], -v[37:38], v[39:40], 1.0
	s_delay_alu instid0(VALU_DEP_1) | instskip(SKIP_1) | instid1(VALU_DEP_2)
	v_fma_f64 v[39:40], v[41:42], v[39:40], v[39:40]
	v_max_f64 v[41:42], |v[15:16]|, |v[15:16]|
	v_mul_f64 v[45:46], v[43:44], v[39:40]
	s_delay_alu instid0(VALU_DEP_2) | instskip(SKIP_1) | instid1(VALU_DEP_3)
	v_max_f64 v[53:54], v[47:48], v[41:42]
	v_min_f64 v[41:42], v[47:48], v[41:42]
	v_mul_f64 v[51:52], v[37:38], v[45:46]
	s_delay_alu instid0(VALU_DEP_2) | instskip(NEXT) | instid1(VALU_DEP_2)
	v_div_scale_f64 v[47:48], null, v[53:54], v[53:54], v[41:42]
	v_fma_f64 v[37:38], v[45:46], v[37:38], -v[51:52]
	s_delay_alu instid0(VALU_DEP_1) | instskip(NEXT) | instid1(VALU_DEP_3)
	v_fma_f64 v[33:34], v[45:46], v[33:34], v[37:38]
	v_rcp_f64_e32 v[37:38], v[47:48]
	s_delay_alu instid0(VALU_DEP_1) | instskip(SKIP_4) | instid1(VALU_DEP_3)
	v_add_f64 v[49:50], v[51:52], v[33:34]
	s_waitcnt_depctr 0xfff
	v_fma_f64 v[55:56], -v[47:48], v[37:38], 1.0
	v_add_f64 v[57:58], v[43:44], -v[49:50]
	v_add_f64 v[51:52], v[49:50], -v[51:52]
	v_fma_f64 v[37:38], v[37:38], v[55:56], v[37:38]
	s_delay_alu instid0(VALU_DEP_3) | instskip(NEXT) | instid1(VALU_DEP_3)
	v_add_f64 v[43:44], v[43:44], -v[57:58]
	v_add_f64 v[33:34], v[51:52], -v[33:34]
	s_delay_alu instid0(VALU_DEP_3) | instskip(NEXT) | instid1(VALU_DEP_3)
	v_fma_f64 v[55:56], -v[47:48], v[37:38], 1.0
	v_add_f64 v[43:44], v[43:44], -v[49:50]
	v_div_scale_f64 v[49:50], vcc_lo, v[41:42], v[53:54], v[41:42]
	s_delay_alu instid0(VALU_DEP_3) | instskip(NEXT) | instid1(VALU_DEP_3)
	v_fma_f64 v[37:38], v[37:38], v[55:56], v[37:38]
	v_add_f64 v[33:34], v[33:34], v[43:44]
	s_delay_alu instid0(VALU_DEP_2) | instskip(NEXT) | instid1(VALU_DEP_2)
	v_mul_f64 v[43:44], v[49:50], v[37:38]
	v_add_f64 v[33:34], v[57:58], v[33:34]
	s_delay_alu instid0(VALU_DEP_2) | instskip(NEXT) | instid1(VALU_DEP_2)
	v_fma_f64 v[47:48], -v[47:48], v[43:44], v[49:50]
	v_mul_f64 v[33:34], v[39:40], v[33:34]
	s_delay_alu instid0(VALU_DEP_2) | instskip(SKIP_2) | instid1(VALU_DEP_4)
	v_div_fmas_f64 v[37:38], v[47:48], v[37:38], v[43:44]
	v_subrev_co_ci_u32_e64 v18, vcc_lo, 0, v18, s8
	v_cmp_class_f64_e64 s8, v[13:14], 0x204
	v_add_f64 v[39:40], v[45:46], v[33:34]
	s_delay_alu instid0(VALU_DEP_4) | instskip(NEXT) | instid1(VALU_DEP_2)
	v_div_fixup_f64 v[37:38], v[37:38], v[53:54], v[41:42]
	v_mul_f64 v[41:42], v[39:40], v[39:40]
	s_delay_alu instid0(VALU_DEP_2) | instskip(NEXT) | instid1(VALU_DEP_2)
	v_mul_f64 v[43:44], v[37:38], v[37:38]
	v_fma_f64 v[47:48], v[41:42], s[30:31], s[28:29]
	v_mul_f64 v[51:52], v[39:40], v[41:42]
	s_delay_alu instid0(VALU_DEP_3) | instskip(NEXT) | instid1(VALU_DEP_3)
	v_fma_f64 v[49:50], v[43:44], s[50:51], s[48:49]
	v_fma_f64 v[47:48], v[41:42], v[47:48], s[36:37]
	s_delay_alu instid0(VALU_DEP_2) | instskip(NEXT) | instid1(VALU_DEP_2)
	v_fma_f64 v[49:50], v[43:44], v[49:50], s[52:53]
	v_fma_f64 v[47:48], v[41:42], v[47:48], s[38:39]
	s_delay_alu instid0(VALU_DEP_2) | instskip(NEXT) | instid1(VALU_DEP_2)
	;; [unrolled: 3-line block ×4, first 2 shown]
	v_fma_f64 v[49:50], v[43:44], v[49:50], s[58:59]
	v_fma_f64 v[41:42], v[41:42], v[47:48], s[100:101]
	s_delay_alu instid0(VALU_DEP_2) | instskip(SKIP_2) | instid1(VALU_DEP_4)
	v_fma_f64 v[47:48], v[43:44], v[49:50], s[60:61]
	v_ldexp_f64 v[49:50], v[39:40], 1
	v_add_f64 v[39:40], v[39:40], -v[45:46]
	v_mul_f64 v[41:42], v[51:52], v[41:42]
	v_cvt_f64_i32_e32 v[51:52], v18
	v_ashrrev_i32_e32 v18, 31, v14
	v_fma_f64 v[47:48], v[43:44], v[47:48], s[62:63]
	v_add_f64 v[33:34], v[33:34], -v[39:40]
	v_add_f64 v[45:46], v[49:50], v[41:42]
	v_mul_f64 v[53:54], v[51:52], s[44:45]
	s_delay_alu instid0(VALU_DEP_4) | instskip(NEXT) | instid1(VALU_DEP_4)
	v_fma_f64 v[47:48], v[43:44], v[47:48], s[64:65]
	v_ldexp_f64 v[33:34], v[33:34], 1
	s_delay_alu instid0(VALU_DEP_4) | instskip(NEXT) | instid1(VALU_DEP_4)
	v_add_f64 v[39:40], v[45:46], -v[49:50]
	v_fma_f64 v[49:50], v[51:52], s[44:45], -v[53:54]
	s_delay_alu instid0(VALU_DEP_4) | instskip(NEXT) | instid1(VALU_DEP_3)
	v_fma_f64 v[47:48], v[43:44], v[47:48], s[66:67]
	v_add_f64 v[39:40], v[41:42], -v[39:40]
	s_delay_alu instid0(VALU_DEP_2) | instskip(NEXT) | instid1(VALU_DEP_4)
	v_fma_f64 v[41:42], v[43:44], v[47:48], s[68:69]
	v_fma_f64 v[47:48], v[51:52], s[46:47], v[49:50]
	s_delay_alu instid0(VALU_DEP_3) | instskip(NEXT) | instid1(VALU_DEP_3)
	v_add_f64 v[33:34], v[33:34], v[39:40]
	v_fma_f64 v[39:40], v[43:44], v[41:42], s[70:71]
	s_delay_alu instid0(VALU_DEP_3) | instskip(NEXT) | instid1(VALU_DEP_3)
	v_add_f64 v[41:42], v[53:54], v[47:48]
	v_add_f64 v[49:50], v[45:46], v[33:34]
	s_delay_alu instid0(VALU_DEP_3) | instskip(NEXT) | instid1(VALU_DEP_3)
	v_fma_f64 v[39:40], v[43:44], v[39:40], s[72:73]
	v_add_f64 v[53:54], v[41:42], -v[53:54]
	s_delay_alu instid0(VALU_DEP_3) | instskip(SKIP_1) | instid1(VALU_DEP_4)
	v_add_f64 v[51:52], v[41:42], v[49:50]
	v_add_f64 v[45:46], v[49:50], -v[45:46]
	v_fma_f64 v[39:40], v[43:44], v[39:40], s[74:75]
	s_delay_alu instid0(VALU_DEP_4) | instskip(NEXT) | instid1(VALU_DEP_4)
	v_add_f64 v[47:48], v[47:48], -v[53:54]
	v_add_f64 v[55:56], v[51:52], -v[41:42]
	s_delay_alu instid0(VALU_DEP_4) | instskip(NEXT) | instid1(VALU_DEP_4)
	v_add_f64 v[33:34], v[33:34], -v[45:46]
	v_fma_f64 v[39:40], v[43:44], v[39:40], s[76:77]
	s_delay_alu instid0(VALU_DEP_3) | instskip(SKIP_1) | instid1(VALU_DEP_4)
	v_add_f64 v[57:58], v[51:52], -v[55:56]
	v_add_f64 v[45:46], v[49:50], -v[55:56]
	v_add_f64 v[49:50], v[47:48], v[33:34]
	s_delay_alu instid0(VALU_DEP_4) | instskip(NEXT) | instid1(VALU_DEP_4)
	v_fma_f64 v[39:40], v[43:44], v[39:40], s[78:79]
	v_add_f64 v[41:42], v[41:42], -v[57:58]
	s_delay_alu instid0(VALU_DEP_2) | instskip(NEXT) | instid1(VALU_DEP_2)
	v_fma_f64 v[39:40], v[43:44], v[39:40], s[80:81]
	v_add_f64 v[41:42], v[45:46], v[41:42]
	v_add_f64 v[45:46], v[49:50], -v[47:48]
	s_delay_alu instid0(VALU_DEP_3) | instskip(NEXT) | instid1(VALU_DEP_3)
	v_fma_f64 v[39:40], v[43:44], v[39:40], s[82:83]
	v_add_f64 v[41:42], v[49:50], v[41:42]
	s_delay_alu instid0(VALU_DEP_3) | instskip(SKIP_1) | instid1(VALU_DEP_4)
	v_add_f64 v[49:50], v[49:50], -v[45:46]
	v_add_f64 v[33:34], v[33:34], -v[45:46]
	v_fma_f64 v[39:40], v[43:44], v[39:40], s[84:85]
	s_delay_alu instid0(VALU_DEP_4) | instskip(NEXT) | instid1(VALU_DEP_4)
	v_add_f64 v[53:54], v[51:52], v[41:42]
	v_add_f64 v[45:46], v[47:48], -v[49:50]
	s_delay_alu instid0(VALU_DEP_3) | instskip(NEXT) | instid1(VALU_DEP_3)
	v_fma_f64 v[39:40], v[43:44], v[39:40], s[86:87]
	v_add_f64 v[47:48], v[53:54], -v[51:52]
	s_delay_alu instid0(VALU_DEP_3) | instskip(NEXT) | instid1(VALU_DEP_3)
	v_add_f64 v[33:34], v[33:34], v[45:46]
	v_mul_f64 v[39:40], v[43:44], v[39:40]
	s_delay_alu instid0(VALU_DEP_3) | instskip(NEXT) | instid1(VALU_DEP_2)
	v_add_f64 v[41:42], v[41:42], -v[47:48]
	v_fma_f64 v[37:38], v[37:38], v[39:40], v[37:38]
	s_delay_alu instid0(VALU_DEP_2) | instskip(NEXT) | instid1(VALU_DEP_2)
	v_add_f64 v[33:34], v[33:34], v[41:42]
	v_add_f64 v[39:40], -v[37:38], s[88:89]
	s_delay_alu instid0(VALU_DEP_2) | instskip(SKIP_1) | instid1(VALU_DEP_1)
	v_add_f64 v[33:34], v[53:54], v[33:34]
	v_and_b32_e32 v36, 0x7fffffff, v36
	v_cmp_eq_f64_e32 vcc_lo, 0x7ff00000, v[35:36]
	s_delay_alu instid0(VALU_DEP_4) | instskip(SKIP_2) | instid1(VALU_DEP_2)
	v_cndmask_b32_e64 v36, v38, v40, s6
	v_cndmask_b32_e64 v35, v37, v39, s6
	v_cmp_eq_f64_e64 s6, 0, v[15:16]
	v_add_f64 v[37:38], -v[35:36], s[16:17]
	s_and_b32 vcc_lo, s7, vcc_lo
	v_cmp_class_f64_e64 s7, v[15:16], 0x204
	v_dual_cndmask_b32 v33, v33, v1 :: v_dual_cndmask_b32 v34, v34, v11
	v_and_b32_e32 v1, 0x54442d18, v18
	v_cmp_gt_i32_e32 vcc_lo, 0, v14
	v_and_b32_e32 v14, 0x400921fb, v18
	s_delay_alu instid0(VALU_DEP_4) | instskip(SKIP_3) | instid1(VALU_DEP_3)
	v_add_f64 v[33:34], v[33:34], 1.0
	v_cndmask_b32_e32 v35, v35, v37, vcc_lo
	v_cndmask_b32_e32 v11, 0x54442d18, v59, vcc_lo
	;; [unrolled: 1-line block ×3, first 2 shown]
	v_cndmask_b32_e64 v35, v35, v1, s6
	v_cndmask_b32_e32 v18, v36, v38, vcc_lo
	v_cmp_ngt_f64_e32 vcc_lo, 0, v[2:3]
	s_delay_alu instid0(VALU_DEP_4) | instskip(NEXT) | instid1(VALU_DEP_3)
	v_bfi_b32 v13, 0x7fffffff, v13, v16
	v_cndmask_b32_e64 v1, v18, v14, s6
	v_cmp_nge_f64_e64 s6, 0, v[2:3]
	v_cndmask_b32_e64 v34, v34, 0x7ff00000, s10
	v_cndmask_b32_e64 v14, v33, 0, s10
	s_delay_alu instid0(VALU_DEP_2) | instskip(SKIP_2) | instid1(VALU_DEP_3)
	v_cndmask_b32_e32 v18, 0x7ff80000, v34, vcc_lo
	s_and_b32 vcc_lo, s7, s8
	v_dual_cndmask_b32 v33, v35, v11 :: v_dual_cndmask_b32 v34, v1, v13
	v_cndmask_b32_e64 v1, 0, v14, s6
	v_cmp_neq_f64_e64 s6, 0, v[2:3]
	s_delay_alu instid0(VALU_DEP_1)
	v_cndmask_b32_e64 v2, 0xfff00000, v18, s6
.LBB198_107:                            ;   in Loop: Header=BB198_4 Depth=1
	s_or_b32 exec_lo, exec_lo, s9
.LBB198_108:                            ;   in Loop: Header=BB198_4 Depth=1
	s_and_not1_saveexec_b32 s6, s91
	s_cbranch_execz .LBB198_114
; %bb.109:                              ;   in Loop: Header=BB198_4 Depth=1
	v_cmp_ngt_f64_e64 s7, 0x20000000, |v[13:14]|
	v_cmp_ngt_f64_e64 s8, 0x20000000, |v[15:16]|
                                        ; implicit-def: $vgpr2_vgpr3
	s_delay_alu instid0(VALU_DEP_1) | instskip(NEXT) | instid1(SALU_CYCLE_1)
	s_or_b32 s7, s8, s7
	s_and_saveexec_b32 s8, s7
	s_delay_alu instid0(SALU_CYCLE_1)
	s_xor_b32 s7, exec_lo, s8
; %bb.110:                              ;   in Loop: Header=BB198_4 Depth=1
	v_mul_f64 v[1:2], v[13:14], v[13:14]
	s_delay_alu instid0(VALU_DEP_1)
	v_fma_f64 v[2:3], v[15:16], v[15:16], v[1:2]
; %bb.111:                              ;   in Loop: Header=BB198_4 Depth=1
	s_and_not1_saveexec_b32 s7, s7
; %bb.112:                              ;   in Loop: Header=BB198_4 Depth=1
	v_mul_f64 v[1:2], v[13:14], 4.0
	v_mul_f64 v[13:14], v[15:16], 4.0
	s_delay_alu instid0(VALU_DEP_2) | instskip(NEXT) | instid1(VALU_DEP_1)
	v_mul_f64 v[1:2], v[1:2], v[1:2]
	v_fma_f64 v[1:2], v[13:14], v[13:14], v[1:2]
	s_delay_alu instid0(VALU_DEP_1)
	v_ldexp_f64 v[2:3], v[1:2], -4
; %bb.113:                              ;   in Loop: Header=BB198_4 Depth=1
	s_or_b32 exec_lo, exec_lo, s7
	s_delay_alu instid0(VALU_DEP_1) | instskip(SKIP_2) | instid1(VALU_DEP_2)
	v_frexp_mant_f64_e32 v[13:14], v[2:3]
	s_mov_b32 s101, s27
	v_frexp_exp_i32_f64_e32 v1, v[2:3]
	v_cmp_gt_f64_e32 vcc_lo, s[26:27], v[13:14]
	v_cndmask_b32_e64 v18, 0x3ff00000, 2.0, vcc_lo
	s_delay_alu instid0(VALU_DEP_3) | instskip(SKIP_1) | instid1(VALU_DEP_3)
	v_subrev_co_ci_u32_e32 v1, vcc_lo, 0, v1, vcc_lo
	v_cmp_class_f64_e64 vcc_lo, v[2:3], 0x204
	v_mul_f64 v[13:14], v[13:14], v[17:18]
	s_delay_alu instid0(VALU_DEP_1) | instskip(SKIP_1) | instid1(VALU_DEP_2)
	v_add_f64 v[33:34], v[13:14], 1.0
	v_add_f64 v[39:40], v[13:14], -1.0
	v_rcp_f64_e32 v[35:36], v[33:34]
	v_add_f64 v[41:42], v[33:34], -1.0
	s_delay_alu instid0(VALU_DEP_1) | instskip(SKIP_2) | instid1(VALU_DEP_1)
	v_add_f64 v[13:14], v[13:14], -v[41:42]
	s_waitcnt_depctr 0xfff
	v_fma_f64 v[37:38], -v[33:34], v[35:36], 1.0
	v_fma_f64 v[35:36], v[37:38], v[35:36], v[35:36]
	s_delay_alu instid0(VALU_DEP_1) | instskip(NEXT) | instid1(VALU_DEP_1)
	v_fma_f64 v[37:38], -v[33:34], v[35:36], 1.0
	v_fma_f64 v[35:36], v[37:38], v[35:36], v[35:36]
	s_delay_alu instid0(VALU_DEP_1) | instskip(NEXT) | instid1(VALU_DEP_1)
	v_mul_f64 v[37:38], v[39:40], v[35:36]
	v_mul_f64 v[43:44], v[33:34], v[37:38]
	s_delay_alu instid0(VALU_DEP_1) | instskip(NEXT) | instid1(VALU_DEP_1)
	v_fma_f64 v[33:34], v[37:38], v[33:34], -v[43:44]
	v_fma_f64 v[13:14], v[37:38], v[13:14], v[33:34]
	s_delay_alu instid0(VALU_DEP_1) | instskip(NEXT) | instid1(VALU_DEP_1)
	v_add_f64 v[33:34], v[43:44], v[13:14]
	v_add_f64 v[41:42], v[39:40], -v[33:34]
	v_add_f64 v[43:44], v[33:34], -v[43:44]
	s_delay_alu instid0(VALU_DEP_2) | instskip(NEXT) | instid1(VALU_DEP_2)
	v_add_f64 v[39:40], v[39:40], -v[41:42]
	v_add_f64 v[13:14], v[43:44], -v[13:14]
	s_delay_alu instid0(VALU_DEP_2) | instskip(NEXT) | instid1(VALU_DEP_1)
	v_add_f64 v[33:34], v[39:40], -v[33:34]
	v_add_f64 v[13:14], v[13:14], v[33:34]
	s_delay_alu instid0(VALU_DEP_1) | instskip(NEXT) | instid1(VALU_DEP_1)
	v_add_f64 v[13:14], v[41:42], v[13:14]
	v_mul_f64 v[13:14], v[35:36], v[13:14]
	s_delay_alu instid0(VALU_DEP_1) | instskip(NEXT) | instid1(VALU_DEP_1)
	v_add_f64 v[33:34], v[37:38], v[13:14]
	v_mul_f64 v[35:36], v[33:34], v[33:34]
	s_delay_alu instid0(VALU_DEP_1) | instskip(SKIP_1) | instid1(VALU_DEP_2)
	v_fma_f64 v[39:40], v[35:36], s[30:31], s[28:29]
	v_mul_f64 v[41:42], v[33:34], v[35:36]
	v_fma_f64 v[39:40], v[35:36], v[39:40], s[36:37]
	s_delay_alu instid0(VALU_DEP_1) | instskip(NEXT) | instid1(VALU_DEP_1)
	v_fma_f64 v[39:40], v[35:36], v[39:40], s[38:39]
	v_fma_f64 v[39:40], v[35:36], v[39:40], s[40:41]
	s_delay_alu instid0(VALU_DEP_1) | instskip(NEXT) | instid1(VALU_DEP_1)
	v_fma_f64 v[39:40], v[35:36], v[39:40], s[42:43]
	v_fma_f64 v[35:36], v[35:36], v[39:40], s[100:101]
	v_ldexp_f64 v[39:40], v[33:34], 1
	v_add_f64 v[33:34], v[33:34], -v[37:38]
	s_delay_alu instid0(VALU_DEP_3) | instskip(SKIP_1) | instid1(VALU_DEP_3)
	v_mul_f64 v[35:36], v[41:42], v[35:36]
	v_cvt_f64_i32_e32 v[41:42], v1
	v_add_f64 v[13:14], v[13:14], -v[33:34]
	s_delay_alu instid0(VALU_DEP_3) | instskip(NEXT) | instid1(VALU_DEP_3)
	v_add_f64 v[37:38], v[39:40], v[35:36]
	v_mul_f64 v[43:44], v[41:42], s[44:45]
	s_delay_alu instid0(VALU_DEP_3) | instskip(NEXT) | instid1(VALU_DEP_3)
	v_ldexp_f64 v[13:14], v[13:14], 1
	v_add_f64 v[33:34], v[37:38], -v[39:40]
	s_delay_alu instid0(VALU_DEP_3) | instskip(NEXT) | instid1(VALU_DEP_2)
	v_fma_f64 v[39:40], v[41:42], s[44:45], -v[43:44]
	v_add_f64 v[33:34], v[35:36], -v[33:34]
	s_delay_alu instid0(VALU_DEP_2) | instskip(NEXT) | instid1(VALU_DEP_2)
	v_fma_f64 v[35:36], v[41:42], s[46:47], v[39:40]
	v_add_f64 v[13:14], v[13:14], v[33:34]
	s_delay_alu instid0(VALU_DEP_2) | instskip(NEXT) | instid1(VALU_DEP_2)
	v_add_f64 v[33:34], v[43:44], v[35:36]
	v_add_f64 v[39:40], v[37:38], v[13:14]
	s_delay_alu instid0(VALU_DEP_2) | instskip(NEXT) | instid1(VALU_DEP_2)
	v_add_f64 v[43:44], v[33:34], -v[43:44]
	v_add_f64 v[41:42], v[33:34], v[39:40]
	v_add_f64 v[37:38], v[39:40], -v[37:38]
	s_delay_alu instid0(VALU_DEP_3) | instskip(NEXT) | instid1(VALU_DEP_3)
	v_add_f64 v[35:36], v[35:36], -v[43:44]
	v_add_f64 v[45:46], v[41:42], -v[33:34]
	s_delay_alu instid0(VALU_DEP_3) | instskip(NEXT) | instid1(VALU_DEP_2)
	v_add_f64 v[13:14], v[13:14], -v[37:38]
	v_add_f64 v[47:48], v[41:42], -v[45:46]
	;; [unrolled: 1-line block ×3, first 2 shown]
	s_delay_alu instid0(VALU_DEP_3) | instskip(NEXT) | instid1(VALU_DEP_3)
	v_add_f64 v[39:40], v[35:36], v[13:14]
	v_add_f64 v[33:34], v[33:34], -v[47:48]
	s_delay_alu instid0(VALU_DEP_1) | instskip(NEXT) | instid1(VALU_DEP_3)
	v_add_f64 v[33:34], v[37:38], v[33:34]
	v_add_f64 v[37:38], v[39:40], -v[35:36]
	s_delay_alu instid0(VALU_DEP_2) | instskip(NEXT) | instid1(VALU_DEP_2)
	v_add_f64 v[33:34], v[39:40], v[33:34]
	v_add_f64 v[39:40], v[39:40], -v[37:38]
	v_add_f64 v[13:14], v[13:14], -v[37:38]
	s_delay_alu instid0(VALU_DEP_3) | instskip(NEXT) | instid1(VALU_DEP_3)
	v_add_f64 v[43:44], v[41:42], v[33:34]
	v_add_f64 v[35:36], v[35:36], -v[39:40]
	s_delay_alu instid0(VALU_DEP_2) | instskip(NEXT) | instid1(VALU_DEP_2)
	v_add_f64 v[37:38], v[43:44], -v[41:42]
	v_add_f64 v[13:14], v[13:14], v[35:36]
	s_delay_alu instid0(VALU_DEP_2) | instskip(NEXT) | instid1(VALU_DEP_1)
	v_add_f64 v[33:34], v[33:34], -v[37:38]
	v_add_f64 v[13:14], v[13:14], v[33:34]
	s_delay_alu instid0(VALU_DEP_1) | instskip(NEXT) | instid1(VALU_DEP_1)
	v_add_f64 v[13:14], v[43:44], v[13:14]
	v_cndmask_b32_e32 v1, v13, v2, vcc_lo
	s_delay_alu instid0(VALU_DEP_2) | instskip(SKIP_1) | instid1(VALU_DEP_2)
	v_cndmask_b32_e32 v11, v14, v3, vcc_lo
	v_cmp_ngt_f64_e32 vcc_lo, 0, v[2:3]
	v_cndmask_b32_e32 v11, 0x7ff80000, v11, vcc_lo
	v_cmp_nge_f64_e32 vcc_lo, 0, v[2:3]
	v_mov_b32_e32 v33, 0
	v_dual_mov_b32 v34, 0x7ff80000 :: v_dual_cndmask_b32 v1, 0, v1
	v_cmp_neq_f64_e32 vcc_lo, 0, v[2:3]
	v_cndmask_b32_e32 v2, 0xfff00000, v11, vcc_lo
.LBB198_114:                            ;   in Loop: Header=BB198_4 Depth=1
	s_or_b32 exec_lo, exec_lo, s6
                                        ; implicit-def: $vgpr13_vgpr14
                                        ; implicit-def: $vgpr35_vgpr36
	s_delay_alu instid0(SALU_CYCLE_1)
	s_mov_b32 s6, exec_lo
	v_cmpx_o_f64_e32 v[5:6], v[7:8]
	s_xor_b32 s91, exec_lo, s6
	s_cbranch_execnz .LBB198_120
; %bb.115:                              ;   in Loop: Header=BB198_4 Depth=1
	s_and_not1_saveexec_b32 s6, s91
	s_cbranch_execnz .LBB198_147
.LBB198_116:                            ;   in Loop: Header=BB198_4 Depth=1
	s_or_b32 exec_lo, exec_lo, s6
	s_and_saveexec_b32 s6, s2
	s_delay_alu instid0(SALU_CYCLE_1)
	s_xor_b32 s2, exec_lo, s6
	s_cbranch_execnz .LBB198_152
.LBB198_117:                            ;   in Loop: Header=BB198_4 Depth=1
	s_or_b32 exec_lo, exec_lo, s2
	s_and_saveexec_b32 s2, s3
	s_cbranch_execnz .LBB198_153
.LBB198_118:                            ;   in Loop: Header=BB198_4 Depth=1
	s_or_b32 exec_lo, exec_lo, s2
	s_and_saveexec_b32 s2, s4
	s_cbranch_execnz .LBB198_154
.LBB198_119:                            ;   in Loop: Header=BB198_4 Depth=1
	s_or_b32 exec_lo, exec_lo, s2
	s_and_saveexec_b32 s2, s5
	s_cbranch_execz .LBB198_3
	s_branch .LBB198_155
.LBB198_120:                            ;   in Loop: Header=BB198_4 Depth=1
	v_cmp_lt_f64_e64 s6, |v[5:6]|, |v[7:8]|
	v_and_b32_e32 v3, 0x7fffffff, v6
	v_and_b32_e32 v11, 0x7fffffff, v8
	v_mov_b32_e32 v15, v7
                                        ; implicit-def: $vgpr13_vgpr14
                                        ; implicit-def: $vgpr35_vgpr36
	s_mov_b32 s7, exec_lo
	s_delay_alu instid0(VALU_DEP_2) | instskip(NEXT) | instid1(VALU_DEP_2)
	v_cndmask_b32_e64 v40, v11, v3, s6
	v_cndmask_b32_e64 v39, v15, v5, s6
	s_delay_alu instid0(VALU_DEP_1)
	v_cmpx_nlt_f64_e32 s[20:21], v[39:40]
	s_xor_b32 s22, exec_lo, s7
	s_cbranch_execz .LBB198_144
; %bb.121:                              ;   in Loop: Header=BB198_4 Depth=1
	v_cndmask_b32_e64 v42, v3, v11, s6
	v_cndmask_b32_e64 v41, v5, v15, s6
                                        ; implicit-def: $vgpr13_vgpr14
                                        ; implicit-def: $vgpr35_vgpr36
	s_mov_b32 s7, exec_lo
	s_delay_alu instid0(VALU_DEP_1)
	v_cmpx_neq_f64_e32 1.0, v[41:42]
	s_xor_b32 s23, exec_lo, s7
	s_cbranch_execz .LBB198_137
; %bb.122:                              ;   in Loop: Header=BB198_4 Depth=1
	v_max_f64 v[13:14], v[39:40], v[39:40]
	v_max_f64 v[35:36], v[41:42], v[41:42]
	s_mov_b32 s8, 0xc57e649a
	s_mov_b32 s9, 0x4a511b0e
	s_delay_alu instid0(VALU_DEP_1) | instskip(SKIP_1) | instid1(VALU_DEP_2)
	v_min_f64 v[37:38], v[35:36], v[13:14]
	v_max_f64 v[13:14], v[35:36], v[13:14]
                                        ; implicit-def: $vgpr35_vgpr36
	v_cmp_ngt_f64_e32 vcc_lo, s[14:15], v[37:38]
	s_delay_alu instid0(VALU_DEP_2) | instskip(NEXT) | instid1(VALU_DEP_1)
	v_cmp_nlt_f64_e64 s7, s[8:9], v[13:14]
                                        ; implicit-def: $vgpr13_vgpr14
	s_and_b32 s7, s7, vcc_lo
	s_delay_alu instid0(SALU_CYCLE_1) | instskip(NEXT) | instid1(SALU_CYCLE_1)
	s_and_saveexec_b32 s8, s7
	s_xor_b32 s24, exec_lo, s8
	s_cbranch_execz .LBB198_134
; %bb.123:                              ;   in Loop: Header=BB198_4 Depth=1
                                        ; implicit-def: $vgpr13_vgpr14
                                        ; implicit-def: $vgpr35_vgpr36
	s_mov_b32 s7, exec_lo
	v_cmpx_le_f64_e32 1.0, v[41:42]
	s_xor_b32 s8, exec_lo, s7
	s_cbranch_execz .LBB198_125
; %bb.124:                              ;   in Loop: Header=BB198_4 Depth=1
	v_add_f64 v[13:14], v[41:42], -1.0
	v_add_f64 v[35:36], v[41:42], 1.0
	s_mov_b32 s101, s27
	s_mov_b32 s16, s88
	v_cmp_gt_i32_e64 s7, 0, v6
	v_cmp_class_f64_e64 s10, v[5:6], 0x204
	v_cmp_class_f64_e64 s9, v[7:8], 0x204
	s_delay_alu instid0(VALU_DEP_4) | instskip(NEXT) | instid1(VALU_DEP_1)
	v_mul_f64 v[13:14], v[13:14], v[35:36]
	v_fma_f64 v[14:15], v[39:40], v[39:40], v[13:14]
	s_delay_alu instid0(VALU_DEP_1) | instskip(NEXT) | instid1(VALU_DEP_1)
	v_add_f64 v[35:36], v[14:15], 1.0
	v_frexp_mant_f64_e32 v[37:38], v[35:36]
	v_frexp_exp_i32_f64_e32 v3, v[35:36]
	v_add_f64 v[39:40], v[35:36], -1.0
	s_delay_alu instid0(VALU_DEP_3) | instskip(NEXT) | instid1(VALU_DEP_2)
	v_cmp_gt_f64_e32 vcc_lo, s[26:27], v[37:38]
	v_add_f64 v[37:38], v[39:40], -v[35:36]
	v_add_f64 v[39:40], v[14:15], -v[39:40]
	v_subrev_co_ci_u32_e32 v3, vcc_lo, 0, v3, vcc_lo
	s_delay_alu instid0(VALU_DEP_3) | instskip(NEXT) | instid1(VALU_DEP_2)
	v_add_f64 v[37:38], v[37:38], 1.0
	v_sub_nc_u32_e32 v11, 0, v3
	s_delay_alu instid0(VALU_DEP_1) | instskip(NEXT) | instid1(VALU_DEP_3)
	v_ldexp_f64 v[35:36], v[35:36], v11
	v_add_f64 v[37:38], v[39:40], v[37:38]
	s_delay_alu instid0(VALU_DEP_2) | instskip(SKIP_1) | instid1(VALU_DEP_3)
	v_add_f64 v[41:42], v[35:36], 1.0
	v_add_f64 v[47:48], v[35:36], -1.0
	v_ldexp_f64 v[37:38], v[37:38], v11
	v_cndmask_b32_e64 v11, 0x54442d18, v59, s7
	s_delay_alu instid0(VALU_DEP_4) | instskip(NEXT) | instid1(VALU_DEP_4)
	v_add_f64 v[39:40], v[41:42], -1.0
	v_add_f64 v[49:50], v[47:48], 1.0
	s_delay_alu instid0(VALU_DEP_2) | instskip(NEXT) | instid1(VALU_DEP_2)
	v_add_f64 v[39:40], v[35:36], -v[39:40]
	v_add_f64 v[35:36], v[35:36], -v[49:50]
	s_delay_alu instid0(VALU_DEP_2) | instskip(NEXT) | instid1(VALU_DEP_2)
	v_add_f64 v[39:40], v[37:38], v[39:40]
	v_add_f64 v[35:36], v[37:38], v[35:36]
	s_delay_alu instid0(VALU_DEP_2) | instskip(NEXT) | instid1(VALU_DEP_2)
	v_add_f64 v[43:44], v[41:42], v[39:40]
	v_add_f64 v[49:50], v[47:48], v[35:36]
	s_delay_alu instid0(VALU_DEP_2) | instskip(SKIP_1) | instid1(VALU_DEP_2)
	v_rcp_f64_e32 v[45:46], v[43:44]
	v_add_f64 v[41:42], v[43:44], -v[41:42]
	v_add_f64 v[47:48], v[49:50], -v[47:48]
	s_delay_alu instid0(VALU_DEP_2) | instskip(SKIP_3) | instid1(VALU_DEP_2)
	v_add_f64 v[39:40], v[39:40], -v[41:42]
	s_waitcnt_depctr 0xfff
	v_fma_f64 v[51:52], -v[43:44], v[45:46], 1.0
	v_add_f64 v[35:36], v[35:36], -v[47:48]
	v_fma_f64 v[45:46], v[51:52], v[45:46], v[45:46]
	s_delay_alu instid0(VALU_DEP_1) | instskip(NEXT) | instid1(VALU_DEP_1)
	v_fma_f64 v[37:38], -v[43:44], v[45:46], 1.0
	v_fma_f64 v[37:38], v[37:38], v[45:46], v[45:46]
	s_delay_alu instid0(VALU_DEP_1) | instskip(NEXT) | instid1(VALU_DEP_1)
	v_mul_f64 v[45:46], v[49:50], v[37:38]
	v_mul_f64 v[51:52], v[43:44], v[45:46]
	s_delay_alu instid0(VALU_DEP_1) | instskip(NEXT) | instid1(VALU_DEP_1)
	v_fma_f64 v[41:42], v[45:46], v[43:44], -v[51:52]
	v_fma_f64 v[41:42], v[45:46], v[39:40], v[41:42]
	s_delay_alu instid0(VALU_DEP_1) | instskip(NEXT) | instid1(VALU_DEP_1)
	v_add_f64 v[53:54], v[51:52], v[41:42]
	v_add_f64 v[55:56], v[49:50], -v[53:54]
	v_add_f64 v[47:48], v[53:54], -v[51:52]
	v_max_f64 v[51:52], |v[7:8]|, |v[7:8]|
	s_delay_alu instid0(VALU_DEP_3) | instskip(NEXT) | instid1(VALU_DEP_3)
	v_add_f64 v[49:50], v[49:50], -v[55:56]
	v_add_f64 v[41:42], v[47:48], -v[41:42]
	s_delay_alu instid0(VALU_DEP_2) | instskip(SKIP_2) | instid1(VALU_DEP_1)
	v_add_f64 v[49:50], v[49:50], -v[53:54]
	v_max_f64 v[53:54], |v[5:6]|, |v[5:6]|
	v_cndmask_b32_e64 v5, 0x3fe921fb, v60, s7
	v_bfi_b32 v5, 0x7fffffff, v5, v8
	s_delay_alu instid0(VALU_DEP_4) | instskip(NEXT) | instid1(VALU_DEP_4)
	v_add_f64 v[35:36], v[35:36], v[49:50]
	v_max_f64 v[57:58], v[53:54], v[51:52]
	v_min_f64 v[51:52], v[53:54], v[51:52]
	s_delay_alu instid0(VALU_DEP_3) | instskip(NEXT) | instid1(VALU_DEP_1)
	v_add_f64 v[35:36], v[41:42], v[35:36]
	v_add_f64 v[41:42], v[55:56], v[35:36]
	s_delay_alu instid0(VALU_DEP_1) | instskip(SKIP_1) | instid1(VALU_DEP_2)
	v_mul_f64 v[47:48], v[37:38], v[41:42]
	v_add_f64 v[55:56], v[55:56], -v[41:42]
	v_mul_f64 v[49:50], v[43:44], v[47:48]
	s_delay_alu instid0(VALU_DEP_2) | instskip(NEXT) | instid1(VALU_DEP_2)
	v_add_f64 v[35:36], v[35:36], v[55:56]
	v_fma_f64 v[43:44], v[47:48], v[43:44], -v[49:50]
	s_delay_alu instid0(VALU_DEP_1) | instskip(SKIP_1) | instid1(VALU_DEP_2)
	v_fma_f64 v[39:40], v[47:48], v[39:40], v[43:44]
	v_div_scale_f64 v[43:44], null, v[57:58], v[57:58], v[51:52]
	v_add_f64 v[53:54], v[49:50], v[39:40]
	s_delay_alu instid0(VALU_DEP_2) | instskip(NEXT) | instid1(VALU_DEP_1)
	v_rcp_f64_e32 v[61:62], v[43:44]
	v_add_f64 v[63:64], v[41:42], -v[53:54]
	v_add_f64 v[49:50], v[53:54], -v[49:50]
	s_waitcnt_depctr 0xfff
	v_fma_f64 v[65:66], -v[43:44], v[61:62], 1.0
	v_add_f64 v[41:42], v[41:42], -v[63:64]
	v_add_f64 v[39:40], v[49:50], -v[39:40]
	s_delay_alu instid0(VALU_DEP_3) | instskip(NEXT) | instid1(VALU_DEP_3)
	v_fma_f64 v[61:62], v[61:62], v[65:66], v[61:62]
	v_add_f64 v[41:42], v[41:42], -v[53:54]
	s_delay_alu instid0(VALU_DEP_2) | instskip(NEXT) | instid1(VALU_DEP_2)
	v_fma_f64 v[53:54], -v[43:44], v[61:62], 1.0
	v_add_f64 v[35:36], v[35:36], v[41:42]
	v_div_scale_f64 v[41:42], vcc_lo, v[51:52], v[57:58], v[51:52]
	s_delay_alu instid0(VALU_DEP_3) | instskip(SKIP_1) | instid1(VALU_DEP_4)
	v_fma_f64 v[49:50], v[61:62], v[53:54], v[61:62]
	v_add_f64 v[53:54], v[45:46], v[47:48]
	v_add_f64 v[35:36], v[39:40], v[35:36]
	s_delay_alu instid0(VALU_DEP_3) | instskip(NEXT) | instid1(VALU_DEP_3)
	v_mul_f64 v[39:40], v[41:42], v[49:50]
	v_add_f64 v[45:46], v[53:54], -v[45:46]
	s_delay_alu instid0(VALU_DEP_3) | instskip(NEXT) | instid1(VALU_DEP_3)
	v_add_f64 v[35:36], v[63:64], v[35:36]
	v_fma_f64 v[41:42], -v[43:44], v[39:40], v[41:42]
	s_delay_alu instid0(VALU_DEP_3) | instskip(NEXT) | instid1(VALU_DEP_3)
	v_add_f64 v[43:44], v[47:48], -v[45:46]
	v_mul_f64 v[35:36], v[37:38], v[35:36]
	s_delay_alu instid0(VALU_DEP_3) | instskip(SKIP_1) | instid1(VALU_DEP_3)
	v_div_fmas_f64 v[37:38], v[41:42], v[49:50], v[39:40]
	v_cmp_eq_f64_e32 vcc_lo, 0x7ff00000, v[14:15]
	v_add_f64 v[35:36], v[43:44], v[35:36]
	s_delay_alu instid0(VALU_DEP_3) | instskip(NEXT) | instid1(VALU_DEP_2)
	v_div_fixup_f64 v[37:38], v[37:38], v[57:58], v[51:52]
	v_add_f64 v[39:40], v[53:54], v[35:36]
	s_delay_alu instid0(VALU_DEP_2) | instskip(NEXT) | instid1(VALU_DEP_2)
	v_mul_f64 v[41:42], v[37:38], v[37:38]
	v_mul_f64 v[43:44], v[39:40], v[39:40]
	s_delay_alu instid0(VALU_DEP_2) | instskip(NEXT) | instid1(VALU_DEP_2)
	v_fma_f64 v[45:46], v[41:42], s[50:51], s[48:49]
	v_fma_f64 v[47:48], v[43:44], s[30:31], s[28:29]
	v_mul_f64 v[49:50], v[39:40], v[43:44]
	s_delay_alu instid0(VALU_DEP_3) | instskip(NEXT) | instid1(VALU_DEP_3)
	v_fma_f64 v[45:46], v[41:42], v[45:46], s[52:53]
	v_fma_f64 v[47:48], v[43:44], v[47:48], s[36:37]
	s_delay_alu instid0(VALU_DEP_2) | instskip(NEXT) | instid1(VALU_DEP_2)
	v_fma_f64 v[45:46], v[41:42], v[45:46], s[54:55]
	v_fma_f64 v[47:48], v[43:44], v[47:48], s[38:39]
	s_delay_alu instid0(VALU_DEP_2) | instskip(NEXT) | instid1(VALU_DEP_2)
	;; [unrolled: 3-line block ×4, first 2 shown]
	v_fma_f64 v[45:46], v[41:42], v[45:46], s[60:61]
	v_fma_f64 v[43:44], v[43:44], v[47:48], s[100:101]
	v_ldexp_f64 v[47:48], v[39:40], 1
	v_add_f64 v[39:40], v[39:40], -v[53:54]
	s_delay_alu instid0(VALU_DEP_4) | instskip(NEXT) | instid1(VALU_DEP_4)
	v_fma_f64 v[45:46], v[41:42], v[45:46], s[62:63]
	v_mul_f64 v[43:44], v[49:50], v[43:44]
	v_cvt_f64_i32_e32 v[49:50], v3
	s_delay_alu instid0(VALU_DEP_4) | instskip(NEXT) | instid1(VALU_DEP_4)
	v_add_f64 v[35:36], v[35:36], -v[39:40]
	v_fma_f64 v[45:46], v[41:42], v[45:46], s[64:65]
	v_ashrrev_i32_e32 v3, 31, v6
	s_delay_alu instid0(VALU_DEP_1) | instskip(SKIP_4) | instid1(VALU_DEP_4)
	v_and_b32_e32 v13, 0x54442d18, v3
	v_add_f64 v[51:52], v[47:48], v[43:44]
	v_mul_f64 v[53:54], v[49:50], s[44:45]
	v_ldexp_f64 v[35:36], v[35:36], 1
	v_fma_f64 v[45:46], v[41:42], v[45:46], s[66:67]
	v_add_f64 v[39:40], v[51:52], -v[47:48]
	s_delay_alu instid0(VALU_DEP_4) | instskip(NEXT) | instid1(VALU_DEP_3)
	v_fma_f64 v[47:48], v[49:50], s[44:45], -v[53:54]
	v_fma_f64 v[45:46], v[41:42], v[45:46], s[68:69]
	s_delay_alu instid0(VALU_DEP_3) | instskip(NEXT) | instid1(VALU_DEP_2)
	v_add_f64 v[39:40], v[43:44], -v[39:40]
	v_fma_f64 v[43:44], v[41:42], v[45:46], s[70:71]
	s_delay_alu instid0(VALU_DEP_4) | instskip(NEXT) | instid1(VALU_DEP_3)
	v_fma_f64 v[45:46], v[49:50], s[46:47], v[47:48]
	v_add_f64 v[35:36], v[35:36], v[39:40]
	s_delay_alu instid0(VALU_DEP_3) | instskip(NEXT) | instid1(VALU_DEP_3)
	v_fma_f64 v[39:40], v[41:42], v[43:44], s[72:73]
	v_add_f64 v[43:44], v[53:54], v[45:46]
	s_delay_alu instid0(VALU_DEP_3) | instskip(NEXT) | instid1(VALU_DEP_3)
	v_add_f64 v[47:48], v[51:52], v[35:36]
	v_fma_f64 v[39:40], v[41:42], v[39:40], s[74:75]
	s_delay_alu instid0(VALU_DEP_3) | instskip(NEXT) | instid1(VALU_DEP_3)
	v_add_f64 v[53:54], v[43:44], -v[53:54]
	v_add_f64 v[49:50], v[43:44], v[47:48]
	v_add_f64 v[51:52], v[47:48], -v[51:52]
	s_delay_alu instid0(VALU_DEP_4) | instskip(NEXT) | instid1(VALU_DEP_4)
	v_fma_f64 v[39:40], v[41:42], v[39:40], s[76:77]
	v_add_f64 v[45:46], v[45:46], -v[53:54]
	s_delay_alu instid0(VALU_DEP_4) | instskip(NEXT) | instid1(VALU_DEP_4)
	v_add_f64 v[55:56], v[49:50], -v[43:44]
	v_add_f64 v[35:36], v[35:36], -v[51:52]
	s_delay_alu instid0(VALU_DEP_4) | instskip(NEXT) | instid1(VALU_DEP_3)
	v_fma_f64 v[39:40], v[41:42], v[39:40], s[78:79]
	v_add_f64 v[57:58], v[49:50], -v[55:56]
	v_add_f64 v[47:48], v[47:48], -v[55:56]
	s_delay_alu instid0(VALU_DEP_4) | instskip(NEXT) | instid1(VALU_DEP_4)
	v_add_f64 v[51:52], v[45:46], v[35:36]
	v_fma_f64 v[39:40], v[41:42], v[39:40], s[80:81]
	s_delay_alu instid0(VALU_DEP_4) | instskip(NEXT) | instid1(VALU_DEP_2)
	v_add_f64 v[43:44], v[43:44], -v[57:58]
	v_fma_f64 v[39:40], v[41:42], v[39:40], s[82:83]
	s_delay_alu instid0(VALU_DEP_2) | instskip(SKIP_1) | instid1(VALU_DEP_3)
	v_add_f64 v[43:44], v[47:48], v[43:44]
	v_add_f64 v[47:48], v[51:52], -v[45:46]
	v_fma_f64 v[39:40], v[41:42], v[39:40], s[84:85]
	s_delay_alu instid0(VALU_DEP_3) | instskip(NEXT) | instid1(VALU_DEP_3)
	v_add_f64 v[43:44], v[51:52], v[43:44]
	v_add_f64 v[51:52], v[51:52], -v[47:48]
	v_add_f64 v[35:36], v[35:36], -v[47:48]
	s_delay_alu instid0(VALU_DEP_4) | instskip(NEXT) | instid1(VALU_DEP_4)
	v_fma_f64 v[39:40], v[41:42], v[39:40], s[86:87]
	v_add_f64 v[53:54], v[49:50], v[43:44]
	s_delay_alu instid0(VALU_DEP_2) | instskip(SKIP_1) | instid1(VALU_DEP_3)
	v_mul_f64 v[39:40], v[41:42], v[39:40]
	v_add_f64 v[41:42], v[45:46], -v[51:52]
	v_add_f64 v[45:46], v[53:54], -v[49:50]
	s_delay_alu instid0(VALU_DEP_3) | instskip(NEXT) | instid1(VALU_DEP_3)
	v_fma_f64 v[37:38], v[37:38], v[39:40], v[37:38]
	v_add_f64 v[35:36], v[35:36], v[41:42]
	s_delay_alu instid0(VALU_DEP_3) | instskip(NEXT) | instid1(VALU_DEP_3)
	v_add_f64 v[39:40], v[43:44], -v[45:46]
	v_add_f64 v[41:42], -v[37:38], s[88:89]
	s_delay_alu instid0(VALU_DEP_2) | instskip(NEXT) | instid1(VALU_DEP_2)
	v_add_f64 v[35:36], v[35:36], v[39:40]
	v_cndmask_b32_e64 v38, v38, v42, s6
	s_delay_alu instid0(VALU_DEP_3) | instskip(NEXT) | instid1(VALU_DEP_1)
	v_cndmask_b32_e64 v37, v37, v41, s6
                                        ; implicit-def: $vgpr41_vgpr42
	v_add_f64 v[39:40], -v[37:38], s[16:17]
	s_delay_alu instid0(VALU_DEP_4) | instskip(NEXT) | instid1(VALU_DEP_2)
	v_add_f64 v[35:36], v[53:54], v[35:36]
	v_cndmask_b32_e64 v18, v37, v39, s7
	s_delay_alu instid0(VALU_DEP_3) | instskip(SKIP_1) | instid1(VALU_DEP_4)
	v_cndmask_b32_e64 v6, v38, v40, s7
	v_cmp_nge_f64_e64 s7, -1.0, v[14:15]
                                        ; implicit-def: $vgpr39_vgpr40
	v_dual_cndmask_b32 v36, v36, v15 :: v_dual_cndmask_b32 v35, v35, v14
	v_cmp_eq_f64_e32 vcc_lo, 0, v[7:8]
	v_and_b32_e32 v3, 0x400921fb, v3
	s_delay_alu instid0(VALU_DEP_3) | instskip(SKIP_1) | instid1(VALU_DEP_3)
	v_mul_f64 v[35:36], v[35:36], 0.5
	v_cndmask_b32_e32 v18, v18, v13, vcc_lo
	v_cndmask_b32_e32 v3, v6, v3, vcc_lo
	v_cmp_ngt_f64_e32 vcc_lo, -1.0, v[14:15]
	s_delay_alu instid0(VALU_DEP_4) | instskip(SKIP_4) | instid1(VALU_DEP_2)
	v_cndmask_b32_e64 v13, 0, v35, s7
	v_cmp_neq_f64_e64 s7, -1.0, v[14:15]
	v_cndmask_b32_e32 v6, 0x7ff80000, v36, vcc_lo
	s_and_b32 vcc_lo, s9, s10
	v_dual_cndmask_b32 v36, v3, v5 :: v_dual_cndmask_b32 v35, v18, v11
	v_cndmask_b32_e64 v14, 0xfff00000, v6, s7
.LBB198_125:                            ;   in Loop: Header=BB198_4 Depth=1
	s_and_not1_saveexec_b32 s25, s8
	s_cbranch_execz .LBB198_133
; %bb.126:                              ;   in Loop: Header=BB198_4 Depth=1
	v_mul_f64 v[13:14], v[39:40], v[39:40]
	s_mov_b32 s8, 0x66666666
	s_mov_b32 s9, 0x3fe66666
                                        ; implicit-def: $vgpr35_vgpr36
	s_mov_b32 s7, exec_lo
	s_delay_alu instid0(VALU_DEP_1) | instskip(NEXT) | instid1(VALU_DEP_1)
	v_fma_f64 v[37:38], v[41:42], v[41:42], v[13:14]
                                        ; implicit-def: $vgpr13_vgpr14
	v_cmpx_ge_f64_e32 s[8:9], v[37:38]
	s_xor_b32 s9, exec_lo, s7
	s_cbranch_execz .LBB198_128
; %bb.127:                              ;   in Loop: Header=BB198_4 Depth=1
	v_frexp_mant_f64_e32 v[13:14], v[37:38]
	v_max_f64 v[45:46], |v[5:6]|, |v[5:6]|
	s_mov_b32 s101, s27
	v_frexp_exp_i32_f64_e32 v3, v[37:38]
	s_mov_b32 s16, s88
	v_cmp_class_f64_e64 s10, v[7:8], 0x204
	v_cmp_class_f64_e64 s11, v[5:6], 0x204
	v_cmp_neq_f64_e64 s8, 0, v[37:38]
	v_cmp_gt_f64_e64 s7, s[26:27], v[13:14]
	s_delay_alu instid0(VALU_DEP_1) | instskip(NEXT) | instid1(VALU_DEP_1)
	v_cndmask_b32_e64 v18, 0x3ff00000, 2.0, s7
	v_mul_f64 v[13:14], v[13:14], v[17:18]
	s_delay_alu instid0(VALU_DEP_1) | instskip(SKIP_1) | instid1(VALU_DEP_2)
	v_add_f64 v[35:36], v[13:14], 1.0
	v_add_f64 v[43:44], v[13:14], -1.0
	v_rcp_f64_e32 v[39:40], v[35:36]
	s_waitcnt_depctr 0xfff
	v_fma_f64 v[41:42], -v[35:36], v[39:40], 1.0
	s_delay_alu instid0(VALU_DEP_1) | instskip(NEXT) | instid1(VALU_DEP_1)
	v_fma_f64 v[39:40], v[41:42], v[39:40], v[39:40]
	v_fma_f64 v[41:42], -v[35:36], v[39:40], 1.0
	s_delay_alu instid0(VALU_DEP_1) | instskip(SKIP_1) | instid1(VALU_DEP_2)
	v_fma_f64 v[39:40], v[41:42], v[39:40], v[39:40]
	v_max_f64 v[41:42], |v[7:8]|, |v[7:8]|
	v_mul_f64 v[47:48], v[43:44], v[39:40]
	s_delay_alu instid0(VALU_DEP_2) | instskip(SKIP_2) | instid1(VALU_DEP_4)
	v_max_f64 v[49:50], v[45:46], v[41:42]
	v_min_f64 v[41:42], v[45:46], v[41:42]
	v_add_f64 v[45:46], v[35:36], -1.0
	v_mul_f64 v[51:52], v[35:36], v[47:48]
	s_delay_alu instid0(VALU_DEP_3) | instskip(NEXT) | instid1(VALU_DEP_3)
	v_div_scale_f64 v[53:54], null, v[49:50], v[49:50], v[41:42]
	v_add_f64 v[13:14], v[13:14], -v[45:46]
	v_div_scale_f64 v[61:62], vcc_lo, v[41:42], v[49:50], v[41:42]
	s_delay_alu instid0(VALU_DEP_4) | instskip(NEXT) | instid1(VALU_DEP_4)
	v_fma_f64 v[35:36], v[47:48], v[35:36], -v[51:52]
	v_rcp_f64_e32 v[45:46], v[53:54]
	s_delay_alu instid0(VALU_DEP_1) | instskip(SKIP_3) | instid1(VALU_DEP_2)
	v_fma_f64 v[13:14], v[47:48], v[13:14], v[35:36]
	s_waitcnt_depctr 0xfff
	v_fma_f64 v[35:36], -v[53:54], v[45:46], 1.0
	v_add_f64 v[55:56], v[51:52], v[13:14]
	v_fma_f64 v[35:36], v[45:46], v[35:36], v[45:46]
	s_delay_alu instid0(VALU_DEP_2) | instskip(SKIP_1) | instid1(VALU_DEP_3)
	v_add_f64 v[45:46], v[43:44], -v[55:56]
	v_add_f64 v[51:52], v[55:56], -v[51:52]
	v_fma_f64 v[57:58], -v[53:54], v[35:36], 1.0
	s_delay_alu instid0(VALU_DEP_3) | instskip(NEXT) | instid1(VALU_DEP_3)
	v_add_f64 v[43:44], v[43:44], -v[45:46]
	v_add_f64 v[13:14], v[51:52], -v[13:14]
	s_delay_alu instid0(VALU_DEP_3) | instskip(NEXT) | instid1(VALU_DEP_3)
	v_fma_f64 v[35:36], v[35:36], v[57:58], v[35:36]
	v_add_f64 v[43:44], v[43:44], -v[55:56]
	s_delay_alu instid0(VALU_DEP_2) | instskip(NEXT) | instid1(VALU_DEP_2)
	v_mul_f64 v[51:52], v[61:62], v[35:36]
	v_add_f64 v[13:14], v[13:14], v[43:44]
	s_delay_alu instid0(VALU_DEP_2) | instskip(NEXT) | instid1(VALU_DEP_2)
	v_fma_f64 v[43:44], -v[53:54], v[51:52], v[61:62]
	v_add_f64 v[13:14], v[45:46], v[13:14]
	s_delay_alu instid0(VALU_DEP_2)
	v_div_fmas_f64 v[35:36], v[43:44], v[35:36], v[51:52]
	v_subrev_co_ci_u32_e64 v3, vcc_lo, 0, v3, s7
	v_cmp_eq_f64_e64 s7, 0, v[7:8]
	v_cmp_gt_i32_e32 vcc_lo, 0, v6
	v_cndmask_b32_e32 v11, 0x54442d18, v59, vcc_lo
	v_mul_f64 v[13:14], v[39:40], v[13:14]
	v_div_fixup_f64 v[35:36], v[35:36], v[49:50], v[41:42]
	s_delay_alu instid0(VALU_DEP_2) | instskip(NEXT) | instid1(VALU_DEP_2)
	v_add_f64 v[39:40], v[47:48], v[13:14]
	v_mul_f64 v[41:42], v[35:36], v[35:36]
	s_delay_alu instid0(VALU_DEP_2) | instskip(NEXT) | instid1(VALU_DEP_2)
	v_mul_f64 v[43:44], v[39:40], v[39:40]
	v_fma_f64 v[45:46], v[41:42], s[50:51], s[48:49]
	s_delay_alu instid0(VALU_DEP_2) | instskip(SKIP_1) | instid1(VALU_DEP_3)
	v_fma_f64 v[49:50], v[43:44], s[30:31], s[28:29]
	v_mul_f64 v[51:52], v[39:40], v[43:44]
	v_fma_f64 v[45:46], v[41:42], v[45:46], s[52:53]
	s_delay_alu instid0(VALU_DEP_3) | instskip(NEXT) | instid1(VALU_DEP_2)
	v_fma_f64 v[49:50], v[43:44], v[49:50], s[36:37]
	v_fma_f64 v[45:46], v[41:42], v[45:46], s[54:55]
	s_delay_alu instid0(VALU_DEP_2) | instskip(NEXT) | instid1(VALU_DEP_2)
	v_fma_f64 v[49:50], v[43:44], v[49:50], s[38:39]
	v_fma_f64 v[45:46], v[41:42], v[45:46], s[56:57]
	s_delay_alu instid0(VALU_DEP_2) | instskip(NEXT) | instid1(VALU_DEP_2)
	v_fma_f64 v[49:50], v[43:44], v[49:50], s[40:41]
	v_fma_f64 v[45:46], v[41:42], v[45:46], s[58:59]
	s_delay_alu instid0(VALU_DEP_2) | instskip(NEXT) | instid1(VALU_DEP_2)
	v_fma_f64 v[49:50], v[43:44], v[49:50], s[42:43]
	v_fma_f64 v[45:46], v[41:42], v[45:46], s[60:61]
	s_delay_alu instid0(VALU_DEP_2) | instskip(SKIP_2) | instid1(VALU_DEP_4)
	v_fma_f64 v[43:44], v[43:44], v[49:50], s[100:101]
	v_ldexp_f64 v[49:50], v[39:40], 1
	v_add_f64 v[39:40], v[39:40], -v[47:48]
	v_fma_f64 v[45:46], v[41:42], v[45:46], s[62:63]
	s_delay_alu instid0(VALU_DEP_4) | instskip(SKIP_1) | instid1(VALU_DEP_4)
	v_mul_f64 v[43:44], v[51:52], v[43:44]
	v_cvt_f64_i32_e32 v[51:52], v3
	v_add_f64 v[13:14], v[13:14], -v[39:40]
	v_ashrrev_i32_e32 v3, 31, v6
	v_fma_f64 v[45:46], v[41:42], v[45:46], s[64:65]
	v_add_f64 v[47:48], v[49:50], v[43:44]
	v_mul_f64 v[53:54], v[51:52], s[44:45]
	v_ldexp_f64 v[13:14], v[13:14], 1
	s_delay_alu instid0(VALU_DEP_4) | instskip(NEXT) | instid1(VALU_DEP_4)
	v_fma_f64 v[45:46], v[41:42], v[45:46], s[66:67]
	v_add_f64 v[39:40], v[47:48], -v[49:50]
	s_delay_alu instid0(VALU_DEP_4) | instskip(NEXT) | instid1(VALU_DEP_3)
	v_fma_f64 v[49:50], v[51:52], s[44:45], -v[53:54]
	v_fma_f64 v[45:46], v[41:42], v[45:46], s[68:69]
	s_delay_alu instid0(VALU_DEP_3) | instskip(NEXT) | instid1(VALU_DEP_2)
	v_add_f64 v[39:40], v[43:44], -v[39:40]
	v_fma_f64 v[43:44], v[41:42], v[45:46], s[70:71]
	s_delay_alu instid0(VALU_DEP_4) | instskip(NEXT) | instid1(VALU_DEP_3)
	v_fma_f64 v[45:46], v[51:52], s[46:47], v[49:50]
	v_add_f64 v[13:14], v[13:14], v[39:40]
	s_delay_alu instid0(VALU_DEP_3) | instskip(NEXT) | instid1(VALU_DEP_3)
	v_fma_f64 v[39:40], v[41:42], v[43:44], s[72:73]
	v_add_f64 v[43:44], v[53:54], v[45:46]
	s_delay_alu instid0(VALU_DEP_3) | instskip(NEXT) | instid1(VALU_DEP_3)
	v_add_f64 v[49:50], v[47:48], v[13:14]
	v_fma_f64 v[39:40], v[41:42], v[39:40], s[74:75]
	s_delay_alu instid0(VALU_DEP_3) | instskip(NEXT) | instid1(VALU_DEP_3)
	v_add_f64 v[53:54], v[43:44], -v[53:54]
	v_add_f64 v[51:52], v[43:44], v[49:50]
	v_add_f64 v[47:48], v[49:50], -v[47:48]
	s_delay_alu instid0(VALU_DEP_4) | instskip(NEXT) | instid1(VALU_DEP_4)
	v_fma_f64 v[39:40], v[41:42], v[39:40], s[76:77]
	v_add_f64 v[45:46], v[45:46], -v[53:54]
	s_delay_alu instid0(VALU_DEP_4) | instskip(NEXT) | instid1(VALU_DEP_4)
	v_add_f64 v[55:56], v[51:52], -v[43:44]
	v_add_f64 v[13:14], v[13:14], -v[47:48]
	s_delay_alu instid0(VALU_DEP_4) | instskip(NEXT) | instid1(VALU_DEP_3)
	v_fma_f64 v[39:40], v[41:42], v[39:40], s[78:79]
	v_add_f64 v[57:58], v[51:52], -v[55:56]
	v_add_f64 v[47:48], v[49:50], -v[55:56]
	s_delay_alu instid0(VALU_DEP_4) | instskip(NEXT) | instid1(VALU_DEP_4)
	v_add_f64 v[49:50], v[45:46], v[13:14]
	v_fma_f64 v[39:40], v[41:42], v[39:40], s[80:81]
	s_delay_alu instid0(VALU_DEP_4) | instskip(NEXT) | instid1(VALU_DEP_2)
	v_add_f64 v[43:44], v[43:44], -v[57:58]
	v_fma_f64 v[39:40], v[41:42], v[39:40], s[82:83]
	s_delay_alu instid0(VALU_DEP_2) | instskip(SKIP_1) | instid1(VALU_DEP_3)
	v_add_f64 v[43:44], v[47:48], v[43:44]
	v_add_f64 v[47:48], v[49:50], -v[45:46]
	v_fma_f64 v[39:40], v[41:42], v[39:40], s[84:85]
	s_delay_alu instid0(VALU_DEP_3) | instskip(NEXT) | instid1(VALU_DEP_3)
	v_add_f64 v[43:44], v[49:50], v[43:44]
	v_add_f64 v[49:50], v[49:50], -v[47:48]
	v_add_f64 v[13:14], v[13:14], -v[47:48]
	s_delay_alu instid0(VALU_DEP_4) | instskip(NEXT) | instid1(VALU_DEP_4)
	v_fma_f64 v[39:40], v[41:42], v[39:40], s[86:87]
	v_add_f64 v[53:54], v[51:52], v[43:44]
	s_delay_alu instid0(VALU_DEP_2) | instskip(SKIP_1) | instid1(VALU_DEP_3)
	v_mul_f64 v[39:40], v[41:42], v[39:40]
	v_add_f64 v[41:42], v[45:46], -v[49:50]
	v_add_f64 v[45:46], v[53:54], -v[51:52]
	s_delay_alu instid0(VALU_DEP_3) | instskip(NEXT) | instid1(VALU_DEP_3)
	v_fma_f64 v[35:36], v[35:36], v[39:40], v[35:36]
	v_add_f64 v[13:14], v[13:14], v[41:42]
	s_delay_alu instid0(VALU_DEP_3) | instskip(NEXT) | instid1(VALU_DEP_3)
	v_add_f64 v[39:40], v[43:44], -v[45:46]
	v_add_f64 v[41:42], -v[35:36], s[88:89]
	s_delay_alu instid0(VALU_DEP_2) | instskip(NEXT) | instid1(VALU_DEP_2)
	v_add_f64 v[13:14], v[13:14], v[39:40]
	v_cndmask_b32_e64 v36, v36, v42, s6
	s_delay_alu instid0(VALU_DEP_3) | instskip(NEXT) | instid1(VALU_DEP_1)
	v_cndmask_b32_e64 v35, v35, v41, s6
                                        ; implicit-def: $vgpr41_vgpr42
	v_add_f64 v[39:40], -v[35:36], s[16:17]
	v_and_b32_e32 v15, 0x54442d18, v3
	v_and_b32_e32 v3, 0x400921fb, v3
	v_add_f64 v[13:14], v[53:54], v[13:14]
	s_delay_alu instid0(VALU_DEP_4) | instskip(NEXT) | instid1(VALU_DEP_2)
	v_cndmask_b32_e32 v18, v35, v39, vcc_lo
	v_mul_f64 v[5:6], v[13:14], 0.5
	v_cndmask_b32_e32 v14, v36, v40, vcc_lo
	v_cndmask_b32_e32 v13, 0x3fe921fb, v60, vcc_lo
	s_delay_alu instid0(VALU_DEP_4) | instskip(SKIP_1) | instid1(VALU_DEP_3)
	v_cndmask_b32_e64 v15, v18, v15, s7
	s_and_b32 vcc_lo, s10, s11
                                        ; implicit-def: $vgpr39_vgpr40
	v_cndmask_b32_e64 v3, v14, v3, s7
	s_delay_alu instid0(VALU_DEP_3) | instskip(NEXT) | instid1(VALU_DEP_3)
	v_bfi_b32 v13, 0x7fffffff, v13, v8
	v_cndmask_b32_e32 v35, v15, v11, vcc_lo
	s_delay_alu instid0(VALU_DEP_2)
	v_cndmask_b32_e32 v36, v3, v13, vcc_lo
	v_cndmask_b32_e64 v14, 0xfff00000, v6, s8
	v_cndmask_b32_e64 v13, 0, v5, s8
.LBB198_128:                            ;   in Loop: Header=BB198_4 Depth=1
	s_and_not1_saveexec_b32 s92, s9
	s_cbranch_execz .LBB198_132
; %bb.129:                              ;   in Loop: Header=BB198_4 Depth=1
	v_dual_mov_b32 v35, v17 :: v_dual_and_b32 v18, 0x7ffffff8, v42
	v_and_b32_e32 v36, 0x7ffffff8, v40
	s_mov_b32 s93, 0
	s_delay_alu instid0(VALU_DEP_2) | instskip(SKIP_1) | instid1(VALU_DEP_3)
	v_add_f64 v[13:14], v[41:42], -v[17:18]
	v_mov_b32_e32 v41, v17
	v_add_f64 v[37:38], v[39:40], -v[35:36]
	v_mov_b32_e32 v43, v17
	v_add_f64 v[45:46], v[17:18], v[17:18]
	v_add_f64 v[53:54], v[35:36], v[35:36]
	v_mul_f64 v[39:40], v[35:36], v[35:36]
	v_and_b32_e32 v42, -8, v14
	v_and_b32_e32 v44, -8, v38
	s_delay_alu instid0(VALU_DEP_2) | instskip(SKIP_1) | instid1(VALU_DEP_3)
	v_add_f64 v[55:56], v[13:14], -v[41:42]
	v_add_f64 v[61:62], v[41:42], v[41:42]
	v_add_f64 v[57:58], v[37:38], -v[43:44]
	v_add_f64 v[63:64], v[43:44], v[43:44]
	v_mul_f64 v[13:14], v[17:18], v[17:18]
	v_mul_f64 v[51:52], v[45:46], v[41:42]
	;; [unrolled: 1-line block ×11, first 2 shown]
.LBB198_130:                            ;   Parent Loop BB198_4 Depth=1
                                        ; =>  This Inner Loop Header: Depth=2
	v_cmp_nlt_f64_e32 vcc_lo, v[13:14], v[39:40]
	v_dual_cndmask_b32 v58, v14, v40 :: v_dual_cndmask_b32 v57, v13, v39
	v_dual_cndmask_b32 v14, v40, v14 :: v_dual_cndmask_b32 v13, v39, v13
	s_delay_alu instid0(VALU_DEP_2) | instskip(NEXT) | instid1(VALU_DEP_1)
	v_cmp_nlt_f64_e64 s7, v[57:58], v[51:52]
	v_cndmask_b32_e64 v62, v58, v52, s7
	v_cndmask_b32_e64 v61, v57, v51, s7
	;; [unrolled: 1-line block ×4, first 2 shown]
	s_and_b32 s7, vcc_lo, s7
	s_delay_alu instid0(VALU_DEP_3) | instskip(NEXT) | instid1(VALU_DEP_1)
	v_cmp_nlt_f64_e64 s8, v[61:62], v[37:38]
	v_cndmask_b32_e64 v58, v62, v38, s8
	v_cndmask_b32_e64 v57, v61, v37, s8
	;; [unrolled: 1-line block ×4, first 2 shown]
	s_delay_alu instid0(VALU_DEP_3) | instskip(NEXT) | instid1(VALU_DEP_1)
	v_cmp_nlt_f64_e64 s9, v[57:58], v[49:50]
	v_cndmask_b32_e64 v62, v58, v50, s9
	v_cndmask_b32_e64 v61, v57, v49, s9
	;; [unrolled: 1-line block ×4, first 2 shown]
	s_and_b32 s8, s8, s9
	s_delay_alu instid0(VALU_DEP_3) | instskip(NEXT) | instid1(VALU_DEP_1)
	v_cmp_nlt_f64_e64 s10, v[61:62], v[35:36]
	v_cndmask_b32_e64 v58, v62, v36, s10
	v_cndmask_b32_e64 v57, v61, v35, s10
	;; [unrolled: 1-line block ×4, first 2 shown]
	s_delay_alu instid0(VALU_DEP_3) | instskip(NEXT) | instid1(VALU_DEP_1)
	v_cmp_nlt_f64_e64 s11, v[57:58], v[47:48]
	v_cndmask_b32_e64 v62, v58, v48, s11
	v_cndmask_b32_e64 v61, v57, v47, s11
	v_cndmask_b32_e64 v36, v48, v58, s11
	v_cndmask_b32_e64 v35, v47, v57, s11
	s_and_b32 s9, s10, s11
	s_delay_alu instid0(VALU_DEP_3) | instskip(NEXT) | instid1(VALU_DEP_1)
	v_cmp_nlt_f64_e64 s12, v[61:62], v[45:46]
	v_cndmask_b32_e64 v58, v62, v46, s12
	v_cndmask_b32_e64 v57, v61, v45, s12
	v_cndmask_b32_e64 v48, v46, v62, s12
	v_cndmask_b32_e64 v47, v45, v61, s12
	s_and_b32 s9, s9, s12
	;; [unrolled: 7-line block ×4, first 2 shown]
	s_delay_alu instid0(VALU_DEP_3) | instskip(NEXT) | instid1(VALU_DEP_1)
	v_cmp_nlt_f64_e64 s15, v[57:58], v[53:54]
	v_cndmask_b32_e64 v62, v58, v54, s15
	v_cndmask_b32_e64 v61, v57, v53, s15
	s_and_b32 s9, s9, s15
	v_cndmask_b32_e64 v42, v54, v58, s15
	v_cndmask_b32_e64 v41, v53, v57, s15
	s_delay_alu instid0(VALU_DEP_3) | instskip(NEXT) | instid1(VALU_DEP_1)
	v_cmp_nlt_f64_e64 s16, v[61:62], v[55:56]
	v_cndmask_b32_e64 v58, v62, v56, s16
	v_cndmask_b32_e64 v57, v61, v55, s16
	s_and_b32 s9, s9, s16
	v_cndmask_b32_e64 v54, v56, v62, s16
	s_and_b32 s8, s9, s8
	;; [unrolled: 2-line block ×3, first 2 shown]
	v_dual_mov_b32 v55, v57 :: v_dual_mov_b32 v56, v58
	s_and_b32 s7, exec_lo, s7
	s_delay_alu instid0(SALU_CYCLE_1) | instskip(NEXT) | instid1(SALU_CYCLE_1)
	s_or_b32 s93, s7, s93
	s_and_not1_b32 exec_lo, exec_lo, s93
	s_cbranch_execnz .LBB198_130
; %bb.131:                              ;   in Loop: Header=BB198_4 Depth=1
	s_or_b32 exec_lo, exec_lo, s93
	v_add_f64 v[13:14], v[13:14], -1.0
	s_mov_b32 s101, s27
	s_mov_b32 s16, s88
	v_cmp_gt_i32_e64 s7, 0, v6
	v_cmp_class_f64_e64 s9, v[5:6], 0x204
	v_cmp_class_f64_e64 s8, v[7:8], 0x204
	s_mov_b32 s14, 0x4ad4b81f
	s_mov_b32 s15, 0x358dee7a
	s_delay_alu instid0(VALU_DEP_4) | instskip(NEXT) | instid1(VALU_DEP_1)
	v_add_f64 v[13:14], v[13:14], v[39:40]
	v_add_f64 v[13:14], v[13:14], v[51:52]
	s_delay_alu instid0(VALU_DEP_1) | instskip(NEXT) | instid1(VALU_DEP_1)
	v_add_f64 v[13:14], v[13:14], v[37:38]
	v_add_f64 v[13:14], v[13:14], v[49:50]
	s_delay_alu instid0(VALU_DEP_1) | instskip(NEXT) | instid1(VALU_DEP_1)
	v_add_f64 v[13:14], v[13:14], v[35:36]
	v_add_f64 v[13:14], v[13:14], v[47:48]
	s_delay_alu instid0(VALU_DEP_1) | instskip(NEXT) | instid1(VALU_DEP_1)
	v_add_f64 v[13:14], v[13:14], v[45:46]
	v_add_f64 v[13:14], v[13:14], v[43:44]
	s_delay_alu instid0(VALU_DEP_1) | instskip(NEXT) | instid1(VALU_DEP_1)
	v_add_f64 v[13:14], v[13:14], v[41:42]
	v_add_f64 v[13:14], v[13:14], v[53:54]
	s_delay_alu instid0(VALU_DEP_1) | instskip(NEXT) | instid1(VALU_DEP_1)
	v_add_f64 v[14:15], v[57:58], v[13:14]
	v_add_f64 v[35:36], v[14:15], 1.0
	s_delay_alu instid0(VALU_DEP_1) | instskip(SKIP_2) | instid1(VALU_DEP_3)
	v_frexp_mant_f64_e32 v[37:38], v[35:36]
	v_frexp_exp_i32_f64_e32 v3, v[35:36]
	v_add_f64 v[39:40], v[35:36], -1.0
	v_cmp_gt_f64_e32 vcc_lo, s[26:27], v[37:38]
	s_delay_alu instid0(VALU_DEP_2) | instskip(SKIP_2) | instid1(VALU_DEP_3)
	v_add_f64 v[37:38], v[39:40], -v[35:36]
	v_add_f64 v[39:40], v[14:15], -v[39:40]
	v_subrev_co_ci_u32_e32 v3, vcc_lo, 0, v3, vcc_lo
	v_add_f64 v[37:38], v[37:38], 1.0
	s_delay_alu instid0(VALU_DEP_2) | instskip(NEXT) | instid1(VALU_DEP_1)
	v_sub_nc_u32_e32 v11, 0, v3
	v_ldexp_f64 v[35:36], v[35:36], v11
	s_delay_alu instid0(VALU_DEP_3) | instskip(NEXT) | instid1(VALU_DEP_2)
	v_add_f64 v[37:38], v[39:40], v[37:38]
	v_add_f64 v[41:42], v[35:36], 1.0
	v_add_f64 v[47:48], v[35:36], -1.0
	s_delay_alu instid0(VALU_DEP_3) | instskip(SKIP_1) | instid1(VALU_DEP_4)
	v_ldexp_f64 v[37:38], v[37:38], v11
	v_cndmask_b32_e64 v11, 0x54442d18, v59, s7
	v_add_f64 v[39:40], v[41:42], -1.0
	s_delay_alu instid0(VALU_DEP_4) | instskip(NEXT) | instid1(VALU_DEP_2)
	v_add_f64 v[49:50], v[47:48], 1.0
	v_add_f64 v[39:40], v[35:36], -v[39:40]
	s_delay_alu instid0(VALU_DEP_2) | instskip(NEXT) | instid1(VALU_DEP_2)
	v_add_f64 v[35:36], v[35:36], -v[49:50]
	v_add_f64 v[39:40], v[37:38], v[39:40]
	s_delay_alu instid0(VALU_DEP_2) | instskip(NEXT) | instid1(VALU_DEP_2)
	v_add_f64 v[35:36], v[37:38], v[35:36]
	v_add_f64 v[43:44], v[41:42], v[39:40]
	s_delay_alu instid0(VALU_DEP_2) | instskip(NEXT) | instid1(VALU_DEP_2)
	v_add_f64 v[49:50], v[47:48], v[35:36]
	v_rcp_f64_e32 v[45:46], v[43:44]
	v_add_f64 v[41:42], v[43:44], -v[41:42]
	s_delay_alu instid0(VALU_DEP_2) | instskip(NEXT) | instid1(VALU_DEP_2)
	v_add_f64 v[47:48], v[49:50], -v[47:48]
	v_add_f64 v[39:40], v[39:40], -v[41:42]
	s_waitcnt_depctr 0xfff
	v_fma_f64 v[51:52], -v[43:44], v[45:46], 1.0
	v_add_f64 v[35:36], v[35:36], -v[47:48]
	s_delay_alu instid0(VALU_DEP_2) | instskip(NEXT) | instid1(VALU_DEP_1)
	v_fma_f64 v[45:46], v[51:52], v[45:46], v[45:46]
	v_fma_f64 v[37:38], -v[43:44], v[45:46], 1.0
	s_delay_alu instid0(VALU_DEP_1) | instskip(NEXT) | instid1(VALU_DEP_1)
	v_fma_f64 v[37:38], v[37:38], v[45:46], v[45:46]
	v_mul_f64 v[45:46], v[49:50], v[37:38]
	s_delay_alu instid0(VALU_DEP_1) | instskip(NEXT) | instid1(VALU_DEP_1)
	v_mul_f64 v[51:52], v[43:44], v[45:46]
	v_fma_f64 v[41:42], v[45:46], v[43:44], -v[51:52]
	s_delay_alu instid0(VALU_DEP_1) | instskip(NEXT) | instid1(VALU_DEP_1)
	v_fma_f64 v[41:42], v[45:46], v[39:40], v[41:42]
	v_add_f64 v[53:54], v[51:52], v[41:42]
	s_delay_alu instid0(VALU_DEP_1) | instskip(SKIP_2) | instid1(VALU_DEP_3)
	v_add_f64 v[55:56], v[49:50], -v[53:54]
	v_add_f64 v[47:48], v[53:54], -v[51:52]
	v_max_f64 v[51:52], |v[7:8]|, |v[7:8]|
	v_add_f64 v[49:50], v[49:50], -v[55:56]
	s_delay_alu instid0(VALU_DEP_3) | instskip(NEXT) | instid1(VALU_DEP_2)
	v_add_f64 v[41:42], v[47:48], -v[41:42]
	v_add_f64 v[49:50], v[49:50], -v[53:54]
	v_max_f64 v[53:54], |v[5:6]|, |v[5:6]|
	v_cndmask_b32_e64 v5, 0x3fe921fb, v60, s7
	s_delay_alu instid0(VALU_DEP_1) | instskip(NEXT) | instid1(VALU_DEP_4)
	v_bfi_b32 v5, 0x7fffffff, v5, v8
	v_add_f64 v[35:36], v[35:36], v[49:50]
	s_delay_alu instid0(VALU_DEP_4) | instskip(SKIP_1) | instid1(VALU_DEP_3)
	v_max_f64 v[57:58], v[53:54], v[51:52]
	v_min_f64 v[51:52], v[53:54], v[51:52]
	v_add_f64 v[35:36], v[41:42], v[35:36]
	s_delay_alu instid0(VALU_DEP_1) | instskip(NEXT) | instid1(VALU_DEP_1)
	v_add_f64 v[41:42], v[55:56], v[35:36]
	v_mul_f64 v[47:48], v[37:38], v[41:42]
	v_add_f64 v[55:56], v[55:56], -v[41:42]
	s_delay_alu instid0(VALU_DEP_2) | instskip(NEXT) | instid1(VALU_DEP_2)
	v_mul_f64 v[49:50], v[43:44], v[47:48]
	v_add_f64 v[35:36], v[35:36], v[55:56]
	s_delay_alu instid0(VALU_DEP_2) | instskip(NEXT) | instid1(VALU_DEP_1)
	v_fma_f64 v[43:44], v[47:48], v[43:44], -v[49:50]
	v_fma_f64 v[39:40], v[47:48], v[39:40], v[43:44]
	v_div_scale_f64 v[43:44], null, v[57:58], v[57:58], v[51:52]
	s_delay_alu instid0(VALU_DEP_2) | instskip(NEXT) | instid1(VALU_DEP_2)
	v_add_f64 v[53:54], v[49:50], v[39:40]
	v_rcp_f64_e32 v[61:62], v[43:44]
	s_delay_alu instid0(VALU_DEP_1)
	v_add_f64 v[63:64], v[41:42], -v[53:54]
	v_add_f64 v[49:50], v[53:54], -v[49:50]
	s_waitcnt_depctr 0xfff
	v_fma_f64 v[65:66], -v[43:44], v[61:62], 1.0
	v_add_f64 v[41:42], v[41:42], -v[63:64]
	v_add_f64 v[39:40], v[49:50], -v[39:40]
	s_delay_alu instid0(VALU_DEP_3) | instskip(NEXT) | instid1(VALU_DEP_3)
	v_fma_f64 v[61:62], v[61:62], v[65:66], v[61:62]
	v_add_f64 v[41:42], v[41:42], -v[53:54]
	s_delay_alu instid0(VALU_DEP_2) | instskip(NEXT) | instid1(VALU_DEP_2)
	v_fma_f64 v[53:54], -v[43:44], v[61:62], 1.0
	v_add_f64 v[35:36], v[35:36], v[41:42]
	v_div_scale_f64 v[41:42], vcc_lo, v[51:52], v[57:58], v[51:52]
	s_delay_alu instid0(VALU_DEP_3) | instskip(SKIP_1) | instid1(VALU_DEP_4)
	v_fma_f64 v[49:50], v[61:62], v[53:54], v[61:62]
	v_add_f64 v[53:54], v[45:46], v[47:48]
	v_add_f64 v[35:36], v[39:40], v[35:36]
	s_delay_alu instid0(VALU_DEP_3) | instskip(NEXT) | instid1(VALU_DEP_3)
	v_mul_f64 v[39:40], v[41:42], v[49:50]
	v_add_f64 v[45:46], v[53:54], -v[45:46]
	s_delay_alu instid0(VALU_DEP_3) | instskip(NEXT) | instid1(VALU_DEP_3)
	v_add_f64 v[35:36], v[63:64], v[35:36]
	v_fma_f64 v[41:42], -v[43:44], v[39:40], v[41:42]
	s_delay_alu instid0(VALU_DEP_3) | instskip(NEXT) | instid1(VALU_DEP_3)
	v_add_f64 v[43:44], v[47:48], -v[45:46]
	v_mul_f64 v[35:36], v[37:38], v[35:36]
	s_delay_alu instid0(VALU_DEP_3) | instskip(SKIP_1) | instid1(VALU_DEP_3)
	v_div_fmas_f64 v[37:38], v[41:42], v[49:50], v[39:40]
	v_cmp_eq_f64_e32 vcc_lo, 0x7ff00000, v[14:15]
	v_add_f64 v[35:36], v[43:44], v[35:36]
	s_delay_alu instid0(VALU_DEP_3) | instskip(NEXT) | instid1(VALU_DEP_2)
	v_div_fixup_f64 v[37:38], v[37:38], v[57:58], v[51:52]
	v_add_f64 v[39:40], v[53:54], v[35:36]
	s_delay_alu instid0(VALU_DEP_2) | instskip(NEXT) | instid1(VALU_DEP_2)
	v_mul_f64 v[41:42], v[37:38], v[37:38]
	v_mul_f64 v[43:44], v[39:40], v[39:40]
	s_delay_alu instid0(VALU_DEP_2) | instskip(NEXT) | instid1(VALU_DEP_2)
	v_fma_f64 v[45:46], v[41:42], s[50:51], s[48:49]
	v_fma_f64 v[47:48], v[43:44], s[30:31], s[28:29]
	v_mul_f64 v[49:50], v[39:40], v[43:44]
	s_delay_alu instid0(VALU_DEP_3) | instskip(NEXT) | instid1(VALU_DEP_3)
	v_fma_f64 v[45:46], v[41:42], v[45:46], s[52:53]
	v_fma_f64 v[47:48], v[43:44], v[47:48], s[36:37]
	s_delay_alu instid0(VALU_DEP_2) | instskip(NEXT) | instid1(VALU_DEP_2)
	v_fma_f64 v[45:46], v[41:42], v[45:46], s[54:55]
	v_fma_f64 v[47:48], v[43:44], v[47:48], s[38:39]
	s_delay_alu instid0(VALU_DEP_2) | instskip(NEXT) | instid1(VALU_DEP_2)
	;; [unrolled: 3-line block ×4, first 2 shown]
	v_fma_f64 v[45:46], v[41:42], v[45:46], s[60:61]
	v_fma_f64 v[43:44], v[43:44], v[47:48], s[100:101]
	v_ldexp_f64 v[47:48], v[39:40], 1
	v_add_f64 v[39:40], v[39:40], -v[53:54]
	s_delay_alu instid0(VALU_DEP_4) | instskip(NEXT) | instid1(VALU_DEP_4)
	v_fma_f64 v[45:46], v[41:42], v[45:46], s[62:63]
	v_mul_f64 v[43:44], v[49:50], v[43:44]
	v_cvt_f64_i32_e32 v[49:50], v3
	s_delay_alu instid0(VALU_DEP_4) | instskip(NEXT) | instid1(VALU_DEP_4)
	v_add_f64 v[35:36], v[35:36], -v[39:40]
	v_fma_f64 v[45:46], v[41:42], v[45:46], s[64:65]
	v_ashrrev_i32_e32 v3, 31, v6
	s_delay_alu instid0(VALU_DEP_1) | instskip(SKIP_4) | instid1(VALU_DEP_4)
	v_and_b32_e32 v13, 0x54442d18, v3
	v_add_f64 v[51:52], v[47:48], v[43:44]
	v_mul_f64 v[53:54], v[49:50], s[44:45]
	v_ldexp_f64 v[35:36], v[35:36], 1
	v_fma_f64 v[45:46], v[41:42], v[45:46], s[66:67]
	v_add_f64 v[39:40], v[51:52], -v[47:48]
	s_delay_alu instid0(VALU_DEP_4) | instskip(NEXT) | instid1(VALU_DEP_3)
	v_fma_f64 v[47:48], v[49:50], s[44:45], -v[53:54]
	v_fma_f64 v[45:46], v[41:42], v[45:46], s[68:69]
	s_delay_alu instid0(VALU_DEP_3) | instskip(NEXT) | instid1(VALU_DEP_2)
	v_add_f64 v[39:40], v[43:44], -v[39:40]
	v_fma_f64 v[43:44], v[41:42], v[45:46], s[70:71]
	s_delay_alu instid0(VALU_DEP_4) | instskip(NEXT) | instid1(VALU_DEP_3)
	v_fma_f64 v[45:46], v[49:50], s[46:47], v[47:48]
	v_add_f64 v[35:36], v[35:36], v[39:40]
	s_delay_alu instid0(VALU_DEP_3) | instskip(NEXT) | instid1(VALU_DEP_3)
	v_fma_f64 v[39:40], v[41:42], v[43:44], s[72:73]
	v_add_f64 v[43:44], v[53:54], v[45:46]
	s_delay_alu instid0(VALU_DEP_3) | instskip(NEXT) | instid1(VALU_DEP_3)
	v_add_f64 v[47:48], v[51:52], v[35:36]
	v_fma_f64 v[39:40], v[41:42], v[39:40], s[74:75]
	s_delay_alu instid0(VALU_DEP_3) | instskip(NEXT) | instid1(VALU_DEP_3)
	v_add_f64 v[53:54], v[43:44], -v[53:54]
	v_add_f64 v[49:50], v[43:44], v[47:48]
	v_add_f64 v[51:52], v[47:48], -v[51:52]
	s_delay_alu instid0(VALU_DEP_4) | instskip(NEXT) | instid1(VALU_DEP_4)
	v_fma_f64 v[39:40], v[41:42], v[39:40], s[76:77]
	v_add_f64 v[45:46], v[45:46], -v[53:54]
	s_delay_alu instid0(VALU_DEP_4) | instskip(NEXT) | instid1(VALU_DEP_4)
	v_add_f64 v[55:56], v[49:50], -v[43:44]
	v_add_f64 v[35:36], v[35:36], -v[51:52]
	s_delay_alu instid0(VALU_DEP_4) | instskip(NEXT) | instid1(VALU_DEP_3)
	v_fma_f64 v[39:40], v[41:42], v[39:40], s[78:79]
	v_add_f64 v[57:58], v[49:50], -v[55:56]
	v_add_f64 v[47:48], v[47:48], -v[55:56]
	s_delay_alu instid0(VALU_DEP_4) | instskip(NEXT) | instid1(VALU_DEP_4)
	v_add_f64 v[51:52], v[45:46], v[35:36]
	v_fma_f64 v[39:40], v[41:42], v[39:40], s[80:81]
	s_delay_alu instid0(VALU_DEP_4) | instskip(NEXT) | instid1(VALU_DEP_2)
	v_add_f64 v[43:44], v[43:44], -v[57:58]
	v_fma_f64 v[39:40], v[41:42], v[39:40], s[82:83]
	s_delay_alu instid0(VALU_DEP_2) | instskip(SKIP_1) | instid1(VALU_DEP_3)
	v_add_f64 v[43:44], v[47:48], v[43:44]
	v_add_f64 v[47:48], v[51:52], -v[45:46]
	v_fma_f64 v[39:40], v[41:42], v[39:40], s[84:85]
	s_delay_alu instid0(VALU_DEP_3) | instskip(NEXT) | instid1(VALU_DEP_3)
	v_add_f64 v[43:44], v[51:52], v[43:44]
	v_add_f64 v[51:52], v[51:52], -v[47:48]
	v_add_f64 v[35:36], v[35:36], -v[47:48]
	s_delay_alu instid0(VALU_DEP_4) | instskip(NEXT) | instid1(VALU_DEP_4)
	v_fma_f64 v[39:40], v[41:42], v[39:40], s[86:87]
	v_add_f64 v[53:54], v[49:50], v[43:44]
	s_delay_alu instid0(VALU_DEP_2) | instskip(SKIP_1) | instid1(VALU_DEP_3)
	v_mul_f64 v[39:40], v[41:42], v[39:40]
	v_add_f64 v[41:42], v[45:46], -v[51:52]
	v_add_f64 v[45:46], v[53:54], -v[49:50]
	s_delay_alu instid0(VALU_DEP_3) | instskip(NEXT) | instid1(VALU_DEP_3)
	v_fma_f64 v[37:38], v[37:38], v[39:40], v[37:38]
	v_add_f64 v[35:36], v[35:36], v[41:42]
	s_delay_alu instid0(VALU_DEP_3) | instskip(NEXT) | instid1(VALU_DEP_3)
	v_add_f64 v[39:40], v[43:44], -v[45:46]
	v_add_f64 v[41:42], -v[37:38], s[88:89]
	s_delay_alu instid0(VALU_DEP_2) | instskip(NEXT) | instid1(VALU_DEP_2)
	v_add_f64 v[35:36], v[35:36], v[39:40]
	v_cndmask_b32_e64 v38, v38, v42, s6
	s_delay_alu instid0(VALU_DEP_3) | instskip(NEXT) | instid1(VALU_DEP_1)
	v_cndmask_b32_e64 v37, v37, v41, s6
	v_add_f64 v[39:40], -v[37:38], s[16:17]
	s_delay_alu instid0(VALU_DEP_4) | instskip(NEXT) | instid1(VALU_DEP_2)
	v_add_f64 v[35:36], v[53:54], v[35:36]
	v_cndmask_b32_e64 v18, v37, v39, s7
	s_delay_alu instid0(VALU_DEP_3) | instskip(SKIP_1) | instid1(VALU_DEP_4)
	v_cndmask_b32_e64 v6, v38, v40, s7
	v_cmp_nge_f64_e64 s7, -1.0, v[14:15]
	v_dual_cndmask_b32 v36, v36, v15 :: v_dual_cndmask_b32 v35, v35, v14
	v_cmp_eq_f64_e32 vcc_lo, 0, v[7:8]
	v_and_b32_e32 v3, 0x400921fb, v3
	s_delay_alu instid0(VALU_DEP_3) | instskip(SKIP_1) | instid1(VALU_DEP_3)
	v_mul_f64 v[35:36], v[35:36], 0.5
	v_cndmask_b32_e32 v18, v18, v13, vcc_lo
	v_cndmask_b32_e32 v3, v6, v3, vcc_lo
	v_cmp_ngt_f64_e32 vcc_lo, -1.0, v[14:15]
	s_delay_alu instid0(VALU_DEP_4) | instskip(SKIP_4) | instid1(VALU_DEP_2)
	v_cndmask_b32_e64 v13, 0, v35, s7
	v_cmp_neq_f64_e64 s7, -1.0, v[14:15]
	v_cndmask_b32_e32 v6, 0x7ff80000, v36, vcc_lo
	s_and_b32 vcc_lo, s8, s9
	v_dual_cndmask_b32 v36, v3, v5 :: v_dual_cndmask_b32 v35, v18, v11
	v_cndmask_b32_e64 v14, 0xfff00000, v6, s7
.LBB198_132:                            ;   in Loop: Header=BB198_4 Depth=1
	s_or_b32 exec_lo, exec_lo, s92
.LBB198_133:                            ;   in Loop: Header=BB198_4 Depth=1
	s_delay_alu instid0(SALU_CYCLE_1)
	s_or_b32 exec_lo, exec_lo, s25
.LBB198_134:                            ;   in Loop: Header=BB198_4 Depth=1
	s_and_not1_saveexec_b32 s9, s24
	s_cbranch_execz .LBB198_136
; %bb.135:                              ;   in Loop: Header=BB198_4 Depth=1
	v_max_f64 v[13:14], |v[7:8]|, |v[7:8]|
	v_max_f64 v[35:36], |v[5:6]|, |v[5:6]|
	v_cmp_class_f64_e64 s10, v[5:6], 0x204
	v_cmp_class_f64_e64 s11, v[7:8], 0x204
	s_mov_b32 s101, s27
	s_mov_b32 s16, s88
	v_cmp_eq_f64_e64 s8, 0, v[7:8]
	s_delay_alu instid0(VALU_DEP_4) | instskip(SKIP_1) | instid1(VALU_DEP_4)
	v_max_f64 v[37:38], v[35:36], v[13:14]
	v_min_f64 v[13:14], v[35:36], v[13:14]
	s_or_b32 s12, s11, s10
	s_delay_alu instid0(VALU_DEP_2) | instskip(NEXT) | instid1(VALU_DEP_1)
	v_frexp_exp_i32_f64_e32 v3, v[37:38]
	v_sub_nc_u32_e32 v11, 0, v3
	s_delay_alu instid0(VALU_DEP_1) | instskip(SKIP_1) | instid1(VALU_DEP_2)
	v_ldexp_f64 v[39:40], |v[7:8]|, v11
	v_ldexp_f64 v[41:42], |v[5:6]|, v11
	v_mul_f64 v[39:40], v[39:40], v[39:40]
	s_delay_alu instid0(VALU_DEP_1) | instskip(NEXT) | instid1(VALU_DEP_1)
	v_fma_f64 v[39:40], v[41:42], v[41:42], v[39:40]
	v_rsq_f64_e32 v[41:42], v[39:40]
	v_cmp_eq_f64_e32 vcc_lo, 0, v[39:40]
	s_waitcnt_depctr 0xfff
	v_mul_f64 v[43:44], v[39:40], v[41:42]
	v_mul_f64 v[41:42], v[41:42], 0.5
	s_delay_alu instid0(VALU_DEP_1) | instskip(NEXT) | instid1(VALU_DEP_1)
	v_fma_f64 v[45:46], -v[41:42], v[43:44], 0.5
	v_fma_f64 v[43:44], v[43:44], v[45:46], v[43:44]
	v_fma_f64 v[41:42], v[41:42], v[45:46], v[41:42]
	s_delay_alu instid0(VALU_DEP_2) | instskip(NEXT) | instid1(VALU_DEP_1)
	v_fma_f64 v[45:46], -v[43:44], v[43:44], v[39:40]
	v_fma_f64 v[41:42], v[45:46], v[41:42], v[43:44]
	s_delay_alu instid0(VALU_DEP_1) | instskip(SKIP_1) | instid1(VALU_DEP_2)
	v_dual_cndmask_b32 v40, v42, v40 :: v_dual_cndmask_b32 v39, v41, v39
	v_div_scale_f64 v[63:64], vcc_lo, v[13:14], v[37:38], v[13:14]
	v_ldexp_f64 v[39:40], v[39:40], v3
	s_delay_alu instid0(VALU_DEP_1) | instskip(NEXT) | instid1(VALU_DEP_2)
	v_cndmask_b32_e64 v42, v40, 0x7ff00000, s12
	v_cndmask_b32_e64 v41, v39, 0, s12
	s_delay_alu instid0(VALU_DEP_1) | instskip(SKIP_1) | instid1(VALU_DEP_2)
	v_frexp_mant_f64_e32 v[43:44], v[41:42]
	v_frexp_exp_i32_f64_e32 v3, v[41:42]
	v_cmp_gt_f64_e64 s7, s[26:27], v[43:44]
	s_delay_alu instid0(VALU_DEP_1) | instskip(NEXT) | instid1(VALU_DEP_1)
	v_cndmask_b32_e64 v18, 0x3ff00000, 2.0, s7
	v_mul_f64 v[43:44], v[43:44], v[17:18]
	s_delay_alu instid0(VALU_DEP_1) | instskip(SKIP_1) | instid1(VALU_DEP_2)
	v_add_f64 v[45:46], v[43:44], 1.0
	v_add_f64 v[51:52], v[43:44], -1.0
	v_rcp_f64_e32 v[47:48], v[45:46]
	v_add_f64 v[53:54], v[45:46], -1.0
	s_delay_alu instid0(VALU_DEP_1) | instskip(SKIP_2) | instid1(VALU_DEP_1)
	v_add_f64 v[43:44], v[43:44], -v[53:54]
	s_waitcnt_depctr 0xfff
	v_fma_f64 v[49:50], -v[45:46], v[47:48], 1.0
	v_fma_f64 v[47:48], v[49:50], v[47:48], v[47:48]
	s_delay_alu instid0(VALU_DEP_1) | instskip(NEXT) | instid1(VALU_DEP_1)
	v_fma_f64 v[49:50], -v[45:46], v[47:48], 1.0
	v_fma_f64 v[47:48], v[49:50], v[47:48], v[47:48]
	v_div_scale_f64 v[49:50], null, v[37:38], v[37:38], v[13:14]
	s_delay_alu instid0(VALU_DEP_2) | instskip(NEXT) | instid1(VALU_DEP_2)
	v_mul_f64 v[35:36], v[51:52], v[47:48]
	v_rcp_f64_e32 v[57:58], v[49:50]
	s_delay_alu instid0(VALU_DEP_1) | instskip(SKIP_3) | instid1(VALU_DEP_1)
	v_mul_f64 v[55:56], v[45:46], v[35:36]
	s_waitcnt_depctr 0xfff
	v_fma_f64 v[53:54], -v[49:50], v[57:58], 1.0
	v_fma_f64 v[45:46], v[35:36], v[45:46], -v[55:56]
	v_fma_f64 v[43:44], v[35:36], v[43:44], v[45:46]
	s_delay_alu instid0(VALU_DEP_3) | instskip(NEXT) | instid1(VALU_DEP_2)
	v_fma_f64 v[45:46], v[57:58], v[53:54], v[57:58]
	v_add_f64 v[53:54], v[55:56], v[43:44]
	s_delay_alu instid0(VALU_DEP_2) | instskip(NEXT) | instid1(VALU_DEP_2)
	v_fma_f64 v[57:58], -v[49:50], v[45:46], 1.0
	v_add_f64 v[61:62], v[51:52], -v[53:54]
	s_delay_alu instid0(VALU_DEP_2) | instskip(SKIP_1) | instid1(VALU_DEP_3)
	v_fma_f64 v[45:46], v[45:46], v[57:58], v[45:46]
	v_add_f64 v[55:56], v[53:54], -v[55:56]
	v_add_f64 v[51:52], v[51:52], -v[61:62]
	s_delay_alu instid0(VALU_DEP_3) | instskip(NEXT) | instid1(VALU_DEP_3)
	v_mul_f64 v[57:58], v[63:64], v[45:46]
	v_add_f64 v[43:44], v[55:56], -v[43:44]
	s_delay_alu instid0(VALU_DEP_3) | instskip(NEXT) | instid1(VALU_DEP_3)
	v_add_f64 v[51:52], v[51:52], -v[53:54]
	v_fma_f64 v[49:50], -v[49:50], v[57:58], v[63:64]
	s_delay_alu instid0(VALU_DEP_2) | instskip(NEXT) | instid1(VALU_DEP_2)
	v_add_f64 v[43:44], v[43:44], v[51:52]
	v_div_fmas_f64 v[45:46], v[49:50], v[45:46], v[57:58]
	v_subrev_co_ci_u32_e64 v3, vcc_lo, 0, v3, s7
	v_cmp_class_f64_e64 s7, v[39:40], 0x204
	v_cmp_gt_i32_e32 vcc_lo, 0, v6
	v_cndmask_b32_e32 v5, 0x54442d18, v59, vcc_lo
	v_add_f64 v[43:44], v[61:62], v[43:44]
	v_div_fixup_f64 v[13:14], v[45:46], v[37:38], v[13:14]
	s_delay_alu instid0(VALU_DEP_2) | instskip(NEXT) | instid1(VALU_DEP_2)
	v_mul_f64 v[37:38], v[47:48], v[43:44]
	v_mul_f64 v[43:44], v[13:14], v[13:14]
	s_delay_alu instid0(VALU_DEP_2) | instskip(NEXT) | instid1(VALU_DEP_2)
	v_add_f64 v[45:46], v[35:36], v[37:38]
	v_fma_f64 v[47:48], v[43:44], s[50:51], s[48:49]
	s_delay_alu instid0(VALU_DEP_2) | instskip(NEXT) | instid1(VALU_DEP_2)
	v_mul_f64 v[49:50], v[45:46], v[45:46]
	v_fma_f64 v[47:48], v[43:44], v[47:48], s[52:53]
	v_add_f64 v[35:36], v[45:46], -v[35:36]
	s_delay_alu instid0(VALU_DEP_3) | instskip(NEXT) | instid1(VALU_DEP_3)
	v_fma_f64 v[51:52], v[49:50], s[30:31], s[28:29]
	v_fma_f64 v[47:48], v[43:44], v[47:48], s[54:55]
	v_mul_f64 v[53:54], v[45:46], v[49:50]
	s_delay_alu instid0(VALU_DEP_4) | instskip(NEXT) | instid1(VALU_DEP_4)
	v_add_f64 v[35:36], v[37:38], -v[35:36]
	v_fma_f64 v[51:52], v[49:50], v[51:52], s[36:37]
	s_delay_alu instid0(VALU_DEP_4) | instskip(NEXT) | instid1(VALU_DEP_3)
	v_fma_f64 v[47:48], v[43:44], v[47:48], s[56:57]
	v_ldexp_f64 v[35:36], v[35:36], 1
	s_delay_alu instid0(VALU_DEP_3) | instskip(NEXT) | instid1(VALU_DEP_3)
	v_fma_f64 v[51:52], v[49:50], v[51:52], s[38:39]
	v_fma_f64 v[47:48], v[43:44], v[47:48], s[58:59]
	s_delay_alu instid0(VALU_DEP_2) | instskip(NEXT) | instid1(VALU_DEP_2)
	v_fma_f64 v[51:52], v[49:50], v[51:52], s[40:41]
	v_fma_f64 v[47:48], v[43:44], v[47:48], s[60:61]
	s_delay_alu instid0(VALU_DEP_2) | instskip(NEXT) | instid1(VALU_DEP_2)
	;; [unrolled: 3-line block ×3, first 2 shown]
	v_fma_f64 v[49:50], v[49:50], v[51:52], s[100:101]
	v_fma_f64 v[47:48], v[43:44], v[47:48], s[64:65]
	v_ldexp_f64 v[51:52], v[45:46], 1
	s_delay_alu instid0(VALU_DEP_3) | instskip(NEXT) | instid1(VALU_DEP_3)
	v_mul_f64 v[49:50], v[53:54], v[49:50]
	v_fma_f64 v[47:48], v[43:44], v[47:48], s[66:67]
	v_cvt_f64_i32_e32 v[53:54], v3
	v_ashrrev_i32_e32 v3, 31, v6
	s_delay_alu instid0(VALU_DEP_4) | instskip(NEXT) | instid1(VALU_DEP_4)
	v_add_f64 v[45:46], v[51:52], v[49:50]
	v_fma_f64 v[47:48], v[43:44], v[47:48], s[68:69]
	s_delay_alu instid0(VALU_DEP_4) | instskip(NEXT) | instid1(VALU_DEP_3)
	v_mul_f64 v[55:56], v[53:54], s[44:45]
	v_add_f64 v[37:38], v[45:46], -v[51:52]
	s_delay_alu instid0(VALU_DEP_3) | instskip(NEXT) | instid1(VALU_DEP_3)
	v_fma_f64 v[47:48], v[43:44], v[47:48], s[70:71]
	v_fma_f64 v[51:52], v[53:54], s[44:45], -v[55:56]
	s_delay_alu instid0(VALU_DEP_3) | instskip(NEXT) | instid1(VALU_DEP_3)
	v_add_f64 v[37:38], v[49:50], -v[37:38]
	v_fma_f64 v[47:48], v[43:44], v[47:48], s[72:73]
	s_delay_alu instid0(VALU_DEP_3) | instskip(NEXT) | instid1(VALU_DEP_3)
	v_fma_f64 v[49:50], v[53:54], s[46:47], v[51:52]
	v_add_f64 v[35:36], v[35:36], v[37:38]
	s_delay_alu instid0(VALU_DEP_3) | instskip(NEXT) | instid1(VALU_DEP_3)
	v_fma_f64 v[37:38], v[43:44], v[47:48], s[74:75]
	v_add_f64 v[47:48], v[55:56], v[49:50]
	s_delay_alu instid0(VALU_DEP_3) | instskip(NEXT) | instid1(VALU_DEP_3)
	v_add_f64 v[51:52], v[45:46], v[35:36]
	v_fma_f64 v[37:38], v[43:44], v[37:38], s[76:77]
	s_delay_alu instid0(VALU_DEP_3) | instskip(NEXT) | instid1(VALU_DEP_3)
	v_add_f64 v[55:56], v[47:48], -v[55:56]
	v_add_f64 v[53:54], v[47:48], v[51:52]
	s_delay_alu instid0(VALU_DEP_3) | instskip(SKIP_1) | instid1(VALU_DEP_4)
	v_fma_f64 v[37:38], v[43:44], v[37:38], s[78:79]
	v_add_f64 v[45:46], v[51:52], -v[45:46]
	v_add_f64 v[49:50], v[49:50], -v[55:56]
	s_delay_alu instid0(VALU_DEP_4) | instskip(NEXT) | instid1(VALU_DEP_4)
	v_add_f64 v[57:58], v[53:54], -v[47:48]
	v_fma_f64 v[37:38], v[43:44], v[37:38], s[80:81]
	s_delay_alu instid0(VALU_DEP_4) | instskip(NEXT) | instid1(VALU_DEP_3)
	v_add_f64 v[35:36], v[35:36], -v[45:46]
	v_add_f64 v[61:62], v[53:54], -v[57:58]
	s_delay_alu instid0(VALU_DEP_3) | instskip(SKIP_1) | instid1(VALU_DEP_4)
	v_fma_f64 v[37:38], v[43:44], v[37:38], s[82:83]
	v_add_f64 v[45:46], v[51:52], -v[57:58]
	v_add_f64 v[51:52], v[49:50], v[35:36]
	s_delay_alu instid0(VALU_DEP_4) | instskip(NEXT) | instid1(VALU_DEP_4)
	v_add_f64 v[47:48], v[47:48], -v[61:62]
	v_fma_f64 v[37:38], v[43:44], v[37:38], s[84:85]
	s_delay_alu instid0(VALU_DEP_2) | instskip(NEXT) | instid1(VALU_DEP_2)
	v_add_f64 v[45:46], v[45:46], v[47:48]
	v_fma_f64 v[37:38], v[43:44], v[37:38], s[86:87]
	v_add_f64 v[47:48], v[51:52], -v[49:50]
	s_delay_alu instid0(VALU_DEP_3) | instskip(NEXT) | instid1(VALU_DEP_3)
	v_add_f64 v[45:46], v[51:52], v[45:46]
	v_mul_f64 v[37:38], v[43:44], v[37:38]
	s_delay_alu instid0(VALU_DEP_3) | instskip(SKIP_1) | instid1(VALU_DEP_4)
	v_add_f64 v[43:44], v[51:52], -v[47:48]
	v_add_f64 v[35:36], v[35:36], -v[47:48]
	v_add_f64 v[51:52], v[53:54], v[45:46]
	s_delay_alu instid0(VALU_DEP_4) | instskip(NEXT) | instid1(VALU_DEP_4)
	v_fma_f64 v[13:14], v[13:14], v[37:38], v[13:14]
	v_add_f64 v[37:38], v[49:50], -v[43:44]
	s_delay_alu instid0(VALU_DEP_3) | instskip(NEXT) | instid1(VALU_DEP_3)
	v_add_f64 v[43:44], v[51:52], -v[53:54]
	v_add_f64 v[47:48], -v[13:14], s[88:89]
	s_delay_alu instid0(VALU_DEP_3) | instskip(NEXT) | instid1(VALU_DEP_3)
	v_add_f64 v[35:36], v[35:36], v[37:38]
	v_add_f64 v[37:38], v[45:46], -v[43:44]
	s_delay_alu instid0(VALU_DEP_3) | instskip(NEXT) | instid1(VALU_DEP_4)
	v_cndmask_b32_e64 v14, v14, v48, s6
	v_cndmask_b32_e64 v13, v13, v47, s6
	s_delay_alu instid0(VALU_DEP_3) | instskip(NEXT) | instid1(VALU_DEP_2)
	v_add_f64 v[35:36], v[35:36], v[37:38]
	v_add_f64 v[37:38], -v[13:14], s[16:17]
	v_and_b32_e32 v6, 0x54442d18, v3
	v_and_b32_e32 v3, 0x400921fb, v3
	s_delay_alu instid0(VALU_DEP_4) | instskip(NEXT) | instid1(VALU_DEP_4)
	v_add_f64 v[35:36], v[51:52], v[35:36]
	v_dual_cndmask_b32 v14, v14, v38 :: v_dual_cndmask_b32 v11, v13, v37
	v_cndmask_b32_e32 v13, 0x3fe921fb, v60, vcc_lo
	v_cmp_ngt_f64_e32 vcc_lo, 0, v[41:42]
	s_delay_alu instid0(VALU_DEP_3) | instskip(NEXT) | instid1(VALU_DEP_4)
	v_cndmask_b32_e64 v3, v14, v3, s8
	v_cndmask_b32_e64 v6, v11, v6, s8
	s_delay_alu instid0(VALU_DEP_4) | instskip(SKIP_3) | instid1(VALU_DEP_3)
	v_bfi_b32 v13, 0x7fffffff, v13, v8
	v_cndmask_b32_e64 v15, v36, v40, s7
	v_cndmask_b32_e64 v18, v35, v39, s7
	v_cmp_nge_f64_e64 s7, 0, v[41:42]
	v_cndmask_b32_e64 v15, v15, 0x7ff00000, s12
	s_delay_alu instid0(VALU_DEP_3) | instskip(NEXT) | instid1(VALU_DEP_2)
	v_cndmask_b32_e64 v11, v18, 0, s12
	v_cndmask_b32_e32 v14, 0x7ff80000, v15, vcc_lo
	s_and_b32 vcc_lo, s11, s10
	v_cndmask_b32_e32 v36, v3, v13, vcc_lo
	v_cndmask_b32_e32 v35, v6, v5, vcc_lo
	v_cndmask_b32_e64 v13, 0, v11, s7
	v_cmp_neq_f64_e64 s7, 0, v[41:42]
	s_delay_alu instid0(VALU_DEP_1)
	v_cndmask_b32_e64 v14, 0xfff00000, v14, s7
.LBB198_136:                            ;   in Loop: Header=BB198_4 Depth=1
	s_or_b32 exec_lo, exec_lo, s9
                                        ; implicit-def: $vgpr39_vgpr40
.LBB198_137:                            ;   in Loop: Header=BB198_4 Depth=1
	s_and_not1_saveexec_b32 s9, s23
	s_cbranch_execz .LBB198_143
; %bb.138:                              ;   in Loop: Header=BB198_4 Depth=1
	s_mov_b32 s10, 0x6a3f9475
	s_mov_b32 s11, 0x20ca2fe7
                                        ; implicit-def: $vgpr13_vgpr14
                                        ; implicit-def: $vgpr35_vgpr36
	s_mov_b32 s7, exec_lo
	v_cmpx_ngt_f64_e32 s[10:11], v[39:40]
	s_xor_b32 s10, exec_lo, s7
	s_cbranch_execz .LBB198_140
; %bb.139:                              ;   in Loop: Header=BB198_4 Depth=1
	v_mul_f64 v[13:14], v[39:40], v[39:40]
	s_mov_b32 s101, s27
	s_mov_b32 s16, s88
	v_cmp_eq_f64_e64 s8, 0, v[7:8]
	v_cmp_class_f64_e64 s11, v[7:8], 0x204
	v_cmp_class_f64_e64 s12, v[5:6], 0x204
	v_cmp_gt_i32_e64 s7, 0, v6
	v_add_f64 v[35:36], v[13:14], 1.0
	s_delay_alu instid0(VALU_DEP_1) | instskip(SKIP_2) | instid1(VALU_DEP_3)
	v_frexp_mant_f64_e32 v[37:38], v[35:36]
	v_frexp_exp_i32_f64_e32 v3, v[35:36]
	v_add_f64 v[39:40], v[35:36], -1.0
	v_cmp_gt_f64_e32 vcc_lo, s[26:27], v[37:38]
	s_delay_alu instid0(VALU_DEP_2) | instskip(SKIP_2) | instid1(VALU_DEP_3)
	v_add_f64 v[37:38], v[39:40], -v[35:36]
	v_add_f64 v[39:40], v[13:14], -v[39:40]
	v_subrev_co_ci_u32_e32 v3, vcc_lo, 0, v3, vcc_lo
	v_add_f64 v[37:38], v[37:38], 1.0
	s_delay_alu instid0(VALU_DEP_2) | instskip(NEXT) | instid1(VALU_DEP_1)
	v_sub_nc_u32_e32 v11, 0, v3
	v_ldexp_f64 v[35:36], v[35:36], v11
	s_delay_alu instid0(VALU_DEP_3) | instskip(NEXT) | instid1(VALU_DEP_2)
	v_add_f64 v[37:38], v[39:40], v[37:38]
	v_add_f64 v[41:42], v[35:36], 1.0
	v_add_f64 v[47:48], v[35:36], -1.0
	s_delay_alu instid0(VALU_DEP_3) | instskip(SKIP_1) | instid1(VALU_DEP_4)
	v_ldexp_f64 v[37:38], v[37:38], v11
	v_cndmask_b32_e64 v11, 0x54442d18, v59, s7
	v_add_f64 v[39:40], v[41:42], -1.0
	s_delay_alu instid0(VALU_DEP_4) | instskip(NEXT) | instid1(VALU_DEP_2)
	v_add_f64 v[49:50], v[47:48], 1.0
	v_add_f64 v[39:40], v[35:36], -v[39:40]
	s_delay_alu instid0(VALU_DEP_2) | instskip(NEXT) | instid1(VALU_DEP_2)
	v_add_f64 v[35:36], v[35:36], -v[49:50]
	v_add_f64 v[39:40], v[37:38], v[39:40]
	s_delay_alu instid0(VALU_DEP_2) | instskip(NEXT) | instid1(VALU_DEP_2)
	v_add_f64 v[35:36], v[37:38], v[35:36]
	v_add_f64 v[43:44], v[41:42], v[39:40]
	s_delay_alu instid0(VALU_DEP_2) | instskip(NEXT) | instid1(VALU_DEP_2)
	v_add_f64 v[49:50], v[47:48], v[35:36]
	v_rcp_f64_e32 v[45:46], v[43:44]
	v_add_f64 v[41:42], v[41:42], -v[43:44]
	s_delay_alu instid0(VALU_DEP_2) | instskip(NEXT) | instid1(VALU_DEP_2)
	v_add_f64 v[47:48], v[47:48], -v[49:50]
	v_add_f64 v[39:40], v[39:40], v[41:42]
	s_waitcnt_depctr 0xfff
	v_fma_f64 v[51:52], -v[43:44], v[45:46], 1.0
	v_add_f64 v[35:36], v[35:36], v[47:48]
	s_delay_alu instid0(VALU_DEP_2) | instskip(NEXT) | instid1(VALU_DEP_1)
	v_fma_f64 v[45:46], v[51:52], v[45:46], v[45:46]
	v_fma_f64 v[37:38], -v[43:44], v[45:46], 1.0
	s_delay_alu instid0(VALU_DEP_1) | instskip(NEXT) | instid1(VALU_DEP_1)
	v_fma_f64 v[37:38], v[37:38], v[45:46], v[45:46]
	v_mul_f64 v[45:46], v[49:50], v[37:38]
	s_delay_alu instid0(VALU_DEP_1) | instskip(NEXT) | instid1(VALU_DEP_1)
	v_mul_f64 v[51:52], v[43:44], v[45:46]
	v_fma_f64 v[41:42], v[45:46], v[43:44], -v[51:52]
	s_delay_alu instid0(VALU_DEP_1) | instskip(NEXT) | instid1(VALU_DEP_1)
	v_fma_f64 v[41:42], v[45:46], v[39:40], v[41:42]
	v_add_f64 v[53:54], v[51:52], v[41:42]
	s_delay_alu instid0(VALU_DEP_1) | instskip(SKIP_2) | instid1(VALU_DEP_3)
	v_add_f64 v[55:56], v[49:50], -v[53:54]
	v_add_f64 v[47:48], v[53:54], -v[51:52]
	v_max_f64 v[51:52], |v[7:8]|, |v[7:8]|
	v_add_f64 v[49:50], v[49:50], -v[55:56]
	s_delay_alu instid0(VALU_DEP_3) | instskip(NEXT) | instid1(VALU_DEP_2)
	v_add_f64 v[41:42], v[47:48], -v[41:42]
	v_add_f64 v[49:50], v[49:50], -v[53:54]
	v_max_f64 v[53:54], |v[5:6]|, |v[5:6]|
	s_delay_alu instid0(VALU_DEP_2) | instskip(NEXT) | instid1(VALU_DEP_2)
	v_add_f64 v[35:36], v[35:36], v[49:50]
	v_max_f64 v[57:58], v[53:54], v[51:52]
	v_min_f64 v[51:52], v[53:54], v[51:52]
	s_delay_alu instid0(VALU_DEP_3) | instskip(NEXT) | instid1(VALU_DEP_1)
	v_add_f64 v[35:36], v[41:42], v[35:36]
	v_add_f64 v[41:42], v[55:56], v[35:36]
	s_delay_alu instid0(VALU_DEP_1) | instskip(SKIP_1) | instid1(VALU_DEP_2)
	v_mul_f64 v[47:48], v[37:38], v[41:42]
	v_add_f64 v[55:56], v[55:56], -v[41:42]
	v_mul_f64 v[49:50], v[43:44], v[47:48]
	s_delay_alu instid0(VALU_DEP_2) | instskip(NEXT) | instid1(VALU_DEP_2)
	v_add_f64 v[35:36], v[35:36], v[55:56]
	v_fma_f64 v[43:44], v[47:48], v[43:44], -v[49:50]
	s_delay_alu instid0(VALU_DEP_1) | instskip(SKIP_1) | instid1(VALU_DEP_2)
	v_fma_f64 v[39:40], v[47:48], v[39:40], v[43:44]
	v_div_scale_f64 v[43:44], null, v[57:58], v[57:58], v[51:52]
	v_add_f64 v[53:54], v[49:50], v[39:40]
	s_delay_alu instid0(VALU_DEP_2) | instskip(NEXT) | instid1(VALU_DEP_1)
	v_rcp_f64_e32 v[61:62], v[43:44]
	v_add_f64 v[63:64], v[41:42], -v[53:54]
	v_add_f64 v[49:50], v[53:54], -v[49:50]
	s_waitcnt_depctr 0xfff
	v_fma_f64 v[65:66], -v[43:44], v[61:62], 1.0
	v_add_f64 v[41:42], v[41:42], -v[63:64]
	v_add_f64 v[39:40], v[49:50], -v[39:40]
	s_delay_alu instid0(VALU_DEP_3) | instskip(NEXT) | instid1(VALU_DEP_3)
	v_fma_f64 v[61:62], v[61:62], v[65:66], v[61:62]
	v_add_f64 v[41:42], v[41:42], -v[53:54]
	s_delay_alu instid0(VALU_DEP_2) | instskip(NEXT) | instid1(VALU_DEP_2)
	v_fma_f64 v[53:54], -v[43:44], v[61:62], 1.0
	v_add_f64 v[35:36], v[35:36], v[41:42]
	v_div_scale_f64 v[41:42], vcc_lo, v[51:52], v[57:58], v[51:52]
	s_delay_alu instid0(VALU_DEP_3) | instskip(SKIP_1) | instid1(VALU_DEP_4)
	v_fma_f64 v[49:50], v[61:62], v[53:54], v[61:62]
	v_add_f64 v[53:54], v[45:46], v[47:48]
	v_add_f64 v[35:36], v[39:40], v[35:36]
	s_delay_alu instid0(VALU_DEP_3) | instskip(NEXT) | instid1(VALU_DEP_3)
	v_mul_f64 v[39:40], v[41:42], v[49:50]
	v_add_f64 v[45:46], v[53:54], -v[45:46]
	s_delay_alu instid0(VALU_DEP_3) | instskip(NEXT) | instid1(VALU_DEP_3)
	v_add_f64 v[35:36], v[63:64], v[35:36]
	v_fma_f64 v[41:42], -v[43:44], v[39:40], v[41:42]
	s_delay_alu instid0(VALU_DEP_3) | instskip(NEXT) | instid1(VALU_DEP_3)
	v_add_f64 v[43:44], v[47:48], -v[45:46]
	v_mul_f64 v[35:36], v[37:38], v[35:36]
	s_delay_alu instid0(VALU_DEP_3) | instskip(SKIP_1) | instid1(VALU_DEP_3)
	v_div_fmas_f64 v[37:38], v[41:42], v[49:50], v[39:40]
	v_cmp_eq_f64_e32 vcc_lo, 0x7ff00000, v[13:14]
	v_add_f64 v[35:36], v[43:44], v[35:36]
	s_delay_alu instid0(VALU_DEP_3) | instskip(NEXT) | instid1(VALU_DEP_2)
	v_div_fixup_f64 v[37:38], v[37:38], v[57:58], v[51:52]
	v_add_f64 v[39:40], v[53:54], v[35:36]
	s_delay_alu instid0(VALU_DEP_2) | instskip(NEXT) | instid1(VALU_DEP_2)
	v_mul_f64 v[41:42], v[37:38], v[37:38]
	v_mul_f64 v[43:44], v[39:40], v[39:40]
	s_delay_alu instid0(VALU_DEP_2) | instskip(NEXT) | instid1(VALU_DEP_2)
	v_fma_f64 v[45:46], v[41:42], s[50:51], s[48:49]
	v_fma_f64 v[47:48], v[43:44], s[30:31], s[28:29]
	v_mul_f64 v[49:50], v[39:40], v[43:44]
	s_delay_alu instid0(VALU_DEP_3) | instskip(NEXT) | instid1(VALU_DEP_3)
	v_fma_f64 v[45:46], v[41:42], v[45:46], s[52:53]
	v_fma_f64 v[47:48], v[43:44], v[47:48], s[36:37]
	s_delay_alu instid0(VALU_DEP_2) | instskip(NEXT) | instid1(VALU_DEP_2)
	v_fma_f64 v[45:46], v[41:42], v[45:46], s[54:55]
	v_fma_f64 v[47:48], v[43:44], v[47:48], s[38:39]
	s_delay_alu instid0(VALU_DEP_2) | instskip(NEXT) | instid1(VALU_DEP_2)
	;; [unrolled: 3-line block ×4, first 2 shown]
	v_fma_f64 v[45:46], v[41:42], v[45:46], s[60:61]
	v_fma_f64 v[43:44], v[43:44], v[47:48], s[100:101]
	v_ldexp_f64 v[47:48], v[39:40], 1
	v_add_f64 v[39:40], v[39:40], -v[53:54]
	s_delay_alu instid0(VALU_DEP_4) | instskip(NEXT) | instid1(VALU_DEP_4)
	v_fma_f64 v[45:46], v[41:42], v[45:46], s[62:63]
	v_mul_f64 v[43:44], v[49:50], v[43:44]
	v_cvt_f64_i32_e32 v[49:50], v3
	s_delay_alu instid0(VALU_DEP_4) | instskip(NEXT) | instid1(VALU_DEP_4)
	v_add_f64 v[35:36], v[35:36], -v[39:40]
	v_fma_f64 v[45:46], v[41:42], v[45:46], s[64:65]
	v_ashrrev_i32_e32 v3, 31, v6
	v_add_f64 v[51:52], v[47:48], v[43:44]
	v_mul_f64 v[53:54], v[49:50], s[44:45]
	v_ldexp_f64 v[35:36], v[35:36], 1
	v_fma_f64 v[45:46], v[41:42], v[45:46], s[66:67]
	s_delay_alu instid0(VALU_DEP_4) | instskip(NEXT) | instid1(VALU_DEP_4)
	v_add_f64 v[39:40], v[51:52], -v[47:48]
	v_fma_f64 v[47:48], v[49:50], s[44:45], -v[53:54]
	s_delay_alu instid0(VALU_DEP_3) | instskip(NEXT) | instid1(VALU_DEP_3)
	v_fma_f64 v[45:46], v[41:42], v[45:46], s[68:69]
	v_add_f64 v[39:40], v[43:44], -v[39:40]
	s_delay_alu instid0(VALU_DEP_2) | instskip(NEXT) | instid1(VALU_DEP_4)
	v_fma_f64 v[43:44], v[41:42], v[45:46], s[70:71]
	v_fma_f64 v[45:46], v[49:50], s[46:47], v[47:48]
	s_delay_alu instid0(VALU_DEP_3) | instskip(NEXT) | instid1(VALU_DEP_3)
	v_add_f64 v[35:36], v[35:36], v[39:40]
	v_fma_f64 v[39:40], v[41:42], v[43:44], s[72:73]
	s_delay_alu instid0(VALU_DEP_3) | instskip(NEXT) | instid1(VALU_DEP_3)
	v_add_f64 v[43:44], v[53:54], v[45:46]
	v_add_f64 v[47:48], v[51:52], v[35:36]
	s_delay_alu instid0(VALU_DEP_3) | instskip(NEXT) | instid1(VALU_DEP_3)
	v_fma_f64 v[39:40], v[41:42], v[39:40], s[74:75]
	v_add_f64 v[53:54], v[43:44], -v[53:54]
	s_delay_alu instid0(VALU_DEP_3) | instskip(SKIP_1) | instid1(VALU_DEP_4)
	v_add_f64 v[49:50], v[43:44], v[47:48]
	v_add_f64 v[51:52], v[47:48], -v[51:52]
	v_fma_f64 v[39:40], v[41:42], v[39:40], s[76:77]
	s_delay_alu instid0(VALU_DEP_4) | instskip(NEXT) | instid1(VALU_DEP_4)
	v_add_f64 v[45:46], v[45:46], -v[53:54]
	v_add_f64 v[55:56], v[49:50], -v[43:44]
	s_delay_alu instid0(VALU_DEP_4) | instskip(NEXT) | instid1(VALU_DEP_4)
	v_add_f64 v[35:36], v[35:36], -v[51:52]
	v_fma_f64 v[39:40], v[41:42], v[39:40], s[78:79]
	s_delay_alu instid0(VALU_DEP_3) | instskip(SKIP_1) | instid1(VALU_DEP_4)
	v_add_f64 v[57:58], v[49:50], -v[55:56]
	v_add_f64 v[47:48], v[47:48], -v[55:56]
	v_add_f64 v[51:52], v[45:46], v[35:36]
	s_delay_alu instid0(VALU_DEP_4) | instskip(NEXT) | instid1(VALU_DEP_4)
	v_fma_f64 v[39:40], v[41:42], v[39:40], s[80:81]
	v_add_f64 v[43:44], v[43:44], -v[57:58]
	s_delay_alu instid0(VALU_DEP_2) | instskip(NEXT) | instid1(VALU_DEP_2)
	v_fma_f64 v[39:40], v[41:42], v[39:40], s[82:83]
	v_add_f64 v[43:44], v[47:48], v[43:44]
	v_add_f64 v[47:48], v[51:52], -v[45:46]
	s_delay_alu instid0(VALU_DEP_3) | instskip(NEXT) | instid1(VALU_DEP_3)
	v_fma_f64 v[39:40], v[41:42], v[39:40], s[84:85]
	v_add_f64 v[43:44], v[51:52], v[43:44]
	s_delay_alu instid0(VALU_DEP_3) | instskip(SKIP_1) | instid1(VALU_DEP_4)
	v_add_f64 v[51:52], v[51:52], -v[47:48]
	v_add_f64 v[35:36], v[35:36], -v[47:48]
	v_fma_f64 v[39:40], v[41:42], v[39:40], s[86:87]
	s_delay_alu instid0(VALU_DEP_4) | instskip(NEXT) | instid1(VALU_DEP_2)
	v_add_f64 v[53:54], v[49:50], v[43:44]
	v_mul_f64 v[39:40], v[41:42], v[39:40]
	v_add_f64 v[41:42], v[45:46], -v[51:52]
	s_delay_alu instid0(VALU_DEP_3) | instskip(NEXT) | instid1(VALU_DEP_3)
	v_add_f64 v[45:46], v[53:54], -v[49:50]
	v_fma_f64 v[37:38], v[37:38], v[39:40], v[37:38]
	s_delay_alu instid0(VALU_DEP_3) | instskip(NEXT) | instid1(VALU_DEP_3)
	v_add_f64 v[35:36], v[35:36], v[41:42]
	v_add_f64 v[39:40], v[43:44], -v[45:46]
	s_delay_alu instid0(VALU_DEP_3) | instskip(NEXT) | instid1(VALU_DEP_2)
	v_add_f64 v[41:42], -v[37:38], s[88:89]
	v_add_f64 v[35:36], v[35:36], v[39:40]
	s_delay_alu instid0(VALU_DEP_2) | instskip(NEXT) | instid1(VALU_DEP_3)
	v_cndmask_b32_e64 v38, v38, v42, s6
	v_cndmask_b32_e64 v37, v37, v41, s6
	s_delay_alu instid0(VALU_DEP_1) | instskip(NEXT) | instid1(VALU_DEP_4)
	v_add_f64 v[39:40], -v[37:38], s[16:17]
	v_add_f64 v[35:36], v[53:54], v[35:36]
	v_and_b32_e32 v15, 0x54442d18, v3
	v_and_b32_e32 v3, 0x400921fb, v3
	s_delay_alu instid0(VALU_DEP_4) | instskip(NEXT) | instid1(VALU_DEP_4)
	v_cndmask_b32_e64 v18, v37, v39, s7
	v_dual_cndmask_b32 v6, v36, v14 :: v_dual_cndmask_b32 v5, v35, v13
	s_delay_alu instid0(VALU_DEP_2) | instskip(SKIP_1) | instid1(VALU_DEP_2)
	v_cndmask_b32_e64 v15, v18, v15, s8
	s_and_b32 vcc_lo, s11, s12
	v_mul_f64 v[13:14], v[5:6], 0.5
	v_cndmask_b32_e64 v5, 0x3fe921fb, v60, s7
	v_cndmask_b32_e64 v6, v38, v40, s7
	v_cndmask_b32_e32 v35, v15, v11, vcc_lo
                                        ; implicit-def: $vgpr39_vgpr40
	s_delay_alu instid0(VALU_DEP_3) | instskip(NEXT) | instid1(VALU_DEP_3)
	v_bfi_b32 v5, 0x7fffffff, v5, v8
	v_cndmask_b32_e64 v3, v6, v3, s8
	s_delay_alu instid0(VALU_DEP_1)
	v_cndmask_b32_e32 v36, v3, v5, vcc_lo
.LBB198_140:                            ;   in Loop: Header=BB198_4 Depth=1
	s_and_not1_saveexec_b32 s8, s10
	s_cbranch_execz .LBB198_142
; %bb.141:                              ;   in Loop: Header=BB198_4 Depth=1
	v_max_f64 v[13:14], |v[7:8]|, |v[7:8]|
	v_max_f64 v[35:36], |v[5:6]|, |v[5:6]|
	s_mov_b32 s16, s88
	v_cmp_eq_f64_e64 s7, 0, v[7:8]
	v_cmp_class_f64_e64 s10, v[7:8], 0x204
	v_cmp_class_f64_e64 s11, v[5:6], 0x204
	v_ashrrev_i32_e32 v3, 31, v6
	s_delay_alu instid0(VALU_DEP_1) | instskip(SKIP_3) | instid1(VALU_DEP_1)
	v_and_b32_e32 v18, 0x54442d18, v3
	v_and_b32_e32 v3, 0x400921fb, v3
	v_max_f64 v[37:38], v[35:36], v[13:14]
	v_min_f64 v[13:14], v[35:36], v[13:14]
	v_div_scale_f64 v[35:36], null, v[37:38], v[37:38], v[13:14]
	v_div_scale_f64 v[45:46], vcc_lo, v[13:14], v[37:38], v[13:14]
	s_delay_alu instid0(VALU_DEP_2) | instskip(SKIP_2) | instid1(VALU_DEP_1)
	v_rcp_f64_e32 v[41:42], v[35:36]
	s_waitcnt_depctr 0xfff
	v_fma_f64 v[43:44], -v[35:36], v[41:42], 1.0
	v_fma_f64 v[41:42], v[41:42], v[43:44], v[41:42]
	s_delay_alu instid0(VALU_DEP_1) | instskip(NEXT) | instid1(VALU_DEP_1)
	v_fma_f64 v[43:44], -v[35:36], v[41:42], 1.0
	v_fma_f64 v[41:42], v[41:42], v[43:44], v[41:42]
	s_delay_alu instid0(VALU_DEP_1) | instskip(NEXT) | instid1(VALU_DEP_1)
	v_mul_f64 v[43:44], v[45:46], v[41:42]
	v_fma_f64 v[35:36], -v[35:36], v[43:44], v[45:46]
	s_delay_alu instid0(VALU_DEP_1) | instskip(SKIP_3) | instid1(VALU_DEP_2)
	v_div_fmas_f64 v[35:36], v[35:36], v[41:42], v[43:44]
	v_cmp_gt_i32_e32 vcc_lo, 0, v6
	v_cndmask_b32_e32 v5, 0x3fe921fb, v60, vcc_lo
	v_cndmask_b32_e32 v11, 0x54442d18, v59, vcc_lo
	v_bfi_b32 v5, 0x7fffffff, v5, v8
	v_div_fixup_f64 v[13:14], v[35:36], v[37:38], v[13:14]
	s_delay_alu instid0(VALU_DEP_1) | instskip(NEXT) | instid1(VALU_DEP_1)
	v_mul_f64 v[35:36], v[13:14], v[13:14]
	v_fma_f64 v[37:38], v[35:36], s[50:51], s[48:49]
	s_delay_alu instid0(VALU_DEP_1) | instskip(NEXT) | instid1(VALU_DEP_1)
	v_fma_f64 v[37:38], v[35:36], v[37:38], s[52:53]
	v_fma_f64 v[37:38], v[35:36], v[37:38], s[54:55]
	s_delay_alu instid0(VALU_DEP_1) | instskip(NEXT) | instid1(VALU_DEP_1)
	v_fma_f64 v[37:38], v[35:36], v[37:38], s[56:57]
	v_fma_f64 v[37:38], v[35:36], v[37:38], s[58:59]
	s_delay_alu instid0(VALU_DEP_1) | instskip(NEXT) | instid1(VALU_DEP_1)
	v_fma_f64 v[37:38], v[35:36], v[37:38], s[60:61]
	v_fma_f64 v[37:38], v[35:36], v[37:38], s[62:63]
	s_delay_alu instid0(VALU_DEP_1) | instskip(NEXT) | instid1(VALU_DEP_1)
	v_fma_f64 v[37:38], v[35:36], v[37:38], s[64:65]
	v_fma_f64 v[37:38], v[35:36], v[37:38], s[66:67]
	s_delay_alu instid0(VALU_DEP_1) | instskip(NEXT) | instid1(VALU_DEP_1)
	v_fma_f64 v[37:38], v[35:36], v[37:38], s[68:69]
	v_fma_f64 v[37:38], v[35:36], v[37:38], s[70:71]
	s_delay_alu instid0(VALU_DEP_1) | instskip(NEXT) | instid1(VALU_DEP_1)
	v_fma_f64 v[37:38], v[35:36], v[37:38], s[72:73]
	v_fma_f64 v[37:38], v[35:36], v[37:38], s[74:75]
	s_delay_alu instid0(VALU_DEP_1) | instskip(NEXT) | instid1(VALU_DEP_1)
	v_fma_f64 v[37:38], v[35:36], v[37:38], s[76:77]
	v_fma_f64 v[37:38], v[35:36], v[37:38], s[78:79]
	s_delay_alu instid0(VALU_DEP_1) | instskip(NEXT) | instid1(VALU_DEP_1)
	v_fma_f64 v[37:38], v[35:36], v[37:38], s[80:81]
	v_fma_f64 v[37:38], v[35:36], v[37:38], s[82:83]
	s_delay_alu instid0(VALU_DEP_1) | instskip(NEXT) | instid1(VALU_DEP_1)
	v_fma_f64 v[37:38], v[35:36], v[37:38], s[84:85]
	v_fma_f64 v[37:38], v[35:36], v[37:38], s[86:87]
	s_delay_alu instid0(VALU_DEP_1) | instskip(SKIP_1) | instid1(VALU_DEP_2)
	v_mul_f64 v[35:36], v[35:36], v[37:38]
	v_mul_f64 v[37:38], v[39:40], 0.5
	v_fma_f64 v[13:14], v[13:14], v[35:36], v[13:14]
	s_delay_alu instid0(VALU_DEP_1) | instskip(NEXT) | instid1(VALU_DEP_1)
	v_add_f64 v[35:36], -v[13:14], s[88:89]
	v_cndmask_b32_e64 v15, v14, v36, s6
	s_delay_alu instid0(VALU_DEP_2) | instskip(NEXT) | instid1(VALU_DEP_1)
	v_cndmask_b32_e64 v14, v13, v35, s6
	v_add_f64 v[35:36], -v[14:15], s[16:17]
	s_delay_alu instid0(VALU_DEP_1) | instskip(SKIP_2) | instid1(VALU_DEP_2)
	v_dual_cndmask_b32 v35, v14, v35 :: v_dual_cndmask_b32 v6, v15, v36
	v_mul_f64 v[13:14], v[39:40], v[37:38]
	s_and_b32 vcc_lo, s10, s11
	v_cndmask_b32_e64 v15, v35, v18, s7
	s_delay_alu instid0(VALU_DEP_3) | instskip(NEXT) | instid1(VALU_DEP_2)
	v_cndmask_b32_e64 v3, v6, v3, s7
	v_cndmask_b32_e32 v35, v15, v11, vcc_lo
	s_delay_alu instid0(VALU_DEP_2)
	v_cndmask_b32_e32 v36, v3, v5, vcc_lo
.LBB198_142:                            ;   in Loop: Header=BB198_4 Depth=1
	s_or_b32 exec_lo, exec_lo, s8
.LBB198_143:                            ;   in Loop: Header=BB198_4 Depth=1
	s_delay_alu instid0(SALU_CYCLE_1)
	s_or_b32 exec_lo, exec_lo, s9
.LBB198_144:                            ;   in Loop: Header=BB198_4 Depth=1
	s_and_not1_saveexec_b32 s9, s22
	s_cbranch_execz .LBB198_146
; %bb.145:                              ;   in Loop: Header=BB198_4 Depth=1
	v_div_scale_f64 v[13:14], null, s[94:95], s[94:95], v[5:6]
	v_div_scale_f64 v[35:36], null, s[94:95], s[94:95], v[7:8]
	v_div_scale_f64 v[45:46], vcc_lo, v[5:6], s[94:95], v[5:6]
	v_max_f64 v[49:50], |v[5:6]|, |v[5:6]|
	s_mov_b32 s101, s27
	s_mov_b32 s16, s88
	s_delay_alu instid0(VALU_DEP_4) | instskip(NEXT) | instid1(VALU_DEP_3)
	v_rcp_f64_e32 v[37:38], v[13:14]
	v_rcp_f64_e32 v[39:40], v[35:36]
	s_waitcnt_depctr 0xfff
	v_fma_f64 v[41:42], -v[13:14], v[37:38], 1.0
	v_fma_f64 v[43:44], -v[35:36], v[39:40], 1.0
	s_delay_alu instid0(VALU_DEP_2) | instskip(NEXT) | instid1(VALU_DEP_2)
	v_fma_f64 v[37:38], v[37:38], v[41:42], v[37:38]
	v_fma_f64 v[39:40], v[39:40], v[43:44], v[39:40]
	s_delay_alu instid0(VALU_DEP_2) | instskip(NEXT) | instid1(VALU_DEP_2)
	v_fma_f64 v[41:42], -v[13:14], v[37:38], 1.0
	v_fma_f64 v[43:44], -v[35:36], v[39:40], 1.0
	s_delay_alu instid0(VALU_DEP_2) | instskip(SKIP_1) | instid1(VALU_DEP_3)
	v_fma_f64 v[37:38], v[37:38], v[41:42], v[37:38]
	v_div_scale_f64 v[41:42], s7, v[7:8], s[94:95], v[7:8]
	v_fma_f64 v[39:40], v[39:40], v[43:44], v[39:40]
	s_delay_alu instid0(VALU_DEP_3) | instskip(NEXT) | instid1(VALU_DEP_2)
	v_mul_f64 v[43:44], v[45:46], v[37:38]
	v_mul_f64 v[47:48], v[41:42], v[39:40]
	s_delay_alu instid0(VALU_DEP_2) | instskip(NEXT) | instid1(VALU_DEP_2)
	v_fma_f64 v[13:14], -v[13:14], v[43:44], v[45:46]
	v_fma_f64 v[35:36], -v[35:36], v[47:48], v[41:42]
	s_delay_alu instid0(VALU_DEP_2) | instskip(SKIP_1) | instid1(VALU_DEP_2)
	v_div_fmas_f64 v[13:14], v[13:14], v[37:38], v[43:44]
	s_mov_b32 vcc_lo, s7
	v_div_fmas_f64 v[35:36], v[35:36], v[39:40], v[47:48]
	s_delay_alu instid0(VALU_DEP_2) | instskip(NEXT) | instid1(VALU_DEP_2)
	v_div_fixup_f64 v[13:14], v[13:14], s[94:95], v[5:6]
	v_div_fixup_f64 v[35:36], v[35:36], s[94:95], v[7:8]
	s_delay_alu instid0(VALU_DEP_2) | instskip(NEXT) | instid1(VALU_DEP_2)
	v_cmp_class_f64_e64 s8, v[13:14], 0x204
	v_max_f64 v[37:38], |v[13:14]|, |v[35:36]|
	v_cmp_o_f64_e64 s7, v[13:14], v[35:36]
	v_cmp_class_f64_e64 s10, v[35:36], 0x204
	s_delay_alu instid0(VALU_DEP_3) | instskip(NEXT) | instid1(VALU_DEP_2)
	v_frexp_exp_i32_f64_e32 v3, v[37:38]
	s_or_b32 s10, s10, s8
	s_delay_alu instid0(VALU_DEP_1) | instskip(NEXT) | instid1(VALU_DEP_1)
	v_sub_nc_u32_e32 v11, 0, v3
	v_ldexp_f64 v[37:38], |v[35:36]|, v11
	v_ldexp_f64 v[39:40], |v[13:14]|, v11
	s_delay_alu instid0(VALU_DEP_2) | instskip(NEXT) | instid1(VALU_DEP_1)
	v_mul_f64 v[37:38], v[37:38], v[37:38]
	v_fma_f64 v[37:38], v[39:40], v[39:40], v[37:38]
	s_delay_alu instid0(VALU_DEP_1) | instskip(SKIP_4) | instid1(VALU_DEP_1)
	v_rsq_f64_e32 v[39:40], v[37:38]
	v_cmp_eq_f64_e32 vcc_lo, 0, v[37:38]
	s_waitcnt_depctr 0xfff
	v_mul_f64 v[41:42], v[37:38], v[39:40]
	v_mul_f64 v[39:40], v[39:40], 0.5
	v_fma_f64 v[43:44], -v[39:40], v[41:42], 0.5
	s_delay_alu instid0(VALU_DEP_1) | instskip(SKIP_1) | instid1(VALU_DEP_2)
	v_fma_f64 v[41:42], v[41:42], v[43:44], v[41:42]
	v_fma_f64 v[39:40], v[39:40], v[43:44], v[39:40]
	v_fma_f64 v[43:44], -v[41:42], v[41:42], v[37:38]
	s_delay_alu instid0(VALU_DEP_1) | instskip(NEXT) | instid1(VALU_DEP_1)
	v_fma_f64 v[39:40], v[43:44], v[39:40], v[41:42]
	v_dual_cndmask_b32 v38, v40, v38 :: v_dual_cndmask_b32 v37, v39, v37
	s_delay_alu instid0(VALU_DEP_1) | instskip(NEXT) | instid1(VALU_DEP_1)
	v_ldexp_f64 v[37:38], v[37:38], v3
	v_cndmask_b32_e64 v3, 0, v37, s7
	s_delay_alu instid0(VALU_DEP_2) | instskip(NEXT) | instid1(VALU_DEP_2)
	v_cndmask_b32_e64 v11, 0x7ff80000, v38, s7
	v_cndmask_b32_e64 v14, v3, 0, s10
	s_delay_alu instid0(VALU_DEP_2) | instskip(NEXT) | instid1(VALU_DEP_1)
	v_cndmask_b32_e64 v15, v11, 0x7ff00000, s10
	v_frexp_mant_f64_e32 v[35:36], v[14:15]
	v_frexp_exp_i32_f64_e32 v13, v[14:15]
	s_delay_alu instid0(VALU_DEP_2) | instskip(NEXT) | instid1(VALU_DEP_1)
	v_cmp_gt_f64_e64 s8, s[26:27], v[35:36]
	v_cndmask_b32_e64 v18, 0x3ff00000, 2.0, s8
	s_delay_alu instid0(VALU_DEP_1) | instskip(NEXT) | instid1(VALU_DEP_1)
	v_mul_f64 v[35:36], v[35:36], v[17:18]
	v_add_f64 v[39:40], v[35:36], 1.0
	v_add_f64 v[45:46], v[35:36], -1.0
	s_delay_alu instid0(VALU_DEP_2) | instskip(SKIP_1) | instid1(VALU_DEP_1)
	v_rcp_f64_e32 v[41:42], v[39:40]
	v_add_f64 v[51:52], v[39:40], -1.0
	v_add_f64 v[35:36], v[35:36], -v[51:52]
	s_waitcnt_depctr 0xfff
	v_fma_f64 v[43:44], -v[39:40], v[41:42], 1.0
	s_delay_alu instid0(VALU_DEP_1) | instskip(NEXT) | instid1(VALU_DEP_1)
	v_fma_f64 v[41:42], v[43:44], v[41:42], v[41:42]
	v_fma_f64 v[43:44], -v[39:40], v[41:42], 1.0
	s_delay_alu instid0(VALU_DEP_1) | instskip(SKIP_1) | instid1(VALU_DEP_2)
	v_fma_f64 v[41:42], v[43:44], v[41:42], v[41:42]
	v_max_f64 v[43:44], |v[7:8]|, |v[7:8]|
	v_mul_f64 v[47:48], v[45:46], v[41:42]
	s_delay_alu instid0(VALU_DEP_2) | instskip(SKIP_1) | instid1(VALU_DEP_3)
	v_max_f64 v[55:56], v[49:50], v[43:44]
	v_min_f64 v[43:44], v[49:50], v[43:44]
	v_mul_f64 v[53:54], v[39:40], v[47:48]
	s_delay_alu instid0(VALU_DEP_2) | instskip(NEXT) | instid1(VALU_DEP_2)
	v_div_scale_f64 v[49:50], null, v[55:56], v[55:56], v[43:44]
	v_fma_f64 v[39:40], v[47:48], v[39:40], -v[53:54]
	s_delay_alu instid0(VALU_DEP_1) | instskip(NEXT) | instid1(VALU_DEP_3)
	v_fma_f64 v[35:36], v[47:48], v[35:36], v[39:40]
	v_rcp_f64_e32 v[39:40], v[49:50]
	s_delay_alu instid0(VALU_DEP_1) | instskip(SKIP_4) | instid1(VALU_DEP_3)
	v_add_f64 v[51:52], v[53:54], v[35:36]
	s_waitcnt_depctr 0xfff
	v_fma_f64 v[57:58], -v[49:50], v[39:40], 1.0
	v_add_f64 v[61:62], v[45:46], -v[51:52]
	v_add_f64 v[53:54], v[51:52], -v[53:54]
	v_fma_f64 v[39:40], v[39:40], v[57:58], v[39:40]
	s_delay_alu instid0(VALU_DEP_3) | instskip(NEXT) | instid1(VALU_DEP_3)
	v_add_f64 v[45:46], v[45:46], -v[61:62]
	v_add_f64 v[35:36], v[53:54], -v[35:36]
	s_delay_alu instid0(VALU_DEP_3) | instskip(NEXT) | instid1(VALU_DEP_3)
	v_fma_f64 v[57:58], -v[49:50], v[39:40], 1.0
	v_add_f64 v[45:46], v[45:46], -v[51:52]
	v_div_scale_f64 v[51:52], vcc_lo, v[43:44], v[55:56], v[43:44]
	s_delay_alu instid0(VALU_DEP_3) | instskip(NEXT) | instid1(VALU_DEP_3)
	v_fma_f64 v[39:40], v[39:40], v[57:58], v[39:40]
	v_add_f64 v[35:36], v[35:36], v[45:46]
	s_delay_alu instid0(VALU_DEP_2) | instskip(NEXT) | instid1(VALU_DEP_2)
	v_mul_f64 v[45:46], v[51:52], v[39:40]
	v_add_f64 v[35:36], v[61:62], v[35:36]
	s_delay_alu instid0(VALU_DEP_2) | instskip(NEXT) | instid1(VALU_DEP_2)
	v_fma_f64 v[49:50], -v[49:50], v[45:46], v[51:52]
	v_mul_f64 v[35:36], v[41:42], v[35:36]
	s_delay_alu instid0(VALU_DEP_2) | instskip(SKIP_2) | instid1(VALU_DEP_4)
	v_div_fmas_f64 v[39:40], v[49:50], v[39:40], v[45:46]
	v_subrev_co_ci_u32_e64 v13, vcc_lo, 0, v13, s8
	v_cmp_class_f64_e64 s8, v[5:6], 0x204
	v_add_f64 v[41:42], v[47:48], v[35:36]
	s_delay_alu instid0(VALU_DEP_4) | instskip(NEXT) | instid1(VALU_DEP_2)
	v_div_fixup_f64 v[39:40], v[39:40], v[55:56], v[43:44]
	v_mul_f64 v[43:44], v[41:42], v[41:42]
	s_delay_alu instid0(VALU_DEP_2) | instskip(NEXT) | instid1(VALU_DEP_2)
	v_mul_f64 v[45:46], v[39:40], v[39:40]
	v_fma_f64 v[49:50], v[43:44], s[30:31], s[28:29]
	v_mul_f64 v[53:54], v[41:42], v[43:44]
	s_delay_alu instid0(VALU_DEP_3) | instskip(NEXT) | instid1(VALU_DEP_3)
	v_fma_f64 v[51:52], v[45:46], s[50:51], s[48:49]
	v_fma_f64 v[49:50], v[43:44], v[49:50], s[36:37]
	s_delay_alu instid0(VALU_DEP_2) | instskip(NEXT) | instid1(VALU_DEP_2)
	v_fma_f64 v[51:52], v[45:46], v[51:52], s[52:53]
	v_fma_f64 v[49:50], v[43:44], v[49:50], s[38:39]
	s_delay_alu instid0(VALU_DEP_2) | instskip(NEXT) | instid1(VALU_DEP_2)
	;; [unrolled: 3-line block ×4, first 2 shown]
	v_fma_f64 v[51:52], v[45:46], v[51:52], s[58:59]
	v_fma_f64 v[43:44], v[43:44], v[49:50], s[100:101]
	s_delay_alu instid0(VALU_DEP_2) | instskip(SKIP_2) | instid1(VALU_DEP_4)
	v_fma_f64 v[49:50], v[45:46], v[51:52], s[60:61]
	v_ldexp_f64 v[51:52], v[41:42], 1
	v_add_f64 v[41:42], v[41:42], -v[47:48]
	v_mul_f64 v[43:44], v[53:54], v[43:44]
	v_cvt_f64_i32_e32 v[53:54], v13
	v_ashrrev_i32_e32 v13, 31, v6
	v_fma_f64 v[49:50], v[45:46], v[49:50], s[62:63]
	v_add_f64 v[35:36], v[35:36], -v[41:42]
	v_add_f64 v[47:48], v[51:52], v[43:44]
	v_mul_f64 v[55:56], v[53:54], s[44:45]
	s_delay_alu instid0(VALU_DEP_4) | instskip(NEXT) | instid1(VALU_DEP_4)
	v_fma_f64 v[49:50], v[45:46], v[49:50], s[64:65]
	v_ldexp_f64 v[35:36], v[35:36], 1
	s_delay_alu instid0(VALU_DEP_4) | instskip(NEXT) | instid1(VALU_DEP_4)
	v_add_f64 v[41:42], v[47:48], -v[51:52]
	v_fma_f64 v[51:52], v[53:54], s[44:45], -v[55:56]
	s_delay_alu instid0(VALU_DEP_4) | instskip(NEXT) | instid1(VALU_DEP_3)
	v_fma_f64 v[49:50], v[45:46], v[49:50], s[66:67]
	v_add_f64 v[41:42], v[43:44], -v[41:42]
	s_delay_alu instid0(VALU_DEP_2) | instskip(NEXT) | instid1(VALU_DEP_4)
	v_fma_f64 v[43:44], v[45:46], v[49:50], s[68:69]
	v_fma_f64 v[49:50], v[53:54], s[46:47], v[51:52]
	s_delay_alu instid0(VALU_DEP_3) | instskip(NEXT) | instid1(VALU_DEP_3)
	v_add_f64 v[35:36], v[35:36], v[41:42]
	v_fma_f64 v[41:42], v[45:46], v[43:44], s[70:71]
	s_delay_alu instid0(VALU_DEP_3) | instskip(NEXT) | instid1(VALU_DEP_3)
	v_add_f64 v[43:44], v[55:56], v[49:50]
	v_add_f64 v[51:52], v[47:48], v[35:36]
	s_delay_alu instid0(VALU_DEP_3) | instskip(NEXT) | instid1(VALU_DEP_3)
	v_fma_f64 v[41:42], v[45:46], v[41:42], s[72:73]
	v_add_f64 v[55:56], v[43:44], -v[55:56]
	s_delay_alu instid0(VALU_DEP_3) | instskip(SKIP_1) | instid1(VALU_DEP_4)
	v_add_f64 v[53:54], v[43:44], v[51:52]
	v_add_f64 v[47:48], v[51:52], -v[47:48]
	v_fma_f64 v[41:42], v[45:46], v[41:42], s[74:75]
	s_delay_alu instid0(VALU_DEP_4) | instskip(NEXT) | instid1(VALU_DEP_4)
	v_add_f64 v[49:50], v[49:50], -v[55:56]
	v_add_f64 v[57:58], v[53:54], -v[43:44]
	s_delay_alu instid0(VALU_DEP_4) | instskip(NEXT) | instid1(VALU_DEP_4)
	v_add_f64 v[35:36], v[35:36], -v[47:48]
	v_fma_f64 v[41:42], v[45:46], v[41:42], s[76:77]
	s_delay_alu instid0(VALU_DEP_3) | instskip(SKIP_1) | instid1(VALU_DEP_4)
	v_add_f64 v[61:62], v[53:54], -v[57:58]
	v_add_f64 v[47:48], v[51:52], -v[57:58]
	v_add_f64 v[51:52], v[49:50], v[35:36]
	s_delay_alu instid0(VALU_DEP_4) | instskip(NEXT) | instid1(VALU_DEP_4)
	v_fma_f64 v[41:42], v[45:46], v[41:42], s[78:79]
	v_add_f64 v[43:44], v[43:44], -v[61:62]
	s_delay_alu instid0(VALU_DEP_2) | instskip(NEXT) | instid1(VALU_DEP_2)
	v_fma_f64 v[41:42], v[45:46], v[41:42], s[80:81]
	v_add_f64 v[43:44], v[47:48], v[43:44]
	v_add_f64 v[47:48], v[51:52], -v[49:50]
	s_delay_alu instid0(VALU_DEP_3) | instskip(NEXT) | instid1(VALU_DEP_3)
	v_fma_f64 v[41:42], v[45:46], v[41:42], s[82:83]
	v_add_f64 v[43:44], v[51:52], v[43:44]
	s_delay_alu instid0(VALU_DEP_3) | instskip(SKIP_1) | instid1(VALU_DEP_4)
	v_add_f64 v[51:52], v[51:52], -v[47:48]
	v_add_f64 v[35:36], v[35:36], -v[47:48]
	v_fma_f64 v[41:42], v[45:46], v[41:42], s[84:85]
	s_delay_alu instid0(VALU_DEP_4) | instskip(NEXT) | instid1(VALU_DEP_4)
	v_add_f64 v[55:56], v[53:54], v[43:44]
	v_add_f64 v[47:48], v[49:50], -v[51:52]
	s_delay_alu instid0(VALU_DEP_3) | instskip(NEXT) | instid1(VALU_DEP_3)
	v_fma_f64 v[41:42], v[45:46], v[41:42], s[86:87]
	v_add_f64 v[49:50], v[55:56], -v[53:54]
	s_delay_alu instid0(VALU_DEP_3) | instskip(NEXT) | instid1(VALU_DEP_3)
	v_add_f64 v[35:36], v[35:36], v[47:48]
	v_mul_f64 v[41:42], v[45:46], v[41:42]
	s_delay_alu instid0(VALU_DEP_3) | instskip(NEXT) | instid1(VALU_DEP_2)
	v_add_f64 v[43:44], v[43:44], -v[49:50]
	v_fma_f64 v[39:40], v[39:40], v[41:42], v[39:40]
	s_delay_alu instid0(VALU_DEP_2) | instskip(NEXT) | instid1(VALU_DEP_2)
	v_add_f64 v[35:36], v[35:36], v[43:44]
	v_add_f64 v[41:42], -v[39:40], s[88:89]
	s_delay_alu instid0(VALU_DEP_2) | instskip(SKIP_1) | instid1(VALU_DEP_1)
	v_add_f64 v[35:36], v[55:56], v[35:36]
	v_and_b32_e32 v38, 0x7fffffff, v38
	v_cmp_eq_f64_e32 vcc_lo, 0x7ff00000, v[37:38]
	s_delay_alu instid0(VALU_DEP_4) | instskip(SKIP_2) | instid1(VALU_DEP_2)
	v_cndmask_b32_e64 v38, v40, v42, s6
	v_cndmask_b32_e64 v37, v39, v41, s6
	v_cmp_eq_f64_e64 s6, 0, v[7:8]
	v_add_f64 v[39:40], -v[37:38], s[16:17]
	s_and_b32 vcc_lo, s7, vcc_lo
	v_cmp_class_f64_e64 s7, v[7:8], 0x204
	v_cndmask_b32_e32 v35, v35, v3, vcc_lo
	v_dual_cndmask_b32 v36, v36, v11 :: v_dual_and_b32 v11, 0x54442d18, v13
	v_cmp_gt_i32_e32 vcc_lo, 0, v6
	s_delay_alu instid0(VALU_DEP_2)
	v_add_f64 v[35:36], v[35:36], 1.0
	v_cndmask_b32_e32 v3, 0x54442d18, v59, vcc_lo
	v_cndmask_b32_e32 v18, v37, v39, vcc_lo
	v_dual_cndmask_b32 v13, v38, v40 :: v_dual_and_b32 v6, 0x400921fb, v13
	v_cndmask_b32_e32 v5, 0x3fe921fb, v60, vcc_lo
	v_cmp_ngt_f64_e32 vcc_lo, 0, v[14:15]
	s_delay_alu instid0(VALU_DEP_4) | instskip(NEXT) | instid1(VALU_DEP_4)
	v_cndmask_b32_e64 v11, v18, v11, s6
	v_cndmask_b32_e64 v6, v13, v6, s6
	v_cmp_nge_f64_e64 s6, 0, v[14:15]
	v_bfi_b32 v5, 0x7fffffff, v5, v8
	v_cndmask_b32_e64 v13, v35, 0, s10
	v_cndmask_b32_e64 v36, v36, 0x7ff00000, s10
	s_delay_alu instid0(VALU_DEP_1)
	v_cndmask_b32_e32 v18, 0x7ff80000, v36, vcc_lo
	s_and_b32 vcc_lo, s7, s8
	v_cndmask_b32_e32 v35, v11, v3, vcc_lo
	v_cndmask_b32_e64 v13, 0, v13, s6
	v_cmp_neq_f64_e64 s6, 0, v[14:15]
	v_cndmask_b32_e32 v36, v6, v5, vcc_lo
	s_delay_alu instid0(VALU_DEP_2)
	v_cndmask_b32_e64 v14, 0xfff00000, v18, s6
.LBB198_146:                            ;   in Loop: Header=BB198_4 Depth=1
	s_or_b32 exec_lo, exec_lo, s9
	s_and_not1_saveexec_b32 s6, s91
	s_cbranch_execz .LBB198_116
.LBB198_147:                            ;   in Loop: Header=BB198_4 Depth=1
	v_cmp_ngt_f64_e64 s7, 0x20000000, |v[5:6]|
	v_cmp_ngt_f64_e64 s8, 0x20000000, |v[7:8]|
                                        ; implicit-def: $vgpr14_vgpr15
	s_delay_alu instid0(VALU_DEP_1) | instskip(NEXT) | instid1(SALU_CYCLE_1)
	s_or_b32 s7, s8, s7
	s_and_saveexec_b32 s8, s7
	s_delay_alu instid0(SALU_CYCLE_1)
	s_xor_b32 s7, exec_lo, s8
; %bb.148:                              ;   in Loop: Header=BB198_4 Depth=1
	v_mul_f64 v[5:6], v[5:6], v[5:6]
	s_delay_alu instid0(VALU_DEP_1)
	v_fma_f64 v[14:15], v[7:8], v[7:8], v[5:6]
; %bb.149:                              ;   in Loop: Header=BB198_4 Depth=1
	s_and_not1_saveexec_b32 s7, s7
; %bb.150:                              ;   in Loop: Header=BB198_4 Depth=1
	v_mul_f64 v[5:6], v[5:6], 4.0
	v_mul_f64 v[13:14], v[7:8], 4.0
	s_delay_alu instid0(VALU_DEP_2) | instskip(NEXT) | instid1(VALU_DEP_1)
	v_mul_f64 v[5:6], v[5:6], v[5:6]
	v_fma_f64 v[5:6], v[13:14], v[13:14], v[5:6]
	s_delay_alu instid0(VALU_DEP_1)
	v_ldexp_f64 v[14:15], v[5:6], -4
; %bb.151:                              ;   in Loop: Header=BB198_4 Depth=1
	s_or_b32 exec_lo, exec_lo, s7
	s_delay_alu instid0(VALU_DEP_1) | instskip(SKIP_2) | instid1(VALU_DEP_2)
	v_frexp_mant_f64_e32 v[5:6], v[14:15]
	s_mov_b32 s101, s27
	v_frexp_exp_i32_f64_e32 v3, v[14:15]
	v_cmp_gt_f64_e32 vcc_lo, s[26:27], v[5:6]
	v_cndmask_b32_e64 v18, 0x3ff00000, 2.0, vcc_lo
	s_delay_alu instid0(VALU_DEP_3) | instskip(SKIP_1) | instid1(VALU_DEP_3)
	v_subrev_co_ci_u32_e32 v3, vcc_lo, 0, v3, vcc_lo
	v_cmp_class_f64_e64 vcc_lo, v[14:15], 0x204
	v_mul_f64 v[5:6], v[5:6], v[17:18]
	s_delay_alu instid0(VALU_DEP_1) | instskip(SKIP_1) | instid1(VALU_DEP_2)
	v_add_f64 v[35:36], v[5:6], 1.0
	v_add_f64 v[41:42], v[5:6], -1.0
	v_rcp_f64_e32 v[37:38], v[35:36]
	v_add_f64 v[43:44], v[35:36], -1.0
	s_delay_alu instid0(VALU_DEP_1) | instskip(SKIP_2) | instid1(VALU_DEP_1)
	v_add_f64 v[5:6], v[5:6], -v[43:44]
	s_waitcnt_depctr 0xfff
	v_fma_f64 v[39:40], -v[35:36], v[37:38], 1.0
	v_fma_f64 v[37:38], v[39:40], v[37:38], v[37:38]
	s_delay_alu instid0(VALU_DEP_1) | instskip(NEXT) | instid1(VALU_DEP_1)
	v_fma_f64 v[39:40], -v[35:36], v[37:38], 1.0
	v_fma_f64 v[37:38], v[39:40], v[37:38], v[37:38]
	s_delay_alu instid0(VALU_DEP_1) | instskip(NEXT) | instid1(VALU_DEP_1)
	v_mul_f64 v[39:40], v[41:42], v[37:38]
	v_mul_f64 v[45:46], v[35:36], v[39:40]
	s_delay_alu instid0(VALU_DEP_1) | instskip(NEXT) | instid1(VALU_DEP_1)
	v_fma_f64 v[35:36], v[39:40], v[35:36], -v[45:46]
	v_fma_f64 v[5:6], v[39:40], v[5:6], v[35:36]
	s_delay_alu instid0(VALU_DEP_1) | instskip(NEXT) | instid1(VALU_DEP_1)
	v_add_f64 v[35:36], v[45:46], v[5:6]
	v_add_f64 v[43:44], v[41:42], -v[35:36]
	v_add_f64 v[45:46], v[35:36], -v[45:46]
	s_delay_alu instid0(VALU_DEP_2) | instskip(NEXT) | instid1(VALU_DEP_2)
	v_add_f64 v[41:42], v[41:42], -v[43:44]
	v_add_f64 v[5:6], v[45:46], -v[5:6]
	s_delay_alu instid0(VALU_DEP_2) | instskip(NEXT) | instid1(VALU_DEP_1)
	v_add_f64 v[35:36], v[41:42], -v[35:36]
	v_add_f64 v[5:6], v[5:6], v[35:36]
	s_delay_alu instid0(VALU_DEP_1) | instskip(NEXT) | instid1(VALU_DEP_1)
	v_add_f64 v[5:6], v[43:44], v[5:6]
	v_mul_f64 v[5:6], v[37:38], v[5:6]
	s_delay_alu instid0(VALU_DEP_1) | instskip(NEXT) | instid1(VALU_DEP_1)
	v_add_f64 v[35:36], v[39:40], v[5:6]
	v_mul_f64 v[37:38], v[35:36], v[35:36]
	s_delay_alu instid0(VALU_DEP_1) | instskip(SKIP_1) | instid1(VALU_DEP_2)
	v_fma_f64 v[41:42], v[37:38], s[30:31], s[28:29]
	v_mul_f64 v[43:44], v[35:36], v[37:38]
	v_fma_f64 v[41:42], v[37:38], v[41:42], s[36:37]
	s_delay_alu instid0(VALU_DEP_1) | instskip(NEXT) | instid1(VALU_DEP_1)
	v_fma_f64 v[41:42], v[37:38], v[41:42], s[38:39]
	v_fma_f64 v[41:42], v[37:38], v[41:42], s[40:41]
	s_delay_alu instid0(VALU_DEP_1) | instskip(NEXT) | instid1(VALU_DEP_1)
	v_fma_f64 v[41:42], v[37:38], v[41:42], s[42:43]
	v_fma_f64 v[37:38], v[37:38], v[41:42], s[100:101]
	v_ldexp_f64 v[41:42], v[35:36], 1
	v_add_f64 v[35:36], v[35:36], -v[39:40]
	s_delay_alu instid0(VALU_DEP_3) | instskip(SKIP_1) | instid1(VALU_DEP_3)
	v_mul_f64 v[37:38], v[43:44], v[37:38]
	v_cvt_f64_i32_e32 v[43:44], v3
	v_add_f64 v[5:6], v[5:6], -v[35:36]
	s_delay_alu instid0(VALU_DEP_3) | instskip(NEXT) | instid1(VALU_DEP_3)
	v_add_f64 v[39:40], v[41:42], v[37:38]
	v_mul_f64 v[45:46], v[43:44], s[44:45]
	s_delay_alu instid0(VALU_DEP_3) | instskip(NEXT) | instid1(VALU_DEP_3)
	v_ldexp_f64 v[5:6], v[5:6], 1
	v_add_f64 v[35:36], v[39:40], -v[41:42]
	s_delay_alu instid0(VALU_DEP_3) | instskip(NEXT) | instid1(VALU_DEP_2)
	v_fma_f64 v[41:42], v[43:44], s[44:45], -v[45:46]
	v_add_f64 v[35:36], v[37:38], -v[35:36]
	s_delay_alu instid0(VALU_DEP_2) | instskip(NEXT) | instid1(VALU_DEP_2)
	v_fma_f64 v[37:38], v[43:44], s[46:47], v[41:42]
	v_add_f64 v[5:6], v[5:6], v[35:36]
	s_delay_alu instid0(VALU_DEP_2) | instskip(NEXT) | instid1(VALU_DEP_2)
	v_add_f64 v[35:36], v[45:46], v[37:38]
	v_add_f64 v[41:42], v[39:40], v[5:6]
	s_delay_alu instid0(VALU_DEP_2) | instskip(NEXT) | instid1(VALU_DEP_2)
	v_add_f64 v[45:46], v[35:36], -v[45:46]
	v_add_f64 v[43:44], v[35:36], v[41:42]
	v_add_f64 v[39:40], v[41:42], -v[39:40]
	s_delay_alu instid0(VALU_DEP_3) | instskip(NEXT) | instid1(VALU_DEP_3)
	v_add_f64 v[37:38], v[37:38], -v[45:46]
	v_add_f64 v[47:48], v[43:44], -v[35:36]
	s_delay_alu instid0(VALU_DEP_3) | instskip(NEXT) | instid1(VALU_DEP_2)
	v_add_f64 v[5:6], v[5:6], -v[39:40]
	v_add_f64 v[49:50], v[43:44], -v[47:48]
	;; [unrolled: 1-line block ×3, first 2 shown]
	s_delay_alu instid0(VALU_DEP_3) | instskip(NEXT) | instid1(VALU_DEP_3)
	v_add_f64 v[41:42], v[37:38], v[5:6]
	v_add_f64 v[35:36], v[35:36], -v[49:50]
	s_delay_alu instid0(VALU_DEP_1) | instskip(NEXT) | instid1(VALU_DEP_3)
	v_add_f64 v[35:36], v[39:40], v[35:36]
	v_add_f64 v[39:40], v[41:42], -v[37:38]
	s_delay_alu instid0(VALU_DEP_2) | instskip(NEXT) | instid1(VALU_DEP_2)
	v_add_f64 v[35:36], v[41:42], v[35:36]
	v_add_f64 v[41:42], v[41:42], -v[39:40]
	v_add_f64 v[5:6], v[5:6], -v[39:40]
	s_delay_alu instid0(VALU_DEP_3) | instskip(NEXT) | instid1(VALU_DEP_3)
	v_add_f64 v[45:46], v[43:44], v[35:36]
	v_add_f64 v[37:38], v[37:38], -v[41:42]
	s_delay_alu instid0(VALU_DEP_2) | instskip(NEXT) | instid1(VALU_DEP_2)
	v_add_f64 v[39:40], v[45:46], -v[43:44]
	v_add_f64 v[5:6], v[5:6], v[37:38]
	s_delay_alu instid0(VALU_DEP_2) | instskip(NEXT) | instid1(VALU_DEP_1)
	v_add_f64 v[35:36], v[35:36], -v[39:40]
	v_add_f64 v[5:6], v[5:6], v[35:36]
	s_delay_alu instid0(VALU_DEP_1) | instskip(NEXT) | instid1(VALU_DEP_1)
	v_add_f64 v[5:6], v[45:46], v[5:6]
	v_cndmask_b32_e32 v3, v5, v14, vcc_lo
	s_delay_alu instid0(VALU_DEP_2) | instskip(SKIP_1) | instid1(VALU_DEP_2)
	v_cndmask_b32_e32 v5, v6, v15, vcc_lo
	v_cmp_ngt_f64_e32 vcc_lo, 0, v[14:15]
	v_cndmask_b32_e32 v5, 0x7ff80000, v5, vcc_lo
	v_cmp_nge_f64_e32 vcc_lo, 0, v[14:15]
	v_mov_b32_e32 v35, 0
	v_dual_mov_b32 v36, 0x7ff80000 :: v_dual_cndmask_b32 v13, 0, v3
	v_cmp_neq_f64_e32 vcc_lo, 0, v[14:15]
	v_cndmask_b32_e32 v14, 0xfff00000, v5, vcc_lo
	s_or_b32 exec_lo, exec_lo, s6
	s_and_saveexec_b32 s6, s2
	s_delay_alu instid0(SALU_CYCLE_1)
	s_xor_b32 s2, exec_lo, s6
	s_cbranch_execz .LBB198_117
.LBB198_152:                            ;   in Loop: Header=BB198_4 Depth=1
	v_bfi_b32 v30, 0x7fffffff, v30, v12
	s_delay_alu instid0(VALU_DEP_1) | instskip(SKIP_1) | instid1(VALU_DEP_2)
	v_fma_f64 v[5:6], v[29:30], 0, v[27:28]
	v_fma_f64 v[11:12], 0x80000000, v[27:28], v[29:30]
	v_mul_f64 v[27:28], v[5:6], s[96:97]
	s_delay_alu instid0(VALU_DEP_2)
	v_mul_f64 v[29:30], v[11:12], s[96:97]
	v_add_co_u32 v5, vcc_lo, s33, v19
	v_add_co_ci_u32_e32 v6, vcc_lo, s102, v20, vcc_lo
	global_store_b128 v[5:6], v[27:30], off
	s_or_b32 exec_lo, exec_lo, s2
	s_and_saveexec_b32 s2, s3
	s_cbranch_execz .LBB198_118
.LBB198_153:                            ;   in Loop: Header=BB198_4 Depth=1
	v_bfi_b32 v32, 0x7fffffff, v32, v4
	s_delay_alu instid0(VALU_DEP_1) | instskip(SKIP_3) | instid1(VALU_DEP_4)
	v_fma_f64 v[3:4], v[31:32], 0, v[9:10]
	v_fma_f64 v[5:6], 0x80000000, v[9:10], v[31:32]
	v_add_co_u32 v9, vcc_lo, s33, v21
	v_add_co_ci_u32_e32 v10, vcc_lo, s102, v22, vcc_lo
	v_mul_f64 v[3:4], v[3:4], s[96:97]
	s_delay_alu instid0(VALU_DEP_4)
	v_mul_f64 v[5:6], v[5:6], s[96:97]
	global_store_b128 v[9:10], v[3:6], off
	s_or_b32 exec_lo, exec_lo, s2
	s_and_saveexec_b32 s2, s4
	s_cbranch_execz .LBB198_119
.LBB198_154:                            ;   in Loop: Header=BB198_4 Depth=1
	v_bfi_b32 v34, 0x7fffffff, v34, v16
	s_delay_alu instid0(VALU_DEP_1) | instskip(SKIP_1) | instid1(VALU_DEP_2)
	v_fma_f64 v[3:4], v[33:34], 0, v[1:2]
	v_fma_f64 v[5:6], 0x80000000, v[1:2], v[33:34]
	v_mul_f64 v[1:2], v[3:4], s[96:97]
	s_delay_alu instid0(VALU_DEP_2)
	v_mul_f64 v[3:4], v[5:6], s[96:97]
	v_add_co_u32 v5, vcc_lo, s33, v23
	v_add_co_ci_u32_e32 v6, vcc_lo, s102, v24, vcc_lo
	global_store_b128 v[5:6], v[1:4], off
	s_or_b32 exec_lo, exec_lo, s2
	s_and_saveexec_b32 s2, s5
	s_cbranch_execz .LBB198_3
.LBB198_155:                            ;   in Loop: Header=BB198_4 Depth=1
	v_bfi_b32 v36, 0x7fffffff, v36, v8
	v_add_co_u32 v5, vcc_lo, s33, v25
	v_add_co_ci_u32_e32 v6, vcc_lo, s102, v26, vcc_lo
	s_delay_alu instid0(VALU_DEP_3) | instskip(SKIP_1) | instid1(VALU_DEP_2)
	v_fma_f64 v[1:2], v[35:36], 0, v[13:14]
	v_fma_f64 v[3:4], 0x80000000, v[13:14], v[35:36]
	v_mul_f64 v[1:2], v[1:2], s[96:97]
	s_delay_alu instid0(VALU_DEP_2)
	v_mul_f64 v[3:4], v[3:4], s[96:97]
	global_store_b128 v[5:6], v[1:4], off
	s_branch .LBB198_3
.LBB198_156:
	s_cbranch_execz .LBB198_158
	s_branch .LBB198_297
.LBB198_157:
.LBB198_158:
	v_dual_mov_b32 v18, 0 :: v_dual_lshlrev_b32 v1, 2, v0
	s_mov_b32 s92, 0
	s_mov_b32 s2, exec_lo
	s_delay_alu instid0(VALU_DEP_1) | instskip(NEXT) | instid1(VALU_DEP_1)
	v_mov_b32_e32 v2, v18
	v_cmpx_gt_i64_e64 s[18:19], v[1:2]
	s_cbranch_execz .LBB198_297
; %bb.159:
	s_load_b32 s0, s[0:1], 0xd3c
	v_dual_mov_b32 v1, v18 :: v_dual_mov_b32 v54, 0x7f3321d2
	v_mov_b32_e32 v55, 0x4002d97c
	s_mov_b32 s12, 0x85ebc8a0
	s_mov_b32 s14, 0x4ad4b81f
	;; [unrolled: 1-line block ×74, first 2 shown]
	s_waitcnt lgkmcnt(0)
	s_and_b32 s93, s0, 0xffff
	s_mov_b32 s90, 0x55555780
	s_mov_b32 s11, 0x400921fb
	s_branch .LBB198_162
.LBB198_160:                            ;   in Loop: Header=BB198_162 Depth=1
	s_or_b32 exec_lo, exec_lo, s1
	s_delay_alu instid0(VALU_DEP_1) | instskip(SKIP_2) | instid1(VALU_DEP_2)
	v_frexp_mant_f64_e32 v[2:3], v[15:16]
	s_mov_b32 s91, s21
	v_frexp_exp_i32_f64_e32 v4, v[15:16]
	v_cmp_gt_f64_e32 vcc_lo, s[20:21], v[2:3]
	v_cndmask_b32_e64 v19, 0x3ff00000, 2.0, vcc_lo
	s_delay_alu instid0(VALU_DEP_3) | instskip(SKIP_1) | instid1(VALU_DEP_3)
	v_subrev_co_ci_u32_e32 v4, vcc_lo, 0, v4, vcc_lo
	v_cmp_class_f64_e64 vcc_lo, v[15:16], 0x204
	v_mul_f64 v[2:3], v[2:3], v[18:19]
	s_delay_alu instid0(VALU_DEP_1) | instskip(SKIP_1) | instid1(VALU_DEP_2)
	v_add_f64 v[30:31], v[2:3], 1.0
	v_add_f64 v[36:37], v[2:3], -1.0
	v_rcp_f64_e32 v[32:33], v[30:31]
	v_add_f64 v[38:39], v[30:31], -1.0
	s_delay_alu instid0(VALU_DEP_1) | instskip(SKIP_2) | instid1(VALU_DEP_1)
	v_add_f64 v[2:3], v[2:3], -v[38:39]
	s_waitcnt_depctr 0xfff
	v_fma_f64 v[34:35], -v[30:31], v[32:33], 1.0
	v_fma_f64 v[32:33], v[34:35], v[32:33], v[32:33]
	s_delay_alu instid0(VALU_DEP_1) | instskip(NEXT) | instid1(VALU_DEP_1)
	v_fma_f64 v[34:35], -v[30:31], v[32:33], 1.0
	v_fma_f64 v[32:33], v[34:35], v[32:33], v[32:33]
	s_delay_alu instid0(VALU_DEP_1) | instskip(NEXT) | instid1(VALU_DEP_1)
	v_mul_f64 v[34:35], v[36:37], v[32:33]
	v_mul_f64 v[40:41], v[30:31], v[34:35]
	s_delay_alu instid0(VALU_DEP_1) | instskip(NEXT) | instid1(VALU_DEP_1)
	v_fma_f64 v[30:31], v[34:35], v[30:31], -v[40:41]
	v_fma_f64 v[2:3], v[34:35], v[2:3], v[30:31]
	s_delay_alu instid0(VALU_DEP_1) | instskip(NEXT) | instid1(VALU_DEP_1)
	v_add_f64 v[30:31], v[40:41], v[2:3]
	v_add_f64 v[38:39], v[36:37], -v[30:31]
	v_add_f64 v[40:41], v[30:31], -v[40:41]
	s_delay_alu instid0(VALU_DEP_2) | instskip(NEXT) | instid1(VALU_DEP_2)
	v_add_f64 v[36:37], v[36:37], -v[38:39]
	v_add_f64 v[2:3], v[40:41], -v[2:3]
	s_delay_alu instid0(VALU_DEP_2) | instskip(NEXT) | instid1(VALU_DEP_1)
	v_add_f64 v[30:31], v[36:37], -v[30:31]
	v_add_f64 v[2:3], v[2:3], v[30:31]
	s_delay_alu instid0(VALU_DEP_1) | instskip(NEXT) | instid1(VALU_DEP_1)
	v_add_f64 v[2:3], v[38:39], v[2:3]
	v_mul_f64 v[2:3], v[32:33], v[2:3]
	s_delay_alu instid0(VALU_DEP_1) | instskip(NEXT) | instid1(VALU_DEP_1)
	v_add_f64 v[30:31], v[34:35], v[2:3]
	v_mul_f64 v[32:33], v[30:31], v[30:31]
	s_delay_alu instid0(VALU_DEP_1) | instskip(SKIP_1) | instid1(VALU_DEP_2)
	v_fma_f64 v[36:37], v[32:33], s[24:25], s[22:23]
	v_mul_f64 v[38:39], v[30:31], v[32:33]
	v_fma_f64 v[36:37], v[32:33], v[36:37], s[26:27]
	s_delay_alu instid0(VALU_DEP_1) | instskip(NEXT) | instid1(VALU_DEP_1)
	v_fma_f64 v[36:37], v[32:33], v[36:37], s[28:29]
	v_fma_f64 v[36:37], v[32:33], v[36:37], s[30:31]
	s_delay_alu instid0(VALU_DEP_1) | instskip(NEXT) | instid1(VALU_DEP_1)
	v_fma_f64 v[36:37], v[32:33], v[36:37], s[34:35]
	v_fma_f64 v[32:33], v[32:33], v[36:37], s[90:91]
	v_ldexp_f64 v[36:37], v[30:31], 1
	v_add_f64 v[30:31], v[30:31], -v[34:35]
	s_delay_alu instid0(VALU_DEP_3) | instskip(SKIP_1) | instid1(VALU_DEP_3)
	v_mul_f64 v[32:33], v[38:39], v[32:33]
	v_cvt_f64_i32_e32 v[38:39], v4
	v_add_f64 v[2:3], v[2:3], -v[30:31]
	s_delay_alu instid0(VALU_DEP_3) | instskip(NEXT) | instid1(VALU_DEP_3)
	v_add_f64 v[34:35], v[36:37], v[32:33]
	v_mul_f64 v[40:41], v[38:39], s[36:37]
	s_delay_alu instid0(VALU_DEP_3) | instskip(NEXT) | instid1(VALU_DEP_3)
	v_ldexp_f64 v[2:3], v[2:3], 1
	v_add_f64 v[30:31], v[34:35], -v[36:37]
	s_delay_alu instid0(VALU_DEP_3) | instskip(NEXT) | instid1(VALU_DEP_2)
	v_fma_f64 v[36:37], v[38:39], s[36:37], -v[40:41]
	v_add_f64 v[30:31], v[32:33], -v[30:31]
	s_delay_alu instid0(VALU_DEP_2) | instskip(NEXT) | instid1(VALU_DEP_2)
	v_fma_f64 v[32:33], v[38:39], s[38:39], v[36:37]
	v_add_f64 v[2:3], v[2:3], v[30:31]
	s_delay_alu instid0(VALU_DEP_2) | instskip(NEXT) | instid1(VALU_DEP_2)
	v_add_f64 v[30:31], v[40:41], v[32:33]
	v_add_f64 v[36:37], v[34:35], v[2:3]
	s_delay_alu instid0(VALU_DEP_2) | instskip(NEXT) | instid1(VALU_DEP_2)
	v_add_f64 v[40:41], v[30:31], -v[40:41]
	v_add_f64 v[38:39], v[30:31], v[36:37]
	v_add_f64 v[34:35], v[36:37], -v[34:35]
	s_delay_alu instid0(VALU_DEP_3) | instskip(NEXT) | instid1(VALU_DEP_3)
	v_add_f64 v[32:33], v[32:33], -v[40:41]
	v_add_f64 v[42:43], v[38:39], -v[30:31]
	s_delay_alu instid0(VALU_DEP_3) | instskip(NEXT) | instid1(VALU_DEP_2)
	v_add_f64 v[2:3], v[2:3], -v[34:35]
	v_add_f64 v[44:45], v[38:39], -v[42:43]
	;; [unrolled: 1-line block ×3, first 2 shown]
	s_delay_alu instid0(VALU_DEP_3) | instskip(NEXT) | instid1(VALU_DEP_3)
	v_add_f64 v[36:37], v[32:33], v[2:3]
	v_add_f64 v[30:31], v[30:31], -v[44:45]
	s_delay_alu instid0(VALU_DEP_1) | instskip(NEXT) | instid1(VALU_DEP_3)
	v_add_f64 v[30:31], v[34:35], v[30:31]
	v_add_f64 v[34:35], v[36:37], -v[32:33]
	s_delay_alu instid0(VALU_DEP_2) | instskip(NEXT) | instid1(VALU_DEP_2)
	v_add_f64 v[30:31], v[36:37], v[30:31]
	v_add_f64 v[36:37], v[36:37], -v[34:35]
	v_add_f64 v[2:3], v[2:3], -v[34:35]
	s_delay_alu instid0(VALU_DEP_3) | instskip(NEXT) | instid1(VALU_DEP_3)
	v_add_f64 v[40:41], v[38:39], v[30:31]
	v_add_f64 v[32:33], v[32:33], -v[36:37]
	s_delay_alu instid0(VALU_DEP_2) | instskip(NEXT) | instid1(VALU_DEP_2)
	v_add_f64 v[34:35], v[40:41], -v[38:39]
	v_add_f64 v[2:3], v[2:3], v[32:33]
	s_delay_alu instid0(VALU_DEP_2) | instskip(NEXT) | instid1(VALU_DEP_1)
	v_add_f64 v[30:31], v[30:31], -v[34:35]
	v_add_f64 v[2:3], v[2:3], v[30:31]
	v_mov_b32_e32 v30, 0
	v_mov_b32_e32 v31, 0x7ff80000
	s_delay_alu instid0(VALU_DEP_3) | instskip(NEXT) | instid1(VALU_DEP_1)
	v_add_f64 v[2:3], v[40:41], v[2:3]
	v_dual_cndmask_b32 v2, v2, v15 :: v_dual_cndmask_b32 v3, v3, v16
	v_cmp_ngt_f64_e32 vcc_lo, 0, v[15:16]
	s_delay_alu instid0(VALU_DEP_2) | instskip(SKIP_1) | instid1(VALU_DEP_4)
	v_cndmask_b32_e32 v3, 0x7ff80000, v3, vcc_lo
	v_cmp_nge_f64_e32 vcc_lo, 0, v[15:16]
	v_cndmask_b32_e32 v14, 0, v2, vcc_lo
	v_cmp_neq_f64_e32 vcc_lo, 0, v[15:16]
	s_delay_alu instid0(VALU_DEP_4)
	v_cndmask_b32_e32 v15, 0xfff00000, v3, vcc_lo
.LBB198_161:                            ;   in Loop: Header=BB198_162 Depth=1
	s_or_b32 exec_lo, exec_lo, s0
	v_bfi_b32 v29, 0x7fffffff, v29, v17
	v_bfi_b32 v25, 0x7fffffff, v25, v9
	;; [unrolled: 1-line block ×4, first 2 shown]
	v_add_co_u32 v0, vcc_lo, v0, s93
	v_fma_f64 v[2:3], v[28:29], 0, v[10:11]
	v_fma_f64 v[4:5], 0x80000000, v[10:11], v[28:29]
	;; [unrolled: 1-line block ×8, first 2 shown]
	v_add_co_ci_u32_e32 v1, vcc_lo, 0, v1, vcc_lo
	v_mul_f64 v[2:3], v[2:3], s[88:89]
	v_mul_f64 v[4:5], v[4:5], s[88:89]
	;; [unrolled: 1-line block ×8, first 2 shown]
	v_lshlrev_b64 v[22:23], 2, v[0:1]
	s_clause 0x3
	global_store_b128 v[20:21], v[10:13], off
	global_store_b128 v[20:21], v[6:9], off offset:16
	global_store_b128 v[20:21], v[2:5], off offset:32
	global_store_b128 v[20:21], v[14:17], off offset:48
	v_cmp_le_i64_e32 vcc_lo, s[18:19], v[22:23]
	v_cmp_lt_u64_e64 s0, 0xffff, v[22:23]
	s_delay_alu instid0(VALU_DEP_1) | instskip(NEXT) | instid1(SALU_CYCLE_1)
	s_or_b32 s0, vcc_lo, s0
	s_and_b32 s0, exec_lo, s0
	s_delay_alu instid0(SALU_CYCLE_1) | instskip(NEXT) | instid1(SALU_CYCLE_1)
	s_or_b32 s92, s0, s92
	s_and_not1_b32 exec_lo, exec_lo, s92
	s_cbranch_execz .LBB198_297
.LBB198_162:                            ; =>This Loop Header: Depth=1
                                        ;     Child Loop BB198_173 Depth 2
                                        ;     Child Loop BB198_207 Depth 2
	;; [unrolled: 1-line block ×4, first 2 shown]
	v_lshlrev_b64 v[2:3], 6, v[0:1]
                                        ; implicit-def: $vgpr22_vgpr23
                                        ; implicit-def: $vgpr24_vgpr25
	s_mov_b32 s0, exec_lo
	s_delay_alu instid0(VALU_DEP_1) | instskip(NEXT) | instid1(VALU_DEP_2)
	v_add_co_u32 v20, vcc_lo, s33, v2
	v_add_co_ci_u32_e32 v21, vcc_lo, s102, v3, vcc_lo
	s_clause 0x3
	global_load_b128 v[6:9], v[20:21], off
	global_load_b128 v[10:13], v[20:21], off offset:16
	global_load_b128 v[2:5], v[20:21], off offset:48
	;; [unrolled: 1-line block ×3, first 2 shown]
	s_waitcnt vmcnt(3)
	v_cmpx_o_f64_e32 v[6:7], v[8:9]
	s_xor_b32 s94, exec_lo, s0
	s_cbranch_execz .LBB198_190
; %bb.163:                              ;   in Loop: Header=BB198_162 Depth=1
	v_cmp_lt_f64_e64 s0, |v[6:7]|, |v[8:9]|
	v_and_b32_e32 v19, 0x7fffffff, v7
	v_dual_mov_b32 v27, v8 :: v_dual_and_b32 v26, 0x7fffffff, v9
                                        ; implicit-def: $vgpr22_vgpr23
                                        ; implicit-def: $vgpr24_vgpr25
	s_mov_b32 s1, exec_lo
	s_delay_alu instid0(VALU_DEP_1) | instskip(NEXT) | instid1(VALU_DEP_2)
	v_cndmask_b32_e64 v29, v26, v19, s0
	v_cndmask_b32_e64 v28, v27, v6, s0
	s_delay_alu instid0(VALU_DEP_1)
	v_cmpx_nlt_f64_e32 s[12:13], v[28:29]
	s_xor_b32 s95, exec_lo, s1
	s_cbranch_execz .LBB198_187
; %bb.164:                              ;   in Loop: Header=BB198_162 Depth=1
	v_cndmask_b32_e64 v31, v19, v26, s0
	v_cndmask_b32_e64 v30, v6, v27, s0
                                        ; implicit-def: $vgpr22_vgpr23
                                        ; implicit-def: $vgpr24_vgpr25
	s_mov_b32 s1, exec_lo
	s_delay_alu instid0(VALU_DEP_1)
	v_cmpx_neq_f64_e32 1.0, v[30:31]
	s_xor_b32 s96, exec_lo, s1
	s_cbranch_execz .LBB198_180
; %bb.165:                              ;   in Loop: Header=BB198_162 Depth=1
	v_max_f64 v[22:23], v[28:29], v[28:29]
	v_max_f64 v[24:25], v[30:31], v[30:31]
	s_delay_alu instid0(VALU_DEP_1) | instskip(SKIP_1) | instid1(VALU_DEP_2)
	v_min_f64 v[26:27], v[24:25], v[22:23]
	v_max_f64 v[22:23], v[24:25], v[22:23]
                                        ; implicit-def: $vgpr24_vgpr25
	v_cmp_ngt_f64_e32 vcc_lo, s[14:15], v[26:27]
	s_delay_alu instid0(VALU_DEP_2) | instskip(NEXT) | instid1(VALU_DEP_1)
	v_cmp_nlt_f64_e64 s1, s[16:17], v[22:23]
                                        ; implicit-def: $vgpr22_vgpr23
	s_and_b32 s1, s1, vcc_lo
	s_delay_alu instid0(SALU_CYCLE_1) | instskip(NEXT) | instid1(SALU_CYCLE_1)
	s_and_saveexec_b32 s2, s1
	s_xor_b32 s97, exec_lo, s2
	s_cbranch_execz .LBB198_177
; %bb.166:                              ;   in Loop: Header=BB198_162 Depth=1
                                        ; implicit-def: $vgpr22_vgpr23
                                        ; implicit-def: $vgpr24_vgpr25
	s_mov_b32 s1, exec_lo
	v_cmpx_le_f64_e32 1.0, v[30:31]
	s_xor_b32 s2, exec_lo, s1
	s_cbranch_execz .LBB198_168
; %bb.167:                              ;   in Loop: Header=BB198_162 Depth=1
	v_add_f64 v[22:23], v[30:31], -1.0
	v_add_f64 v[24:25], v[30:31], 1.0
	s_mov_b32 s91, s21
	s_mov_b32 s10, s80
	v_cmp_gt_i32_e64 s1, 0, v7
	v_cmp_class_f64_e64 s4, v[6:7], 0x204
	v_cmp_class_f64_e64 s3, v[8:9], 0x204
	s_delay_alu instid0(VALU_DEP_4) | instskip(NEXT) | instid1(VALU_DEP_1)
	v_mul_f64 v[22:23], v[22:23], v[24:25]
	v_fma_f64 v[23:24], v[28:29], v[28:29], v[22:23]
	s_delay_alu instid0(VALU_DEP_1) | instskip(NEXT) | instid1(VALU_DEP_1)
	v_add_f64 v[25:26], v[23:24], 1.0
	v_frexp_mant_f64_e32 v[27:28], v[25:26]
	v_frexp_exp_i32_f64_e32 v19, v[25:26]
	v_add_f64 v[29:30], v[25:26], -1.0
	s_delay_alu instid0(VALU_DEP_3) | instskip(NEXT) | instid1(VALU_DEP_2)
	v_cmp_gt_f64_e32 vcc_lo, s[20:21], v[27:28]
	v_add_f64 v[27:28], v[29:30], -v[25:26]
	v_add_f64 v[29:30], v[23:24], -v[29:30]
	v_subrev_co_ci_u32_e32 v19, vcc_lo, 0, v19, vcc_lo
	s_delay_alu instid0(VALU_DEP_3) | instskip(NEXT) | instid1(VALU_DEP_2)
	v_add_f64 v[27:28], v[27:28], 1.0
	v_sub_nc_u32_e32 v22, 0, v19
	s_delay_alu instid0(VALU_DEP_1) | instskip(NEXT) | instid1(VALU_DEP_3)
	v_ldexp_f64 v[25:26], v[25:26], v22
	v_add_f64 v[27:28], v[29:30], v[27:28]
	s_delay_alu instid0(VALU_DEP_2) | instskip(SKIP_1) | instid1(VALU_DEP_3)
	v_add_f64 v[31:32], v[25:26], 1.0
	v_add_f64 v[37:38], v[25:26], -1.0
	v_ldexp_f64 v[27:28], v[27:28], v22
	s_delay_alu instid0(VALU_DEP_3) | instskip(NEXT) | instid1(VALU_DEP_3)
	v_add_f64 v[29:30], v[31:32], -1.0
	v_add_f64 v[39:40], v[37:38], 1.0
	s_delay_alu instid0(VALU_DEP_2) | instskip(NEXT) | instid1(VALU_DEP_2)
	v_add_f64 v[29:30], v[25:26], -v[29:30]
	v_add_f64 v[25:26], v[25:26], -v[39:40]
	s_delay_alu instid0(VALU_DEP_2) | instskip(NEXT) | instid1(VALU_DEP_2)
	v_add_f64 v[29:30], v[27:28], v[29:30]
	v_add_f64 v[25:26], v[27:28], v[25:26]
	s_delay_alu instid0(VALU_DEP_2) | instskip(NEXT) | instid1(VALU_DEP_2)
	v_add_f64 v[33:34], v[31:32], v[29:30]
	v_add_f64 v[39:40], v[37:38], v[25:26]
	s_delay_alu instid0(VALU_DEP_2) | instskip(SKIP_1) | instid1(VALU_DEP_2)
	v_rcp_f64_e32 v[35:36], v[33:34]
	v_add_f64 v[31:32], v[33:34], -v[31:32]
	v_add_f64 v[37:38], v[39:40], -v[37:38]
	s_delay_alu instid0(VALU_DEP_2) | instskip(SKIP_3) | instid1(VALU_DEP_2)
	v_add_f64 v[29:30], v[29:30], -v[31:32]
	s_waitcnt_depctr 0xfff
	v_fma_f64 v[41:42], -v[33:34], v[35:36], 1.0
	v_add_f64 v[25:26], v[25:26], -v[37:38]
	v_fma_f64 v[35:36], v[41:42], v[35:36], v[35:36]
	s_delay_alu instid0(VALU_DEP_1) | instskip(NEXT) | instid1(VALU_DEP_1)
	v_fma_f64 v[27:28], -v[33:34], v[35:36], 1.0
	v_fma_f64 v[27:28], v[27:28], v[35:36], v[35:36]
	s_delay_alu instid0(VALU_DEP_1) | instskip(NEXT) | instid1(VALU_DEP_1)
	v_mul_f64 v[35:36], v[39:40], v[27:28]
	v_mul_f64 v[41:42], v[33:34], v[35:36]
	s_delay_alu instid0(VALU_DEP_1) | instskip(NEXT) | instid1(VALU_DEP_1)
	v_fma_f64 v[31:32], v[35:36], v[33:34], -v[41:42]
	v_fma_f64 v[31:32], v[35:36], v[29:30], v[31:32]
	s_delay_alu instid0(VALU_DEP_1) | instskip(NEXT) | instid1(VALU_DEP_1)
	v_add_f64 v[43:44], v[41:42], v[31:32]
	v_add_f64 v[45:46], v[39:40], -v[43:44]
	v_add_f64 v[37:38], v[43:44], -v[41:42]
	v_max_f64 v[41:42], |v[8:9]|, |v[8:9]|
	s_delay_alu instid0(VALU_DEP_3) | instskip(NEXT) | instid1(VALU_DEP_3)
	v_add_f64 v[39:40], v[39:40], -v[45:46]
	v_add_f64 v[31:32], v[37:38], -v[31:32]
	s_delay_alu instid0(VALU_DEP_2) | instskip(SKIP_2) | instid1(VALU_DEP_1)
	v_add_f64 v[39:40], v[39:40], -v[43:44]
	v_max_f64 v[43:44], |v[6:7]|, |v[6:7]|
	v_cndmask_b32_e64 v6, 0x3fe921fb, v55, s1
	v_bfi_b32 v6, 0x7fffffff, v6, v9
	s_delay_alu instid0(VALU_DEP_4) | instskip(NEXT) | instid1(VALU_DEP_4)
	v_add_f64 v[25:26], v[25:26], v[39:40]
	v_max_f64 v[47:48], v[43:44], v[41:42]
	v_min_f64 v[41:42], v[43:44], v[41:42]
	s_delay_alu instid0(VALU_DEP_3) | instskip(NEXT) | instid1(VALU_DEP_1)
	v_add_f64 v[25:26], v[31:32], v[25:26]
	v_add_f64 v[31:32], v[45:46], v[25:26]
	s_delay_alu instid0(VALU_DEP_1) | instskip(SKIP_1) | instid1(VALU_DEP_2)
	v_mul_f64 v[37:38], v[27:28], v[31:32]
	v_add_f64 v[45:46], v[45:46], -v[31:32]
	v_mul_f64 v[39:40], v[33:34], v[37:38]
	s_delay_alu instid0(VALU_DEP_2) | instskip(NEXT) | instid1(VALU_DEP_2)
	v_add_f64 v[25:26], v[25:26], v[45:46]
	v_fma_f64 v[33:34], v[37:38], v[33:34], -v[39:40]
	s_delay_alu instid0(VALU_DEP_1) | instskip(SKIP_1) | instid1(VALU_DEP_2)
	v_fma_f64 v[29:30], v[37:38], v[29:30], v[33:34]
	v_div_scale_f64 v[33:34], null, v[47:48], v[47:48], v[41:42]
	v_add_f64 v[43:44], v[39:40], v[29:30]
	s_delay_alu instid0(VALU_DEP_2) | instskip(NEXT) | instid1(VALU_DEP_1)
	v_rcp_f64_e32 v[49:50], v[33:34]
	v_add_f64 v[51:52], v[31:32], -v[43:44]
	v_add_f64 v[39:40], v[43:44], -v[39:40]
	s_waitcnt_depctr 0xfff
	v_fma_f64 v[56:57], -v[33:34], v[49:50], 1.0
	v_add_f64 v[31:32], v[31:32], -v[51:52]
	v_add_f64 v[29:30], v[39:40], -v[29:30]
	s_delay_alu instid0(VALU_DEP_3) | instskip(NEXT) | instid1(VALU_DEP_3)
	v_fma_f64 v[49:50], v[49:50], v[56:57], v[49:50]
	v_add_f64 v[31:32], v[31:32], -v[43:44]
	s_delay_alu instid0(VALU_DEP_2) | instskip(NEXT) | instid1(VALU_DEP_2)
	v_fma_f64 v[43:44], -v[33:34], v[49:50], 1.0
	v_add_f64 v[25:26], v[25:26], v[31:32]
	v_div_scale_f64 v[31:32], vcc_lo, v[41:42], v[47:48], v[41:42]
	s_delay_alu instid0(VALU_DEP_3) | instskip(SKIP_1) | instid1(VALU_DEP_4)
	v_fma_f64 v[39:40], v[49:50], v[43:44], v[49:50]
	v_add_f64 v[43:44], v[35:36], v[37:38]
	v_add_f64 v[25:26], v[29:30], v[25:26]
	s_delay_alu instid0(VALU_DEP_3) | instskip(NEXT) | instid1(VALU_DEP_3)
	v_mul_f64 v[29:30], v[31:32], v[39:40]
	v_add_f64 v[35:36], v[43:44], -v[35:36]
	s_delay_alu instid0(VALU_DEP_3) | instskip(NEXT) | instid1(VALU_DEP_3)
	v_add_f64 v[25:26], v[51:52], v[25:26]
	v_fma_f64 v[31:32], -v[33:34], v[29:30], v[31:32]
	s_delay_alu instid0(VALU_DEP_3) | instskip(NEXT) | instid1(VALU_DEP_3)
	v_add_f64 v[33:34], v[37:38], -v[35:36]
	v_mul_f64 v[25:26], v[27:28], v[25:26]
	s_delay_alu instid0(VALU_DEP_3) | instskip(SKIP_1) | instid1(VALU_DEP_3)
	v_div_fmas_f64 v[27:28], v[31:32], v[39:40], v[29:30]
	v_cmp_eq_f64_e32 vcc_lo, 0x7ff00000, v[23:24]
	v_add_f64 v[25:26], v[33:34], v[25:26]
	s_delay_alu instid0(VALU_DEP_3) | instskip(NEXT) | instid1(VALU_DEP_2)
	v_div_fixup_f64 v[27:28], v[27:28], v[47:48], v[41:42]
	v_add_f64 v[29:30], v[43:44], v[25:26]
	s_delay_alu instid0(VALU_DEP_2) | instskip(NEXT) | instid1(VALU_DEP_2)
	v_mul_f64 v[31:32], v[27:28], v[27:28]
	v_mul_f64 v[33:34], v[29:30], v[29:30]
	s_delay_alu instid0(VALU_DEP_2) | instskip(NEXT) | instid1(VALU_DEP_2)
	v_fma_f64 v[35:36], v[31:32], s[42:43], s[40:41]
	v_fma_f64 v[37:38], v[33:34], s[24:25], s[22:23]
	v_mul_f64 v[39:40], v[29:30], v[33:34]
	s_delay_alu instid0(VALU_DEP_3) | instskip(NEXT) | instid1(VALU_DEP_3)
	v_fma_f64 v[35:36], v[31:32], v[35:36], s[44:45]
	v_fma_f64 v[37:38], v[33:34], v[37:38], s[26:27]
	s_delay_alu instid0(VALU_DEP_2) | instskip(NEXT) | instid1(VALU_DEP_2)
	v_fma_f64 v[35:36], v[31:32], v[35:36], s[46:47]
	v_fma_f64 v[37:38], v[33:34], v[37:38], s[28:29]
	s_delay_alu instid0(VALU_DEP_2) | instskip(NEXT) | instid1(VALU_DEP_2)
	;; [unrolled: 3-line block ×4, first 2 shown]
	v_fma_f64 v[35:36], v[31:32], v[35:36], s[52:53]
	v_fma_f64 v[33:34], v[33:34], v[37:38], s[90:91]
	v_ldexp_f64 v[37:38], v[29:30], 1
	v_add_f64 v[29:30], v[29:30], -v[43:44]
	s_delay_alu instid0(VALU_DEP_4) | instskip(NEXT) | instid1(VALU_DEP_4)
	v_fma_f64 v[35:36], v[31:32], v[35:36], s[54:55]
	v_mul_f64 v[33:34], v[39:40], v[33:34]
	v_cvt_f64_i32_e32 v[39:40], v19
	s_delay_alu instid0(VALU_DEP_4) | instskip(NEXT) | instid1(VALU_DEP_4)
	v_add_f64 v[25:26], v[25:26], -v[29:30]
	v_fma_f64 v[35:36], v[31:32], v[35:36], s[56:57]
	v_ashrrev_i32_e32 v19, 31, v7
	s_delay_alu instid0(VALU_DEP_1) | instskip(SKIP_4) | instid1(VALU_DEP_4)
	v_and_b32_e32 v22, 0x54442d18, v19
	v_add_f64 v[41:42], v[37:38], v[33:34]
	v_mul_f64 v[43:44], v[39:40], s[36:37]
	v_ldexp_f64 v[25:26], v[25:26], 1
	v_fma_f64 v[35:36], v[31:32], v[35:36], s[58:59]
	v_add_f64 v[29:30], v[41:42], -v[37:38]
	s_delay_alu instid0(VALU_DEP_4) | instskip(NEXT) | instid1(VALU_DEP_3)
	v_fma_f64 v[37:38], v[39:40], s[36:37], -v[43:44]
	v_fma_f64 v[35:36], v[31:32], v[35:36], s[60:61]
	s_delay_alu instid0(VALU_DEP_3) | instskip(NEXT) | instid1(VALU_DEP_2)
	v_add_f64 v[29:30], v[33:34], -v[29:30]
	v_fma_f64 v[33:34], v[31:32], v[35:36], s[62:63]
	s_delay_alu instid0(VALU_DEP_4) | instskip(NEXT) | instid1(VALU_DEP_3)
	v_fma_f64 v[35:36], v[39:40], s[38:39], v[37:38]
	v_add_f64 v[25:26], v[25:26], v[29:30]
	s_delay_alu instid0(VALU_DEP_3) | instskip(NEXT) | instid1(VALU_DEP_3)
	v_fma_f64 v[29:30], v[31:32], v[33:34], s[64:65]
	v_add_f64 v[33:34], v[43:44], v[35:36]
	s_delay_alu instid0(VALU_DEP_3) | instskip(NEXT) | instid1(VALU_DEP_3)
	v_add_f64 v[37:38], v[41:42], v[25:26]
	v_fma_f64 v[29:30], v[31:32], v[29:30], s[66:67]
	s_delay_alu instid0(VALU_DEP_3) | instskip(NEXT) | instid1(VALU_DEP_3)
	v_add_f64 v[43:44], v[33:34], -v[43:44]
	v_add_f64 v[39:40], v[33:34], v[37:38]
	v_add_f64 v[41:42], v[37:38], -v[41:42]
	s_delay_alu instid0(VALU_DEP_4) | instskip(NEXT) | instid1(VALU_DEP_4)
	v_fma_f64 v[29:30], v[31:32], v[29:30], s[68:69]
	v_add_f64 v[35:36], v[35:36], -v[43:44]
	s_delay_alu instid0(VALU_DEP_4) | instskip(NEXT) | instid1(VALU_DEP_4)
	v_add_f64 v[45:46], v[39:40], -v[33:34]
	v_add_f64 v[25:26], v[25:26], -v[41:42]
	s_delay_alu instid0(VALU_DEP_4) | instskip(NEXT) | instid1(VALU_DEP_3)
	v_fma_f64 v[29:30], v[31:32], v[29:30], s[70:71]
	v_add_f64 v[47:48], v[39:40], -v[45:46]
	v_add_f64 v[37:38], v[37:38], -v[45:46]
	s_delay_alu instid0(VALU_DEP_4) | instskip(NEXT) | instid1(VALU_DEP_4)
	v_add_f64 v[41:42], v[35:36], v[25:26]
	v_fma_f64 v[29:30], v[31:32], v[29:30], s[72:73]
	s_delay_alu instid0(VALU_DEP_4) | instskip(NEXT) | instid1(VALU_DEP_2)
	v_add_f64 v[33:34], v[33:34], -v[47:48]
	v_fma_f64 v[29:30], v[31:32], v[29:30], s[74:75]
	s_delay_alu instid0(VALU_DEP_2) | instskip(SKIP_1) | instid1(VALU_DEP_3)
	v_add_f64 v[33:34], v[37:38], v[33:34]
	v_add_f64 v[37:38], v[41:42], -v[35:36]
	v_fma_f64 v[29:30], v[31:32], v[29:30], s[76:77]
	s_delay_alu instid0(VALU_DEP_3) | instskip(NEXT) | instid1(VALU_DEP_3)
	v_add_f64 v[33:34], v[41:42], v[33:34]
	v_add_f64 v[41:42], v[41:42], -v[37:38]
	v_add_f64 v[25:26], v[25:26], -v[37:38]
	s_delay_alu instid0(VALU_DEP_4) | instskip(NEXT) | instid1(VALU_DEP_4)
	v_fma_f64 v[29:30], v[31:32], v[29:30], s[78:79]
	v_add_f64 v[43:44], v[39:40], v[33:34]
	s_delay_alu instid0(VALU_DEP_2) | instskip(SKIP_1) | instid1(VALU_DEP_3)
	v_mul_f64 v[29:30], v[31:32], v[29:30]
	v_add_f64 v[31:32], v[35:36], -v[41:42]
	v_add_f64 v[35:36], v[43:44], -v[39:40]
	s_delay_alu instid0(VALU_DEP_3) | instskip(NEXT) | instid1(VALU_DEP_3)
	v_fma_f64 v[27:28], v[27:28], v[29:30], v[27:28]
	v_add_f64 v[25:26], v[25:26], v[31:32]
	s_delay_alu instid0(VALU_DEP_3) | instskip(NEXT) | instid1(VALU_DEP_3)
	v_add_f64 v[29:30], v[33:34], -v[35:36]
	v_add_f64 v[31:32], -v[27:28], s[80:81]
	s_delay_alu instid0(VALU_DEP_2) | instskip(NEXT) | instid1(VALU_DEP_2)
	v_add_f64 v[25:26], v[25:26], v[29:30]
	v_cndmask_b32_e64 v28, v28, v32, s0
	s_delay_alu instid0(VALU_DEP_3) | instskip(SKIP_1) | instid1(VALU_DEP_2)
	v_cndmask_b32_e64 v27, v27, v31, s0
	v_cndmask_b32_e64 v31, 0x54442d18, v54, s1
	v_add_f64 v[29:30], -v[27:28], s[10:11]
	v_add_f64 v[25:26], v[43:44], v[25:26]
	s_delay_alu instid0(VALU_DEP_2) | instskip(NEXT) | instid1(VALU_DEP_2)
	v_cndmask_b32_e64 v29, v27, v29, s1
	v_dual_cndmask_b32 v26, v26, v24 :: v_dual_cndmask_b32 v25, v25, v23
	v_cmp_eq_f64_e32 vcc_lo, 0, v[8:9]
	v_and_b32_e32 v7, 0x400921fb, v19
	v_cndmask_b32_e64 v19, v28, v30, s1
	v_cmp_nge_f64_e64 s1, -1.0, v[23:24]
	v_mul_f64 v[26:27], v[25:26], 0.5
	s_delay_alu instid0(VALU_DEP_3) | instskip(SKIP_1) | instid1(VALU_DEP_3)
	v_dual_cndmask_b32 v28, v29, v22 :: v_dual_cndmask_b32 v7, v19, v7
	v_cmp_ngt_f64_e32 vcc_lo, -1.0, v[23:24]
	v_cndmask_b32_e64 v22, 0, v26, s1
	v_cmp_neq_f64_e64 s1, -1.0, v[23:24]
	v_cndmask_b32_e32 v19, 0x7ff80000, v27, vcc_lo
	s_and_b32 vcc_lo, s4, s3
	v_dual_cndmask_b32 v25, v7, v6 :: v_dual_cndmask_b32 v24, v28, v31
	s_delay_alu instid0(VALU_DEP_2)
	v_cndmask_b32_e64 v23, 0xfff00000, v19, s1
                                        ; implicit-def: $vgpr28_vgpr29
                                        ; implicit-def: $vgpr30_vgpr31
.LBB198_168:                            ;   in Loop: Header=BB198_162 Depth=1
	s_and_not1_saveexec_b32 s98, s2
	s_cbranch_execz .LBB198_176
; %bb.169:                              ;   in Loop: Header=BB198_162 Depth=1
	v_mul_f64 v[22:23], v[28:29], v[28:29]
                                        ; implicit-def: $vgpr24_vgpr25
	s_mov_b32 s1, exec_lo
	s_delay_alu instid0(VALU_DEP_1) | instskip(NEXT) | instid1(VALU_DEP_1)
	v_fma_f64 v[26:27], v[30:31], v[30:31], v[22:23]
                                        ; implicit-def: $vgpr22_vgpr23
	v_cmpx_ge_f64_e32 s[82:83], v[26:27]
	s_xor_b32 s3, exec_lo, s1
	s_cbranch_execz .LBB198_171
; %bb.170:                              ;   in Loop: Header=BB198_162 Depth=1
	v_frexp_mant_f64_e32 v[22:23], v[26:27]
	v_max_f64 v[34:35], |v[6:7]|, |v[6:7]|
	s_mov_b32 s91, s21
	s_mov_b32 s10, s80
	v_cmp_class_f64_e64 s4, v[8:9], 0x204
	v_cmp_class_f64_e64 s5, v[6:7], 0x204
	v_cmp_neq_f64_e64 s2, 0, v[26:27]
	v_cmp_gt_f64_e64 s1, s[20:21], v[22:23]
	s_delay_alu instid0(VALU_DEP_1) | instskip(NEXT) | instid1(VALU_DEP_1)
	v_cndmask_b32_e64 v19, 0x3ff00000, 2.0, s1
	v_mul_f64 v[22:23], v[22:23], v[18:19]
	v_frexp_exp_i32_f64_e32 v19, v[26:27]
	s_delay_alu instid0(VALU_DEP_2) | instskip(SKIP_1) | instid1(VALU_DEP_2)
	v_add_f64 v[24:25], v[22:23], 1.0
	v_add_f64 v[32:33], v[22:23], -1.0
	v_rcp_f64_e32 v[28:29], v[24:25]
	s_waitcnt_depctr 0xfff
	v_fma_f64 v[30:31], -v[24:25], v[28:29], 1.0
	s_delay_alu instid0(VALU_DEP_1) | instskip(NEXT) | instid1(VALU_DEP_1)
	v_fma_f64 v[28:29], v[30:31], v[28:29], v[28:29]
	v_fma_f64 v[30:31], -v[24:25], v[28:29], 1.0
	s_delay_alu instid0(VALU_DEP_1) | instskip(SKIP_1) | instid1(VALU_DEP_2)
	v_fma_f64 v[28:29], v[30:31], v[28:29], v[28:29]
	v_max_f64 v[30:31], |v[8:9]|, |v[8:9]|
	v_mul_f64 v[36:37], v[32:33], v[28:29]
	s_delay_alu instid0(VALU_DEP_2) | instskip(SKIP_2) | instid1(VALU_DEP_4)
	v_max_f64 v[38:39], v[34:35], v[30:31]
	v_min_f64 v[30:31], v[34:35], v[30:31]
	v_add_f64 v[34:35], v[24:25], -1.0
	v_mul_f64 v[40:41], v[24:25], v[36:37]
	s_delay_alu instid0(VALU_DEP_3) | instskip(NEXT) | instid1(VALU_DEP_3)
	v_div_scale_f64 v[42:43], null, v[38:39], v[38:39], v[30:31]
	v_add_f64 v[22:23], v[22:23], -v[34:35]
	v_div_scale_f64 v[48:49], vcc_lo, v[30:31], v[38:39], v[30:31]
	s_delay_alu instid0(VALU_DEP_4) | instskip(NEXT) | instid1(VALU_DEP_4)
	v_fma_f64 v[24:25], v[36:37], v[24:25], -v[40:41]
	v_rcp_f64_e32 v[34:35], v[42:43]
	s_delay_alu instid0(VALU_DEP_1) | instskip(SKIP_3) | instid1(VALU_DEP_2)
	v_fma_f64 v[22:23], v[36:37], v[22:23], v[24:25]
	s_waitcnt_depctr 0xfff
	v_fma_f64 v[24:25], -v[42:43], v[34:35], 1.0
	v_add_f64 v[44:45], v[40:41], v[22:23]
	v_fma_f64 v[24:25], v[34:35], v[24:25], v[34:35]
	s_delay_alu instid0(VALU_DEP_2) | instskip(SKIP_1) | instid1(VALU_DEP_3)
	v_add_f64 v[34:35], v[32:33], -v[44:45]
	v_add_f64 v[40:41], v[44:45], -v[40:41]
	v_fma_f64 v[46:47], -v[42:43], v[24:25], 1.0
	s_delay_alu instid0(VALU_DEP_3) | instskip(NEXT) | instid1(VALU_DEP_3)
	v_add_f64 v[32:33], v[32:33], -v[34:35]
	v_add_f64 v[22:23], v[40:41], -v[22:23]
	s_delay_alu instid0(VALU_DEP_3) | instskip(NEXT) | instid1(VALU_DEP_3)
	v_fma_f64 v[24:25], v[24:25], v[46:47], v[24:25]
	v_add_f64 v[32:33], v[32:33], -v[44:45]
	s_delay_alu instid0(VALU_DEP_2) | instskip(NEXT) | instid1(VALU_DEP_2)
	v_mul_f64 v[40:41], v[48:49], v[24:25]
	v_add_f64 v[22:23], v[22:23], v[32:33]
	s_delay_alu instid0(VALU_DEP_2) | instskip(NEXT) | instid1(VALU_DEP_2)
	v_fma_f64 v[32:33], -v[42:43], v[40:41], v[48:49]
	v_add_f64 v[22:23], v[34:35], v[22:23]
	s_delay_alu instid0(VALU_DEP_2)
	v_div_fmas_f64 v[24:25], v[32:33], v[24:25], v[40:41]
	v_subrev_co_ci_u32_e64 v19, vcc_lo, 0, v19, s1
	v_cmp_eq_f64_e64 s1, 0, v[8:9]
	v_cmp_gt_i32_e32 vcc_lo, 0, v7
	v_mul_f64 v[22:23], v[28:29], v[22:23]
	v_div_fixup_f64 v[24:25], v[24:25], v[38:39], v[30:31]
	s_delay_alu instid0(VALU_DEP_2) | instskip(NEXT) | instid1(VALU_DEP_2)
	v_add_f64 v[28:29], v[36:37], v[22:23]
	v_mul_f64 v[30:31], v[24:25], v[24:25]
	s_delay_alu instid0(VALU_DEP_2) | instskip(NEXT) | instid1(VALU_DEP_2)
	v_mul_f64 v[32:33], v[28:29], v[28:29]
	v_fma_f64 v[34:35], v[30:31], s[42:43], s[40:41]
	s_delay_alu instid0(VALU_DEP_2) | instskip(SKIP_1) | instid1(VALU_DEP_3)
	v_fma_f64 v[38:39], v[32:33], s[24:25], s[22:23]
	v_mul_f64 v[40:41], v[28:29], v[32:33]
	v_fma_f64 v[34:35], v[30:31], v[34:35], s[44:45]
	s_delay_alu instid0(VALU_DEP_3) | instskip(NEXT) | instid1(VALU_DEP_2)
	v_fma_f64 v[38:39], v[32:33], v[38:39], s[26:27]
	v_fma_f64 v[34:35], v[30:31], v[34:35], s[46:47]
	s_delay_alu instid0(VALU_DEP_2) | instskip(NEXT) | instid1(VALU_DEP_2)
	v_fma_f64 v[38:39], v[32:33], v[38:39], s[28:29]
	v_fma_f64 v[34:35], v[30:31], v[34:35], s[48:49]
	s_delay_alu instid0(VALU_DEP_2) | instskip(NEXT) | instid1(VALU_DEP_2)
	;; [unrolled: 3-line block ×3, first 2 shown]
	v_fma_f64 v[38:39], v[32:33], v[38:39], s[34:35]
	v_fma_f64 v[34:35], v[30:31], v[34:35], s[52:53]
	s_delay_alu instid0(VALU_DEP_2) | instskip(SKIP_2) | instid1(VALU_DEP_4)
	v_fma_f64 v[32:33], v[32:33], v[38:39], s[90:91]
	v_ldexp_f64 v[38:39], v[28:29], 1
	v_add_f64 v[28:29], v[28:29], -v[36:37]
	v_fma_f64 v[34:35], v[30:31], v[34:35], s[54:55]
	s_delay_alu instid0(VALU_DEP_4) | instskip(SKIP_1) | instid1(VALU_DEP_4)
	v_mul_f64 v[32:33], v[40:41], v[32:33]
	v_cvt_f64_i32_e32 v[40:41], v19
	v_add_f64 v[22:23], v[22:23], -v[28:29]
	v_ashrrev_i32_e32 v19, 31, v7
	v_fma_f64 v[34:35], v[30:31], v[34:35], s[56:57]
	v_add_f64 v[36:37], v[38:39], v[32:33]
	v_mul_f64 v[42:43], v[40:41], s[36:37]
	v_ldexp_f64 v[22:23], v[22:23], 1
	s_delay_alu instid0(VALU_DEP_4) | instskip(NEXT) | instid1(VALU_DEP_4)
	v_fma_f64 v[34:35], v[30:31], v[34:35], s[58:59]
	v_add_f64 v[28:29], v[36:37], -v[38:39]
	s_delay_alu instid0(VALU_DEP_4) | instskip(NEXT) | instid1(VALU_DEP_3)
	v_fma_f64 v[38:39], v[40:41], s[36:37], -v[42:43]
	v_fma_f64 v[34:35], v[30:31], v[34:35], s[60:61]
	s_delay_alu instid0(VALU_DEP_3) | instskip(NEXT) | instid1(VALU_DEP_2)
	v_add_f64 v[28:29], v[32:33], -v[28:29]
	v_fma_f64 v[32:33], v[30:31], v[34:35], s[62:63]
	s_delay_alu instid0(VALU_DEP_4) | instskip(NEXT) | instid1(VALU_DEP_3)
	v_fma_f64 v[34:35], v[40:41], s[38:39], v[38:39]
	v_add_f64 v[22:23], v[22:23], v[28:29]
	s_delay_alu instid0(VALU_DEP_3) | instskip(NEXT) | instid1(VALU_DEP_3)
	v_fma_f64 v[28:29], v[30:31], v[32:33], s[64:65]
	v_add_f64 v[32:33], v[42:43], v[34:35]
	s_delay_alu instid0(VALU_DEP_3) | instskip(NEXT) | instid1(VALU_DEP_3)
	v_add_f64 v[38:39], v[36:37], v[22:23]
	v_fma_f64 v[28:29], v[30:31], v[28:29], s[66:67]
	s_delay_alu instid0(VALU_DEP_3) | instskip(NEXT) | instid1(VALU_DEP_3)
	v_add_f64 v[42:43], v[32:33], -v[42:43]
	v_add_f64 v[40:41], v[32:33], v[38:39]
	v_add_f64 v[36:37], v[38:39], -v[36:37]
	s_delay_alu instid0(VALU_DEP_4) | instskip(NEXT) | instid1(VALU_DEP_4)
	v_fma_f64 v[28:29], v[30:31], v[28:29], s[68:69]
	v_add_f64 v[34:35], v[34:35], -v[42:43]
	s_delay_alu instid0(VALU_DEP_4) | instskip(NEXT) | instid1(VALU_DEP_4)
	v_add_f64 v[44:45], v[40:41], -v[32:33]
	v_add_f64 v[22:23], v[22:23], -v[36:37]
	s_delay_alu instid0(VALU_DEP_4) | instskip(NEXT) | instid1(VALU_DEP_3)
	v_fma_f64 v[28:29], v[30:31], v[28:29], s[70:71]
	v_add_f64 v[46:47], v[40:41], -v[44:45]
	v_add_f64 v[36:37], v[38:39], -v[44:45]
	s_delay_alu instid0(VALU_DEP_4) | instskip(NEXT) | instid1(VALU_DEP_4)
	v_add_f64 v[38:39], v[34:35], v[22:23]
	v_fma_f64 v[28:29], v[30:31], v[28:29], s[72:73]
	s_delay_alu instid0(VALU_DEP_4) | instskip(NEXT) | instid1(VALU_DEP_2)
	v_add_f64 v[32:33], v[32:33], -v[46:47]
	v_fma_f64 v[28:29], v[30:31], v[28:29], s[74:75]
	s_delay_alu instid0(VALU_DEP_2) | instskip(SKIP_1) | instid1(VALU_DEP_3)
	v_add_f64 v[32:33], v[36:37], v[32:33]
	v_add_f64 v[36:37], v[38:39], -v[34:35]
	v_fma_f64 v[28:29], v[30:31], v[28:29], s[76:77]
	s_delay_alu instid0(VALU_DEP_3) | instskip(NEXT) | instid1(VALU_DEP_3)
	v_add_f64 v[32:33], v[38:39], v[32:33]
	v_add_f64 v[38:39], v[38:39], -v[36:37]
	v_add_f64 v[22:23], v[22:23], -v[36:37]
	s_delay_alu instid0(VALU_DEP_4) | instskip(NEXT) | instid1(VALU_DEP_4)
	v_fma_f64 v[28:29], v[30:31], v[28:29], s[78:79]
	v_add_f64 v[42:43], v[40:41], v[32:33]
	s_delay_alu instid0(VALU_DEP_2) | instskip(SKIP_1) | instid1(VALU_DEP_3)
	v_mul_f64 v[28:29], v[30:31], v[28:29]
	v_add_f64 v[30:31], v[34:35], -v[38:39]
	v_add_f64 v[34:35], v[42:43], -v[40:41]
	s_delay_alu instid0(VALU_DEP_3) | instskip(NEXT) | instid1(VALU_DEP_3)
	v_fma_f64 v[24:25], v[24:25], v[28:29], v[24:25]
	v_add_f64 v[22:23], v[22:23], v[30:31]
	s_delay_alu instid0(VALU_DEP_3) | instskip(NEXT) | instid1(VALU_DEP_3)
	v_add_f64 v[28:29], v[32:33], -v[34:35]
	v_add_f64 v[30:31], -v[24:25], s[80:81]
	s_delay_alu instid0(VALU_DEP_2) | instskip(NEXT) | instid1(VALU_DEP_2)
	v_add_f64 v[22:23], v[22:23], v[28:29]
	v_cndmask_b32_e64 v25, v25, v31, s0
	s_delay_alu instid0(VALU_DEP_3) | instskip(SKIP_2) | instid1(VALU_DEP_3)
	v_cndmask_b32_e64 v24, v24, v30, s0
	v_dual_cndmask_b32 v30, 0x54442d18, v54 :: v_dual_and_b32 v31, 0x54442d18, v19
	v_and_b32_e32 v19, 0x400921fb, v19
	v_add_f64 v[28:29], -v[24:25], s[10:11]
	v_add_f64 v[22:23], v[42:43], v[22:23]
	s_delay_alu instid0(VALU_DEP_2) | instskip(NEXT) | instid1(VALU_DEP_1)
	v_cndmask_b32_e32 v24, v24, v28, vcc_lo
	v_cndmask_b32_e64 v24, v24, v31, s1
	s_delay_alu instid0(VALU_DEP_3) | instskip(SKIP_4) | instid1(VALU_DEP_3)
	v_mul_f64 v[6:7], v[22:23], 0.5
	v_cndmask_b32_e32 v22, 0x3fe921fb, v55, vcc_lo
	v_cndmask_b32_e32 v23, v25, v29, vcc_lo
	s_and_b32 vcc_lo, s5, s4
                                        ; implicit-def: $vgpr28_vgpr29
	v_cndmask_b32_e32 v24, v24, v30, vcc_lo
	v_bfi_b32 v22, 0x7fffffff, v22, v9
	s_delay_alu instid0(VALU_DEP_3) | instskip(NEXT) | instid1(VALU_DEP_1)
	v_cndmask_b32_e64 v19, v23, v19, s1
                                        ; implicit-def: $vgpr30_vgpr31
	v_cndmask_b32_e32 v25, v19, v22, vcc_lo
	v_cndmask_b32_e64 v23, 0xfff00000, v7, s2
	v_cndmask_b32_e64 v22, 0, v6, s2
.LBB198_171:                            ;   in Loop: Header=BB198_162 Depth=1
	s_and_not1_saveexec_b32 s99, s3
	s_cbranch_execz .LBB198_175
; %bb.172:                              ;   in Loop: Header=BB198_162 Depth=1
	v_dual_mov_b32 v24, v18 :: v_dual_and_b32 v19, 0x7ffffff8, v31
	v_and_b32_e32 v25, 0x7ffffff8, v29
	s_mov_b32 s91, 0
	s_delay_alu instid0(VALU_DEP_2) | instskip(SKIP_1) | instid1(VALU_DEP_3)
	v_add_f64 v[22:23], v[30:31], -v[18:19]
	v_mov_b32_e32 v30, v18
	v_add_f64 v[26:27], v[28:29], -v[24:25]
	v_mov_b32_e32 v32, v18
	v_add_f64 v[34:35], v[18:19], v[18:19]
	v_add_f64 v[42:43], v[24:25], v[24:25]
	v_mul_f64 v[28:29], v[24:25], v[24:25]
	v_and_b32_e32 v31, -8, v23
	v_and_b32_e32 v33, -8, v27
	s_delay_alu instid0(VALU_DEP_2) | instskip(SKIP_1) | instid1(VALU_DEP_3)
	v_add_f64 v[44:45], v[22:23], -v[30:31]
	v_add_f64 v[48:49], v[30:31], v[30:31]
	v_add_f64 v[46:47], v[26:27], -v[32:33]
	v_add_f64 v[50:51], v[32:33], v[32:33]
	v_mul_f64 v[22:23], v[18:19], v[18:19]
	v_mul_f64 v[40:41], v[34:35], v[30:31]
	v_mul_f64 v[26:27], v[42:43], v[32:33]
	v_mul_f64 v[38:39], v[30:31], v[30:31]
	v_mul_f64 v[24:25], v[32:33], v[32:33]
	v_mul_f64 v[36:37], v[34:35], v[44:45]
	v_mul_f64 v[32:33], v[48:49], v[44:45]
	v_mul_f64 v[34:35], v[42:43], v[46:47]
	v_mul_f64 v[30:31], v[50:51], v[46:47]
	v_mul_f64 v[42:43], v[44:45], v[44:45]
	v_mul_f64 v[44:45], v[46:47], v[46:47]
.LBB198_173:                            ;   Parent Loop BB198_162 Depth=1
                                        ; =>  This Inner Loop Header: Depth=2
	v_cmp_nlt_f64_e32 vcc_lo, v[22:23], v[28:29]
	v_dual_cndmask_b32 v47, v23, v29 :: v_dual_cndmask_b32 v46, v22, v28
	v_dual_cndmask_b32 v23, v29, v23 :: v_dual_cndmask_b32 v22, v28, v22
	s_delay_alu instid0(VALU_DEP_2) | instskip(NEXT) | instid1(VALU_DEP_1)
	v_cmp_nlt_f64_e64 s1, v[46:47], v[40:41]
	v_cndmask_b32_e64 v49, v47, v41, s1
	v_cndmask_b32_e64 v48, v46, v40, s1
	;; [unrolled: 1-line block ×4, first 2 shown]
	s_and_b32 s1, vcc_lo, s1
	s_delay_alu instid0(VALU_DEP_3) | instskip(NEXT) | instid1(VALU_DEP_1)
	v_cmp_nlt_f64_e64 s2, v[48:49], v[26:27]
	v_cndmask_b32_e64 v51, v49, v27, s2
	v_cndmask_b32_e64 v50, v48, v26, s2
	;; [unrolled: 1-line block ×4, first 2 shown]
	s_delay_alu instid0(VALU_DEP_3) | instskip(NEXT) | instid1(VALU_DEP_1)
	v_cmp_nlt_f64_e64 s3, v[50:51], v[38:39]
	v_cndmask_b32_e64 v53, v51, v39, s3
	v_cndmask_b32_e64 v52, v50, v38, s3
	;; [unrolled: 1-line block ×4, first 2 shown]
	s_and_b32 s2, s2, s3
	s_delay_alu instid0(VALU_DEP_3) | instskip(NEXT) | instid1(VALU_DEP_1)
	v_cmp_nlt_f64_e64 s4, v[52:53], v[24:25]
	v_cndmask_b32_e64 v57, v53, v25, s4
	v_cndmask_b32_e64 v56, v52, v24, s4
	;; [unrolled: 1-line block ×4, first 2 shown]
	s_delay_alu instid0(VALU_DEP_3) | instskip(NEXT) | instid1(VALU_DEP_1)
	v_cmp_nlt_f64_e64 s5, v[56:57], v[36:37]
	v_cndmask_b32_e64 v59, v57, v37, s5
	v_cndmask_b32_e64 v58, v56, v36, s5
	s_and_b32 s3, s4, s5
	v_cndmask_b32_e64 v25, v37, v57, s5
	v_cndmask_b32_e64 v24, v36, v56, s5
	s_delay_alu instid0(VALU_DEP_3) | instskip(NEXT) | instid1(VALU_DEP_1)
	v_cmp_nlt_f64_e64 s6, v[58:59], v[34:35]
	v_cndmask_b32_e64 v61, v59, v35, s6
	v_cndmask_b32_e64 v60, v58, v34, s6
	s_and_b32 s3, s3, s6
	v_cndmask_b32_e64 v37, v35, v59, s6
	v_cndmask_b32_e64 v36, v34, v58, s6
	;; [unrolled: 7-line block ×5, first 2 shown]
	s_delay_alu instid0(VALU_DEP_3) | instskip(NEXT) | instid1(VALU_DEP_1)
	v_cmp_nlt_f64_e64 s10, v[66:67], v[44:45]
	v_cndmask_b32_e64 v47, v67, v45, s10
	v_cndmask_b32_e64 v46, v66, v44, s10
	s_and_b32 s3, s3, s10
	v_cndmask_b32_e64 v43, v45, v67, s10
	s_and_b32 s2, s3, s2
	v_cndmask_b32_e64 v42, v44, v66, s10
	s_and_b32 s1, s2, s1
	v_dual_mov_b32 v44, v46 :: v_dual_mov_b32 v45, v47
	s_and_b32 s1, exec_lo, s1
	s_delay_alu instid0(SALU_CYCLE_1) | instskip(NEXT) | instid1(SALU_CYCLE_1)
	s_or_b32 s91, s1, s91
	s_and_not1_b32 exec_lo, exec_lo, s91
	s_cbranch_execnz .LBB198_173
; %bb.174:                              ;   in Loop: Header=BB198_162 Depth=1
	s_or_b32 exec_lo, exec_lo, s91
	v_add_f64 v[22:23], v[22:23], -1.0
	s_mov_b32 s91, s21
	s_mov_b32 s10, s80
	v_cmp_gt_i32_e64 s1, 0, v7
	v_cmp_class_f64_e64 s3, v[6:7], 0x204
	v_cmp_class_f64_e64 s2, v[8:9], 0x204
	s_delay_alu instid0(VALU_DEP_4) | instskip(NEXT) | instid1(VALU_DEP_1)
	v_add_f64 v[22:23], v[22:23], v[28:29]
	v_add_f64 v[22:23], v[22:23], v[40:41]
	s_delay_alu instid0(VALU_DEP_1) | instskip(NEXT) | instid1(VALU_DEP_1)
	v_add_f64 v[22:23], v[22:23], v[26:27]
	v_add_f64 v[22:23], v[22:23], v[38:39]
	s_delay_alu instid0(VALU_DEP_1) | instskip(NEXT) | instid1(VALU_DEP_1)
	;; [unrolled: 3-line block ×5, first 2 shown]
	v_add_f64 v[23:24], v[46:47], v[22:23]
	v_add_f64 v[25:26], v[23:24], 1.0
	s_delay_alu instid0(VALU_DEP_1) | instskip(SKIP_2) | instid1(VALU_DEP_3)
	v_frexp_mant_f64_e32 v[27:28], v[25:26]
	v_frexp_exp_i32_f64_e32 v19, v[25:26]
	v_add_f64 v[29:30], v[25:26], -1.0
	v_cmp_gt_f64_e32 vcc_lo, s[20:21], v[27:28]
	s_delay_alu instid0(VALU_DEP_2) | instskip(SKIP_2) | instid1(VALU_DEP_3)
	v_add_f64 v[27:28], v[29:30], -v[25:26]
	v_add_f64 v[29:30], v[23:24], -v[29:30]
	v_subrev_co_ci_u32_e32 v19, vcc_lo, 0, v19, vcc_lo
	v_add_f64 v[27:28], v[27:28], 1.0
	s_delay_alu instid0(VALU_DEP_2) | instskip(NEXT) | instid1(VALU_DEP_1)
	v_sub_nc_u32_e32 v22, 0, v19
	v_ldexp_f64 v[25:26], v[25:26], v22
	s_delay_alu instid0(VALU_DEP_3) | instskip(NEXT) | instid1(VALU_DEP_2)
	v_add_f64 v[27:28], v[29:30], v[27:28]
	v_add_f64 v[31:32], v[25:26], 1.0
	v_add_f64 v[37:38], v[25:26], -1.0
	s_delay_alu instid0(VALU_DEP_3) | instskip(NEXT) | instid1(VALU_DEP_3)
	v_ldexp_f64 v[27:28], v[27:28], v22
	v_add_f64 v[29:30], v[31:32], -1.0
	s_delay_alu instid0(VALU_DEP_3) | instskip(NEXT) | instid1(VALU_DEP_2)
	v_add_f64 v[39:40], v[37:38], 1.0
	v_add_f64 v[29:30], v[25:26], -v[29:30]
	s_delay_alu instid0(VALU_DEP_2) | instskip(NEXT) | instid1(VALU_DEP_2)
	v_add_f64 v[25:26], v[25:26], -v[39:40]
	v_add_f64 v[29:30], v[27:28], v[29:30]
	s_delay_alu instid0(VALU_DEP_2) | instskip(NEXT) | instid1(VALU_DEP_2)
	v_add_f64 v[25:26], v[27:28], v[25:26]
	v_add_f64 v[33:34], v[31:32], v[29:30]
	s_delay_alu instid0(VALU_DEP_2) | instskip(NEXT) | instid1(VALU_DEP_2)
	v_add_f64 v[39:40], v[37:38], v[25:26]
	v_rcp_f64_e32 v[35:36], v[33:34]
	v_add_f64 v[31:32], v[33:34], -v[31:32]
	s_delay_alu instid0(VALU_DEP_2) | instskip(NEXT) | instid1(VALU_DEP_2)
	v_add_f64 v[37:38], v[39:40], -v[37:38]
	v_add_f64 v[29:30], v[29:30], -v[31:32]
	s_waitcnt_depctr 0xfff
	v_fma_f64 v[41:42], -v[33:34], v[35:36], 1.0
	v_add_f64 v[25:26], v[25:26], -v[37:38]
	s_delay_alu instid0(VALU_DEP_2) | instskip(NEXT) | instid1(VALU_DEP_1)
	v_fma_f64 v[35:36], v[41:42], v[35:36], v[35:36]
	v_fma_f64 v[27:28], -v[33:34], v[35:36], 1.0
	s_delay_alu instid0(VALU_DEP_1) | instskip(NEXT) | instid1(VALU_DEP_1)
	v_fma_f64 v[27:28], v[27:28], v[35:36], v[35:36]
	v_mul_f64 v[35:36], v[39:40], v[27:28]
	s_delay_alu instid0(VALU_DEP_1) | instskip(NEXT) | instid1(VALU_DEP_1)
	v_mul_f64 v[41:42], v[33:34], v[35:36]
	v_fma_f64 v[31:32], v[35:36], v[33:34], -v[41:42]
	s_delay_alu instid0(VALU_DEP_1) | instskip(NEXT) | instid1(VALU_DEP_1)
	v_fma_f64 v[31:32], v[35:36], v[29:30], v[31:32]
	v_add_f64 v[43:44], v[41:42], v[31:32]
	s_delay_alu instid0(VALU_DEP_1) | instskip(SKIP_2) | instid1(VALU_DEP_3)
	v_add_f64 v[45:46], v[39:40], -v[43:44]
	v_add_f64 v[37:38], v[43:44], -v[41:42]
	v_max_f64 v[41:42], |v[8:9]|, |v[8:9]|
	v_add_f64 v[39:40], v[39:40], -v[45:46]
	s_delay_alu instid0(VALU_DEP_3) | instskip(NEXT) | instid1(VALU_DEP_2)
	v_add_f64 v[31:32], v[37:38], -v[31:32]
	v_add_f64 v[39:40], v[39:40], -v[43:44]
	v_max_f64 v[43:44], |v[6:7]|, |v[6:7]|
	v_cndmask_b32_e64 v6, 0x3fe921fb, v55, s1
	s_delay_alu instid0(VALU_DEP_1) | instskip(NEXT) | instid1(VALU_DEP_4)
	v_bfi_b32 v6, 0x7fffffff, v6, v9
	v_add_f64 v[25:26], v[25:26], v[39:40]
	s_delay_alu instid0(VALU_DEP_4) | instskip(SKIP_1) | instid1(VALU_DEP_3)
	v_max_f64 v[47:48], v[43:44], v[41:42]
	v_min_f64 v[41:42], v[43:44], v[41:42]
	v_add_f64 v[25:26], v[31:32], v[25:26]
	s_delay_alu instid0(VALU_DEP_1) | instskip(NEXT) | instid1(VALU_DEP_1)
	v_add_f64 v[31:32], v[45:46], v[25:26]
	v_mul_f64 v[37:38], v[27:28], v[31:32]
	v_add_f64 v[45:46], v[45:46], -v[31:32]
	s_delay_alu instid0(VALU_DEP_2) | instskip(NEXT) | instid1(VALU_DEP_2)
	v_mul_f64 v[39:40], v[33:34], v[37:38]
	v_add_f64 v[25:26], v[25:26], v[45:46]
	s_delay_alu instid0(VALU_DEP_2) | instskip(NEXT) | instid1(VALU_DEP_1)
	v_fma_f64 v[33:34], v[37:38], v[33:34], -v[39:40]
	v_fma_f64 v[29:30], v[37:38], v[29:30], v[33:34]
	v_div_scale_f64 v[33:34], null, v[47:48], v[47:48], v[41:42]
	s_delay_alu instid0(VALU_DEP_2) | instskip(NEXT) | instid1(VALU_DEP_2)
	v_add_f64 v[43:44], v[39:40], v[29:30]
	v_rcp_f64_e32 v[49:50], v[33:34]
	s_delay_alu instid0(VALU_DEP_1)
	v_add_f64 v[51:52], v[31:32], -v[43:44]
	v_add_f64 v[39:40], v[43:44], -v[39:40]
	s_waitcnt_depctr 0xfff
	v_fma_f64 v[56:57], -v[33:34], v[49:50], 1.0
	v_add_f64 v[31:32], v[31:32], -v[51:52]
	v_add_f64 v[29:30], v[39:40], -v[29:30]
	s_delay_alu instid0(VALU_DEP_3) | instskip(NEXT) | instid1(VALU_DEP_3)
	v_fma_f64 v[49:50], v[49:50], v[56:57], v[49:50]
	v_add_f64 v[31:32], v[31:32], -v[43:44]
	s_delay_alu instid0(VALU_DEP_2) | instskip(NEXT) | instid1(VALU_DEP_2)
	v_fma_f64 v[43:44], -v[33:34], v[49:50], 1.0
	v_add_f64 v[25:26], v[25:26], v[31:32]
	v_div_scale_f64 v[31:32], vcc_lo, v[41:42], v[47:48], v[41:42]
	s_delay_alu instid0(VALU_DEP_3) | instskip(SKIP_1) | instid1(VALU_DEP_4)
	v_fma_f64 v[39:40], v[49:50], v[43:44], v[49:50]
	v_add_f64 v[43:44], v[35:36], v[37:38]
	v_add_f64 v[25:26], v[29:30], v[25:26]
	s_delay_alu instid0(VALU_DEP_3) | instskip(NEXT) | instid1(VALU_DEP_3)
	v_mul_f64 v[29:30], v[31:32], v[39:40]
	v_add_f64 v[35:36], v[43:44], -v[35:36]
	s_delay_alu instid0(VALU_DEP_3) | instskip(NEXT) | instid1(VALU_DEP_3)
	v_add_f64 v[25:26], v[51:52], v[25:26]
	v_fma_f64 v[31:32], -v[33:34], v[29:30], v[31:32]
	s_delay_alu instid0(VALU_DEP_3) | instskip(NEXT) | instid1(VALU_DEP_3)
	v_add_f64 v[33:34], v[37:38], -v[35:36]
	v_mul_f64 v[25:26], v[27:28], v[25:26]
	s_delay_alu instid0(VALU_DEP_3) | instskip(SKIP_1) | instid1(VALU_DEP_3)
	v_div_fmas_f64 v[27:28], v[31:32], v[39:40], v[29:30]
	v_cmp_eq_f64_e32 vcc_lo, 0x7ff00000, v[23:24]
	v_add_f64 v[25:26], v[33:34], v[25:26]
	s_delay_alu instid0(VALU_DEP_3) | instskip(NEXT) | instid1(VALU_DEP_2)
	v_div_fixup_f64 v[27:28], v[27:28], v[47:48], v[41:42]
	v_add_f64 v[29:30], v[43:44], v[25:26]
	s_delay_alu instid0(VALU_DEP_2) | instskip(NEXT) | instid1(VALU_DEP_2)
	v_mul_f64 v[31:32], v[27:28], v[27:28]
	v_mul_f64 v[33:34], v[29:30], v[29:30]
	s_delay_alu instid0(VALU_DEP_2) | instskip(NEXT) | instid1(VALU_DEP_2)
	v_fma_f64 v[35:36], v[31:32], s[42:43], s[40:41]
	v_fma_f64 v[37:38], v[33:34], s[24:25], s[22:23]
	v_mul_f64 v[39:40], v[29:30], v[33:34]
	s_delay_alu instid0(VALU_DEP_3) | instskip(NEXT) | instid1(VALU_DEP_3)
	v_fma_f64 v[35:36], v[31:32], v[35:36], s[44:45]
	v_fma_f64 v[37:38], v[33:34], v[37:38], s[26:27]
	s_delay_alu instid0(VALU_DEP_2) | instskip(NEXT) | instid1(VALU_DEP_2)
	v_fma_f64 v[35:36], v[31:32], v[35:36], s[46:47]
	v_fma_f64 v[37:38], v[33:34], v[37:38], s[28:29]
	s_delay_alu instid0(VALU_DEP_2) | instskip(NEXT) | instid1(VALU_DEP_2)
	v_fma_f64 v[35:36], v[31:32], v[35:36], s[48:49]
	v_fma_f64 v[37:38], v[33:34], v[37:38], s[30:31]
	s_delay_alu instid0(VALU_DEP_2) | instskip(NEXT) | instid1(VALU_DEP_2)
	v_fma_f64 v[35:36], v[31:32], v[35:36], s[50:51]
	v_fma_f64 v[37:38], v[33:34], v[37:38], s[34:35]
	s_delay_alu instid0(VALU_DEP_2) | instskip(NEXT) | instid1(VALU_DEP_2)
	v_fma_f64 v[35:36], v[31:32], v[35:36], s[52:53]
	v_fma_f64 v[33:34], v[33:34], v[37:38], s[90:91]
	v_ldexp_f64 v[37:38], v[29:30], 1
	v_add_f64 v[29:30], v[29:30], -v[43:44]
	s_delay_alu instid0(VALU_DEP_4) | instskip(NEXT) | instid1(VALU_DEP_4)
	v_fma_f64 v[35:36], v[31:32], v[35:36], s[54:55]
	v_mul_f64 v[33:34], v[39:40], v[33:34]
	v_cvt_f64_i32_e32 v[39:40], v19
	s_delay_alu instid0(VALU_DEP_4) | instskip(NEXT) | instid1(VALU_DEP_4)
	v_add_f64 v[25:26], v[25:26], -v[29:30]
	v_fma_f64 v[35:36], v[31:32], v[35:36], s[56:57]
	v_ashrrev_i32_e32 v19, 31, v7
	s_delay_alu instid0(VALU_DEP_1) | instskip(SKIP_4) | instid1(VALU_DEP_4)
	v_and_b32_e32 v22, 0x54442d18, v19
	v_add_f64 v[41:42], v[37:38], v[33:34]
	v_mul_f64 v[43:44], v[39:40], s[36:37]
	v_ldexp_f64 v[25:26], v[25:26], 1
	v_fma_f64 v[35:36], v[31:32], v[35:36], s[58:59]
	v_add_f64 v[29:30], v[41:42], -v[37:38]
	s_delay_alu instid0(VALU_DEP_4) | instskip(NEXT) | instid1(VALU_DEP_3)
	v_fma_f64 v[37:38], v[39:40], s[36:37], -v[43:44]
	v_fma_f64 v[35:36], v[31:32], v[35:36], s[60:61]
	s_delay_alu instid0(VALU_DEP_3) | instskip(NEXT) | instid1(VALU_DEP_2)
	v_add_f64 v[29:30], v[33:34], -v[29:30]
	v_fma_f64 v[33:34], v[31:32], v[35:36], s[62:63]
	s_delay_alu instid0(VALU_DEP_4) | instskip(NEXT) | instid1(VALU_DEP_3)
	v_fma_f64 v[35:36], v[39:40], s[38:39], v[37:38]
	v_add_f64 v[25:26], v[25:26], v[29:30]
	s_delay_alu instid0(VALU_DEP_3) | instskip(NEXT) | instid1(VALU_DEP_3)
	v_fma_f64 v[29:30], v[31:32], v[33:34], s[64:65]
	v_add_f64 v[33:34], v[43:44], v[35:36]
	s_delay_alu instid0(VALU_DEP_3) | instskip(NEXT) | instid1(VALU_DEP_3)
	v_add_f64 v[37:38], v[41:42], v[25:26]
	v_fma_f64 v[29:30], v[31:32], v[29:30], s[66:67]
	s_delay_alu instid0(VALU_DEP_3) | instskip(NEXT) | instid1(VALU_DEP_3)
	v_add_f64 v[43:44], v[33:34], -v[43:44]
	v_add_f64 v[39:40], v[33:34], v[37:38]
	v_add_f64 v[41:42], v[37:38], -v[41:42]
	s_delay_alu instid0(VALU_DEP_4) | instskip(NEXT) | instid1(VALU_DEP_4)
	v_fma_f64 v[29:30], v[31:32], v[29:30], s[68:69]
	v_add_f64 v[35:36], v[35:36], -v[43:44]
	s_delay_alu instid0(VALU_DEP_4) | instskip(NEXT) | instid1(VALU_DEP_4)
	v_add_f64 v[45:46], v[39:40], -v[33:34]
	v_add_f64 v[25:26], v[25:26], -v[41:42]
	s_delay_alu instid0(VALU_DEP_4) | instskip(NEXT) | instid1(VALU_DEP_3)
	v_fma_f64 v[29:30], v[31:32], v[29:30], s[70:71]
	v_add_f64 v[47:48], v[39:40], -v[45:46]
	v_add_f64 v[37:38], v[37:38], -v[45:46]
	s_delay_alu instid0(VALU_DEP_4) | instskip(NEXT) | instid1(VALU_DEP_4)
	v_add_f64 v[41:42], v[35:36], v[25:26]
	v_fma_f64 v[29:30], v[31:32], v[29:30], s[72:73]
	s_delay_alu instid0(VALU_DEP_4) | instskip(NEXT) | instid1(VALU_DEP_2)
	v_add_f64 v[33:34], v[33:34], -v[47:48]
	v_fma_f64 v[29:30], v[31:32], v[29:30], s[74:75]
	s_delay_alu instid0(VALU_DEP_2) | instskip(SKIP_1) | instid1(VALU_DEP_3)
	v_add_f64 v[33:34], v[37:38], v[33:34]
	v_add_f64 v[37:38], v[41:42], -v[35:36]
	v_fma_f64 v[29:30], v[31:32], v[29:30], s[76:77]
	s_delay_alu instid0(VALU_DEP_3) | instskip(NEXT) | instid1(VALU_DEP_3)
	v_add_f64 v[33:34], v[41:42], v[33:34]
	v_add_f64 v[41:42], v[41:42], -v[37:38]
	v_add_f64 v[25:26], v[25:26], -v[37:38]
	s_delay_alu instid0(VALU_DEP_4) | instskip(NEXT) | instid1(VALU_DEP_4)
	v_fma_f64 v[29:30], v[31:32], v[29:30], s[78:79]
	v_add_f64 v[43:44], v[39:40], v[33:34]
	s_delay_alu instid0(VALU_DEP_2) | instskip(SKIP_1) | instid1(VALU_DEP_3)
	v_mul_f64 v[29:30], v[31:32], v[29:30]
	v_add_f64 v[31:32], v[35:36], -v[41:42]
	v_add_f64 v[35:36], v[43:44], -v[39:40]
	s_delay_alu instid0(VALU_DEP_3) | instskip(NEXT) | instid1(VALU_DEP_3)
	v_fma_f64 v[27:28], v[27:28], v[29:30], v[27:28]
	v_add_f64 v[25:26], v[25:26], v[31:32]
	s_delay_alu instid0(VALU_DEP_3) | instskip(NEXT) | instid1(VALU_DEP_3)
	v_add_f64 v[29:30], v[33:34], -v[35:36]
	v_add_f64 v[31:32], -v[27:28], s[80:81]
	s_delay_alu instid0(VALU_DEP_2) | instskip(NEXT) | instid1(VALU_DEP_2)
	v_add_f64 v[25:26], v[25:26], v[29:30]
	v_cndmask_b32_e64 v28, v28, v32, s0
	s_delay_alu instid0(VALU_DEP_3) | instskip(SKIP_1) | instid1(VALU_DEP_2)
	v_cndmask_b32_e64 v27, v27, v31, s0
	v_cndmask_b32_e64 v31, 0x54442d18, v54, s1
	v_add_f64 v[29:30], -v[27:28], s[10:11]
	v_add_f64 v[25:26], v[43:44], v[25:26]
	s_delay_alu instid0(VALU_DEP_2) | instskip(NEXT) | instid1(VALU_DEP_2)
	v_cndmask_b32_e64 v29, v27, v29, s1
	v_dual_cndmask_b32 v26, v26, v24 :: v_dual_cndmask_b32 v25, v25, v23
	v_cmp_eq_f64_e32 vcc_lo, 0, v[8:9]
	v_and_b32_e32 v7, 0x400921fb, v19
	v_cndmask_b32_e64 v19, v28, v30, s1
	v_cmp_nge_f64_e64 s1, -1.0, v[23:24]
	v_mul_f64 v[26:27], v[25:26], 0.5
	s_delay_alu instid0(VALU_DEP_3) | instskip(SKIP_1) | instid1(VALU_DEP_3)
	v_dual_cndmask_b32 v28, v29, v22 :: v_dual_cndmask_b32 v7, v19, v7
	v_cmp_ngt_f64_e32 vcc_lo, -1.0, v[23:24]
	v_cndmask_b32_e64 v22, 0, v26, s1
	v_cmp_neq_f64_e64 s1, -1.0, v[23:24]
	v_cndmask_b32_e32 v19, 0x7ff80000, v27, vcc_lo
	s_and_b32 vcc_lo, s3, s2
	v_dual_cndmask_b32 v25, v7, v6 :: v_dual_cndmask_b32 v24, v28, v31
	s_delay_alu instid0(VALU_DEP_2)
	v_cndmask_b32_e64 v23, 0xfff00000, v19, s1
.LBB198_175:                            ;   in Loop: Header=BB198_162 Depth=1
	s_or_b32 exec_lo, exec_lo, s99
.LBB198_176:                            ;   in Loop: Header=BB198_162 Depth=1
	s_delay_alu instid0(SALU_CYCLE_1)
	s_or_b32 exec_lo, exec_lo, s98
.LBB198_177:                            ;   in Loop: Header=BB198_162 Depth=1
	s_and_not1_saveexec_b32 s3, s97
	s_cbranch_execz .LBB198_179
; %bb.178:                              ;   in Loop: Header=BB198_162 Depth=1
	v_max_f64 v[22:23], |v[8:9]|, |v[8:9]|
	v_max_f64 v[24:25], |v[6:7]|, |v[6:7]|
	v_cmp_class_f64_e64 s4, v[6:7], 0x204
	v_cmp_class_f64_e64 s5, v[8:9], 0x204
	s_mov_b32 s91, s21
	s_mov_b32 s10, s80
	v_cmp_eq_f64_e64 s2, 0, v[8:9]
	s_delay_alu instid0(VALU_DEP_4) | instskip(SKIP_1) | instid1(VALU_DEP_4)
	v_max_f64 v[26:27], v[24:25], v[22:23]
	v_min_f64 v[22:23], v[24:25], v[22:23]
	s_or_b32 s6, s4, s5
	s_delay_alu instid0(VALU_DEP_2) | instskip(NEXT) | instid1(VALU_DEP_1)
	v_frexp_exp_i32_f64_e32 v19, v[26:27]
	v_sub_nc_u32_e32 v30, 0, v19
	s_delay_alu instid0(VALU_DEP_1) | instskip(SKIP_1) | instid1(VALU_DEP_2)
	v_ldexp_f64 v[28:29], |v[8:9]|, v30
	v_ldexp_f64 v[30:31], |v[6:7]|, v30
	v_mul_f64 v[28:29], v[28:29], v[28:29]
	s_delay_alu instid0(VALU_DEP_1) | instskip(NEXT) | instid1(VALU_DEP_1)
	v_fma_f64 v[28:29], v[30:31], v[30:31], v[28:29]
	v_rsq_f64_e32 v[30:31], v[28:29]
	v_cmp_eq_f64_e32 vcc_lo, 0, v[28:29]
	s_waitcnt_depctr 0xfff
	v_mul_f64 v[32:33], v[28:29], v[30:31]
	v_mul_f64 v[30:31], v[30:31], 0.5
	s_delay_alu instid0(VALU_DEP_1) | instskip(NEXT) | instid1(VALU_DEP_1)
	v_fma_f64 v[34:35], -v[30:31], v[32:33], 0.5
	v_fma_f64 v[32:33], v[32:33], v[34:35], v[32:33]
	v_fma_f64 v[30:31], v[30:31], v[34:35], v[30:31]
	s_delay_alu instid0(VALU_DEP_2) | instskip(NEXT) | instid1(VALU_DEP_1)
	v_fma_f64 v[34:35], -v[32:33], v[32:33], v[28:29]
	v_fma_f64 v[30:31], v[34:35], v[30:31], v[32:33]
	s_delay_alu instid0(VALU_DEP_1) | instskip(SKIP_1) | instid1(VALU_DEP_2)
	v_dual_cndmask_b32 v29, v31, v29 :: v_dual_cndmask_b32 v28, v30, v28
	v_div_scale_f64 v[50:51], vcc_lo, v[22:23], v[26:27], v[22:23]
	v_ldexp_f64 v[28:29], v[28:29], v19
	s_delay_alu instid0(VALU_DEP_1) | instskip(NEXT) | instid1(VALU_DEP_2)
	v_cndmask_b32_e64 v31, v29, 0x7ff00000, s6
	v_cndmask_b32_e64 v30, v28, 0, s6
	s_delay_alu instid0(VALU_DEP_1) | instskip(SKIP_1) | instid1(VALU_DEP_2)
	v_frexp_mant_f64_e32 v[32:33], v[30:31]
	v_frexp_exp_i32_f64_e32 v6, v[30:31]
	v_cmp_gt_f64_e64 s1, s[20:21], v[32:33]
	s_delay_alu instid0(VALU_DEP_1) | instskip(NEXT) | instid1(VALU_DEP_1)
	v_cndmask_b32_e64 v19, 0x3ff00000, 2.0, s1
	v_mul_f64 v[32:33], v[32:33], v[18:19]
	s_delay_alu instid0(VALU_DEP_1) | instskip(SKIP_1) | instid1(VALU_DEP_2)
	v_add_f64 v[34:35], v[32:33], 1.0
	v_add_f64 v[40:41], v[32:33], -1.0
	v_rcp_f64_e32 v[36:37], v[34:35]
	v_add_f64 v[42:43], v[34:35], -1.0
	s_delay_alu instid0(VALU_DEP_1) | instskip(SKIP_2) | instid1(VALU_DEP_1)
	v_add_f64 v[32:33], v[32:33], -v[42:43]
	s_waitcnt_depctr 0xfff
	v_fma_f64 v[38:39], -v[34:35], v[36:37], 1.0
	v_fma_f64 v[36:37], v[38:39], v[36:37], v[36:37]
	s_delay_alu instid0(VALU_DEP_1) | instskip(NEXT) | instid1(VALU_DEP_1)
	v_fma_f64 v[38:39], -v[34:35], v[36:37], 1.0
	v_fma_f64 v[36:37], v[38:39], v[36:37], v[36:37]
	v_div_scale_f64 v[38:39], null, v[26:27], v[26:27], v[22:23]
	s_delay_alu instid0(VALU_DEP_2) | instskip(NEXT) | instid1(VALU_DEP_2)
	v_mul_f64 v[24:25], v[40:41], v[36:37]
	v_rcp_f64_e32 v[46:47], v[38:39]
	s_delay_alu instid0(VALU_DEP_1) | instskip(SKIP_3) | instid1(VALU_DEP_1)
	v_mul_f64 v[44:45], v[34:35], v[24:25]
	s_waitcnt_depctr 0xfff
	v_fma_f64 v[42:43], -v[38:39], v[46:47], 1.0
	v_fma_f64 v[34:35], v[24:25], v[34:35], -v[44:45]
	v_fma_f64 v[32:33], v[24:25], v[32:33], v[34:35]
	s_delay_alu instid0(VALU_DEP_3) | instskip(NEXT) | instid1(VALU_DEP_2)
	v_fma_f64 v[34:35], v[46:47], v[42:43], v[46:47]
	v_add_f64 v[42:43], v[44:45], v[32:33]
	s_delay_alu instid0(VALU_DEP_2) | instskip(NEXT) | instid1(VALU_DEP_2)
	v_fma_f64 v[46:47], -v[38:39], v[34:35], 1.0
	v_add_f64 v[48:49], v[40:41], -v[42:43]
	s_delay_alu instid0(VALU_DEP_2) | instskip(SKIP_1) | instid1(VALU_DEP_3)
	v_fma_f64 v[34:35], v[34:35], v[46:47], v[34:35]
	v_add_f64 v[44:45], v[42:43], -v[44:45]
	v_add_f64 v[40:41], v[40:41], -v[48:49]
	s_delay_alu instid0(VALU_DEP_3) | instskip(NEXT) | instid1(VALU_DEP_3)
	v_mul_f64 v[46:47], v[50:51], v[34:35]
	v_add_f64 v[32:33], v[44:45], -v[32:33]
	s_delay_alu instid0(VALU_DEP_3) | instskip(NEXT) | instid1(VALU_DEP_3)
	v_add_f64 v[40:41], v[40:41], -v[42:43]
	v_fma_f64 v[38:39], -v[38:39], v[46:47], v[50:51]
	s_delay_alu instid0(VALU_DEP_2) | instskip(NEXT) | instid1(VALU_DEP_2)
	v_add_f64 v[32:33], v[32:33], v[40:41]
	v_div_fmas_f64 v[34:35], v[38:39], v[34:35], v[46:47]
	v_subrev_co_ci_u32_e64 v6, vcc_lo, 0, v6, s1
	v_cmp_class_f64_e64 s1, v[28:29], 0x204
	v_cmp_gt_i32_e32 vcc_lo, 0, v7
	v_add_f64 v[32:33], v[48:49], v[32:33]
	v_div_fixup_f64 v[22:23], v[34:35], v[26:27], v[22:23]
	s_delay_alu instid0(VALU_DEP_2) | instskip(NEXT) | instid1(VALU_DEP_2)
	v_mul_f64 v[26:27], v[36:37], v[32:33]
	v_mul_f64 v[32:33], v[22:23], v[22:23]
	s_delay_alu instid0(VALU_DEP_2) | instskip(NEXT) | instid1(VALU_DEP_2)
	v_add_f64 v[34:35], v[24:25], v[26:27]
	v_fma_f64 v[36:37], v[32:33], s[42:43], s[40:41]
	s_delay_alu instid0(VALU_DEP_2) | instskip(NEXT) | instid1(VALU_DEP_2)
	v_mul_f64 v[38:39], v[34:35], v[34:35]
	v_fma_f64 v[36:37], v[32:33], v[36:37], s[44:45]
	v_add_f64 v[24:25], v[34:35], -v[24:25]
	s_delay_alu instid0(VALU_DEP_3) | instskip(NEXT) | instid1(VALU_DEP_3)
	v_fma_f64 v[40:41], v[38:39], s[24:25], s[22:23]
	v_fma_f64 v[36:37], v[32:33], v[36:37], s[46:47]
	v_mul_f64 v[42:43], v[34:35], v[38:39]
	s_delay_alu instid0(VALU_DEP_4) | instskip(NEXT) | instid1(VALU_DEP_4)
	v_add_f64 v[24:25], v[26:27], -v[24:25]
	v_fma_f64 v[40:41], v[38:39], v[40:41], s[26:27]
	s_delay_alu instid0(VALU_DEP_4) | instskip(NEXT) | instid1(VALU_DEP_3)
	v_fma_f64 v[36:37], v[32:33], v[36:37], s[48:49]
	v_ldexp_f64 v[24:25], v[24:25], 1
	s_delay_alu instid0(VALU_DEP_3) | instskip(NEXT) | instid1(VALU_DEP_3)
	v_fma_f64 v[40:41], v[38:39], v[40:41], s[28:29]
	v_fma_f64 v[36:37], v[32:33], v[36:37], s[50:51]
	s_delay_alu instid0(VALU_DEP_2) | instskip(NEXT) | instid1(VALU_DEP_2)
	v_fma_f64 v[40:41], v[38:39], v[40:41], s[30:31]
	v_fma_f64 v[36:37], v[32:33], v[36:37], s[52:53]
	s_delay_alu instid0(VALU_DEP_2) | instskip(NEXT) | instid1(VALU_DEP_2)
	v_fma_f64 v[40:41], v[38:39], v[40:41], s[34:35]
	v_fma_f64 v[36:37], v[32:33], v[36:37], s[54:55]
	s_delay_alu instid0(VALU_DEP_2) | instskip(NEXT) | instid1(VALU_DEP_2)
	v_fma_f64 v[38:39], v[38:39], v[40:41], s[90:91]
	v_fma_f64 v[36:37], v[32:33], v[36:37], s[56:57]
	v_ldexp_f64 v[40:41], v[34:35], 1
	s_delay_alu instid0(VALU_DEP_3) | instskip(NEXT) | instid1(VALU_DEP_3)
	v_mul_f64 v[38:39], v[42:43], v[38:39]
	v_fma_f64 v[36:37], v[32:33], v[36:37], s[58:59]
	v_cvt_f64_i32_e32 v[42:43], v6
	v_ashrrev_i32_e32 v6, 31, v7
	v_cndmask_b32_e32 v7, 0x54442d18, v54, vcc_lo
	s_delay_alu instid0(VALU_DEP_2) | instskip(SKIP_4) | instid1(VALU_DEP_3)
	v_and_b32_e32 v19, 0x54442d18, v6
	v_and_b32_e32 v6, 0x400921fb, v6
	v_add_f64 v[34:35], v[40:41], v[38:39]
	v_fma_f64 v[36:37], v[32:33], v[36:37], s[60:61]
	v_mul_f64 v[44:45], v[42:43], s[36:37]
	v_add_f64 v[26:27], v[34:35], -v[40:41]
	s_delay_alu instid0(VALU_DEP_3) | instskip(NEXT) | instid1(VALU_DEP_3)
	v_fma_f64 v[36:37], v[32:33], v[36:37], s[62:63]
	v_fma_f64 v[40:41], v[42:43], s[36:37], -v[44:45]
	s_delay_alu instid0(VALU_DEP_3) | instskip(NEXT) | instid1(VALU_DEP_3)
	v_add_f64 v[26:27], v[38:39], -v[26:27]
	v_fma_f64 v[36:37], v[32:33], v[36:37], s[64:65]
	s_delay_alu instid0(VALU_DEP_3) | instskip(NEXT) | instid1(VALU_DEP_3)
	v_fma_f64 v[38:39], v[42:43], s[38:39], v[40:41]
	v_add_f64 v[24:25], v[24:25], v[26:27]
	s_delay_alu instid0(VALU_DEP_3) | instskip(NEXT) | instid1(VALU_DEP_3)
	v_fma_f64 v[26:27], v[32:33], v[36:37], s[66:67]
	v_add_f64 v[36:37], v[44:45], v[38:39]
	s_delay_alu instid0(VALU_DEP_3) | instskip(NEXT) | instid1(VALU_DEP_3)
	v_add_f64 v[40:41], v[34:35], v[24:25]
	v_fma_f64 v[26:27], v[32:33], v[26:27], s[68:69]
	s_delay_alu instid0(VALU_DEP_3) | instskip(NEXT) | instid1(VALU_DEP_3)
	v_add_f64 v[44:45], v[36:37], -v[44:45]
	v_add_f64 v[42:43], v[36:37], v[40:41]
	s_delay_alu instid0(VALU_DEP_3) | instskip(SKIP_1) | instid1(VALU_DEP_4)
	v_fma_f64 v[26:27], v[32:33], v[26:27], s[70:71]
	v_add_f64 v[34:35], v[40:41], -v[34:35]
	v_add_f64 v[38:39], v[38:39], -v[44:45]
	s_delay_alu instid0(VALU_DEP_4) | instskip(NEXT) | instid1(VALU_DEP_4)
	v_add_f64 v[46:47], v[42:43], -v[36:37]
	v_fma_f64 v[26:27], v[32:33], v[26:27], s[72:73]
	s_delay_alu instid0(VALU_DEP_4) | instskip(NEXT) | instid1(VALU_DEP_3)
	v_add_f64 v[24:25], v[24:25], -v[34:35]
	v_add_f64 v[48:49], v[42:43], -v[46:47]
	s_delay_alu instid0(VALU_DEP_3) | instskip(SKIP_1) | instid1(VALU_DEP_4)
	v_fma_f64 v[26:27], v[32:33], v[26:27], s[74:75]
	v_add_f64 v[34:35], v[40:41], -v[46:47]
	v_add_f64 v[40:41], v[38:39], v[24:25]
	s_delay_alu instid0(VALU_DEP_4) | instskip(NEXT) | instid1(VALU_DEP_4)
	v_add_f64 v[36:37], v[36:37], -v[48:49]
	v_fma_f64 v[26:27], v[32:33], v[26:27], s[76:77]
	s_delay_alu instid0(VALU_DEP_2) | instskip(NEXT) | instid1(VALU_DEP_2)
	v_add_f64 v[34:35], v[34:35], v[36:37]
	v_fma_f64 v[26:27], v[32:33], v[26:27], s[78:79]
	v_add_f64 v[36:37], v[40:41], -v[38:39]
	s_delay_alu instid0(VALU_DEP_3) | instskip(NEXT) | instid1(VALU_DEP_3)
	v_add_f64 v[34:35], v[40:41], v[34:35]
	v_mul_f64 v[26:27], v[32:33], v[26:27]
	s_delay_alu instid0(VALU_DEP_3) | instskip(SKIP_1) | instid1(VALU_DEP_4)
	v_add_f64 v[32:33], v[40:41], -v[36:37]
	v_add_f64 v[24:25], v[24:25], -v[36:37]
	v_add_f64 v[40:41], v[42:43], v[34:35]
	s_delay_alu instid0(VALU_DEP_4) | instskip(NEXT) | instid1(VALU_DEP_4)
	v_fma_f64 v[22:23], v[22:23], v[26:27], v[22:23]
	v_add_f64 v[26:27], v[38:39], -v[32:33]
	s_delay_alu instid0(VALU_DEP_3) | instskip(NEXT) | instid1(VALU_DEP_3)
	v_add_f64 v[32:33], v[40:41], -v[42:43]
	v_add_f64 v[36:37], -v[22:23], s[80:81]
	s_delay_alu instid0(VALU_DEP_3) | instskip(NEXT) | instid1(VALU_DEP_3)
	v_add_f64 v[24:25], v[24:25], v[26:27]
	v_add_f64 v[26:27], v[34:35], -v[32:33]
	s_delay_alu instid0(VALU_DEP_3) | instskip(NEXT) | instid1(VALU_DEP_4)
	v_cndmask_b32_e64 v23, v23, v37, s0
	v_cndmask_b32_e64 v22, v22, v36, s0
	s_delay_alu instid0(VALU_DEP_3) | instskip(NEXT) | instid1(VALU_DEP_2)
	v_add_f64 v[24:25], v[24:25], v[26:27]
	v_add_f64 v[26:27], -v[22:23], s[10:11]
	s_delay_alu instid0(VALU_DEP_2) | instskip(NEXT) | instid1(VALU_DEP_2)
	v_add_f64 v[24:25], v[40:41], v[24:25]
	v_dual_cndmask_b32 v22, v22, v26 :: v_dual_cndmask_b32 v23, v23, v27
	v_cndmask_b32_e32 v26, 0x3fe921fb, v55, vcc_lo
	v_cmp_ngt_f64_e32 vcc_lo, 0, v[30:31]
	s_delay_alu instid0(VALU_DEP_3) | instskip(NEXT) | instid1(VALU_DEP_4)
	v_cndmask_b32_e64 v19, v22, v19, s2
	v_cndmask_b32_e64 v6, v23, v6, s2
	s_delay_alu instid0(VALU_DEP_4) | instskip(SKIP_3) | instid1(VALU_DEP_3)
	v_bfi_b32 v26, 0x7fffffff, v26, v9
	v_cndmask_b32_e64 v25, v25, v29, s1
	v_cndmask_b32_e64 v24, v24, v28, s1
	v_cmp_nge_f64_e64 s1, 0, v[30:31]
	v_cndmask_b32_e64 v25, v25, 0x7ff00000, s6
	s_delay_alu instid0(VALU_DEP_3) | instskip(NEXT) | instid1(VALU_DEP_2)
	v_cndmask_b32_e64 v22, v24, 0, s6
	v_cndmask_b32_e32 v23, 0x7ff80000, v25, vcc_lo
	s_and_b32 vcc_lo, s4, s5
	v_dual_cndmask_b32 v25, v6, v26 :: v_dual_cndmask_b32 v24, v19, v7
	s_delay_alu instid0(VALU_DEP_3) | instskip(SKIP_1) | instid1(VALU_DEP_1)
	v_cndmask_b32_e64 v22, 0, v22, s1
	v_cmp_neq_f64_e64 s1, 0, v[30:31]
	v_cndmask_b32_e64 v23, 0xfff00000, v23, s1
.LBB198_179:                            ;   in Loop: Header=BB198_162 Depth=1
	s_or_b32 exec_lo, exec_lo, s3
                                        ; implicit-def: $vgpr28_vgpr29
.LBB198_180:                            ;   in Loop: Header=BB198_162 Depth=1
	s_and_not1_saveexec_b32 s3, s96
	s_cbranch_execz .LBB198_186
; %bb.181:                              ;   in Loop: Header=BB198_162 Depth=1
                                        ; implicit-def: $vgpr22_vgpr23
                                        ; implicit-def: $vgpr24_vgpr25
	s_mov_b32 s1, exec_lo
	v_cmpx_ngt_f64_e32 s[84:85], v[28:29]
	s_xor_b32 s4, exec_lo, s1
	s_cbranch_execz .LBB198_183
; %bb.182:                              ;   in Loop: Header=BB198_162 Depth=1
	v_mul_f64 v[22:23], v[28:29], v[28:29]
	s_mov_b32 s91, s21
	s_mov_b32 s10, s80
	v_cmp_eq_f64_e64 s2, 0, v[8:9]
	v_cmp_class_f64_e64 s5, v[8:9], 0x204
	v_cmp_class_f64_e64 s6, v[6:7], 0x204
	v_cmp_gt_i32_e64 s1, 0, v7
	v_add_f64 v[24:25], v[22:23], 1.0
	s_delay_alu instid0(VALU_DEP_1) | instskip(SKIP_2) | instid1(VALU_DEP_3)
	v_frexp_mant_f64_e32 v[26:27], v[24:25]
	v_frexp_exp_i32_f64_e32 v19, v[24:25]
	v_add_f64 v[28:29], v[24:25], -1.0
	v_cmp_gt_f64_e32 vcc_lo, s[20:21], v[26:27]
	s_delay_alu instid0(VALU_DEP_2) | instskip(SKIP_2) | instid1(VALU_DEP_3)
	v_add_f64 v[26:27], v[28:29], -v[24:25]
	v_add_f64 v[28:29], v[22:23], -v[28:29]
	v_subrev_co_ci_u32_e32 v19, vcc_lo, 0, v19, vcc_lo
	v_add_f64 v[26:27], v[26:27], 1.0
	s_delay_alu instid0(VALU_DEP_2) | instskip(NEXT) | instid1(VALU_DEP_1)
	v_sub_nc_u32_e32 v32, 0, v19
	v_ldexp_f64 v[24:25], v[24:25], v32
	s_delay_alu instid0(VALU_DEP_3) | instskip(NEXT) | instid1(VALU_DEP_2)
	v_add_f64 v[26:27], v[28:29], v[26:27]
	v_add_f64 v[30:31], v[24:25], 1.0
	v_add_f64 v[36:37], v[24:25], -1.0
	s_delay_alu instid0(VALU_DEP_3) | instskip(NEXT) | instid1(VALU_DEP_3)
	v_ldexp_f64 v[26:27], v[26:27], v32
	v_add_f64 v[28:29], v[30:31], -1.0
	s_delay_alu instid0(VALU_DEP_3) | instskip(NEXT) | instid1(VALU_DEP_2)
	v_add_f64 v[38:39], v[36:37], 1.0
	v_add_f64 v[28:29], v[24:25], -v[28:29]
	s_delay_alu instid0(VALU_DEP_2) | instskip(NEXT) | instid1(VALU_DEP_2)
	v_add_f64 v[24:25], v[24:25], -v[38:39]
	v_add_f64 v[28:29], v[26:27], v[28:29]
	s_delay_alu instid0(VALU_DEP_2) | instskip(NEXT) | instid1(VALU_DEP_2)
	v_add_f64 v[24:25], v[26:27], v[24:25]
	v_add_f64 v[32:33], v[30:31], v[28:29]
	s_delay_alu instid0(VALU_DEP_2) | instskip(NEXT) | instid1(VALU_DEP_2)
	v_add_f64 v[38:39], v[36:37], v[24:25]
	v_rcp_f64_e32 v[34:35], v[32:33]
	v_add_f64 v[30:31], v[30:31], -v[32:33]
	s_delay_alu instid0(VALU_DEP_2) | instskip(NEXT) | instid1(VALU_DEP_2)
	v_add_f64 v[36:37], v[36:37], -v[38:39]
	v_add_f64 v[28:29], v[28:29], v[30:31]
	s_waitcnt_depctr 0xfff
	v_fma_f64 v[40:41], -v[32:33], v[34:35], 1.0
	v_add_f64 v[24:25], v[24:25], v[36:37]
	s_delay_alu instid0(VALU_DEP_2) | instskip(NEXT) | instid1(VALU_DEP_1)
	v_fma_f64 v[34:35], v[40:41], v[34:35], v[34:35]
	v_fma_f64 v[26:27], -v[32:33], v[34:35], 1.0
	s_delay_alu instid0(VALU_DEP_1) | instskip(NEXT) | instid1(VALU_DEP_1)
	v_fma_f64 v[26:27], v[26:27], v[34:35], v[34:35]
	v_mul_f64 v[34:35], v[38:39], v[26:27]
	s_delay_alu instid0(VALU_DEP_1) | instskip(NEXT) | instid1(VALU_DEP_1)
	v_mul_f64 v[40:41], v[32:33], v[34:35]
	v_fma_f64 v[30:31], v[34:35], v[32:33], -v[40:41]
	s_delay_alu instid0(VALU_DEP_1) | instskip(NEXT) | instid1(VALU_DEP_1)
	v_fma_f64 v[30:31], v[34:35], v[28:29], v[30:31]
	v_add_f64 v[42:43], v[40:41], v[30:31]
	s_delay_alu instid0(VALU_DEP_1) | instskip(SKIP_2) | instid1(VALU_DEP_3)
	v_add_f64 v[44:45], v[38:39], -v[42:43]
	v_add_f64 v[36:37], v[42:43], -v[40:41]
	v_max_f64 v[40:41], |v[8:9]|, |v[8:9]|
	v_add_f64 v[38:39], v[38:39], -v[44:45]
	s_delay_alu instid0(VALU_DEP_3) | instskip(NEXT) | instid1(VALU_DEP_2)
	v_add_f64 v[30:31], v[36:37], -v[30:31]
	v_add_f64 v[38:39], v[38:39], -v[42:43]
	v_max_f64 v[42:43], |v[6:7]|, |v[6:7]|
	s_delay_alu instid0(VALU_DEP_2) | instskip(NEXT) | instid1(VALU_DEP_2)
	v_add_f64 v[24:25], v[24:25], v[38:39]
	v_max_f64 v[46:47], v[42:43], v[40:41]
	v_min_f64 v[40:41], v[42:43], v[40:41]
	s_delay_alu instid0(VALU_DEP_3) | instskip(NEXT) | instid1(VALU_DEP_1)
	v_add_f64 v[24:25], v[30:31], v[24:25]
	v_add_f64 v[30:31], v[44:45], v[24:25]
	s_delay_alu instid0(VALU_DEP_1) | instskip(SKIP_1) | instid1(VALU_DEP_2)
	v_mul_f64 v[36:37], v[26:27], v[30:31]
	v_add_f64 v[44:45], v[44:45], -v[30:31]
	v_mul_f64 v[38:39], v[32:33], v[36:37]
	s_delay_alu instid0(VALU_DEP_2) | instskip(NEXT) | instid1(VALU_DEP_2)
	v_add_f64 v[24:25], v[24:25], v[44:45]
	v_fma_f64 v[32:33], v[36:37], v[32:33], -v[38:39]
	s_delay_alu instid0(VALU_DEP_1) | instskip(SKIP_1) | instid1(VALU_DEP_2)
	v_fma_f64 v[28:29], v[36:37], v[28:29], v[32:33]
	v_div_scale_f64 v[32:33], null, v[46:47], v[46:47], v[40:41]
	v_add_f64 v[42:43], v[38:39], v[28:29]
	s_delay_alu instid0(VALU_DEP_2) | instskip(NEXT) | instid1(VALU_DEP_1)
	v_rcp_f64_e32 v[48:49], v[32:33]
	v_add_f64 v[50:51], v[30:31], -v[42:43]
	v_add_f64 v[38:39], v[42:43], -v[38:39]
	s_waitcnt_depctr 0xfff
	v_fma_f64 v[52:53], -v[32:33], v[48:49], 1.0
	v_add_f64 v[30:31], v[30:31], -v[50:51]
	v_add_f64 v[28:29], v[38:39], -v[28:29]
	s_delay_alu instid0(VALU_DEP_3) | instskip(NEXT) | instid1(VALU_DEP_3)
	v_fma_f64 v[48:49], v[48:49], v[52:53], v[48:49]
	v_add_f64 v[30:31], v[30:31], -v[42:43]
	s_delay_alu instid0(VALU_DEP_2) | instskip(NEXT) | instid1(VALU_DEP_2)
	v_fma_f64 v[42:43], -v[32:33], v[48:49], 1.0
	v_add_f64 v[24:25], v[24:25], v[30:31]
	v_div_scale_f64 v[30:31], vcc_lo, v[40:41], v[46:47], v[40:41]
	s_delay_alu instid0(VALU_DEP_3) | instskip(SKIP_1) | instid1(VALU_DEP_4)
	v_fma_f64 v[38:39], v[48:49], v[42:43], v[48:49]
	v_add_f64 v[42:43], v[34:35], v[36:37]
	v_add_f64 v[24:25], v[28:29], v[24:25]
	s_delay_alu instid0(VALU_DEP_3) | instskip(NEXT) | instid1(VALU_DEP_3)
	v_mul_f64 v[28:29], v[30:31], v[38:39]
	v_add_f64 v[34:35], v[42:43], -v[34:35]
	s_delay_alu instid0(VALU_DEP_3) | instskip(NEXT) | instid1(VALU_DEP_3)
	v_add_f64 v[24:25], v[50:51], v[24:25]
	v_fma_f64 v[30:31], -v[32:33], v[28:29], v[30:31]
	s_delay_alu instid0(VALU_DEP_3) | instskip(NEXT) | instid1(VALU_DEP_3)
	v_add_f64 v[32:33], v[36:37], -v[34:35]
	v_mul_f64 v[24:25], v[26:27], v[24:25]
	s_delay_alu instid0(VALU_DEP_3) | instskip(SKIP_1) | instid1(VALU_DEP_3)
	v_div_fmas_f64 v[26:27], v[30:31], v[38:39], v[28:29]
	v_cmp_eq_f64_e32 vcc_lo, 0x7ff00000, v[22:23]
	v_add_f64 v[24:25], v[32:33], v[24:25]
	s_delay_alu instid0(VALU_DEP_3) | instskip(NEXT) | instid1(VALU_DEP_2)
	v_div_fixup_f64 v[26:27], v[26:27], v[46:47], v[40:41]
	v_add_f64 v[28:29], v[42:43], v[24:25]
	s_delay_alu instid0(VALU_DEP_2) | instskip(NEXT) | instid1(VALU_DEP_2)
	v_mul_f64 v[30:31], v[26:27], v[26:27]
	v_mul_f64 v[32:33], v[28:29], v[28:29]
	s_delay_alu instid0(VALU_DEP_2) | instskip(NEXT) | instid1(VALU_DEP_2)
	v_fma_f64 v[34:35], v[30:31], s[42:43], s[40:41]
	v_fma_f64 v[36:37], v[32:33], s[24:25], s[22:23]
	v_mul_f64 v[38:39], v[28:29], v[32:33]
	s_delay_alu instid0(VALU_DEP_3) | instskip(NEXT) | instid1(VALU_DEP_3)
	v_fma_f64 v[34:35], v[30:31], v[34:35], s[44:45]
	v_fma_f64 v[36:37], v[32:33], v[36:37], s[26:27]
	s_delay_alu instid0(VALU_DEP_2) | instskip(NEXT) | instid1(VALU_DEP_2)
	v_fma_f64 v[34:35], v[30:31], v[34:35], s[46:47]
	v_fma_f64 v[36:37], v[32:33], v[36:37], s[28:29]
	s_delay_alu instid0(VALU_DEP_2) | instskip(NEXT) | instid1(VALU_DEP_2)
	;; [unrolled: 3-line block ×4, first 2 shown]
	v_fma_f64 v[34:35], v[30:31], v[34:35], s[52:53]
	v_fma_f64 v[32:33], v[32:33], v[36:37], s[90:91]
	v_ldexp_f64 v[36:37], v[28:29], 1
	v_add_f64 v[28:29], v[28:29], -v[42:43]
	s_delay_alu instid0(VALU_DEP_4) | instskip(NEXT) | instid1(VALU_DEP_4)
	v_fma_f64 v[34:35], v[30:31], v[34:35], s[54:55]
	v_mul_f64 v[32:33], v[38:39], v[32:33]
	v_cvt_f64_i32_e32 v[38:39], v19
	s_delay_alu instid0(VALU_DEP_4) | instskip(NEXT) | instid1(VALU_DEP_4)
	v_add_f64 v[24:25], v[24:25], -v[28:29]
	v_fma_f64 v[34:35], v[30:31], v[34:35], s[56:57]
	v_ashrrev_i32_e32 v19, 31, v7
	v_add_f64 v[40:41], v[36:37], v[32:33]
	v_mul_f64 v[42:43], v[38:39], s[36:37]
	v_ldexp_f64 v[24:25], v[24:25], 1
	v_fma_f64 v[34:35], v[30:31], v[34:35], s[58:59]
	s_delay_alu instid0(VALU_DEP_4) | instskip(NEXT) | instid1(VALU_DEP_4)
	v_add_f64 v[28:29], v[40:41], -v[36:37]
	v_fma_f64 v[36:37], v[38:39], s[36:37], -v[42:43]
	s_delay_alu instid0(VALU_DEP_3) | instskip(NEXT) | instid1(VALU_DEP_3)
	v_fma_f64 v[34:35], v[30:31], v[34:35], s[60:61]
	v_add_f64 v[28:29], v[32:33], -v[28:29]
	s_delay_alu instid0(VALU_DEP_2) | instskip(NEXT) | instid1(VALU_DEP_4)
	v_fma_f64 v[32:33], v[30:31], v[34:35], s[62:63]
	v_fma_f64 v[34:35], v[38:39], s[38:39], v[36:37]
	s_delay_alu instid0(VALU_DEP_3) | instskip(NEXT) | instid1(VALU_DEP_3)
	v_add_f64 v[24:25], v[24:25], v[28:29]
	v_fma_f64 v[28:29], v[30:31], v[32:33], s[64:65]
	s_delay_alu instid0(VALU_DEP_3) | instskip(NEXT) | instid1(VALU_DEP_3)
	v_add_f64 v[32:33], v[42:43], v[34:35]
	v_add_f64 v[36:37], v[40:41], v[24:25]
	s_delay_alu instid0(VALU_DEP_3) | instskip(NEXT) | instid1(VALU_DEP_3)
	v_fma_f64 v[28:29], v[30:31], v[28:29], s[66:67]
	v_add_f64 v[42:43], v[32:33], -v[42:43]
	s_delay_alu instid0(VALU_DEP_3) | instskip(SKIP_1) | instid1(VALU_DEP_4)
	v_add_f64 v[38:39], v[32:33], v[36:37]
	v_add_f64 v[40:41], v[36:37], -v[40:41]
	v_fma_f64 v[28:29], v[30:31], v[28:29], s[68:69]
	s_delay_alu instid0(VALU_DEP_4) | instskip(NEXT) | instid1(VALU_DEP_4)
	v_add_f64 v[34:35], v[34:35], -v[42:43]
	v_add_f64 v[44:45], v[38:39], -v[32:33]
	s_delay_alu instid0(VALU_DEP_4) | instskip(NEXT) | instid1(VALU_DEP_4)
	v_add_f64 v[24:25], v[24:25], -v[40:41]
	v_fma_f64 v[28:29], v[30:31], v[28:29], s[70:71]
	s_delay_alu instid0(VALU_DEP_3) | instskip(SKIP_1) | instid1(VALU_DEP_4)
	v_add_f64 v[46:47], v[38:39], -v[44:45]
	v_add_f64 v[36:37], v[36:37], -v[44:45]
	v_add_f64 v[40:41], v[34:35], v[24:25]
	s_delay_alu instid0(VALU_DEP_4) | instskip(NEXT) | instid1(VALU_DEP_4)
	v_fma_f64 v[28:29], v[30:31], v[28:29], s[72:73]
	v_add_f64 v[32:33], v[32:33], -v[46:47]
	s_delay_alu instid0(VALU_DEP_2) | instskip(NEXT) | instid1(VALU_DEP_2)
	v_fma_f64 v[28:29], v[30:31], v[28:29], s[74:75]
	v_add_f64 v[32:33], v[36:37], v[32:33]
	v_add_f64 v[36:37], v[40:41], -v[34:35]
	s_delay_alu instid0(VALU_DEP_3) | instskip(NEXT) | instid1(VALU_DEP_3)
	v_fma_f64 v[28:29], v[30:31], v[28:29], s[76:77]
	v_add_f64 v[32:33], v[40:41], v[32:33]
	s_delay_alu instid0(VALU_DEP_3) | instskip(SKIP_1) | instid1(VALU_DEP_4)
	v_add_f64 v[40:41], v[40:41], -v[36:37]
	v_add_f64 v[24:25], v[24:25], -v[36:37]
	v_fma_f64 v[28:29], v[30:31], v[28:29], s[78:79]
	s_delay_alu instid0(VALU_DEP_4) | instskip(NEXT) | instid1(VALU_DEP_2)
	v_add_f64 v[42:43], v[38:39], v[32:33]
	v_mul_f64 v[28:29], v[30:31], v[28:29]
	v_add_f64 v[30:31], v[34:35], -v[40:41]
	s_delay_alu instid0(VALU_DEP_3) | instskip(NEXT) | instid1(VALU_DEP_3)
	v_add_f64 v[34:35], v[42:43], -v[38:39]
	v_fma_f64 v[26:27], v[26:27], v[28:29], v[26:27]
	s_delay_alu instid0(VALU_DEP_3) | instskip(NEXT) | instid1(VALU_DEP_3)
	v_add_f64 v[24:25], v[24:25], v[30:31]
	v_add_f64 v[28:29], v[32:33], -v[34:35]
	s_delay_alu instid0(VALU_DEP_3) | instskip(NEXT) | instid1(VALU_DEP_2)
	v_add_f64 v[30:31], -v[26:27], s[80:81]
	v_add_f64 v[24:25], v[24:25], v[28:29]
	s_delay_alu instid0(VALU_DEP_2) | instskip(NEXT) | instid1(VALU_DEP_3)
	v_cndmask_b32_e64 v27, v27, v31, s0
	v_cndmask_b32_e64 v26, v26, v30, s0
	v_cndmask_b32_e64 v30, 0x54442d18, v54, s1
	s_delay_alu instid0(VALU_DEP_2) | instskip(SKIP_2) | instid1(VALU_DEP_3)
	v_add_f64 v[28:29], -v[26:27], s[10:11]
	v_add_f64 v[24:25], v[42:43], v[24:25]
	v_and_b32_e32 v31, 0x54442d18, v19
	v_cndmask_b32_e64 v26, v26, v28, s1
	s_delay_alu instid0(VALU_DEP_3) | instskip(NEXT) | instid1(VALU_DEP_2)
	v_cndmask_b32_e32 v6, v24, v22, vcc_lo
	v_cndmask_b32_e64 v24, v26, v31, s2
	v_cndmask_b32_e32 v7, v25, v23, vcc_lo
	s_and_b32 vcc_lo, s6, s5
	s_delay_alu instid0(VALU_DEP_2) | instskip(NEXT) | instid1(VALU_DEP_2)
	v_cndmask_b32_e32 v24, v24, v30, vcc_lo
	v_mul_f64 v[22:23], v[6:7], 0.5
	v_cndmask_b32_e64 v6, 0x3fe921fb, v55, s1
	v_and_b32_e32 v7, 0x400921fb, v19
	v_cndmask_b32_e64 v19, v27, v29, s1
                                        ; implicit-def: $vgpr28_vgpr29
	s_delay_alu instid0(VALU_DEP_3) | instskip(NEXT) | instid1(VALU_DEP_2)
	v_bfi_b32 v6, 0x7fffffff, v6, v9
	v_cndmask_b32_e64 v7, v19, v7, s2
	s_delay_alu instid0(VALU_DEP_1)
	v_cndmask_b32_e32 v25, v7, v6, vcc_lo
.LBB198_183:                            ;   in Loop: Header=BB198_162 Depth=1
	s_and_not1_saveexec_b32 s2, s4
	s_cbranch_execz .LBB198_185
; %bb.184:                              ;   in Loop: Header=BB198_162 Depth=1
	v_max_f64 v[22:23], |v[8:9]|, |v[8:9]|
	v_max_f64 v[24:25], |v[6:7]|, |v[6:7]|
	s_mov_b32 s10, s80
	v_cmp_eq_f64_e64 s1, 0, v[8:9]
	v_cmp_class_f64_e64 s4, v[8:9], 0x204
	v_cmp_class_f64_e64 s5, v[6:7], 0x204
	v_ashrrev_i32_e32 v19, 31, v7
	v_max_f64 v[26:27], v[24:25], v[22:23]
	v_min_f64 v[22:23], v[24:25], v[22:23]
	s_delay_alu instid0(VALU_DEP_1) | instskip(SKIP_1) | instid1(VALU_DEP_2)
	v_div_scale_f64 v[24:25], null, v[26:27], v[26:27], v[22:23]
	v_div_scale_f64 v[34:35], vcc_lo, v[22:23], v[26:27], v[22:23]
	v_rcp_f64_e32 v[30:31], v[24:25]
	s_waitcnt_depctr 0xfff
	v_fma_f64 v[32:33], -v[24:25], v[30:31], 1.0
	s_delay_alu instid0(VALU_DEP_1) | instskip(NEXT) | instid1(VALU_DEP_1)
	v_fma_f64 v[30:31], v[30:31], v[32:33], v[30:31]
	v_fma_f64 v[32:33], -v[24:25], v[30:31], 1.0
	s_delay_alu instid0(VALU_DEP_1) | instskip(NEXT) | instid1(VALU_DEP_1)
	v_fma_f64 v[30:31], v[30:31], v[32:33], v[30:31]
	v_mul_f64 v[32:33], v[34:35], v[30:31]
	s_delay_alu instid0(VALU_DEP_1) | instskip(NEXT) | instid1(VALU_DEP_1)
	v_fma_f64 v[24:25], -v[24:25], v[32:33], v[34:35]
	v_div_fmas_f64 v[24:25], v[24:25], v[30:31], v[32:33]
	v_cmp_gt_i32_e32 vcc_lo, 0, v7
	v_and_b32_e32 v31, 0x54442d18, v19
	v_and_b32_e32 v7, 0x400921fb, v19
	v_cndmask_b32_e32 v30, 0x54442d18, v54, vcc_lo
	v_cndmask_b32_e32 v6, 0x3fe921fb, v55, vcc_lo
	s_delay_alu instid0(VALU_DEP_1) | instskip(SKIP_1) | instid1(VALU_DEP_1)
	v_bfi_b32 v6, 0x7fffffff, v6, v9
	v_div_fixup_f64 v[22:23], v[24:25], v[26:27], v[22:23]
	v_mul_f64 v[24:25], v[22:23], v[22:23]
	s_delay_alu instid0(VALU_DEP_1) | instskip(NEXT) | instid1(VALU_DEP_1)
	v_fma_f64 v[26:27], v[24:25], s[42:43], s[40:41]
	v_fma_f64 v[26:27], v[24:25], v[26:27], s[44:45]
	s_delay_alu instid0(VALU_DEP_1) | instskip(NEXT) | instid1(VALU_DEP_1)
	v_fma_f64 v[26:27], v[24:25], v[26:27], s[46:47]
	v_fma_f64 v[26:27], v[24:25], v[26:27], s[48:49]
	;; [unrolled: 3-line block ×9, first 2 shown]
	s_delay_alu instid0(VALU_DEP_1) | instskip(NEXT) | instid1(VALU_DEP_1)
	v_fma_f64 v[26:27], v[24:25], v[26:27], s[78:79]
	v_mul_f64 v[24:25], v[24:25], v[26:27]
	s_delay_alu instid0(VALU_DEP_1) | instskip(NEXT) | instid1(VALU_DEP_1)
	v_fma_f64 v[22:23], v[22:23], v[24:25], v[22:23]
	v_add_f64 v[24:25], -v[22:23], s[80:81]
	s_delay_alu instid0(VALU_DEP_1) | instskip(NEXT) | instid1(VALU_DEP_2)
	v_cndmask_b32_e64 v25, v23, v25, s0
	v_cndmask_b32_e64 v24, v22, v24, s0
	v_mul_f64 v[22:23], v[28:29], 0.5
	s_delay_alu instid0(VALU_DEP_2) | instskip(NEXT) | instid1(VALU_DEP_2)
	v_add_f64 v[26:27], -v[24:25], s[10:11]
	v_mul_f64 v[22:23], v[28:29], v[22:23]
	s_delay_alu instid0(VALU_DEP_2) | instskip(NEXT) | instid1(VALU_DEP_1)
	v_cndmask_b32_e32 v24, v24, v26, vcc_lo
	v_cndmask_b32_e64 v24, v24, v31, s1
	s_delay_alu instid0(VALU_DEP_4) | instskip(SKIP_1) | instid1(VALU_DEP_2)
	v_cndmask_b32_e32 v19, v25, v27, vcc_lo
	s_and_b32 vcc_lo, s5, s4
	v_cndmask_b32_e32 v24, v24, v30, vcc_lo
	s_delay_alu instid0(VALU_DEP_2) | instskip(NEXT) | instid1(VALU_DEP_1)
	v_cndmask_b32_e64 v7, v19, v7, s1
	v_cndmask_b32_e32 v25, v7, v6, vcc_lo
.LBB198_185:                            ;   in Loop: Header=BB198_162 Depth=1
	s_or_b32 exec_lo, exec_lo, s2
.LBB198_186:                            ;   in Loop: Header=BB198_162 Depth=1
	s_delay_alu instid0(SALU_CYCLE_1)
	s_or_b32 exec_lo, exec_lo, s3
.LBB198_187:                            ;   in Loop: Header=BB198_162 Depth=1
	s_and_not1_saveexec_b32 s3, s95
	s_cbranch_execz .LBB198_189
; %bb.188:                              ;   in Loop: Header=BB198_162 Depth=1
	v_div_scale_f64 v[22:23], null, s[86:87], s[86:87], v[6:7]
	v_div_scale_f64 v[24:25], null, s[86:87], s[86:87], v[8:9]
	v_div_scale_f64 v[34:35], vcc_lo, v[6:7], s[86:87], v[6:7]
	v_max_f64 v[40:41], |v[6:7]|, |v[6:7]|
	s_mov_b32 s91, s21
	s_mov_b32 s10, s80
	s_delay_alu instid0(VALU_DEP_4) | instskip(NEXT) | instid1(VALU_DEP_3)
	v_rcp_f64_e32 v[26:27], v[22:23]
	v_rcp_f64_e32 v[28:29], v[24:25]
	s_waitcnt_depctr 0xfff
	v_fma_f64 v[30:31], -v[22:23], v[26:27], 1.0
	v_fma_f64 v[32:33], -v[24:25], v[28:29], 1.0
	s_delay_alu instid0(VALU_DEP_2) | instskip(NEXT) | instid1(VALU_DEP_2)
	v_fma_f64 v[26:27], v[26:27], v[30:31], v[26:27]
	v_fma_f64 v[28:29], v[28:29], v[32:33], v[28:29]
	s_delay_alu instid0(VALU_DEP_2) | instskip(NEXT) | instid1(VALU_DEP_2)
	v_fma_f64 v[30:31], -v[22:23], v[26:27], 1.0
	v_fma_f64 v[32:33], -v[24:25], v[28:29], 1.0
	s_delay_alu instid0(VALU_DEP_2) | instskip(SKIP_1) | instid1(VALU_DEP_3)
	v_fma_f64 v[26:27], v[26:27], v[30:31], v[26:27]
	v_div_scale_f64 v[30:31], s1, v[8:9], s[86:87], v[8:9]
	v_fma_f64 v[28:29], v[28:29], v[32:33], v[28:29]
	s_delay_alu instid0(VALU_DEP_3) | instskip(NEXT) | instid1(VALU_DEP_2)
	v_mul_f64 v[32:33], v[34:35], v[26:27]
	v_mul_f64 v[36:37], v[30:31], v[28:29]
	s_delay_alu instid0(VALU_DEP_2) | instskip(NEXT) | instid1(VALU_DEP_2)
	v_fma_f64 v[22:23], -v[22:23], v[32:33], v[34:35]
	v_fma_f64 v[24:25], -v[24:25], v[36:37], v[30:31]
	s_delay_alu instid0(VALU_DEP_2) | instskip(SKIP_1) | instid1(VALU_DEP_2)
	v_div_fmas_f64 v[22:23], v[22:23], v[26:27], v[32:33]
	s_mov_b32 vcc_lo, s1
	v_div_fmas_f64 v[24:25], v[24:25], v[28:29], v[36:37]
	s_delay_alu instid0(VALU_DEP_2) | instskip(NEXT) | instid1(VALU_DEP_2)
	v_div_fixup_f64 v[22:23], v[22:23], s[86:87], v[6:7]
	v_div_fixup_f64 v[24:25], v[24:25], s[86:87], v[8:9]
	s_delay_alu instid0(VALU_DEP_2) | instskip(NEXT) | instid1(VALU_DEP_2)
	v_cmp_class_f64_e64 s2, v[22:23], 0x204
	v_max_f64 v[26:27], |v[22:23]|, |v[24:25]|
	v_cmp_o_f64_e64 s1, v[22:23], v[24:25]
	v_cmp_class_f64_e64 s4, v[24:25], 0x204
	s_delay_alu instid0(VALU_DEP_3) | instskip(NEXT) | instid1(VALU_DEP_2)
	v_frexp_exp_i32_f64_e32 v19, v[26:27]
	s_or_b32 s4, s2, s4
	s_delay_alu instid0(VALU_DEP_1) | instskip(NEXT) | instid1(VALU_DEP_1)
	v_sub_nc_u32_e32 v28, 0, v19
	v_ldexp_f64 v[26:27], |v[24:25]|, v28
	v_ldexp_f64 v[28:29], |v[22:23]|, v28
	s_delay_alu instid0(VALU_DEP_2) | instskip(NEXT) | instid1(VALU_DEP_1)
	v_mul_f64 v[26:27], v[26:27], v[26:27]
	v_fma_f64 v[26:27], v[28:29], v[28:29], v[26:27]
	s_delay_alu instid0(VALU_DEP_1) | instskip(SKIP_4) | instid1(VALU_DEP_1)
	v_rsq_f64_e32 v[28:29], v[26:27]
	v_cmp_eq_f64_e32 vcc_lo, 0, v[26:27]
	s_waitcnt_depctr 0xfff
	v_mul_f64 v[30:31], v[26:27], v[28:29]
	v_mul_f64 v[28:29], v[28:29], 0.5
	v_fma_f64 v[32:33], -v[28:29], v[30:31], 0.5
	s_delay_alu instid0(VALU_DEP_1) | instskip(SKIP_1) | instid1(VALU_DEP_2)
	v_fma_f64 v[30:31], v[30:31], v[32:33], v[30:31]
	v_fma_f64 v[28:29], v[28:29], v[32:33], v[28:29]
	v_fma_f64 v[32:33], -v[30:31], v[30:31], v[26:27]
	s_delay_alu instid0(VALU_DEP_1) | instskip(NEXT) | instid1(VALU_DEP_1)
	v_fma_f64 v[28:29], v[32:33], v[28:29], v[30:31]
	v_dual_cndmask_b32 v27, v29, v27 :: v_dual_cndmask_b32 v26, v28, v26
	s_delay_alu instid0(VALU_DEP_1) | instskip(NEXT) | instid1(VALU_DEP_1)
	v_ldexp_f64 v[26:27], v[26:27], v19
	v_cndmask_b32_e64 v22, 0, v26, s1
	s_delay_alu instid0(VALU_DEP_2) | instskip(SKIP_1) | instid1(VALU_DEP_3)
	v_cndmask_b32_e64 v52, 0x7ff80000, v27, s1
	v_and_b32_e32 v27, 0x7fffffff, v27
	v_cndmask_b32_e64 v23, v22, 0, s4
	s_delay_alu instid0(VALU_DEP_3) | instskip(NEXT) | instid1(VALU_DEP_1)
	v_cndmask_b32_e64 v24, v52, 0x7ff00000, s4
	v_frexp_mant_f64_e32 v[28:29], v[23:24]
	s_delay_alu instid0(VALU_DEP_1) | instskip(NEXT) | instid1(VALU_DEP_1)
	v_cmp_gt_f64_e64 s2, s[20:21], v[28:29]
	v_cndmask_b32_e64 v19, 0x3ff00000, 2.0, s2
	s_delay_alu instid0(VALU_DEP_1) | instskip(SKIP_1) | instid1(VALU_DEP_2)
	v_mul_f64 v[28:29], v[28:29], v[18:19]
	v_frexp_exp_i32_f64_e32 v19, v[23:24]
	v_add_f64 v[30:31], v[28:29], 1.0
	v_add_f64 v[36:37], v[28:29], -1.0
	s_delay_alu instid0(VALU_DEP_2) | instskip(SKIP_1) | instid1(VALU_DEP_1)
	v_rcp_f64_e32 v[32:33], v[30:31]
	v_add_f64 v[42:43], v[30:31], -1.0
	v_add_f64 v[28:29], v[28:29], -v[42:43]
	s_waitcnt_depctr 0xfff
	v_fma_f64 v[34:35], -v[30:31], v[32:33], 1.0
	s_delay_alu instid0(VALU_DEP_1) | instskip(NEXT) | instid1(VALU_DEP_1)
	v_fma_f64 v[32:33], v[34:35], v[32:33], v[32:33]
	v_fma_f64 v[34:35], -v[30:31], v[32:33], 1.0
	s_delay_alu instid0(VALU_DEP_1) | instskip(SKIP_1) | instid1(VALU_DEP_2)
	v_fma_f64 v[32:33], v[34:35], v[32:33], v[32:33]
	v_max_f64 v[34:35], |v[8:9]|, |v[8:9]|
	v_mul_f64 v[38:39], v[36:37], v[32:33]
	s_delay_alu instid0(VALU_DEP_2) | instskip(SKIP_1) | instid1(VALU_DEP_3)
	v_max_f64 v[46:47], v[40:41], v[34:35]
	v_min_f64 v[34:35], v[40:41], v[34:35]
	v_mul_f64 v[44:45], v[30:31], v[38:39]
	s_delay_alu instid0(VALU_DEP_2) | instskip(NEXT) | instid1(VALU_DEP_2)
	v_div_scale_f64 v[40:41], null, v[46:47], v[46:47], v[34:35]
	v_fma_f64 v[30:31], v[38:39], v[30:31], -v[44:45]
	s_delay_alu instid0(VALU_DEP_1) | instskip(NEXT) | instid1(VALU_DEP_3)
	v_fma_f64 v[28:29], v[38:39], v[28:29], v[30:31]
	v_rcp_f64_e32 v[30:31], v[40:41]
	s_delay_alu instid0(VALU_DEP_1) | instskip(SKIP_4) | instid1(VALU_DEP_3)
	v_add_f64 v[42:43], v[44:45], v[28:29]
	s_waitcnt_depctr 0xfff
	v_fma_f64 v[48:49], -v[40:41], v[30:31], 1.0
	v_add_f64 v[50:51], v[36:37], -v[42:43]
	v_add_f64 v[44:45], v[42:43], -v[44:45]
	v_fma_f64 v[30:31], v[30:31], v[48:49], v[30:31]
	s_delay_alu instid0(VALU_DEP_3) | instskip(NEXT) | instid1(VALU_DEP_3)
	v_add_f64 v[36:37], v[36:37], -v[50:51]
	v_add_f64 v[28:29], v[44:45], -v[28:29]
	s_delay_alu instid0(VALU_DEP_3) | instskip(NEXT) | instid1(VALU_DEP_3)
	v_fma_f64 v[48:49], -v[40:41], v[30:31], 1.0
	v_add_f64 v[36:37], v[36:37], -v[42:43]
	v_div_scale_f64 v[42:43], vcc_lo, v[34:35], v[46:47], v[34:35]
	s_delay_alu instid0(VALU_DEP_3) | instskip(NEXT) | instid1(VALU_DEP_3)
	v_fma_f64 v[30:31], v[30:31], v[48:49], v[30:31]
	v_add_f64 v[28:29], v[28:29], v[36:37]
	s_delay_alu instid0(VALU_DEP_2) | instskip(NEXT) | instid1(VALU_DEP_2)
	v_mul_f64 v[36:37], v[42:43], v[30:31]
	v_add_f64 v[28:29], v[50:51], v[28:29]
	s_delay_alu instid0(VALU_DEP_2) | instskip(NEXT) | instid1(VALU_DEP_2)
	v_fma_f64 v[40:41], -v[40:41], v[36:37], v[42:43]
	v_mul_f64 v[28:29], v[32:33], v[28:29]
	s_delay_alu instid0(VALU_DEP_2)
	v_div_fmas_f64 v[30:31], v[40:41], v[30:31], v[36:37]
	v_subrev_co_ci_u32_e64 v19, vcc_lo, 0, v19, s2
	v_cmp_eq_f64_e32 vcc_lo, 0x7ff00000, v[26:27]
	v_cmp_class_f64_e64 s2, v[6:7], 0x204
	v_add_f64 v[32:33], v[38:39], v[28:29]
	v_div_fixup_f64 v[30:31], v[30:31], v[46:47], v[34:35]
	s_and_b32 vcc_lo, s1, vcc_lo
	v_cmp_class_f64_e64 s1, v[8:9], 0x204
	s_delay_alu instid0(VALU_DEP_3) | instskip(NEXT) | instid1(VALU_DEP_3)
	v_mul_f64 v[34:35], v[32:33], v[32:33]
	v_mul_f64 v[36:37], v[30:31], v[30:31]
	s_delay_alu instid0(VALU_DEP_2) | instskip(SKIP_1) | instid1(VALU_DEP_3)
	v_fma_f64 v[40:41], v[34:35], s[24:25], s[22:23]
	v_mul_f64 v[44:45], v[32:33], v[34:35]
	v_fma_f64 v[42:43], v[36:37], s[42:43], s[40:41]
	s_delay_alu instid0(VALU_DEP_3) | instskip(NEXT) | instid1(VALU_DEP_2)
	v_fma_f64 v[40:41], v[34:35], v[40:41], s[26:27]
	v_fma_f64 v[42:43], v[36:37], v[42:43], s[44:45]
	s_delay_alu instid0(VALU_DEP_2) | instskip(NEXT) | instid1(VALU_DEP_2)
	v_fma_f64 v[40:41], v[34:35], v[40:41], s[28:29]
	v_fma_f64 v[42:43], v[36:37], v[42:43], s[46:47]
	s_delay_alu instid0(VALU_DEP_2) | instskip(NEXT) | instid1(VALU_DEP_2)
	;; [unrolled: 3-line block ×4, first 2 shown]
	v_fma_f64 v[34:35], v[34:35], v[40:41], s[90:91]
	v_fma_f64 v[40:41], v[36:37], v[42:43], s[52:53]
	v_ldexp_f64 v[42:43], v[32:33], 1
	v_add_f64 v[32:33], v[32:33], -v[38:39]
	s_delay_alu instid0(VALU_DEP_4)
	v_mul_f64 v[34:35], v[44:45], v[34:35]
	v_cvt_f64_i32_e32 v[44:45], v19
	v_ashrrev_i32_e32 v19, 31, v7
	v_fma_f64 v[40:41], v[36:37], v[40:41], s[54:55]
	v_add_f64 v[28:29], v[28:29], -v[32:33]
	v_add_f64 v[38:39], v[42:43], v[34:35]
	v_mul_f64 v[46:47], v[44:45], s[36:37]
	s_delay_alu instid0(VALU_DEP_4) | instskip(NEXT) | instid1(VALU_DEP_4)
	v_fma_f64 v[40:41], v[36:37], v[40:41], s[56:57]
	v_ldexp_f64 v[28:29], v[28:29], 1
	s_delay_alu instid0(VALU_DEP_4) | instskip(NEXT) | instid1(VALU_DEP_4)
	v_add_f64 v[32:33], v[38:39], -v[42:43]
	v_fma_f64 v[42:43], v[44:45], s[36:37], -v[46:47]
	s_delay_alu instid0(VALU_DEP_4) | instskip(NEXT) | instid1(VALU_DEP_3)
	v_fma_f64 v[40:41], v[36:37], v[40:41], s[58:59]
	v_add_f64 v[32:33], v[34:35], -v[32:33]
	s_delay_alu instid0(VALU_DEP_2) | instskip(NEXT) | instid1(VALU_DEP_4)
	v_fma_f64 v[34:35], v[36:37], v[40:41], s[60:61]
	v_fma_f64 v[40:41], v[44:45], s[38:39], v[42:43]
	s_delay_alu instid0(VALU_DEP_3) | instskip(NEXT) | instid1(VALU_DEP_3)
	v_add_f64 v[28:29], v[28:29], v[32:33]
	v_fma_f64 v[32:33], v[36:37], v[34:35], s[62:63]
	s_delay_alu instid0(VALU_DEP_3) | instskip(NEXT) | instid1(VALU_DEP_3)
	v_add_f64 v[34:35], v[46:47], v[40:41]
	v_add_f64 v[42:43], v[38:39], v[28:29]
	s_delay_alu instid0(VALU_DEP_3) | instskip(NEXT) | instid1(VALU_DEP_3)
	v_fma_f64 v[32:33], v[36:37], v[32:33], s[64:65]
	v_add_f64 v[46:47], v[34:35], -v[46:47]
	s_delay_alu instid0(VALU_DEP_3) | instskip(SKIP_1) | instid1(VALU_DEP_4)
	v_add_f64 v[44:45], v[34:35], v[42:43]
	v_add_f64 v[38:39], v[42:43], -v[38:39]
	v_fma_f64 v[32:33], v[36:37], v[32:33], s[66:67]
	s_delay_alu instid0(VALU_DEP_4) | instskip(NEXT) | instid1(VALU_DEP_4)
	v_add_f64 v[40:41], v[40:41], -v[46:47]
	v_add_f64 v[48:49], v[44:45], -v[34:35]
	s_delay_alu instid0(VALU_DEP_4) | instskip(NEXT) | instid1(VALU_DEP_4)
	v_add_f64 v[28:29], v[28:29], -v[38:39]
	v_fma_f64 v[32:33], v[36:37], v[32:33], s[68:69]
	s_delay_alu instid0(VALU_DEP_3) | instskip(SKIP_1) | instid1(VALU_DEP_4)
	v_add_f64 v[50:51], v[44:45], -v[48:49]
	v_add_f64 v[38:39], v[42:43], -v[48:49]
	v_add_f64 v[42:43], v[40:41], v[28:29]
	s_delay_alu instid0(VALU_DEP_4) | instskip(NEXT) | instid1(VALU_DEP_4)
	v_fma_f64 v[32:33], v[36:37], v[32:33], s[70:71]
	v_add_f64 v[34:35], v[34:35], -v[50:51]
	s_delay_alu instid0(VALU_DEP_2) | instskip(NEXT) | instid1(VALU_DEP_2)
	v_fma_f64 v[32:33], v[36:37], v[32:33], s[72:73]
	v_add_f64 v[34:35], v[38:39], v[34:35]
	v_add_f64 v[38:39], v[42:43], -v[40:41]
	s_delay_alu instid0(VALU_DEP_3) | instskip(NEXT) | instid1(VALU_DEP_3)
	v_fma_f64 v[32:33], v[36:37], v[32:33], s[74:75]
	v_add_f64 v[34:35], v[42:43], v[34:35]
	s_delay_alu instid0(VALU_DEP_3) | instskip(SKIP_1) | instid1(VALU_DEP_4)
	v_add_f64 v[42:43], v[42:43], -v[38:39]
	v_add_f64 v[28:29], v[28:29], -v[38:39]
	v_fma_f64 v[32:33], v[36:37], v[32:33], s[76:77]
	s_delay_alu instid0(VALU_DEP_4) | instskip(NEXT) | instid1(VALU_DEP_4)
	v_add_f64 v[46:47], v[44:45], v[34:35]
	v_add_f64 v[38:39], v[40:41], -v[42:43]
	s_delay_alu instid0(VALU_DEP_3) | instskip(NEXT) | instid1(VALU_DEP_3)
	v_fma_f64 v[32:33], v[36:37], v[32:33], s[78:79]
	v_add_f64 v[40:41], v[46:47], -v[44:45]
	s_delay_alu instid0(VALU_DEP_3) | instskip(NEXT) | instid1(VALU_DEP_3)
	v_add_f64 v[28:29], v[28:29], v[38:39]
	v_mul_f64 v[32:33], v[36:37], v[32:33]
	s_delay_alu instid0(VALU_DEP_3) | instskip(NEXT) | instid1(VALU_DEP_2)
	v_add_f64 v[34:35], v[34:35], -v[40:41]
	v_fma_f64 v[30:31], v[30:31], v[32:33], v[30:31]
	s_delay_alu instid0(VALU_DEP_2) | instskip(NEXT) | instid1(VALU_DEP_2)
	v_add_f64 v[28:29], v[28:29], v[34:35]
	v_add_f64 v[32:33], -v[30:31], s[80:81]
	s_delay_alu instid0(VALU_DEP_2) | instskip(NEXT) | instid1(VALU_DEP_2)
	v_add_f64 v[25:26], v[46:47], v[28:29]
	v_cndmask_b32_e64 v28, v31, v33, s0
	s_delay_alu instid0(VALU_DEP_3) | instskip(SKIP_1) | instid1(VALU_DEP_2)
	v_cndmask_b32_e64 v27, v30, v32, s0
	v_cmp_eq_f64_e64 s0, 0, v[8:9]
	v_add_f64 v[29:30], -v[27:28], s[10:11]
	v_dual_cndmask_b32 v26, v26, v52 :: v_dual_cndmask_b32 v25, v25, v22
	v_and_b32_e32 v22, 0x54442d18, v19
	v_cmp_gt_i32_e32 vcc_lo, 0, v7
	v_and_b32_e32 v7, 0x400921fb, v19
	s_delay_alu instid0(VALU_DEP_4) | instskip(SKIP_3) | instid1(VALU_DEP_2)
	v_add_f64 v[25:26], v[25:26], 1.0
	v_cndmask_b32_e32 v31, 0x54442d18, v54, vcc_lo
	v_cndmask_b32_e32 v27, v27, v29, vcc_lo
	;; [unrolled: 1-line block ×3, first 2 shown]
	v_cndmask_b32_e64 v27, v27, v22, s0
	v_cndmask_b32_e32 v19, v28, v30, vcc_lo
	v_cmp_ngt_f64_e32 vcc_lo, 0, v[23:24]
	s_delay_alu instid0(VALU_DEP_4) | instskip(NEXT) | instid1(VALU_DEP_3)
	v_bfi_b32 v6, 0x7fffffff, v6, v9
	v_cndmask_b32_e64 v7, v19, v7, s0
	v_cmp_nge_f64_e64 s0, 0, v[23:24]
	v_cndmask_b32_e64 v19, v25, 0, s4
	v_cndmask_b32_e64 v26, v26, 0x7ff00000, s4
	s_delay_alu instid0(VALU_DEP_1)
	v_cndmask_b32_e32 v26, 0x7ff80000, v26, vcc_lo
	s_and_b32 vcc_lo, s2, s1
	v_cndmask_b32_e32 v25, v7, v6, vcc_lo
	v_cndmask_b32_e64 v22, 0, v19, s0
	v_cmp_neq_f64_e64 s0, 0, v[23:24]
	v_cndmask_b32_e32 v24, v27, v31, vcc_lo
	s_delay_alu instid0(VALU_DEP_2)
	v_cndmask_b32_e64 v23, 0xfff00000, v26, s0
.LBB198_189:                            ;   in Loop: Header=BB198_162 Depth=1
	s_or_b32 exec_lo, exec_lo, s3
.LBB198_190:                            ;   in Loop: Header=BB198_162 Depth=1
	s_and_not1_saveexec_b32 s0, s94
	s_cbranch_execz .LBB198_196
; %bb.191:                              ;   in Loop: Header=BB198_162 Depth=1
	v_cmp_ngt_f64_e64 s1, 0x20000000, |v[6:7]|
	v_cmp_ngt_f64_e64 s2, 0x20000000, |v[8:9]|
                                        ; implicit-def: $vgpr26_vgpr27
	s_delay_alu instid0(VALU_DEP_1) | instskip(NEXT) | instid1(SALU_CYCLE_1)
	s_or_b32 s1, s1, s2
	s_and_saveexec_b32 s2, s1
	s_delay_alu instid0(SALU_CYCLE_1)
	s_xor_b32 s1, exec_lo, s2
; %bb.192:                              ;   in Loop: Header=BB198_162 Depth=1
	v_mul_f64 v[22:23], v[8:9], v[8:9]
	s_delay_alu instid0(VALU_DEP_1)
	v_fma_f64 v[26:27], v[6:7], v[6:7], v[22:23]
; %bb.193:                              ;   in Loop: Header=BB198_162 Depth=1
	s_and_not1_saveexec_b32 s1, s1
; %bb.194:                              ;   in Loop: Header=BB198_162 Depth=1
	v_mul_f64 v[22:23], v[8:9], 4.0
	v_mul_f64 v[6:7], v[6:7], 4.0
	s_delay_alu instid0(VALU_DEP_2) | instskip(NEXT) | instid1(VALU_DEP_1)
	v_mul_f64 v[22:23], v[22:23], v[22:23]
	v_fma_f64 v[6:7], v[6:7], v[6:7], v[22:23]
	s_delay_alu instid0(VALU_DEP_1)
	v_ldexp_f64 v[26:27], v[6:7], -4
; %bb.195:                              ;   in Loop: Header=BB198_162 Depth=1
	s_or_b32 exec_lo, exec_lo, s1
	s_delay_alu instid0(VALU_DEP_1) | instskip(SKIP_2) | instid1(VALU_DEP_2)
	v_frexp_mant_f64_e32 v[6:7], v[26:27]
	s_mov_b32 s91, s21
	v_frexp_exp_i32_f64_e32 v8, v[26:27]
	v_cmp_gt_f64_e32 vcc_lo, s[20:21], v[6:7]
	v_cndmask_b32_e64 v19, 0x3ff00000, 2.0, vcc_lo
	s_delay_alu instid0(VALU_DEP_3) | instskip(SKIP_1) | instid1(VALU_DEP_3)
	v_subrev_co_ci_u32_e32 v8, vcc_lo, 0, v8, vcc_lo
	v_cmp_class_f64_e64 vcc_lo, v[26:27], 0x204
	v_mul_f64 v[6:7], v[6:7], v[18:19]
	s_delay_alu instid0(VALU_DEP_1) | instskip(SKIP_1) | instid1(VALU_DEP_2)
	v_add_f64 v[22:23], v[6:7], 1.0
	v_add_f64 v[30:31], v[6:7], -1.0
	v_rcp_f64_e32 v[24:25], v[22:23]
	v_add_f64 v[32:33], v[22:23], -1.0
	s_delay_alu instid0(VALU_DEP_1) | instskip(SKIP_2) | instid1(VALU_DEP_1)
	v_add_f64 v[6:7], v[6:7], -v[32:33]
	s_waitcnt_depctr 0xfff
	v_fma_f64 v[28:29], -v[22:23], v[24:25], 1.0
	v_fma_f64 v[24:25], v[28:29], v[24:25], v[24:25]
	s_delay_alu instid0(VALU_DEP_1) | instskip(NEXT) | instid1(VALU_DEP_1)
	v_fma_f64 v[28:29], -v[22:23], v[24:25], 1.0
	v_fma_f64 v[24:25], v[28:29], v[24:25], v[24:25]
	s_delay_alu instid0(VALU_DEP_1) | instskip(NEXT) | instid1(VALU_DEP_1)
	v_mul_f64 v[28:29], v[30:31], v[24:25]
	v_mul_f64 v[34:35], v[22:23], v[28:29]
	s_delay_alu instid0(VALU_DEP_1) | instskip(NEXT) | instid1(VALU_DEP_1)
	v_fma_f64 v[22:23], v[28:29], v[22:23], -v[34:35]
	v_fma_f64 v[6:7], v[28:29], v[6:7], v[22:23]
	s_delay_alu instid0(VALU_DEP_1) | instskip(NEXT) | instid1(VALU_DEP_1)
	v_add_f64 v[22:23], v[34:35], v[6:7]
	v_add_f64 v[32:33], v[30:31], -v[22:23]
	v_add_f64 v[34:35], v[22:23], -v[34:35]
	s_delay_alu instid0(VALU_DEP_2) | instskip(NEXT) | instid1(VALU_DEP_2)
	v_add_f64 v[30:31], v[30:31], -v[32:33]
	v_add_f64 v[6:7], v[34:35], -v[6:7]
	s_delay_alu instid0(VALU_DEP_2) | instskip(NEXT) | instid1(VALU_DEP_1)
	v_add_f64 v[22:23], v[30:31], -v[22:23]
	v_add_f64 v[6:7], v[6:7], v[22:23]
	s_delay_alu instid0(VALU_DEP_1) | instskip(NEXT) | instid1(VALU_DEP_1)
	v_add_f64 v[6:7], v[32:33], v[6:7]
	v_mul_f64 v[6:7], v[24:25], v[6:7]
	s_delay_alu instid0(VALU_DEP_1) | instskip(NEXT) | instid1(VALU_DEP_1)
	v_add_f64 v[22:23], v[28:29], v[6:7]
	v_mul_f64 v[24:25], v[22:23], v[22:23]
	s_delay_alu instid0(VALU_DEP_1) | instskip(SKIP_1) | instid1(VALU_DEP_2)
	v_fma_f64 v[30:31], v[24:25], s[24:25], s[22:23]
	v_mul_f64 v[32:33], v[22:23], v[24:25]
	v_fma_f64 v[30:31], v[24:25], v[30:31], s[26:27]
	s_delay_alu instid0(VALU_DEP_1) | instskip(NEXT) | instid1(VALU_DEP_1)
	v_fma_f64 v[30:31], v[24:25], v[30:31], s[28:29]
	v_fma_f64 v[30:31], v[24:25], v[30:31], s[30:31]
	s_delay_alu instid0(VALU_DEP_1) | instskip(NEXT) | instid1(VALU_DEP_1)
	v_fma_f64 v[30:31], v[24:25], v[30:31], s[34:35]
	v_fma_f64 v[24:25], v[24:25], v[30:31], s[90:91]
	v_ldexp_f64 v[30:31], v[22:23], 1
	v_add_f64 v[22:23], v[22:23], -v[28:29]
	s_delay_alu instid0(VALU_DEP_3) | instskip(SKIP_1) | instid1(VALU_DEP_3)
	v_mul_f64 v[24:25], v[32:33], v[24:25]
	v_cvt_f64_i32_e32 v[32:33], v8
	v_add_f64 v[6:7], v[6:7], -v[22:23]
	s_delay_alu instid0(VALU_DEP_3) | instskip(NEXT) | instid1(VALU_DEP_3)
	v_add_f64 v[28:29], v[30:31], v[24:25]
	v_mul_f64 v[34:35], v[32:33], s[36:37]
	s_delay_alu instid0(VALU_DEP_3) | instskip(NEXT) | instid1(VALU_DEP_3)
	v_ldexp_f64 v[6:7], v[6:7], 1
	v_add_f64 v[22:23], v[28:29], -v[30:31]
	s_delay_alu instid0(VALU_DEP_3) | instskip(NEXT) | instid1(VALU_DEP_2)
	v_fma_f64 v[30:31], v[32:33], s[36:37], -v[34:35]
	v_add_f64 v[22:23], v[24:25], -v[22:23]
	s_delay_alu instid0(VALU_DEP_2) | instskip(NEXT) | instid1(VALU_DEP_2)
	v_fma_f64 v[24:25], v[32:33], s[38:39], v[30:31]
	v_add_f64 v[6:7], v[6:7], v[22:23]
	s_delay_alu instid0(VALU_DEP_2) | instskip(NEXT) | instid1(VALU_DEP_2)
	v_add_f64 v[22:23], v[34:35], v[24:25]
	v_add_f64 v[30:31], v[28:29], v[6:7]
	s_delay_alu instid0(VALU_DEP_2) | instskip(NEXT) | instid1(VALU_DEP_2)
	v_add_f64 v[34:35], v[22:23], -v[34:35]
	v_add_f64 v[32:33], v[22:23], v[30:31]
	v_add_f64 v[28:29], v[30:31], -v[28:29]
	s_delay_alu instid0(VALU_DEP_3) | instskip(NEXT) | instid1(VALU_DEP_3)
	v_add_f64 v[24:25], v[24:25], -v[34:35]
	v_add_f64 v[36:37], v[32:33], -v[22:23]
	s_delay_alu instid0(VALU_DEP_3) | instskip(NEXT) | instid1(VALU_DEP_2)
	v_add_f64 v[6:7], v[6:7], -v[28:29]
	v_add_f64 v[38:39], v[32:33], -v[36:37]
	;; [unrolled: 1-line block ×3, first 2 shown]
	s_delay_alu instid0(VALU_DEP_3) | instskip(NEXT) | instid1(VALU_DEP_3)
	v_add_f64 v[30:31], v[24:25], v[6:7]
	v_add_f64 v[22:23], v[22:23], -v[38:39]
	s_delay_alu instid0(VALU_DEP_1) | instskip(NEXT) | instid1(VALU_DEP_3)
	v_add_f64 v[22:23], v[28:29], v[22:23]
	v_add_f64 v[28:29], v[30:31], -v[24:25]
	s_delay_alu instid0(VALU_DEP_2) | instskip(NEXT) | instid1(VALU_DEP_2)
	v_add_f64 v[22:23], v[30:31], v[22:23]
	v_add_f64 v[30:31], v[30:31], -v[28:29]
	v_add_f64 v[6:7], v[6:7], -v[28:29]
	s_delay_alu instid0(VALU_DEP_3) | instskip(NEXT) | instid1(VALU_DEP_3)
	v_add_f64 v[34:35], v[32:33], v[22:23]
	v_add_f64 v[24:25], v[24:25], -v[30:31]
	s_delay_alu instid0(VALU_DEP_2) | instskip(NEXT) | instid1(VALU_DEP_2)
	v_add_f64 v[28:29], v[34:35], -v[32:33]
	v_add_f64 v[6:7], v[6:7], v[24:25]
	v_mov_b32_e32 v24, 0
	v_mov_b32_e32 v25, 0x7ff80000
	s_delay_alu instid0(VALU_DEP_4) | instskip(NEXT) | instid1(VALU_DEP_1)
	v_add_f64 v[22:23], v[22:23], -v[28:29]
	v_add_f64 v[6:7], v[6:7], v[22:23]
	s_delay_alu instid0(VALU_DEP_1) | instskip(NEXT) | instid1(VALU_DEP_1)
	v_add_f64 v[6:7], v[34:35], v[6:7]
	v_dual_cndmask_b32 v6, v6, v26 :: v_dual_cndmask_b32 v7, v7, v27
	v_cmp_ngt_f64_e32 vcc_lo, 0, v[26:27]
	s_delay_alu instid0(VALU_DEP_2) | instskip(SKIP_1) | instid1(VALU_DEP_4)
	v_cndmask_b32_e32 v7, 0x7ff80000, v7, vcc_lo
	v_cmp_nge_f64_e32 vcc_lo, 0, v[26:27]
	v_cndmask_b32_e32 v22, 0, v6, vcc_lo
	v_cmp_neq_f64_e32 vcc_lo, 0, v[26:27]
	s_delay_alu instid0(VALU_DEP_4)
	v_cndmask_b32_e32 v23, 0xfff00000, v7, vcc_lo
.LBB198_196:                            ;   in Loop: Header=BB198_162 Depth=1
	s_or_b32 exec_lo, exec_lo, s0
                                        ; implicit-def: $vgpr6_vgpr7
                                        ; implicit-def: $vgpr26_vgpr27
	s_delay_alu instid0(SALU_CYCLE_1)
	s_mov_b32 s0, exec_lo
	s_waitcnt vmcnt(2)
	v_cmpx_o_f64_e32 v[10:11], v[12:13]
	s_xor_b32 s94, exec_lo, s0
	s_cbranch_execz .LBB198_224
; %bb.197:                              ;   in Loop: Header=BB198_162 Depth=1
	v_cmp_lt_f64_e64 s0, |v[10:11]|, |v[12:13]|
	v_and_b32_e32 v8, 0x7fffffff, v11
	v_dual_mov_b32 v28, v12 :: v_dual_and_b32 v19, 0x7fffffff, v13
                                        ; implicit-def: $vgpr6_vgpr7
                                        ; implicit-def: $vgpr26_vgpr27
	s_mov_b32 s1, exec_lo
	s_delay_alu instid0(VALU_DEP_1) | instskip(NEXT) | instid1(VALU_DEP_2)
	v_cndmask_b32_e64 v31, v19, v8, s0
	v_cndmask_b32_e64 v30, v28, v10, s0
	s_delay_alu instid0(VALU_DEP_1)
	v_cmpx_nlt_f64_e32 s[12:13], v[30:31]
	s_xor_b32 s95, exec_lo, s1
	s_cbranch_execz .LBB198_221
; %bb.198:                              ;   in Loop: Header=BB198_162 Depth=1
	v_cndmask_b32_e64 v33, v8, v19, s0
	v_cndmask_b32_e64 v32, v10, v28, s0
                                        ; implicit-def: $vgpr6_vgpr7
                                        ; implicit-def: $vgpr26_vgpr27
	s_mov_b32 s1, exec_lo
	s_delay_alu instid0(VALU_DEP_1)
	v_cmpx_neq_f64_e32 1.0, v[32:33]
	s_xor_b32 s96, exec_lo, s1
	s_cbranch_execz .LBB198_214
; %bb.199:                              ;   in Loop: Header=BB198_162 Depth=1
	v_max_f64 v[6:7], v[30:31], v[30:31]
	v_max_f64 v[26:27], v[32:33], v[32:33]
	s_delay_alu instid0(VALU_DEP_1) | instskip(SKIP_1) | instid1(VALU_DEP_2)
	v_min_f64 v[28:29], v[26:27], v[6:7]
	v_max_f64 v[6:7], v[26:27], v[6:7]
                                        ; implicit-def: $vgpr26_vgpr27
	v_cmp_ngt_f64_e32 vcc_lo, s[14:15], v[28:29]
	s_delay_alu instid0(VALU_DEP_2) | instskip(NEXT) | instid1(VALU_DEP_1)
	v_cmp_nlt_f64_e64 s1, s[16:17], v[6:7]
                                        ; implicit-def: $vgpr6_vgpr7
	s_and_b32 s1, s1, vcc_lo
	s_delay_alu instid0(SALU_CYCLE_1) | instskip(NEXT) | instid1(SALU_CYCLE_1)
	s_and_saveexec_b32 s2, s1
	s_xor_b32 s97, exec_lo, s2
	s_cbranch_execz .LBB198_211
; %bb.200:                              ;   in Loop: Header=BB198_162 Depth=1
                                        ; implicit-def: $vgpr6_vgpr7
                                        ; implicit-def: $vgpr26_vgpr27
	s_mov_b32 s1, exec_lo
	v_cmpx_le_f64_e32 1.0, v[32:33]
	s_xor_b32 s2, exec_lo, s1
	s_cbranch_execz .LBB198_202
; %bb.201:                              ;   in Loop: Header=BB198_162 Depth=1
	v_add_f64 v[6:7], v[32:33], -1.0
	v_add_f64 v[26:27], v[32:33], 1.0
	s_mov_b32 s91, s21
	s_mov_b32 s10, s80
	v_cmp_gt_i32_e64 s1, 0, v11
	v_cmp_class_f64_e64 s4, v[10:11], 0x204
	v_cmp_class_f64_e64 s3, v[12:13], 0x204
	s_delay_alu instid0(VALU_DEP_4) | instskip(NEXT) | instid1(VALU_DEP_1)
	v_mul_f64 v[6:7], v[6:7], v[26:27]
	v_fma_f64 v[7:8], v[30:31], v[30:31], v[6:7]
	s_delay_alu instid0(VALU_DEP_1) | instskip(NEXT) | instid1(VALU_DEP_1)
	v_add_f64 v[26:27], v[7:8], 1.0
	v_frexp_mant_f64_e32 v[28:29], v[26:27]
	v_frexp_exp_i32_f64_e32 v6, v[26:27]
	v_add_f64 v[30:31], v[26:27], -1.0
	s_delay_alu instid0(VALU_DEP_3) | instskip(NEXT) | instid1(VALU_DEP_2)
	v_cmp_gt_f64_e32 vcc_lo, s[20:21], v[28:29]
	v_add_f64 v[28:29], v[30:31], -v[26:27]
	v_add_f64 v[30:31], v[7:8], -v[30:31]
	v_subrev_co_ci_u32_e32 v6, vcc_lo, 0, v6, vcc_lo
	s_delay_alu instid0(VALU_DEP_3) | instskip(NEXT) | instid1(VALU_DEP_2)
	v_add_f64 v[28:29], v[28:29], 1.0
	v_sub_nc_u32_e32 v19, 0, v6
	s_delay_alu instid0(VALU_DEP_1) | instskip(NEXT) | instid1(VALU_DEP_3)
	v_ldexp_f64 v[26:27], v[26:27], v19
	v_add_f64 v[28:29], v[30:31], v[28:29]
	s_delay_alu instid0(VALU_DEP_2) | instskip(SKIP_1) | instid1(VALU_DEP_3)
	v_add_f64 v[32:33], v[26:27], 1.0
	v_add_f64 v[38:39], v[26:27], -1.0
	v_ldexp_f64 v[28:29], v[28:29], v19
	v_cndmask_b32_e64 v19, 0x54442d18, v54, s1
	s_delay_alu instid0(VALU_DEP_4) | instskip(NEXT) | instid1(VALU_DEP_4)
	v_add_f64 v[30:31], v[32:33], -1.0
	v_add_f64 v[40:41], v[38:39], 1.0
	s_delay_alu instid0(VALU_DEP_2) | instskip(NEXT) | instid1(VALU_DEP_2)
	v_add_f64 v[30:31], v[26:27], -v[30:31]
	v_add_f64 v[26:27], v[26:27], -v[40:41]
	s_delay_alu instid0(VALU_DEP_2) | instskip(NEXT) | instid1(VALU_DEP_2)
	v_add_f64 v[30:31], v[28:29], v[30:31]
	v_add_f64 v[26:27], v[28:29], v[26:27]
	s_delay_alu instid0(VALU_DEP_2) | instskip(NEXT) | instid1(VALU_DEP_2)
	v_add_f64 v[34:35], v[32:33], v[30:31]
	v_add_f64 v[40:41], v[38:39], v[26:27]
	s_delay_alu instid0(VALU_DEP_2) | instskip(SKIP_1) | instid1(VALU_DEP_2)
	v_rcp_f64_e32 v[36:37], v[34:35]
	v_add_f64 v[32:33], v[34:35], -v[32:33]
	v_add_f64 v[38:39], v[40:41], -v[38:39]
	s_delay_alu instid0(VALU_DEP_2) | instskip(SKIP_3) | instid1(VALU_DEP_2)
	v_add_f64 v[30:31], v[30:31], -v[32:33]
	s_waitcnt_depctr 0xfff
	v_fma_f64 v[42:43], -v[34:35], v[36:37], 1.0
	v_add_f64 v[26:27], v[26:27], -v[38:39]
	v_fma_f64 v[36:37], v[42:43], v[36:37], v[36:37]
	s_delay_alu instid0(VALU_DEP_1) | instskip(NEXT) | instid1(VALU_DEP_1)
	v_fma_f64 v[28:29], -v[34:35], v[36:37], 1.0
	v_fma_f64 v[28:29], v[28:29], v[36:37], v[36:37]
	s_delay_alu instid0(VALU_DEP_1) | instskip(NEXT) | instid1(VALU_DEP_1)
	v_mul_f64 v[36:37], v[40:41], v[28:29]
	v_mul_f64 v[42:43], v[34:35], v[36:37]
	s_delay_alu instid0(VALU_DEP_1) | instskip(NEXT) | instid1(VALU_DEP_1)
	v_fma_f64 v[32:33], v[36:37], v[34:35], -v[42:43]
	v_fma_f64 v[32:33], v[36:37], v[30:31], v[32:33]
	s_delay_alu instid0(VALU_DEP_1) | instskip(NEXT) | instid1(VALU_DEP_1)
	v_add_f64 v[44:45], v[42:43], v[32:33]
	v_add_f64 v[46:47], v[40:41], -v[44:45]
	v_add_f64 v[38:39], v[44:45], -v[42:43]
	v_max_f64 v[42:43], |v[12:13]|, |v[12:13]|
	s_delay_alu instid0(VALU_DEP_3) | instskip(NEXT) | instid1(VALU_DEP_3)
	v_add_f64 v[40:41], v[40:41], -v[46:47]
	v_add_f64 v[32:33], v[38:39], -v[32:33]
	s_delay_alu instid0(VALU_DEP_2) | instskip(SKIP_2) | instid1(VALU_DEP_1)
	v_add_f64 v[40:41], v[40:41], -v[44:45]
	v_max_f64 v[44:45], |v[10:11]|, |v[10:11]|
	v_cndmask_b32_e64 v10, 0x3fe921fb, v55, s1
	v_bfi_b32 v10, 0x7fffffff, v10, v13
	s_delay_alu instid0(VALU_DEP_4) | instskip(NEXT) | instid1(VALU_DEP_4)
	v_add_f64 v[26:27], v[26:27], v[40:41]
	v_max_f64 v[48:49], v[44:45], v[42:43]
	v_min_f64 v[42:43], v[44:45], v[42:43]
	s_delay_alu instid0(VALU_DEP_3) | instskip(NEXT) | instid1(VALU_DEP_1)
	v_add_f64 v[26:27], v[32:33], v[26:27]
	v_add_f64 v[32:33], v[46:47], v[26:27]
	s_delay_alu instid0(VALU_DEP_1) | instskip(SKIP_1) | instid1(VALU_DEP_2)
	v_mul_f64 v[38:39], v[28:29], v[32:33]
	v_add_f64 v[46:47], v[46:47], -v[32:33]
	v_mul_f64 v[40:41], v[34:35], v[38:39]
	s_delay_alu instid0(VALU_DEP_2) | instskip(NEXT) | instid1(VALU_DEP_2)
	v_add_f64 v[26:27], v[26:27], v[46:47]
	v_fma_f64 v[34:35], v[38:39], v[34:35], -v[40:41]
	s_delay_alu instid0(VALU_DEP_1) | instskip(SKIP_1) | instid1(VALU_DEP_2)
	v_fma_f64 v[30:31], v[38:39], v[30:31], v[34:35]
	v_div_scale_f64 v[34:35], null, v[48:49], v[48:49], v[42:43]
	v_add_f64 v[44:45], v[40:41], v[30:31]
	s_delay_alu instid0(VALU_DEP_2) | instskip(NEXT) | instid1(VALU_DEP_1)
	v_rcp_f64_e32 v[50:51], v[34:35]
	v_add_f64 v[52:53], v[32:33], -v[44:45]
	v_add_f64 v[40:41], v[44:45], -v[40:41]
	s_waitcnt_depctr 0xfff
	v_fma_f64 v[56:57], -v[34:35], v[50:51], 1.0
	v_add_f64 v[32:33], v[32:33], -v[52:53]
	v_add_f64 v[30:31], v[40:41], -v[30:31]
	s_delay_alu instid0(VALU_DEP_3) | instskip(NEXT) | instid1(VALU_DEP_3)
	v_fma_f64 v[50:51], v[50:51], v[56:57], v[50:51]
	v_add_f64 v[32:33], v[32:33], -v[44:45]
	s_delay_alu instid0(VALU_DEP_2) | instskip(NEXT) | instid1(VALU_DEP_2)
	v_fma_f64 v[44:45], -v[34:35], v[50:51], 1.0
	v_add_f64 v[26:27], v[26:27], v[32:33]
	v_div_scale_f64 v[32:33], vcc_lo, v[42:43], v[48:49], v[42:43]
	s_delay_alu instid0(VALU_DEP_3) | instskip(SKIP_1) | instid1(VALU_DEP_4)
	v_fma_f64 v[40:41], v[50:51], v[44:45], v[50:51]
	v_add_f64 v[44:45], v[36:37], v[38:39]
	v_add_f64 v[26:27], v[30:31], v[26:27]
	s_delay_alu instid0(VALU_DEP_3) | instskip(NEXT) | instid1(VALU_DEP_3)
	v_mul_f64 v[30:31], v[32:33], v[40:41]
	v_add_f64 v[36:37], v[44:45], -v[36:37]
	s_delay_alu instid0(VALU_DEP_3) | instskip(NEXT) | instid1(VALU_DEP_3)
	v_add_f64 v[26:27], v[52:53], v[26:27]
	v_fma_f64 v[32:33], -v[34:35], v[30:31], v[32:33]
	s_delay_alu instid0(VALU_DEP_3) | instskip(NEXT) | instid1(VALU_DEP_3)
	v_add_f64 v[34:35], v[38:39], -v[36:37]
	v_mul_f64 v[26:27], v[28:29], v[26:27]
	s_delay_alu instid0(VALU_DEP_3) | instskip(SKIP_1) | instid1(VALU_DEP_3)
	v_div_fmas_f64 v[28:29], v[32:33], v[40:41], v[30:31]
	v_cmp_eq_f64_e32 vcc_lo, 0x7ff00000, v[7:8]
	v_add_f64 v[26:27], v[34:35], v[26:27]
	s_delay_alu instid0(VALU_DEP_3) | instskip(NEXT) | instid1(VALU_DEP_2)
	v_div_fixup_f64 v[28:29], v[28:29], v[48:49], v[42:43]
	v_add_f64 v[30:31], v[44:45], v[26:27]
	s_delay_alu instid0(VALU_DEP_2) | instskip(NEXT) | instid1(VALU_DEP_2)
	v_mul_f64 v[32:33], v[28:29], v[28:29]
	v_mul_f64 v[34:35], v[30:31], v[30:31]
	s_delay_alu instid0(VALU_DEP_2) | instskip(NEXT) | instid1(VALU_DEP_2)
	v_fma_f64 v[36:37], v[32:33], s[42:43], s[40:41]
	v_fma_f64 v[38:39], v[34:35], s[24:25], s[22:23]
	v_mul_f64 v[40:41], v[30:31], v[34:35]
	s_delay_alu instid0(VALU_DEP_3) | instskip(NEXT) | instid1(VALU_DEP_3)
	v_fma_f64 v[36:37], v[32:33], v[36:37], s[44:45]
	v_fma_f64 v[38:39], v[34:35], v[38:39], s[26:27]
	s_delay_alu instid0(VALU_DEP_2) | instskip(NEXT) | instid1(VALU_DEP_2)
	v_fma_f64 v[36:37], v[32:33], v[36:37], s[46:47]
	v_fma_f64 v[38:39], v[34:35], v[38:39], s[28:29]
	s_delay_alu instid0(VALU_DEP_2) | instskip(NEXT) | instid1(VALU_DEP_2)
	;; [unrolled: 3-line block ×4, first 2 shown]
	v_fma_f64 v[36:37], v[32:33], v[36:37], s[52:53]
	v_fma_f64 v[34:35], v[34:35], v[38:39], s[90:91]
	v_ldexp_f64 v[38:39], v[30:31], 1
	v_add_f64 v[30:31], v[30:31], -v[44:45]
	s_delay_alu instid0(VALU_DEP_4) | instskip(NEXT) | instid1(VALU_DEP_4)
	v_fma_f64 v[36:37], v[32:33], v[36:37], s[54:55]
	v_mul_f64 v[34:35], v[40:41], v[34:35]
	v_cvt_f64_i32_e32 v[40:41], v6
	s_delay_alu instid0(VALU_DEP_4) | instskip(NEXT) | instid1(VALU_DEP_4)
	v_add_f64 v[26:27], v[26:27], -v[30:31]
	v_fma_f64 v[36:37], v[32:33], v[36:37], s[56:57]
	v_ashrrev_i32_e32 v6, 31, v11
	v_add_f64 v[42:43], v[38:39], v[34:35]
	v_mul_f64 v[44:45], v[40:41], s[36:37]
	v_ldexp_f64 v[26:27], v[26:27], 1
	v_fma_f64 v[36:37], v[32:33], v[36:37], s[58:59]
	s_delay_alu instid0(VALU_DEP_4) | instskip(NEXT) | instid1(VALU_DEP_4)
	v_add_f64 v[30:31], v[42:43], -v[38:39]
	v_fma_f64 v[38:39], v[40:41], s[36:37], -v[44:45]
	s_delay_alu instid0(VALU_DEP_3) | instskip(NEXT) | instid1(VALU_DEP_3)
	v_fma_f64 v[36:37], v[32:33], v[36:37], s[60:61]
	v_add_f64 v[30:31], v[34:35], -v[30:31]
	s_delay_alu instid0(VALU_DEP_2) | instskip(NEXT) | instid1(VALU_DEP_4)
	v_fma_f64 v[34:35], v[32:33], v[36:37], s[62:63]
	v_fma_f64 v[36:37], v[40:41], s[38:39], v[38:39]
	s_delay_alu instid0(VALU_DEP_3) | instskip(NEXT) | instid1(VALU_DEP_3)
	v_add_f64 v[26:27], v[26:27], v[30:31]
	v_fma_f64 v[30:31], v[32:33], v[34:35], s[64:65]
	s_delay_alu instid0(VALU_DEP_3) | instskip(NEXT) | instid1(VALU_DEP_3)
	v_add_f64 v[34:35], v[44:45], v[36:37]
	v_add_f64 v[38:39], v[42:43], v[26:27]
	s_delay_alu instid0(VALU_DEP_3) | instskip(NEXT) | instid1(VALU_DEP_3)
	v_fma_f64 v[30:31], v[32:33], v[30:31], s[66:67]
	v_add_f64 v[44:45], v[34:35], -v[44:45]
	s_delay_alu instid0(VALU_DEP_3) | instskip(SKIP_1) | instid1(VALU_DEP_4)
	v_add_f64 v[40:41], v[34:35], v[38:39]
	v_add_f64 v[42:43], v[38:39], -v[42:43]
	v_fma_f64 v[30:31], v[32:33], v[30:31], s[68:69]
	s_delay_alu instid0(VALU_DEP_4) | instskip(NEXT) | instid1(VALU_DEP_4)
	v_add_f64 v[36:37], v[36:37], -v[44:45]
	v_add_f64 v[46:47], v[40:41], -v[34:35]
	s_delay_alu instid0(VALU_DEP_4) | instskip(NEXT) | instid1(VALU_DEP_4)
	v_add_f64 v[26:27], v[26:27], -v[42:43]
	v_fma_f64 v[30:31], v[32:33], v[30:31], s[70:71]
	s_delay_alu instid0(VALU_DEP_3) | instskip(SKIP_1) | instid1(VALU_DEP_4)
	v_add_f64 v[48:49], v[40:41], -v[46:47]
	v_add_f64 v[38:39], v[38:39], -v[46:47]
	v_add_f64 v[42:43], v[36:37], v[26:27]
	s_delay_alu instid0(VALU_DEP_4) | instskip(NEXT) | instid1(VALU_DEP_4)
	v_fma_f64 v[30:31], v[32:33], v[30:31], s[72:73]
	v_add_f64 v[34:35], v[34:35], -v[48:49]
	s_delay_alu instid0(VALU_DEP_2) | instskip(NEXT) | instid1(VALU_DEP_2)
	v_fma_f64 v[30:31], v[32:33], v[30:31], s[74:75]
	v_add_f64 v[34:35], v[38:39], v[34:35]
	v_add_f64 v[38:39], v[42:43], -v[36:37]
	s_delay_alu instid0(VALU_DEP_3) | instskip(NEXT) | instid1(VALU_DEP_3)
	v_fma_f64 v[30:31], v[32:33], v[30:31], s[76:77]
	v_add_f64 v[34:35], v[42:43], v[34:35]
	s_delay_alu instid0(VALU_DEP_3) | instskip(SKIP_1) | instid1(VALU_DEP_4)
	v_add_f64 v[42:43], v[42:43], -v[38:39]
	v_add_f64 v[26:27], v[26:27], -v[38:39]
	v_fma_f64 v[30:31], v[32:33], v[30:31], s[78:79]
	s_delay_alu instid0(VALU_DEP_4) | instskip(NEXT) | instid1(VALU_DEP_2)
	v_add_f64 v[44:45], v[40:41], v[34:35]
	v_mul_f64 v[30:31], v[32:33], v[30:31]
	v_add_f64 v[32:33], v[36:37], -v[42:43]
	s_delay_alu instid0(VALU_DEP_3) | instskip(NEXT) | instid1(VALU_DEP_3)
	v_add_f64 v[36:37], v[44:45], -v[40:41]
	v_fma_f64 v[28:29], v[28:29], v[30:31], v[28:29]
	s_delay_alu instid0(VALU_DEP_3) | instskip(NEXT) | instid1(VALU_DEP_3)
	v_add_f64 v[26:27], v[26:27], v[32:33]
	v_add_f64 v[30:31], v[34:35], -v[36:37]
	s_delay_alu instid0(VALU_DEP_3) | instskip(NEXT) | instid1(VALU_DEP_2)
	v_add_f64 v[32:33], -v[28:29], s[80:81]
	v_add_f64 v[26:27], v[26:27], v[30:31]
	s_delay_alu instid0(VALU_DEP_2) | instskip(NEXT) | instid1(VALU_DEP_3)
	v_cndmask_b32_e64 v29, v29, v33, s0
	v_cndmask_b32_e64 v28, v28, v32, s0
	s_delay_alu instid0(VALU_DEP_1) | instskip(NEXT) | instid1(VALU_DEP_4)
	v_add_f64 v[30:31], -v[28:29], s[10:11]
	v_add_f64 v[26:27], v[44:45], v[26:27]
	v_and_b32_e32 v32, 0x54442d18, v6
	v_and_b32_e32 v6, 0x400921fb, v6
	s_delay_alu instid0(VALU_DEP_4) | instskip(SKIP_4) | instid1(VALU_DEP_2)
	v_cndmask_b32_e64 v28, v28, v30, s1
	v_cndmask_b32_e64 v11, v29, v31, s1
	v_cmp_nge_f64_e64 s1, -1.0, v[7:8]
                                        ; implicit-def: $vgpr30_vgpr31
	v_dual_cndmask_b32 v27, v27, v8 :: v_dual_cndmask_b32 v26, v26, v7
	v_cmp_eq_f64_e32 vcc_lo, 0, v[12:13]
	v_mul_f64 v[26:27], v[26:27], 0.5
	v_cndmask_b32_e32 v6, v11, v6, vcc_lo
	v_cndmask_b32_e32 v28, v28, v32, vcc_lo
	v_cmp_ngt_f64_e32 vcc_lo, -1.0, v[7:8]
                                        ; implicit-def: $vgpr32_vgpr33
	s_delay_alu instid0(VALU_DEP_4)
	v_cndmask_b32_e32 v11, 0x7ff80000, v27, vcc_lo
	s_and_b32 vcc_lo, s4, s3
	v_cndmask_b32_e32 v27, v6, v10, vcc_lo
	v_cndmask_b32_e64 v6, 0, v26, s1
	v_cmp_neq_f64_e64 s1, -1.0, v[7:8]
	v_cndmask_b32_e32 v26, v28, v19, vcc_lo
	s_delay_alu instid0(VALU_DEP_2)
	v_cndmask_b32_e64 v7, 0xfff00000, v11, s1
.LBB198_202:                            ;   in Loop: Header=BB198_162 Depth=1
	s_and_not1_saveexec_b32 s98, s2
	s_cbranch_execz .LBB198_210
; %bb.203:                              ;   in Loop: Header=BB198_162 Depth=1
	v_mul_f64 v[6:7], v[30:31], v[30:31]
                                        ; implicit-def: $vgpr26_vgpr27
	s_mov_b32 s1, exec_lo
	s_delay_alu instid0(VALU_DEP_1) | instskip(NEXT) | instid1(VALU_DEP_1)
	v_fma_f64 v[28:29], v[32:33], v[32:33], v[6:7]
                                        ; implicit-def: $vgpr6_vgpr7
	v_cmpx_ge_f64_e32 s[82:83], v[28:29]
	s_xor_b32 s3, exec_lo, s1
	s_cbranch_execz .LBB198_205
; %bb.204:                              ;   in Loop: Header=BB198_162 Depth=1
	v_frexp_mant_f64_e32 v[6:7], v[28:29]
	v_max_f64 v[36:37], |v[10:11]|, |v[10:11]|
	s_mov_b32 s91, s21
	v_frexp_exp_i32_f64_e32 v8, v[28:29]
	s_mov_b32 s10, s80
	v_cmp_class_f64_e64 s4, v[12:13], 0x204
	v_cmp_class_f64_e64 s5, v[10:11], 0x204
	v_cmp_neq_f64_e64 s2, 0, v[28:29]
	v_cmp_gt_f64_e64 s1, s[20:21], v[6:7]
	s_delay_alu instid0(VALU_DEP_1) | instskip(NEXT) | instid1(VALU_DEP_1)
	v_cndmask_b32_e64 v19, 0x3ff00000, 2.0, s1
	v_mul_f64 v[6:7], v[6:7], v[18:19]
	s_delay_alu instid0(VALU_DEP_1) | instskip(SKIP_1) | instid1(VALU_DEP_2)
	v_add_f64 v[26:27], v[6:7], 1.0
	v_add_f64 v[34:35], v[6:7], -1.0
	v_rcp_f64_e32 v[30:31], v[26:27]
	s_waitcnt_depctr 0xfff
	v_fma_f64 v[32:33], -v[26:27], v[30:31], 1.0
	s_delay_alu instid0(VALU_DEP_1) | instskip(NEXT) | instid1(VALU_DEP_1)
	v_fma_f64 v[30:31], v[32:33], v[30:31], v[30:31]
	v_fma_f64 v[32:33], -v[26:27], v[30:31], 1.0
	s_delay_alu instid0(VALU_DEP_1) | instskip(SKIP_1) | instid1(VALU_DEP_2)
	v_fma_f64 v[30:31], v[32:33], v[30:31], v[30:31]
	v_max_f64 v[32:33], |v[12:13]|, |v[12:13]|
	v_mul_f64 v[38:39], v[34:35], v[30:31]
	s_delay_alu instid0(VALU_DEP_2) | instskip(SKIP_2) | instid1(VALU_DEP_4)
	v_max_f64 v[40:41], v[36:37], v[32:33]
	v_min_f64 v[32:33], v[36:37], v[32:33]
	v_add_f64 v[36:37], v[26:27], -1.0
	v_mul_f64 v[42:43], v[26:27], v[38:39]
	s_delay_alu instid0(VALU_DEP_3) | instskip(NEXT) | instid1(VALU_DEP_3)
	v_div_scale_f64 v[44:45], null, v[40:41], v[40:41], v[32:33]
	v_add_f64 v[6:7], v[6:7], -v[36:37]
	v_div_scale_f64 v[50:51], vcc_lo, v[32:33], v[40:41], v[32:33]
	s_delay_alu instid0(VALU_DEP_4) | instskip(NEXT) | instid1(VALU_DEP_4)
	v_fma_f64 v[26:27], v[38:39], v[26:27], -v[42:43]
	v_rcp_f64_e32 v[36:37], v[44:45]
	s_delay_alu instid0(VALU_DEP_1) | instskip(SKIP_3) | instid1(VALU_DEP_2)
	v_fma_f64 v[6:7], v[38:39], v[6:7], v[26:27]
	s_waitcnt_depctr 0xfff
	v_fma_f64 v[26:27], -v[44:45], v[36:37], 1.0
	v_add_f64 v[46:47], v[42:43], v[6:7]
	v_fma_f64 v[26:27], v[36:37], v[26:27], v[36:37]
	s_delay_alu instid0(VALU_DEP_2) | instskip(SKIP_1) | instid1(VALU_DEP_3)
	v_add_f64 v[36:37], v[34:35], -v[46:47]
	v_add_f64 v[42:43], v[46:47], -v[42:43]
	v_fma_f64 v[48:49], -v[44:45], v[26:27], 1.0
	s_delay_alu instid0(VALU_DEP_3) | instskip(NEXT) | instid1(VALU_DEP_3)
	v_add_f64 v[34:35], v[34:35], -v[36:37]
	v_add_f64 v[6:7], v[42:43], -v[6:7]
	s_delay_alu instid0(VALU_DEP_3) | instskip(NEXT) | instid1(VALU_DEP_3)
	v_fma_f64 v[26:27], v[26:27], v[48:49], v[26:27]
	v_add_f64 v[34:35], v[34:35], -v[46:47]
	s_delay_alu instid0(VALU_DEP_2) | instskip(NEXT) | instid1(VALU_DEP_2)
	v_mul_f64 v[42:43], v[50:51], v[26:27]
	v_add_f64 v[6:7], v[6:7], v[34:35]
	s_delay_alu instid0(VALU_DEP_2) | instskip(NEXT) | instid1(VALU_DEP_2)
	v_fma_f64 v[34:35], -v[44:45], v[42:43], v[50:51]
	v_add_f64 v[6:7], v[36:37], v[6:7]
	s_delay_alu instid0(VALU_DEP_2) | instskip(SKIP_4) | instid1(VALU_DEP_1)
	v_div_fmas_f64 v[26:27], v[34:35], v[26:27], v[42:43]
	v_subrev_co_ci_u32_e64 v8, vcc_lo, 0, v8, s1
	v_cmp_eq_f64_e64 s1, 0, v[12:13]
	v_cmp_gt_i32_e32 vcc_lo, 0, v11
	v_cndmask_b32_e32 v10, 0x3fe921fb, v55, vcc_lo
	v_bfi_b32 v10, 0x7fffffff, v10, v13
	v_mul_f64 v[6:7], v[30:31], v[6:7]
	v_div_fixup_f64 v[26:27], v[26:27], v[40:41], v[32:33]
	s_delay_alu instid0(VALU_DEP_2) | instskip(NEXT) | instid1(VALU_DEP_2)
	v_add_f64 v[30:31], v[38:39], v[6:7]
	v_mul_f64 v[32:33], v[26:27], v[26:27]
	s_delay_alu instid0(VALU_DEP_2) | instskip(NEXT) | instid1(VALU_DEP_2)
	v_mul_f64 v[34:35], v[30:31], v[30:31]
	v_fma_f64 v[36:37], v[32:33], s[42:43], s[40:41]
	s_delay_alu instid0(VALU_DEP_2) | instskip(SKIP_1) | instid1(VALU_DEP_3)
	v_fma_f64 v[40:41], v[34:35], s[24:25], s[22:23]
	v_mul_f64 v[42:43], v[30:31], v[34:35]
	v_fma_f64 v[36:37], v[32:33], v[36:37], s[44:45]
	s_delay_alu instid0(VALU_DEP_3) | instskip(NEXT) | instid1(VALU_DEP_2)
	v_fma_f64 v[40:41], v[34:35], v[40:41], s[26:27]
	v_fma_f64 v[36:37], v[32:33], v[36:37], s[46:47]
	s_delay_alu instid0(VALU_DEP_2) | instskip(NEXT) | instid1(VALU_DEP_2)
	v_fma_f64 v[40:41], v[34:35], v[40:41], s[28:29]
	v_fma_f64 v[36:37], v[32:33], v[36:37], s[48:49]
	s_delay_alu instid0(VALU_DEP_2) | instskip(NEXT) | instid1(VALU_DEP_2)
	;; [unrolled: 3-line block ×3, first 2 shown]
	v_fma_f64 v[40:41], v[34:35], v[40:41], s[34:35]
	v_fma_f64 v[36:37], v[32:33], v[36:37], s[52:53]
	s_delay_alu instid0(VALU_DEP_2) | instskip(SKIP_2) | instid1(VALU_DEP_4)
	v_fma_f64 v[34:35], v[34:35], v[40:41], s[90:91]
	v_ldexp_f64 v[40:41], v[30:31], 1
	v_add_f64 v[30:31], v[30:31], -v[38:39]
	v_fma_f64 v[36:37], v[32:33], v[36:37], s[54:55]
	s_delay_alu instid0(VALU_DEP_4) | instskip(SKIP_1) | instid1(VALU_DEP_4)
	v_mul_f64 v[34:35], v[42:43], v[34:35]
	v_cvt_f64_i32_e32 v[42:43], v8
	v_add_f64 v[6:7], v[6:7], -v[30:31]
	v_ashrrev_i32_e32 v8, 31, v11
	v_fma_f64 v[36:37], v[32:33], v[36:37], s[56:57]
	v_cndmask_b32_e32 v19, 0x54442d18, v54, vcc_lo
	v_add_f64 v[38:39], v[40:41], v[34:35]
	v_mul_f64 v[44:45], v[42:43], s[36:37]
	v_ldexp_f64 v[6:7], v[6:7], 1
	v_fma_f64 v[36:37], v[32:33], v[36:37], s[58:59]
	s_delay_alu instid0(VALU_DEP_4) | instskip(NEXT) | instid1(VALU_DEP_4)
	v_add_f64 v[30:31], v[38:39], -v[40:41]
	v_fma_f64 v[40:41], v[42:43], s[36:37], -v[44:45]
	s_delay_alu instid0(VALU_DEP_3) | instskip(NEXT) | instid1(VALU_DEP_3)
	v_fma_f64 v[36:37], v[32:33], v[36:37], s[60:61]
	v_add_f64 v[30:31], v[34:35], -v[30:31]
	s_delay_alu instid0(VALU_DEP_2) | instskip(NEXT) | instid1(VALU_DEP_4)
	v_fma_f64 v[34:35], v[32:33], v[36:37], s[62:63]
	v_fma_f64 v[36:37], v[42:43], s[38:39], v[40:41]
	s_delay_alu instid0(VALU_DEP_3) | instskip(NEXT) | instid1(VALU_DEP_3)
	v_add_f64 v[6:7], v[6:7], v[30:31]
	v_fma_f64 v[30:31], v[32:33], v[34:35], s[64:65]
	s_delay_alu instid0(VALU_DEP_3) | instskip(NEXT) | instid1(VALU_DEP_3)
	v_add_f64 v[34:35], v[44:45], v[36:37]
	v_add_f64 v[40:41], v[38:39], v[6:7]
	s_delay_alu instid0(VALU_DEP_3) | instskip(NEXT) | instid1(VALU_DEP_3)
	v_fma_f64 v[30:31], v[32:33], v[30:31], s[66:67]
	v_add_f64 v[44:45], v[34:35], -v[44:45]
	s_delay_alu instid0(VALU_DEP_3) | instskip(SKIP_1) | instid1(VALU_DEP_4)
	v_add_f64 v[42:43], v[34:35], v[40:41]
	v_add_f64 v[38:39], v[40:41], -v[38:39]
	v_fma_f64 v[30:31], v[32:33], v[30:31], s[68:69]
	s_delay_alu instid0(VALU_DEP_4) | instskip(NEXT) | instid1(VALU_DEP_4)
	v_add_f64 v[36:37], v[36:37], -v[44:45]
	v_add_f64 v[46:47], v[42:43], -v[34:35]
	s_delay_alu instid0(VALU_DEP_4) | instskip(NEXT) | instid1(VALU_DEP_4)
	v_add_f64 v[6:7], v[6:7], -v[38:39]
	v_fma_f64 v[30:31], v[32:33], v[30:31], s[70:71]
	s_delay_alu instid0(VALU_DEP_3) | instskip(SKIP_1) | instid1(VALU_DEP_4)
	v_add_f64 v[48:49], v[42:43], -v[46:47]
	v_add_f64 v[38:39], v[40:41], -v[46:47]
	v_add_f64 v[40:41], v[36:37], v[6:7]
	s_delay_alu instid0(VALU_DEP_4) | instskip(NEXT) | instid1(VALU_DEP_4)
	v_fma_f64 v[30:31], v[32:33], v[30:31], s[72:73]
	v_add_f64 v[34:35], v[34:35], -v[48:49]
	s_delay_alu instid0(VALU_DEP_2) | instskip(NEXT) | instid1(VALU_DEP_2)
	v_fma_f64 v[30:31], v[32:33], v[30:31], s[74:75]
	v_add_f64 v[34:35], v[38:39], v[34:35]
	v_add_f64 v[38:39], v[40:41], -v[36:37]
	s_delay_alu instid0(VALU_DEP_3) | instskip(NEXT) | instid1(VALU_DEP_3)
	v_fma_f64 v[30:31], v[32:33], v[30:31], s[76:77]
	v_add_f64 v[34:35], v[40:41], v[34:35]
	s_delay_alu instid0(VALU_DEP_3) | instskip(SKIP_1) | instid1(VALU_DEP_4)
	v_add_f64 v[40:41], v[40:41], -v[38:39]
	v_add_f64 v[6:7], v[6:7], -v[38:39]
	v_fma_f64 v[30:31], v[32:33], v[30:31], s[78:79]
	s_delay_alu instid0(VALU_DEP_4) | instskip(NEXT) | instid1(VALU_DEP_2)
	v_add_f64 v[44:45], v[42:43], v[34:35]
	v_mul_f64 v[30:31], v[32:33], v[30:31]
	v_add_f64 v[32:33], v[36:37], -v[40:41]
	s_delay_alu instid0(VALU_DEP_3) | instskip(NEXT) | instid1(VALU_DEP_3)
	v_add_f64 v[36:37], v[44:45], -v[42:43]
	v_fma_f64 v[26:27], v[26:27], v[30:31], v[26:27]
	s_delay_alu instid0(VALU_DEP_3) | instskip(NEXT) | instid1(VALU_DEP_3)
	v_add_f64 v[6:7], v[6:7], v[32:33]
	v_add_f64 v[30:31], v[34:35], -v[36:37]
	s_delay_alu instid0(VALU_DEP_3) | instskip(NEXT) | instid1(VALU_DEP_2)
	v_add_f64 v[32:33], -v[26:27], s[80:81]
	v_add_f64 v[6:7], v[6:7], v[30:31]
	s_delay_alu instid0(VALU_DEP_2) | instskip(NEXT) | instid1(VALU_DEP_3)
	v_cndmask_b32_e64 v27, v27, v33, s0
	v_cndmask_b32_e64 v26, v26, v32, s0
	v_and_b32_e32 v32, 0x54442d18, v8
	v_and_b32_e32 v8, 0x400921fb, v8
	s_delay_alu instid0(VALU_DEP_3) | instskip(SKIP_1) | instid1(VALU_DEP_2)
	v_add_f64 v[30:31], -v[26:27], s[10:11]
	v_add_f64 v[6:7], v[44:45], v[6:7]
	v_dual_cndmask_b32 v26, v26, v30 :: v_dual_cndmask_b32 v11, v27, v31
	s_and_b32 vcc_lo, s5, s4
                                        ; implicit-def: $vgpr30_vgpr31
	s_delay_alu instid0(VALU_DEP_1) | instskip(NEXT) | instid1(VALU_DEP_2)
	v_cndmask_b32_e64 v26, v26, v32, s1
	v_cndmask_b32_e64 v8, v11, v8, s1
                                        ; implicit-def: $vgpr32_vgpr33
	s_delay_alu instid0(VALU_DEP_1) | instskip(SKIP_1) | instid1(VALU_DEP_1)
	v_dual_cndmask_b32 v26, v26, v19 :: v_dual_cndmask_b32 v27, v8, v10
	v_mul_f64 v[6:7], v[6:7], 0.5
	v_cndmask_b32_e64 v7, 0xfff00000, v7, s2
	s_delay_alu instid0(VALU_DEP_2)
	v_cndmask_b32_e64 v6, 0, v6, s2
.LBB198_205:                            ;   in Loop: Header=BB198_162 Depth=1
	s_and_not1_saveexec_b32 s99, s3
	s_cbranch_execz .LBB198_209
; %bb.206:                              ;   in Loop: Header=BB198_162 Depth=1
	v_dual_mov_b32 v26, v18 :: v_dual_and_b32 v19, 0x7ffffff8, v33
	v_and_b32_e32 v27, 0x7ffffff8, v31
	s_mov_b32 s91, 0
	s_delay_alu instid0(VALU_DEP_2) | instskip(SKIP_1) | instid1(VALU_DEP_3)
	v_add_f64 v[6:7], v[32:33], -v[18:19]
	v_mov_b32_e32 v32, v18
	v_add_f64 v[28:29], v[30:31], -v[26:27]
	v_mov_b32_e32 v34, v18
	v_add_f64 v[36:37], v[18:19], v[18:19]
	v_add_f64 v[44:45], v[26:27], v[26:27]
	v_mul_f64 v[30:31], v[26:27], v[26:27]
	v_and_b32_e32 v33, -8, v7
	v_and_b32_e32 v35, -8, v29
	s_delay_alu instid0(VALU_DEP_2) | instskip(SKIP_1) | instid1(VALU_DEP_3)
	v_add_f64 v[46:47], v[6:7], -v[32:33]
	v_add_f64 v[50:51], v[32:33], v[32:33]
	v_add_f64 v[48:49], v[28:29], -v[34:35]
	v_add_f64 v[52:53], v[34:35], v[34:35]
	v_mul_f64 v[6:7], v[18:19], v[18:19]
	v_mul_f64 v[42:43], v[36:37], v[32:33]
	;; [unrolled: 1-line block ×11, first 2 shown]
.LBB198_207:                            ;   Parent Loop BB198_162 Depth=1
                                        ; =>  This Inner Loop Header: Depth=2
	v_cmp_nlt_f64_e32 vcc_lo, v[6:7], v[30:31]
	v_dual_cndmask_b32 v49, v7, v31 :: v_dual_cndmask_b32 v48, v6, v30
	v_dual_cndmask_b32 v7, v31, v7 :: v_dual_cndmask_b32 v6, v30, v6
	s_delay_alu instid0(VALU_DEP_2) | instskip(NEXT) | instid1(VALU_DEP_1)
	v_cmp_nlt_f64_e64 s1, v[48:49], v[42:43]
	v_cndmask_b32_e64 v51, v49, v43, s1
	v_cndmask_b32_e64 v50, v48, v42, s1
	v_cndmask_b32_e64 v31, v43, v49, s1
	v_cndmask_b32_e64 v30, v42, v48, s1
	s_and_b32 s1, vcc_lo, s1
	s_delay_alu instid0(VALU_DEP_3) | instskip(NEXT) | instid1(VALU_DEP_1)
	v_cmp_nlt_f64_e64 s2, v[50:51], v[28:29]
	v_cndmask_b32_e64 v53, v51, v29, s2
	v_cndmask_b32_e64 v52, v50, v28, s2
	;; [unrolled: 1-line block ×4, first 2 shown]
	s_delay_alu instid0(VALU_DEP_3) | instskip(NEXT) | instid1(VALU_DEP_1)
	v_cmp_nlt_f64_e64 s3, v[52:53], v[40:41]
	v_cndmask_b32_e64 v57, v53, v41, s3
	v_cndmask_b32_e64 v56, v52, v40, s3
	v_cndmask_b32_e64 v29, v41, v53, s3
	v_cndmask_b32_e64 v28, v40, v52, s3
	s_and_b32 s2, s2, s3
	s_delay_alu instid0(VALU_DEP_3) | instskip(NEXT) | instid1(VALU_DEP_1)
	v_cmp_nlt_f64_e64 s4, v[56:57], v[26:27]
	v_cndmask_b32_e64 v59, v57, v27, s4
	v_cndmask_b32_e64 v58, v56, v26, s4
	;; [unrolled: 1-line block ×4, first 2 shown]
	s_delay_alu instid0(VALU_DEP_3) | instskip(NEXT) | instid1(VALU_DEP_1)
	v_cmp_nlt_f64_e64 s5, v[58:59], v[38:39]
	v_cndmask_b32_e64 v61, v59, v39, s5
	v_cndmask_b32_e64 v60, v58, v38, s5
	s_and_b32 s3, s4, s5
	v_cndmask_b32_e64 v27, v39, v59, s5
	v_cndmask_b32_e64 v26, v38, v58, s5
	s_delay_alu instid0(VALU_DEP_3) | instskip(NEXT) | instid1(VALU_DEP_1)
	v_cmp_nlt_f64_e64 s6, v[60:61], v[36:37]
	v_cndmask_b32_e64 v63, v61, v37, s6
	v_cndmask_b32_e64 v62, v60, v36, s6
	s_and_b32 s3, s3, s6
	v_cndmask_b32_e64 v39, v37, v61, s6
	v_cndmask_b32_e64 v38, v36, v60, s6
	s_delay_alu instid0(VALU_DEP_3) | instskip(NEXT) | instid1(VALU_DEP_1)
	v_cmp_nlt_f64_e64 s7, v[62:63], v[34:35]
	v_cndmask_b32_e64 v65, v63, v35, s7
	v_cndmask_b32_e64 v64, v62, v34, s7
	s_and_b32 s3, s3, s7
	v_cndmask_b32_e64 v37, v35, v63, s7
	v_cndmask_b32_e64 v36, v34, v62, s7
	s_delay_alu instid0(VALU_DEP_3) | instskip(NEXT) | instid1(VALU_DEP_1)
	v_cmp_nlt_f64_e64 s8, v[64:65], v[32:33]
	v_cndmask_b32_e64 v67, v65, v33, s8
	v_cndmask_b32_e64 v66, v64, v32, s8
	s_and_b32 s3, s3, s8
	v_cndmask_b32_e64 v35, v33, v65, s8
	v_cndmask_b32_e64 v34, v32, v64, s8
	s_delay_alu instid0(VALU_DEP_3) | instskip(NEXT) | instid1(VALU_DEP_1)
	v_cmp_nlt_f64_e64 s9, v[66:67], v[44:45]
	v_cndmask_b32_e64 v69, v67, v45, s9
	v_cndmask_b32_e64 v68, v66, v44, s9
	s_and_b32 s3, s3, s9
	v_cndmask_b32_e64 v33, v45, v67, s9
	v_cndmask_b32_e64 v32, v44, v66, s9
	s_delay_alu instid0(VALU_DEP_3) | instskip(NEXT) | instid1(VALU_DEP_1)
	v_cmp_nlt_f64_e64 s10, v[68:69], v[46:47]
	v_cndmask_b32_e64 v49, v69, v47, s10
	v_cndmask_b32_e64 v48, v68, v46, s10
	s_and_b32 s3, s3, s10
	v_cndmask_b32_e64 v45, v47, v69, s10
	s_and_b32 s2, s3, s2
	;; [unrolled: 2-line block ×3, first 2 shown]
	v_dual_mov_b32 v46, v48 :: v_dual_mov_b32 v47, v49
	s_and_b32 s1, exec_lo, s1
	s_delay_alu instid0(SALU_CYCLE_1) | instskip(NEXT) | instid1(SALU_CYCLE_1)
	s_or_b32 s91, s1, s91
	s_and_not1_b32 exec_lo, exec_lo, s91
	s_cbranch_execnz .LBB198_207
; %bb.208:                              ;   in Loop: Header=BB198_162 Depth=1
	s_or_b32 exec_lo, exec_lo, s91
	v_add_f64 v[6:7], v[6:7], -1.0
	s_mov_b32 s91, s21
	s_mov_b32 s10, s80
	v_cmp_gt_i32_e64 s1, 0, v11
	v_cmp_class_f64_e64 s3, v[10:11], 0x204
	v_cmp_class_f64_e64 s2, v[12:13], 0x204
	s_delay_alu instid0(VALU_DEP_4) | instskip(NEXT) | instid1(VALU_DEP_1)
	v_add_f64 v[6:7], v[6:7], v[30:31]
	v_add_f64 v[6:7], v[6:7], v[42:43]
	s_delay_alu instid0(VALU_DEP_1) | instskip(NEXT) | instid1(VALU_DEP_1)
	v_add_f64 v[6:7], v[6:7], v[28:29]
	v_add_f64 v[6:7], v[6:7], v[40:41]
	s_delay_alu instid0(VALU_DEP_1) | instskip(NEXT) | instid1(VALU_DEP_1)
	;; [unrolled: 3-line block ×5, first 2 shown]
	v_add_f64 v[7:8], v[48:49], v[6:7]
	v_add_f64 v[26:27], v[7:8], 1.0
	s_delay_alu instid0(VALU_DEP_1) | instskip(SKIP_2) | instid1(VALU_DEP_3)
	v_frexp_mant_f64_e32 v[28:29], v[26:27]
	v_frexp_exp_i32_f64_e32 v6, v[26:27]
	v_add_f64 v[30:31], v[26:27], -1.0
	v_cmp_gt_f64_e32 vcc_lo, s[20:21], v[28:29]
	s_delay_alu instid0(VALU_DEP_2) | instskip(SKIP_2) | instid1(VALU_DEP_3)
	v_add_f64 v[28:29], v[30:31], -v[26:27]
	v_add_f64 v[30:31], v[7:8], -v[30:31]
	v_subrev_co_ci_u32_e32 v6, vcc_lo, 0, v6, vcc_lo
	v_add_f64 v[28:29], v[28:29], 1.0
	s_delay_alu instid0(VALU_DEP_2) | instskip(NEXT) | instid1(VALU_DEP_1)
	v_sub_nc_u32_e32 v19, 0, v6
	v_ldexp_f64 v[26:27], v[26:27], v19
	s_delay_alu instid0(VALU_DEP_3) | instskip(NEXT) | instid1(VALU_DEP_2)
	v_add_f64 v[28:29], v[30:31], v[28:29]
	v_add_f64 v[32:33], v[26:27], 1.0
	v_add_f64 v[38:39], v[26:27], -1.0
	s_delay_alu instid0(VALU_DEP_3) | instskip(SKIP_1) | instid1(VALU_DEP_4)
	v_ldexp_f64 v[28:29], v[28:29], v19
	v_cndmask_b32_e64 v19, 0x54442d18, v54, s1
	v_add_f64 v[30:31], v[32:33], -1.0
	s_delay_alu instid0(VALU_DEP_4) | instskip(NEXT) | instid1(VALU_DEP_2)
	v_add_f64 v[40:41], v[38:39], 1.0
	v_add_f64 v[30:31], v[26:27], -v[30:31]
	s_delay_alu instid0(VALU_DEP_2) | instskip(NEXT) | instid1(VALU_DEP_2)
	v_add_f64 v[26:27], v[26:27], -v[40:41]
	v_add_f64 v[30:31], v[28:29], v[30:31]
	s_delay_alu instid0(VALU_DEP_2) | instskip(NEXT) | instid1(VALU_DEP_2)
	v_add_f64 v[26:27], v[28:29], v[26:27]
	v_add_f64 v[34:35], v[32:33], v[30:31]
	s_delay_alu instid0(VALU_DEP_2) | instskip(NEXT) | instid1(VALU_DEP_2)
	v_add_f64 v[40:41], v[38:39], v[26:27]
	v_rcp_f64_e32 v[36:37], v[34:35]
	v_add_f64 v[32:33], v[34:35], -v[32:33]
	s_delay_alu instid0(VALU_DEP_2) | instskip(NEXT) | instid1(VALU_DEP_2)
	v_add_f64 v[38:39], v[40:41], -v[38:39]
	v_add_f64 v[30:31], v[30:31], -v[32:33]
	s_waitcnt_depctr 0xfff
	v_fma_f64 v[42:43], -v[34:35], v[36:37], 1.0
	v_add_f64 v[26:27], v[26:27], -v[38:39]
	s_delay_alu instid0(VALU_DEP_2) | instskip(NEXT) | instid1(VALU_DEP_1)
	v_fma_f64 v[36:37], v[42:43], v[36:37], v[36:37]
	v_fma_f64 v[28:29], -v[34:35], v[36:37], 1.0
	s_delay_alu instid0(VALU_DEP_1) | instskip(NEXT) | instid1(VALU_DEP_1)
	v_fma_f64 v[28:29], v[28:29], v[36:37], v[36:37]
	v_mul_f64 v[36:37], v[40:41], v[28:29]
	s_delay_alu instid0(VALU_DEP_1) | instskip(NEXT) | instid1(VALU_DEP_1)
	v_mul_f64 v[42:43], v[34:35], v[36:37]
	v_fma_f64 v[32:33], v[36:37], v[34:35], -v[42:43]
	s_delay_alu instid0(VALU_DEP_1) | instskip(NEXT) | instid1(VALU_DEP_1)
	v_fma_f64 v[32:33], v[36:37], v[30:31], v[32:33]
	v_add_f64 v[44:45], v[42:43], v[32:33]
	s_delay_alu instid0(VALU_DEP_1) | instskip(SKIP_2) | instid1(VALU_DEP_3)
	v_add_f64 v[46:47], v[40:41], -v[44:45]
	v_add_f64 v[38:39], v[44:45], -v[42:43]
	v_max_f64 v[42:43], |v[12:13]|, |v[12:13]|
	v_add_f64 v[40:41], v[40:41], -v[46:47]
	s_delay_alu instid0(VALU_DEP_3) | instskip(NEXT) | instid1(VALU_DEP_2)
	v_add_f64 v[32:33], v[38:39], -v[32:33]
	v_add_f64 v[40:41], v[40:41], -v[44:45]
	v_max_f64 v[44:45], |v[10:11]|, |v[10:11]|
	v_cndmask_b32_e64 v10, 0x3fe921fb, v55, s1
	s_delay_alu instid0(VALU_DEP_1) | instskip(NEXT) | instid1(VALU_DEP_4)
	v_bfi_b32 v10, 0x7fffffff, v10, v13
	v_add_f64 v[26:27], v[26:27], v[40:41]
	s_delay_alu instid0(VALU_DEP_4) | instskip(SKIP_1) | instid1(VALU_DEP_3)
	v_max_f64 v[48:49], v[44:45], v[42:43]
	v_min_f64 v[42:43], v[44:45], v[42:43]
	v_add_f64 v[26:27], v[32:33], v[26:27]
	s_delay_alu instid0(VALU_DEP_1) | instskip(NEXT) | instid1(VALU_DEP_1)
	v_add_f64 v[32:33], v[46:47], v[26:27]
	v_mul_f64 v[38:39], v[28:29], v[32:33]
	v_add_f64 v[46:47], v[46:47], -v[32:33]
	s_delay_alu instid0(VALU_DEP_2) | instskip(NEXT) | instid1(VALU_DEP_2)
	v_mul_f64 v[40:41], v[34:35], v[38:39]
	v_add_f64 v[26:27], v[26:27], v[46:47]
	s_delay_alu instid0(VALU_DEP_2) | instskip(NEXT) | instid1(VALU_DEP_1)
	v_fma_f64 v[34:35], v[38:39], v[34:35], -v[40:41]
	v_fma_f64 v[30:31], v[38:39], v[30:31], v[34:35]
	v_div_scale_f64 v[34:35], null, v[48:49], v[48:49], v[42:43]
	s_delay_alu instid0(VALU_DEP_2) | instskip(NEXT) | instid1(VALU_DEP_2)
	v_add_f64 v[44:45], v[40:41], v[30:31]
	v_rcp_f64_e32 v[50:51], v[34:35]
	s_delay_alu instid0(VALU_DEP_1)
	v_add_f64 v[52:53], v[32:33], -v[44:45]
	v_add_f64 v[40:41], v[44:45], -v[40:41]
	s_waitcnt_depctr 0xfff
	v_fma_f64 v[56:57], -v[34:35], v[50:51], 1.0
	v_add_f64 v[32:33], v[32:33], -v[52:53]
	v_add_f64 v[30:31], v[40:41], -v[30:31]
	s_delay_alu instid0(VALU_DEP_3) | instskip(NEXT) | instid1(VALU_DEP_3)
	v_fma_f64 v[50:51], v[50:51], v[56:57], v[50:51]
	v_add_f64 v[32:33], v[32:33], -v[44:45]
	s_delay_alu instid0(VALU_DEP_2) | instskip(NEXT) | instid1(VALU_DEP_2)
	v_fma_f64 v[44:45], -v[34:35], v[50:51], 1.0
	v_add_f64 v[26:27], v[26:27], v[32:33]
	v_div_scale_f64 v[32:33], vcc_lo, v[42:43], v[48:49], v[42:43]
	s_delay_alu instid0(VALU_DEP_3) | instskip(SKIP_1) | instid1(VALU_DEP_4)
	v_fma_f64 v[40:41], v[50:51], v[44:45], v[50:51]
	v_add_f64 v[44:45], v[36:37], v[38:39]
	v_add_f64 v[26:27], v[30:31], v[26:27]
	s_delay_alu instid0(VALU_DEP_3) | instskip(NEXT) | instid1(VALU_DEP_3)
	v_mul_f64 v[30:31], v[32:33], v[40:41]
	v_add_f64 v[36:37], v[44:45], -v[36:37]
	s_delay_alu instid0(VALU_DEP_3) | instskip(NEXT) | instid1(VALU_DEP_3)
	v_add_f64 v[26:27], v[52:53], v[26:27]
	v_fma_f64 v[32:33], -v[34:35], v[30:31], v[32:33]
	s_delay_alu instid0(VALU_DEP_3) | instskip(NEXT) | instid1(VALU_DEP_3)
	v_add_f64 v[34:35], v[38:39], -v[36:37]
	v_mul_f64 v[26:27], v[28:29], v[26:27]
	s_delay_alu instid0(VALU_DEP_3) | instskip(SKIP_1) | instid1(VALU_DEP_3)
	v_div_fmas_f64 v[28:29], v[32:33], v[40:41], v[30:31]
	v_cmp_eq_f64_e32 vcc_lo, 0x7ff00000, v[7:8]
	v_add_f64 v[26:27], v[34:35], v[26:27]
	s_delay_alu instid0(VALU_DEP_3) | instskip(NEXT) | instid1(VALU_DEP_2)
	v_div_fixup_f64 v[28:29], v[28:29], v[48:49], v[42:43]
	v_add_f64 v[30:31], v[44:45], v[26:27]
	s_delay_alu instid0(VALU_DEP_2) | instskip(NEXT) | instid1(VALU_DEP_2)
	v_mul_f64 v[32:33], v[28:29], v[28:29]
	v_mul_f64 v[34:35], v[30:31], v[30:31]
	s_delay_alu instid0(VALU_DEP_2) | instskip(NEXT) | instid1(VALU_DEP_2)
	v_fma_f64 v[36:37], v[32:33], s[42:43], s[40:41]
	v_fma_f64 v[38:39], v[34:35], s[24:25], s[22:23]
	v_mul_f64 v[40:41], v[30:31], v[34:35]
	s_delay_alu instid0(VALU_DEP_3) | instskip(NEXT) | instid1(VALU_DEP_3)
	v_fma_f64 v[36:37], v[32:33], v[36:37], s[44:45]
	v_fma_f64 v[38:39], v[34:35], v[38:39], s[26:27]
	s_delay_alu instid0(VALU_DEP_2) | instskip(NEXT) | instid1(VALU_DEP_2)
	v_fma_f64 v[36:37], v[32:33], v[36:37], s[46:47]
	v_fma_f64 v[38:39], v[34:35], v[38:39], s[28:29]
	s_delay_alu instid0(VALU_DEP_2) | instskip(NEXT) | instid1(VALU_DEP_2)
	;; [unrolled: 3-line block ×4, first 2 shown]
	v_fma_f64 v[36:37], v[32:33], v[36:37], s[52:53]
	v_fma_f64 v[34:35], v[34:35], v[38:39], s[90:91]
	v_ldexp_f64 v[38:39], v[30:31], 1
	v_add_f64 v[30:31], v[30:31], -v[44:45]
	s_delay_alu instid0(VALU_DEP_4) | instskip(NEXT) | instid1(VALU_DEP_4)
	v_fma_f64 v[36:37], v[32:33], v[36:37], s[54:55]
	v_mul_f64 v[34:35], v[40:41], v[34:35]
	v_cvt_f64_i32_e32 v[40:41], v6
	s_delay_alu instid0(VALU_DEP_4) | instskip(NEXT) | instid1(VALU_DEP_4)
	v_add_f64 v[26:27], v[26:27], -v[30:31]
	v_fma_f64 v[36:37], v[32:33], v[36:37], s[56:57]
	v_ashrrev_i32_e32 v6, 31, v11
	v_add_f64 v[42:43], v[38:39], v[34:35]
	v_mul_f64 v[44:45], v[40:41], s[36:37]
	v_ldexp_f64 v[26:27], v[26:27], 1
	v_fma_f64 v[36:37], v[32:33], v[36:37], s[58:59]
	s_delay_alu instid0(VALU_DEP_4) | instskip(NEXT) | instid1(VALU_DEP_4)
	v_add_f64 v[30:31], v[42:43], -v[38:39]
	v_fma_f64 v[38:39], v[40:41], s[36:37], -v[44:45]
	s_delay_alu instid0(VALU_DEP_3) | instskip(NEXT) | instid1(VALU_DEP_3)
	v_fma_f64 v[36:37], v[32:33], v[36:37], s[60:61]
	v_add_f64 v[30:31], v[34:35], -v[30:31]
	s_delay_alu instid0(VALU_DEP_2) | instskip(NEXT) | instid1(VALU_DEP_4)
	v_fma_f64 v[34:35], v[32:33], v[36:37], s[62:63]
	v_fma_f64 v[36:37], v[40:41], s[38:39], v[38:39]
	s_delay_alu instid0(VALU_DEP_3) | instskip(NEXT) | instid1(VALU_DEP_3)
	v_add_f64 v[26:27], v[26:27], v[30:31]
	v_fma_f64 v[30:31], v[32:33], v[34:35], s[64:65]
	s_delay_alu instid0(VALU_DEP_3) | instskip(NEXT) | instid1(VALU_DEP_3)
	v_add_f64 v[34:35], v[44:45], v[36:37]
	v_add_f64 v[38:39], v[42:43], v[26:27]
	s_delay_alu instid0(VALU_DEP_3) | instskip(NEXT) | instid1(VALU_DEP_3)
	v_fma_f64 v[30:31], v[32:33], v[30:31], s[66:67]
	v_add_f64 v[44:45], v[34:35], -v[44:45]
	s_delay_alu instid0(VALU_DEP_3) | instskip(SKIP_1) | instid1(VALU_DEP_4)
	v_add_f64 v[40:41], v[34:35], v[38:39]
	v_add_f64 v[42:43], v[38:39], -v[42:43]
	v_fma_f64 v[30:31], v[32:33], v[30:31], s[68:69]
	s_delay_alu instid0(VALU_DEP_4) | instskip(NEXT) | instid1(VALU_DEP_4)
	v_add_f64 v[36:37], v[36:37], -v[44:45]
	v_add_f64 v[46:47], v[40:41], -v[34:35]
	s_delay_alu instid0(VALU_DEP_4) | instskip(NEXT) | instid1(VALU_DEP_4)
	v_add_f64 v[26:27], v[26:27], -v[42:43]
	v_fma_f64 v[30:31], v[32:33], v[30:31], s[70:71]
	s_delay_alu instid0(VALU_DEP_3) | instskip(SKIP_1) | instid1(VALU_DEP_4)
	v_add_f64 v[48:49], v[40:41], -v[46:47]
	v_add_f64 v[38:39], v[38:39], -v[46:47]
	v_add_f64 v[42:43], v[36:37], v[26:27]
	s_delay_alu instid0(VALU_DEP_4) | instskip(NEXT) | instid1(VALU_DEP_4)
	v_fma_f64 v[30:31], v[32:33], v[30:31], s[72:73]
	v_add_f64 v[34:35], v[34:35], -v[48:49]
	s_delay_alu instid0(VALU_DEP_2) | instskip(NEXT) | instid1(VALU_DEP_2)
	v_fma_f64 v[30:31], v[32:33], v[30:31], s[74:75]
	v_add_f64 v[34:35], v[38:39], v[34:35]
	v_add_f64 v[38:39], v[42:43], -v[36:37]
	s_delay_alu instid0(VALU_DEP_3) | instskip(NEXT) | instid1(VALU_DEP_3)
	v_fma_f64 v[30:31], v[32:33], v[30:31], s[76:77]
	v_add_f64 v[34:35], v[42:43], v[34:35]
	s_delay_alu instid0(VALU_DEP_3) | instskip(SKIP_1) | instid1(VALU_DEP_4)
	v_add_f64 v[42:43], v[42:43], -v[38:39]
	v_add_f64 v[26:27], v[26:27], -v[38:39]
	v_fma_f64 v[30:31], v[32:33], v[30:31], s[78:79]
	s_delay_alu instid0(VALU_DEP_4) | instskip(NEXT) | instid1(VALU_DEP_2)
	v_add_f64 v[44:45], v[40:41], v[34:35]
	v_mul_f64 v[30:31], v[32:33], v[30:31]
	v_add_f64 v[32:33], v[36:37], -v[42:43]
	s_delay_alu instid0(VALU_DEP_3) | instskip(NEXT) | instid1(VALU_DEP_3)
	v_add_f64 v[36:37], v[44:45], -v[40:41]
	v_fma_f64 v[28:29], v[28:29], v[30:31], v[28:29]
	s_delay_alu instid0(VALU_DEP_3) | instskip(NEXT) | instid1(VALU_DEP_3)
	v_add_f64 v[26:27], v[26:27], v[32:33]
	v_add_f64 v[30:31], v[34:35], -v[36:37]
	s_delay_alu instid0(VALU_DEP_3) | instskip(NEXT) | instid1(VALU_DEP_2)
	v_add_f64 v[32:33], -v[28:29], s[80:81]
	v_add_f64 v[26:27], v[26:27], v[30:31]
	s_delay_alu instid0(VALU_DEP_2) | instskip(NEXT) | instid1(VALU_DEP_3)
	v_cndmask_b32_e64 v29, v29, v33, s0
	v_cndmask_b32_e64 v28, v28, v32, s0
	s_delay_alu instid0(VALU_DEP_1) | instskip(NEXT) | instid1(VALU_DEP_4)
	v_add_f64 v[30:31], -v[28:29], s[10:11]
	v_add_f64 v[26:27], v[44:45], v[26:27]
	v_and_b32_e32 v32, 0x54442d18, v6
	v_and_b32_e32 v6, 0x400921fb, v6
	s_delay_alu instid0(VALU_DEP_4) | instskip(SKIP_4) | instid1(VALU_DEP_2)
	v_cndmask_b32_e64 v28, v28, v30, s1
	v_cndmask_b32_e64 v11, v29, v31, s1
	v_cmp_nge_f64_e64 s1, -1.0, v[7:8]
	v_dual_cndmask_b32 v27, v27, v8 :: v_dual_cndmask_b32 v26, v26, v7
	v_cmp_eq_f64_e32 vcc_lo, 0, v[12:13]
	v_mul_f64 v[26:27], v[26:27], 0.5
	v_cndmask_b32_e32 v6, v11, v6, vcc_lo
	v_cndmask_b32_e32 v28, v28, v32, vcc_lo
	v_cmp_ngt_f64_e32 vcc_lo, -1.0, v[7:8]
	s_delay_alu instid0(VALU_DEP_4)
	v_cndmask_b32_e32 v11, 0x7ff80000, v27, vcc_lo
	s_and_b32 vcc_lo, s3, s2
	v_cndmask_b32_e32 v27, v6, v10, vcc_lo
	v_cndmask_b32_e64 v6, 0, v26, s1
	v_cmp_neq_f64_e64 s1, -1.0, v[7:8]
	v_cndmask_b32_e32 v26, v28, v19, vcc_lo
	s_delay_alu instid0(VALU_DEP_2)
	v_cndmask_b32_e64 v7, 0xfff00000, v11, s1
.LBB198_209:                            ;   in Loop: Header=BB198_162 Depth=1
	s_or_b32 exec_lo, exec_lo, s99
.LBB198_210:                            ;   in Loop: Header=BB198_162 Depth=1
	s_delay_alu instid0(SALU_CYCLE_1)
	s_or_b32 exec_lo, exec_lo, s98
.LBB198_211:                            ;   in Loop: Header=BB198_162 Depth=1
	s_and_not1_saveexec_b32 s3, s97
	s_cbranch_execz .LBB198_213
; %bb.212:                              ;   in Loop: Header=BB198_162 Depth=1
	v_max_f64 v[6:7], |v[12:13]|, |v[12:13]|
	v_max_f64 v[26:27], |v[10:11]|, |v[10:11]|
	v_cmp_class_f64_e64 s4, v[10:11], 0x204
	v_cmp_class_f64_e64 s5, v[12:13], 0x204
	s_mov_b32 s91, s21
	s_mov_b32 s10, s80
	v_cmp_eq_f64_e64 s2, 0, v[12:13]
	s_delay_alu instid0(VALU_DEP_4) | instskip(SKIP_1) | instid1(VALU_DEP_4)
	v_max_f64 v[28:29], v[26:27], v[6:7]
	v_min_f64 v[6:7], v[26:27], v[6:7]
	s_or_b32 s6, s4, s5
	s_delay_alu instid0(VALU_DEP_2) | instskip(NEXT) | instid1(VALU_DEP_1)
	v_frexp_exp_i32_f64_e32 v8, v[28:29]
	v_sub_nc_u32_e32 v19, 0, v8
	s_delay_alu instid0(VALU_DEP_1) | instskip(SKIP_1) | instid1(VALU_DEP_2)
	v_ldexp_f64 v[30:31], |v[12:13]|, v19
	v_ldexp_f64 v[32:33], |v[10:11]|, v19
	v_mul_f64 v[30:31], v[30:31], v[30:31]
	s_delay_alu instid0(VALU_DEP_1) | instskip(NEXT) | instid1(VALU_DEP_1)
	v_fma_f64 v[30:31], v[32:33], v[32:33], v[30:31]
	v_rsq_f64_e32 v[32:33], v[30:31]
	v_cmp_eq_f64_e32 vcc_lo, 0, v[30:31]
	s_waitcnt_depctr 0xfff
	v_mul_f64 v[34:35], v[30:31], v[32:33]
	v_mul_f64 v[32:33], v[32:33], 0.5
	s_delay_alu instid0(VALU_DEP_1) | instskip(NEXT) | instid1(VALU_DEP_1)
	v_fma_f64 v[36:37], -v[32:33], v[34:35], 0.5
	v_fma_f64 v[34:35], v[34:35], v[36:37], v[34:35]
	v_fma_f64 v[32:33], v[32:33], v[36:37], v[32:33]
	s_delay_alu instid0(VALU_DEP_2) | instskip(NEXT) | instid1(VALU_DEP_1)
	v_fma_f64 v[36:37], -v[34:35], v[34:35], v[30:31]
	v_fma_f64 v[32:33], v[36:37], v[32:33], v[34:35]
	s_delay_alu instid0(VALU_DEP_1) | instskip(SKIP_1) | instid1(VALU_DEP_2)
	v_dual_cndmask_b32 v31, v33, v31 :: v_dual_cndmask_b32 v30, v32, v30
	v_div_scale_f64 v[52:53], vcc_lo, v[6:7], v[28:29], v[6:7]
	v_ldexp_f64 v[30:31], v[30:31], v8
	s_delay_alu instid0(VALU_DEP_1) | instskip(NEXT) | instid1(VALU_DEP_2)
	v_cndmask_b32_e64 v33, v31, 0x7ff00000, s6
	v_cndmask_b32_e64 v32, v30, 0, s6
	s_delay_alu instid0(VALU_DEP_1) | instskip(SKIP_1) | instid1(VALU_DEP_2)
	v_frexp_mant_f64_e32 v[34:35], v[32:33]
	v_frexp_exp_i32_f64_e32 v8, v[32:33]
	v_cmp_gt_f64_e64 s1, s[20:21], v[34:35]
	s_delay_alu instid0(VALU_DEP_1) | instskip(NEXT) | instid1(VALU_DEP_1)
	v_cndmask_b32_e64 v19, 0x3ff00000, 2.0, s1
	v_mul_f64 v[34:35], v[34:35], v[18:19]
	s_delay_alu instid0(VALU_DEP_1) | instskip(SKIP_1) | instid1(VALU_DEP_2)
	v_add_f64 v[36:37], v[34:35], 1.0
	v_add_f64 v[42:43], v[34:35], -1.0
	v_rcp_f64_e32 v[38:39], v[36:37]
	v_add_f64 v[44:45], v[36:37], -1.0
	s_delay_alu instid0(VALU_DEP_1) | instskip(SKIP_2) | instid1(VALU_DEP_1)
	v_add_f64 v[34:35], v[34:35], -v[44:45]
	s_waitcnt_depctr 0xfff
	v_fma_f64 v[40:41], -v[36:37], v[38:39], 1.0
	v_fma_f64 v[38:39], v[40:41], v[38:39], v[38:39]
	s_delay_alu instid0(VALU_DEP_1) | instskip(NEXT) | instid1(VALU_DEP_1)
	v_fma_f64 v[40:41], -v[36:37], v[38:39], 1.0
	v_fma_f64 v[38:39], v[40:41], v[38:39], v[38:39]
	v_div_scale_f64 v[40:41], null, v[28:29], v[28:29], v[6:7]
	s_delay_alu instid0(VALU_DEP_2) | instskip(NEXT) | instid1(VALU_DEP_2)
	v_mul_f64 v[26:27], v[42:43], v[38:39]
	v_rcp_f64_e32 v[48:49], v[40:41]
	s_delay_alu instid0(VALU_DEP_1) | instskip(SKIP_3) | instid1(VALU_DEP_1)
	v_mul_f64 v[46:47], v[36:37], v[26:27]
	s_waitcnt_depctr 0xfff
	v_fma_f64 v[44:45], -v[40:41], v[48:49], 1.0
	v_fma_f64 v[36:37], v[26:27], v[36:37], -v[46:47]
	v_fma_f64 v[34:35], v[26:27], v[34:35], v[36:37]
	s_delay_alu instid0(VALU_DEP_3) | instskip(NEXT) | instid1(VALU_DEP_2)
	v_fma_f64 v[36:37], v[48:49], v[44:45], v[48:49]
	v_add_f64 v[44:45], v[46:47], v[34:35]
	s_delay_alu instid0(VALU_DEP_2) | instskip(NEXT) | instid1(VALU_DEP_2)
	v_fma_f64 v[48:49], -v[40:41], v[36:37], 1.0
	v_add_f64 v[50:51], v[42:43], -v[44:45]
	s_delay_alu instid0(VALU_DEP_2) | instskip(SKIP_1) | instid1(VALU_DEP_3)
	v_fma_f64 v[36:37], v[36:37], v[48:49], v[36:37]
	v_add_f64 v[46:47], v[44:45], -v[46:47]
	v_add_f64 v[42:43], v[42:43], -v[50:51]
	s_delay_alu instid0(VALU_DEP_3) | instskip(NEXT) | instid1(VALU_DEP_3)
	v_mul_f64 v[48:49], v[52:53], v[36:37]
	v_add_f64 v[34:35], v[46:47], -v[34:35]
	s_delay_alu instid0(VALU_DEP_3) | instskip(NEXT) | instid1(VALU_DEP_3)
	v_add_f64 v[42:43], v[42:43], -v[44:45]
	v_fma_f64 v[40:41], -v[40:41], v[48:49], v[52:53]
	s_delay_alu instid0(VALU_DEP_2) | instskip(NEXT) | instid1(VALU_DEP_2)
	v_add_f64 v[34:35], v[34:35], v[42:43]
	v_div_fmas_f64 v[36:37], v[40:41], v[36:37], v[48:49]
	v_subrev_co_ci_u32_e64 v8, vcc_lo, 0, v8, s1
	v_cmp_class_f64_e64 s1, v[30:31], 0x204
	v_cmp_gt_i32_e32 vcc_lo, 0, v11
	v_cndmask_b32_e32 v19, 0x3fe921fb, v55, vcc_lo
	s_delay_alu instid0(VALU_DEP_1) | instskip(SKIP_2) | instid1(VALU_DEP_2)
	v_bfi_b32 v19, 0x7fffffff, v19, v13
	v_add_f64 v[34:35], v[50:51], v[34:35]
	v_div_fixup_f64 v[6:7], v[36:37], v[28:29], v[6:7]
	v_mul_f64 v[28:29], v[38:39], v[34:35]
	s_delay_alu instid0(VALU_DEP_2) | instskip(NEXT) | instid1(VALU_DEP_2)
	v_mul_f64 v[34:35], v[6:7], v[6:7]
	v_add_f64 v[36:37], v[26:27], v[28:29]
	s_delay_alu instid0(VALU_DEP_2) | instskip(NEXT) | instid1(VALU_DEP_2)
	v_fma_f64 v[38:39], v[34:35], s[42:43], s[40:41]
	v_mul_f64 v[40:41], v[36:37], v[36:37]
	s_delay_alu instid0(VALU_DEP_2) | instskip(SKIP_1) | instid1(VALU_DEP_3)
	v_fma_f64 v[38:39], v[34:35], v[38:39], s[44:45]
	v_add_f64 v[26:27], v[36:37], -v[26:27]
	v_fma_f64 v[42:43], v[40:41], s[24:25], s[22:23]
	s_delay_alu instid0(VALU_DEP_3) | instskip(SKIP_1) | instid1(VALU_DEP_4)
	v_fma_f64 v[38:39], v[34:35], v[38:39], s[46:47]
	v_mul_f64 v[44:45], v[36:37], v[40:41]
	v_add_f64 v[26:27], v[28:29], -v[26:27]
	s_delay_alu instid0(VALU_DEP_4) | instskip(NEXT) | instid1(VALU_DEP_4)
	v_fma_f64 v[42:43], v[40:41], v[42:43], s[26:27]
	v_fma_f64 v[38:39], v[34:35], v[38:39], s[48:49]
	s_delay_alu instid0(VALU_DEP_3) | instskip(NEXT) | instid1(VALU_DEP_3)
	v_ldexp_f64 v[26:27], v[26:27], 1
	v_fma_f64 v[42:43], v[40:41], v[42:43], s[28:29]
	s_delay_alu instid0(VALU_DEP_3) | instskip(NEXT) | instid1(VALU_DEP_2)
	v_fma_f64 v[38:39], v[34:35], v[38:39], s[50:51]
	v_fma_f64 v[42:43], v[40:41], v[42:43], s[30:31]
	s_delay_alu instid0(VALU_DEP_2) | instskip(NEXT) | instid1(VALU_DEP_2)
	v_fma_f64 v[38:39], v[34:35], v[38:39], s[52:53]
	v_fma_f64 v[42:43], v[40:41], v[42:43], s[34:35]
	s_delay_alu instid0(VALU_DEP_2) | instskip(NEXT) | instid1(VALU_DEP_2)
	v_fma_f64 v[38:39], v[34:35], v[38:39], s[54:55]
	v_fma_f64 v[40:41], v[40:41], v[42:43], s[90:91]
	s_delay_alu instid0(VALU_DEP_2) | instskip(SKIP_1) | instid1(VALU_DEP_3)
	v_fma_f64 v[38:39], v[34:35], v[38:39], s[56:57]
	v_ldexp_f64 v[42:43], v[36:37], 1
	v_mul_f64 v[40:41], v[44:45], v[40:41]
	s_delay_alu instid0(VALU_DEP_3) | instskip(SKIP_2) | instid1(VALU_DEP_1)
	v_fma_f64 v[38:39], v[34:35], v[38:39], s[58:59]
	v_cvt_f64_i32_e32 v[44:45], v8
	v_ashrrev_i32_e32 v8, 31, v11
	v_dual_cndmask_b32 v10, 0x54442d18, v54 :: v_dual_and_b32 v11, 0x54442d18, v8
	v_and_b32_e32 v8, 0x400921fb, v8
	v_add_f64 v[36:37], v[42:43], v[40:41]
	v_fma_f64 v[38:39], v[34:35], v[38:39], s[60:61]
	v_mul_f64 v[46:47], v[44:45], s[36:37]
	s_delay_alu instid0(VALU_DEP_3) | instskip(NEXT) | instid1(VALU_DEP_3)
	v_add_f64 v[28:29], v[36:37], -v[42:43]
	v_fma_f64 v[38:39], v[34:35], v[38:39], s[62:63]
	s_delay_alu instid0(VALU_DEP_3) | instskip(NEXT) | instid1(VALU_DEP_3)
	v_fma_f64 v[42:43], v[44:45], s[36:37], -v[46:47]
	v_add_f64 v[28:29], v[40:41], -v[28:29]
	s_delay_alu instid0(VALU_DEP_3) | instskip(NEXT) | instid1(VALU_DEP_3)
	v_fma_f64 v[38:39], v[34:35], v[38:39], s[64:65]
	v_fma_f64 v[40:41], v[44:45], s[38:39], v[42:43]
	s_delay_alu instid0(VALU_DEP_3) | instskip(NEXT) | instid1(VALU_DEP_3)
	v_add_f64 v[26:27], v[26:27], v[28:29]
	v_fma_f64 v[28:29], v[34:35], v[38:39], s[66:67]
	s_delay_alu instid0(VALU_DEP_3) | instskip(NEXT) | instid1(VALU_DEP_3)
	v_add_f64 v[38:39], v[46:47], v[40:41]
	v_add_f64 v[42:43], v[36:37], v[26:27]
	s_delay_alu instid0(VALU_DEP_3) | instskip(NEXT) | instid1(VALU_DEP_3)
	v_fma_f64 v[28:29], v[34:35], v[28:29], s[68:69]
	v_add_f64 v[46:47], v[38:39], -v[46:47]
	s_delay_alu instid0(VALU_DEP_3) | instskip(NEXT) | instid1(VALU_DEP_3)
	v_add_f64 v[44:45], v[38:39], v[42:43]
	v_fma_f64 v[28:29], v[34:35], v[28:29], s[70:71]
	v_add_f64 v[36:37], v[42:43], -v[36:37]
	s_delay_alu instid0(VALU_DEP_4) | instskip(NEXT) | instid1(VALU_DEP_4)
	v_add_f64 v[40:41], v[40:41], -v[46:47]
	v_add_f64 v[48:49], v[44:45], -v[38:39]
	s_delay_alu instid0(VALU_DEP_4) | instskip(NEXT) | instid1(VALU_DEP_4)
	v_fma_f64 v[28:29], v[34:35], v[28:29], s[72:73]
	v_add_f64 v[26:27], v[26:27], -v[36:37]
	s_delay_alu instid0(VALU_DEP_3) | instskip(NEXT) | instid1(VALU_DEP_3)
	v_add_f64 v[50:51], v[44:45], -v[48:49]
	v_fma_f64 v[28:29], v[34:35], v[28:29], s[74:75]
	v_add_f64 v[36:37], v[42:43], -v[48:49]
	s_delay_alu instid0(VALU_DEP_4) | instskip(NEXT) | instid1(VALU_DEP_4)
	v_add_f64 v[42:43], v[40:41], v[26:27]
	v_add_f64 v[38:39], v[38:39], -v[50:51]
	s_delay_alu instid0(VALU_DEP_4) | instskip(NEXT) | instid1(VALU_DEP_2)
	v_fma_f64 v[28:29], v[34:35], v[28:29], s[76:77]
	v_add_f64 v[36:37], v[36:37], v[38:39]
	s_delay_alu instid0(VALU_DEP_2) | instskip(SKIP_1) | instid1(VALU_DEP_3)
	v_fma_f64 v[28:29], v[34:35], v[28:29], s[78:79]
	v_add_f64 v[38:39], v[42:43], -v[40:41]
	v_add_f64 v[36:37], v[42:43], v[36:37]
	s_delay_alu instid0(VALU_DEP_3) | instskip(NEXT) | instid1(VALU_DEP_3)
	v_mul_f64 v[28:29], v[34:35], v[28:29]
	v_add_f64 v[34:35], v[42:43], -v[38:39]
	v_add_f64 v[26:27], v[26:27], -v[38:39]
	s_delay_alu instid0(VALU_DEP_4) | instskip(NEXT) | instid1(VALU_DEP_4)
	v_add_f64 v[42:43], v[44:45], v[36:37]
	v_fma_f64 v[6:7], v[6:7], v[28:29], v[6:7]
	s_delay_alu instid0(VALU_DEP_4) | instskip(NEXT) | instid1(VALU_DEP_3)
	v_add_f64 v[28:29], v[40:41], -v[34:35]
	v_add_f64 v[34:35], v[42:43], -v[44:45]
	s_delay_alu instid0(VALU_DEP_3) | instskip(NEXT) | instid1(VALU_DEP_3)
	v_add_f64 v[38:39], -v[6:7], s[80:81]
	v_add_f64 v[26:27], v[26:27], v[28:29]
	s_delay_alu instid0(VALU_DEP_3) | instskip(NEXT) | instid1(VALU_DEP_3)
	v_add_f64 v[28:29], v[36:37], -v[34:35]
	v_cndmask_b32_e64 v7, v7, v39, s0
	s_delay_alu instid0(VALU_DEP_4) | instskip(NEXT) | instid1(VALU_DEP_3)
	v_cndmask_b32_e64 v6, v6, v38, s0
	v_add_f64 v[26:27], v[26:27], v[28:29]
	s_delay_alu instid0(VALU_DEP_2) | instskip(NEXT) | instid1(VALU_DEP_2)
	v_add_f64 v[28:29], -v[6:7], s[10:11]
	v_add_f64 v[26:27], v[42:43], v[26:27]
	s_delay_alu instid0(VALU_DEP_2) | instskip(SKIP_1) | instid1(VALU_DEP_2)
	v_dual_cndmask_b32 v6, v6, v28 :: v_dual_cndmask_b32 v7, v7, v29
	v_cmp_ngt_f64_e32 vcc_lo, 0, v[32:33]
	v_cndmask_b32_e64 v11, v6, v11, s2
	s_delay_alu instid0(VALU_DEP_3) | instskip(SKIP_3) | instid1(VALU_DEP_3)
	v_cndmask_b32_e64 v6, v7, v8, s2
	v_cndmask_b32_e64 v27, v27, v31, s1
	;; [unrolled: 1-line block ×3, first 2 shown]
	v_cmp_nge_f64_e64 s1, 0, v[32:33]
	v_cndmask_b32_e64 v27, v27, 0x7ff00000, s6
	s_delay_alu instid0(VALU_DEP_3) | instskip(NEXT) | instid1(VALU_DEP_2)
	v_cndmask_b32_e64 v7, v26, 0, s6
	v_cndmask_b32_e32 v8, 0x7ff80000, v27, vcc_lo
	s_and_b32 vcc_lo, s4, s5
	v_dual_cndmask_b32 v27, v6, v19 :: v_dual_cndmask_b32 v26, v11, v10
	s_delay_alu instid0(VALU_DEP_3) | instskip(SKIP_1) | instid1(VALU_DEP_1)
	v_cndmask_b32_e64 v6, 0, v7, s1
	v_cmp_neq_f64_e64 s1, 0, v[32:33]
	v_cndmask_b32_e64 v7, 0xfff00000, v8, s1
.LBB198_213:                            ;   in Loop: Header=BB198_162 Depth=1
	s_or_b32 exec_lo, exec_lo, s3
                                        ; implicit-def: $vgpr30_vgpr31
.LBB198_214:                            ;   in Loop: Header=BB198_162 Depth=1
	s_and_not1_saveexec_b32 s3, s96
	s_cbranch_execz .LBB198_220
; %bb.215:                              ;   in Loop: Header=BB198_162 Depth=1
                                        ; implicit-def: $vgpr6_vgpr7
                                        ; implicit-def: $vgpr26_vgpr27
	s_mov_b32 s1, exec_lo
	v_cmpx_ngt_f64_e32 s[84:85], v[30:31]
	s_xor_b32 s4, exec_lo, s1
	s_cbranch_execz .LBB198_217
; %bb.216:                              ;   in Loop: Header=BB198_162 Depth=1
	v_mul_f64 v[6:7], v[30:31], v[30:31]
	s_mov_b32 s91, s21
	s_mov_b32 s10, s80
	v_cmp_eq_f64_e64 s2, 0, v[12:13]
	v_cmp_class_f64_e64 s5, v[12:13], 0x204
	v_cmp_class_f64_e64 s6, v[10:11], 0x204
	v_cmp_gt_i32_e64 s1, 0, v11
	v_add_f64 v[26:27], v[6:7], 1.0
	s_delay_alu instid0(VALU_DEP_1) | instskip(SKIP_2) | instid1(VALU_DEP_3)
	v_frexp_mant_f64_e32 v[28:29], v[26:27]
	v_frexp_exp_i32_f64_e32 v8, v[26:27]
	v_add_f64 v[30:31], v[26:27], -1.0
	v_cmp_gt_f64_e32 vcc_lo, s[20:21], v[28:29]
	s_delay_alu instid0(VALU_DEP_2) | instskip(SKIP_2) | instid1(VALU_DEP_3)
	v_add_f64 v[28:29], v[30:31], -v[26:27]
	v_add_f64 v[30:31], v[6:7], -v[30:31]
	v_subrev_co_ci_u32_e32 v8, vcc_lo, 0, v8, vcc_lo
	v_add_f64 v[28:29], v[28:29], 1.0
	s_delay_alu instid0(VALU_DEP_2) | instskip(NEXT) | instid1(VALU_DEP_1)
	v_sub_nc_u32_e32 v19, 0, v8
	v_ldexp_f64 v[26:27], v[26:27], v19
	s_delay_alu instid0(VALU_DEP_3) | instskip(NEXT) | instid1(VALU_DEP_2)
	v_add_f64 v[28:29], v[30:31], v[28:29]
	v_add_f64 v[32:33], v[26:27], 1.0
	v_add_f64 v[38:39], v[26:27], -1.0
	s_delay_alu instid0(VALU_DEP_3) | instskip(SKIP_1) | instid1(VALU_DEP_4)
	v_ldexp_f64 v[28:29], v[28:29], v19
	v_cndmask_b32_e64 v19, 0x54442d18, v54, s1
	v_add_f64 v[30:31], v[32:33], -1.0
	s_delay_alu instid0(VALU_DEP_4) | instskip(NEXT) | instid1(VALU_DEP_2)
	v_add_f64 v[40:41], v[38:39], 1.0
	v_add_f64 v[30:31], v[26:27], -v[30:31]
	s_delay_alu instid0(VALU_DEP_2) | instskip(NEXT) | instid1(VALU_DEP_2)
	v_add_f64 v[26:27], v[26:27], -v[40:41]
	v_add_f64 v[30:31], v[28:29], v[30:31]
	s_delay_alu instid0(VALU_DEP_2) | instskip(NEXT) | instid1(VALU_DEP_2)
	v_add_f64 v[26:27], v[28:29], v[26:27]
	v_add_f64 v[34:35], v[32:33], v[30:31]
	s_delay_alu instid0(VALU_DEP_2) | instskip(NEXT) | instid1(VALU_DEP_2)
	v_add_f64 v[40:41], v[38:39], v[26:27]
	v_rcp_f64_e32 v[36:37], v[34:35]
	v_add_f64 v[32:33], v[32:33], -v[34:35]
	s_delay_alu instid0(VALU_DEP_2) | instskip(NEXT) | instid1(VALU_DEP_2)
	v_add_f64 v[38:39], v[38:39], -v[40:41]
	v_add_f64 v[30:31], v[30:31], v[32:33]
	s_waitcnt_depctr 0xfff
	v_fma_f64 v[42:43], -v[34:35], v[36:37], 1.0
	v_add_f64 v[26:27], v[26:27], v[38:39]
	s_delay_alu instid0(VALU_DEP_2) | instskip(NEXT) | instid1(VALU_DEP_1)
	v_fma_f64 v[36:37], v[42:43], v[36:37], v[36:37]
	v_fma_f64 v[28:29], -v[34:35], v[36:37], 1.0
	s_delay_alu instid0(VALU_DEP_1) | instskip(NEXT) | instid1(VALU_DEP_1)
	v_fma_f64 v[28:29], v[28:29], v[36:37], v[36:37]
	v_mul_f64 v[36:37], v[40:41], v[28:29]
	s_delay_alu instid0(VALU_DEP_1) | instskip(NEXT) | instid1(VALU_DEP_1)
	v_mul_f64 v[42:43], v[34:35], v[36:37]
	v_fma_f64 v[32:33], v[36:37], v[34:35], -v[42:43]
	s_delay_alu instid0(VALU_DEP_1) | instskip(NEXT) | instid1(VALU_DEP_1)
	v_fma_f64 v[32:33], v[36:37], v[30:31], v[32:33]
	v_add_f64 v[44:45], v[42:43], v[32:33]
	s_delay_alu instid0(VALU_DEP_1) | instskip(SKIP_2) | instid1(VALU_DEP_3)
	v_add_f64 v[46:47], v[40:41], -v[44:45]
	v_add_f64 v[38:39], v[44:45], -v[42:43]
	v_max_f64 v[42:43], |v[12:13]|, |v[12:13]|
	v_add_f64 v[40:41], v[40:41], -v[46:47]
	s_delay_alu instid0(VALU_DEP_3) | instskip(NEXT) | instid1(VALU_DEP_2)
	v_add_f64 v[32:33], v[38:39], -v[32:33]
	v_add_f64 v[40:41], v[40:41], -v[44:45]
	v_max_f64 v[44:45], |v[10:11]|, |v[10:11]|
	v_cndmask_b32_e64 v10, 0x3fe921fb, v55, s1
	s_delay_alu instid0(VALU_DEP_1) | instskip(NEXT) | instid1(VALU_DEP_4)
	v_bfi_b32 v10, 0x7fffffff, v10, v13
	v_add_f64 v[26:27], v[26:27], v[40:41]
	s_delay_alu instid0(VALU_DEP_4) | instskip(SKIP_1) | instid1(VALU_DEP_3)
	v_max_f64 v[48:49], v[44:45], v[42:43]
	v_min_f64 v[42:43], v[44:45], v[42:43]
	v_add_f64 v[26:27], v[32:33], v[26:27]
	s_delay_alu instid0(VALU_DEP_1) | instskip(NEXT) | instid1(VALU_DEP_1)
	v_add_f64 v[32:33], v[46:47], v[26:27]
	v_mul_f64 v[38:39], v[28:29], v[32:33]
	v_add_f64 v[46:47], v[46:47], -v[32:33]
	s_delay_alu instid0(VALU_DEP_2) | instskip(NEXT) | instid1(VALU_DEP_2)
	v_mul_f64 v[40:41], v[34:35], v[38:39]
	v_add_f64 v[26:27], v[26:27], v[46:47]
	s_delay_alu instid0(VALU_DEP_2) | instskip(NEXT) | instid1(VALU_DEP_1)
	v_fma_f64 v[34:35], v[38:39], v[34:35], -v[40:41]
	v_fma_f64 v[30:31], v[38:39], v[30:31], v[34:35]
	v_div_scale_f64 v[34:35], null, v[48:49], v[48:49], v[42:43]
	s_delay_alu instid0(VALU_DEP_2) | instskip(NEXT) | instid1(VALU_DEP_2)
	v_add_f64 v[44:45], v[40:41], v[30:31]
	v_rcp_f64_e32 v[50:51], v[34:35]
	s_delay_alu instid0(VALU_DEP_1)
	v_add_f64 v[52:53], v[32:33], -v[44:45]
	v_add_f64 v[40:41], v[44:45], -v[40:41]
	s_waitcnt_depctr 0xfff
	v_fma_f64 v[56:57], -v[34:35], v[50:51], 1.0
	v_add_f64 v[32:33], v[32:33], -v[52:53]
	v_add_f64 v[30:31], v[40:41], -v[30:31]
	s_delay_alu instid0(VALU_DEP_3) | instskip(NEXT) | instid1(VALU_DEP_3)
	v_fma_f64 v[50:51], v[50:51], v[56:57], v[50:51]
	v_add_f64 v[32:33], v[32:33], -v[44:45]
	s_delay_alu instid0(VALU_DEP_2) | instskip(NEXT) | instid1(VALU_DEP_2)
	v_fma_f64 v[44:45], -v[34:35], v[50:51], 1.0
	v_add_f64 v[26:27], v[26:27], v[32:33]
	v_div_scale_f64 v[32:33], vcc_lo, v[42:43], v[48:49], v[42:43]
	s_delay_alu instid0(VALU_DEP_3) | instskip(SKIP_1) | instid1(VALU_DEP_4)
	v_fma_f64 v[40:41], v[50:51], v[44:45], v[50:51]
	v_add_f64 v[44:45], v[36:37], v[38:39]
	v_add_f64 v[26:27], v[30:31], v[26:27]
	s_delay_alu instid0(VALU_DEP_3) | instskip(NEXT) | instid1(VALU_DEP_3)
	v_mul_f64 v[30:31], v[32:33], v[40:41]
	v_add_f64 v[36:37], v[44:45], -v[36:37]
	s_delay_alu instid0(VALU_DEP_3) | instskip(NEXT) | instid1(VALU_DEP_3)
	v_add_f64 v[26:27], v[52:53], v[26:27]
	v_fma_f64 v[32:33], -v[34:35], v[30:31], v[32:33]
	s_delay_alu instid0(VALU_DEP_3) | instskip(NEXT) | instid1(VALU_DEP_3)
	v_add_f64 v[34:35], v[38:39], -v[36:37]
	v_mul_f64 v[26:27], v[28:29], v[26:27]
	s_delay_alu instid0(VALU_DEP_3) | instskip(SKIP_1) | instid1(VALU_DEP_3)
	v_div_fmas_f64 v[28:29], v[32:33], v[40:41], v[30:31]
	v_cmp_eq_f64_e32 vcc_lo, 0x7ff00000, v[6:7]
	v_add_f64 v[26:27], v[34:35], v[26:27]
	s_delay_alu instid0(VALU_DEP_3) | instskip(NEXT) | instid1(VALU_DEP_2)
	v_div_fixup_f64 v[28:29], v[28:29], v[48:49], v[42:43]
	v_add_f64 v[30:31], v[44:45], v[26:27]
	s_delay_alu instid0(VALU_DEP_2) | instskip(NEXT) | instid1(VALU_DEP_2)
	v_mul_f64 v[32:33], v[28:29], v[28:29]
	v_mul_f64 v[34:35], v[30:31], v[30:31]
	s_delay_alu instid0(VALU_DEP_2) | instskip(NEXT) | instid1(VALU_DEP_2)
	v_fma_f64 v[36:37], v[32:33], s[42:43], s[40:41]
	v_fma_f64 v[38:39], v[34:35], s[24:25], s[22:23]
	v_mul_f64 v[40:41], v[30:31], v[34:35]
	s_delay_alu instid0(VALU_DEP_3) | instskip(NEXT) | instid1(VALU_DEP_3)
	v_fma_f64 v[36:37], v[32:33], v[36:37], s[44:45]
	v_fma_f64 v[38:39], v[34:35], v[38:39], s[26:27]
	s_delay_alu instid0(VALU_DEP_2) | instskip(NEXT) | instid1(VALU_DEP_2)
	v_fma_f64 v[36:37], v[32:33], v[36:37], s[46:47]
	v_fma_f64 v[38:39], v[34:35], v[38:39], s[28:29]
	s_delay_alu instid0(VALU_DEP_2) | instskip(NEXT) | instid1(VALU_DEP_2)
	;; [unrolled: 3-line block ×4, first 2 shown]
	v_fma_f64 v[36:37], v[32:33], v[36:37], s[52:53]
	v_fma_f64 v[34:35], v[34:35], v[38:39], s[90:91]
	v_ldexp_f64 v[38:39], v[30:31], 1
	v_add_f64 v[30:31], v[30:31], -v[44:45]
	s_delay_alu instid0(VALU_DEP_4) | instskip(NEXT) | instid1(VALU_DEP_4)
	v_fma_f64 v[36:37], v[32:33], v[36:37], s[54:55]
	v_mul_f64 v[34:35], v[40:41], v[34:35]
	v_cvt_f64_i32_e32 v[40:41], v8
	s_delay_alu instid0(VALU_DEP_4) | instskip(NEXT) | instid1(VALU_DEP_4)
	v_add_f64 v[26:27], v[26:27], -v[30:31]
	v_fma_f64 v[36:37], v[32:33], v[36:37], s[56:57]
	v_ashrrev_i32_e32 v8, 31, v11
	v_add_f64 v[42:43], v[38:39], v[34:35]
	v_mul_f64 v[44:45], v[40:41], s[36:37]
	v_ldexp_f64 v[26:27], v[26:27], 1
	v_fma_f64 v[36:37], v[32:33], v[36:37], s[58:59]
	s_delay_alu instid0(VALU_DEP_4) | instskip(NEXT) | instid1(VALU_DEP_4)
	v_add_f64 v[30:31], v[42:43], -v[38:39]
	v_fma_f64 v[38:39], v[40:41], s[36:37], -v[44:45]
	s_delay_alu instid0(VALU_DEP_3) | instskip(NEXT) | instid1(VALU_DEP_3)
	v_fma_f64 v[36:37], v[32:33], v[36:37], s[60:61]
	v_add_f64 v[30:31], v[34:35], -v[30:31]
	s_delay_alu instid0(VALU_DEP_2) | instskip(NEXT) | instid1(VALU_DEP_4)
	v_fma_f64 v[34:35], v[32:33], v[36:37], s[62:63]
	v_fma_f64 v[36:37], v[40:41], s[38:39], v[38:39]
	s_delay_alu instid0(VALU_DEP_3) | instskip(NEXT) | instid1(VALU_DEP_3)
	v_add_f64 v[26:27], v[26:27], v[30:31]
	v_fma_f64 v[30:31], v[32:33], v[34:35], s[64:65]
	s_delay_alu instid0(VALU_DEP_3) | instskip(NEXT) | instid1(VALU_DEP_3)
	v_add_f64 v[34:35], v[44:45], v[36:37]
	v_add_f64 v[38:39], v[42:43], v[26:27]
	s_delay_alu instid0(VALU_DEP_3) | instskip(NEXT) | instid1(VALU_DEP_3)
	v_fma_f64 v[30:31], v[32:33], v[30:31], s[66:67]
	v_add_f64 v[44:45], v[34:35], -v[44:45]
	s_delay_alu instid0(VALU_DEP_3) | instskip(SKIP_1) | instid1(VALU_DEP_4)
	v_add_f64 v[40:41], v[34:35], v[38:39]
	v_add_f64 v[42:43], v[38:39], -v[42:43]
	v_fma_f64 v[30:31], v[32:33], v[30:31], s[68:69]
	s_delay_alu instid0(VALU_DEP_4) | instskip(NEXT) | instid1(VALU_DEP_4)
	v_add_f64 v[36:37], v[36:37], -v[44:45]
	v_add_f64 v[46:47], v[40:41], -v[34:35]
	s_delay_alu instid0(VALU_DEP_4) | instskip(NEXT) | instid1(VALU_DEP_4)
	v_add_f64 v[26:27], v[26:27], -v[42:43]
	v_fma_f64 v[30:31], v[32:33], v[30:31], s[70:71]
	s_delay_alu instid0(VALU_DEP_3) | instskip(SKIP_1) | instid1(VALU_DEP_4)
	v_add_f64 v[48:49], v[40:41], -v[46:47]
	v_add_f64 v[38:39], v[38:39], -v[46:47]
	v_add_f64 v[42:43], v[36:37], v[26:27]
	s_delay_alu instid0(VALU_DEP_4) | instskip(NEXT) | instid1(VALU_DEP_4)
	v_fma_f64 v[30:31], v[32:33], v[30:31], s[72:73]
	v_add_f64 v[34:35], v[34:35], -v[48:49]
	s_delay_alu instid0(VALU_DEP_2) | instskip(NEXT) | instid1(VALU_DEP_2)
	v_fma_f64 v[30:31], v[32:33], v[30:31], s[74:75]
	v_add_f64 v[34:35], v[38:39], v[34:35]
	v_add_f64 v[38:39], v[42:43], -v[36:37]
	s_delay_alu instid0(VALU_DEP_3) | instskip(NEXT) | instid1(VALU_DEP_3)
	v_fma_f64 v[30:31], v[32:33], v[30:31], s[76:77]
	v_add_f64 v[34:35], v[42:43], v[34:35]
	s_delay_alu instid0(VALU_DEP_3) | instskip(SKIP_1) | instid1(VALU_DEP_4)
	v_add_f64 v[42:43], v[42:43], -v[38:39]
	v_add_f64 v[26:27], v[26:27], -v[38:39]
	v_fma_f64 v[30:31], v[32:33], v[30:31], s[78:79]
	s_delay_alu instid0(VALU_DEP_4) | instskip(NEXT) | instid1(VALU_DEP_2)
	v_add_f64 v[44:45], v[40:41], v[34:35]
	v_mul_f64 v[30:31], v[32:33], v[30:31]
	v_add_f64 v[32:33], v[36:37], -v[42:43]
	s_delay_alu instid0(VALU_DEP_3) | instskip(NEXT) | instid1(VALU_DEP_3)
	v_add_f64 v[36:37], v[44:45], -v[40:41]
	v_fma_f64 v[28:29], v[28:29], v[30:31], v[28:29]
	s_delay_alu instid0(VALU_DEP_3) | instskip(NEXT) | instid1(VALU_DEP_3)
	v_add_f64 v[26:27], v[26:27], v[32:33]
	v_add_f64 v[30:31], v[34:35], -v[36:37]
	s_delay_alu instid0(VALU_DEP_3) | instskip(NEXT) | instid1(VALU_DEP_2)
	v_add_f64 v[32:33], -v[28:29], s[80:81]
	v_add_f64 v[26:27], v[26:27], v[30:31]
	s_delay_alu instid0(VALU_DEP_2) | instskip(NEXT) | instid1(VALU_DEP_3)
	v_cndmask_b32_e64 v29, v29, v33, s0
	v_cndmask_b32_e64 v28, v28, v32, s0
	s_delay_alu instid0(VALU_DEP_1) | instskip(NEXT) | instid1(VALU_DEP_4)
	v_add_f64 v[30:31], -v[28:29], s[10:11]
	v_add_f64 v[26:27], v[44:45], v[26:27]
	v_and_b32_e32 v32, 0x54442d18, v8
	v_and_b32_e32 v8, 0x400921fb, v8
	s_delay_alu instid0(VALU_DEP_4) | instskip(SKIP_1) | instid1(VALU_DEP_1)
	v_cndmask_b32_e64 v28, v28, v30, s1
	v_cndmask_b32_e64 v11, v29, v31, s1
                                        ; implicit-def: $vgpr30_vgpr31
	v_cndmask_b32_e64 v8, v11, v8, s2
	v_dual_cndmask_b32 v7, v27, v7 :: v_dual_cndmask_b32 v6, v26, v6
	s_delay_alu instid0(VALU_DEP_4) | instskip(SKIP_1) | instid1(VALU_DEP_3)
	v_cndmask_b32_e64 v26, v28, v32, s2
	s_and_b32 vcc_lo, s6, s5
	v_cndmask_b32_e32 v27, v8, v10, vcc_lo
	s_delay_alu instid0(VALU_DEP_3) | instskip(NEXT) | instid1(VALU_DEP_3)
	v_mul_f64 v[6:7], v[6:7], 0.5
	v_cndmask_b32_e32 v26, v26, v19, vcc_lo
.LBB198_217:                            ;   in Loop: Header=BB198_162 Depth=1
	s_and_not1_saveexec_b32 s2, s4
	s_cbranch_execz .LBB198_219
; %bb.218:                              ;   in Loop: Header=BB198_162 Depth=1
	v_max_f64 v[6:7], |v[12:13]|, |v[12:13]|
	v_max_f64 v[26:27], |v[10:11]|, |v[10:11]|
	s_mov_b32 s10, s80
	v_cmp_eq_f64_e64 s1, 0, v[12:13]
	v_cmp_class_f64_e64 s4, v[12:13], 0x204
	v_cmp_class_f64_e64 s5, v[10:11], 0x204
	v_ashrrev_i32_e32 v19, 31, v11
	v_max_f64 v[28:29], v[26:27], v[6:7]
	v_min_f64 v[6:7], v[26:27], v[6:7]
	s_delay_alu instid0(VALU_DEP_1) | instskip(SKIP_1) | instid1(VALU_DEP_2)
	v_div_scale_f64 v[26:27], null, v[28:29], v[28:29], v[6:7]
	v_div_scale_f64 v[36:37], vcc_lo, v[6:7], v[28:29], v[6:7]
	v_rcp_f64_e32 v[32:33], v[26:27]
	s_waitcnt_depctr 0xfff
	v_fma_f64 v[34:35], -v[26:27], v[32:33], 1.0
	s_delay_alu instid0(VALU_DEP_1) | instskip(NEXT) | instid1(VALU_DEP_1)
	v_fma_f64 v[32:33], v[32:33], v[34:35], v[32:33]
	v_fma_f64 v[34:35], -v[26:27], v[32:33], 1.0
	s_delay_alu instid0(VALU_DEP_1) | instskip(NEXT) | instid1(VALU_DEP_1)
	v_fma_f64 v[32:33], v[32:33], v[34:35], v[32:33]
	v_mul_f64 v[34:35], v[36:37], v[32:33]
	s_delay_alu instid0(VALU_DEP_1) | instskip(NEXT) | instid1(VALU_DEP_1)
	v_fma_f64 v[26:27], -v[26:27], v[34:35], v[36:37]
	v_div_fmas_f64 v[26:27], v[26:27], v[32:33], v[34:35]
	v_cmp_gt_i32_e32 vcc_lo, 0, v11
	v_and_b32_e32 v33, 0x54442d18, v19
	v_and_b32_e32 v11, 0x400921fb, v19
	v_cndmask_b32_e32 v32, 0x54442d18, v54, vcc_lo
	v_cndmask_b32_e32 v10, 0x3fe921fb, v55, vcc_lo
	s_delay_alu instid0(VALU_DEP_1) | instskip(SKIP_1) | instid1(VALU_DEP_1)
	v_bfi_b32 v10, 0x7fffffff, v10, v13
	v_div_fixup_f64 v[6:7], v[26:27], v[28:29], v[6:7]
	v_mul_f64 v[26:27], v[6:7], v[6:7]
	s_delay_alu instid0(VALU_DEP_1) | instskip(NEXT) | instid1(VALU_DEP_1)
	v_fma_f64 v[28:29], v[26:27], s[42:43], s[40:41]
	v_fma_f64 v[28:29], v[26:27], v[28:29], s[44:45]
	s_delay_alu instid0(VALU_DEP_1) | instskip(NEXT) | instid1(VALU_DEP_1)
	v_fma_f64 v[28:29], v[26:27], v[28:29], s[46:47]
	v_fma_f64 v[28:29], v[26:27], v[28:29], s[48:49]
	;; [unrolled: 3-line block ×9, first 2 shown]
	s_delay_alu instid0(VALU_DEP_1) | instskip(NEXT) | instid1(VALU_DEP_1)
	v_fma_f64 v[28:29], v[26:27], v[28:29], s[78:79]
	v_mul_f64 v[26:27], v[26:27], v[28:29]
	v_mul_f64 v[28:29], v[30:31], 0.5
	s_delay_alu instid0(VALU_DEP_2) | instskip(NEXT) | instid1(VALU_DEP_1)
	v_fma_f64 v[6:7], v[6:7], v[26:27], v[6:7]
	v_add_f64 v[26:27], -v[6:7], s[80:81]
	s_delay_alu instid0(VALU_DEP_1) | instskip(NEXT) | instid1(VALU_DEP_2)
	v_cndmask_b32_e64 v8, v7, v27, s0
	v_cndmask_b32_e64 v7, v6, v26, s0
	s_delay_alu instid0(VALU_DEP_1) | instskip(NEXT) | instid1(VALU_DEP_1)
	v_add_f64 v[26:27], -v[7:8], s[10:11]
	v_cndmask_b32_e32 v26, v7, v26, vcc_lo
	v_mul_f64 v[6:7], v[30:31], v[28:29]
	s_delay_alu instid0(VALU_DEP_3) | instskip(SKIP_1) | instid1(VALU_DEP_3)
	v_cndmask_b32_e32 v8, v8, v27, vcc_lo
	s_and_b32 vcc_lo, s5, s4
	v_cndmask_b32_e64 v19, v26, v33, s1
	s_delay_alu instid0(VALU_DEP_2) | instskip(NEXT) | instid1(VALU_DEP_1)
	v_cndmask_b32_e64 v8, v8, v11, s1
	v_dual_cndmask_b32 v26, v19, v32 :: v_dual_cndmask_b32 v27, v8, v10
.LBB198_219:                            ;   in Loop: Header=BB198_162 Depth=1
	s_or_b32 exec_lo, exec_lo, s2
.LBB198_220:                            ;   in Loop: Header=BB198_162 Depth=1
	s_delay_alu instid0(SALU_CYCLE_1)
	s_or_b32 exec_lo, exec_lo, s3
.LBB198_221:                            ;   in Loop: Header=BB198_162 Depth=1
	s_and_not1_saveexec_b32 s3, s95
	s_cbranch_execz .LBB198_223
; %bb.222:                              ;   in Loop: Header=BB198_162 Depth=1
	v_div_scale_f64 v[6:7], null, s[86:87], s[86:87], v[10:11]
	v_div_scale_f64 v[26:27], null, s[86:87], s[86:87], v[12:13]
	v_div_scale_f64 v[36:37], vcc_lo, v[10:11], s[86:87], v[10:11]
	v_max_f64 v[40:41], |v[10:11]|, |v[10:11]|
	s_mov_b32 s91, s21
	s_mov_b32 s10, s80
	s_delay_alu instid0(VALU_DEP_4) | instskip(NEXT) | instid1(VALU_DEP_3)
	v_rcp_f64_e32 v[28:29], v[6:7]
	v_rcp_f64_e32 v[30:31], v[26:27]
	s_waitcnt_depctr 0xfff
	v_fma_f64 v[32:33], -v[6:7], v[28:29], 1.0
	v_fma_f64 v[34:35], -v[26:27], v[30:31], 1.0
	s_delay_alu instid0(VALU_DEP_2) | instskip(NEXT) | instid1(VALU_DEP_2)
	v_fma_f64 v[28:29], v[28:29], v[32:33], v[28:29]
	v_fma_f64 v[30:31], v[30:31], v[34:35], v[30:31]
	s_delay_alu instid0(VALU_DEP_2) | instskip(NEXT) | instid1(VALU_DEP_2)
	v_fma_f64 v[32:33], -v[6:7], v[28:29], 1.0
	v_fma_f64 v[34:35], -v[26:27], v[30:31], 1.0
	s_delay_alu instid0(VALU_DEP_2) | instskip(SKIP_1) | instid1(VALU_DEP_3)
	v_fma_f64 v[28:29], v[28:29], v[32:33], v[28:29]
	v_div_scale_f64 v[32:33], s1, v[12:13], s[86:87], v[12:13]
	v_fma_f64 v[30:31], v[30:31], v[34:35], v[30:31]
	s_delay_alu instid0(VALU_DEP_3) | instskip(NEXT) | instid1(VALU_DEP_2)
	v_mul_f64 v[34:35], v[36:37], v[28:29]
	v_mul_f64 v[38:39], v[32:33], v[30:31]
	s_delay_alu instid0(VALU_DEP_2) | instskip(NEXT) | instid1(VALU_DEP_2)
	v_fma_f64 v[6:7], -v[6:7], v[34:35], v[36:37]
	v_fma_f64 v[26:27], -v[26:27], v[38:39], v[32:33]
	s_delay_alu instid0(VALU_DEP_2) | instskip(SKIP_1) | instid1(VALU_DEP_2)
	v_div_fmas_f64 v[6:7], v[6:7], v[28:29], v[34:35]
	s_mov_b32 vcc_lo, s1
	v_div_fmas_f64 v[26:27], v[26:27], v[30:31], v[38:39]
	s_delay_alu instid0(VALU_DEP_2) | instskip(NEXT) | instid1(VALU_DEP_2)
	v_div_fixup_f64 v[6:7], v[6:7], s[86:87], v[10:11]
	v_div_fixup_f64 v[26:27], v[26:27], s[86:87], v[12:13]
	s_delay_alu instid0(VALU_DEP_2) | instskip(NEXT) | instid1(VALU_DEP_2)
	v_cmp_class_f64_e64 s2, v[6:7], 0x204
	v_max_f64 v[28:29], |v[6:7]|, |v[26:27]|
	v_cmp_o_f64_e64 s1, v[6:7], v[26:27]
	v_cmp_class_f64_e64 s4, v[26:27], 0x204
	s_delay_alu instid0(VALU_DEP_3) | instskip(NEXT) | instid1(VALU_DEP_2)
	v_frexp_exp_i32_f64_e32 v8, v[28:29]
	s_or_b32 s4, s2, s4
	s_delay_alu instid0(VALU_DEP_1) | instskip(NEXT) | instid1(VALU_DEP_1)
	v_sub_nc_u32_e32 v19, 0, v8
	v_ldexp_f64 v[28:29], |v[26:27]|, v19
	v_ldexp_f64 v[30:31], |v[6:7]|, v19
	s_delay_alu instid0(VALU_DEP_2) | instskip(NEXT) | instid1(VALU_DEP_1)
	v_mul_f64 v[28:29], v[28:29], v[28:29]
	v_fma_f64 v[28:29], v[30:31], v[30:31], v[28:29]
	s_delay_alu instid0(VALU_DEP_1) | instskip(SKIP_4) | instid1(VALU_DEP_1)
	v_rsq_f64_e32 v[30:31], v[28:29]
	v_cmp_eq_f64_e32 vcc_lo, 0, v[28:29]
	s_waitcnt_depctr 0xfff
	v_mul_f64 v[32:33], v[28:29], v[30:31]
	v_mul_f64 v[30:31], v[30:31], 0.5
	v_fma_f64 v[34:35], -v[30:31], v[32:33], 0.5
	s_delay_alu instid0(VALU_DEP_1) | instskip(SKIP_1) | instid1(VALU_DEP_2)
	v_fma_f64 v[32:33], v[32:33], v[34:35], v[32:33]
	v_fma_f64 v[30:31], v[30:31], v[34:35], v[30:31]
	v_fma_f64 v[34:35], -v[32:33], v[32:33], v[28:29]
	s_delay_alu instid0(VALU_DEP_1) | instskip(NEXT) | instid1(VALU_DEP_1)
	v_fma_f64 v[30:31], v[34:35], v[30:31], v[32:33]
	v_dual_cndmask_b32 v29, v31, v29 :: v_dual_cndmask_b32 v28, v30, v28
	s_delay_alu instid0(VALU_DEP_1) | instskip(NEXT) | instid1(VALU_DEP_1)
	v_ldexp_f64 v[28:29], v[28:29], v8
	v_cndmask_b32_e64 v6, 0, v28, s1
	s_delay_alu instid0(VALU_DEP_2) | instskip(NEXT) | instid1(VALU_DEP_2)
	v_cndmask_b32_e64 v52, 0x7ff80000, v29, s1
	v_cndmask_b32_e64 v7, v6, 0, s4
	s_delay_alu instid0(VALU_DEP_2) | instskip(NEXT) | instid1(VALU_DEP_1)
	v_cndmask_b32_e64 v8, v52, 0x7ff00000, s4
	v_frexp_mant_f64_e32 v[26:27], v[7:8]
	s_delay_alu instid0(VALU_DEP_1) | instskip(NEXT) | instid1(VALU_DEP_1)
	v_cmp_gt_f64_e64 s2, s[20:21], v[26:27]
	v_cndmask_b32_e64 v19, 0x3ff00000, 2.0, s2
	s_delay_alu instid0(VALU_DEP_1) | instskip(SKIP_1) | instid1(VALU_DEP_2)
	v_mul_f64 v[26:27], v[26:27], v[18:19]
	v_frexp_exp_i32_f64_e32 v19, v[7:8]
	v_add_f64 v[30:31], v[26:27], 1.0
	v_add_f64 v[36:37], v[26:27], -1.0
	s_delay_alu instid0(VALU_DEP_2) | instskip(SKIP_1) | instid1(VALU_DEP_1)
	v_rcp_f64_e32 v[32:33], v[30:31]
	v_add_f64 v[42:43], v[30:31], -1.0
	v_add_f64 v[26:27], v[26:27], -v[42:43]
	s_waitcnt_depctr 0xfff
	v_fma_f64 v[34:35], -v[30:31], v[32:33], 1.0
	s_delay_alu instid0(VALU_DEP_1) | instskip(NEXT) | instid1(VALU_DEP_1)
	v_fma_f64 v[32:33], v[34:35], v[32:33], v[32:33]
	v_fma_f64 v[34:35], -v[30:31], v[32:33], 1.0
	s_delay_alu instid0(VALU_DEP_1) | instskip(SKIP_1) | instid1(VALU_DEP_2)
	v_fma_f64 v[32:33], v[34:35], v[32:33], v[32:33]
	v_max_f64 v[34:35], |v[12:13]|, |v[12:13]|
	v_mul_f64 v[38:39], v[36:37], v[32:33]
	s_delay_alu instid0(VALU_DEP_2) | instskip(SKIP_1) | instid1(VALU_DEP_3)
	v_max_f64 v[46:47], v[40:41], v[34:35]
	v_min_f64 v[34:35], v[40:41], v[34:35]
	v_mul_f64 v[44:45], v[30:31], v[38:39]
	s_delay_alu instid0(VALU_DEP_2) | instskip(NEXT) | instid1(VALU_DEP_2)
	v_div_scale_f64 v[40:41], null, v[46:47], v[46:47], v[34:35]
	v_fma_f64 v[30:31], v[38:39], v[30:31], -v[44:45]
	s_delay_alu instid0(VALU_DEP_1) | instskip(NEXT) | instid1(VALU_DEP_3)
	v_fma_f64 v[26:27], v[38:39], v[26:27], v[30:31]
	v_rcp_f64_e32 v[30:31], v[40:41]
	s_delay_alu instid0(VALU_DEP_1) | instskip(SKIP_4) | instid1(VALU_DEP_3)
	v_add_f64 v[42:43], v[44:45], v[26:27]
	s_waitcnt_depctr 0xfff
	v_fma_f64 v[48:49], -v[40:41], v[30:31], 1.0
	v_add_f64 v[50:51], v[36:37], -v[42:43]
	v_add_f64 v[44:45], v[42:43], -v[44:45]
	v_fma_f64 v[30:31], v[30:31], v[48:49], v[30:31]
	s_delay_alu instid0(VALU_DEP_3) | instskip(NEXT) | instid1(VALU_DEP_3)
	v_add_f64 v[36:37], v[36:37], -v[50:51]
	v_add_f64 v[26:27], v[44:45], -v[26:27]
	s_delay_alu instid0(VALU_DEP_3) | instskip(NEXT) | instid1(VALU_DEP_3)
	v_fma_f64 v[48:49], -v[40:41], v[30:31], 1.0
	v_add_f64 v[36:37], v[36:37], -v[42:43]
	v_div_scale_f64 v[42:43], vcc_lo, v[34:35], v[46:47], v[34:35]
	s_delay_alu instid0(VALU_DEP_3) | instskip(NEXT) | instid1(VALU_DEP_3)
	v_fma_f64 v[30:31], v[30:31], v[48:49], v[30:31]
	v_add_f64 v[26:27], v[26:27], v[36:37]
	s_delay_alu instid0(VALU_DEP_2) | instskip(NEXT) | instid1(VALU_DEP_2)
	v_mul_f64 v[36:37], v[42:43], v[30:31]
	v_add_f64 v[26:27], v[50:51], v[26:27]
	s_delay_alu instid0(VALU_DEP_2) | instskip(NEXT) | instid1(VALU_DEP_2)
	v_fma_f64 v[40:41], -v[40:41], v[36:37], v[42:43]
	v_mul_f64 v[26:27], v[32:33], v[26:27]
	s_delay_alu instid0(VALU_DEP_2) | instskip(SKIP_2) | instid1(VALU_DEP_4)
	v_div_fmas_f64 v[30:31], v[40:41], v[30:31], v[36:37]
	v_subrev_co_ci_u32_e64 v19, vcc_lo, 0, v19, s2
	v_cmp_class_f64_e64 s2, v[10:11], 0x204
	v_add_f64 v[32:33], v[38:39], v[26:27]
	s_delay_alu instid0(VALU_DEP_4) | instskip(NEXT) | instid1(VALU_DEP_2)
	v_div_fixup_f64 v[30:31], v[30:31], v[46:47], v[34:35]
	v_mul_f64 v[34:35], v[32:33], v[32:33]
	s_delay_alu instid0(VALU_DEP_2) | instskip(NEXT) | instid1(VALU_DEP_2)
	v_mul_f64 v[36:37], v[30:31], v[30:31]
	v_fma_f64 v[40:41], v[34:35], s[24:25], s[22:23]
	v_mul_f64 v[44:45], v[32:33], v[34:35]
	s_delay_alu instid0(VALU_DEP_3) | instskip(NEXT) | instid1(VALU_DEP_3)
	v_fma_f64 v[42:43], v[36:37], s[42:43], s[40:41]
	v_fma_f64 v[40:41], v[34:35], v[40:41], s[26:27]
	s_delay_alu instid0(VALU_DEP_2) | instskip(NEXT) | instid1(VALU_DEP_2)
	v_fma_f64 v[42:43], v[36:37], v[42:43], s[44:45]
	v_fma_f64 v[40:41], v[34:35], v[40:41], s[28:29]
	s_delay_alu instid0(VALU_DEP_2) | instskip(NEXT) | instid1(VALU_DEP_2)
	;; [unrolled: 3-line block ×4, first 2 shown]
	v_fma_f64 v[42:43], v[36:37], v[42:43], s[50:51]
	v_fma_f64 v[34:35], v[34:35], v[40:41], s[90:91]
	s_delay_alu instid0(VALU_DEP_2) | instskip(SKIP_2) | instid1(VALU_DEP_4)
	v_fma_f64 v[40:41], v[36:37], v[42:43], s[52:53]
	v_ldexp_f64 v[42:43], v[32:33], 1
	v_add_f64 v[32:33], v[32:33], -v[38:39]
	v_mul_f64 v[34:35], v[44:45], v[34:35]
	v_cvt_f64_i32_e32 v[44:45], v19
	v_ashrrev_i32_e32 v19, 31, v11
	v_fma_f64 v[40:41], v[36:37], v[40:41], s[54:55]
	v_add_f64 v[26:27], v[26:27], -v[32:33]
	v_add_f64 v[38:39], v[42:43], v[34:35]
	v_mul_f64 v[46:47], v[44:45], s[36:37]
	s_delay_alu instid0(VALU_DEP_4) | instskip(NEXT) | instid1(VALU_DEP_4)
	v_fma_f64 v[40:41], v[36:37], v[40:41], s[56:57]
	v_ldexp_f64 v[26:27], v[26:27], 1
	s_delay_alu instid0(VALU_DEP_4) | instskip(NEXT) | instid1(VALU_DEP_4)
	v_add_f64 v[32:33], v[38:39], -v[42:43]
	v_fma_f64 v[42:43], v[44:45], s[36:37], -v[46:47]
	s_delay_alu instid0(VALU_DEP_4) | instskip(NEXT) | instid1(VALU_DEP_3)
	v_fma_f64 v[40:41], v[36:37], v[40:41], s[58:59]
	v_add_f64 v[32:33], v[34:35], -v[32:33]
	s_delay_alu instid0(VALU_DEP_2) | instskip(NEXT) | instid1(VALU_DEP_4)
	v_fma_f64 v[34:35], v[36:37], v[40:41], s[60:61]
	v_fma_f64 v[40:41], v[44:45], s[38:39], v[42:43]
	s_delay_alu instid0(VALU_DEP_3) | instskip(NEXT) | instid1(VALU_DEP_3)
	v_add_f64 v[26:27], v[26:27], v[32:33]
	v_fma_f64 v[32:33], v[36:37], v[34:35], s[62:63]
	s_delay_alu instid0(VALU_DEP_3) | instskip(NEXT) | instid1(VALU_DEP_3)
	v_add_f64 v[34:35], v[46:47], v[40:41]
	v_add_f64 v[42:43], v[38:39], v[26:27]
	s_delay_alu instid0(VALU_DEP_3) | instskip(NEXT) | instid1(VALU_DEP_3)
	v_fma_f64 v[32:33], v[36:37], v[32:33], s[64:65]
	v_add_f64 v[46:47], v[34:35], -v[46:47]
	s_delay_alu instid0(VALU_DEP_3) | instskip(SKIP_1) | instid1(VALU_DEP_4)
	v_add_f64 v[44:45], v[34:35], v[42:43]
	v_add_f64 v[38:39], v[42:43], -v[38:39]
	v_fma_f64 v[32:33], v[36:37], v[32:33], s[66:67]
	s_delay_alu instid0(VALU_DEP_4) | instskip(NEXT) | instid1(VALU_DEP_4)
	v_add_f64 v[40:41], v[40:41], -v[46:47]
	v_add_f64 v[48:49], v[44:45], -v[34:35]
	s_delay_alu instid0(VALU_DEP_4) | instskip(NEXT) | instid1(VALU_DEP_4)
	v_add_f64 v[26:27], v[26:27], -v[38:39]
	v_fma_f64 v[32:33], v[36:37], v[32:33], s[68:69]
	s_delay_alu instid0(VALU_DEP_3) | instskip(SKIP_1) | instid1(VALU_DEP_4)
	v_add_f64 v[50:51], v[44:45], -v[48:49]
	v_add_f64 v[38:39], v[42:43], -v[48:49]
	v_add_f64 v[42:43], v[40:41], v[26:27]
	s_delay_alu instid0(VALU_DEP_4) | instskip(NEXT) | instid1(VALU_DEP_4)
	v_fma_f64 v[32:33], v[36:37], v[32:33], s[70:71]
	v_add_f64 v[34:35], v[34:35], -v[50:51]
	s_delay_alu instid0(VALU_DEP_2) | instskip(NEXT) | instid1(VALU_DEP_2)
	v_fma_f64 v[32:33], v[36:37], v[32:33], s[72:73]
	v_add_f64 v[34:35], v[38:39], v[34:35]
	v_add_f64 v[38:39], v[42:43], -v[40:41]
	s_delay_alu instid0(VALU_DEP_3) | instskip(NEXT) | instid1(VALU_DEP_3)
	v_fma_f64 v[32:33], v[36:37], v[32:33], s[74:75]
	v_add_f64 v[34:35], v[42:43], v[34:35]
	s_delay_alu instid0(VALU_DEP_3) | instskip(SKIP_1) | instid1(VALU_DEP_4)
	v_add_f64 v[42:43], v[42:43], -v[38:39]
	v_add_f64 v[26:27], v[26:27], -v[38:39]
	v_fma_f64 v[32:33], v[36:37], v[32:33], s[76:77]
	s_delay_alu instid0(VALU_DEP_4) | instskip(NEXT) | instid1(VALU_DEP_4)
	v_add_f64 v[46:47], v[44:45], v[34:35]
	v_add_f64 v[38:39], v[40:41], -v[42:43]
	s_delay_alu instid0(VALU_DEP_3) | instskip(NEXT) | instid1(VALU_DEP_3)
	v_fma_f64 v[32:33], v[36:37], v[32:33], s[78:79]
	v_add_f64 v[40:41], v[46:47], -v[44:45]
	s_delay_alu instid0(VALU_DEP_3) | instskip(NEXT) | instid1(VALU_DEP_3)
	v_add_f64 v[26:27], v[26:27], v[38:39]
	v_mul_f64 v[32:33], v[36:37], v[32:33]
	s_delay_alu instid0(VALU_DEP_3) | instskip(NEXT) | instid1(VALU_DEP_2)
	v_add_f64 v[34:35], v[34:35], -v[40:41]
	v_fma_f64 v[30:31], v[30:31], v[32:33], v[30:31]
	s_delay_alu instid0(VALU_DEP_2) | instskip(NEXT) | instid1(VALU_DEP_2)
	v_add_f64 v[26:27], v[26:27], v[34:35]
	v_add_f64 v[32:33], -v[30:31], s[80:81]
	s_delay_alu instid0(VALU_DEP_2) | instskip(SKIP_1) | instid1(VALU_DEP_1)
	v_add_f64 v[26:27], v[46:47], v[26:27]
	v_and_b32_e32 v29, 0x7fffffff, v29
	v_cmp_eq_f64_e32 vcc_lo, 0x7ff00000, v[28:29]
	s_delay_alu instid0(VALU_DEP_4) | instskip(SKIP_2) | instid1(VALU_DEP_2)
	v_cndmask_b32_e64 v29, v31, v33, s0
	v_cndmask_b32_e64 v28, v30, v32, s0
	v_cmp_eq_f64_e64 s0, 0, v[12:13]
	v_add_f64 v[30:31], -v[28:29], s[10:11]
	s_and_b32 vcc_lo, s1, vcc_lo
	v_cmp_class_f64_e64 s1, v[12:13], 0x204
	v_dual_cndmask_b32 v26, v26, v6 :: v_dual_cndmask_b32 v27, v27, v52
	v_and_b32_e32 v6, 0x54442d18, v19
	v_cmp_gt_i32_e32 vcc_lo, 0, v11
	v_and_b32_e32 v11, 0x400921fb, v19
	s_delay_alu instid0(VALU_DEP_4) | instskip(SKIP_3) | instid1(VALU_DEP_3)
	v_add_f64 v[26:27], v[26:27], 1.0
	v_cndmask_b32_e32 v28, v28, v30, vcc_lo
	v_cndmask_b32_e32 v32, 0x54442d18, v54, vcc_lo
	v_cndmask_b32_e32 v10, 0x3fe921fb, v55, vcc_lo
	v_cndmask_b32_e64 v28, v28, v6, s0
	v_cndmask_b32_e32 v19, v29, v31, vcc_lo
	v_cmp_ngt_f64_e32 vcc_lo, 0, v[7:8]
	s_delay_alu instid0(VALU_DEP_4) | instskip(NEXT) | instid1(VALU_DEP_3)
	v_bfi_b32 v10, 0x7fffffff, v10, v13
	v_cndmask_b32_e64 v6, v19, v11, s0
	v_cmp_nge_f64_e64 s0, 0, v[7:8]
	v_cndmask_b32_e64 v27, v27, 0x7ff00000, s4
	v_cndmask_b32_e64 v11, v26, 0, s4
	s_delay_alu instid0(VALU_DEP_2) | instskip(SKIP_2) | instid1(VALU_DEP_3)
	v_cndmask_b32_e32 v19, 0x7ff80000, v27, vcc_lo
	s_and_b32 vcc_lo, s2, s1
	v_dual_cndmask_b32 v26, v28, v32 :: v_dual_cndmask_b32 v27, v6, v10
	v_cndmask_b32_e64 v6, 0, v11, s0
	v_cmp_neq_f64_e64 s0, 0, v[7:8]
	s_delay_alu instid0(VALU_DEP_1)
	v_cndmask_b32_e64 v7, 0xfff00000, v19, s0
.LBB198_223:                            ;   in Loop: Header=BB198_162 Depth=1
	s_or_b32 exec_lo, exec_lo, s3
.LBB198_224:                            ;   in Loop: Header=BB198_162 Depth=1
	s_and_not1_saveexec_b32 s0, s94
	s_cbranch_execz .LBB198_230
; %bb.225:                              ;   in Loop: Header=BB198_162 Depth=1
	v_cmp_ngt_f64_e64 s1, 0x20000000, |v[10:11]|
	v_cmp_ngt_f64_e64 s2, 0x20000000, |v[12:13]|
                                        ; implicit-def: $vgpr7_vgpr8
	s_delay_alu instid0(VALU_DEP_1) | instskip(NEXT) | instid1(SALU_CYCLE_1)
	s_or_b32 s1, s1, s2
	s_and_saveexec_b32 s2, s1
	s_delay_alu instid0(SALU_CYCLE_1)
	s_xor_b32 s1, exec_lo, s2
; %bb.226:                              ;   in Loop: Header=BB198_162 Depth=1
	v_mul_f64 v[6:7], v[12:13], v[12:13]
	s_delay_alu instid0(VALU_DEP_1)
	v_fma_f64 v[7:8], v[10:11], v[10:11], v[6:7]
; %bb.227:                              ;   in Loop: Header=BB198_162 Depth=1
	s_and_not1_saveexec_b32 s1, s1
; %bb.228:                              ;   in Loop: Header=BB198_162 Depth=1
	v_mul_f64 v[6:7], v[12:13], 4.0
	v_mul_f64 v[10:11], v[10:11], 4.0
	s_delay_alu instid0(VALU_DEP_2) | instskip(NEXT) | instid1(VALU_DEP_1)
	v_mul_f64 v[6:7], v[6:7], v[6:7]
	v_fma_f64 v[6:7], v[10:11], v[10:11], v[6:7]
	s_delay_alu instid0(VALU_DEP_1)
	v_ldexp_f64 v[7:8], v[6:7], -4
; %bb.229:                              ;   in Loop: Header=BB198_162 Depth=1
	s_or_b32 exec_lo, exec_lo, s1
	s_delay_alu instid0(VALU_DEP_1) | instskip(SKIP_2) | instid1(VALU_DEP_2)
	v_frexp_mant_f64_e32 v[10:11], v[7:8]
	s_mov_b32 s91, s21
	v_frexp_exp_i32_f64_e32 v6, v[7:8]
	v_cmp_gt_f64_e32 vcc_lo, s[20:21], v[10:11]
	v_cndmask_b32_e64 v19, 0x3ff00000, 2.0, vcc_lo
	s_delay_alu instid0(VALU_DEP_3) | instskip(SKIP_1) | instid1(VALU_DEP_3)
	v_subrev_co_ci_u32_e32 v6, vcc_lo, 0, v6, vcc_lo
	v_cmp_class_f64_e64 vcc_lo, v[7:8], 0x204
	v_mul_f64 v[10:11], v[10:11], v[18:19]
	s_delay_alu instid0(VALU_DEP_1) | instskip(SKIP_1) | instid1(VALU_DEP_2)
	v_add_f64 v[26:27], v[10:11], 1.0
	v_add_f64 v[32:33], v[10:11], -1.0
	v_rcp_f64_e32 v[28:29], v[26:27]
	v_add_f64 v[34:35], v[26:27], -1.0
	s_delay_alu instid0(VALU_DEP_1) | instskip(SKIP_2) | instid1(VALU_DEP_1)
	v_add_f64 v[10:11], v[10:11], -v[34:35]
	s_waitcnt_depctr 0xfff
	v_fma_f64 v[30:31], -v[26:27], v[28:29], 1.0
	v_fma_f64 v[28:29], v[30:31], v[28:29], v[28:29]
	s_delay_alu instid0(VALU_DEP_1) | instskip(NEXT) | instid1(VALU_DEP_1)
	v_fma_f64 v[30:31], -v[26:27], v[28:29], 1.0
	v_fma_f64 v[28:29], v[30:31], v[28:29], v[28:29]
	s_delay_alu instid0(VALU_DEP_1) | instskip(NEXT) | instid1(VALU_DEP_1)
	v_mul_f64 v[30:31], v[32:33], v[28:29]
	v_mul_f64 v[36:37], v[26:27], v[30:31]
	s_delay_alu instid0(VALU_DEP_1) | instskip(NEXT) | instid1(VALU_DEP_1)
	v_fma_f64 v[26:27], v[30:31], v[26:27], -v[36:37]
	v_fma_f64 v[10:11], v[30:31], v[10:11], v[26:27]
	s_delay_alu instid0(VALU_DEP_1) | instskip(NEXT) | instid1(VALU_DEP_1)
	v_add_f64 v[26:27], v[36:37], v[10:11]
	v_add_f64 v[34:35], v[32:33], -v[26:27]
	v_add_f64 v[36:37], v[26:27], -v[36:37]
	s_delay_alu instid0(VALU_DEP_2) | instskip(NEXT) | instid1(VALU_DEP_2)
	v_add_f64 v[32:33], v[32:33], -v[34:35]
	v_add_f64 v[10:11], v[36:37], -v[10:11]
	s_delay_alu instid0(VALU_DEP_2) | instskip(NEXT) | instid1(VALU_DEP_1)
	v_add_f64 v[26:27], v[32:33], -v[26:27]
	v_add_f64 v[10:11], v[10:11], v[26:27]
	s_delay_alu instid0(VALU_DEP_1) | instskip(NEXT) | instid1(VALU_DEP_1)
	v_add_f64 v[10:11], v[34:35], v[10:11]
	v_mul_f64 v[10:11], v[28:29], v[10:11]
	s_delay_alu instid0(VALU_DEP_1) | instskip(NEXT) | instid1(VALU_DEP_1)
	v_add_f64 v[26:27], v[30:31], v[10:11]
	v_mul_f64 v[28:29], v[26:27], v[26:27]
	s_delay_alu instid0(VALU_DEP_1) | instskip(SKIP_1) | instid1(VALU_DEP_2)
	v_fma_f64 v[32:33], v[28:29], s[24:25], s[22:23]
	v_mul_f64 v[34:35], v[26:27], v[28:29]
	v_fma_f64 v[32:33], v[28:29], v[32:33], s[26:27]
	s_delay_alu instid0(VALU_DEP_1) | instskip(NEXT) | instid1(VALU_DEP_1)
	v_fma_f64 v[32:33], v[28:29], v[32:33], s[28:29]
	v_fma_f64 v[32:33], v[28:29], v[32:33], s[30:31]
	s_delay_alu instid0(VALU_DEP_1) | instskip(NEXT) | instid1(VALU_DEP_1)
	v_fma_f64 v[32:33], v[28:29], v[32:33], s[34:35]
	v_fma_f64 v[28:29], v[28:29], v[32:33], s[90:91]
	v_ldexp_f64 v[32:33], v[26:27], 1
	v_add_f64 v[26:27], v[26:27], -v[30:31]
	s_delay_alu instid0(VALU_DEP_3) | instskip(SKIP_1) | instid1(VALU_DEP_3)
	v_mul_f64 v[28:29], v[34:35], v[28:29]
	v_cvt_f64_i32_e32 v[34:35], v6
	v_add_f64 v[10:11], v[10:11], -v[26:27]
	s_delay_alu instid0(VALU_DEP_3) | instskip(NEXT) | instid1(VALU_DEP_3)
	v_add_f64 v[30:31], v[32:33], v[28:29]
	v_mul_f64 v[36:37], v[34:35], s[36:37]
	s_delay_alu instid0(VALU_DEP_3) | instskip(NEXT) | instid1(VALU_DEP_3)
	v_ldexp_f64 v[10:11], v[10:11], 1
	v_add_f64 v[26:27], v[30:31], -v[32:33]
	s_delay_alu instid0(VALU_DEP_3) | instskip(NEXT) | instid1(VALU_DEP_2)
	v_fma_f64 v[32:33], v[34:35], s[36:37], -v[36:37]
	v_add_f64 v[26:27], v[28:29], -v[26:27]
	s_delay_alu instid0(VALU_DEP_2) | instskip(NEXT) | instid1(VALU_DEP_2)
	v_fma_f64 v[28:29], v[34:35], s[38:39], v[32:33]
	v_add_f64 v[10:11], v[10:11], v[26:27]
	s_delay_alu instid0(VALU_DEP_2) | instskip(NEXT) | instid1(VALU_DEP_2)
	v_add_f64 v[26:27], v[36:37], v[28:29]
	v_add_f64 v[32:33], v[30:31], v[10:11]
	s_delay_alu instid0(VALU_DEP_2) | instskip(NEXT) | instid1(VALU_DEP_2)
	v_add_f64 v[36:37], v[26:27], -v[36:37]
	v_add_f64 v[34:35], v[26:27], v[32:33]
	v_add_f64 v[30:31], v[32:33], -v[30:31]
	s_delay_alu instid0(VALU_DEP_3) | instskip(NEXT) | instid1(VALU_DEP_3)
	v_add_f64 v[28:29], v[28:29], -v[36:37]
	v_add_f64 v[38:39], v[34:35], -v[26:27]
	s_delay_alu instid0(VALU_DEP_3) | instskip(NEXT) | instid1(VALU_DEP_2)
	v_add_f64 v[10:11], v[10:11], -v[30:31]
	v_add_f64 v[40:41], v[34:35], -v[38:39]
	;; [unrolled: 1-line block ×3, first 2 shown]
	s_delay_alu instid0(VALU_DEP_3) | instskip(NEXT) | instid1(VALU_DEP_3)
	v_add_f64 v[32:33], v[28:29], v[10:11]
	v_add_f64 v[26:27], v[26:27], -v[40:41]
	s_delay_alu instid0(VALU_DEP_1) | instskip(NEXT) | instid1(VALU_DEP_3)
	v_add_f64 v[26:27], v[30:31], v[26:27]
	v_add_f64 v[30:31], v[32:33], -v[28:29]
	s_delay_alu instid0(VALU_DEP_2) | instskip(NEXT) | instid1(VALU_DEP_2)
	v_add_f64 v[26:27], v[32:33], v[26:27]
	v_add_f64 v[32:33], v[32:33], -v[30:31]
	v_add_f64 v[10:11], v[10:11], -v[30:31]
	s_delay_alu instid0(VALU_DEP_3) | instskip(NEXT) | instid1(VALU_DEP_3)
	v_add_f64 v[36:37], v[34:35], v[26:27]
	v_add_f64 v[28:29], v[28:29], -v[32:33]
	s_delay_alu instid0(VALU_DEP_2) | instskip(NEXT) | instid1(VALU_DEP_2)
	v_add_f64 v[30:31], v[36:37], -v[34:35]
	v_add_f64 v[10:11], v[10:11], v[28:29]
	s_delay_alu instid0(VALU_DEP_2) | instskip(NEXT) | instid1(VALU_DEP_1)
	v_add_f64 v[26:27], v[26:27], -v[30:31]
	v_add_f64 v[10:11], v[10:11], v[26:27]
	s_delay_alu instid0(VALU_DEP_1) | instskip(NEXT) | instid1(VALU_DEP_1)
	v_add_f64 v[10:11], v[36:37], v[10:11]
	v_cndmask_b32_e32 v6, v10, v7, vcc_lo
	s_delay_alu instid0(VALU_DEP_2) | instskip(SKIP_1) | instid1(VALU_DEP_2)
	v_cndmask_b32_e32 v10, v11, v8, vcc_lo
	v_cmp_ngt_f64_e32 vcc_lo, 0, v[7:8]
	v_cndmask_b32_e32 v10, 0x7ff80000, v10, vcc_lo
	v_cmp_nge_f64_e32 vcc_lo, 0, v[7:8]
	v_mov_b32_e32 v26, 0
	v_dual_mov_b32 v27, 0x7ff80000 :: v_dual_cndmask_b32 v6, 0, v6
	v_cmp_neq_f64_e32 vcc_lo, 0, v[7:8]
	v_cndmask_b32_e32 v7, 0xfff00000, v10, vcc_lo
.LBB198_230:                            ;   in Loop: Header=BB198_162 Depth=1
	s_or_b32 exec_lo, exec_lo, s0
                                        ; implicit-def: $vgpr10_vgpr11
                                        ; implicit-def: $vgpr28_vgpr29
	s_delay_alu instid0(SALU_CYCLE_1)
	s_mov_b32 s0, exec_lo
	s_waitcnt vmcnt(0)
	v_cmpx_o_f64_e32 v[14:15], v[16:17]
	s_xor_b32 s94, exec_lo, s0
	s_cbranch_execz .LBB198_258
; %bb.231:                              ;   in Loop: Header=BB198_162 Depth=1
	v_cmp_lt_f64_e64 s0, |v[14:15]|, |v[16:17]|
	v_dual_mov_b32 v19, v16 :: v_dual_and_b32 v8, 0x7fffffff, v15
	v_and_b32_e32 v12, 0x7fffffff, v17
                                        ; implicit-def: $vgpr10_vgpr11
                                        ; implicit-def: $vgpr28_vgpr29
	s_mov_b32 s1, exec_lo
	s_delay_alu instid0(VALU_DEP_1) | instskip(NEXT) | instid1(VALU_DEP_3)
	v_cndmask_b32_e64 v33, v12, v8, s0
	v_cndmask_b32_e64 v32, v19, v14, s0
	s_delay_alu instid0(VALU_DEP_1)
	v_cmpx_nlt_f64_e32 s[12:13], v[32:33]
	s_xor_b32 s95, exec_lo, s1
	s_cbranch_execz .LBB198_255
; %bb.232:                              ;   in Loop: Header=BB198_162 Depth=1
	v_cndmask_b32_e64 v35, v8, v12, s0
	v_cndmask_b32_e64 v34, v14, v19, s0
                                        ; implicit-def: $vgpr10_vgpr11
                                        ; implicit-def: $vgpr28_vgpr29
	s_mov_b32 s1, exec_lo
	s_delay_alu instid0(VALU_DEP_1)
	v_cmpx_neq_f64_e32 1.0, v[34:35]
	s_xor_b32 s96, exec_lo, s1
	s_cbranch_execz .LBB198_248
; %bb.233:                              ;   in Loop: Header=BB198_162 Depth=1
	v_max_f64 v[10:11], v[32:33], v[32:33]
	v_max_f64 v[28:29], v[34:35], v[34:35]
	s_delay_alu instid0(VALU_DEP_1) | instskip(SKIP_1) | instid1(VALU_DEP_2)
	v_min_f64 v[30:31], v[28:29], v[10:11]
	v_max_f64 v[10:11], v[28:29], v[10:11]
                                        ; implicit-def: $vgpr28_vgpr29
	v_cmp_ngt_f64_e32 vcc_lo, s[14:15], v[30:31]
	s_delay_alu instid0(VALU_DEP_2) | instskip(NEXT) | instid1(VALU_DEP_1)
	v_cmp_nlt_f64_e64 s1, s[16:17], v[10:11]
                                        ; implicit-def: $vgpr10_vgpr11
	s_and_b32 s1, s1, vcc_lo
	s_delay_alu instid0(SALU_CYCLE_1) | instskip(NEXT) | instid1(SALU_CYCLE_1)
	s_and_saveexec_b32 s2, s1
	s_xor_b32 s97, exec_lo, s2
	s_cbranch_execz .LBB198_245
; %bb.234:                              ;   in Loop: Header=BB198_162 Depth=1
                                        ; implicit-def: $vgpr10_vgpr11
                                        ; implicit-def: $vgpr28_vgpr29
	s_mov_b32 s1, exec_lo
	v_cmpx_le_f64_e32 1.0, v[34:35]
	s_xor_b32 s2, exec_lo, s1
	s_cbranch_execz .LBB198_236
; %bb.235:                              ;   in Loop: Header=BB198_162 Depth=1
	v_add_f64 v[10:11], v[34:35], -1.0
	v_add_f64 v[28:29], v[34:35], 1.0
	s_mov_b32 s91, s21
	s_mov_b32 s10, s80
	v_cmp_gt_i32_e64 s1, 0, v15
	v_cmp_class_f64_e64 s4, v[14:15], 0x204
	v_cmp_class_f64_e64 s3, v[16:17], 0x204
	s_delay_alu instid0(VALU_DEP_3) | instskip(SKIP_1) | instid1(VALU_DEP_1)
	v_cndmask_b32_e64 v19, 0x54442d18, v54, s1
	v_mul_f64 v[10:11], v[10:11], v[28:29]
	v_fma_f64 v[11:12], v[32:33], v[32:33], v[10:11]
	s_delay_alu instid0(VALU_DEP_1) | instskip(NEXT) | instid1(VALU_DEP_1)
	v_add_f64 v[28:29], v[11:12], 1.0
	v_frexp_mant_f64_e32 v[30:31], v[28:29]
	v_frexp_exp_i32_f64_e32 v8, v[28:29]
	v_add_f64 v[32:33], v[28:29], -1.0
	s_delay_alu instid0(VALU_DEP_3) | instskip(NEXT) | instid1(VALU_DEP_2)
	v_cmp_gt_f64_e32 vcc_lo, s[20:21], v[30:31]
	v_add_f64 v[30:31], v[32:33], -v[28:29]
	v_add_f64 v[32:33], v[11:12], -v[32:33]
	v_subrev_co_ci_u32_e32 v8, vcc_lo, 0, v8, vcc_lo
	s_delay_alu instid0(VALU_DEP_3) | instskip(NEXT) | instid1(VALU_DEP_2)
	v_add_f64 v[30:31], v[30:31], 1.0
	v_sub_nc_u32_e32 v10, 0, v8
	s_delay_alu instid0(VALU_DEP_1) | instskip(NEXT) | instid1(VALU_DEP_3)
	v_ldexp_f64 v[28:29], v[28:29], v10
	v_add_f64 v[30:31], v[32:33], v[30:31]
	s_delay_alu instid0(VALU_DEP_2) | instskip(SKIP_1) | instid1(VALU_DEP_3)
	v_add_f64 v[34:35], v[28:29], 1.0
	v_add_f64 v[40:41], v[28:29], -1.0
	v_ldexp_f64 v[30:31], v[30:31], v10
	s_delay_alu instid0(VALU_DEP_3) | instskip(NEXT) | instid1(VALU_DEP_3)
	v_add_f64 v[32:33], v[34:35], -1.0
	v_add_f64 v[42:43], v[40:41], 1.0
	s_delay_alu instid0(VALU_DEP_2) | instskip(NEXT) | instid1(VALU_DEP_2)
	v_add_f64 v[32:33], v[28:29], -v[32:33]
	v_add_f64 v[28:29], v[28:29], -v[42:43]
	s_delay_alu instid0(VALU_DEP_2) | instskip(NEXT) | instid1(VALU_DEP_2)
	v_add_f64 v[32:33], v[30:31], v[32:33]
	v_add_f64 v[28:29], v[30:31], v[28:29]
	s_delay_alu instid0(VALU_DEP_2) | instskip(NEXT) | instid1(VALU_DEP_2)
	v_add_f64 v[36:37], v[34:35], v[32:33]
	v_add_f64 v[42:43], v[40:41], v[28:29]
	s_delay_alu instid0(VALU_DEP_2) | instskip(SKIP_1) | instid1(VALU_DEP_2)
	v_rcp_f64_e32 v[38:39], v[36:37]
	v_add_f64 v[34:35], v[36:37], -v[34:35]
	v_add_f64 v[40:41], v[42:43], -v[40:41]
	s_delay_alu instid0(VALU_DEP_2) | instskip(SKIP_3) | instid1(VALU_DEP_2)
	v_add_f64 v[32:33], v[32:33], -v[34:35]
	s_waitcnt_depctr 0xfff
	v_fma_f64 v[44:45], -v[36:37], v[38:39], 1.0
	v_add_f64 v[28:29], v[28:29], -v[40:41]
	v_fma_f64 v[38:39], v[44:45], v[38:39], v[38:39]
	s_delay_alu instid0(VALU_DEP_1) | instskip(NEXT) | instid1(VALU_DEP_1)
	v_fma_f64 v[30:31], -v[36:37], v[38:39], 1.0
	v_fma_f64 v[30:31], v[30:31], v[38:39], v[38:39]
	s_delay_alu instid0(VALU_DEP_1) | instskip(NEXT) | instid1(VALU_DEP_1)
	v_mul_f64 v[38:39], v[42:43], v[30:31]
	v_mul_f64 v[44:45], v[36:37], v[38:39]
	s_delay_alu instid0(VALU_DEP_1) | instskip(NEXT) | instid1(VALU_DEP_1)
	v_fma_f64 v[34:35], v[38:39], v[36:37], -v[44:45]
	v_fma_f64 v[34:35], v[38:39], v[32:33], v[34:35]
	s_delay_alu instid0(VALU_DEP_1) | instskip(NEXT) | instid1(VALU_DEP_1)
	v_add_f64 v[46:47], v[44:45], v[34:35]
	v_add_f64 v[48:49], v[42:43], -v[46:47]
	v_add_f64 v[40:41], v[46:47], -v[44:45]
	v_max_f64 v[44:45], |v[16:17]|, |v[16:17]|
	s_delay_alu instid0(VALU_DEP_3) | instskip(NEXT) | instid1(VALU_DEP_3)
	v_add_f64 v[42:43], v[42:43], -v[48:49]
	v_add_f64 v[34:35], v[40:41], -v[34:35]
	s_delay_alu instid0(VALU_DEP_2) | instskip(SKIP_2) | instid1(VALU_DEP_1)
	v_add_f64 v[42:43], v[42:43], -v[46:47]
	v_max_f64 v[46:47], |v[14:15]|, |v[14:15]|
	v_cndmask_b32_e64 v14, 0x3fe921fb, v55, s1
	v_bfi_b32 v14, 0x7fffffff, v14, v17
	s_delay_alu instid0(VALU_DEP_4) | instskip(NEXT) | instid1(VALU_DEP_4)
	v_add_f64 v[28:29], v[28:29], v[42:43]
	v_max_f64 v[50:51], v[46:47], v[44:45]
	v_min_f64 v[44:45], v[46:47], v[44:45]
	s_delay_alu instid0(VALU_DEP_3) | instskip(NEXT) | instid1(VALU_DEP_1)
	v_add_f64 v[28:29], v[34:35], v[28:29]
	v_add_f64 v[34:35], v[48:49], v[28:29]
	s_delay_alu instid0(VALU_DEP_1) | instskip(SKIP_1) | instid1(VALU_DEP_2)
	v_mul_f64 v[40:41], v[30:31], v[34:35]
	v_add_f64 v[48:49], v[48:49], -v[34:35]
	v_mul_f64 v[42:43], v[36:37], v[40:41]
	s_delay_alu instid0(VALU_DEP_2) | instskip(NEXT) | instid1(VALU_DEP_2)
	v_add_f64 v[28:29], v[28:29], v[48:49]
	v_fma_f64 v[36:37], v[40:41], v[36:37], -v[42:43]
	s_delay_alu instid0(VALU_DEP_1) | instskip(SKIP_1) | instid1(VALU_DEP_2)
	v_fma_f64 v[32:33], v[40:41], v[32:33], v[36:37]
	v_div_scale_f64 v[36:37], null, v[50:51], v[50:51], v[44:45]
	v_add_f64 v[46:47], v[42:43], v[32:33]
	s_delay_alu instid0(VALU_DEP_2) | instskip(NEXT) | instid1(VALU_DEP_1)
	v_rcp_f64_e32 v[52:53], v[36:37]
	v_add_f64 v[56:57], v[34:35], -v[46:47]
	v_add_f64 v[42:43], v[46:47], -v[42:43]
	s_waitcnt_depctr 0xfff
	v_fma_f64 v[58:59], -v[36:37], v[52:53], 1.0
	v_add_f64 v[34:35], v[34:35], -v[56:57]
	v_add_f64 v[32:33], v[42:43], -v[32:33]
	s_delay_alu instid0(VALU_DEP_3) | instskip(NEXT) | instid1(VALU_DEP_3)
	v_fma_f64 v[52:53], v[52:53], v[58:59], v[52:53]
	v_add_f64 v[34:35], v[34:35], -v[46:47]
	s_delay_alu instid0(VALU_DEP_2) | instskip(NEXT) | instid1(VALU_DEP_2)
	v_fma_f64 v[46:47], -v[36:37], v[52:53], 1.0
	v_add_f64 v[28:29], v[28:29], v[34:35]
	v_div_scale_f64 v[34:35], vcc_lo, v[44:45], v[50:51], v[44:45]
	s_delay_alu instid0(VALU_DEP_3) | instskip(SKIP_1) | instid1(VALU_DEP_4)
	v_fma_f64 v[42:43], v[52:53], v[46:47], v[52:53]
	v_add_f64 v[46:47], v[38:39], v[40:41]
	v_add_f64 v[28:29], v[32:33], v[28:29]
	s_delay_alu instid0(VALU_DEP_3) | instskip(NEXT) | instid1(VALU_DEP_3)
	v_mul_f64 v[32:33], v[34:35], v[42:43]
	v_add_f64 v[38:39], v[46:47], -v[38:39]
	s_delay_alu instid0(VALU_DEP_3) | instskip(NEXT) | instid1(VALU_DEP_3)
	v_add_f64 v[28:29], v[56:57], v[28:29]
	v_fma_f64 v[34:35], -v[36:37], v[32:33], v[34:35]
	s_delay_alu instid0(VALU_DEP_3) | instskip(NEXT) | instid1(VALU_DEP_3)
	v_add_f64 v[36:37], v[40:41], -v[38:39]
	v_mul_f64 v[28:29], v[30:31], v[28:29]
	s_delay_alu instid0(VALU_DEP_3) | instskip(SKIP_1) | instid1(VALU_DEP_3)
	v_div_fmas_f64 v[30:31], v[34:35], v[42:43], v[32:33]
	v_cmp_eq_f64_e32 vcc_lo, 0x7ff00000, v[11:12]
	v_add_f64 v[28:29], v[36:37], v[28:29]
	s_delay_alu instid0(VALU_DEP_3) | instskip(NEXT) | instid1(VALU_DEP_2)
	v_div_fixup_f64 v[30:31], v[30:31], v[50:51], v[44:45]
	v_add_f64 v[32:33], v[46:47], v[28:29]
	s_delay_alu instid0(VALU_DEP_2) | instskip(NEXT) | instid1(VALU_DEP_2)
	v_mul_f64 v[34:35], v[30:31], v[30:31]
	v_mul_f64 v[36:37], v[32:33], v[32:33]
	s_delay_alu instid0(VALU_DEP_2) | instskip(NEXT) | instid1(VALU_DEP_2)
	v_fma_f64 v[38:39], v[34:35], s[42:43], s[40:41]
	v_fma_f64 v[40:41], v[36:37], s[24:25], s[22:23]
	v_mul_f64 v[42:43], v[32:33], v[36:37]
	s_delay_alu instid0(VALU_DEP_3) | instskip(NEXT) | instid1(VALU_DEP_3)
	v_fma_f64 v[38:39], v[34:35], v[38:39], s[44:45]
	v_fma_f64 v[40:41], v[36:37], v[40:41], s[26:27]
	s_delay_alu instid0(VALU_DEP_2) | instskip(NEXT) | instid1(VALU_DEP_2)
	v_fma_f64 v[38:39], v[34:35], v[38:39], s[46:47]
	v_fma_f64 v[40:41], v[36:37], v[40:41], s[28:29]
	s_delay_alu instid0(VALU_DEP_2) | instskip(NEXT) | instid1(VALU_DEP_2)
	v_fma_f64 v[38:39], v[34:35], v[38:39], s[48:49]
	v_fma_f64 v[40:41], v[36:37], v[40:41], s[30:31]
	s_delay_alu instid0(VALU_DEP_2) | instskip(NEXT) | instid1(VALU_DEP_2)
	v_fma_f64 v[38:39], v[34:35], v[38:39], s[50:51]
	v_fma_f64 v[40:41], v[36:37], v[40:41], s[34:35]
	s_delay_alu instid0(VALU_DEP_2) | instskip(NEXT) | instid1(VALU_DEP_2)
	v_fma_f64 v[38:39], v[34:35], v[38:39], s[52:53]
	v_fma_f64 v[36:37], v[36:37], v[40:41], s[90:91]
	v_ldexp_f64 v[40:41], v[32:33], 1
	v_add_f64 v[32:33], v[32:33], -v[46:47]
	s_delay_alu instid0(VALU_DEP_4) | instskip(NEXT) | instid1(VALU_DEP_4)
	v_fma_f64 v[38:39], v[34:35], v[38:39], s[54:55]
	v_mul_f64 v[36:37], v[42:43], v[36:37]
	v_cvt_f64_i32_e32 v[42:43], v8
	s_delay_alu instid0(VALU_DEP_4) | instskip(NEXT) | instid1(VALU_DEP_4)
	v_add_f64 v[28:29], v[28:29], -v[32:33]
	v_fma_f64 v[38:39], v[34:35], v[38:39], s[56:57]
	v_ashrrev_i32_e32 v8, 31, v15
	s_delay_alu instid0(VALU_DEP_1)
	v_and_b32_e32 v10, 0x54442d18, v8
	v_and_b32_e32 v8, 0x400921fb, v8
	v_add_f64 v[44:45], v[40:41], v[36:37]
	v_mul_f64 v[46:47], v[42:43], s[36:37]
	v_ldexp_f64 v[28:29], v[28:29], 1
	v_fma_f64 v[38:39], v[34:35], v[38:39], s[58:59]
	s_delay_alu instid0(VALU_DEP_4) | instskip(NEXT) | instid1(VALU_DEP_4)
	v_add_f64 v[32:33], v[44:45], -v[40:41]
	v_fma_f64 v[40:41], v[42:43], s[36:37], -v[46:47]
	s_delay_alu instid0(VALU_DEP_3) | instskip(NEXT) | instid1(VALU_DEP_3)
	v_fma_f64 v[38:39], v[34:35], v[38:39], s[60:61]
	v_add_f64 v[32:33], v[36:37], -v[32:33]
	s_delay_alu instid0(VALU_DEP_2) | instskip(NEXT) | instid1(VALU_DEP_4)
	v_fma_f64 v[36:37], v[34:35], v[38:39], s[62:63]
	v_fma_f64 v[38:39], v[42:43], s[38:39], v[40:41]
	s_delay_alu instid0(VALU_DEP_3) | instskip(NEXT) | instid1(VALU_DEP_3)
	v_add_f64 v[28:29], v[28:29], v[32:33]
	v_fma_f64 v[32:33], v[34:35], v[36:37], s[64:65]
	s_delay_alu instid0(VALU_DEP_3) | instskip(NEXT) | instid1(VALU_DEP_3)
	v_add_f64 v[36:37], v[46:47], v[38:39]
	v_add_f64 v[40:41], v[44:45], v[28:29]
	s_delay_alu instid0(VALU_DEP_3) | instskip(NEXT) | instid1(VALU_DEP_3)
	v_fma_f64 v[32:33], v[34:35], v[32:33], s[66:67]
	v_add_f64 v[46:47], v[36:37], -v[46:47]
	s_delay_alu instid0(VALU_DEP_3) | instskip(SKIP_1) | instid1(VALU_DEP_4)
	v_add_f64 v[42:43], v[36:37], v[40:41]
	v_add_f64 v[44:45], v[40:41], -v[44:45]
	v_fma_f64 v[32:33], v[34:35], v[32:33], s[68:69]
	s_delay_alu instid0(VALU_DEP_4) | instskip(NEXT) | instid1(VALU_DEP_4)
	v_add_f64 v[38:39], v[38:39], -v[46:47]
	v_add_f64 v[48:49], v[42:43], -v[36:37]
	s_delay_alu instid0(VALU_DEP_4) | instskip(NEXT) | instid1(VALU_DEP_4)
	v_add_f64 v[28:29], v[28:29], -v[44:45]
	v_fma_f64 v[32:33], v[34:35], v[32:33], s[70:71]
	s_delay_alu instid0(VALU_DEP_3) | instskip(SKIP_1) | instid1(VALU_DEP_4)
	v_add_f64 v[50:51], v[42:43], -v[48:49]
	v_add_f64 v[40:41], v[40:41], -v[48:49]
	v_add_f64 v[44:45], v[38:39], v[28:29]
	s_delay_alu instid0(VALU_DEP_4) | instskip(NEXT) | instid1(VALU_DEP_4)
	v_fma_f64 v[32:33], v[34:35], v[32:33], s[72:73]
	v_add_f64 v[36:37], v[36:37], -v[50:51]
	s_delay_alu instid0(VALU_DEP_2) | instskip(NEXT) | instid1(VALU_DEP_2)
	v_fma_f64 v[32:33], v[34:35], v[32:33], s[74:75]
	v_add_f64 v[36:37], v[40:41], v[36:37]
	v_add_f64 v[40:41], v[44:45], -v[38:39]
	s_delay_alu instid0(VALU_DEP_3) | instskip(NEXT) | instid1(VALU_DEP_3)
	v_fma_f64 v[32:33], v[34:35], v[32:33], s[76:77]
	v_add_f64 v[36:37], v[44:45], v[36:37]
	s_delay_alu instid0(VALU_DEP_3) | instskip(SKIP_1) | instid1(VALU_DEP_4)
	v_add_f64 v[44:45], v[44:45], -v[40:41]
	v_add_f64 v[28:29], v[28:29], -v[40:41]
	v_fma_f64 v[32:33], v[34:35], v[32:33], s[78:79]
	s_delay_alu instid0(VALU_DEP_4) | instskip(NEXT) | instid1(VALU_DEP_2)
	v_add_f64 v[46:47], v[42:43], v[36:37]
	v_mul_f64 v[32:33], v[34:35], v[32:33]
	v_add_f64 v[34:35], v[38:39], -v[44:45]
	s_delay_alu instid0(VALU_DEP_3) | instskip(NEXT) | instid1(VALU_DEP_3)
	v_add_f64 v[38:39], v[46:47], -v[42:43]
	v_fma_f64 v[30:31], v[30:31], v[32:33], v[30:31]
	s_delay_alu instid0(VALU_DEP_3) | instskip(NEXT) | instid1(VALU_DEP_3)
	v_add_f64 v[28:29], v[28:29], v[34:35]
	v_add_f64 v[32:33], v[36:37], -v[38:39]
	s_delay_alu instid0(VALU_DEP_3) | instskip(NEXT) | instid1(VALU_DEP_2)
	v_add_f64 v[34:35], -v[30:31], s[80:81]
	v_add_f64 v[28:29], v[28:29], v[32:33]
	s_delay_alu instid0(VALU_DEP_2) | instskip(NEXT) | instid1(VALU_DEP_3)
	v_cndmask_b32_e64 v31, v31, v35, s0
	v_cndmask_b32_e64 v30, v30, v34, s0
                                        ; implicit-def: $vgpr34_vgpr35
	s_delay_alu instid0(VALU_DEP_1) | instskip(NEXT) | instid1(VALU_DEP_4)
	v_add_f64 v[32:33], -v[30:31], s[10:11]
	v_add_f64 v[28:29], v[46:47], v[28:29]
	s_delay_alu instid0(VALU_DEP_2) | instskip(NEXT) | instid1(VALU_DEP_3)
	v_cndmask_b32_e64 v30, v30, v32, s1
	v_cndmask_b32_e64 v15, v31, v33, s1
	v_cmp_nge_f64_e64 s1, -1.0, v[11:12]
                                        ; implicit-def: $vgpr32_vgpr33
	s_delay_alu instid0(VALU_DEP_4) | instskip(SKIP_1) | instid1(VALU_DEP_2)
	v_dual_cndmask_b32 v29, v29, v12 :: v_dual_cndmask_b32 v28, v28, v11
	v_cmp_eq_f64_e32 vcc_lo, 0, v[16:17]
	v_mul_f64 v[28:29], v[28:29], 0.5
	v_cndmask_b32_e32 v30, v30, v10, vcc_lo
	v_cndmask_b32_e32 v8, v15, v8, vcc_lo
	v_cmp_ngt_f64_e32 vcc_lo, -1.0, v[11:12]
	s_delay_alu instid0(VALU_DEP_4) | instskip(SKIP_4) | instid1(VALU_DEP_2)
	v_cndmask_b32_e64 v10, 0, v28, s1
	v_cmp_neq_f64_e64 s1, -1.0, v[11:12]
	v_cndmask_b32_e32 v15, 0x7ff80000, v29, vcc_lo
	s_and_b32 vcc_lo, s4, s3
	v_dual_cndmask_b32 v29, v8, v14 :: v_dual_cndmask_b32 v28, v30, v19
	v_cndmask_b32_e64 v11, 0xfff00000, v15, s1
.LBB198_236:                            ;   in Loop: Header=BB198_162 Depth=1
	s_and_not1_saveexec_b32 s98, s2
	s_cbranch_execz .LBB198_244
; %bb.237:                              ;   in Loop: Header=BB198_162 Depth=1
	v_mul_f64 v[10:11], v[32:33], v[32:33]
                                        ; implicit-def: $vgpr28_vgpr29
	s_mov_b32 s1, exec_lo
	s_delay_alu instid0(VALU_DEP_1) | instskip(NEXT) | instid1(VALU_DEP_1)
	v_fma_f64 v[30:31], v[34:35], v[34:35], v[10:11]
                                        ; implicit-def: $vgpr10_vgpr11
	v_cmpx_ge_f64_e32 s[82:83], v[30:31]
	s_xor_b32 s3, exec_lo, s1
	s_cbranch_execz .LBB198_239
; %bb.238:                              ;   in Loop: Header=BB198_162 Depth=1
	v_frexp_mant_f64_e32 v[10:11], v[30:31]
	v_max_f64 v[38:39], |v[14:15]|, |v[14:15]|
	s_mov_b32 s91, s21
	v_frexp_exp_i32_f64_e32 v8, v[30:31]
	s_mov_b32 s10, s80
	v_cmp_class_f64_e64 s4, v[16:17], 0x204
	v_cmp_class_f64_e64 s5, v[14:15], 0x204
	v_cmp_neq_f64_e64 s2, 0, v[30:31]
	v_cmp_gt_f64_e64 s1, s[20:21], v[10:11]
	s_delay_alu instid0(VALU_DEP_1) | instskip(NEXT) | instid1(VALU_DEP_1)
	v_cndmask_b32_e64 v19, 0x3ff00000, 2.0, s1
	v_mul_f64 v[10:11], v[10:11], v[18:19]
	s_delay_alu instid0(VALU_DEP_1) | instskip(SKIP_1) | instid1(VALU_DEP_2)
	v_add_f64 v[28:29], v[10:11], 1.0
	v_add_f64 v[36:37], v[10:11], -1.0
	v_rcp_f64_e32 v[32:33], v[28:29]
	s_waitcnt_depctr 0xfff
	v_fma_f64 v[34:35], -v[28:29], v[32:33], 1.0
	s_delay_alu instid0(VALU_DEP_1) | instskip(NEXT) | instid1(VALU_DEP_1)
	v_fma_f64 v[32:33], v[34:35], v[32:33], v[32:33]
	v_fma_f64 v[34:35], -v[28:29], v[32:33], 1.0
	s_delay_alu instid0(VALU_DEP_1) | instskip(SKIP_1) | instid1(VALU_DEP_2)
	v_fma_f64 v[32:33], v[34:35], v[32:33], v[32:33]
	v_max_f64 v[34:35], |v[16:17]|, |v[16:17]|
	v_mul_f64 v[40:41], v[36:37], v[32:33]
	s_delay_alu instid0(VALU_DEP_2) | instskip(SKIP_2) | instid1(VALU_DEP_4)
	v_max_f64 v[42:43], v[38:39], v[34:35]
	v_min_f64 v[34:35], v[38:39], v[34:35]
	v_add_f64 v[38:39], v[28:29], -1.0
	v_mul_f64 v[44:45], v[28:29], v[40:41]
	s_delay_alu instid0(VALU_DEP_3) | instskip(NEXT) | instid1(VALU_DEP_3)
	v_div_scale_f64 v[46:47], null, v[42:43], v[42:43], v[34:35]
	v_add_f64 v[10:11], v[10:11], -v[38:39]
	v_div_scale_f64 v[52:53], vcc_lo, v[34:35], v[42:43], v[34:35]
	s_delay_alu instid0(VALU_DEP_4) | instskip(NEXT) | instid1(VALU_DEP_4)
	v_fma_f64 v[28:29], v[40:41], v[28:29], -v[44:45]
	v_rcp_f64_e32 v[38:39], v[46:47]
	s_delay_alu instid0(VALU_DEP_1) | instskip(SKIP_3) | instid1(VALU_DEP_2)
	v_fma_f64 v[10:11], v[40:41], v[10:11], v[28:29]
	s_waitcnt_depctr 0xfff
	v_fma_f64 v[28:29], -v[46:47], v[38:39], 1.0
	v_add_f64 v[48:49], v[44:45], v[10:11]
	v_fma_f64 v[28:29], v[38:39], v[28:29], v[38:39]
	s_delay_alu instid0(VALU_DEP_2) | instskip(SKIP_1) | instid1(VALU_DEP_3)
	v_add_f64 v[38:39], v[36:37], -v[48:49]
	v_add_f64 v[44:45], v[48:49], -v[44:45]
	v_fma_f64 v[50:51], -v[46:47], v[28:29], 1.0
	s_delay_alu instid0(VALU_DEP_3) | instskip(NEXT) | instid1(VALU_DEP_3)
	v_add_f64 v[36:37], v[36:37], -v[38:39]
	v_add_f64 v[10:11], v[44:45], -v[10:11]
	s_delay_alu instid0(VALU_DEP_3) | instskip(NEXT) | instid1(VALU_DEP_3)
	v_fma_f64 v[28:29], v[28:29], v[50:51], v[28:29]
	v_add_f64 v[36:37], v[36:37], -v[48:49]
	s_delay_alu instid0(VALU_DEP_2) | instskip(NEXT) | instid1(VALU_DEP_2)
	v_mul_f64 v[44:45], v[52:53], v[28:29]
	v_add_f64 v[10:11], v[10:11], v[36:37]
	s_delay_alu instid0(VALU_DEP_2) | instskip(NEXT) | instid1(VALU_DEP_2)
	v_fma_f64 v[36:37], -v[46:47], v[44:45], v[52:53]
	v_add_f64 v[10:11], v[38:39], v[10:11]
	s_delay_alu instid0(VALU_DEP_2) | instskip(SKIP_4) | instid1(VALU_DEP_1)
	v_div_fmas_f64 v[28:29], v[36:37], v[28:29], v[44:45]
	v_subrev_co_ci_u32_e64 v8, vcc_lo, 0, v8, s1
	v_cmp_eq_f64_e64 s1, 0, v[16:17]
	v_cmp_gt_i32_e32 vcc_lo, 0, v15
	v_cndmask_b32_e32 v14, 0x3fe921fb, v55, vcc_lo
	v_bfi_b32 v14, 0x7fffffff, v14, v17
	v_mul_f64 v[10:11], v[32:33], v[10:11]
	v_div_fixup_f64 v[28:29], v[28:29], v[42:43], v[34:35]
	s_delay_alu instid0(VALU_DEP_2) | instskip(NEXT) | instid1(VALU_DEP_2)
	v_add_f64 v[32:33], v[40:41], v[10:11]
	v_mul_f64 v[34:35], v[28:29], v[28:29]
	s_delay_alu instid0(VALU_DEP_2) | instskip(NEXT) | instid1(VALU_DEP_2)
	v_mul_f64 v[36:37], v[32:33], v[32:33]
	v_fma_f64 v[38:39], v[34:35], s[42:43], s[40:41]
	s_delay_alu instid0(VALU_DEP_2) | instskip(SKIP_1) | instid1(VALU_DEP_3)
	v_fma_f64 v[42:43], v[36:37], s[24:25], s[22:23]
	v_mul_f64 v[44:45], v[32:33], v[36:37]
	v_fma_f64 v[38:39], v[34:35], v[38:39], s[44:45]
	s_delay_alu instid0(VALU_DEP_3) | instskip(NEXT) | instid1(VALU_DEP_2)
	v_fma_f64 v[42:43], v[36:37], v[42:43], s[26:27]
	v_fma_f64 v[38:39], v[34:35], v[38:39], s[46:47]
	s_delay_alu instid0(VALU_DEP_2) | instskip(NEXT) | instid1(VALU_DEP_2)
	v_fma_f64 v[42:43], v[36:37], v[42:43], s[28:29]
	v_fma_f64 v[38:39], v[34:35], v[38:39], s[48:49]
	s_delay_alu instid0(VALU_DEP_2) | instskip(NEXT) | instid1(VALU_DEP_2)
	;; [unrolled: 3-line block ×3, first 2 shown]
	v_fma_f64 v[42:43], v[36:37], v[42:43], s[34:35]
	v_fma_f64 v[38:39], v[34:35], v[38:39], s[52:53]
	s_delay_alu instid0(VALU_DEP_2) | instskip(SKIP_2) | instid1(VALU_DEP_4)
	v_fma_f64 v[36:37], v[36:37], v[42:43], s[90:91]
	v_ldexp_f64 v[42:43], v[32:33], 1
	v_add_f64 v[32:33], v[32:33], -v[40:41]
	v_fma_f64 v[38:39], v[34:35], v[38:39], s[54:55]
	s_delay_alu instid0(VALU_DEP_4) | instskip(SKIP_1) | instid1(VALU_DEP_4)
	v_mul_f64 v[36:37], v[44:45], v[36:37]
	v_cvt_f64_i32_e32 v[44:45], v8
	v_add_f64 v[10:11], v[10:11], -v[32:33]
	v_ashrrev_i32_e32 v8, 31, v15
	v_fma_f64 v[38:39], v[34:35], v[38:39], s[56:57]
	s_delay_alu instid0(VALU_DEP_2)
	v_dual_cndmask_b32 v12, 0x54442d18, v54 :: v_dual_and_b32 v19, 0x54442d18, v8
	v_and_b32_e32 v8, 0x400921fb, v8
	v_add_f64 v[40:41], v[42:43], v[36:37]
	v_mul_f64 v[46:47], v[44:45], s[36:37]
	v_ldexp_f64 v[10:11], v[10:11], 1
	v_fma_f64 v[38:39], v[34:35], v[38:39], s[58:59]
	s_delay_alu instid0(VALU_DEP_4) | instskip(NEXT) | instid1(VALU_DEP_4)
	v_add_f64 v[32:33], v[40:41], -v[42:43]
	v_fma_f64 v[42:43], v[44:45], s[36:37], -v[46:47]
	s_delay_alu instid0(VALU_DEP_3) | instskip(NEXT) | instid1(VALU_DEP_3)
	v_fma_f64 v[38:39], v[34:35], v[38:39], s[60:61]
	v_add_f64 v[32:33], v[36:37], -v[32:33]
	s_delay_alu instid0(VALU_DEP_2) | instskip(NEXT) | instid1(VALU_DEP_4)
	v_fma_f64 v[36:37], v[34:35], v[38:39], s[62:63]
	v_fma_f64 v[38:39], v[44:45], s[38:39], v[42:43]
	s_delay_alu instid0(VALU_DEP_3) | instskip(NEXT) | instid1(VALU_DEP_3)
	v_add_f64 v[10:11], v[10:11], v[32:33]
	v_fma_f64 v[32:33], v[34:35], v[36:37], s[64:65]
	s_delay_alu instid0(VALU_DEP_3) | instskip(NEXT) | instid1(VALU_DEP_3)
	v_add_f64 v[36:37], v[46:47], v[38:39]
	v_add_f64 v[42:43], v[40:41], v[10:11]
	s_delay_alu instid0(VALU_DEP_3) | instskip(NEXT) | instid1(VALU_DEP_3)
	v_fma_f64 v[32:33], v[34:35], v[32:33], s[66:67]
	v_add_f64 v[46:47], v[36:37], -v[46:47]
	s_delay_alu instid0(VALU_DEP_3) | instskip(SKIP_1) | instid1(VALU_DEP_4)
	v_add_f64 v[44:45], v[36:37], v[42:43]
	v_add_f64 v[40:41], v[42:43], -v[40:41]
	v_fma_f64 v[32:33], v[34:35], v[32:33], s[68:69]
	s_delay_alu instid0(VALU_DEP_4) | instskip(NEXT) | instid1(VALU_DEP_4)
	v_add_f64 v[38:39], v[38:39], -v[46:47]
	v_add_f64 v[48:49], v[44:45], -v[36:37]
	s_delay_alu instid0(VALU_DEP_4) | instskip(NEXT) | instid1(VALU_DEP_4)
	v_add_f64 v[10:11], v[10:11], -v[40:41]
	v_fma_f64 v[32:33], v[34:35], v[32:33], s[70:71]
	s_delay_alu instid0(VALU_DEP_3) | instskip(SKIP_1) | instid1(VALU_DEP_4)
	v_add_f64 v[50:51], v[44:45], -v[48:49]
	v_add_f64 v[40:41], v[42:43], -v[48:49]
	v_add_f64 v[42:43], v[38:39], v[10:11]
	s_delay_alu instid0(VALU_DEP_4) | instskip(NEXT) | instid1(VALU_DEP_4)
	v_fma_f64 v[32:33], v[34:35], v[32:33], s[72:73]
	v_add_f64 v[36:37], v[36:37], -v[50:51]
	s_delay_alu instid0(VALU_DEP_2) | instskip(NEXT) | instid1(VALU_DEP_2)
	v_fma_f64 v[32:33], v[34:35], v[32:33], s[74:75]
	v_add_f64 v[36:37], v[40:41], v[36:37]
	v_add_f64 v[40:41], v[42:43], -v[38:39]
	s_delay_alu instid0(VALU_DEP_3) | instskip(NEXT) | instid1(VALU_DEP_3)
	v_fma_f64 v[32:33], v[34:35], v[32:33], s[76:77]
	v_add_f64 v[36:37], v[42:43], v[36:37]
	s_delay_alu instid0(VALU_DEP_3) | instskip(SKIP_1) | instid1(VALU_DEP_4)
	v_add_f64 v[42:43], v[42:43], -v[40:41]
	v_add_f64 v[10:11], v[10:11], -v[40:41]
	v_fma_f64 v[32:33], v[34:35], v[32:33], s[78:79]
	s_delay_alu instid0(VALU_DEP_4) | instskip(NEXT) | instid1(VALU_DEP_2)
	v_add_f64 v[46:47], v[44:45], v[36:37]
	v_mul_f64 v[32:33], v[34:35], v[32:33]
	v_add_f64 v[34:35], v[38:39], -v[42:43]
	s_delay_alu instid0(VALU_DEP_3) | instskip(NEXT) | instid1(VALU_DEP_3)
	v_add_f64 v[38:39], v[46:47], -v[44:45]
	v_fma_f64 v[28:29], v[28:29], v[32:33], v[28:29]
	s_delay_alu instid0(VALU_DEP_3) | instskip(NEXT) | instid1(VALU_DEP_3)
	v_add_f64 v[10:11], v[10:11], v[34:35]
	v_add_f64 v[32:33], v[36:37], -v[38:39]
	s_delay_alu instid0(VALU_DEP_3) | instskip(NEXT) | instid1(VALU_DEP_2)
	v_add_f64 v[34:35], -v[28:29], s[80:81]
	v_add_f64 v[10:11], v[10:11], v[32:33]
	s_delay_alu instid0(VALU_DEP_2) | instskip(NEXT) | instid1(VALU_DEP_3)
	v_cndmask_b32_e64 v29, v29, v35, s0
	v_cndmask_b32_e64 v28, v28, v34, s0
                                        ; implicit-def: $vgpr34_vgpr35
	s_delay_alu instid0(VALU_DEP_1) | instskip(NEXT) | instid1(VALU_DEP_4)
	v_add_f64 v[32:33], -v[28:29], s[10:11]
	v_add_f64 v[10:11], v[46:47], v[10:11]
	s_delay_alu instid0(VALU_DEP_2) | instskip(SKIP_1) | instid1(VALU_DEP_1)
	v_dual_cndmask_b32 v28, v28, v32 :: v_dual_cndmask_b32 v15, v29, v33
	s_and_b32 vcc_lo, s5, s4
                                        ; implicit-def: $vgpr32_vgpr33
	v_cndmask_b32_e64 v19, v28, v19, s1
	s_delay_alu instid0(VALU_DEP_2) | instskip(NEXT) | instid1(VALU_DEP_1)
	v_cndmask_b32_e64 v8, v15, v8, s1
	v_dual_cndmask_b32 v28, v19, v12 :: v_dual_cndmask_b32 v29, v8, v14
	v_mul_f64 v[10:11], v[10:11], 0.5
	s_delay_alu instid0(VALU_DEP_1) | instskip(NEXT) | instid1(VALU_DEP_2)
	v_cndmask_b32_e64 v11, 0xfff00000, v11, s2
	v_cndmask_b32_e64 v10, 0, v10, s2
.LBB198_239:                            ;   in Loop: Header=BB198_162 Depth=1
	s_and_not1_saveexec_b32 s99, s3
	s_cbranch_execz .LBB198_243
; %bb.240:                              ;   in Loop: Header=BB198_162 Depth=1
	v_dual_mov_b32 v28, v18 :: v_dual_and_b32 v19, 0x7ffffff8, v35
	v_and_b32_e32 v29, 0x7ffffff8, v33
	s_mov_b32 s91, 0
	s_delay_alu instid0(VALU_DEP_2) | instskip(SKIP_1) | instid1(VALU_DEP_3)
	v_add_f64 v[10:11], v[34:35], -v[18:19]
	v_mov_b32_e32 v34, v18
	v_add_f64 v[30:31], v[32:33], -v[28:29]
	v_mov_b32_e32 v36, v18
	v_add_f64 v[38:39], v[18:19], v[18:19]
	v_add_f64 v[46:47], v[28:29], v[28:29]
	v_mul_f64 v[32:33], v[28:29], v[28:29]
	v_and_b32_e32 v35, -8, v11
	v_and_b32_e32 v37, -8, v31
	s_delay_alu instid0(VALU_DEP_2) | instskip(SKIP_1) | instid1(VALU_DEP_3)
	v_add_f64 v[48:49], v[10:11], -v[34:35]
	v_add_f64 v[52:53], v[34:35], v[34:35]
	v_add_f64 v[50:51], v[30:31], -v[36:37]
	v_add_f64 v[56:57], v[36:37], v[36:37]
	v_mul_f64 v[10:11], v[18:19], v[18:19]
	v_mul_f64 v[44:45], v[38:39], v[34:35]
	;; [unrolled: 1-line block ×11, first 2 shown]
.LBB198_241:                            ;   Parent Loop BB198_162 Depth=1
                                        ; =>  This Inner Loop Header: Depth=2
	v_cmp_nlt_f64_e32 vcc_lo, v[10:11], v[32:33]
	v_dual_cndmask_b32 v51, v11, v33 :: v_dual_cndmask_b32 v50, v10, v32
	v_dual_cndmask_b32 v11, v33, v11 :: v_dual_cndmask_b32 v10, v32, v10
	s_delay_alu instid0(VALU_DEP_2) | instskip(NEXT) | instid1(VALU_DEP_1)
	v_cmp_nlt_f64_e64 s1, v[50:51], v[44:45]
	v_cndmask_b32_e64 v53, v51, v45, s1
	v_cndmask_b32_e64 v52, v50, v44, s1
	;; [unrolled: 1-line block ×4, first 2 shown]
	s_and_b32 s1, vcc_lo, s1
	s_delay_alu instid0(VALU_DEP_3) | instskip(NEXT) | instid1(VALU_DEP_1)
	v_cmp_nlt_f64_e64 s2, v[52:53], v[30:31]
	v_cndmask_b32_e64 v57, v53, v31, s2
	v_cndmask_b32_e64 v56, v52, v30, s2
	;; [unrolled: 1-line block ×4, first 2 shown]
	s_delay_alu instid0(VALU_DEP_3) | instskip(NEXT) | instid1(VALU_DEP_1)
	v_cmp_nlt_f64_e64 s3, v[56:57], v[42:43]
	v_cndmask_b32_e64 v59, v57, v43, s3
	v_cndmask_b32_e64 v58, v56, v42, s3
	;; [unrolled: 1-line block ×4, first 2 shown]
	s_and_b32 s2, s2, s3
	s_delay_alu instid0(VALU_DEP_3) | instskip(NEXT) | instid1(VALU_DEP_1)
	v_cmp_nlt_f64_e64 s4, v[58:59], v[28:29]
	v_cndmask_b32_e64 v61, v59, v29, s4
	v_cndmask_b32_e64 v60, v58, v28, s4
	;; [unrolled: 1-line block ×4, first 2 shown]
	s_delay_alu instid0(VALU_DEP_3) | instskip(NEXT) | instid1(VALU_DEP_1)
	v_cmp_nlt_f64_e64 s5, v[60:61], v[40:41]
	v_cndmask_b32_e64 v63, v61, v41, s5
	v_cndmask_b32_e64 v62, v60, v40, s5
	s_and_b32 s3, s4, s5
	v_cndmask_b32_e64 v29, v41, v61, s5
	v_cndmask_b32_e64 v28, v40, v60, s5
	s_delay_alu instid0(VALU_DEP_3) | instskip(NEXT) | instid1(VALU_DEP_1)
	v_cmp_nlt_f64_e64 s6, v[62:63], v[38:39]
	v_cndmask_b32_e64 v65, v63, v39, s6
	v_cndmask_b32_e64 v64, v62, v38, s6
	s_and_b32 s3, s3, s6
	v_cndmask_b32_e64 v41, v39, v63, s6
	v_cndmask_b32_e64 v40, v38, v62, s6
	;; [unrolled: 7-line block ×5, first 2 shown]
	s_delay_alu instid0(VALU_DEP_3) | instskip(NEXT) | instid1(VALU_DEP_1)
	v_cmp_nlt_f64_e64 s10, v[70:71], v[48:49]
	v_cndmask_b32_e64 v51, v71, v49, s10
	v_cndmask_b32_e64 v50, v70, v48, s10
	s_and_b32 s3, s3, s10
	v_cndmask_b32_e64 v47, v49, v71, s10
	s_and_b32 s2, s3, s2
	v_cndmask_b32_e64 v46, v48, v70, s10
	s_and_b32 s1, s2, s1
	v_dual_mov_b32 v48, v50 :: v_dual_mov_b32 v49, v51
	s_and_b32 s1, exec_lo, s1
	s_delay_alu instid0(SALU_CYCLE_1) | instskip(NEXT) | instid1(SALU_CYCLE_1)
	s_or_b32 s91, s1, s91
	s_and_not1_b32 exec_lo, exec_lo, s91
	s_cbranch_execnz .LBB198_241
; %bb.242:                              ;   in Loop: Header=BB198_162 Depth=1
	s_or_b32 exec_lo, exec_lo, s91
	v_add_f64 v[10:11], v[10:11], -1.0
	s_mov_b32 s91, s21
	s_mov_b32 s10, s80
	v_cmp_gt_i32_e64 s1, 0, v15
	v_cmp_class_f64_e64 s3, v[14:15], 0x204
	v_cmp_class_f64_e64 s2, v[16:17], 0x204
	s_delay_alu instid0(VALU_DEP_3) | instskip(SKIP_1) | instid1(VALU_DEP_1)
	v_cndmask_b32_e64 v19, 0x54442d18, v54, s1
	v_add_f64 v[10:11], v[10:11], v[32:33]
	v_add_f64 v[10:11], v[10:11], v[44:45]
	s_delay_alu instid0(VALU_DEP_1) | instskip(NEXT) | instid1(VALU_DEP_1)
	v_add_f64 v[10:11], v[10:11], v[30:31]
	v_add_f64 v[10:11], v[10:11], v[42:43]
	s_delay_alu instid0(VALU_DEP_1) | instskip(NEXT) | instid1(VALU_DEP_1)
	;; [unrolled: 3-line block ×5, first 2 shown]
	v_add_f64 v[11:12], v[50:51], v[10:11]
	v_add_f64 v[28:29], v[11:12], 1.0
	s_delay_alu instid0(VALU_DEP_1) | instskip(SKIP_2) | instid1(VALU_DEP_3)
	v_frexp_mant_f64_e32 v[30:31], v[28:29]
	v_frexp_exp_i32_f64_e32 v8, v[28:29]
	v_add_f64 v[32:33], v[28:29], -1.0
	v_cmp_gt_f64_e32 vcc_lo, s[20:21], v[30:31]
	s_delay_alu instid0(VALU_DEP_2) | instskip(SKIP_2) | instid1(VALU_DEP_3)
	v_add_f64 v[30:31], v[32:33], -v[28:29]
	v_add_f64 v[32:33], v[11:12], -v[32:33]
	v_subrev_co_ci_u32_e32 v8, vcc_lo, 0, v8, vcc_lo
	v_add_f64 v[30:31], v[30:31], 1.0
	s_delay_alu instid0(VALU_DEP_2) | instskip(NEXT) | instid1(VALU_DEP_1)
	v_sub_nc_u32_e32 v10, 0, v8
	v_ldexp_f64 v[28:29], v[28:29], v10
	s_delay_alu instid0(VALU_DEP_3) | instskip(NEXT) | instid1(VALU_DEP_2)
	v_add_f64 v[30:31], v[32:33], v[30:31]
	v_add_f64 v[34:35], v[28:29], 1.0
	v_add_f64 v[40:41], v[28:29], -1.0
	s_delay_alu instid0(VALU_DEP_3) | instskip(NEXT) | instid1(VALU_DEP_3)
	v_ldexp_f64 v[30:31], v[30:31], v10
	v_add_f64 v[32:33], v[34:35], -1.0
	s_delay_alu instid0(VALU_DEP_3) | instskip(NEXT) | instid1(VALU_DEP_2)
	v_add_f64 v[42:43], v[40:41], 1.0
	v_add_f64 v[32:33], v[28:29], -v[32:33]
	s_delay_alu instid0(VALU_DEP_2) | instskip(NEXT) | instid1(VALU_DEP_2)
	v_add_f64 v[28:29], v[28:29], -v[42:43]
	v_add_f64 v[32:33], v[30:31], v[32:33]
	s_delay_alu instid0(VALU_DEP_2) | instskip(NEXT) | instid1(VALU_DEP_2)
	v_add_f64 v[28:29], v[30:31], v[28:29]
	v_add_f64 v[36:37], v[34:35], v[32:33]
	s_delay_alu instid0(VALU_DEP_2) | instskip(NEXT) | instid1(VALU_DEP_2)
	v_add_f64 v[42:43], v[40:41], v[28:29]
	v_rcp_f64_e32 v[38:39], v[36:37]
	v_add_f64 v[34:35], v[36:37], -v[34:35]
	s_delay_alu instid0(VALU_DEP_2) | instskip(NEXT) | instid1(VALU_DEP_2)
	v_add_f64 v[40:41], v[42:43], -v[40:41]
	v_add_f64 v[32:33], v[32:33], -v[34:35]
	s_waitcnt_depctr 0xfff
	v_fma_f64 v[44:45], -v[36:37], v[38:39], 1.0
	v_add_f64 v[28:29], v[28:29], -v[40:41]
	s_delay_alu instid0(VALU_DEP_2) | instskip(NEXT) | instid1(VALU_DEP_1)
	v_fma_f64 v[38:39], v[44:45], v[38:39], v[38:39]
	v_fma_f64 v[30:31], -v[36:37], v[38:39], 1.0
	s_delay_alu instid0(VALU_DEP_1) | instskip(NEXT) | instid1(VALU_DEP_1)
	v_fma_f64 v[30:31], v[30:31], v[38:39], v[38:39]
	v_mul_f64 v[38:39], v[42:43], v[30:31]
	s_delay_alu instid0(VALU_DEP_1) | instskip(NEXT) | instid1(VALU_DEP_1)
	v_mul_f64 v[44:45], v[36:37], v[38:39]
	v_fma_f64 v[34:35], v[38:39], v[36:37], -v[44:45]
	s_delay_alu instid0(VALU_DEP_1) | instskip(NEXT) | instid1(VALU_DEP_1)
	v_fma_f64 v[34:35], v[38:39], v[32:33], v[34:35]
	v_add_f64 v[46:47], v[44:45], v[34:35]
	s_delay_alu instid0(VALU_DEP_1) | instskip(SKIP_2) | instid1(VALU_DEP_3)
	v_add_f64 v[48:49], v[42:43], -v[46:47]
	v_add_f64 v[40:41], v[46:47], -v[44:45]
	v_max_f64 v[44:45], |v[16:17]|, |v[16:17]|
	v_add_f64 v[42:43], v[42:43], -v[48:49]
	s_delay_alu instid0(VALU_DEP_3) | instskip(NEXT) | instid1(VALU_DEP_2)
	v_add_f64 v[34:35], v[40:41], -v[34:35]
	v_add_f64 v[42:43], v[42:43], -v[46:47]
	v_max_f64 v[46:47], |v[14:15]|, |v[14:15]|
	v_cndmask_b32_e64 v14, 0x3fe921fb, v55, s1
	s_delay_alu instid0(VALU_DEP_1) | instskip(NEXT) | instid1(VALU_DEP_4)
	v_bfi_b32 v14, 0x7fffffff, v14, v17
	v_add_f64 v[28:29], v[28:29], v[42:43]
	s_delay_alu instid0(VALU_DEP_4) | instskip(SKIP_1) | instid1(VALU_DEP_3)
	v_max_f64 v[50:51], v[46:47], v[44:45]
	v_min_f64 v[44:45], v[46:47], v[44:45]
	v_add_f64 v[28:29], v[34:35], v[28:29]
	s_delay_alu instid0(VALU_DEP_1) | instskip(NEXT) | instid1(VALU_DEP_1)
	v_add_f64 v[34:35], v[48:49], v[28:29]
	v_mul_f64 v[40:41], v[30:31], v[34:35]
	v_add_f64 v[48:49], v[48:49], -v[34:35]
	s_delay_alu instid0(VALU_DEP_2) | instskip(NEXT) | instid1(VALU_DEP_2)
	v_mul_f64 v[42:43], v[36:37], v[40:41]
	v_add_f64 v[28:29], v[28:29], v[48:49]
	s_delay_alu instid0(VALU_DEP_2) | instskip(NEXT) | instid1(VALU_DEP_1)
	v_fma_f64 v[36:37], v[40:41], v[36:37], -v[42:43]
	v_fma_f64 v[32:33], v[40:41], v[32:33], v[36:37]
	v_div_scale_f64 v[36:37], null, v[50:51], v[50:51], v[44:45]
	s_delay_alu instid0(VALU_DEP_2) | instskip(NEXT) | instid1(VALU_DEP_2)
	v_add_f64 v[46:47], v[42:43], v[32:33]
	v_rcp_f64_e32 v[52:53], v[36:37]
	s_delay_alu instid0(VALU_DEP_1)
	v_add_f64 v[56:57], v[34:35], -v[46:47]
	v_add_f64 v[42:43], v[46:47], -v[42:43]
	s_waitcnt_depctr 0xfff
	v_fma_f64 v[58:59], -v[36:37], v[52:53], 1.0
	v_add_f64 v[34:35], v[34:35], -v[56:57]
	v_add_f64 v[32:33], v[42:43], -v[32:33]
	s_delay_alu instid0(VALU_DEP_3) | instskip(NEXT) | instid1(VALU_DEP_3)
	v_fma_f64 v[52:53], v[52:53], v[58:59], v[52:53]
	v_add_f64 v[34:35], v[34:35], -v[46:47]
	s_delay_alu instid0(VALU_DEP_2) | instskip(NEXT) | instid1(VALU_DEP_2)
	v_fma_f64 v[46:47], -v[36:37], v[52:53], 1.0
	v_add_f64 v[28:29], v[28:29], v[34:35]
	v_div_scale_f64 v[34:35], vcc_lo, v[44:45], v[50:51], v[44:45]
	s_delay_alu instid0(VALU_DEP_3) | instskip(SKIP_1) | instid1(VALU_DEP_4)
	v_fma_f64 v[42:43], v[52:53], v[46:47], v[52:53]
	v_add_f64 v[46:47], v[38:39], v[40:41]
	v_add_f64 v[28:29], v[32:33], v[28:29]
	s_delay_alu instid0(VALU_DEP_3) | instskip(NEXT) | instid1(VALU_DEP_3)
	v_mul_f64 v[32:33], v[34:35], v[42:43]
	v_add_f64 v[38:39], v[46:47], -v[38:39]
	s_delay_alu instid0(VALU_DEP_3) | instskip(NEXT) | instid1(VALU_DEP_3)
	v_add_f64 v[28:29], v[56:57], v[28:29]
	v_fma_f64 v[34:35], -v[36:37], v[32:33], v[34:35]
	s_delay_alu instid0(VALU_DEP_3) | instskip(NEXT) | instid1(VALU_DEP_3)
	v_add_f64 v[36:37], v[40:41], -v[38:39]
	v_mul_f64 v[28:29], v[30:31], v[28:29]
	s_delay_alu instid0(VALU_DEP_3) | instskip(SKIP_1) | instid1(VALU_DEP_3)
	v_div_fmas_f64 v[30:31], v[34:35], v[42:43], v[32:33]
	v_cmp_eq_f64_e32 vcc_lo, 0x7ff00000, v[11:12]
	v_add_f64 v[28:29], v[36:37], v[28:29]
	s_delay_alu instid0(VALU_DEP_3) | instskip(NEXT) | instid1(VALU_DEP_2)
	v_div_fixup_f64 v[30:31], v[30:31], v[50:51], v[44:45]
	v_add_f64 v[32:33], v[46:47], v[28:29]
	s_delay_alu instid0(VALU_DEP_2) | instskip(NEXT) | instid1(VALU_DEP_2)
	v_mul_f64 v[34:35], v[30:31], v[30:31]
	v_mul_f64 v[36:37], v[32:33], v[32:33]
	s_delay_alu instid0(VALU_DEP_2) | instskip(NEXT) | instid1(VALU_DEP_2)
	v_fma_f64 v[38:39], v[34:35], s[42:43], s[40:41]
	v_fma_f64 v[40:41], v[36:37], s[24:25], s[22:23]
	v_mul_f64 v[42:43], v[32:33], v[36:37]
	s_delay_alu instid0(VALU_DEP_3) | instskip(NEXT) | instid1(VALU_DEP_3)
	v_fma_f64 v[38:39], v[34:35], v[38:39], s[44:45]
	v_fma_f64 v[40:41], v[36:37], v[40:41], s[26:27]
	s_delay_alu instid0(VALU_DEP_2) | instskip(NEXT) | instid1(VALU_DEP_2)
	v_fma_f64 v[38:39], v[34:35], v[38:39], s[46:47]
	v_fma_f64 v[40:41], v[36:37], v[40:41], s[28:29]
	s_delay_alu instid0(VALU_DEP_2) | instskip(NEXT) | instid1(VALU_DEP_2)
	;; [unrolled: 3-line block ×4, first 2 shown]
	v_fma_f64 v[38:39], v[34:35], v[38:39], s[52:53]
	v_fma_f64 v[36:37], v[36:37], v[40:41], s[90:91]
	v_ldexp_f64 v[40:41], v[32:33], 1
	v_add_f64 v[32:33], v[32:33], -v[46:47]
	s_delay_alu instid0(VALU_DEP_4) | instskip(NEXT) | instid1(VALU_DEP_4)
	v_fma_f64 v[38:39], v[34:35], v[38:39], s[54:55]
	v_mul_f64 v[36:37], v[42:43], v[36:37]
	v_cvt_f64_i32_e32 v[42:43], v8
	s_delay_alu instid0(VALU_DEP_4) | instskip(NEXT) | instid1(VALU_DEP_4)
	v_add_f64 v[28:29], v[28:29], -v[32:33]
	v_fma_f64 v[38:39], v[34:35], v[38:39], s[56:57]
	v_ashrrev_i32_e32 v8, 31, v15
	s_delay_alu instid0(VALU_DEP_1)
	v_and_b32_e32 v10, 0x54442d18, v8
	v_and_b32_e32 v8, 0x400921fb, v8
	v_add_f64 v[44:45], v[40:41], v[36:37]
	v_mul_f64 v[46:47], v[42:43], s[36:37]
	v_ldexp_f64 v[28:29], v[28:29], 1
	v_fma_f64 v[38:39], v[34:35], v[38:39], s[58:59]
	s_delay_alu instid0(VALU_DEP_4) | instskip(NEXT) | instid1(VALU_DEP_4)
	v_add_f64 v[32:33], v[44:45], -v[40:41]
	v_fma_f64 v[40:41], v[42:43], s[36:37], -v[46:47]
	s_delay_alu instid0(VALU_DEP_3) | instskip(NEXT) | instid1(VALU_DEP_3)
	v_fma_f64 v[38:39], v[34:35], v[38:39], s[60:61]
	v_add_f64 v[32:33], v[36:37], -v[32:33]
	s_delay_alu instid0(VALU_DEP_2) | instskip(NEXT) | instid1(VALU_DEP_4)
	v_fma_f64 v[36:37], v[34:35], v[38:39], s[62:63]
	v_fma_f64 v[38:39], v[42:43], s[38:39], v[40:41]
	s_delay_alu instid0(VALU_DEP_3) | instskip(NEXT) | instid1(VALU_DEP_3)
	v_add_f64 v[28:29], v[28:29], v[32:33]
	v_fma_f64 v[32:33], v[34:35], v[36:37], s[64:65]
	s_delay_alu instid0(VALU_DEP_3) | instskip(NEXT) | instid1(VALU_DEP_3)
	v_add_f64 v[36:37], v[46:47], v[38:39]
	v_add_f64 v[40:41], v[44:45], v[28:29]
	s_delay_alu instid0(VALU_DEP_3) | instskip(NEXT) | instid1(VALU_DEP_3)
	v_fma_f64 v[32:33], v[34:35], v[32:33], s[66:67]
	v_add_f64 v[46:47], v[36:37], -v[46:47]
	s_delay_alu instid0(VALU_DEP_3) | instskip(SKIP_1) | instid1(VALU_DEP_4)
	v_add_f64 v[42:43], v[36:37], v[40:41]
	v_add_f64 v[44:45], v[40:41], -v[44:45]
	v_fma_f64 v[32:33], v[34:35], v[32:33], s[68:69]
	s_delay_alu instid0(VALU_DEP_4) | instskip(NEXT) | instid1(VALU_DEP_4)
	v_add_f64 v[38:39], v[38:39], -v[46:47]
	v_add_f64 v[48:49], v[42:43], -v[36:37]
	s_delay_alu instid0(VALU_DEP_4) | instskip(NEXT) | instid1(VALU_DEP_4)
	v_add_f64 v[28:29], v[28:29], -v[44:45]
	v_fma_f64 v[32:33], v[34:35], v[32:33], s[70:71]
	s_delay_alu instid0(VALU_DEP_3) | instskip(SKIP_1) | instid1(VALU_DEP_4)
	v_add_f64 v[50:51], v[42:43], -v[48:49]
	v_add_f64 v[40:41], v[40:41], -v[48:49]
	v_add_f64 v[44:45], v[38:39], v[28:29]
	s_delay_alu instid0(VALU_DEP_4) | instskip(NEXT) | instid1(VALU_DEP_4)
	v_fma_f64 v[32:33], v[34:35], v[32:33], s[72:73]
	v_add_f64 v[36:37], v[36:37], -v[50:51]
	s_delay_alu instid0(VALU_DEP_2) | instskip(NEXT) | instid1(VALU_DEP_2)
	v_fma_f64 v[32:33], v[34:35], v[32:33], s[74:75]
	v_add_f64 v[36:37], v[40:41], v[36:37]
	v_add_f64 v[40:41], v[44:45], -v[38:39]
	s_delay_alu instid0(VALU_DEP_3) | instskip(NEXT) | instid1(VALU_DEP_3)
	v_fma_f64 v[32:33], v[34:35], v[32:33], s[76:77]
	v_add_f64 v[36:37], v[44:45], v[36:37]
	s_delay_alu instid0(VALU_DEP_3) | instskip(SKIP_1) | instid1(VALU_DEP_4)
	v_add_f64 v[44:45], v[44:45], -v[40:41]
	v_add_f64 v[28:29], v[28:29], -v[40:41]
	v_fma_f64 v[32:33], v[34:35], v[32:33], s[78:79]
	s_delay_alu instid0(VALU_DEP_4) | instskip(NEXT) | instid1(VALU_DEP_2)
	v_add_f64 v[46:47], v[42:43], v[36:37]
	v_mul_f64 v[32:33], v[34:35], v[32:33]
	v_add_f64 v[34:35], v[38:39], -v[44:45]
	s_delay_alu instid0(VALU_DEP_3) | instskip(NEXT) | instid1(VALU_DEP_3)
	v_add_f64 v[38:39], v[46:47], -v[42:43]
	v_fma_f64 v[30:31], v[30:31], v[32:33], v[30:31]
	s_delay_alu instid0(VALU_DEP_3) | instskip(NEXT) | instid1(VALU_DEP_3)
	v_add_f64 v[28:29], v[28:29], v[34:35]
	v_add_f64 v[32:33], v[36:37], -v[38:39]
	s_delay_alu instid0(VALU_DEP_3) | instskip(NEXT) | instid1(VALU_DEP_2)
	v_add_f64 v[34:35], -v[30:31], s[80:81]
	v_add_f64 v[28:29], v[28:29], v[32:33]
	s_delay_alu instid0(VALU_DEP_2) | instskip(NEXT) | instid1(VALU_DEP_3)
	v_cndmask_b32_e64 v31, v31, v35, s0
	v_cndmask_b32_e64 v30, v30, v34, s0
	s_delay_alu instid0(VALU_DEP_1) | instskip(NEXT) | instid1(VALU_DEP_4)
	v_add_f64 v[32:33], -v[30:31], s[10:11]
	v_add_f64 v[28:29], v[46:47], v[28:29]
	s_delay_alu instid0(VALU_DEP_2) | instskip(NEXT) | instid1(VALU_DEP_3)
	v_cndmask_b32_e64 v30, v30, v32, s1
	v_cndmask_b32_e64 v15, v31, v33, s1
	v_cmp_nge_f64_e64 s1, -1.0, v[11:12]
	s_delay_alu instid0(VALU_DEP_4) | instskip(SKIP_1) | instid1(VALU_DEP_2)
	v_dual_cndmask_b32 v29, v29, v12 :: v_dual_cndmask_b32 v28, v28, v11
	v_cmp_eq_f64_e32 vcc_lo, 0, v[16:17]
	v_mul_f64 v[28:29], v[28:29], 0.5
	v_cndmask_b32_e32 v30, v30, v10, vcc_lo
	v_cndmask_b32_e32 v8, v15, v8, vcc_lo
	v_cmp_ngt_f64_e32 vcc_lo, -1.0, v[11:12]
	s_delay_alu instid0(VALU_DEP_4) | instskip(SKIP_4) | instid1(VALU_DEP_2)
	v_cndmask_b32_e64 v10, 0, v28, s1
	v_cmp_neq_f64_e64 s1, -1.0, v[11:12]
	v_cndmask_b32_e32 v15, 0x7ff80000, v29, vcc_lo
	s_and_b32 vcc_lo, s3, s2
	v_dual_cndmask_b32 v29, v8, v14 :: v_dual_cndmask_b32 v28, v30, v19
	v_cndmask_b32_e64 v11, 0xfff00000, v15, s1
.LBB198_243:                            ;   in Loop: Header=BB198_162 Depth=1
	s_or_b32 exec_lo, exec_lo, s99
.LBB198_244:                            ;   in Loop: Header=BB198_162 Depth=1
	s_delay_alu instid0(SALU_CYCLE_1)
	s_or_b32 exec_lo, exec_lo, s98
.LBB198_245:                            ;   in Loop: Header=BB198_162 Depth=1
	s_and_not1_saveexec_b32 s3, s97
	s_cbranch_execz .LBB198_247
; %bb.246:                              ;   in Loop: Header=BB198_162 Depth=1
	v_max_f64 v[10:11], |v[16:17]|, |v[16:17]|
	v_max_f64 v[28:29], |v[14:15]|, |v[14:15]|
	v_cmp_class_f64_e64 s4, v[14:15], 0x204
	v_cmp_class_f64_e64 s5, v[16:17], 0x204
	s_mov_b32 s91, s21
	s_mov_b32 s10, s80
	v_cmp_eq_f64_e64 s2, 0, v[16:17]
	s_delay_alu instid0(VALU_DEP_4) | instskip(SKIP_1) | instid1(VALU_DEP_4)
	v_max_f64 v[30:31], v[28:29], v[10:11]
	v_min_f64 v[10:11], v[28:29], v[10:11]
	s_or_b32 s6, s4, s5
	s_delay_alu instid0(VALU_DEP_2) | instskip(NEXT) | instid1(VALU_DEP_1)
	v_frexp_exp_i32_f64_e32 v8, v[30:31]
	v_sub_nc_u32_e32 v12, 0, v8
	s_delay_alu instid0(VALU_DEP_1) | instskip(SKIP_1) | instid1(VALU_DEP_2)
	v_ldexp_f64 v[32:33], |v[16:17]|, v12
	v_ldexp_f64 v[34:35], |v[14:15]|, v12
	v_mul_f64 v[32:33], v[32:33], v[32:33]
	s_delay_alu instid0(VALU_DEP_1) | instskip(NEXT) | instid1(VALU_DEP_1)
	v_fma_f64 v[32:33], v[34:35], v[34:35], v[32:33]
	v_rsq_f64_e32 v[34:35], v[32:33]
	v_cmp_eq_f64_e32 vcc_lo, 0, v[32:33]
	s_waitcnt_depctr 0xfff
	v_mul_f64 v[36:37], v[32:33], v[34:35]
	v_mul_f64 v[34:35], v[34:35], 0.5
	s_delay_alu instid0(VALU_DEP_1) | instskip(NEXT) | instid1(VALU_DEP_1)
	v_fma_f64 v[38:39], -v[34:35], v[36:37], 0.5
	v_fma_f64 v[36:37], v[36:37], v[38:39], v[36:37]
	v_fma_f64 v[34:35], v[34:35], v[38:39], v[34:35]
	s_delay_alu instid0(VALU_DEP_2) | instskip(NEXT) | instid1(VALU_DEP_1)
	v_fma_f64 v[38:39], -v[36:37], v[36:37], v[32:33]
	v_fma_f64 v[34:35], v[38:39], v[34:35], v[36:37]
	s_delay_alu instid0(VALU_DEP_1) | instskip(SKIP_1) | instid1(VALU_DEP_2)
	v_dual_cndmask_b32 v33, v35, v33 :: v_dual_cndmask_b32 v32, v34, v32
	v_div_scale_f64 v[56:57], vcc_lo, v[10:11], v[30:31], v[10:11]
	v_ldexp_f64 v[32:33], v[32:33], v8
	s_delay_alu instid0(VALU_DEP_1) | instskip(NEXT) | instid1(VALU_DEP_2)
	v_cndmask_b32_e64 v35, v33, 0x7ff00000, s6
	v_cndmask_b32_e64 v34, v32, 0, s6
	s_delay_alu instid0(VALU_DEP_1) | instskip(SKIP_1) | instid1(VALU_DEP_2)
	v_frexp_mant_f64_e32 v[36:37], v[34:35]
	v_frexp_exp_i32_f64_e32 v8, v[34:35]
	v_cmp_gt_f64_e64 s1, s[20:21], v[36:37]
	s_delay_alu instid0(VALU_DEP_1) | instskip(NEXT) | instid1(VALU_DEP_1)
	v_cndmask_b32_e64 v19, 0x3ff00000, 2.0, s1
	v_mul_f64 v[36:37], v[36:37], v[18:19]
	s_delay_alu instid0(VALU_DEP_1) | instskip(SKIP_1) | instid1(VALU_DEP_2)
	v_add_f64 v[38:39], v[36:37], 1.0
	v_add_f64 v[44:45], v[36:37], -1.0
	v_rcp_f64_e32 v[40:41], v[38:39]
	v_add_f64 v[46:47], v[38:39], -1.0
	s_delay_alu instid0(VALU_DEP_1) | instskip(SKIP_2) | instid1(VALU_DEP_1)
	v_add_f64 v[36:37], v[36:37], -v[46:47]
	s_waitcnt_depctr 0xfff
	v_fma_f64 v[42:43], -v[38:39], v[40:41], 1.0
	v_fma_f64 v[40:41], v[42:43], v[40:41], v[40:41]
	s_delay_alu instid0(VALU_DEP_1) | instskip(NEXT) | instid1(VALU_DEP_1)
	v_fma_f64 v[42:43], -v[38:39], v[40:41], 1.0
	v_fma_f64 v[40:41], v[42:43], v[40:41], v[40:41]
	v_div_scale_f64 v[42:43], null, v[30:31], v[30:31], v[10:11]
	s_delay_alu instid0(VALU_DEP_2) | instskip(NEXT) | instid1(VALU_DEP_2)
	v_mul_f64 v[28:29], v[44:45], v[40:41]
	v_rcp_f64_e32 v[50:51], v[42:43]
	s_delay_alu instid0(VALU_DEP_1) | instskip(SKIP_3) | instid1(VALU_DEP_1)
	v_mul_f64 v[48:49], v[38:39], v[28:29]
	s_waitcnt_depctr 0xfff
	v_fma_f64 v[46:47], -v[42:43], v[50:51], 1.0
	v_fma_f64 v[38:39], v[28:29], v[38:39], -v[48:49]
	v_fma_f64 v[36:37], v[28:29], v[36:37], v[38:39]
	s_delay_alu instid0(VALU_DEP_3) | instskip(NEXT) | instid1(VALU_DEP_2)
	v_fma_f64 v[38:39], v[50:51], v[46:47], v[50:51]
	v_add_f64 v[46:47], v[48:49], v[36:37]
	s_delay_alu instid0(VALU_DEP_2) | instskip(NEXT) | instid1(VALU_DEP_2)
	v_fma_f64 v[50:51], -v[42:43], v[38:39], 1.0
	v_add_f64 v[52:53], v[44:45], -v[46:47]
	s_delay_alu instid0(VALU_DEP_2) | instskip(SKIP_1) | instid1(VALU_DEP_3)
	v_fma_f64 v[38:39], v[38:39], v[50:51], v[38:39]
	v_add_f64 v[48:49], v[46:47], -v[48:49]
	v_add_f64 v[44:45], v[44:45], -v[52:53]
	s_delay_alu instid0(VALU_DEP_3) | instskip(NEXT) | instid1(VALU_DEP_3)
	v_mul_f64 v[50:51], v[56:57], v[38:39]
	v_add_f64 v[36:37], v[48:49], -v[36:37]
	s_delay_alu instid0(VALU_DEP_3) | instskip(NEXT) | instid1(VALU_DEP_3)
	v_add_f64 v[44:45], v[44:45], -v[46:47]
	v_fma_f64 v[42:43], -v[42:43], v[50:51], v[56:57]
	s_delay_alu instid0(VALU_DEP_2) | instskip(NEXT) | instid1(VALU_DEP_2)
	v_add_f64 v[36:37], v[36:37], v[44:45]
	v_div_fmas_f64 v[38:39], v[42:43], v[38:39], v[50:51]
	v_subrev_co_ci_u32_e64 v8, vcc_lo, 0, v8, s1
	v_cmp_class_f64_e64 s1, v[32:33], 0x204
	v_cmp_gt_i32_e32 vcc_lo, 0, v15
	v_cndmask_b32_e32 v12, 0x54442d18, v54, vcc_lo
	v_add_f64 v[36:37], v[52:53], v[36:37]
	v_div_fixup_f64 v[10:11], v[38:39], v[30:31], v[10:11]
	s_delay_alu instid0(VALU_DEP_2) | instskip(NEXT) | instid1(VALU_DEP_2)
	v_mul_f64 v[30:31], v[40:41], v[36:37]
	v_mul_f64 v[36:37], v[10:11], v[10:11]
	s_delay_alu instid0(VALU_DEP_2) | instskip(NEXT) | instid1(VALU_DEP_2)
	v_add_f64 v[38:39], v[28:29], v[30:31]
	v_fma_f64 v[40:41], v[36:37], s[42:43], s[40:41]
	s_delay_alu instid0(VALU_DEP_2) | instskip(NEXT) | instid1(VALU_DEP_2)
	v_mul_f64 v[42:43], v[38:39], v[38:39]
	v_fma_f64 v[40:41], v[36:37], v[40:41], s[44:45]
	v_add_f64 v[28:29], v[38:39], -v[28:29]
	s_delay_alu instid0(VALU_DEP_3) | instskip(NEXT) | instid1(VALU_DEP_3)
	v_fma_f64 v[44:45], v[42:43], s[24:25], s[22:23]
	v_fma_f64 v[40:41], v[36:37], v[40:41], s[46:47]
	v_mul_f64 v[46:47], v[38:39], v[42:43]
	s_delay_alu instid0(VALU_DEP_4) | instskip(NEXT) | instid1(VALU_DEP_4)
	v_add_f64 v[28:29], v[30:31], -v[28:29]
	v_fma_f64 v[44:45], v[42:43], v[44:45], s[26:27]
	s_delay_alu instid0(VALU_DEP_4) | instskip(NEXT) | instid1(VALU_DEP_3)
	v_fma_f64 v[40:41], v[36:37], v[40:41], s[48:49]
	v_ldexp_f64 v[28:29], v[28:29], 1
	s_delay_alu instid0(VALU_DEP_3) | instskip(NEXT) | instid1(VALU_DEP_3)
	v_fma_f64 v[44:45], v[42:43], v[44:45], s[28:29]
	v_fma_f64 v[40:41], v[36:37], v[40:41], s[50:51]
	s_delay_alu instid0(VALU_DEP_2) | instskip(NEXT) | instid1(VALU_DEP_2)
	v_fma_f64 v[44:45], v[42:43], v[44:45], s[30:31]
	v_fma_f64 v[40:41], v[36:37], v[40:41], s[52:53]
	s_delay_alu instid0(VALU_DEP_2) | instskip(NEXT) | instid1(VALU_DEP_2)
	;; [unrolled: 3-line block ×3, first 2 shown]
	v_fma_f64 v[42:43], v[42:43], v[44:45], s[90:91]
	v_fma_f64 v[40:41], v[36:37], v[40:41], s[56:57]
	v_ldexp_f64 v[44:45], v[38:39], 1
	s_delay_alu instid0(VALU_DEP_3) | instskip(NEXT) | instid1(VALU_DEP_3)
	v_mul_f64 v[42:43], v[46:47], v[42:43]
	v_fma_f64 v[40:41], v[36:37], v[40:41], s[58:59]
	v_cvt_f64_i32_e32 v[46:47], v8
	v_ashrrev_i32_e32 v8, 31, v15
	v_cndmask_b32_e32 v15, 0x3fe921fb, v55, vcc_lo
	s_delay_alu instid0(VALU_DEP_1) | instskip(SKIP_3) | instid1(VALU_DEP_3)
	v_bfi_b32 v15, 0x7fffffff, v15, v17
	v_add_f64 v[38:39], v[44:45], v[42:43]
	v_fma_f64 v[40:41], v[36:37], v[40:41], s[60:61]
	v_mul_f64 v[48:49], v[46:47], s[36:37]
	v_add_f64 v[30:31], v[38:39], -v[44:45]
	s_delay_alu instid0(VALU_DEP_3) | instskip(NEXT) | instid1(VALU_DEP_3)
	v_fma_f64 v[40:41], v[36:37], v[40:41], s[62:63]
	v_fma_f64 v[44:45], v[46:47], s[36:37], -v[48:49]
	s_delay_alu instid0(VALU_DEP_3) | instskip(NEXT) | instid1(VALU_DEP_3)
	v_add_f64 v[30:31], v[42:43], -v[30:31]
	v_fma_f64 v[40:41], v[36:37], v[40:41], s[64:65]
	s_delay_alu instid0(VALU_DEP_3) | instskip(NEXT) | instid1(VALU_DEP_3)
	v_fma_f64 v[42:43], v[46:47], s[38:39], v[44:45]
	v_add_f64 v[28:29], v[28:29], v[30:31]
	s_delay_alu instid0(VALU_DEP_3) | instskip(NEXT) | instid1(VALU_DEP_3)
	v_fma_f64 v[30:31], v[36:37], v[40:41], s[66:67]
	v_add_f64 v[40:41], v[48:49], v[42:43]
	s_delay_alu instid0(VALU_DEP_3) | instskip(NEXT) | instid1(VALU_DEP_3)
	v_add_f64 v[44:45], v[38:39], v[28:29]
	v_fma_f64 v[30:31], v[36:37], v[30:31], s[68:69]
	s_delay_alu instid0(VALU_DEP_3) | instskip(NEXT) | instid1(VALU_DEP_3)
	v_add_f64 v[48:49], v[40:41], -v[48:49]
	v_add_f64 v[46:47], v[40:41], v[44:45]
	s_delay_alu instid0(VALU_DEP_3) | instskip(SKIP_1) | instid1(VALU_DEP_4)
	v_fma_f64 v[30:31], v[36:37], v[30:31], s[70:71]
	v_add_f64 v[38:39], v[44:45], -v[38:39]
	v_add_f64 v[42:43], v[42:43], -v[48:49]
	s_delay_alu instid0(VALU_DEP_4) | instskip(NEXT) | instid1(VALU_DEP_4)
	v_add_f64 v[50:51], v[46:47], -v[40:41]
	v_fma_f64 v[30:31], v[36:37], v[30:31], s[72:73]
	s_delay_alu instid0(VALU_DEP_4) | instskip(NEXT) | instid1(VALU_DEP_3)
	v_add_f64 v[28:29], v[28:29], -v[38:39]
	v_add_f64 v[52:53], v[46:47], -v[50:51]
	s_delay_alu instid0(VALU_DEP_3) | instskip(SKIP_1) | instid1(VALU_DEP_4)
	v_fma_f64 v[30:31], v[36:37], v[30:31], s[74:75]
	v_add_f64 v[38:39], v[44:45], -v[50:51]
	v_add_f64 v[44:45], v[42:43], v[28:29]
	s_delay_alu instid0(VALU_DEP_4) | instskip(NEXT) | instid1(VALU_DEP_4)
	v_add_f64 v[40:41], v[40:41], -v[52:53]
	v_fma_f64 v[30:31], v[36:37], v[30:31], s[76:77]
	s_delay_alu instid0(VALU_DEP_2) | instskip(NEXT) | instid1(VALU_DEP_2)
	v_add_f64 v[38:39], v[38:39], v[40:41]
	v_fma_f64 v[30:31], v[36:37], v[30:31], s[78:79]
	v_add_f64 v[40:41], v[44:45], -v[42:43]
	s_delay_alu instid0(VALU_DEP_3) | instskip(NEXT) | instid1(VALU_DEP_3)
	v_add_f64 v[38:39], v[44:45], v[38:39]
	v_mul_f64 v[30:31], v[36:37], v[30:31]
	s_delay_alu instid0(VALU_DEP_3) | instskip(SKIP_1) | instid1(VALU_DEP_4)
	v_add_f64 v[36:37], v[44:45], -v[40:41]
	v_add_f64 v[28:29], v[28:29], -v[40:41]
	v_add_f64 v[44:45], v[46:47], v[38:39]
	s_delay_alu instid0(VALU_DEP_4) | instskip(NEXT) | instid1(VALU_DEP_4)
	v_fma_f64 v[10:11], v[10:11], v[30:31], v[10:11]
	v_add_f64 v[30:31], v[42:43], -v[36:37]
	s_delay_alu instid0(VALU_DEP_3) | instskip(NEXT) | instid1(VALU_DEP_3)
	v_add_f64 v[36:37], v[44:45], -v[46:47]
	v_add_f64 v[40:41], -v[10:11], s[80:81]
	s_delay_alu instid0(VALU_DEP_3) | instskip(NEXT) | instid1(VALU_DEP_3)
	v_add_f64 v[28:29], v[28:29], v[30:31]
	v_add_f64 v[30:31], v[38:39], -v[36:37]
	s_delay_alu instid0(VALU_DEP_3) | instskip(NEXT) | instid1(VALU_DEP_4)
	v_cndmask_b32_e64 v11, v11, v41, s0
	v_cndmask_b32_e64 v10, v10, v40, s0
	s_delay_alu instid0(VALU_DEP_3) | instskip(NEXT) | instid1(VALU_DEP_2)
	v_add_f64 v[28:29], v[28:29], v[30:31]
	v_add_f64 v[30:31], -v[10:11], s[10:11]
	v_and_b32_e32 v14, 0x54442d18, v8
	v_and_b32_e32 v8, 0x400921fb, v8
	s_delay_alu instid0(VALU_DEP_4) | instskip(NEXT) | instid1(VALU_DEP_4)
	v_add_f64 v[28:29], v[44:45], v[28:29]
	v_cndmask_b32_e32 v11, v11, v31, vcc_lo
	s_delay_alu instid0(VALU_DEP_1)
	v_cndmask_b32_e64 v8, v11, v8, s2
	v_cndmask_b32_e32 v10, v10, v30, vcc_lo
	v_cmp_ngt_f64_e32 vcc_lo, 0, v[34:35]
	v_cndmask_b32_e64 v19, v29, v33, s1
	v_cndmask_b32_e64 v28, v28, v32, s1
	v_cmp_nge_f64_e64 s1, 0, v[34:35]
	s_delay_alu instid0(VALU_DEP_3) | instskip(NEXT) | instid1(VALU_DEP_1)
	v_cndmask_b32_e64 v19, v19, 0x7ff00000, s6
	v_cndmask_b32_e32 v11, 0x7ff80000, v19, vcc_lo
	s_and_b32 vcc_lo, s4, s5
	v_cndmask_b32_e32 v29, v8, v15, vcc_lo
	v_cndmask_b32_e64 v14, v10, v14, s2
	v_cndmask_b32_e64 v10, v28, 0, s6
	s_delay_alu instid0(VALU_DEP_2) | instskip(NEXT) | instid1(VALU_DEP_2)
	v_cndmask_b32_e32 v28, v14, v12, vcc_lo
	v_cndmask_b32_e64 v10, 0, v10, s1
	v_cmp_neq_f64_e64 s1, 0, v[34:35]
	s_delay_alu instid0(VALU_DEP_1)
	v_cndmask_b32_e64 v11, 0xfff00000, v11, s1
.LBB198_247:                            ;   in Loop: Header=BB198_162 Depth=1
	s_or_b32 exec_lo, exec_lo, s3
                                        ; implicit-def: $vgpr32_vgpr33
.LBB198_248:                            ;   in Loop: Header=BB198_162 Depth=1
	s_and_not1_saveexec_b32 s3, s96
	s_cbranch_execz .LBB198_254
; %bb.249:                              ;   in Loop: Header=BB198_162 Depth=1
                                        ; implicit-def: $vgpr10_vgpr11
                                        ; implicit-def: $vgpr28_vgpr29
	s_mov_b32 s1, exec_lo
	v_cmpx_ngt_f64_e32 s[84:85], v[32:33]
	s_xor_b32 s4, exec_lo, s1
	s_cbranch_execz .LBB198_251
; %bb.250:                              ;   in Loop: Header=BB198_162 Depth=1
	v_mul_f64 v[10:11], v[32:33], v[32:33]
	s_mov_b32 s91, s21
	s_mov_b32 s10, s80
	v_cmp_eq_f64_e64 s2, 0, v[16:17]
	v_cmp_class_f64_e64 s5, v[16:17], 0x204
	v_cmp_class_f64_e64 s6, v[14:15], 0x204
	v_cmp_gt_i32_e64 s1, 0, v15
	v_add_f64 v[28:29], v[10:11], 1.0
	s_delay_alu instid0(VALU_DEP_1) | instskip(SKIP_2) | instid1(VALU_DEP_3)
	v_frexp_mant_f64_e32 v[30:31], v[28:29]
	v_frexp_exp_i32_f64_e32 v8, v[28:29]
	v_add_f64 v[32:33], v[28:29], -1.0
	v_cmp_gt_f64_e32 vcc_lo, s[20:21], v[30:31]
	s_delay_alu instid0(VALU_DEP_2) | instskip(SKIP_2) | instid1(VALU_DEP_3)
	v_add_f64 v[30:31], v[32:33], -v[28:29]
	v_add_f64 v[32:33], v[10:11], -v[32:33]
	v_subrev_co_ci_u32_e32 v8, vcc_lo, 0, v8, vcc_lo
	v_add_f64 v[30:31], v[30:31], 1.0
	s_delay_alu instid0(VALU_DEP_2) | instskip(NEXT) | instid1(VALU_DEP_1)
	v_sub_nc_u32_e32 v12, 0, v8
	v_ldexp_f64 v[28:29], v[28:29], v12
	s_delay_alu instid0(VALU_DEP_3) | instskip(NEXT) | instid1(VALU_DEP_2)
	v_add_f64 v[30:31], v[32:33], v[30:31]
	v_add_f64 v[34:35], v[28:29], 1.0
	v_add_f64 v[40:41], v[28:29], -1.0
	s_delay_alu instid0(VALU_DEP_3) | instskip(SKIP_1) | instid1(VALU_DEP_4)
	v_ldexp_f64 v[30:31], v[30:31], v12
	v_cndmask_b32_e64 v12, 0x54442d18, v54, s1
	v_add_f64 v[32:33], v[34:35], -1.0
	s_delay_alu instid0(VALU_DEP_4) | instskip(NEXT) | instid1(VALU_DEP_2)
	v_add_f64 v[42:43], v[40:41], 1.0
	v_add_f64 v[32:33], v[28:29], -v[32:33]
	s_delay_alu instid0(VALU_DEP_2) | instskip(NEXT) | instid1(VALU_DEP_2)
	v_add_f64 v[28:29], v[28:29], -v[42:43]
	v_add_f64 v[32:33], v[30:31], v[32:33]
	s_delay_alu instid0(VALU_DEP_2) | instskip(NEXT) | instid1(VALU_DEP_2)
	v_add_f64 v[28:29], v[30:31], v[28:29]
	v_add_f64 v[36:37], v[34:35], v[32:33]
	s_delay_alu instid0(VALU_DEP_2) | instskip(NEXT) | instid1(VALU_DEP_2)
	v_add_f64 v[42:43], v[40:41], v[28:29]
	v_rcp_f64_e32 v[38:39], v[36:37]
	v_add_f64 v[34:35], v[34:35], -v[36:37]
	s_delay_alu instid0(VALU_DEP_2) | instskip(NEXT) | instid1(VALU_DEP_2)
	v_add_f64 v[40:41], v[40:41], -v[42:43]
	v_add_f64 v[32:33], v[32:33], v[34:35]
	s_waitcnt_depctr 0xfff
	v_fma_f64 v[44:45], -v[36:37], v[38:39], 1.0
	v_add_f64 v[28:29], v[28:29], v[40:41]
	s_delay_alu instid0(VALU_DEP_2) | instskip(NEXT) | instid1(VALU_DEP_1)
	v_fma_f64 v[38:39], v[44:45], v[38:39], v[38:39]
	v_fma_f64 v[30:31], -v[36:37], v[38:39], 1.0
	s_delay_alu instid0(VALU_DEP_1) | instskip(NEXT) | instid1(VALU_DEP_1)
	v_fma_f64 v[30:31], v[30:31], v[38:39], v[38:39]
	v_mul_f64 v[38:39], v[42:43], v[30:31]
	s_delay_alu instid0(VALU_DEP_1) | instskip(NEXT) | instid1(VALU_DEP_1)
	v_mul_f64 v[44:45], v[36:37], v[38:39]
	v_fma_f64 v[34:35], v[38:39], v[36:37], -v[44:45]
	s_delay_alu instid0(VALU_DEP_1) | instskip(NEXT) | instid1(VALU_DEP_1)
	v_fma_f64 v[34:35], v[38:39], v[32:33], v[34:35]
	v_add_f64 v[46:47], v[44:45], v[34:35]
	s_delay_alu instid0(VALU_DEP_1) | instskip(SKIP_2) | instid1(VALU_DEP_3)
	v_add_f64 v[48:49], v[42:43], -v[46:47]
	v_add_f64 v[40:41], v[46:47], -v[44:45]
	v_max_f64 v[44:45], |v[16:17]|, |v[16:17]|
	v_add_f64 v[42:43], v[42:43], -v[48:49]
	s_delay_alu instid0(VALU_DEP_3) | instskip(NEXT) | instid1(VALU_DEP_2)
	v_add_f64 v[34:35], v[40:41], -v[34:35]
	v_add_f64 v[42:43], v[42:43], -v[46:47]
	v_max_f64 v[46:47], |v[14:15]|, |v[14:15]|
	v_cndmask_b32_e64 v14, 0x3fe921fb, v55, s1
	s_delay_alu instid0(VALU_DEP_1) | instskip(NEXT) | instid1(VALU_DEP_4)
	v_bfi_b32 v14, 0x7fffffff, v14, v17
	v_add_f64 v[28:29], v[28:29], v[42:43]
	s_delay_alu instid0(VALU_DEP_4) | instskip(SKIP_1) | instid1(VALU_DEP_3)
	v_max_f64 v[50:51], v[46:47], v[44:45]
	v_min_f64 v[44:45], v[46:47], v[44:45]
	v_add_f64 v[28:29], v[34:35], v[28:29]
	s_delay_alu instid0(VALU_DEP_1) | instskip(NEXT) | instid1(VALU_DEP_1)
	v_add_f64 v[34:35], v[48:49], v[28:29]
	v_mul_f64 v[40:41], v[30:31], v[34:35]
	v_add_f64 v[48:49], v[48:49], -v[34:35]
	s_delay_alu instid0(VALU_DEP_2) | instskip(NEXT) | instid1(VALU_DEP_2)
	v_mul_f64 v[42:43], v[36:37], v[40:41]
	v_add_f64 v[28:29], v[28:29], v[48:49]
	s_delay_alu instid0(VALU_DEP_2) | instskip(NEXT) | instid1(VALU_DEP_1)
	v_fma_f64 v[36:37], v[40:41], v[36:37], -v[42:43]
	v_fma_f64 v[32:33], v[40:41], v[32:33], v[36:37]
	v_div_scale_f64 v[36:37], null, v[50:51], v[50:51], v[44:45]
	s_delay_alu instid0(VALU_DEP_2) | instskip(NEXT) | instid1(VALU_DEP_2)
	v_add_f64 v[46:47], v[42:43], v[32:33]
	v_rcp_f64_e32 v[52:53], v[36:37]
	s_delay_alu instid0(VALU_DEP_1)
	v_add_f64 v[56:57], v[34:35], -v[46:47]
	v_add_f64 v[42:43], v[46:47], -v[42:43]
	s_waitcnt_depctr 0xfff
	v_fma_f64 v[58:59], -v[36:37], v[52:53], 1.0
	v_add_f64 v[34:35], v[34:35], -v[56:57]
	v_add_f64 v[32:33], v[42:43], -v[32:33]
	s_delay_alu instid0(VALU_DEP_3) | instskip(NEXT) | instid1(VALU_DEP_3)
	v_fma_f64 v[52:53], v[52:53], v[58:59], v[52:53]
	v_add_f64 v[34:35], v[34:35], -v[46:47]
	s_delay_alu instid0(VALU_DEP_2) | instskip(NEXT) | instid1(VALU_DEP_2)
	v_fma_f64 v[46:47], -v[36:37], v[52:53], 1.0
	v_add_f64 v[28:29], v[28:29], v[34:35]
	v_div_scale_f64 v[34:35], vcc_lo, v[44:45], v[50:51], v[44:45]
	s_delay_alu instid0(VALU_DEP_3) | instskip(SKIP_1) | instid1(VALU_DEP_4)
	v_fma_f64 v[42:43], v[52:53], v[46:47], v[52:53]
	v_add_f64 v[46:47], v[38:39], v[40:41]
	v_add_f64 v[28:29], v[32:33], v[28:29]
	s_delay_alu instid0(VALU_DEP_3) | instskip(NEXT) | instid1(VALU_DEP_3)
	v_mul_f64 v[32:33], v[34:35], v[42:43]
	v_add_f64 v[38:39], v[46:47], -v[38:39]
	s_delay_alu instid0(VALU_DEP_3) | instskip(NEXT) | instid1(VALU_DEP_3)
	v_add_f64 v[28:29], v[56:57], v[28:29]
	v_fma_f64 v[34:35], -v[36:37], v[32:33], v[34:35]
	s_delay_alu instid0(VALU_DEP_3) | instskip(NEXT) | instid1(VALU_DEP_3)
	v_add_f64 v[36:37], v[40:41], -v[38:39]
	v_mul_f64 v[28:29], v[30:31], v[28:29]
	s_delay_alu instid0(VALU_DEP_3) | instskip(SKIP_1) | instid1(VALU_DEP_3)
	v_div_fmas_f64 v[30:31], v[34:35], v[42:43], v[32:33]
	v_cmp_eq_f64_e32 vcc_lo, 0x7ff00000, v[10:11]
	v_add_f64 v[28:29], v[36:37], v[28:29]
	s_delay_alu instid0(VALU_DEP_3) | instskip(NEXT) | instid1(VALU_DEP_2)
	v_div_fixup_f64 v[30:31], v[30:31], v[50:51], v[44:45]
	v_add_f64 v[32:33], v[46:47], v[28:29]
	s_delay_alu instid0(VALU_DEP_2) | instskip(NEXT) | instid1(VALU_DEP_2)
	v_mul_f64 v[34:35], v[30:31], v[30:31]
	v_mul_f64 v[36:37], v[32:33], v[32:33]
	s_delay_alu instid0(VALU_DEP_2) | instskip(NEXT) | instid1(VALU_DEP_2)
	v_fma_f64 v[38:39], v[34:35], s[42:43], s[40:41]
	v_fma_f64 v[40:41], v[36:37], s[24:25], s[22:23]
	v_mul_f64 v[42:43], v[32:33], v[36:37]
	s_delay_alu instid0(VALU_DEP_3) | instskip(NEXT) | instid1(VALU_DEP_3)
	v_fma_f64 v[38:39], v[34:35], v[38:39], s[44:45]
	v_fma_f64 v[40:41], v[36:37], v[40:41], s[26:27]
	s_delay_alu instid0(VALU_DEP_2) | instskip(NEXT) | instid1(VALU_DEP_2)
	v_fma_f64 v[38:39], v[34:35], v[38:39], s[46:47]
	v_fma_f64 v[40:41], v[36:37], v[40:41], s[28:29]
	s_delay_alu instid0(VALU_DEP_2) | instskip(NEXT) | instid1(VALU_DEP_2)
	;; [unrolled: 3-line block ×4, first 2 shown]
	v_fma_f64 v[38:39], v[34:35], v[38:39], s[52:53]
	v_fma_f64 v[36:37], v[36:37], v[40:41], s[90:91]
	v_ldexp_f64 v[40:41], v[32:33], 1
	v_add_f64 v[32:33], v[32:33], -v[46:47]
	s_delay_alu instid0(VALU_DEP_4) | instskip(NEXT) | instid1(VALU_DEP_4)
	v_fma_f64 v[38:39], v[34:35], v[38:39], s[54:55]
	v_mul_f64 v[36:37], v[42:43], v[36:37]
	v_cvt_f64_i32_e32 v[42:43], v8
	s_delay_alu instid0(VALU_DEP_4) | instskip(NEXT) | instid1(VALU_DEP_4)
	v_add_f64 v[28:29], v[28:29], -v[32:33]
	v_fma_f64 v[38:39], v[34:35], v[38:39], s[56:57]
	v_ashrrev_i32_e32 v8, 31, v15
	v_add_f64 v[44:45], v[40:41], v[36:37]
	v_mul_f64 v[46:47], v[42:43], s[36:37]
	v_ldexp_f64 v[28:29], v[28:29], 1
	v_fma_f64 v[38:39], v[34:35], v[38:39], s[58:59]
	s_delay_alu instid0(VALU_DEP_4) | instskip(NEXT) | instid1(VALU_DEP_4)
	v_add_f64 v[32:33], v[44:45], -v[40:41]
	v_fma_f64 v[40:41], v[42:43], s[36:37], -v[46:47]
	s_delay_alu instid0(VALU_DEP_3) | instskip(NEXT) | instid1(VALU_DEP_3)
	v_fma_f64 v[38:39], v[34:35], v[38:39], s[60:61]
	v_add_f64 v[32:33], v[36:37], -v[32:33]
	s_delay_alu instid0(VALU_DEP_2) | instskip(NEXT) | instid1(VALU_DEP_4)
	v_fma_f64 v[36:37], v[34:35], v[38:39], s[62:63]
	v_fma_f64 v[38:39], v[42:43], s[38:39], v[40:41]
	s_delay_alu instid0(VALU_DEP_3) | instskip(NEXT) | instid1(VALU_DEP_3)
	v_add_f64 v[28:29], v[28:29], v[32:33]
	v_fma_f64 v[32:33], v[34:35], v[36:37], s[64:65]
	s_delay_alu instid0(VALU_DEP_3) | instskip(NEXT) | instid1(VALU_DEP_3)
	v_add_f64 v[36:37], v[46:47], v[38:39]
	v_add_f64 v[40:41], v[44:45], v[28:29]
	s_delay_alu instid0(VALU_DEP_3) | instskip(NEXT) | instid1(VALU_DEP_3)
	v_fma_f64 v[32:33], v[34:35], v[32:33], s[66:67]
	v_add_f64 v[46:47], v[36:37], -v[46:47]
	s_delay_alu instid0(VALU_DEP_3) | instskip(SKIP_1) | instid1(VALU_DEP_4)
	v_add_f64 v[42:43], v[36:37], v[40:41]
	v_add_f64 v[44:45], v[40:41], -v[44:45]
	v_fma_f64 v[32:33], v[34:35], v[32:33], s[68:69]
	s_delay_alu instid0(VALU_DEP_4) | instskip(NEXT) | instid1(VALU_DEP_4)
	v_add_f64 v[38:39], v[38:39], -v[46:47]
	v_add_f64 v[48:49], v[42:43], -v[36:37]
	s_delay_alu instid0(VALU_DEP_4) | instskip(NEXT) | instid1(VALU_DEP_4)
	v_add_f64 v[28:29], v[28:29], -v[44:45]
	v_fma_f64 v[32:33], v[34:35], v[32:33], s[70:71]
	s_delay_alu instid0(VALU_DEP_3) | instskip(SKIP_1) | instid1(VALU_DEP_4)
	v_add_f64 v[50:51], v[42:43], -v[48:49]
	v_add_f64 v[40:41], v[40:41], -v[48:49]
	v_add_f64 v[44:45], v[38:39], v[28:29]
	s_delay_alu instid0(VALU_DEP_4) | instskip(NEXT) | instid1(VALU_DEP_4)
	v_fma_f64 v[32:33], v[34:35], v[32:33], s[72:73]
	v_add_f64 v[36:37], v[36:37], -v[50:51]
	s_delay_alu instid0(VALU_DEP_2) | instskip(NEXT) | instid1(VALU_DEP_2)
	v_fma_f64 v[32:33], v[34:35], v[32:33], s[74:75]
	v_add_f64 v[36:37], v[40:41], v[36:37]
	v_add_f64 v[40:41], v[44:45], -v[38:39]
	s_delay_alu instid0(VALU_DEP_3) | instskip(NEXT) | instid1(VALU_DEP_3)
	v_fma_f64 v[32:33], v[34:35], v[32:33], s[76:77]
	v_add_f64 v[36:37], v[44:45], v[36:37]
	s_delay_alu instid0(VALU_DEP_3) | instskip(SKIP_1) | instid1(VALU_DEP_4)
	v_add_f64 v[44:45], v[44:45], -v[40:41]
	v_add_f64 v[28:29], v[28:29], -v[40:41]
	v_fma_f64 v[32:33], v[34:35], v[32:33], s[78:79]
	s_delay_alu instid0(VALU_DEP_4) | instskip(NEXT) | instid1(VALU_DEP_2)
	v_add_f64 v[46:47], v[42:43], v[36:37]
	v_mul_f64 v[32:33], v[34:35], v[32:33]
	v_add_f64 v[34:35], v[38:39], -v[44:45]
	s_delay_alu instid0(VALU_DEP_3) | instskip(NEXT) | instid1(VALU_DEP_3)
	v_add_f64 v[38:39], v[46:47], -v[42:43]
	v_fma_f64 v[30:31], v[30:31], v[32:33], v[30:31]
	s_delay_alu instid0(VALU_DEP_3) | instskip(NEXT) | instid1(VALU_DEP_3)
	v_add_f64 v[28:29], v[28:29], v[34:35]
	v_add_f64 v[32:33], v[36:37], -v[38:39]
	s_delay_alu instid0(VALU_DEP_3) | instskip(NEXT) | instid1(VALU_DEP_2)
	v_add_f64 v[34:35], -v[30:31], s[80:81]
	v_add_f64 v[28:29], v[28:29], v[32:33]
	s_delay_alu instid0(VALU_DEP_2) | instskip(NEXT) | instid1(VALU_DEP_3)
	v_cndmask_b32_e64 v31, v31, v35, s0
	v_cndmask_b32_e64 v30, v30, v34, s0
	s_delay_alu instid0(VALU_DEP_1) | instskip(NEXT) | instid1(VALU_DEP_4)
	v_add_f64 v[32:33], -v[30:31], s[10:11]
	v_add_f64 v[28:29], v[46:47], v[28:29]
	v_and_b32_e32 v19, 0x54442d18, v8
	v_and_b32_e32 v8, 0x400921fb, v8
	s_delay_alu instid0(VALU_DEP_4) | instskip(SKIP_1) | instid1(VALU_DEP_1)
	v_cndmask_b32_e64 v30, v30, v32, s1
	v_cndmask_b32_e64 v15, v31, v33, s1
                                        ; implicit-def: $vgpr32_vgpr33
	v_cndmask_b32_e64 v8, v15, v8, s2
	v_dual_cndmask_b32 v10, v28, v10 :: v_dual_cndmask_b32 v11, v29, v11
	s_delay_alu instid0(VALU_DEP_4) | instskip(SKIP_1) | instid1(VALU_DEP_3)
	v_cndmask_b32_e64 v19, v30, v19, s2
	s_and_b32 vcc_lo, s6, s5
	v_cndmask_b32_e32 v29, v8, v14, vcc_lo
	s_delay_alu instid0(VALU_DEP_3) | instskip(NEXT) | instid1(VALU_DEP_3)
	v_mul_f64 v[10:11], v[10:11], 0.5
	v_cndmask_b32_e32 v28, v19, v12, vcc_lo
.LBB198_251:                            ;   in Loop: Header=BB198_162 Depth=1
	s_and_not1_saveexec_b32 s2, s4
	s_cbranch_execz .LBB198_253
; %bb.252:                              ;   in Loop: Header=BB198_162 Depth=1
	v_max_f64 v[10:11], |v[16:17]|, |v[16:17]|
	v_max_f64 v[28:29], |v[14:15]|, |v[14:15]|
	s_mov_b32 s10, s80
	v_cmp_eq_f64_e64 s1, 0, v[16:17]
	v_cmp_class_f64_e64 s4, v[16:17], 0x204
	v_cmp_class_f64_e64 s5, v[14:15], 0x204
	v_ashrrev_i32_e32 v8, 31, v15
	v_max_f64 v[30:31], v[28:29], v[10:11]
	v_min_f64 v[10:11], v[28:29], v[10:11]
	s_delay_alu instid0(VALU_DEP_1) | instskip(SKIP_1) | instid1(VALU_DEP_2)
	v_div_scale_f64 v[28:29], null, v[30:31], v[30:31], v[10:11]
	v_div_scale_f64 v[38:39], vcc_lo, v[10:11], v[30:31], v[10:11]
	v_rcp_f64_e32 v[34:35], v[28:29]
	s_waitcnt_depctr 0xfff
	v_fma_f64 v[36:37], -v[28:29], v[34:35], 1.0
	s_delay_alu instid0(VALU_DEP_1) | instskip(NEXT) | instid1(VALU_DEP_1)
	v_fma_f64 v[34:35], v[34:35], v[36:37], v[34:35]
	v_fma_f64 v[36:37], -v[28:29], v[34:35], 1.0
	s_delay_alu instid0(VALU_DEP_1) | instskip(NEXT) | instid1(VALU_DEP_1)
	v_fma_f64 v[34:35], v[34:35], v[36:37], v[34:35]
	v_mul_f64 v[36:37], v[38:39], v[34:35]
	s_delay_alu instid0(VALU_DEP_1) | instskip(NEXT) | instid1(VALU_DEP_1)
	v_fma_f64 v[28:29], -v[28:29], v[36:37], v[38:39]
	v_div_fmas_f64 v[28:29], v[28:29], v[34:35], v[36:37]
	v_cmp_gt_i32_e32 vcc_lo, 0, v15
	v_and_b32_e32 v34, 0x54442d18, v8
	v_and_b32_e32 v8, 0x400921fb, v8
	v_cndmask_b32_e32 v19, 0x54442d18, v54, vcc_lo
	v_cndmask_b32_e32 v14, 0x3fe921fb, v55, vcc_lo
	s_delay_alu instid0(VALU_DEP_1) | instskip(SKIP_1) | instid1(VALU_DEP_1)
	v_bfi_b32 v14, 0x7fffffff, v14, v17
	v_div_fixup_f64 v[10:11], v[28:29], v[30:31], v[10:11]
	v_mul_f64 v[28:29], v[10:11], v[10:11]
	s_delay_alu instid0(VALU_DEP_1) | instskip(NEXT) | instid1(VALU_DEP_1)
	v_fma_f64 v[30:31], v[28:29], s[42:43], s[40:41]
	v_fma_f64 v[30:31], v[28:29], v[30:31], s[44:45]
	s_delay_alu instid0(VALU_DEP_1) | instskip(NEXT) | instid1(VALU_DEP_1)
	v_fma_f64 v[30:31], v[28:29], v[30:31], s[46:47]
	v_fma_f64 v[30:31], v[28:29], v[30:31], s[48:49]
	;; [unrolled: 3-line block ×9, first 2 shown]
	s_delay_alu instid0(VALU_DEP_1) | instskip(NEXT) | instid1(VALU_DEP_1)
	v_fma_f64 v[30:31], v[28:29], v[30:31], s[78:79]
	v_mul_f64 v[28:29], v[28:29], v[30:31]
	v_mul_f64 v[30:31], v[32:33], 0.5
	s_delay_alu instid0(VALU_DEP_2) | instskip(NEXT) | instid1(VALU_DEP_1)
	v_fma_f64 v[10:11], v[10:11], v[28:29], v[10:11]
	v_add_f64 v[28:29], -v[10:11], s[80:81]
	s_delay_alu instid0(VALU_DEP_1) | instskip(NEXT) | instid1(VALU_DEP_2)
	v_cndmask_b32_e64 v12, v11, v29, s0
	v_cndmask_b32_e64 v11, v10, v28, s0
	s_delay_alu instid0(VALU_DEP_1) | instskip(NEXT) | instid1(VALU_DEP_1)
	v_add_f64 v[28:29], -v[11:12], s[10:11]
	v_cndmask_b32_e32 v12, v12, v29, vcc_lo
	s_delay_alu instid0(VALU_DEP_1) | instskip(NEXT) | instid1(VALU_DEP_3)
	v_cndmask_b32_e64 v8, v12, v8, s1
	v_cndmask_b32_e32 v28, v11, v28, vcc_lo
	v_mul_f64 v[10:11], v[32:33], v[30:31]
	s_and_b32 vcc_lo, s5, s4
	s_delay_alu instid0(VALU_DEP_3) | instskip(NEXT) | instid1(VALU_DEP_3)
	v_cndmask_b32_e32 v29, v8, v14, vcc_lo
	v_cndmask_b32_e64 v15, v28, v34, s1
	s_delay_alu instid0(VALU_DEP_1)
	v_cndmask_b32_e32 v28, v15, v19, vcc_lo
.LBB198_253:                            ;   in Loop: Header=BB198_162 Depth=1
	s_or_b32 exec_lo, exec_lo, s2
.LBB198_254:                            ;   in Loop: Header=BB198_162 Depth=1
	s_delay_alu instid0(SALU_CYCLE_1)
	s_or_b32 exec_lo, exec_lo, s3
.LBB198_255:                            ;   in Loop: Header=BB198_162 Depth=1
	s_and_not1_saveexec_b32 s3, s95
	s_cbranch_execz .LBB198_257
; %bb.256:                              ;   in Loop: Header=BB198_162 Depth=1
	v_div_scale_f64 v[10:11], null, s[86:87], s[86:87], v[14:15]
	v_div_scale_f64 v[28:29], null, s[86:87], s[86:87], v[16:17]
	v_div_scale_f64 v[38:39], vcc_lo, v[14:15], s[86:87], v[14:15]
	v_max_f64 v[42:43], |v[14:15]|, |v[14:15]|
	s_mov_b32 s91, s21
	s_mov_b32 s10, s80
	s_delay_alu instid0(VALU_DEP_4) | instskip(NEXT) | instid1(VALU_DEP_3)
	v_rcp_f64_e32 v[30:31], v[10:11]
	v_rcp_f64_e32 v[32:33], v[28:29]
	s_waitcnt_depctr 0xfff
	v_fma_f64 v[34:35], -v[10:11], v[30:31], 1.0
	v_fma_f64 v[36:37], -v[28:29], v[32:33], 1.0
	s_delay_alu instid0(VALU_DEP_2) | instskip(NEXT) | instid1(VALU_DEP_2)
	v_fma_f64 v[30:31], v[30:31], v[34:35], v[30:31]
	v_fma_f64 v[32:33], v[32:33], v[36:37], v[32:33]
	s_delay_alu instid0(VALU_DEP_2) | instskip(NEXT) | instid1(VALU_DEP_2)
	v_fma_f64 v[34:35], -v[10:11], v[30:31], 1.0
	v_fma_f64 v[36:37], -v[28:29], v[32:33], 1.0
	s_delay_alu instid0(VALU_DEP_2) | instskip(SKIP_1) | instid1(VALU_DEP_3)
	v_fma_f64 v[30:31], v[30:31], v[34:35], v[30:31]
	v_div_scale_f64 v[34:35], s1, v[16:17], s[86:87], v[16:17]
	v_fma_f64 v[32:33], v[32:33], v[36:37], v[32:33]
	s_delay_alu instid0(VALU_DEP_3) | instskip(NEXT) | instid1(VALU_DEP_2)
	v_mul_f64 v[36:37], v[38:39], v[30:31]
	v_mul_f64 v[40:41], v[34:35], v[32:33]
	s_delay_alu instid0(VALU_DEP_2) | instskip(NEXT) | instid1(VALU_DEP_2)
	v_fma_f64 v[10:11], -v[10:11], v[36:37], v[38:39]
	v_fma_f64 v[28:29], -v[28:29], v[40:41], v[34:35]
	s_delay_alu instid0(VALU_DEP_2) | instskip(SKIP_1) | instid1(VALU_DEP_2)
	v_div_fmas_f64 v[10:11], v[10:11], v[30:31], v[36:37]
	s_mov_b32 vcc_lo, s1
	v_div_fmas_f64 v[28:29], v[28:29], v[32:33], v[40:41]
	s_delay_alu instid0(VALU_DEP_2) | instskip(NEXT) | instid1(VALU_DEP_2)
	v_div_fixup_f64 v[10:11], v[10:11], s[86:87], v[14:15]
	v_div_fixup_f64 v[28:29], v[28:29], s[86:87], v[16:17]
	s_delay_alu instid0(VALU_DEP_2) | instskip(NEXT) | instid1(VALU_DEP_2)
	v_cmp_class_f64_e64 s2, v[10:11], 0x204
	v_max_f64 v[30:31], |v[10:11]|, |v[28:29]|
	v_cmp_o_f64_e64 s1, v[10:11], v[28:29]
	v_cmp_class_f64_e64 s4, v[28:29], 0x204
	s_delay_alu instid0(VALU_DEP_3) | instskip(NEXT) | instid1(VALU_DEP_2)
	v_frexp_exp_i32_f64_e32 v8, v[30:31]
	s_or_b32 s4, s2, s4
	s_delay_alu instid0(VALU_DEP_1) | instskip(NEXT) | instid1(VALU_DEP_1)
	v_sub_nc_u32_e32 v12, 0, v8
	v_ldexp_f64 v[30:31], |v[28:29]|, v12
	v_ldexp_f64 v[32:33], |v[10:11]|, v12
	s_delay_alu instid0(VALU_DEP_2) | instskip(NEXT) | instid1(VALU_DEP_1)
	v_mul_f64 v[30:31], v[30:31], v[30:31]
	v_fma_f64 v[30:31], v[32:33], v[32:33], v[30:31]
	s_delay_alu instid0(VALU_DEP_1) | instskip(SKIP_4) | instid1(VALU_DEP_1)
	v_rsq_f64_e32 v[32:33], v[30:31]
	v_cmp_eq_f64_e32 vcc_lo, 0, v[30:31]
	s_waitcnt_depctr 0xfff
	v_mul_f64 v[34:35], v[30:31], v[32:33]
	v_mul_f64 v[32:33], v[32:33], 0.5
	v_fma_f64 v[36:37], -v[32:33], v[34:35], 0.5
	s_delay_alu instid0(VALU_DEP_1) | instskip(SKIP_1) | instid1(VALU_DEP_2)
	v_fma_f64 v[34:35], v[34:35], v[36:37], v[34:35]
	v_fma_f64 v[32:33], v[32:33], v[36:37], v[32:33]
	v_fma_f64 v[36:37], -v[34:35], v[34:35], v[30:31]
	s_delay_alu instid0(VALU_DEP_1) | instskip(NEXT) | instid1(VALU_DEP_1)
	v_fma_f64 v[32:33], v[36:37], v[32:33], v[34:35]
	v_dual_cndmask_b32 v31, v33, v31 :: v_dual_cndmask_b32 v30, v32, v30
	s_delay_alu instid0(VALU_DEP_1) | instskip(NEXT) | instid1(VALU_DEP_1)
	v_ldexp_f64 v[30:31], v[30:31], v8
	v_cndmask_b32_e64 v8, 0, v30, s1
	s_delay_alu instid0(VALU_DEP_2) | instskip(NEXT) | instid1(VALU_DEP_2)
	v_cndmask_b32_e64 v10, 0x7ff80000, v31, s1
	v_cndmask_b32_e64 v11, v8, 0, s4
	s_delay_alu instid0(VALU_DEP_2) | instskip(NEXT) | instid1(VALU_DEP_1)
	v_cndmask_b32_e64 v12, v10, 0x7ff00000, s4
	v_frexp_mant_f64_e32 v[28:29], v[11:12]
	s_delay_alu instid0(VALU_DEP_1) | instskip(NEXT) | instid1(VALU_DEP_1)
	v_cmp_gt_f64_e64 s2, s[20:21], v[28:29]
	v_cndmask_b32_e64 v19, 0x3ff00000, 2.0, s2
	s_delay_alu instid0(VALU_DEP_1) | instskip(SKIP_1) | instid1(VALU_DEP_2)
	v_mul_f64 v[28:29], v[28:29], v[18:19]
	v_frexp_exp_i32_f64_e32 v19, v[11:12]
	v_add_f64 v[32:33], v[28:29], 1.0
	v_add_f64 v[38:39], v[28:29], -1.0
	s_delay_alu instid0(VALU_DEP_2) | instskip(SKIP_1) | instid1(VALU_DEP_1)
	v_rcp_f64_e32 v[34:35], v[32:33]
	v_add_f64 v[44:45], v[32:33], -1.0
	v_add_f64 v[28:29], v[28:29], -v[44:45]
	s_waitcnt_depctr 0xfff
	v_fma_f64 v[36:37], -v[32:33], v[34:35], 1.0
	s_delay_alu instid0(VALU_DEP_1) | instskip(NEXT) | instid1(VALU_DEP_1)
	v_fma_f64 v[34:35], v[36:37], v[34:35], v[34:35]
	v_fma_f64 v[36:37], -v[32:33], v[34:35], 1.0
	s_delay_alu instid0(VALU_DEP_1) | instskip(SKIP_1) | instid1(VALU_DEP_2)
	v_fma_f64 v[34:35], v[36:37], v[34:35], v[34:35]
	v_max_f64 v[36:37], |v[16:17]|, |v[16:17]|
	v_mul_f64 v[40:41], v[38:39], v[34:35]
	s_delay_alu instid0(VALU_DEP_2) | instskip(SKIP_1) | instid1(VALU_DEP_3)
	v_max_f64 v[48:49], v[42:43], v[36:37]
	v_min_f64 v[36:37], v[42:43], v[36:37]
	v_mul_f64 v[46:47], v[32:33], v[40:41]
	s_delay_alu instid0(VALU_DEP_2) | instskip(NEXT) | instid1(VALU_DEP_2)
	v_div_scale_f64 v[42:43], null, v[48:49], v[48:49], v[36:37]
	v_fma_f64 v[32:33], v[40:41], v[32:33], -v[46:47]
	s_delay_alu instid0(VALU_DEP_1) | instskip(NEXT) | instid1(VALU_DEP_3)
	v_fma_f64 v[28:29], v[40:41], v[28:29], v[32:33]
	v_rcp_f64_e32 v[32:33], v[42:43]
	s_delay_alu instid0(VALU_DEP_1) | instskip(SKIP_4) | instid1(VALU_DEP_3)
	v_add_f64 v[44:45], v[46:47], v[28:29]
	s_waitcnt_depctr 0xfff
	v_fma_f64 v[50:51], -v[42:43], v[32:33], 1.0
	v_add_f64 v[52:53], v[38:39], -v[44:45]
	v_add_f64 v[46:47], v[44:45], -v[46:47]
	v_fma_f64 v[32:33], v[32:33], v[50:51], v[32:33]
	s_delay_alu instid0(VALU_DEP_3) | instskip(NEXT) | instid1(VALU_DEP_3)
	v_add_f64 v[38:39], v[38:39], -v[52:53]
	v_add_f64 v[28:29], v[46:47], -v[28:29]
	s_delay_alu instid0(VALU_DEP_3) | instskip(NEXT) | instid1(VALU_DEP_3)
	v_fma_f64 v[50:51], -v[42:43], v[32:33], 1.0
	v_add_f64 v[38:39], v[38:39], -v[44:45]
	v_div_scale_f64 v[44:45], vcc_lo, v[36:37], v[48:49], v[36:37]
	s_delay_alu instid0(VALU_DEP_3) | instskip(NEXT) | instid1(VALU_DEP_3)
	v_fma_f64 v[32:33], v[32:33], v[50:51], v[32:33]
	v_add_f64 v[28:29], v[28:29], v[38:39]
	s_delay_alu instid0(VALU_DEP_2) | instskip(NEXT) | instid1(VALU_DEP_2)
	v_mul_f64 v[38:39], v[44:45], v[32:33]
	v_add_f64 v[28:29], v[52:53], v[28:29]
	s_delay_alu instid0(VALU_DEP_2) | instskip(NEXT) | instid1(VALU_DEP_2)
	v_fma_f64 v[42:43], -v[42:43], v[38:39], v[44:45]
	v_mul_f64 v[28:29], v[34:35], v[28:29]
	s_delay_alu instid0(VALU_DEP_2) | instskip(SKIP_2) | instid1(VALU_DEP_4)
	v_div_fmas_f64 v[32:33], v[42:43], v[32:33], v[38:39]
	v_subrev_co_ci_u32_e64 v19, vcc_lo, 0, v19, s2
	v_cmp_class_f64_e64 s2, v[14:15], 0x204
	v_add_f64 v[34:35], v[40:41], v[28:29]
	s_delay_alu instid0(VALU_DEP_4) | instskip(NEXT) | instid1(VALU_DEP_2)
	v_div_fixup_f64 v[32:33], v[32:33], v[48:49], v[36:37]
	v_mul_f64 v[36:37], v[34:35], v[34:35]
	s_delay_alu instid0(VALU_DEP_2) | instskip(NEXT) | instid1(VALU_DEP_2)
	v_mul_f64 v[38:39], v[32:33], v[32:33]
	v_fma_f64 v[42:43], v[36:37], s[24:25], s[22:23]
	v_mul_f64 v[46:47], v[34:35], v[36:37]
	s_delay_alu instid0(VALU_DEP_3) | instskip(NEXT) | instid1(VALU_DEP_3)
	v_fma_f64 v[44:45], v[38:39], s[42:43], s[40:41]
	v_fma_f64 v[42:43], v[36:37], v[42:43], s[26:27]
	s_delay_alu instid0(VALU_DEP_2) | instskip(NEXT) | instid1(VALU_DEP_2)
	v_fma_f64 v[44:45], v[38:39], v[44:45], s[44:45]
	v_fma_f64 v[42:43], v[36:37], v[42:43], s[28:29]
	s_delay_alu instid0(VALU_DEP_2) | instskip(NEXT) | instid1(VALU_DEP_2)
	;; [unrolled: 3-line block ×4, first 2 shown]
	v_fma_f64 v[44:45], v[38:39], v[44:45], s[50:51]
	v_fma_f64 v[36:37], v[36:37], v[42:43], s[90:91]
	s_delay_alu instid0(VALU_DEP_2) | instskip(SKIP_2) | instid1(VALU_DEP_4)
	v_fma_f64 v[42:43], v[38:39], v[44:45], s[52:53]
	v_ldexp_f64 v[44:45], v[34:35], 1
	v_add_f64 v[34:35], v[34:35], -v[40:41]
	v_mul_f64 v[36:37], v[46:47], v[36:37]
	v_cvt_f64_i32_e32 v[46:47], v19
	v_ashrrev_i32_e32 v19, 31, v15
	v_fma_f64 v[42:43], v[38:39], v[42:43], s[54:55]
	v_add_f64 v[28:29], v[28:29], -v[34:35]
	v_add_f64 v[40:41], v[44:45], v[36:37]
	v_mul_f64 v[48:49], v[46:47], s[36:37]
	s_delay_alu instid0(VALU_DEP_4) | instskip(NEXT) | instid1(VALU_DEP_4)
	v_fma_f64 v[42:43], v[38:39], v[42:43], s[56:57]
	v_ldexp_f64 v[28:29], v[28:29], 1
	s_delay_alu instid0(VALU_DEP_4) | instskip(NEXT) | instid1(VALU_DEP_4)
	v_add_f64 v[34:35], v[40:41], -v[44:45]
	v_fma_f64 v[44:45], v[46:47], s[36:37], -v[48:49]
	s_delay_alu instid0(VALU_DEP_4) | instskip(NEXT) | instid1(VALU_DEP_3)
	v_fma_f64 v[42:43], v[38:39], v[42:43], s[58:59]
	v_add_f64 v[34:35], v[36:37], -v[34:35]
	s_delay_alu instid0(VALU_DEP_2) | instskip(NEXT) | instid1(VALU_DEP_4)
	v_fma_f64 v[36:37], v[38:39], v[42:43], s[60:61]
	v_fma_f64 v[42:43], v[46:47], s[38:39], v[44:45]
	s_delay_alu instid0(VALU_DEP_3) | instskip(NEXT) | instid1(VALU_DEP_3)
	v_add_f64 v[28:29], v[28:29], v[34:35]
	v_fma_f64 v[34:35], v[38:39], v[36:37], s[62:63]
	s_delay_alu instid0(VALU_DEP_3) | instskip(NEXT) | instid1(VALU_DEP_3)
	v_add_f64 v[36:37], v[48:49], v[42:43]
	v_add_f64 v[44:45], v[40:41], v[28:29]
	s_delay_alu instid0(VALU_DEP_3) | instskip(NEXT) | instid1(VALU_DEP_3)
	v_fma_f64 v[34:35], v[38:39], v[34:35], s[64:65]
	v_add_f64 v[48:49], v[36:37], -v[48:49]
	s_delay_alu instid0(VALU_DEP_3) | instskip(SKIP_1) | instid1(VALU_DEP_4)
	v_add_f64 v[46:47], v[36:37], v[44:45]
	v_add_f64 v[40:41], v[44:45], -v[40:41]
	v_fma_f64 v[34:35], v[38:39], v[34:35], s[66:67]
	s_delay_alu instid0(VALU_DEP_4) | instskip(NEXT) | instid1(VALU_DEP_4)
	v_add_f64 v[42:43], v[42:43], -v[48:49]
	v_add_f64 v[50:51], v[46:47], -v[36:37]
	s_delay_alu instid0(VALU_DEP_4) | instskip(NEXT) | instid1(VALU_DEP_4)
	v_add_f64 v[28:29], v[28:29], -v[40:41]
	v_fma_f64 v[34:35], v[38:39], v[34:35], s[68:69]
	s_delay_alu instid0(VALU_DEP_3) | instskip(SKIP_1) | instid1(VALU_DEP_4)
	v_add_f64 v[52:53], v[46:47], -v[50:51]
	v_add_f64 v[40:41], v[44:45], -v[50:51]
	v_add_f64 v[44:45], v[42:43], v[28:29]
	s_delay_alu instid0(VALU_DEP_4) | instskip(NEXT) | instid1(VALU_DEP_4)
	v_fma_f64 v[34:35], v[38:39], v[34:35], s[70:71]
	v_add_f64 v[36:37], v[36:37], -v[52:53]
	s_delay_alu instid0(VALU_DEP_2) | instskip(NEXT) | instid1(VALU_DEP_2)
	v_fma_f64 v[34:35], v[38:39], v[34:35], s[72:73]
	v_add_f64 v[36:37], v[40:41], v[36:37]
	v_add_f64 v[40:41], v[44:45], -v[42:43]
	s_delay_alu instid0(VALU_DEP_3) | instskip(NEXT) | instid1(VALU_DEP_3)
	v_fma_f64 v[34:35], v[38:39], v[34:35], s[74:75]
	v_add_f64 v[36:37], v[44:45], v[36:37]
	s_delay_alu instid0(VALU_DEP_3) | instskip(SKIP_1) | instid1(VALU_DEP_4)
	v_add_f64 v[44:45], v[44:45], -v[40:41]
	v_add_f64 v[28:29], v[28:29], -v[40:41]
	v_fma_f64 v[34:35], v[38:39], v[34:35], s[76:77]
	s_delay_alu instid0(VALU_DEP_4) | instskip(NEXT) | instid1(VALU_DEP_4)
	v_add_f64 v[48:49], v[46:47], v[36:37]
	v_add_f64 v[40:41], v[42:43], -v[44:45]
	s_delay_alu instid0(VALU_DEP_3) | instskip(NEXT) | instid1(VALU_DEP_3)
	v_fma_f64 v[34:35], v[38:39], v[34:35], s[78:79]
	v_add_f64 v[42:43], v[48:49], -v[46:47]
	s_delay_alu instid0(VALU_DEP_3) | instskip(NEXT) | instid1(VALU_DEP_3)
	v_add_f64 v[28:29], v[28:29], v[40:41]
	v_mul_f64 v[34:35], v[38:39], v[34:35]
	s_delay_alu instid0(VALU_DEP_3) | instskip(NEXT) | instid1(VALU_DEP_2)
	v_add_f64 v[36:37], v[36:37], -v[42:43]
	v_fma_f64 v[32:33], v[32:33], v[34:35], v[32:33]
	s_delay_alu instid0(VALU_DEP_2) | instskip(NEXT) | instid1(VALU_DEP_2)
	v_add_f64 v[28:29], v[28:29], v[36:37]
	v_add_f64 v[34:35], -v[32:33], s[80:81]
	s_delay_alu instid0(VALU_DEP_2) | instskip(SKIP_1) | instid1(VALU_DEP_1)
	v_add_f64 v[28:29], v[48:49], v[28:29]
	v_and_b32_e32 v31, 0x7fffffff, v31
	v_cmp_eq_f64_e32 vcc_lo, 0x7ff00000, v[30:31]
	s_delay_alu instid0(VALU_DEP_4) | instskip(SKIP_2) | instid1(VALU_DEP_2)
	v_cndmask_b32_e64 v31, v33, v35, s0
	v_cndmask_b32_e64 v30, v32, v34, s0
	v_cmp_eq_f64_e64 s0, 0, v[16:17]
	v_add_f64 v[32:33], -v[30:31], s[10:11]
	s_and_b32 vcc_lo, s1, vcc_lo
	v_cmp_class_f64_e64 s1, v[16:17], 0x204
	v_dual_cndmask_b32 v28, v28, v8 :: v_dual_cndmask_b32 v29, v29, v10
	v_and_b32_e32 v10, 0x54442d18, v19
	v_cmp_gt_i32_e32 vcc_lo, 0, v15
	v_and_b32_e32 v15, 0x400921fb, v19
	s_delay_alu instid0(VALU_DEP_4) | instskip(SKIP_3) | instid1(VALU_DEP_3)
	v_add_f64 v[28:29], v[28:29], 1.0
	v_cndmask_b32_e32 v30, v30, v32, vcc_lo
	v_cndmask_b32_e32 v8, 0x54442d18, v54, vcc_lo
	;; [unrolled: 1-line block ×3, first 2 shown]
	v_cndmask_b32_e64 v30, v30, v10, s0
	v_cndmask_b32_e32 v19, v31, v33, vcc_lo
	v_cmp_ngt_f64_e32 vcc_lo, 0, v[11:12]
	s_delay_alu instid0(VALU_DEP_4) | instskip(NEXT) | instid1(VALU_DEP_3)
	v_bfi_b32 v14, 0x7fffffff, v14, v17
	v_cndmask_b32_e64 v10, v19, v15, s0
	v_cmp_nge_f64_e64 s0, 0, v[11:12]
	v_cndmask_b32_e64 v29, v29, 0x7ff00000, s4
	v_cndmask_b32_e64 v15, v28, 0, s4
	s_delay_alu instid0(VALU_DEP_2)
	v_cndmask_b32_e32 v19, 0x7ff80000, v29, vcc_lo
	s_and_b32 vcc_lo, s2, s1
	v_cndmask_b32_e32 v28, v30, v8, vcc_lo
	v_cndmask_b32_e32 v29, v10, v14, vcc_lo
	v_cndmask_b32_e64 v10, 0, v15, s0
	v_cmp_neq_f64_e64 s0, 0, v[11:12]
	s_delay_alu instid0(VALU_DEP_1)
	v_cndmask_b32_e64 v11, 0xfff00000, v19, s0
.LBB198_257:                            ;   in Loop: Header=BB198_162 Depth=1
	s_or_b32 exec_lo, exec_lo, s3
.LBB198_258:                            ;   in Loop: Header=BB198_162 Depth=1
	s_and_not1_saveexec_b32 s0, s94
	s_cbranch_execz .LBB198_264
; %bb.259:                              ;   in Loop: Header=BB198_162 Depth=1
	v_cmp_ngt_f64_e64 s1, 0x20000000, |v[14:15]|
	v_cmp_ngt_f64_e64 s2, 0x20000000, |v[16:17]|
                                        ; implicit-def: $vgpr11_vgpr12
	s_delay_alu instid0(VALU_DEP_1) | instskip(NEXT) | instid1(SALU_CYCLE_1)
	s_or_b32 s1, s1, s2
	s_and_saveexec_b32 s2, s1
	s_delay_alu instid0(SALU_CYCLE_1)
	s_xor_b32 s1, exec_lo, s2
; %bb.260:                              ;   in Loop: Header=BB198_162 Depth=1
	v_mul_f64 v[10:11], v[16:17], v[16:17]
	s_delay_alu instid0(VALU_DEP_1)
	v_fma_f64 v[11:12], v[14:15], v[14:15], v[10:11]
; %bb.261:                              ;   in Loop: Header=BB198_162 Depth=1
	s_and_not1_saveexec_b32 s1, s1
; %bb.262:                              ;   in Loop: Header=BB198_162 Depth=1
	v_mul_f64 v[10:11], v[16:17], 4.0
	v_mul_f64 v[14:15], v[14:15], 4.0
	s_delay_alu instid0(VALU_DEP_2) | instskip(NEXT) | instid1(VALU_DEP_1)
	v_mul_f64 v[10:11], v[10:11], v[10:11]
	v_fma_f64 v[10:11], v[14:15], v[14:15], v[10:11]
	s_delay_alu instid0(VALU_DEP_1)
	v_ldexp_f64 v[11:12], v[10:11], -4
; %bb.263:                              ;   in Loop: Header=BB198_162 Depth=1
	s_or_b32 exec_lo, exec_lo, s1
	s_delay_alu instid0(VALU_DEP_1) | instskip(SKIP_2) | instid1(VALU_DEP_2)
	v_frexp_mant_f64_e32 v[14:15], v[11:12]
	s_mov_b32 s91, s21
	v_frexp_exp_i32_f64_e32 v8, v[11:12]
	v_cmp_gt_f64_e32 vcc_lo, s[20:21], v[14:15]
	v_cndmask_b32_e64 v19, 0x3ff00000, 2.0, vcc_lo
	s_delay_alu instid0(VALU_DEP_3) | instskip(SKIP_1) | instid1(VALU_DEP_3)
	v_subrev_co_ci_u32_e32 v8, vcc_lo, 0, v8, vcc_lo
	v_cmp_class_f64_e64 vcc_lo, v[11:12], 0x204
	v_mul_f64 v[14:15], v[14:15], v[18:19]
	s_delay_alu instid0(VALU_DEP_1) | instskip(SKIP_1) | instid1(VALU_DEP_2)
	v_add_f64 v[28:29], v[14:15], 1.0
	v_add_f64 v[34:35], v[14:15], -1.0
	v_rcp_f64_e32 v[30:31], v[28:29]
	v_add_f64 v[36:37], v[28:29], -1.0
	s_delay_alu instid0(VALU_DEP_1) | instskip(SKIP_2) | instid1(VALU_DEP_1)
	v_add_f64 v[14:15], v[14:15], -v[36:37]
	s_waitcnt_depctr 0xfff
	v_fma_f64 v[32:33], -v[28:29], v[30:31], 1.0
	v_fma_f64 v[30:31], v[32:33], v[30:31], v[30:31]
	s_delay_alu instid0(VALU_DEP_1) | instskip(NEXT) | instid1(VALU_DEP_1)
	v_fma_f64 v[32:33], -v[28:29], v[30:31], 1.0
	v_fma_f64 v[30:31], v[32:33], v[30:31], v[30:31]
	s_delay_alu instid0(VALU_DEP_1) | instskip(NEXT) | instid1(VALU_DEP_1)
	v_mul_f64 v[32:33], v[34:35], v[30:31]
	v_mul_f64 v[38:39], v[28:29], v[32:33]
	s_delay_alu instid0(VALU_DEP_1) | instskip(NEXT) | instid1(VALU_DEP_1)
	v_fma_f64 v[28:29], v[32:33], v[28:29], -v[38:39]
	v_fma_f64 v[14:15], v[32:33], v[14:15], v[28:29]
	s_delay_alu instid0(VALU_DEP_1) | instskip(NEXT) | instid1(VALU_DEP_1)
	v_add_f64 v[28:29], v[38:39], v[14:15]
	v_add_f64 v[36:37], v[34:35], -v[28:29]
	v_add_f64 v[38:39], v[28:29], -v[38:39]
	s_delay_alu instid0(VALU_DEP_2) | instskip(NEXT) | instid1(VALU_DEP_2)
	v_add_f64 v[34:35], v[34:35], -v[36:37]
	v_add_f64 v[14:15], v[38:39], -v[14:15]
	s_delay_alu instid0(VALU_DEP_2) | instskip(NEXT) | instid1(VALU_DEP_1)
	v_add_f64 v[28:29], v[34:35], -v[28:29]
	v_add_f64 v[14:15], v[14:15], v[28:29]
	s_delay_alu instid0(VALU_DEP_1) | instskip(NEXT) | instid1(VALU_DEP_1)
	v_add_f64 v[14:15], v[36:37], v[14:15]
	v_mul_f64 v[14:15], v[30:31], v[14:15]
	s_delay_alu instid0(VALU_DEP_1) | instskip(NEXT) | instid1(VALU_DEP_1)
	v_add_f64 v[28:29], v[32:33], v[14:15]
	v_mul_f64 v[30:31], v[28:29], v[28:29]
	s_delay_alu instid0(VALU_DEP_1) | instskip(SKIP_1) | instid1(VALU_DEP_2)
	v_fma_f64 v[34:35], v[30:31], s[24:25], s[22:23]
	v_mul_f64 v[36:37], v[28:29], v[30:31]
	v_fma_f64 v[34:35], v[30:31], v[34:35], s[26:27]
	s_delay_alu instid0(VALU_DEP_1) | instskip(NEXT) | instid1(VALU_DEP_1)
	v_fma_f64 v[34:35], v[30:31], v[34:35], s[28:29]
	v_fma_f64 v[34:35], v[30:31], v[34:35], s[30:31]
	s_delay_alu instid0(VALU_DEP_1) | instskip(NEXT) | instid1(VALU_DEP_1)
	v_fma_f64 v[34:35], v[30:31], v[34:35], s[34:35]
	v_fma_f64 v[30:31], v[30:31], v[34:35], s[90:91]
	v_ldexp_f64 v[34:35], v[28:29], 1
	v_add_f64 v[28:29], v[28:29], -v[32:33]
	s_delay_alu instid0(VALU_DEP_3) | instskip(SKIP_1) | instid1(VALU_DEP_3)
	v_mul_f64 v[30:31], v[36:37], v[30:31]
	v_cvt_f64_i32_e32 v[36:37], v8
	v_add_f64 v[14:15], v[14:15], -v[28:29]
	s_delay_alu instid0(VALU_DEP_3) | instskip(NEXT) | instid1(VALU_DEP_3)
	v_add_f64 v[32:33], v[34:35], v[30:31]
	v_mul_f64 v[38:39], v[36:37], s[36:37]
	s_delay_alu instid0(VALU_DEP_3) | instskip(NEXT) | instid1(VALU_DEP_3)
	v_ldexp_f64 v[14:15], v[14:15], 1
	v_add_f64 v[28:29], v[32:33], -v[34:35]
	s_delay_alu instid0(VALU_DEP_3) | instskip(NEXT) | instid1(VALU_DEP_2)
	v_fma_f64 v[34:35], v[36:37], s[36:37], -v[38:39]
	v_add_f64 v[28:29], v[30:31], -v[28:29]
	s_delay_alu instid0(VALU_DEP_2) | instskip(NEXT) | instid1(VALU_DEP_2)
	v_fma_f64 v[30:31], v[36:37], s[38:39], v[34:35]
	v_add_f64 v[14:15], v[14:15], v[28:29]
	s_delay_alu instid0(VALU_DEP_2) | instskip(NEXT) | instid1(VALU_DEP_2)
	v_add_f64 v[28:29], v[38:39], v[30:31]
	v_add_f64 v[34:35], v[32:33], v[14:15]
	s_delay_alu instid0(VALU_DEP_2) | instskip(NEXT) | instid1(VALU_DEP_2)
	v_add_f64 v[38:39], v[28:29], -v[38:39]
	v_add_f64 v[36:37], v[28:29], v[34:35]
	v_add_f64 v[32:33], v[34:35], -v[32:33]
	s_delay_alu instid0(VALU_DEP_3) | instskip(NEXT) | instid1(VALU_DEP_3)
	v_add_f64 v[30:31], v[30:31], -v[38:39]
	v_add_f64 v[40:41], v[36:37], -v[28:29]
	s_delay_alu instid0(VALU_DEP_3) | instskip(NEXT) | instid1(VALU_DEP_2)
	v_add_f64 v[14:15], v[14:15], -v[32:33]
	v_add_f64 v[42:43], v[36:37], -v[40:41]
	;; [unrolled: 1-line block ×3, first 2 shown]
	s_delay_alu instid0(VALU_DEP_3) | instskip(NEXT) | instid1(VALU_DEP_3)
	v_add_f64 v[34:35], v[30:31], v[14:15]
	v_add_f64 v[28:29], v[28:29], -v[42:43]
	s_delay_alu instid0(VALU_DEP_1) | instskip(NEXT) | instid1(VALU_DEP_3)
	v_add_f64 v[28:29], v[32:33], v[28:29]
	v_add_f64 v[32:33], v[34:35], -v[30:31]
	s_delay_alu instid0(VALU_DEP_2) | instskip(NEXT) | instid1(VALU_DEP_2)
	v_add_f64 v[28:29], v[34:35], v[28:29]
	v_add_f64 v[34:35], v[34:35], -v[32:33]
	v_add_f64 v[14:15], v[14:15], -v[32:33]
	s_delay_alu instid0(VALU_DEP_3) | instskip(NEXT) | instid1(VALU_DEP_3)
	v_add_f64 v[38:39], v[36:37], v[28:29]
	v_add_f64 v[30:31], v[30:31], -v[34:35]
	s_delay_alu instid0(VALU_DEP_2) | instskip(NEXT) | instid1(VALU_DEP_2)
	v_add_f64 v[32:33], v[38:39], -v[36:37]
	v_add_f64 v[14:15], v[14:15], v[30:31]
	s_delay_alu instid0(VALU_DEP_2) | instskip(NEXT) | instid1(VALU_DEP_1)
	v_add_f64 v[28:29], v[28:29], -v[32:33]
	v_add_f64 v[14:15], v[14:15], v[28:29]
	s_delay_alu instid0(VALU_DEP_1) | instskip(NEXT) | instid1(VALU_DEP_1)
	v_add_f64 v[14:15], v[38:39], v[14:15]
	v_cndmask_b32_e32 v8, v14, v11, vcc_lo
	s_delay_alu instid0(VALU_DEP_2) | instskip(SKIP_1) | instid1(VALU_DEP_2)
	v_cndmask_b32_e32 v10, v15, v12, vcc_lo
	v_cmp_ngt_f64_e32 vcc_lo, 0, v[11:12]
	v_cndmask_b32_e32 v14, 0x7ff80000, v10, vcc_lo
	v_cmp_nge_f64_e32 vcc_lo, 0, v[11:12]
	v_mov_b32_e32 v28, 0
	v_dual_mov_b32 v29, 0x7ff80000 :: v_dual_cndmask_b32 v10, 0, v8
	v_cmp_neq_f64_e32 vcc_lo, 0, v[11:12]
	v_cndmask_b32_e32 v11, 0xfff00000, v14, vcc_lo
.LBB198_264:                            ;   in Loop: Header=BB198_162 Depth=1
	s_or_b32 exec_lo, exec_lo, s0
                                        ; implicit-def: $vgpr14_vgpr15
                                        ; implicit-def: $vgpr30_vgpr31
	s_delay_alu instid0(SALU_CYCLE_1)
	s_mov_b32 s0, exec_lo
	v_cmpx_o_f64_e32 v[2:3], v[4:5]
	s_xor_b32 s94, exec_lo, s0
	s_cbranch_execz .LBB198_292
; %bb.265:                              ;   in Loop: Header=BB198_162 Depth=1
	v_cmp_lt_f64_e64 s0, |v[2:3]|, |v[4:5]|
	v_and_b32_e32 v8, 0x7fffffff, v3
	v_and_b32_e32 v12, 0x7fffffff, v5
	v_mov_b32_e32 v16, v4
                                        ; implicit-def: $vgpr14_vgpr15
                                        ; implicit-def: $vgpr30_vgpr31
	s_mov_b32 s1, exec_lo
	s_delay_alu instid0(VALU_DEP_2) | instskip(NEXT) | instid1(VALU_DEP_2)
	v_cndmask_b32_e64 v35, v12, v8, s0
	v_cndmask_b32_e64 v34, v16, v2, s0
	s_delay_alu instid0(VALU_DEP_1)
	v_cmpx_nlt_f64_e32 s[12:13], v[34:35]
	s_xor_b32 s95, exec_lo, s1
	s_cbranch_execz .LBB198_289
; %bb.266:                              ;   in Loop: Header=BB198_162 Depth=1
	v_cndmask_b32_e64 v37, v8, v12, s0
	v_cndmask_b32_e64 v36, v2, v16, s0
                                        ; implicit-def: $vgpr14_vgpr15
                                        ; implicit-def: $vgpr30_vgpr31
	s_mov_b32 s1, exec_lo
	s_delay_alu instid0(VALU_DEP_1)
	v_cmpx_neq_f64_e32 1.0, v[36:37]
	s_xor_b32 s96, exec_lo, s1
	s_cbranch_execz .LBB198_282
; %bb.267:                              ;   in Loop: Header=BB198_162 Depth=1
	v_max_f64 v[14:15], v[34:35], v[34:35]
	v_max_f64 v[30:31], v[36:37], v[36:37]
	s_delay_alu instid0(VALU_DEP_1) | instskip(SKIP_1) | instid1(VALU_DEP_2)
	v_min_f64 v[32:33], v[30:31], v[14:15]
	v_max_f64 v[14:15], v[30:31], v[14:15]
                                        ; implicit-def: $vgpr30_vgpr31
	v_cmp_ngt_f64_e32 vcc_lo, s[14:15], v[32:33]
	s_delay_alu instid0(VALU_DEP_2) | instskip(NEXT) | instid1(VALU_DEP_1)
	v_cmp_nlt_f64_e64 s1, s[16:17], v[14:15]
                                        ; implicit-def: $vgpr14_vgpr15
	s_and_b32 s1, s1, vcc_lo
	s_delay_alu instid0(SALU_CYCLE_1) | instskip(NEXT) | instid1(SALU_CYCLE_1)
	s_and_saveexec_b32 s2, s1
	s_xor_b32 s97, exec_lo, s2
	s_cbranch_execz .LBB198_279
; %bb.268:                              ;   in Loop: Header=BB198_162 Depth=1
                                        ; implicit-def: $vgpr14_vgpr15
                                        ; implicit-def: $vgpr30_vgpr31
	s_mov_b32 s1, exec_lo
	v_cmpx_le_f64_e32 1.0, v[36:37]
	s_xor_b32 s2, exec_lo, s1
	s_cbranch_execz .LBB198_270
; %bb.269:                              ;   in Loop: Header=BB198_162 Depth=1
	v_add_f64 v[14:15], v[36:37], -1.0
	v_add_f64 v[30:31], v[36:37], 1.0
	s_mov_b32 s91, s21
	s_mov_b32 s10, s80
	v_cmp_gt_i32_e64 s1, 0, v3
	v_cmp_class_f64_e64 s4, v[2:3], 0x204
	v_cmp_class_f64_e64 s3, v[4:5], 0x204
	s_delay_alu instid0(VALU_DEP_4) | instskip(NEXT) | instid1(VALU_DEP_1)
	v_mul_f64 v[14:15], v[14:15], v[30:31]
	v_fma_f64 v[15:16], v[34:35], v[34:35], v[14:15]
	s_delay_alu instid0(VALU_DEP_1) | instskip(NEXT) | instid1(VALU_DEP_1)
	v_add_f64 v[30:31], v[15:16], 1.0
	v_frexp_mant_f64_e32 v[32:33], v[30:31]
	v_frexp_exp_i32_f64_e32 v8, v[30:31]
	v_add_f64 v[34:35], v[30:31], -1.0
	s_delay_alu instid0(VALU_DEP_3) | instskip(NEXT) | instid1(VALU_DEP_2)
	v_cmp_gt_f64_e32 vcc_lo, s[20:21], v[32:33]
	v_add_f64 v[32:33], v[34:35], -v[30:31]
	v_add_f64 v[34:35], v[15:16], -v[34:35]
	v_subrev_co_ci_u32_e32 v8, vcc_lo, 0, v8, vcc_lo
	s_delay_alu instid0(VALU_DEP_3) | instskip(NEXT) | instid1(VALU_DEP_2)
	v_add_f64 v[32:33], v[32:33], 1.0
	v_sub_nc_u32_e32 v12, 0, v8
	s_delay_alu instid0(VALU_DEP_1) | instskip(NEXT) | instid1(VALU_DEP_3)
	v_ldexp_f64 v[30:31], v[30:31], v12
	v_add_f64 v[32:33], v[34:35], v[32:33]
	s_delay_alu instid0(VALU_DEP_2) | instskip(SKIP_1) | instid1(VALU_DEP_3)
	v_add_f64 v[36:37], v[30:31], 1.0
	v_add_f64 v[42:43], v[30:31], -1.0
	v_ldexp_f64 v[32:33], v[32:33], v12
	v_cndmask_b32_e64 v12, 0x54442d18, v54, s1
	s_delay_alu instid0(VALU_DEP_4) | instskip(NEXT) | instid1(VALU_DEP_4)
	v_add_f64 v[34:35], v[36:37], -1.0
	v_add_f64 v[44:45], v[42:43], 1.0
	s_delay_alu instid0(VALU_DEP_2) | instskip(NEXT) | instid1(VALU_DEP_2)
	v_add_f64 v[34:35], v[30:31], -v[34:35]
	v_add_f64 v[30:31], v[30:31], -v[44:45]
	s_delay_alu instid0(VALU_DEP_2) | instskip(NEXT) | instid1(VALU_DEP_2)
	v_add_f64 v[34:35], v[32:33], v[34:35]
	v_add_f64 v[30:31], v[32:33], v[30:31]
	s_delay_alu instid0(VALU_DEP_2) | instskip(NEXT) | instid1(VALU_DEP_2)
	v_add_f64 v[38:39], v[36:37], v[34:35]
	v_add_f64 v[44:45], v[42:43], v[30:31]
	s_delay_alu instid0(VALU_DEP_2) | instskip(SKIP_1) | instid1(VALU_DEP_2)
	v_rcp_f64_e32 v[40:41], v[38:39]
	v_add_f64 v[36:37], v[38:39], -v[36:37]
	v_add_f64 v[42:43], v[44:45], -v[42:43]
	s_delay_alu instid0(VALU_DEP_2) | instskip(SKIP_3) | instid1(VALU_DEP_2)
	v_add_f64 v[34:35], v[34:35], -v[36:37]
	s_waitcnt_depctr 0xfff
	v_fma_f64 v[46:47], -v[38:39], v[40:41], 1.0
	v_add_f64 v[30:31], v[30:31], -v[42:43]
	v_fma_f64 v[40:41], v[46:47], v[40:41], v[40:41]
	s_delay_alu instid0(VALU_DEP_1) | instskip(NEXT) | instid1(VALU_DEP_1)
	v_fma_f64 v[32:33], -v[38:39], v[40:41], 1.0
	v_fma_f64 v[32:33], v[32:33], v[40:41], v[40:41]
	s_delay_alu instid0(VALU_DEP_1) | instskip(NEXT) | instid1(VALU_DEP_1)
	v_mul_f64 v[40:41], v[44:45], v[32:33]
	v_mul_f64 v[46:47], v[38:39], v[40:41]
	s_delay_alu instid0(VALU_DEP_1) | instskip(NEXT) | instid1(VALU_DEP_1)
	v_fma_f64 v[36:37], v[40:41], v[38:39], -v[46:47]
	v_fma_f64 v[36:37], v[40:41], v[34:35], v[36:37]
	s_delay_alu instid0(VALU_DEP_1) | instskip(NEXT) | instid1(VALU_DEP_1)
	v_add_f64 v[48:49], v[46:47], v[36:37]
	v_add_f64 v[50:51], v[44:45], -v[48:49]
	v_add_f64 v[42:43], v[48:49], -v[46:47]
	v_max_f64 v[46:47], |v[4:5]|, |v[4:5]|
	s_delay_alu instid0(VALU_DEP_3) | instskip(NEXT) | instid1(VALU_DEP_3)
	v_add_f64 v[44:45], v[44:45], -v[50:51]
	v_add_f64 v[36:37], v[42:43], -v[36:37]
	s_delay_alu instid0(VALU_DEP_2) | instskip(SKIP_2) | instid1(VALU_DEP_1)
	v_add_f64 v[44:45], v[44:45], -v[48:49]
	v_max_f64 v[48:49], |v[2:3]|, |v[2:3]|
	v_cndmask_b32_e64 v2, 0x3fe921fb, v55, s1
	v_bfi_b32 v2, 0x7fffffff, v2, v5
	s_delay_alu instid0(VALU_DEP_4) | instskip(NEXT) | instid1(VALU_DEP_4)
	v_add_f64 v[30:31], v[30:31], v[44:45]
	v_max_f64 v[52:53], v[48:49], v[46:47]
	v_min_f64 v[46:47], v[48:49], v[46:47]
	s_delay_alu instid0(VALU_DEP_3) | instskip(NEXT) | instid1(VALU_DEP_1)
	v_add_f64 v[30:31], v[36:37], v[30:31]
	v_add_f64 v[36:37], v[50:51], v[30:31]
	s_delay_alu instid0(VALU_DEP_1) | instskip(SKIP_1) | instid1(VALU_DEP_2)
	v_mul_f64 v[42:43], v[32:33], v[36:37]
	v_add_f64 v[50:51], v[50:51], -v[36:37]
	v_mul_f64 v[44:45], v[38:39], v[42:43]
	s_delay_alu instid0(VALU_DEP_2) | instskip(NEXT) | instid1(VALU_DEP_2)
	v_add_f64 v[30:31], v[30:31], v[50:51]
	v_fma_f64 v[38:39], v[42:43], v[38:39], -v[44:45]
	s_delay_alu instid0(VALU_DEP_1) | instskip(SKIP_1) | instid1(VALU_DEP_2)
	v_fma_f64 v[34:35], v[42:43], v[34:35], v[38:39]
	v_div_scale_f64 v[38:39], null, v[52:53], v[52:53], v[46:47]
	v_add_f64 v[48:49], v[44:45], v[34:35]
	s_delay_alu instid0(VALU_DEP_2) | instskip(NEXT) | instid1(VALU_DEP_1)
	v_rcp_f64_e32 v[56:57], v[38:39]
	v_add_f64 v[58:59], v[36:37], -v[48:49]
	v_add_f64 v[44:45], v[48:49], -v[44:45]
	s_waitcnt_depctr 0xfff
	v_fma_f64 v[60:61], -v[38:39], v[56:57], 1.0
	v_add_f64 v[36:37], v[36:37], -v[58:59]
	v_add_f64 v[34:35], v[44:45], -v[34:35]
	s_delay_alu instid0(VALU_DEP_3) | instskip(NEXT) | instid1(VALU_DEP_3)
	v_fma_f64 v[56:57], v[56:57], v[60:61], v[56:57]
	v_add_f64 v[36:37], v[36:37], -v[48:49]
	s_delay_alu instid0(VALU_DEP_2) | instskip(NEXT) | instid1(VALU_DEP_2)
	v_fma_f64 v[48:49], -v[38:39], v[56:57], 1.0
	v_add_f64 v[30:31], v[30:31], v[36:37]
	v_div_scale_f64 v[36:37], vcc_lo, v[46:47], v[52:53], v[46:47]
	s_delay_alu instid0(VALU_DEP_3) | instskip(SKIP_1) | instid1(VALU_DEP_4)
	v_fma_f64 v[44:45], v[56:57], v[48:49], v[56:57]
	v_add_f64 v[48:49], v[40:41], v[42:43]
	v_add_f64 v[30:31], v[34:35], v[30:31]
	s_delay_alu instid0(VALU_DEP_3) | instskip(NEXT) | instid1(VALU_DEP_3)
	v_mul_f64 v[34:35], v[36:37], v[44:45]
	v_add_f64 v[40:41], v[48:49], -v[40:41]
	s_delay_alu instid0(VALU_DEP_3) | instskip(NEXT) | instid1(VALU_DEP_3)
	v_add_f64 v[30:31], v[58:59], v[30:31]
	v_fma_f64 v[36:37], -v[38:39], v[34:35], v[36:37]
	s_delay_alu instid0(VALU_DEP_3) | instskip(NEXT) | instid1(VALU_DEP_3)
	v_add_f64 v[38:39], v[42:43], -v[40:41]
	v_mul_f64 v[30:31], v[32:33], v[30:31]
	s_delay_alu instid0(VALU_DEP_3) | instskip(SKIP_1) | instid1(VALU_DEP_3)
	v_div_fmas_f64 v[32:33], v[36:37], v[44:45], v[34:35]
	v_cmp_eq_f64_e32 vcc_lo, 0x7ff00000, v[15:16]
	v_add_f64 v[30:31], v[38:39], v[30:31]
	s_delay_alu instid0(VALU_DEP_3) | instskip(NEXT) | instid1(VALU_DEP_2)
	v_div_fixup_f64 v[32:33], v[32:33], v[52:53], v[46:47]
	v_add_f64 v[34:35], v[48:49], v[30:31]
	s_delay_alu instid0(VALU_DEP_2) | instskip(NEXT) | instid1(VALU_DEP_2)
	v_mul_f64 v[36:37], v[32:33], v[32:33]
	v_mul_f64 v[38:39], v[34:35], v[34:35]
	s_delay_alu instid0(VALU_DEP_2) | instskip(NEXT) | instid1(VALU_DEP_2)
	v_fma_f64 v[40:41], v[36:37], s[42:43], s[40:41]
	v_fma_f64 v[42:43], v[38:39], s[24:25], s[22:23]
	v_mul_f64 v[44:45], v[34:35], v[38:39]
	s_delay_alu instid0(VALU_DEP_3) | instskip(NEXT) | instid1(VALU_DEP_3)
	v_fma_f64 v[40:41], v[36:37], v[40:41], s[44:45]
	v_fma_f64 v[42:43], v[38:39], v[42:43], s[26:27]
	s_delay_alu instid0(VALU_DEP_2) | instskip(NEXT) | instid1(VALU_DEP_2)
	v_fma_f64 v[40:41], v[36:37], v[40:41], s[46:47]
	v_fma_f64 v[42:43], v[38:39], v[42:43], s[28:29]
	s_delay_alu instid0(VALU_DEP_2) | instskip(NEXT) | instid1(VALU_DEP_2)
	;; [unrolled: 3-line block ×4, first 2 shown]
	v_fma_f64 v[40:41], v[36:37], v[40:41], s[52:53]
	v_fma_f64 v[38:39], v[38:39], v[42:43], s[90:91]
	v_ldexp_f64 v[42:43], v[34:35], 1
	v_add_f64 v[34:35], v[34:35], -v[48:49]
	s_delay_alu instid0(VALU_DEP_4) | instskip(NEXT) | instid1(VALU_DEP_4)
	v_fma_f64 v[40:41], v[36:37], v[40:41], s[54:55]
	v_mul_f64 v[38:39], v[44:45], v[38:39]
	v_cvt_f64_i32_e32 v[44:45], v8
	s_delay_alu instid0(VALU_DEP_4) | instskip(NEXT) | instid1(VALU_DEP_4)
	v_add_f64 v[30:31], v[30:31], -v[34:35]
	v_fma_f64 v[40:41], v[36:37], v[40:41], s[56:57]
	v_ashrrev_i32_e32 v8, 31, v3
	s_delay_alu instid0(VALU_DEP_1) | instskip(SKIP_4) | instid1(VALU_DEP_4)
	v_and_b32_e32 v3, 0x400921fb, v8
	v_add_f64 v[46:47], v[42:43], v[38:39]
	v_mul_f64 v[48:49], v[44:45], s[36:37]
	v_ldexp_f64 v[30:31], v[30:31], 1
	v_fma_f64 v[40:41], v[36:37], v[40:41], s[58:59]
	v_add_f64 v[34:35], v[46:47], -v[42:43]
	s_delay_alu instid0(VALU_DEP_4) | instskip(NEXT) | instid1(VALU_DEP_3)
	v_fma_f64 v[42:43], v[44:45], s[36:37], -v[48:49]
	v_fma_f64 v[40:41], v[36:37], v[40:41], s[60:61]
	s_delay_alu instid0(VALU_DEP_3) | instskip(NEXT) | instid1(VALU_DEP_2)
	v_add_f64 v[34:35], v[38:39], -v[34:35]
	v_fma_f64 v[38:39], v[36:37], v[40:41], s[62:63]
	s_delay_alu instid0(VALU_DEP_4) | instskip(NEXT) | instid1(VALU_DEP_3)
	v_fma_f64 v[40:41], v[44:45], s[38:39], v[42:43]
	v_add_f64 v[30:31], v[30:31], v[34:35]
	s_delay_alu instid0(VALU_DEP_3) | instskip(NEXT) | instid1(VALU_DEP_3)
	v_fma_f64 v[34:35], v[36:37], v[38:39], s[64:65]
	v_add_f64 v[38:39], v[48:49], v[40:41]
	s_delay_alu instid0(VALU_DEP_3) | instskip(NEXT) | instid1(VALU_DEP_3)
	v_add_f64 v[42:43], v[46:47], v[30:31]
	v_fma_f64 v[34:35], v[36:37], v[34:35], s[66:67]
	s_delay_alu instid0(VALU_DEP_3) | instskip(NEXT) | instid1(VALU_DEP_3)
	v_add_f64 v[48:49], v[38:39], -v[48:49]
	v_add_f64 v[44:45], v[38:39], v[42:43]
	v_add_f64 v[46:47], v[42:43], -v[46:47]
	s_delay_alu instid0(VALU_DEP_4) | instskip(NEXT) | instid1(VALU_DEP_4)
	v_fma_f64 v[34:35], v[36:37], v[34:35], s[68:69]
	v_add_f64 v[40:41], v[40:41], -v[48:49]
	s_delay_alu instid0(VALU_DEP_4) | instskip(NEXT) | instid1(VALU_DEP_4)
	v_add_f64 v[50:51], v[44:45], -v[38:39]
	v_add_f64 v[30:31], v[30:31], -v[46:47]
	s_delay_alu instid0(VALU_DEP_4) | instskip(NEXT) | instid1(VALU_DEP_3)
	v_fma_f64 v[34:35], v[36:37], v[34:35], s[70:71]
	v_add_f64 v[52:53], v[44:45], -v[50:51]
	v_add_f64 v[42:43], v[42:43], -v[50:51]
	s_delay_alu instid0(VALU_DEP_4) | instskip(NEXT) | instid1(VALU_DEP_4)
	v_add_f64 v[46:47], v[40:41], v[30:31]
	v_fma_f64 v[34:35], v[36:37], v[34:35], s[72:73]
	s_delay_alu instid0(VALU_DEP_4) | instskip(NEXT) | instid1(VALU_DEP_2)
	v_add_f64 v[38:39], v[38:39], -v[52:53]
	v_fma_f64 v[34:35], v[36:37], v[34:35], s[74:75]
	s_delay_alu instid0(VALU_DEP_2) | instskip(SKIP_1) | instid1(VALU_DEP_3)
	v_add_f64 v[38:39], v[42:43], v[38:39]
	v_add_f64 v[42:43], v[46:47], -v[40:41]
	v_fma_f64 v[34:35], v[36:37], v[34:35], s[76:77]
	s_delay_alu instid0(VALU_DEP_3) | instskip(NEXT) | instid1(VALU_DEP_3)
	v_add_f64 v[38:39], v[46:47], v[38:39]
	v_add_f64 v[46:47], v[46:47], -v[42:43]
	v_add_f64 v[30:31], v[30:31], -v[42:43]
	s_delay_alu instid0(VALU_DEP_4) | instskip(NEXT) | instid1(VALU_DEP_4)
	v_fma_f64 v[34:35], v[36:37], v[34:35], s[78:79]
	v_add_f64 v[48:49], v[44:45], v[38:39]
	s_delay_alu instid0(VALU_DEP_2) | instskip(SKIP_1) | instid1(VALU_DEP_3)
	v_mul_f64 v[34:35], v[36:37], v[34:35]
	v_add_f64 v[36:37], v[40:41], -v[46:47]
	v_add_f64 v[40:41], v[48:49], -v[44:45]
	s_delay_alu instid0(VALU_DEP_3) | instskip(NEXT) | instid1(VALU_DEP_3)
	v_fma_f64 v[32:33], v[32:33], v[34:35], v[32:33]
	v_add_f64 v[30:31], v[30:31], v[36:37]
	s_delay_alu instid0(VALU_DEP_3) | instskip(NEXT) | instid1(VALU_DEP_3)
	v_add_f64 v[34:35], v[38:39], -v[40:41]
	v_add_f64 v[36:37], -v[32:33], s[80:81]
	s_delay_alu instid0(VALU_DEP_2) | instskip(NEXT) | instid1(VALU_DEP_2)
	v_add_f64 v[30:31], v[30:31], v[34:35]
	v_cndmask_b32_e64 v33, v33, v37, s0
	s_delay_alu instid0(VALU_DEP_3) | instskip(NEXT) | instid1(VALU_DEP_1)
	v_cndmask_b32_e64 v32, v32, v36, s0
                                        ; implicit-def: $vgpr36_vgpr37
	v_add_f64 v[34:35], -v[32:33], s[10:11]
	s_delay_alu instid0(VALU_DEP_4) | instskip(NEXT) | instid1(VALU_DEP_2)
	v_add_f64 v[30:31], v[48:49], v[30:31]
	v_cndmask_b32_e64 v19, v32, v34, s1
	s_delay_alu instid0(VALU_DEP_2)
	v_dual_cndmask_b32 v31, v31, v16 :: v_dual_cndmask_b32 v30, v30, v15
	v_cmp_eq_f64_e32 vcc_lo, 0, v[4:5]
	v_and_b32_e32 v14, 0x54442d18, v8
	v_cndmask_b32_e64 v8, v33, v35, s1
	v_cmp_nge_f64_e64 s1, -1.0, v[15:16]
	v_mul_f64 v[30:31], v[30:31], 0.5
                                        ; implicit-def: $vgpr34_vgpr35
	s_delay_alu instid0(VALU_DEP_3) | instskip(SKIP_2) | instid1(VALU_DEP_4)
	v_cndmask_b32_e32 v3, v8, v3, vcc_lo
	v_cndmask_b32_e32 v19, v19, v14, vcc_lo
	v_cmp_ngt_f64_e32 vcc_lo, -1.0, v[15:16]
	v_cndmask_b32_e64 v14, 0, v30, s1
	v_cmp_neq_f64_e64 s1, -1.0, v[15:16]
	v_cndmask_b32_e32 v8, 0x7ff80000, v31, vcc_lo
	s_and_b32 vcc_lo, s4, s3
	v_cndmask_b32_e32 v31, v3, v2, vcc_lo
	v_cndmask_b32_e32 v30, v19, v12, vcc_lo
	s_delay_alu instid0(VALU_DEP_3)
	v_cndmask_b32_e64 v15, 0xfff00000, v8, s1
.LBB198_270:                            ;   in Loop: Header=BB198_162 Depth=1
	s_and_not1_saveexec_b32 s98, s2
	s_cbranch_execz .LBB198_278
; %bb.271:                              ;   in Loop: Header=BB198_162 Depth=1
	v_mul_f64 v[14:15], v[34:35], v[34:35]
                                        ; implicit-def: $vgpr30_vgpr31
	s_mov_b32 s1, exec_lo
	s_delay_alu instid0(VALU_DEP_1) | instskip(NEXT) | instid1(VALU_DEP_1)
	v_fma_f64 v[32:33], v[36:37], v[36:37], v[14:15]
                                        ; implicit-def: $vgpr14_vgpr15
	v_cmpx_ge_f64_e32 s[82:83], v[32:33]
	s_xor_b32 s3, exec_lo, s1
	s_cbranch_execz .LBB198_273
; %bb.272:                              ;   in Loop: Header=BB198_162 Depth=1
	v_frexp_mant_f64_e32 v[14:15], v[32:33]
	v_max_f64 v[40:41], |v[2:3]|, |v[2:3]|
	s_mov_b32 s91, s21
	v_frexp_exp_i32_f64_e32 v8, v[32:33]
	s_mov_b32 s10, s80
	v_cmp_class_f64_e64 s4, v[4:5], 0x204
	v_cmp_class_f64_e64 s5, v[2:3], 0x204
	v_cmp_neq_f64_e64 s2, 0, v[32:33]
	v_cmp_gt_f64_e64 s1, s[20:21], v[14:15]
	s_delay_alu instid0(VALU_DEP_1) | instskip(NEXT) | instid1(VALU_DEP_1)
	v_cndmask_b32_e64 v19, 0x3ff00000, 2.0, s1
	v_mul_f64 v[14:15], v[14:15], v[18:19]
	s_delay_alu instid0(VALU_DEP_1) | instskip(SKIP_1) | instid1(VALU_DEP_2)
	v_add_f64 v[30:31], v[14:15], 1.0
	v_add_f64 v[38:39], v[14:15], -1.0
	v_rcp_f64_e32 v[34:35], v[30:31]
	s_waitcnt_depctr 0xfff
	v_fma_f64 v[36:37], -v[30:31], v[34:35], 1.0
	s_delay_alu instid0(VALU_DEP_1) | instskip(NEXT) | instid1(VALU_DEP_1)
	v_fma_f64 v[34:35], v[36:37], v[34:35], v[34:35]
	v_fma_f64 v[36:37], -v[30:31], v[34:35], 1.0
	s_delay_alu instid0(VALU_DEP_1) | instskip(SKIP_1) | instid1(VALU_DEP_2)
	v_fma_f64 v[34:35], v[36:37], v[34:35], v[34:35]
	v_max_f64 v[36:37], |v[4:5]|, |v[4:5]|
	v_mul_f64 v[42:43], v[38:39], v[34:35]
	s_delay_alu instid0(VALU_DEP_2) | instskip(SKIP_2) | instid1(VALU_DEP_4)
	v_max_f64 v[44:45], v[40:41], v[36:37]
	v_min_f64 v[36:37], v[40:41], v[36:37]
	v_add_f64 v[40:41], v[30:31], -1.0
	v_mul_f64 v[46:47], v[30:31], v[42:43]
	s_delay_alu instid0(VALU_DEP_3) | instskip(NEXT) | instid1(VALU_DEP_3)
	v_div_scale_f64 v[48:49], null, v[44:45], v[44:45], v[36:37]
	v_add_f64 v[14:15], v[14:15], -v[40:41]
	v_div_scale_f64 v[56:57], vcc_lo, v[36:37], v[44:45], v[36:37]
	s_delay_alu instid0(VALU_DEP_4) | instskip(NEXT) | instid1(VALU_DEP_4)
	v_fma_f64 v[30:31], v[42:43], v[30:31], -v[46:47]
	v_rcp_f64_e32 v[40:41], v[48:49]
	s_delay_alu instid0(VALU_DEP_1) | instskip(SKIP_3) | instid1(VALU_DEP_2)
	v_fma_f64 v[14:15], v[42:43], v[14:15], v[30:31]
	s_waitcnt_depctr 0xfff
	v_fma_f64 v[30:31], -v[48:49], v[40:41], 1.0
	v_add_f64 v[50:51], v[46:47], v[14:15]
	v_fma_f64 v[30:31], v[40:41], v[30:31], v[40:41]
	s_delay_alu instid0(VALU_DEP_2) | instskip(SKIP_1) | instid1(VALU_DEP_3)
	v_add_f64 v[40:41], v[38:39], -v[50:51]
	v_add_f64 v[46:47], v[50:51], -v[46:47]
	v_fma_f64 v[52:53], -v[48:49], v[30:31], 1.0
	s_delay_alu instid0(VALU_DEP_3) | instskip(NEXT) | instid1(VALU_DEP_3)
	v_add_f64 v[38:39], v[38:39], -v[40:41]
	v_add_f64 v[14:15], v[46:47], -v[14:15]
	s_delay_alu instid0(VALU_DEP_3) | instskip(NEXT) | instid1(VALU_DEP_3)
	v_fma_f64 v[30:31], v[30:31], v[52:53], v[30:31]
	v_add_f64 v[38:39], v[38:39], -v[50:51]
	s_delay_alu instid0(VALU_DEP_2) | instskip(NEXT) | instid1(VALU_DEP_2)
	v_mul_f64 v[46:47], v[56:57], v[30:31]
	v_add_f64 v[14:15], v[14:15], v[38:39]
	s_delay_alu instid0(VALU_DEP_2) | instskip(NEXT) | instid1(VALU_DEP_2)
	v_fma_f64 v[38:39], -v[48:49], v[46:47], v[56:57]
	v_add_f64 v[14:15], v[40:41], v[14:15]
	s_delay_alu instid0(VALU_DEP_2)
	v_div_fmas_f64 v[30:31], v[38:39], v[30:31], v[46:47]
	v_subrev_co_ci_u32_e64 v8, vcc_lo, 0, v8, s1
	v_cmp_eq_f64_e64 s1, 0, v[4:5]
	v_cmp_gt_i32_e32 vcc_lo, 0, v3
	v_cndmask_b32_e32 v12, 0x54442d18, v54, vcc_lo
	v_mul_f64 v[14:15], v[34:35], v[14:15]
	v_div_fixup_f64 v[30:31], v[30:31], v[44:45], v[36:37]
	s_delay_alu instid0(VALU_DEP_2) | instskip(NEXT) | instid1(VALU_DEP_2)
	v_add_f64 v[34:35], v[42:43], v[14:15]
	v_mul_f64 v[36:37], v[30:31], v[30:31]
	s_delay_alu instid0(VALU_DEP_2) | instskip(NEXT) | instid1(VALU_DEP_2)
	v_mul_f64 v[38:39], v[34:35], v[34:35]
	v_fma_f64 v[40:41], v[36:37], s[42:43], s[40:41]
	s_delay_alu instid0(VALU_DEP_2) | instskip(SKIP_1) | instid1(VALU_DEP_3)
	v_fma_f64 v[44:45], v[38:39], s[24:25], s[22:23]
	v_mul_f64 v[46:47], v[34:35], v[38:39]
	v_fma_f64 v[40:41], v[36:37], v[40:41], s[44:45]
	s_delay_alu instid0(VALU_DEP_3) | instskip(NEXT) | instid1(VALU_DEP_2)
	v_fma_f64 v[44:45], v[38:39], v[44:45], s[26:27]
	v_fma_f64 v[40:41], v[36:37], v[40:41], s[46:47]
	s_delay_alu instid0(VALU_DEP_2) | instskip(NEXT) | instid1(VALU_DEP_2)
	v_fma_f64 v[44:45], v[38:39], v[44:45], s[28:29]
	v_fma_f64 v[40:41], v[36:37], v[40:41], s[48:49]
	s_delay_alu instid0(VALU_DEP_2) | instskip(NEXT) | instid1(VALU_DEP_2)
	;; [unrolled: 3-line block ×3, first 2 shown]
	v_fma_f64 v[44:45], v[38:39], v[44:45], s[34:35]
	v_fma_f64 v[40:41], v[36:37], v[40:41], s[52:53]
	s_delay_alu instid0(VALU_DEP_2) | instskip(SKIP_2) | instid1(VALU_DEP_4)
	v_fma_f64 v[38:39], v[38:39], v[44:45], s[90:91]
	v_ldexp_f64 v[44:45], v[34:35], 1
	v_add_f64 v[34:35], v[34:35], -v[42:43]
	v_fma_f64 v[40:41], v[36:37], v[40:41], s[54:55]
	s_delay_alu instid0(VALU_DEP_4) | instskip(SKIP_1) | instid1(VALU_DEP_4)
	v_mul_f64 v[38:39], v[46:47], v[38:39]
	v_cvt_f64_i32_e32 v[46:47], v8
	v_add_f64 v[14:15], v[14:15], -v[34:35]
	v_ashrrev_i32_e32 v8, 31, v3
	v_fma_f64 v[40:41], v[36:37], v[40:41], s[56:57]
	v_add_f64 v[42:43], v[44:45], v[38:39]
	v_mul_f64 v[48:49], v[46:47], s[36:37]
	v_ldexp_f64 v[14:15], v[14:15], 1
	s_delay_alu instid0(VALU_DEP_4) | instskip(NEXT) | instid1(VALU_DEP_4)
	v_fma_f64 v[40:41], v[36:37], v[40:41], s[58:59]
	v_add_f64 v[34:35], v[42:43], -v[44:45]
	s_delay_alu instid0(VALU_DEP_4) | instskip(NEXT) | instid1(VALU_DEP_3)
	v_fma_f64 v[44:45], v[46:47], s[36:37], -v[48:49]
	v_fma_f64 v[40:41], v[36:37], v[40:41], s[60:61]
	s_delay_alu instid0(VALU_DEP_3) | instskip(NEXT) | instid1(VALU_DEP_2)
	v_add_f64 v[34:35], v[38:39], -v[34:35]
	v_fma_f64 v[38:39], v[36:37], v[40:41], s[62:63]
	s_delay_alu instid0(VALU_DEP_4) | instskip(NEXT) | instid1(VALU_DEP_3)
	v_fma_f64 v[40:41], v[46:47], s[38:39], v[44:45]
	v_add_f64 v[14:15], v[14:15], v[34:35]
	s_delay_alu instid0(VALU_DEP_3) | instskip(NEXT) | instid1(VALU_DEP_3)
	v_fma_f64 v[34:35], v[36:37], v[38:39], s[64:65]
	v_add_f64 v[38:39], v[48:49], v[40:41]
	s_delay_alu instid0(VALU_DEP_3) | instskip(NEXT) | instid1(VALU_DEP_3)
	v_add_f64 v[44:45], v[42:43], v[14:15]
	v_fma_f64 v[34:35], v[36:37], v[34:35], s[66:67]
	s_delay_alu instid0(VALU_DEP_3) | instskip(NEXT) | instid1(VALU_DEP_3)
	v_add_f64 v[48:49], v[38:39], -v[48:49]
	v_add_f64 v[46:47], v[38:39], v[44:45]
	v_add_f64 v[42:43], v[44:45], -v[42:43]
	s_delay_alu instid0(VALU_DEP_4) | instskip(NEXT) | instid1(VALU_DEP_4)
	v_fma_f64 v[34:35], v[36:37], v[34:35], s[68:69]
	v_add_f64 v[40:41], v[40:41], -v[48:49]
	s_delay_alu instid0(VALU_DEP_4) | instskip(NEXT) | instid1(VALU_DEP_4)
	v_add_f64 v[50:51], v[46:47], -v[38:39]
	v_add_f64 v[14:15], v[14:15], -v[42:43]
	s_delay_alu instid0(VALU_DEP_4) | instskip(NEXT) | instid1(VALU_DEP_3)
	v_fma_f64 v[34:35], v[36:37], v[34:35], s[70:71]
	v_add_f64 v[52:53], v[46:47], -v[50:51]
	v_add_f64 v[42:43], v[44:45], -v[50:51]
	s_delay_alu instid0(VALU_DEP_4) | instskip(NEXT) | instid1(VALU_DEP_4)
	v_add_f64 v[44:45], v[40:41], v[14:15]
	v_fma_f64 v[34:35], v[36:37], v[34:35], s[72:73]
	s_delay_alu instid0(VALU_DEP_4) | instskip(NEXT) | instid1(VALU_DEP_2)
	v_add_f64 v[38:39], v[38:39], -v[52:53]
	v_fma_f64 v[34:35], v[36:37], v[34:35], s[74:75]
	s_delay_alu instid0(VALU_DEP_2) | instskip(SKIP_1) | instid1(VALU_DEP_3)
	v_add_f64 v[38:39], v[42:43], v[38:39]
	v_add_f64 v[42:43], v[44:45], -v[40:41]
	v_fma_f64 v[34:35], v[36:37], v[34:35], s[76:77]
	s_delay_alu instid0(VALU_DEP_3) | instskip(NEXT) | instid1(VALU_DEP_3)
	v_add_f64 v[38:39], v[44:45], v[38:39]
	v_add_f64 v[44:45], v[44:45], -v[42:43]
	v_add_f64 v[14:15], v[14:15], -v[42:43]
	s_delay_alu instid0(VALU_DEP_4) | instskip(NEXT) | instid1(VALU_DEP_4)
	v_fma_f64 v[34:35], v[36:37], v[34:35], s[78:79]
	v_add_f64 v[48:49], v[46:47], v[38:39]
	s_delay_alu instid0(VALU_DEP_2) | instskip(SKIP_1) | instid1(VALU_DEP_3)
	v_mul_f64 v[34:35], v[36:37], v[34:35]
	v_add_f64 v[36:37], v[40:41], -v[44:45]
	v_add_f64 v[40:41], v[48:49], -v[46:47]
	s_delay_alu instid0(VALU_DEP_3) | instskip(NEXT) | instid1(VALU_DEP_3)
	v_fma_f64 v[30:31], v[30:31], v[34:35], v[30:31]
	v_add_f64 v[14:15], v[14:15], v[36:37]
	s_delay_alu instid0(VALU_DEP_3) | instskip(NEXT) | instid1(VALU_DEP_3)
	v_add_f64 v[34:35], v[38:39], -v[40:41]
	v_add_f64 v[36:37], -v[30:31], s[80:81]
	s_delay_alu instid0(VALU_DEP_2) | instskip(NEXT) | instid1(VALU_DEP_2)
	v_add_f64 v[14:15], v[14:15], v[34:35]
	v_cndmask_b32_e64 v31, v31, v37, s0
	s_delay_alu instid0(VALU_DEP_3) | instskip(NEXT) | instid1(VALU_DEP_1)
	v_cndmask_b32_e64 v30, v30, v36, s0
                                        ; implicit-def: $vgpr36_vgpr37
	v_add_f64 v[34:35], -v[30:31], s[10:11]
	v_and_b32_e32 v16, 0x54442d18, v8
	v_and_b32_e32 v8, 0x400921fb, v8
	v_add_f64 v[14:15], v[48:49], v[14:15]
	s_delay_alu instid0(VALU_DEP_4) | instskip(NEXT) | instid1(VALU_DEP_1)
	v_cndmask_b32_e32 v19, v30, v34, vcc_lo
	v_cndmask_b32_e64 v16, v19, v16, s1
	s_delay_alu instid0(VALU_DEP_3) | instskip(SKIP_4) | instid1(VALU_DEP_3)
	v_mul_f64 v[2:3], v[14:15], 0.5
	v_cndmask_b32_e32 v15, v31, v35, vcc_lo
	v_cndmask_b32_e32 v14, 0x3fe921fb, v55, vcc_lo
	s_and_b32 vcc_lo, s5, s4
                                        ; implicit-def: $vgpr34_vgpr35
	v_cndmask_b32_e32 v30, v16, v12, vcc_lo
	v_cndmask_b32_e64 v8, v15, v8, s1
	s_delay_alu instid0(VALU_DEP_3) | instskip(NEXT) | instid1(VALU_DEP_1)
	v_bfi_b32 v14, 0x7fffffff, v14, v5
	v_cndmask_b32_e32 v31, v8, v14, vcc_lo
	v_cndmask_b32_e64 v15, 0xfff00000, v3, s2
	v_cndmask_b32_e64 v14, 0, v2, s2
.LBB198_273:                            ;   in Loop: Header=BB198_162 Depth=1
	s_and_not1_saveexec_b32 s99, s3
	s_cbranch_execz .LBB198_277
; %bb.274:                              ;   in Loop: Header=BB198_162 Depth=1
	v_dual_mov_b32 v30, v18 :: v_dual_and_b32 v19, 0x7ffffff8, v37
	v_and_b32_e32 v31, 0x7ffffff8, v35
	s_mov_b32 s91, 0
	s_delay_alu instid0(VALU_DEP_2) | instskip(SKIP_1) | instid1(VALU_DEP_3)
	v_add_f64 v[14:15], v[36:37], -v[18:19]
	v_mov_b32_e32 v36, v18
	v_add_f64 v[32:33], v[34:35], -v[30:31]
	v_mov_b32_e32 v38, v18
	v_add_f64 v[40:41], v[18:19], v[18:19]
	v_add_f64 v[48:49], v[30:31], v[30:31]
	v_mul_f64 v[34:35], v[30:31], v[30:31]
	v_and_b32_e32 v37, -8, v15
	v_and_b32_e32 v39, -8, v33
	s_delay_alu instid0(VALU_DEP_2) | instskip(SKIP_1) | instid1(VALU_DEP_3)
	v_add_f64 v[50:51], v[14:15], -v[36:37]
	v_add_f64 v[56:57], v[36:37], v[36:37]
	v_add_f64 v[52:53], v[32:33], -v[38:39]
	v_add_f64 v[58:59], v[38:39], v[38:39]
	v_mul_f64 v[14:15], v[18:19], v[18:19]
	v_mul_f64 v[46:47], v[40:41], v[36:37]
	;; [unrolled: 1-line block ×11, first 2 shown]
.LBB198_275:                            ;   Parent Loop BB198_162 Depth=1
                                        ; =>  This Inner Loop Header: Depth=2
	v_cmp_nlt_f64_e32 vcc_lo, v[14:15], v[34:35]
	v_dual_cndmask_b32 v53, v15, v35 :: v_dual_cndmask_b32 v52, v14, v34
	v_dual_cndmask_b32 v15, v35, v15 :: v_dual_cndmask_b32 v14, v34, v14
	s_delay_alu instid0(VALU_DEP_2) | instskip(NEXT) | instid1(VALU_DEP_1)
	v_cmp_nlt_f64_e64 s1, v[52:53], v[46:47]
	v_cndmask_b32_e64 v57, v53, v47, s1
	v_cndmask_b32_e64 v56, v52, v46, s1
	;; [unrolled: 1-line block ×4, first 2 shown]
	s_and_b32 s1, vcc_lo, s1
	s_delay_alu instid0(VALU_DEP_3) | instskip(NEXT) | instid1(VALU_DEP_1)
	v_cmp_nlt_f64_e64 s2, v[56:57], v[32:33]
	v_cndmask_b32_e64 v59, v57, v33, s2
	v_cndmask_b32_e64 v58, v56, v32, s2
	;; [unrolled: 1-line block ×4, first 2 shown]
	s_delay_alu instid0(VALU_DEP_3) | instskip(NEXT) | instid1(VALU_DEP_1)
	v_cmp_nlt_f64_e64 s3, v[58:59], v[44:45]
	v_cndmask_b32_e64 v61, v59, v45, s3
	v_cndmask_b32_e64 v60, v58, v44, s3
	;; [unrolled: 1-line block ×4, first 2 shown]
	s_and_b32 s2, s2, s3
	s_delay_alu instid0(VALU_DEP_3) | instskip(NEXT) | instid1(VALU_DEP_1)
	v_cmp_nlt_f64_e64 s4, v[60:61], v[30:31]
	v_cndmask_b32_e64 v63, v61, v31, s4
	v_cndmask_b32_e64 v62, v60, v30, s4
	;; [unrolled: 1-line block ×4, first 2 shown]
	s_delay_alu instid0(VALU_DEP_3) | instskip(NEXT) | instid1(VALU_DEP_1)
	v_cmp_nlt_f64_e64 s5, v[62:63], v[42:43]
	v_cndmask_b32_e64 v65, v63, v43, s5
	v_cndmask_b32_e64 v64, v62, v42, s5
	s_and_b32 s3, s4, s5
	v_cndmask_b32_e64 v31, v43, v63, s5
	v_cndmask_b32_e64 v30, v42, v62, s5
	s_delay_alu instid0(VALU_DEP_3) | instskip(NEXT) | instid1(VALU_DEP_1)
	v_cmp_nlt_f64_e64 s6, v[64:65], v[40:41]
	v_cndmask_b32_e64 v67, v65, v41, s6
	v_cndmask_b32_e64 v66, v64, v40, s6
	s_and_b32 s3, s3, s6
	v_cndmask_b32_e64 v43, v41, v65, s6
	v_cndmask_b32_e64 v42, v40, v64, s6
	;; [unrolled: 7-line block ×5, first 2 shown]
	s_delay_alu instid0(VALU_DEP_3) | instskip(NEXT) | instid1(VALU_DEP_1)
	v_cmp_nlt_f64_e64 s10, v[72:73], v[50:51]
	v_cndmask_b32_e64 v53, v73, v51, s10
	v_cndmask_b32_e64 v52, v72, v50, s10
	s_and_b32 s3, s3, s10
	v_cndmask_b32_e64 v49, v51, v73, s10
	s_and_b32 s2, s3, s2
	;; [unrolled: 2-line block ×3, first 2 shown]
	v_dual_mov_b32 v50, v52 :: v_dual_mov_b32 v51, v53
	s_and_b32 s1, exec_lo, s1
	s_delay_alu instid0(SALU_CYCLE_1) | instskip(NEXT) | instid1(SALU_CYCLE_1)
	s_or_b32 s91, s1, s91
	s_and_not1_b32 exec_lo, exec_lo, s91
	s_cbranch_execnz .LBB198_275
; %bb.276:                              ;   in Loop: Header=BB198_162 Depth=1
	s_or_b32 exec_lo, exec_lo, s91
	v_add_f64 v[14:15], v[14:15], -1.0
	s_mov_b32 s91, s21
	s_mov_b32 s10, s80
	v_cmp_gt_i32_e64 s1, 0, v3
	v_cmp_class_f64_e64 s3, v[2:3], 0x204
	v_cmp_class_f64_e64 s2, v[4:5], 0x204
	s_delay_alu instid0(VALU_DEP_4) | instskip(NEXT) | instid1(VALU_DEP_1)
	v_add_f64 v[14:15], v[14:15], v[34:35]
	v_add_f64 v[14:15], v[14:15], v[46:47]
	s_delay_alu instid0(VALU_DEP_1) | instskip(NEXT) | instid1(VALU_DEP_1)
	v_add_f64 v[14:15], v[14:15], v[32:33]
	v_add_f64 v[14:15], v[14:15], v[44:45]
	s_delay_alu instid0(VALU_DEP_1) | instskip(NEXT) | instid1(VALU_DEP_1)
	;; [unrolled: 3-line block ×5, first 2 shown]
	v_add_f64 v[15:16], v[52:53], v[14:15]
	v_add_f64 v[30:31], v[15:16], 1.0
	s_delay_alu instid0(VALU_DEP_1) | instskip(SKIP_2) | instid1(VALU_DEP_3)
	v_frexp_mant_f64_e32 v[32:33], v[30:31]
	v_frexp_exp_i32_f64_e32 v8, v[30:31]
	v_add_f64 v[34:35], v[30:31], -1.0
	v_cmp_gt_f64_e32 vcc_lo, s[20:21], v[32:33]
	s_delay_alu instid0(VALU_DEP_2) | instskip(SKIP_2) | instid1(VALU_DEP_3)
	v_add_f64 v[32:33], v[34:35], -v[30:31]
	v_add_f64 v[34:35], v[15:16], -v[34:35]
	v_subrev_co_ci_u32_e32 v8, vcc_lo, 0, v8, vcc_lo
	v_add_f64 v[32:33], v[32:33], 1.0
	s_delay_alu instid0(VALU_DEP_2) | instskip(NEXT) | instid1(VALU_DEP_1)
	v_sub_nc_u32_e32 v12, 0, v8
	v_ldexp_f64 v[30:31], v[30:31], v12
	s_delay_alu instid0(VALU_DEP_3) | instskip(NEXT) | instid1(VALU_DEP_2)
	v_add_f64 v[32:33], v[34:35], v[32:33]
	v_add_f64 v[36:37], v[30:31], 1.0
	v_add_f64 v[42:43], v[30:31], -1.0
	s_delay_alu instid0(VALU_DEP_3) | instskip(SKIP_1) | instid1(VALU_DEP_4)
	v_ldexp_f64 v[32:33], v[32:33], v12
	v_cndmask_b32_e64 v12, 0x54442d18, v54, s1
	v_add_f64 v[34:35], v[36:37], -1.0
	s_delay_alu instid0(VALU_DEP_4) | instskip(NEXT) | instid1(VALU_DEP_2)
	v_add_f64 v[44:45], v[42:43], 1.0
	v_add_f64 v[34:35], v[30:31], -v[34:35]
	s_delay_alu instid0(VALU_DEP_2) | instskip(NEXT) | instid1(VALU_DEP_2)
	v_add_f64 v[30:31], v[30:31], -v[44:45]
	v_add_f64 v[34:35], v[32:33], v[34:35]
	s_delay_alu instid0(VALU_DEP_2) | instskip(NEXT) | instid1(VALU_DEP_2)
	v_add_f64 v[30:31], v[32:33], v[30:31]
	v_add_f64 v[38:39], v[36:37], v[34:35]
	s_delay_alu instid0(VALU_DEP_2) | instskip(NEXT) | instid1(VALU_DEP_2)
	v_add_f64 v[44:45], v[42:43], v[30:31]
	v_rcp_f64_e32 v[40:41], v[38:39]
	v_add_f64 v[36:37], v[38:39], -v[36:37]
	s_delay_alu instid0(VALU_DEP_2) | instskip(NEXT) | instid1(VALU_DEP_2)
	v_add_f64 v[42:43], v[44:45], -v[42:43]
	v_add_f64 v[34:35], v[34:35], -v[36:37]
	s_waitcnt_depctr 0xfff
	v_fma_f64 v[46:47], -v[38:39], v[40:41], 1.0
	v_add_f64 v[30:31], v[30:31], -v[42:43]
	s_delay_alu instid0(VALU_DEP_2) | instskip(NEXT) | instid1(VALU_DEP_1)
	v_fma_f64 v[40:41], v[46:47], v[40:41], v[40:41]
	v_fma_f64 v[32:33], -v[38:39], v[40:41], 1.0
	s_delay_alu instid0(VALU_DEP_1) | instskip(NEXT) | instid1(VALU_DEP_1)
	v_fma_f64 v[32:33], v[32:33], v[40:41], v[40:41]
	v_mul_f64 v[40:41], v[44:45], v[32:33]
	s_delay_alu instid0(VALU_DEP_1) | instskip(NEXT) | instid1(VALU_DEP_1)
	v_mul_f64 v[46:47], v[38:39], v[40:41]
	v_fma_f64 v[36:37], v[40:41], v[38:39], -v[46:47]
	s_delay_alu instid0(VALU_DEP_1) | instskip(NEXT) | instid1(VALU_DEP_1)
	v_fma_f64 v[36:37], v[40:41], v[34:35], v[36:37]
	v_add_f64 v[48:49], v[46:47], v[36:37]
	s_delay_alu instid0(VALU_DEP_1) | instskip(SKIP_2) | instid1(VALU_DEP_3)
	v_add_f64 v[50:51], v[44:45], -v[48:49]
	v_add_f64 v[42:43], v[48:49], -v[46:47]
	v_max_f64 v[46:47], |v[4:5]|, |v[4:5]|
	v_add_f64 v[44:45], v[44:45], -v[50:51]
	s_delay_alu instid0(VALU_DEP_3) | instskip(NEXT) | instid1(VALU_DEP_2)
	v_add_f64 v[36:37], v[42:43], -v[36:37]
	v_add_f64 v[44:45], v[44:45], -v[48:49]
	v_max_f64 v[48:49], |v[2:3]|, |v[2:3]|
	v_cndmask_b32_e64 v2, 0x3fe921fb, v55, s1
	s_delay_alu instid0(VALU_DEP_1) | instskip(NEXT) | instid1(VALU_DEP_4)
	v_bfi_b32 v2, 0x7fffffff, v2, v5
	v_add_f64 v[30:31], v[30:31], v[44:45]
	s_delay_alu instid0(VALU_DEP_4) | instskip(SKIP_1) | instid1(VALU_DEP_3)
	v_max_f64 v[52:53], v[48:49], v[46:47]
	v_min_f64 v[46:47], v[48:49], v[46:47]
	v_add_f64 v[30:31], v[36:37], v[30:31]
	s_delay_alu instid0(VALU_DEP_1) | instskip(NEXT) | instid1(VALU_DEP_1)
	v_add_f64 v[36:37], v[50:51], v[30:31]
	v_mul_f64 v[42:43], v[32:33], v[36:37]
	v_add_f64 v[50:51], v[50:51], -v[36:37]
	s_delay_alu instid0(VALU_DEP_2) | instskip(NEXT) | instid1(VALU_DEP_2)
	v_mul_f64 v[44:45], v[38:39], v[42:43]
	v_add_f64 v[30:31], v[30:31], v[50:51]
	s_delay_alu instid0(VALU_DEP_2) | instskip(NEXT) | instid1(VALU_DEP_1)
	v_fma_f64 v[38:39], v[42:43], v[38:39], -v[44:45]
	v_fma_f64 v[34:35], v[42:43], v[34:35], v[38:39]
	v_div_scale_f64 v[38:39], null, v[52:53], v[52:53], v[46:47]
	s_delay_alu instid0(VALU_DEP_2) | instskip(NEXT) | instid1(VALU_DEP_2)
	v_add_f64 v[48:49], v[44:45], v[34:35]
	v_rcp_f64_e32 v[56:57], v[38:39]
	s_delay_alu instid0(VALU_DEP_1)
	v_add_f64 v[58:59], v[36:37], -v[48:49]
	v_add_f64 v[44:45], v[48:49], -v[44:45]
	s_waitcnt_depctr 0xfff
	v_fma_f64 v[60:61], -v[38:39], v[56:57], 1.0
	v_add_f64 v[36:37], v[36:37], -v[58:59]
	v_add_f64 v[34:35], v[44:45], -v[34:35]
	s_delay_alu instid0(VALU_DEP_3) | instskip(NEXT) | instid1(VALU_DEP_3)
	v_fma_f64 v[56:57], v[56:57], v[60:61], v[56:57]
	v_add_f64 v[36:37], v[36:37], -v[48:49]
	s_delay_alu instid0(VALU_DEP_2) | instskip(NEXT) | instid1(VALU_DEP_2)
	v_fma_f64 v[48:49], -v[38:39], v[56:57], 1.0
	v_add_f64 v[30:31], v[30:31], v[36:37]
	v_div_scale_f64 v[36:37], vcc_lo, v[46:47], v[52:53], v[46:47]
	s_delay_alu instid0(VALU_DEP_3) | instskip(SKIP_1) | instid1(VALU_DEP_4)
	v_fma_f64 v[44:45], v[56:57], v[48:49], v[56:57]
	v_add_f64 v[48:49], v[40:41], v[42:43]
	v_add_f64 v[30:31], v[34:35], v[30:31]
	s_delay_alu instid0(VALU_DEP_3) | instskip(NEXT) | instid1(VALU_DEP_3)
	v_mul_f64 v[34:35], v[36:37], v[44:45]
	v_add_f64 v[40:41], v[48:49], -v[40:41]
	s_delay_alu instid0(VALU_DEP_3) | instskip(NEXT) | instid1(VALU_DEP_3)
	v_add_f64 v[30:31], v[58:59], v[30:31]
	v_fma_f64 v[36:37], -v[38:39], v[34:35], v[36:37]
	s_delay_alu instid0(VALU_DEP_3) | instskip(NEXT) | instid1(VALU_DEP_3)
	v_add_f64 v[38:39], v[42:43], -v[40:41]
	v_mul_f64 v[30:31], v[32:33], v[30:31]
	s_delay_alu instid0(VALU_DEP_3) | instskip(SKIP_1) | instid1(VALU_DEP_3)
	v_div_fmas_f64 v[32:33], v[36:37], v[44:45], v[34:35]
	v_cmp_eq_f64_e32 vcc_lo, 0x7ff00000, v[15:16]
	v_add_f64 v[30:31], v[38:39], v[30:31]
	s_delay_alu instid0(VALU_DEP_3) | instskip(NEXT) | instid1(VALU_DEP_2)
	v_div_fixup_f64 v[32:33], v[32:33], v[52:53], v[46:47]
	v_add_f64 v[34:35], v[48:49], v[30:31]
	s_delay_alu instid0(VALU_DEP_2) | instskip(NEXT) | instid1(VALU_DEP_2)
	v_mul_f64 v[36:37], v[32:33], v[32:33]
	v_mul_f64 v[38:39], v[34:35], v[34:35]
	s_delay_alu instid0(VALU_DEP_2) | instskip(NEXT) | instid1(VALU_DEP_2)
	v_fma_f64 v[40:41], v[36:37], s[42:43], s[40:41]
	v_fma_f64 v[42:43], v[38:39], s[24:25], s[22:23]
	v_mul_f64 v[44:45], v[34:35], v[38:39]
	s_delay_alu instid0(VALU_DEP_3) | instskip(NEXT) | instid1(VALU_DEP_3)
	v_fma_f64 v[40:41], v[36:37], v[40:41], s[44:45]
	v_fma_f64 v[42:43], v[38:39], v[42:43], s[26:27]
	s_delay_alu instid0(VALU_DEP_2) | instskip(NEXT) | instid1(VALU_DEP_2)
	v_fma_f64 v[40:41], v[36:37], v[40:41], s[46:47]
	v_fma_f64 v[42:43], v[38:39], v[42:43], s[28:29]
	s_delay_alu instid0(VALU_DEP_2) | instskip(NEXT) | instid1(VALU_DEP_2)
	;; [unrolled: 3-line block ×4, first 2 shown]
	v_fma_f64 v[40:41], v[36:37], v[40:41], s[52:53]
	v_fma_f64 v[38:39], v[38:39], v[42:43], s[90:91]
	v_ldexp_f64 v[42:43], v[34:35], 1
	v_add_f64 v[34:35], v[34:35], -v[48:49]
	s_delay_alu instid0(VALU_DEP_4) | instskip(NEXT) | instid1(VALU_DEP_4)
	v_fma_f64 v[40:41], v[36:37], v[40:41], s[54:55]
	v_mul_f64 v[38:39], v[44:45], v[38:39]
	v_cvt_f64_i32_e32 v[44:45], v8
	s_delay_alu instid0(VALU_DEP_4) | instskip(NEXT) | instid1(VALU_DEP_4)
	v_add_f64 v[30:31], v[30:31], -v[34:35]
	v_fma_f64 v[40:41], v[36:37], v[40:41], s[56:57]
	v_ashrrev_i32_e32 v8, 31, v3
	s_delay_alu instid0(VALU_DEP_1) | instskip(SKIP_4) | instid1(VALU_DEP_4)
	v_and_b32_e32 v3, 0x400921fb, v8
	v_add_f64 v[46:47], v[42:43], v[38:39]
	v_mul_f64 v[48:49], v[44:45], s[36:37]
	v_ldexp_f64 v[30:31], v[30:31], 1
	v_fma_f64 v[40:41], v[36:37], v[40:41], s[58:59]
	v_add_f64 v[34:35], v[46:47], -v[42:43]
	s_delay_alu instid0(VALU_DEP_4) | instskip(NEXT) | instid1(VALU_DEP_3)
	v_fma_f64 v[42:43], v[44:45], s[36:37], -v[48:49]
	v_fma_f64 v[40:41], v[36:37], v[40:41], s[60:61]
	s_delay_alu instid0(VALU_DEP_3) | instskip(NEXT) | instid1(VALU_DEP_2)
	v_add_f64 v[34:35], v[38:39], -v[34:35]
	v_fma_f64 v[38:39], v[36:37], v[40:41], s[62:63]
	s_delay_alu instid0(VALU_DEP_4) | instskip(NEXT) | instid1(VALU_DEP_3)
	v_fma_f64 v[40:41], v[44:45], s[38:39], v[42:43]
	v_add_f64 v[30:31], v[30:31], v[34:35]
	s_delay_alu instid0(VALU_DEP_3) | instskip(NEXT) | instid1(VALU_DEP_3)
	v_fma_f64 v[34:35], v[36:37], v[38:39], s[64:65]
	v_add_f64 v[38:39], v[48:49], v[40:41]
	s_delay_alu instid0(VALU_DEP_3) | instskip(NEXT) | instid1(VALU_DEP_3)
	v_add_f64 v[42:43], v[46:47], v[30:31]
	v_fma_f64 v[34:35], v[36:37], v[34:35], s[66:67]
	s_delay_alu instid0(VALU_DEP_3) | instskip(NEXT) | instid1(VALU_DEP_3)
	v_add_f64 v[48:49], v[38:39], -v[48:49]
	v_add_f64 v[44:45], v[38:39], v[42:43]
	v_add_f64 v[46:47], v[42:43], -v[46:47]
	s_delay_alu instid0(VALU_DEP_4) | instskip(NEXT) | instid1(VALU_DEP_4)
	v_fma_f64 v[34:35], v[36:37], v[34:35], s[68:69]
	v_add_f64 v[40:41], v[40:41], -v[48:49]
	s_delay_alu instid0(VALU_DEP_4) | instskip(NEXT) | instid1(VALU_DEP_4)
	v_add_f64 v[50:51], v[44:45], -v[38:39]
	v_add_f64 v[30:31], v[30:31], -v[46:47]
	s_delay_alu instid0(VALU_DEP_4) | instskip(NEXT) | instid1(VALU_DEP_3)
	v_fma_f64 v[34:35], v[36:37], v[34:35], s[70:71]
	v_add_f64 v[52:53], v[44:45], -v[50:51]
	v_add_f64 v[42:43], v[42:43], -v[50:51]
	s_delay_alu instid0(VALU_DEP_4) | instskip(NEXT) | instid1(VALU_DEP_4)
	v_add_f64 v[46:47], v[40:41], v[30:31]
	v_fma_f64 v[34:35], v[36:37], v[34:35], s[72:73]
	s_delay_alu instid0(VALU_DEP_4) | instskip(NEXT) | instid1(VALU_DEP_2)
	v_add_f64 v[38:39], v[38:39], -v[52:53]
	v_fma_f64 v[34:35], v[36:37], v[34:35], s[74:75]
	s_delay_alu instid0(VALU_DEP_2) | instskip(SKIP_1) | instid1(VALU_DEP_3)
	v_add_f64 v[38:39], v[42:43], v[38:39]
	v_add_f64 v[42:43], v[46:47], -v[40:41]
	v_fma_f64 v[34:35], v[36:37], v[34:35], s[76:77]
	s_delay_alu instid0(VALU_DEP_3) | instskip(NEXT) | instid1(VALU_DEP_3)
	v_add_f64 v[38:39], v[46:47], v[38:39]
	v_add_f64 v[46:47], v[46:47], -v[42:43]
	v_add_f64 v[30:31], v[30:31], -v[42:43]
	s_delay_alu instid0(VALU_DEP_4) | instskip(NEXT) | instid1(VALU_DEP_4)
	v_fma_f64 v[34:35], v[36:37], v[34:35], s[78:79]
	v_add_f64 v[48:49], v[44:45], v[38:39]
	s_delay_alu instid0(VALU_DEP_2) | instskip(SKIP_1) | instid1(VALU_DEP_3)
	v_mul_f64 v[34:35], v[36:37], v[34:35]
	v_add_f64 v[36:37], v[40:41], -v[46:47]
	v_add_f64 v[40:41], v[48:49], -v[44:45]
	s_delay_alu instid0(VALU_DEP_3) | instskip(NEXT) | instid1(VALU_DEP_3)
	v_fma_f64 v[32:33], v[32:33], v[34:35], v[32:33]
	v_add_f64 v[30:31], v[30:31], v[36:37]
	s_delay_alu instid0(VALU_DEP_3) | instskip(NEXT) | instid1(VALU_DEP_3)
	v_add_f64 v[34:35], v[38:39], -v[40:41]
	v_add_f64 v[36:37], -v[32:33], s[80:81]
	s_delay_alu instid0(VALU_DEP_2) | instskip(NEXT) | instid1(VALU_DEP_2)
	v_add_f64 v[30:31], v[30:31], v[34:35]
	v_cndmask_b32_e64 v33, v33, v37, s0
	s_delay_alu instid0(VALU_DEP_3) | instskip(NEXT) | instid1(VALU_DEP_1)
	v_cndmask_b32_e64 v32, v32, v36, s0
	v_add_f64 v[34:35], -v[32:33], s[10:11]
	s_delay_alu instid0(VALU_DEP_4) | instskip(NEXT) | instid1(VALU_DEP_2)
	v_add_f64 v[30:31], v[48:49], v[30:31]
	v_cndmask_b32_e64 v19, v32, v34, s1
	s_delay_alu instid0(VALU_DEP_2)
	v_dual_cndmask_b32 v31, v31, v16 :: v_dual_cndmask_b32 v30, v30, v15
	v_cmp_eq_f64_e32 vcc_lo, 0, v[4:5]
	v_and_b32_e32 v14, 0x54442d18, v8
	v_cndmask_b32_e64 v8, v33, v35, s1
	v_cmp_nge_f64_e64 s1, -1.0, v[15:16]
	v_mul_f64 v[30:31], v[30:31], 0.5
	s_delay_alu instid0(VALU_DEP_3) | instskip(SKIP_2) | instid1(VALU_DEP_4)
	v_cndmask_b32_e32 v3, v8, v3, vcc_lo
	v_cndmask_b32_e32 v19, v19, v14, vcc_lo
	v_cmp_ngt_f64_e32 vcc_lo, -1.0, v[15:16]
	v_cndmask_b32_e64 v14, 0, v30, s1
	v_cmp_neq_f64_e64 s1, -1.0, v[15:16]
	v_cndmask_b32_e32 v8, 0x7ff80000, v31, vcc_lo
	s_and_b32 vcc_lo, s3, s2
	v_cndmask_b32_e32 v31, v3, v2, vcc_lo
	v_cndmask_b32_e32 v30, v19, v12, vcc_lo
	s_delay_alu instid0(VALU_DEP_3)
	v_cndmask_b32_e64 v15, 0xfff00000, v8, s1
.LBB198_277:                            ;   in Loop: Header=BB198_162 Depth=1
	s_or_b32 exec_lo, exec_lo, s99
.LBB198_278:                            ;   in Loop: Header=BB198_162 Depth=1
	s_delay_alu instid0(SALU_CYCLE_1)
	s_or_b32 exec_lo, exec_lo, s98
.LBB198_279:                            ;   in Loop: Header=BB198_162 Depth=1
	s_and_not1_saveexec_b32 s3, s97
	s_cbranch_execz .LBB198_281
; %bb.280:                              ;   in Loop: Header=BB198_162 Depth=1
	v_max_f64 v[14:15], |v[4:5]|, |v[4:5]|
	v_max_f64 v[30:31], |v[2:3]|, |v[2:3]|
	v_cmp_class_f64_e64 s4, v[2:3], 0x204
	v_cmp_class_f64_e64 s5, v[4:5], 0x204
	s_mov_b32 s91, s21
	s_mov_b32 s10, s80
	v_cmp_eq_f64_e64 s2, 0, v[4:5]
	s_delay_alu instid0(VALU_DEP_4) | instskip(SKIP_1) | instid1(VALU_DEP_4)
	v_max_f64 v[32:33], v[30:31], v[14:15]
	v_min_f64 v[14:15], v[30:31], v[14:15]
	s_or_b32 s6, s4, s5
	s_delay_alu instid0(VALU_DEP_2) | instskip(NEXT) | instid1(VALU_DEP_1)
	v_frexp_exp_i32_f64_e32 v8, v[32:33]
	v_sub_nc_u32_e32 v12, 0, v8
	s_delay_alu instid0(VALU_DEP_1) | instskip(SKIP_1) | instid1(VALU_DEP_2)
	v_ldexp_f64 v[34:35], |v[4:5]|, v12
	v_ldexp_f64 v[36:37], |v[2:3]|, v12
	v_mul_f64 v[34:35], v[34:35], v[34:35]
	s_delay_alu instid0(VALU_DEP_1) | instskip(NEXT) | instid1(VALU_DEP_1)
	v_fma_f64 v[34:35], v[36:37], v[36:37], v[34:35]
	v_rsq_f64_e32 v[36:37], v[34:35]
	v_cmp_eq_f64_e32 vcc_lo, 0, v[34:35]
	s_waitcnt_depctr 0xfff
	v_mul_f64 v[38:39], v[34:35], v[36:37]
	v_mul_f64 v[36:37], v[36:37], 0.5
	s_delay_alu instid0(VALU_DEP_1) | instskip(NEXT) | instid1(VALU_DEP_1)
	v_fma_f64 v[40:41], -v[36:37], v[38:39], 0.5
	v_fma_f64 v[38:39], v[38:39], v[40:41], v[38:39]
	v_fma_f64 v[36:37], v[36:37], v[40:41], v[36:37]
	s_delay_alu instid0(VALU_DEP_2) | instskip(NEXT) | instid1(VALU_DEP_1)
	v_fma_f64 v[40:41], -v[38:39], v[38:39], v[34:35]
	v_fma_f64 v[36:37], v[40:41], v[36:37], v[38:39]
	s_delay_alu instid0(VALU_DEP_1) | instskip(SKIP_1) | instid1(VALU_DEP_2)
	v_dual_cndmask_b32 v35, v37, v35 :: v_dual_cndmask_b32 v34, v36, v34
	v_div_scale_f64 v[58:59], vcc_lo, v[14:15], v[32:33], v[14:15]
	v_ldexp_f64 v[34:35], v[34:35], v8
	s_delay_alu instid0(VALU_DEP_1) | instskip(NEXT) | instid1(VALU_DEP_2)
	v_cndmask_b32_e64 v37, v35, 0x7ff00000, s6
	v_cndmask_b32_e64 v36, v34, 0, s6
	s_delay_alu instid0(VALU_DEP_1) | instskip(SKIP_1) | instid1(VALU_DEP_2)
	v_frexp_mant_f64_e32 v[38:39], v[36:37]
	v_frexp_exp_i32_f64_e32 v2, v[36:37]
	v_cmp_gt_f64_e64 s1, s[20:21], v[38:39]
	s_delay_alu instid0(VALU_DEP_1) | instskip(NEXT) | instid1(VALU_DEP_1)
	v_cndmask_b32_e64 v19, 0x3ff00000, 2.0, s1
	v_mul_f64 v[38:39], v[38:39], v[18:19]
	s_delay_alu instid0(VALU_DEP_1) | instskip(SKIP_1) | instid1(VALU_DEP_2)
	v_add_f64 v[40:41], v[38:39], 1.0
	v_add_f64 v[46:47], v[38:39], -1.0
	v_rcp_f64_e32 v[42:43], v[40:41]
	v_add_f64 v[48:49], v[40:41], -1.0
	s_delay_alu instid0(VALU_DEP_1) | instskip(SKIP_2) | instid1(VALU_DEP_1)
	v_add_f64 v[38:39], v[38:39], -v[48:49]
	s_waitcnt_depctr 0xfff
	v_fma_f64 v[44:45], -v[40:41], v[42:43], 1.0
	v_fma_f64 v[42:43], v[44:45], v[42:43], v[42:43]
	s_delay_alu instid0(VALU_DEP_1) | instskip(NEXT) | instid1(VALU_DEP_1)
	v_fma_f64 v[44:45], -v[40:41], v[42:43], 1.0
	v_fma_f64 v[42:43], v[44:45], v[42:43], v[42:43]
	v_div_scale_f64 v[44:45], null, v[32:33], v[32:33], v[14:15]
	s_delay_alu instid0(VALU_DEP_2) | instskip(NEXT) | instid1(VALU_DEP_2)
	v_mul_f64 v[30:31], v[46:47], v[42:43]
	v_rcp_f64_e32 v[52:53], v[44:45]
	s_delay_alu instid0(VALU_DEP_1) | instskip(SKIP_3) | instid1(VALU_DEP_1)
	v_mul_f64 v[50:51], v[40:41], v[30:31]
	s_waitcnt_depctr 0xfff
	v_fma_f64 v[48:49], -v[44:45], v[52:53], 1.0
	v_fma_f64 v[40:41], v[30:31], v[40:41], -v[50:51]
	v_fma_f64 v[38:39], v[30:31], v[38:39], v[40:41]
	s_delay_alu instid0(VALU_DEP_3) | instskip(NEXT) | instid1(VALU_DEP_2)
	v_fma_f64 v[40:41], v[52:53], v[48:49], v[52:53]
	v_add_f64 v[48:49], v[50:51], v[38:39]
	s_delay_alu instid0(VALU_DEP_2) | instskip(NEXT) | instid1(VALU_DEP_2)
	v_fma_f64 v[52:53], -v[44:45], v[40:41], 1.0
	v_add_f64 v[56:57], v[46:47], -v[48:49]
	s_delay_alu instid0(VALU_DEP_2) | instskip(SKIP_1) | instid1(VALU_DEP_3)
	v_fma_f64 v[40:41], v[40:41], v[52:53], v[40:41]
	v_add_f64 v[50:51], v[48:49], -v[50:51]
	v_add_f64 v[46:47], v[46:47], -v[56:57]
	s_delay_alu instid0(VALU_DEP_3) | instskip(NEXT) | instid1(VALU_DEP_3)
	v_mul_f64 v[52:53], v[58:59], v[40:41]
	v_add_f64 v[38:39], v[50:51], -v[38:39]
	s_delay_alu instid0(VALU_DEP_3) | instskip(NEXT) | instid1(VALU_DEP_3)
	v_add_f64 v[46:47], v[46:47], -v[48:49]
	v_fma_f64 v[44:45], -v[44:45], v[52:53], v[58:59]
	s_delay_alu instid0(VALU_DEP_2) | instskip(NEXT) | instid1(VALU_DEP_2)
	v_add_f64 v[38:39], v[38:39], v[46:47]
	v_div_fmas_f64 v[40:41], v[44:45], v[40:41], v[52:53]
	v_subrev_co_ci_u32_e64 v2, vcc_lo, 0, v2, s1
	v_cmp_class_f64_e64 s1, v[34:35], 0x204
	v_cmp_gt_i32_e32 vcc_lo, 0, v3
	v_add_f64 v[38:39], v[56:57], v[38:39]
	v_div_fixup_f64 v[14:15], v[40:41], v[32:33], v[14:15]
	s_delay_alu instid0(VALU_DEP_2) | instskip(NEXT) | instid1(VALU_DEP_2)
	v_mul_f64 v[32:33], v[42:43], v[38:39]
	v_mul_f64 v[38:39], v[14:15], v[14:15]
	s_delay_alu instid0(VALU_DEP_2) | instskip(NEXT) | instid1(VALU_DEP_2)
	v_add_f64 v[40:41], v[30:31], v[32:33]
	v_fma_f64 v[42:43], v[38:39], s[42:43], s[40:41]
	s_delay_alu instid0(VALU_DEP_2) | instskip(NEXT) | instid1(VALU_DEP_2)
	v_mul_f64 v[44:45], v[40:41], v[40:41]
	v_fma_f64 v[42:43], v[38:39], v[42:43], s[44:45]
	v_add_f64 v[30:31], v[40:41], -v[30:31]
	s_delay_alu instid0(VALU_DEP_3) | instskip(NEXT) | instid1(VALU_DEP_3)
	v_fma_f64 v[46:47], v[44:45], s[24:25], s[22:23]
	v_fma_f64 v[42:43], v[38:39], v[42:43], s[46:47]
	v_mul_f64 v[48:49], v[40:41], v[44:45]
	s_delay_alu instid0(VALU_DEP_4) | instskip(NEXT) | instid1(VALU_DEP_4)
	v_add_f64 v[30:31], v[32:33], -v[30:31]
	v_fma_f64 v[46:47], v[44:45], v[46:47], s[26:27]
	s_delay_alu instid0(VALU_DEP_4) | instskip(NEXT) | instid1(VALU_DEP_3)
	v_fma_f64 v[42:43], v[38:39], v[42:43], s[48:49]
	v_ldexp_f64 v[30:31], v[30:31], 1
	s_delay_alu instid0(VALU_DEP_3) | instskip(NEXT) | instid1(VALU_DEP_3)
	v_fma_f64 v[46:47], v[44:45], v[46:47], s[28:29]
	v_fma_f64 v[42:43], v[38:39], v[42:43], s[50:51]
	s_delay_alu instid0(VALU_DEP_2) | instskip(NEXT) | instid1(VALU_DEP_2)
	v_fma_f64 v[46:47], v[44:45], v[46:47], s[30:31]
	v_fma_f64 v[42:43], v[38:39], v[42:43], s[52:53]
	s_delay_alu instid0(VALU_DEP_2) | instskip(NEXT) | instid1(VALU_DEP_2)
	;; [unrolled: 3-line block ×3, first 2 shown]
	v_fma_f64 v[44:45], v[44:45], v[46:47], s[90:91]
	v_fma_f64 v[42:43], v[38:39], v[42:43], s[56:57]
	v_ldexp_f64 v[46:47], v[40:41], 1
	s_delay_alu instid0(VALU_DEP_3) | instskip(NEXT) | instid1(VALU_DEP_3)
	v_mul_f64 v[44:45], v[48:49], v[44:45]
	v_fma_f64 v[42:43], v[38:39], v[42:43], s[58:59]
	v_cvt_f64_i32_e32 v[48:49], v2
	v_ashrrev_i32_e32 v2, 31, v3
	v_cndmask_b32_e32 v3, 0x54442d18, v54, vcc_lo
	v_add_f64 v[40:41], v[46:47], v[44:45]
	v_fma_f64 v[42:43], v[38:39], v[42:43], s[60:61]
	v_mul_f64 v[50:51], v[48:49], s[36:37]
	s_delay_alu instid0(VALU_DEP_3) | instskip(NEXT) | instid1(VALU_DEP_3)
	v_add_f64 v[32:33], v[40:41], -v[46:47]
	v_fma_f64 v[42:43], v[38:39], v[42:43], s[62:63]
	s_delay_alu instid0(VALU_DEP_3) | instskip(NEXT) | instid1(VALU_DEP_3)
	v_fma_f64 v[46:47], v[48:49], s[36:37], -v[50:51]
	v_add_f64 v[32:33], v[44:45], -v[32:33]
	s_delay_alu instid0(VALU_DEP_3) | instskip(NEXT) | instid1(VALU_DEP_3)
	v_fma_f64 v[42:43], v[38:39], v[42:43], s[64:65]
	v_fma_f64 v[44:45], v[48:49], s[38:39], v[46:47]
	s_delay_alu instid0(VALU_DEP_3) | instskip(NEXT) | instid1(VALU_DEP_3)
	v_add_f64 v[30:31], v[30:31], v[32:33]
	v_fma_f64 v[32:33], v[38:39], v[42:43], s[66:67]
	s_delay_alu instid0(VALU_DEP_3) | instskip(NEXT) | instid1(VALU_DEP_3)
	v_add_f64 v[42:43], v[50:51], v[44:45]
	v_add_f64 v[46:47], v[40:41], v[30:31]
	s_delay_alu instid0(VALU_DEP_3) | instskip(NEXT) | instid1(VALU_DEP_3)
	v_fma_f64 v[32:33], v[38:39], v[32:33], s[68:69]
	v_add_f64 v[50:51], v[42:43], -v[50:51]
	s_delay_alu instid0(VALU_DEP_3) | instskip(NEXT) | instid1(VALU_DEP_3)
	v_add_f64 v[48:49], v[42:43], v[46:47]
	v_fma_f64 v[32:33], v[38:39], v[32:33], s[70:71]
	v_add_f64 v[40:41], v[46:47], -v[40:41]
	s_delay_alu instid0(VALU_DEP_4) | instskip(NEXT) | instid1(VALU_DEP_4)
	v_add_f64 v[44:45], v[44:45], -v[50:51]
	v_add_f64 v[52:53], v[48:49], -v[42:43]
	s_delay_alu instid0(VALU_DEP_4) | instskip(NEXT) | instid1(VALU_DEP_4)
	v_fma_f64 v[32:33], v[38:39], v[32:33], s[72:73]
	v_add_f64 v[30:31], v[30:31], -v[40:41]
	s_delay_alu instid0(VALU_DEP_3) | instskip(NEXT) | instid1(VALU_DEP_3)
	v_add_f64 v[56:57], v[48:49], -v[52:53]
	v_fma_f64 v[32:33], v[38:39], v[32:33], s[74:75]
	v_add_f64 v[40:41], v[46:47], -v[52:53]
	s_delay_alu instid0(VALU_DEP_4) | instskip(NEXT) | instid1(VALU_DEP_4)
	v_add_f64 v[46:47], v[44:45], v[30:31]
	v_add_f64 v[42:43], v[42:43], -v[56:57]
	s_delay_alu instid0(VALU_DEP_4) | instskip(NEXT) | instid1(VALU_DEP_2)
	v_fma_f64 v[32:33], v[38:39], v[32:33], s[76:77]
	v_add_f64 v[40:41], v[40:41], v[42:43]
	s_delay_alu instid0(VALU_DEP_2) | instskip(SKIP_1) | instid1(VALU_DEP_3)
	v_fma_f64 v[32:33], v[38:39], v[32:33], s[78:79]
	v_add_f64 v[42:43], v[46:47], -v[44:45]
	v_add_f64 v[40:41], v[46:47], v[40:41]
	s_delay_alu instid0(VALU_DEP_3) | instskip(NEXT) | instid1(VALU_DEP_3)
	v_mul_f64 v[32:33], v[38:39], v[32:33]
	v_add_f64 v[38:39], v[46:47], -v[42:43]
	v_add_f64 v[30:31], v[30:31], -v[42:43]
	s_delay_alu instid0(VALU_DEP_4) | instskip(NEXT) | instid1(VALU_DEP_4)
	v_add_f64 v[46:47], v[48:49], v[40:41]
	v_fma_f64 v[14:15], v[14:15], v[32:33], v[14:15]
	s_delay_alu instid0(VALU_DEP_4) | instskip(NEXT) | instid1(VALU_DEP_3)
	v_add_f64 v[32:33], v[44:45], -v[38:39]
	v_add_f64 v[38:39], v[46:47], -v[48:49]
	s_delay_alu instid0(VALU_DEP_3) | instskip(NEXT) | instid1(VALU_DEP_3)
	v_add_f64 v[42:43], -v[14:15], s[80:81]
	v_add_f64 v[30:31], v[30:31], v[32:33]
	s_delay_alu instid0(VALU_DEP_3) | instskip(NEXT) | instid1(VALU_DEP_3)
	v_add_f64 v[32:33], v[40:41], -v[38:39]
	v_cndmask_b32_e64 v15, v15, v43, s0
	s_delay_alu instid0(VALU_DEP_4) | instskip(NEXT) | instid1(VALU_DEP_3)
	v_cndmask_b32_e64 v14, v14, v42, s0
	v_add_f64 v[30:31], v[30:31], v[32:33]
	s_delay_alu instid0(VALU_DEP_2) | instskip(SKIP_2) | instid1(VALU_DEP_4)
	v_add_f64 v[32:33], -v[14:15], s[10:11]
	v_and_b32_e32 v8, 0x54442d18, v2
	v_and_b32_e32 v2, 0x400921fb, v2
	v_add_f64 v[30:31], v[46:47], v[30:31]
	s_delay_alu instid0(VALU_DEP_4) | instskip(SKIP_2) | instid1(VALU_DEP_3)
	v_dual_cndmask_b32 v15, v15, v33 :: v_dual_cndmask_b32 v12, v14, v32
	v_cndmask_b32_e32 v14, 0x3fe921fb, v55, vcc_lo
	v_cmp_ngt_f64_e32 vcc_lo, 0, v[36:37]
	v_cndmask_b32_e64 v2, v15, v2, s2
	s_delay_alu instid0(VALU_DEP_4) | instskip(NEXT) | instid1(VALU_DEP_4)
	v_cndmask_b32_e64 v8, v12, v8, s2
	v_bfi_b32 v14, 0x7fffffff, v14, v5
	v_cndmask_b32_e64 v16, v31, v35, s1
	v_cndmask_b32_e64 v19, v30, v34, s1
	v_cmp_nge_f64_e64 s1, 0, v[36:37]
	s_delay_alu instid0(VALU_DEP_3) | instskip(NEXT) | instid1(VALU_DEP_3)
	v_cndmask_b32_e64 v16, v16, 0x7ff00000, s6
	v_cndmask_b32_e64 v12, v19, 0, s6
	s_delay_alu instid0(VALU_DEP_2) | instskip(SKIP_2) | instid1(VALU_DEP_3)
	v_cndmask_b32_e32 v15, 0x7ff80000, v16, vcc_lo
	s_and_b32 vcc_lo, s4, s5
	v_dual_cndmask_b32 v31, v2, v14 :: v_dual_cndmask_b32 v30, v8, v3
	v_cndmask_b32_e64 v14, 0, v12, s1
	v_cmp_neq_f64_e64 s1, 0, v[36:37]
	s_delay_alu instid0(VALU_DEP_1)
	v_cndmask_b32_e64 v15, 0xfff00000, v15, s1
.LBB198_281:                            ;   in Loop: Header=BB198_162 Depth=1
	s_or_b32 exec_lo, exec_lo, s3
                                        ; implicit-def: $vgpr34_vgpr35
.LBB198_282:                            ;   in Loop: Header=BB198_162 Depth=1
	s_and_not1_saveexec_b32 s3, s96
	s_cbranch_execz .LBB198_288
; %bb.283:                              ;   in Loop: Header=BB198_162 Depth=1
                                        ; implicit-def: $vgpr14_vgpr15
                                        ; implicit-def: $vgpr30_vgpr31
	s_mov_b32 s1, exec_lo
	v_cmpx_ngt_f64_e32 s[84:85], v[34:35]
	s_xor_b32 s4, exec_lo, s1
	s_cbranch_execz .LBB198_285
; %bb.284:                              ;   in Loop: Header=BB198_162 Depth=1
	v_mul_f64 v[14:15], v[34:35], v[34:35]
	s_mov_b32 s91, s21
	s_mov_b32 s10, s80
	v_cmp_eq_f64_e64 s2, 0, v[4:5]
	v_cmp_class_f64_e64 s5, v[4:5], 0x204
	v_cmp_class_f64_e64 s6, v[2:3], 0x204
	v_cmp_gt_i32_e64 s1, 0, v3
	v_add_f64 v[30:31], v[14:15], 1.0
	s_delay_alu instid0(VALU_DEP_1) | instskip(SKIP_2) | instid1(VALU_DEP_3)
	v_frexp_mant_f64_e32 v[32:33], v[30:31]
	v_frexp_exp_i32_f64_e32 v8, v[30:31]
	v_add_f64 v[34:35], v[30:31], -1.0
	v_cmp_gt_f64_e32 vcc_lo, s[20:21], v[32:33]
	s_delay_alu instid0(VALU_DEP_2) | instskip(SKIP_2) | instid1(VALU_DEP_3)
	v_add_f64 v[32:33], v[34:35], -v[30:31]
	v_add_f64 v[34:35], v[14:15], -v[34:35]
	v_subrev_co_ci_u32_e32 v8, vcc_lo, 0, v8, vcc_lo
	v_add_f64 v[32:33], v[32:33], 1.0
	s_delay_alu instid0(VALU_DEP_2) | instskip(NEXT) | instid1(VALU_DEP_1)
	v_sub_nc_u32_e32 v12, 0, v8
	v_ldexp_f64 v[30:31], v[30:31], v12
	s_delay_alu instid0(VALU_DEP_3) | instskip(NEXT) | instid1(VALU_DEP_2)
	v_add_f64 v[32:33], v[34:35], v[32:33]
	v_add_f64 v[36:37], v[30:31], 1.0
	v_add_f64 v[42:43], v[30:31], -1.0
	s_delay_alu instid0(VALU_DEP_3) | instskip(SKIP_1) | instid1(VALU_DEP_4)
	v_ldexp_f64 v[32:33], v[32:33], v12
	v_cndmask_b32_e64 v12, 0x54442d18, v54, s1
	v_add_f64 v[34:35], v[36:37], -1.0
	s_delay_alu instid0(VALU_DEP_4) | instskip(NEXT) | instid1(VALU_DEP_2)
	v_add_f64 v[44:45], v[42:43], 1.0
	v_add_f64 v[34:35], v[30:31], -v[34:35]
	s_delay_alu instid0(VALU_DEP_2) | instskip(NEXT) | instid1(VALU_DEP_2)
	v_add_f64 v[30:31], v[30:31], -v[44:45]
	v_add_f64 v[34:35], v[32:33], v[34:35]
	s_delay_alu instid0(VALU_DEP_2) | instskip(NEXT) | instid1(VALU_DEP_2)
	v_add_f64 v[30:31], v[32:33], v[30:31]
	v_add_f64 v[38:39], v[36:37], v[34:35]
	s_delay_alu instid0(VALU_DEP_2) | instskip(NEXT) | instid1(VALU_DEP_2)
	v_add_f64 v[44:45], v[42:43], v[30:31]
	v_rcp_f64_e32 v[40:41], v[38:39]
	v_add_f64 v[36:37], v[36:37], -v[38:39]
	s_delay_alu instid0(VALU_DEP_2) | instskip(NEXT) | instid1(VALU_DEP_2)
	v_add_f64 v[42:43], v[42:43], -v[44:45]
	v_add_f64 v[34:35], v[34:35], v[36:37]
	s_waitcnt_depctr 0xfff
	v_fma_f64 v[46:47], -v[38:39], v[40:41], 1.0
	v_add_f64 v[30:31], v[30:31], v[42:43]
	s_delay_alu instid0(VALU_DEP_2) | instskip(NEXT) | instid1(VALU_DEP_1)
	v_fma_f64 v[40:41], v[46:47], v[40:41], v[40:41]
	v_fma_f64 v[32:33], -v[38:39], v[40:41], 1.0
	s_delay_alu instid0(VALU_DEP_1) | instskip(NEXT) | instid1(VALU_DEP_1)
	v_fma_f64 v[32:33], v[32:33], v[40:41], v[40:41]
	v_mul_f64 v[40:41], v[44:45], v[32:33]
	s_delay_alu instid0(VALU_DEP_1) | instskip(NEXT) | instid1(VALU_DEP_1)
	v_mul_f64 v[46:47], v[38:39], v[40:41]
	v_fma_f64 v[36:37], v[40:41], v[38:39], -v[46:47]
	s_delay_alu instid0(VALU_DEP_1) | instskip(NEXT) | instid1(VALU_DEP_1)
	v_fma_f64 v[36:37], v[40:41], v[34:35], v[36:37]
	v_add_f64 v[48:49], v[46:47], v[36:37]
	s_delay_alu instid0(VALU_DEP_1) | instskip(SKIP_2) | instid1(VALU_DEP_3)
	v_add_f64 v[50:51], v[44:45], -v[48:49]
	v_add_f64 v[42:43], v[48:49], -v[46:47]
	v_max_f64 v[46:47], |v[4:5]|, |v[4:5]|
	v_add_f64 v[44:45], v[44:45], -v[50:51]
	s_delay_alu instid0(VALU_DEP_3) | instskip(NEXT) | instid1(VALU_DEP_2)
	v_add_f64 v[36:37], v[42:43], -v[36:37]
	v_add_f64 v[44:45], v[44:45], -v[48:49]
	v_max_f64 v[48:49], |v[2:3]|, |v[2:3]|
	s_delay_alu instid0(VALU_DEP_2) | instskip(NEXT) | instid1(VALU_DEP_2)
	v_add_f64 v[30:31], v[30:31], v[44:45]
	v_max_f64 v[52:53], v[48:49], v[46:47]
	v_min_f64 v[46:47], v[48:49], v[46:47]
	s_delay_alu instid0(VALU_DEP_3) | instskip(NEXT) | instid1(VALU_DEP_1)
	v_add_f64 v[30:31], v[36:37], v[30:31]
	v_add_f64 v[36:37], v[50:51], v[30:31]
	s_delay_alu instid0(VALU_DEP_1) | instskip(SKIP_1) | instid1(VALU_DEP_2)
	v_mul_f64 v[42:43], v[32:33], v[36:37]
	v_add_f64 v[50:51], v[50:51], -v[36:37]
	v_mul_f64 v[44:45], v[38:39], v[42:43]
	s_delay_alu instid0(VALU_DEP_2) | instskip(NEXT) | instid1(VALU_DEP_2)
	v_add_f64 v[30:31], v[30:31], v[50:51]
	v_fma_f64 v[38:39], v[42:43], v[38:39], -v[44:45]
	s_delay_alu instid0(VALU_DEP_1) | instskip(SKIP_1) | instid1(VALU_DEP_2)
	v_fma_f64 v[34:35], v[42:43], v[34:35], v[38:39]
	v_div_scale_f64 v[38:39], null, v[52:53], v[52:53], v[46:47]
	v_add_f64 v[48:49], v[44:45], v[34:35]
	s_delay_alu instid0(VALU_DEP_2) | instskip(NEXT) | instid1(VALU_DEP_1)
	v_rcp_f64_e32 v[56:57], v[38:39]
	v_add_f64 v[58:59], v[36:37], -v[48:49]
	v_add_f64 v[44:45], v[48:49], -v[44:45]
	s_waitcnt_depctr 0xfff
	v_fma_f64 v[60:61], -v[38:39], v[56:57], 1.0
	v_add_f64 v[36:37], v[36:37], -v[58:59]
	v_add_f64 v[34:35], v[44:45], -v[34:35]
	s_delay_alu instid0(VALU_DEP_3) | instskip(NEXT) | instid1(VALU_DEP_3)
	v_fma_f64 v[56:57], v[56:57], v[60:61], v[56:57]
	v_add_f64 v[36:37], v[36:37], -v[48:49]
	s_delay_alu instid0(VALU_DEP_2) | instskip(NEXT) | instid1(VALU_DEP_2)
	v_fma_f64 v[48:49], -v[38:39], v[56:57], 1.0
	v_add_f64 v[30:31], v[30:31], v[36:37]
	v_div_scale_f64 v[36:37], vcc_lo, v[46:47], v[52:53], v[46:47]
	s_delay_alu instid0(VALU_DEP_3) | instskip(SKIP_1) | instid1(VALU_DEP_4)
	v_fma_f64 v[44:45], v[56:57], v[48:49], v[56:57]
	v_add_f64 v[48:49], v[40:41], v[42:43]
	v_add_f64 v[30:31], v[34:35], v[30:31]
	s_delay_alu instid0(VALU_DEP_3) | instskip(NEXT) | instid1(VALU_DEP_3)
	v_mul_f64 v[34:35], v[36:37], v[44:45]
	v_add_f64 v[40:41], v[48:49], -v[40:41]
	s_delay_alu instid0(VALU_DEP_3) | instskip(NEXT) | instid1(VALU_DEP_3)
	v_add_f64 v[30:31], v[58:59], v[30:31]
	v_fma_f64 v[36:37], -v[38:39], v[34:35], v[36:37]
	s_delay_alu instid0(VALU_DEP_3) | instskip(NEXT) | instid1(VALU_DEP_3)
	v_add_f64 v[38:39], v[42:43], -v[40:41]
	v_mul_f64 v[30:31], v[32:33], v[30:31]
	s_delay_alu instid0(VALU_DEP_3) | instskip(SKIP_1) | instid1(VALU_DEP_3)
	v_div_fmas_f64 v[32:33], v[36:37], v[44:45], v[34:35]
	v_cmp_eq_f64_e32 vcc_lo, 0x7ff00000, v[14:15]
	v_add_f64 v[30:31], v[38:39], v[30:31]
	s_delay_alu instid0(VALU_DEP_3) | instskip(NEXT) | instid1(VALU_DEP_2)
	v_div_fixup_f64 v[32:33], v[32:33], v[52:53], v[46:47]
	v_add_f64 v[34:35], v[48:49], v[30:31]
	s_delay_alu instid0(VALU_DEP_2) | instskip(NEXT) | instid1(VALU_DEP_2)
	v_mul_f64 v[36:37], v[32:33], v[32:33]
	v_mul_f64 v[38:39], v[34:35], v[34:35]
	s_delay_alu instid0(VALU_DEP_2) | instskip(NEXT) | instid1(VALU_DEP_2)
	v_fma_f64 v[40:41], v[36:37], s[42:43], s[40:41]
	v_fma_f64 v[42:43], v[38:39], s[24:25], s[22:23]
	v_mul_f64 v[44:45], v[34:35], v[38:39]
	s_delay_alu instid0(VALU_DEP_3) | instskip(NEXT) | instid1(VALU_DEP_3)
	v_fma_f64 v[40:41], v[36:37], v[40:41], s[44:45]
	v_fma_f64 v[42:43], v[38:39], v[42:43], s[26:27]
	s_delay_alu instid0(VALU_DEP_2) | instskip(NEXT) | instid1(VALU_DEP_2)
	v_fma_f64 v[40:41], v[36:37], v[40:41], s[46:47]
	v_fma_f64 v[42:43], v[38:39], v[42:43], s[28:29]
	s_delay_alu instid0(VALU_DEP_2) | instskip(NEXT) | instid1(VALU_DEP_2)
	;; [unrolled: 3-line block ×4, first 2 shown]
	v_fma_f64 v[40:41], v[36:37], v[40:41], s[52:53]
	v_fma_f64 v[38:39], v[38:39], v[42:43], s[90:91]
	v_ldexp_f64 v[42:43], v[34:35], 1
	v_add_f64 v[34:35], v[34:35], -v[48:49]
	s_delay_alu instid0(VALU_DEP_4) | instskip(NEXT) | instid1(VALU_DEP_4)
	v_fma_f64 v[40:41], v[36:37], v[40:41], s[54:55]
	v_mul_f64 v[38:39], v[44:45], v[38:39]
	v_cvt_f64_i32_e32 v[44:45], v8
	s_delay_alu instid0(VALU_DEP_4) | instskip(NEXT) | instid1(VALU_DEP_4)
	v_add_f64 v[30:31], v[30:31], -v[34:35]
	v_fma_f64 v[40:41], v[36:37], v[40:41], s[56:57]
	v_ashrrev_i32_e32 v8, 31, v3
	v_add_f64 v[46:47], v[42:43], v[38:39]
	v_mul_f64 v[48:49], v[44:45], s[36:37]
	v_ldexp_f64 v[30:31], v[30:31], 1
	v_fma_f64 v[40:41], v[36:37], v[40:41], s[58:59]
	s_delay_alu instid0(VALU_DEP_4) | instskip(NEXT) | instid1(VALU_DEP_4)
	v_add_f64 v[34:35], v[46:47], -v[42:43]
	v_fma_f64 v[42:43], v[44:45], s[36:37], -v[48:49]
	s_delay_alu instid0(VALU_DEP_3) | instskip(NEXT) | instid1(VALU_DEP_3)
	v_fma_f64 v[40:41], v[36:37], v[40:41], s[60:61]
	v_add_f64 v[34:35], v[38:39], -v[34:35]
	s_delay_alu instid0(VALU_DEP_2) | instskip(NEXT) | instid1(VALU_DEP_4)
	v_fma_f64 v[38:39], v[36:37], v[40:41], s[62:63]
	v_fma_f64 v[40:41], v[44:45], s[38:39], v[42:43]
	s_delay_alu instid0(VALU_DEP_3) | instskip(NEXT) | instid1(VALU_DEP_3)
	v_add_f64 v[30:31], v[30:31], v[34:35]
	v_fma_f64 v[34:35], v[36:37], v[38:39], s[64:65]
	s_delay_alu instid0(VALU_DEP_3) | instskip(NEXT) | instid1(VALU_DEP_3)
	v_add_f64 v[38:39], v[48:49], v[40:41]
	v_add_f64 v[42:43], v[46:47], v[30:31]
	s_delay_alu instid0(VALU_DEP_3) | instskip(NEXT) | instid1(VALU_DEP_3)
	v_fma_f64 v[34:35], v[36:37], v[34:35], s[66:67]
	v_add_f64 v[48:49], v[38:39], -v[48:49]
	s_delay_alu instid0(VALU_DEP_3) | instskip(SKIP_1) | instid1(VALU_DEP_4)
	v_add_f64 v[44:45], v[38:39], v[42:43]
	v_add_f64 v[46:47], v[42:43], -v[46:47]
	v_fma_f64 v[34:35], v[36:37], v[34:35], s[68:69]
	s_delay_alu instid0(VALU_DEP_4) | instskip(NEXT) | instid1(VALU_DEP_4)
	v_add_f64 v[40:41], v[40:41], -v[48:49]
	v_add_f64 v[50:51], v[44:45], -v[38:39]
	s_delay_alu instid0(VALU_DEP_4) | instskip(NEXT) | instid1(VALU_DEP_4)
	v_add_f64 v[30:31], v[30:31], -v[46:47]
	v_fma_f64 v[34:35], v[36:37], v[34:35], s[70:71]
	s_delay_alu instid0(VALU_DEP_3) | instskip(SKIP_1) | instid1(VALU_DEP_4)
	v_add_f64 v[52:53], v[44:45], -v[50:51]
	v_add_f64 v[42:43], v[42:43], -v[50:51]
	v_add_f64 v[46:47], v[40:41], v[30:31]
	s_delay_alu instid0(VALU_DEP_4) | instskip(NEXT) | instid1(VALU_DEP_4)
	v_fma_f64 v[34:35], v[36:37], v[34:35], s[72:73]
	v_add_f64 v[38:39], v[38:39], -v[52:53]
	s_delay_alu instid0(VALU_DEP_2) | instskip(NEXT) | instid1(VALU_DEP_2)
	v_fma_f64 v[34:35], v[36:37], v[34:35], s[74:75]
	v_add_f64 v[38:39], v[42:43], v[38:39]
	v_add_f64 v[42:43], v[46:47], -v[40:41]
	s_delay_alu instid0(VALU_DEP_3) | instskip(NEXT) | instid1(VALU_DEP_3)
	v_fma_f64 v[34:35], v[36:37], v[34:35], s[76:77]
	v_add_f64 v[38:39], v[46:47], v[38:39]
	s_delay_alu instid0(VALU_DEP_3) | instskip(SKIP_1) | instid1(VALU_DEP_4)
	v_add_f64 v[46:47], v[46:47], -v[42:43]
	v_add_f64 v[30:31], v[30:31], -v[42:43]
	v_fma_f64 v[34:35], v[36:37], v[34:35], s[78:79]
	s_delay_alu instid0(VALU_DEP_4) | instskip(NEXT) | instid1(VALU_DEP_2)
	v_add_f64 v[48:49], v[44:45], v[38:39]
	v_mul_f64 v[34:35], v[36:37], v[34:35]
	v_add_f64 v[36:37], v[40:41], -v[46:47]
	s_delay_alu instid0(VALU_DEP_3) | instskip(NEXT) | instid1(VALU_DEP_3)
	v_add_f64 v[40:41], v[48:49], -v[44:45]
	v_fma_f64 v[32:33], v[32:33], v[34:35], v[32:33]
	s_delay_alu instid0(VALU_DEP_3) | instskip(NEXT) | instid1(VALU_DEP_3)
	v_add_f64 v[30:31], v[30:31], v[36:37]
	v_add_f64 v[34:35], v[38:39], -v[40:41]
	s_delay_alu instid0(VALU_DEP_3) | instskip(NEXT) | instid1(VALU_DEP_2)
	v_add_f64 v[36:37], -v[32:33], s[80:81]
	v_add_f64 v[30:31], v[30:31], v[34:35]
	s_delay_alu instid0(VALU_DEP_2) | instskip(NEXT) | instid1(VALU_DEP_3)
	v_cndmask_b32_e64 v33, v33, v37, s0
	v_cndmask_b32_e64 v32, v32, v36, s0
	s_delay_alu instid0(VALU_DEP_1) | instskip(NEXT) | instid1(VALU_DEP_4)
	v_add_f64 v[34:35], -v[32:33], s[10:11]
	v_add_f64 v[30:31], v[48:49], v[30:31]
	v_and_b32_e32 v16, 0x54442d18, v8
	s_delay_alu instid0(VALU_DEP_3) | instskip(NEXT) | instid1(VALU_DEP_3)
	v_cndmask_b32_e64 v19, v32, v34, s1
	v_dual_cndmask_b32 v3, v31, v15 :: v_dual_cndmask_b32 v2, v30, v14
	s_delay_alu instid0(VALU_DEP_2) | instskip(SKIP_1) | instid1(VALU_DEP_2)
	v_cndmask_b32_e64 v16, v19, v16, s2
	s_and_b32 vcc_lo, s6, s5
	v_mul_f64 v[14:15], v[2:3], 0.5
	v_and_b32_e32 v3, 0x400921fb, v8
	v_cndmask_b32_e64 v2, 0x3fe921fb, v55, s1
	v_cndmask_b32_e64 v8, v33, v35, s1
                                        ; implicit-def: $vgpr34_vgpr35
	v_cndmask_b32_e32 v30, v16, v12, vcc_lo
	s_delay_alu instid0(VALU_DEP_3) | instskip(NEXT) | instid1(VALU_DEP_3)
	v_bfi_b32 v2, 0x7fffffff, v2, v5
	v_cndmask_b32_e64 v3, v8, v3, s2
	s_delay_alu instid0(VALU_DEP_1)
	v_cndmask_b32_e32 v31, v3, v2, vcc_lo
.LBB198_285:                            ;   in Loop: Header=BB198_162 Depth=1
	s_and_not1_saveexec_b32 s2, s4
	s_cbranch_execz .LBB198_287
; %bb.286:                              ;   in Loop: Header=BB198_162 Depth=1
	v_max_f64 v[14:15], |v[4:5]|, |v[4:5]|
	v_max_f64 v[30:31], |v[2:3]|, |v[2:3]|
	s_mov_b32 s10, s80
	v_cmp_eq_f64_e64 s1, 0, v[4:5]
	v_cmp_class_f64_e64 s4, v[4:5], 0x204
	v_cmp_class_f64_e64 s5, v[2:3], 0x204
	v_ashrrev_i32_e32 v8, 31, v3
	s_delay_alu instid0(VALU_DEP_1) | instskip(SKIP_2) | instid1(VALU_DEP_1)
	v_and_b32_e32 v19, 0x54442d18, v8
	v_max_f64 v[32:33], v[30:31], v[14:15]
	v_min_f64 v[14:15], v[30:31], v[14:15]
	v_div_scale_f64 v[30:31], null, v[32:33], v[32:33], v[14:15]
	v_div_scale_f64 v[40:41], vcc_lo, v[14:15], v[32:33], v[14:15]
	s_delay_alu instid0(VALU_DEP_2) | instskip(SKIP_2) | instid1(VALU_DEP_1)
	v_rcp_f64_e32 v[36:37], v[30:31]
	s_waitcnt_depctr 0xfff
	v_fma_f64 v[38:39], -v[30:31], v[36:37], 1.0
	v_fma_f64 v[36:37], v[36:37], v[38:39], v[36:37]
	s_delay_alu instid0(VALU_DEP_1) | instskip(NEXT) | instid1(VALU_DEP_1)
	v_fma_f64 v[38:39], -v[30:31], v[36:37], 1.0
	v_fma_f64 v[36:37], v[36:37], v[38:39], v[36:37]
	s_delay_alu instid0(VALU_DEP_1) | instskip(NEXT) | instid1(VALU_DEP_1)
	v_mul_f64 v[38:39], v[40:41], v[36:37]
	v_fma_f64 v[30:31], -v[30:31], v[38:39], v[40:41]
	s_delay_alu instid0(VALU_DEP_1) | instskip(SKIP_4) | instid1(VALU_DEP_2)
	v_div_fmas_f64 v[30:31], v[30:31], v[36:37], v[38:39]
	v_cmp_gt_i32_e32 vcc_lo, 0, v3
	v_and_b32_e32 v3, 0x400921fb, v8
	v_cndmask_b32_e32 v2, 0x3fe921fb, v55, vcc_lo
	v_cndmask_b32_e32 v12, 0x54442d18, v54, vcc_lo
	v_bfi_b32 v2, 0x7fffffff, v2, v5
	v_div_fixup_f64 v[14:15], v[30:31], v[32:33], v[14:15]
	s_delay_alu instid0(VALU_DEP_1) | instskip(NEXT) | instid1(VALU_DEP_1)
	v_mul_f64 v[30:31], v[14:15], v[14:15]
	v_fma_f64 v[32:33], v[30:31], s[42:43], s[40:41]
	s_delay_alu instid0(VALU_DEP_1) | instskip(NEXT) | instid1(VALU_DEP_1)
	v_fma_f64 v[32:33], v[30:31], v[32:33], s[44:45]
	v_fma_f64 v[32:33], v[30:31], v[32:33], s[46:47]
	s_delay_alu instid0(VALU_DEP_1) | instskip(NEXT) | instid1(VALU_DEP_1)
	v_fma_f64 v[32:33], v[30:31], v[32:33], s[48:49]
	;; [unrolled: 3-line block ×9, first 2 shown]
	v_fma_f64 v[32:33], v[30:31], v[32:33], s[78:79]
	s_delay_alu instid0(VALU_DEP_1) | instskip(SKIP_1) | instid1(VALU_DEP_2)
	v_mul_f64 v[30:31], v[30:31], v[32:33]
	v_mul_f64 v[32:33], v[34:35], 0.5
	v_fma_f64 v[14:15], v[14:15], v[30:31], v[14:15]
	s_delay_alu instid0(VALU_DEP_1) | instskip(NEXT) | instid1(VALU_DEP_1)
	v_add_f64 v[30:31], -v[14:15], s[80:81]
	v_cndmask_b32_e64 v16, v15, v31, s0
	s_delay_alu instid0(VALU_DEP_2) | instskip(NEXT) | instid1(VALU_DEP_1)
	v_cndmask_b32_e64 v15, v14, v30, s0
	v_add_f64 v[30:31], -v[15:16], s[10:11]
	s_delay_alu instid0(VALU_DEP_1) | instskip(SKIP_1) | instid1(VALU_DEP_3)
	v_cndmask_b32_e32 v30, v15, v30, vcc_lo
	v_mul_f64 v[14:15], v[34:35], v[32:33]
	v_cndmask_b32_e32 v8, v16, v31, vcc_lo
	s_and_b32 vcc_lo, s5, s4
	s_delay_alu instid0(VALU_DEP_3) | instskip(NEXT) | instid1(VALU_DEP_2)
	v_cndmask_b32_e64 v16, v30, v19, s1
	v_cndmask_b32_e64 v3, v8, v3, s1
	s_delay_alu instid0(VALU_DEP_1)
	v_dual_cndmask_b32 v30, v16, v12 :: v_dual_cndmask_b32 v31, v3, v2
.LBB198_287:                            ;   in Loop: Header=BB198_162 Depth=1
	s_or_b32 exec_lo, exec_lo, s2
.LBB198_288:                            ;   in Loop: Header=BB198_162 Depth=1
	s_delay_alu instid0(SALU_CYCLE_1)
	s_or_b32 exec_lo, exec_lo, s3
.LBB198_289:                            ;   in Loop: Header=BB198_162 Depth=1
	s_and_not1_saveexec_b32 s3, s95
	s_cbranch_execz .LBB198_291
; %bb.290:                              ;   in Loop: Header=BB198_162 Depth=1
	v_div_scale_f64 v[14:15], null, s[86:87], s[86:87], v[2:3]
	v_div_scale_f64 v[30:31], null, s[86:87], s[86:87], v[4:5]
	v_div_scale_f64 v[40:41], vcc_lo, v[2:3], s[86:87], v[2:3]
	v_max_f64 v[44:45], |v[2:3]|, |v[2:3]|
	s_mov_b32 s91, s21
	s_mov_b32 s10, s80
	s_delay_alu instid0(VALU_DEP_4) | instskip(NEXT) | instid1(VALU_DEP_3)
	v_rcp_f64_e32 v[32:33], v[14:15]
	v_rcp_f64_e32 v[34:35], v[30:31]
	s_waitcnt_depctr 0xfff
	v_fma_f64 v[36:37], -v[14:15], v[32:33], 1.0
	v_fma_f64 v[38:39], -v[30:31], v[34:35], 1.0
	s_delay_alu instid0(VALU_DEP_2) | instskip(NEXT) | instid1(VALU_DEP_2)
	v_fma_f64 v[32:33], v[32:33], v[36:37], v[32:33]
	v_fma_f64 v[34:35], v[34:35], v[38:39], v[34:35]
	s_delay_alu instid0(VALU_DEP_2) | instskip(NEXT) | instid1(VALU_DEP_2)
	v_fma_f64 v[36:37], -v[14:15], v[32:33], 1.0
	v_fma_f64 v[38:39], -v[30:31], v[34:35], 1.0
	s_delay_alu instid0(VALU_DEP_2) | instskip(SKIP_1) | instid1(VALU_DEP_3)
	v_fma_f64 v[32:33], v[32:33], v[36:37], v[32:33]
	v_div_scale_f64 v[36:37], s1, v[4:5], s[86:87], v[4:5]
	v_fma_f64 v[34:35], v[34:35], v[38:39], v[34:35]
	s_delay_alu instid0(VALU_DEP_3) | instskip(NEXT) | instid1(VALU_DEP_2)
	v_mul_f64 v[38:39], v[40:41], v[32:33]
	v_mul_f64 v[42:43], v[36:37], v[34:35]
	s_delay_alu instid0(VALU_DEP_2) | instskip(NEXT) | instid1(VALU_DEP_2)
	v_fma_f64 v[14:15], -v[14:15], v[38:39], v[40:41]
	v_fma_f64 v[30:31], -v[30:31], v[42:43], v[36:37]
	s_delay_alu instid0(VALU_DEP_2) | instskip(SKIP_1) | instid1(VALU_DEP_2)
	v_div_fmas_f64 v[14:15], v[14:15], v[32:33], v[38:39]
	s_mov_b32 vcc_lo, s1
	v_div_fmas_f64 v[30:31], v[30:31], v[34:35], v[42:43]
	s_delay_alu instid0(VALU_DEP_2) | instskip(NEXT) | instid1(VALU_DEP_2)
	v_div_fixup_f64 v[14:15], v[14:15], s[86:87], v[2:3]
	v_div_fixup_f64 v[30:31], v[30:31], s[86:87], v[4:5]
	s_delay_alu instid0(VALU_DEP_2) | instskip(NEXT) | instid1(VALU_DEP_2)
	v_cmp_class_f64_e64 s2, v[14:15], 0x204
	v_max_f64 v[32:33], |v[14:15]|, |v[30:31]|
	v_cmp_o_f64_e64 s1, v[14:15], v[30:31]
	v_cmp_class_f64_e64 s4, v[30:31], 0x204
	s_delay_alu instid0(VALU_DEP_3) | instskip(NEXT) | instid1(VALU_DEP_2)
	v_frexp_exp_i32_f64_e32 v8, v[32:33]
	s_or_b32 s4, s2, s4
	s_delay_alu instid0(VALU_DEP_1) | instskip(NEXT) | instid1(VALU_DEP_1)
	v_sub_nc_u32_e32 v12, 0, v8
	v_ldexp_f64 v[32:33], |v[30:31]|, v12
	v_ldexp_f64 v[34:35], |v[14:15]|, v12
	s_delay_alu instid0(VALU_DEP_2) | instskip(NEXT) | instid1(VALU_DEP_1)
	v_mul_f64 v[32:33], v[32:33], v[32:33]
	v_fma_f64 v[32:33], v[34:35], v[34:35], v[32:33]
	s_delay_alu instid0(VALU_DEP_1) | instskip(SKIP_4) | instid1(VALU_DEP_1)
	v_rsq_f64_e32 v[34:35], v[32:33]
	v_cmp_eq_f64_e32 vcc_lo, 0, v[32:33]
	s_waitcnt_depctr 0xfff
	v_mul_f64 v[36:37], v[32:33], v[34:35]
	v_mul_f64 v[34:35], v[34:35], 0.5
	v_fma_f64 v[38:39], -v[34:35], v[36:37], 0.5
	s_delay_alu instid0(VALU_DEP_1) | instskip(SKIP_1) | instid1(VALU_DEP_2)
	v_fma_f64 v[36:37], v[36:37], v[38:39], v[36:37]
	v_fma_f64 v[34:35], v[34:35], v[38:39], v[34:35]
	v_fma_f64 v[38:39], -v[36:37], v[36:37], v[32:33]
	s_delay_alu instid0(VALU_DEP_1) | instskip(NEXT) | instid1(VALU_DEP_1)
	v_fma_f64 v[34:35], v[38:39], v[34:35], v[36:37]
	v_dual_cndmask_b32 v33, v35, v33 :: v_dual_cndmask_b32 v32, v34, v32
	s_delay_alu instid0(VALU_DEP_1) | instskip(NEXT) | instid1(VALU_DEP_1)
	v_ldexp_f64 v[32:33], v[32:33], v8
	v_cndmask_b32_e64 v8, 0, v32, s1
	s_delay_alu instid0(VALU_DEP_2) | instskip(NEXT) | instid1(VALU_DEP_2)
	v_cndmask_b32_e64 v12, 0x7ff80000, v33, s1
	v_cndmask_b32_e64 v15, v8, 0, s4
	s_delay_alu instid0(VALU_DEP_2) | instskip(NEXT) | instid1(VALU_DEP_1)
	v_cndmask_b32_e64 v16, v12, 0x7ff00000, s4
	v_frexp_mant_f64_e32 v[30:31], v[15:16]
	v_frexp_exp_i32_f64_e32 v14, v[15:16]
	s_delay_alu instid0(VALU_DEP_2) | instskip(NEXT) | instid1(VALU_DEP_1)
	v_cmp_gt_f64_e64 s2, s[20:21], v[30:31]
	v_cndmask_b32_e64 v19, 0x3ff00000, 2.0, s2
	s_delay_alu instid0(VALU_DEP_1) | instskip(NEXT) | instid1(VALU_DEP_1)
	v_mul_f64 v[30:31], v[30:31], v[18:19]
	v_add_f64 v[34:35], v[30:31], 1.0
	v_add_f64 v[40:41], v[30:31], -1.0
	s_delay_alu instid0(VALU_DEP_2) | instskip(SKIP_1) | instid1(VALU_DEP_1)
	v_rcp_f64_e32 v[36:37], v[34:35]
	v_add_f64 v[46:47], v[34:35], -1.0
	v_add_f64 v[30:31], v[30:31], -v[46:47]
	s_waitcnt_depctr 0xfff
	v_fma_f64 v[38:39], -v[34:35], v[36:37], 1.0
	s_delay_alu instid0(VALU_DEP_1) | instskip(NEXT) | instid1(VALU_DEP_1)
	v_fma_f64 v[36:37], v[38:39], v[36:37], v[36:37]
	v_fma_f64 v[38:39], -v[34:35], v[36:37], 1.0
	s_delay_alu instid0(VALU_DEP_1) | instskip(SKIP_1) | instid1(VALU_DEP_2)
	v_fma_f64 v[36:37], v[38:39], v[36:37], v[36:37]
	v_max_f64 v[38:39], |v[4:5]|, |v[4:5]|
	v_mul_f64 v[42:43], v[40:41], v[36:37]
	s_delay_alu instid0(VALU_DEP_2) | instskip(SKIP_1) | instid1(VALU_DEP_3)
	v_max_f64 v[50:51], v[44:45], v[38:39]
	v_min_f64 v[38:39], v[44:45], v[38:39]
	v_mul_f64 v[48:49], v[34:35], v[42:43]
	s_delay_alu instid0(VALU_DEP_2) | instskip(NEXT) | instid1(VALU_DEP_2)
	v_div_scale_f64 v[44:45], null, v[50:51], v[50:51], v[38:39]
	v_fma_f64 v[34:35], v[42:43], v[34:35], -v[48:49]
	s_delay_alu instid0(VALU_DEP_1) | instskip(NEXT) | instid1(VALU_DEP_3)
	v_fma_f64 v[30:31], v[42:43], v[30:31], v[34:35]
	v_rcp_f64_e32 v[34:35], v[44:45]
	s_delay_alu instid0(VALU_DEP_1) | instskip(SKIP_4) | instid1(VALU_DEP_3)
	v_add_f64 v[46:47], v[48:49], v[30:31]
	s_waitcnt_depctr 0xfff
	v_fma_f64 v[52:53], -v[44:45], v[34:35], 1.0
	v_add_f64 v[56:57], v[40:41], -v[46:47]
	v_add_f64 v[48:49], v[46:47], -v[48:49]
	v_fma_f64 v[34:35], v[34:35], v[52:53], v[34:35]
	s_delay_alu instid0(VALU_DEP_3) | instskip(NEXT) | instid1(VALU_DEP_3)
	v_add_f64 v[40:41], v[40:41], -v[56:57]
	v_add_f64 v[30:31], v[48:49], -v[30:31]
	s_delay_alu instid0(VALU_DEP_3) | instskip(NEXT) | instid1(VALU_DEP_3)
	v_fma_f64 v[52:53], -v[44:45], v[34:35], 1.0
	v_add_f64 v[40:41], v[40:41], -v[46:47]
	v_div_scale_f64 v[46:47], vcc_lo, v[38:39], v[50:51], v[38:39]
	s_delay_alu instid0(VALU_DEP_3) | instskip(NEXT) | instid1(VALU_DEP_3)
	v_fma_f64 v[34:35], v[34:35], v[52:53], v[34:35]
	v_add_f64 v[30:31], v[30:31], v[40:41]
	s_delay_alu instid0(VALU_DEP_2) | instskip(NEXT) | instid1(VALU_DEP_2)
	v_mul_f64 v[40:41], v[46:47], v[34:35]
	v_add_f64 v[30:31], v[56:57], v[30:31]
	s_delay_alu instid0(VALU_DEP_2) | instskip(NEXT) | instid1(VALU_DEP_2)
	v_fma_f64 v[44:45], -v[44:45], v[40:41], v[46:47]
	v_mul_f64 v[30:31], v[36:37], v[30:31]
	s_delay_alu instid0(VALU_DEP_2) | instskip(SKIP_2) | instid1(VALU_DEP_4)
	v_div_fmas_f64 v[34:35], v[44:45], v[34:35], v[40:41]
	v_subrev_co_ci_u32_e64 v14, vcc_lo, 0, v14, s2
	v_cmp_class_f64_e64 s2, v[2:3], 0x204
	v_add_f64 v[36:37], v[42:43], v[30:31]
	s_delay_alu instid0(VALU_DEP_4) | instskip(NEXT) | instid1(VALU_DEP_2)
	v_div_fixup_f64 v[34:35], v[34:35], v[50:51], v[38:39]
	v_mul_f64 v[38:39], v[36:37], v[36:37]
	s_delay_alu instid0(VALU_DEP_2) | instskip(NEXT) | instid1(VALU_DEP_2)
	v_mul_f64 v[40:41], v[34:35], v[34:35]
	v_fma_f64 v[44:45], v[38:39], s[24:25], s[22:23]
	v_mul_f64 v[48:49], v[36:37], v[38:39]
	s_delay_alu instid0(VALU_DEP_3) | instskip(NEXT) | instid1(VALU_DEP_3)
	v_fma_f64 v[46:47], v[40:41], s[42:43], s[40:41]
	v_fma_f64 v[44:45], v[38:39], v[44:45], s[26:27]
	s_delay_alu instid0(VALU_DEP_2) | instskip(NEXT) | instid1(VALU_DEP_2)
	v_fma_f64 v[46:47], v[40:41], v[46:47], s[44:45]
	v_fma_f64 v[44:45], v[38:39], v[44:45], s[28:29]
	s_delay_alu instid0(VALU_DEP_2) | instskip(NEXT) | instid1(VALU_DEP_2)
	;; [unrolled: 3-line block ×4, first 2 shown]
	v_fma_f64 v[46:47], v[40:41], v[46:47], s[50:51]
	v_fma_f64 v[38:39], v[38:39], v[44:45], s[90:91]
	s_delay_alu instid0(VALU_DEP_2) | instskip(SKIP_2) | instid1(VALU_DEP_4)
	v_fma_f64 v[44:45], v[40:41], v[46:47], s[52:53]
	v_ldexp_f64 v[46:47], v[36:37], 1
	v_add_f64 v[36:37], v[36:37], -v[42:43]
	v_mul_f64 v[38:39], v[48:49], v[38:39]
	v_cvt_f64_i32_e32 v[48:49], v14
	v_ashrrev_i32_e32 v14, 31, v3
	v_fma_f64 v[44:45], v[40:41], v[44:45], s[54:55]
	v_add_f64 v[30:31], v[30:31], -v[36:37]
	v_add_f64 v[42:43], v[46:47], v[38:39]
	v_mul_f64 v[50:51], v[48:49], s[36:37]
	s_delay_alu instid0(VALU_DEP_4) | instskip(NEXT) | instid1(VALU_DEP_4)
	v_fma_f64 v[44:45], v[40:41], v[44:45], s[56:57]
	v_ldexp_f64 v[30:31], v[30:31], 1
	s_delay_alu instid0(VALU_DEP_4) | instskip(NEXT) | instid1(VALU_DEP_4)
	v_add_f64 v[36:37], v[42:43], -v[46:47]
	v_fma_f64 v[46:47], v[48:49], s[36:37], -v[50:51]
	s_delay_alu instid0(VALU_DEP_4) | instskip(NEXT) | instid1(VALU_DEP_3)
	v_fma_f64 v[44:45], v[40:41], v[44:45], s[58:59]
	v_add_f64 v[36:37], v[38:39], -v[36:37]
	s_delay_alu instid0(VALU_DEP_2) | instskip(NEXT) | instid1(VALU_DEP_4)
	v_fma_f64 v[38:39], v[40:41], v[44:45], s[60:61]
	v_fma_f64 v[44:45], v[48:49], s[38:39], v[46:47]
	s_delay_alu instid0(VALU_DEP_3) | instskip(NEXT) | instid1(VALU_DEP_3)
	v_add_f64 v[30:31], v[30:31], v[36:37]
	v_fma_f64 v[36:37], v[40:41], v[38:39], s[62:63]
	s_delay_alu instid0(VALU_DEP_3) | instskip(NEXT) | instid1(VALU_DEP_3)
	v_add_f64 v[38:39], v[50:51], v[44:45]
	v_add_f64 v[46:47], v[42:43], v[30:31]
	s_delay_alu instid0(VALU_DEP_3) | instskip(NEXT) | instid1(VALU_DEP_3)
	v_fma_f64 v[36:37], v[40:41], v[36:37], s[64:65]
	v_add_f64 v[50:51], v[38:39], -v[50:51]
	s_delay_alu instid0(VALU_DEP_3) | instskip(SKIP_1) | instid1(VALU_DEP_4)
	v_add_f64 v[48:49], v[38:39], v[46:47]
	v_add_f64 v[42:43], v[46:47], -v[42:43]
	v_fma_f64 v[36:37], v[40:41], v[36:37], s[66:67]
	s_delay_alu instid0(VALU_DEP_4) | instskip(NEXT) | instid1(VALU_DEP_4)
	v_add_f64 v[44:45], v[44:45], -v[50:51]
	v_add_f64 v[52:53], v[48:49], -v[38:39]
	s_delay_alu instid0(VALU_DEP_4) | instskip(NEXT) | instid1(VALU_DEP_4)
	v_add_f64 v[30:31], v[30:31], -v[42:43]
	v_fma_f64 v[36:37], v[40:41], v[36:37], s[68:69]
	s_delay_alu instid0(VALU_DEP_3) | instskip(SKIP_1) | instid1(VALU_DEP_4)
	v_add_f64 v[56:57], v[48:49], -v[52:53]
	v_add_f64 v[42:43], v[46:47], -v[52:53]
	v_add_f64 v[46:47], v[44:45], v[30:31]
	s_delay_alu instid0(VALU_DEP_4) | instskip(NEXT) | instid1(VALU_DEP_4)
	v_fma_f64 v[36:37], v[40:41], v[36:37], s[70:71]
	v_add_f64 v[38:39], v[38:39], -v[56:57]
	s_delay_alu instid0(VALU_DEP_2) | instskip(NEXT) | instid1(VALU_DEP_2)
	v_fma_f64 v[36:37], v[40:41], v[36:37], s[72:73]
	v_add_f64 v[38:39], v[42:43], v[38:39]
	v_add_f64 v[42:43], v[46:47], -v[44:45]
	s_delay_alu instid0(VALU_DEP_3) | instskip(NEXT) | instid1(VALU_DEP_3)
	v_fma_f64 v[36:37], v[40:41], v[36:37], s[74:75]
	v_add_f64 v[38:39], v[46:47], v[38:39]
	s_delay_alu instid0(VALU_DEP_3) | instskip(SKIP_1) | instid1(VALU_DEP_4)
	v_add_f64 v[46:47], v[46:47], -v[42:43]
	v_add_f64 v[30:31], v[30:31], -v[42:43]
	v_fma_f64 v[36:37], v[40:41], v[36:37], s[76:77]
	s_delay_alu instid0(VALU_DEP_4) | instskip(NEXT) | instid1(VALU_DEP_4)
	v_add_f64 v[50:51], v[48:49], v[38:39]
	v_add_f64 v[42:43], v[44:45], -v[46:47]
	s_delay_alu instid0(VALU_DEP_3) | instskip(NEXT) | instid1(VALU_DEP_3)
	v_fma_f64 v[36:37], v[40:41], v[36:37], s[78:79]
	v_add_f64 v[44:45], v[50:51], -v[48:49]
	s_delay_alu instid0(VALU_DEP_3) | instskip(NEXT) | instid1(VALU_DEP_3)
	v_add_f64 v[30:31], v[30:31], v[42:43]
	v_mul_f64 v[36:37], v[40:41], v[36:37]
	s_delay_alu instid0(VALU_DEP_3) | instskip(NEXT) | instid1(VALU_DEP_2)
	v_add_f64 v[38:39], v[38:39], -v[44:45]
	v_fma_f64 v[34:35], v[34:35], v[36:37], v[34:35]
	s_delay_alu instid0(VALU_DEP_2) | instskip(NEXT) | instid1(VALU_DEP_2)
	v_add_f64 v[30:31], v[30:31], v[38:39]
	v_add_f64 v[36:37], -v[34:35], s[80:81]
	s_delay_alu instid0(VALU_DEP_2) | instskip(SKIP_1) | instid1(VALU_DEP_1)
	v_add_f64 v[30:31], v[50:51], v[30:31]
	v_and_b32_e32 v33, 0x7fffffff, v33
	v_cmp_eq_f64_e32 vcc_lo, 0x7ff00000, v[32:33]
	s_delay_alu instid0(VALU_DEP_4) | instskip(SKIP_2) | instid1(VALU_DEP_2)
	v_cndmask_b32_e64 v33, v35, v37, s0
	v_cndmask_b32_e64 v32, v34, v36, s0
	v_cmp_eq_f64_e64 s0, 0, v[4:5]
	v_add_f64 v[34:35], -v[32:33], s[10:11]
	s_and_b32 vcc_lo, s1, vcc_lo
	v_cmp_class_f64_e64 s1, v[4:5], 0x204
	v_cndmask_b32_e32 v30, v30, v8, vcc_lo
	v_dual_cndmask_b32 v31, v31, v12 :: v_dual_and_b32 v12, 0x54442d18, v14
	v_cmp_gt_i32_e32 vcc_lo, 0, v3
	s_delay_alu instid0(VALU_DEP_2)
	v_add_f64 v[30:31], v[30:31], 1.0
	v_cndmask_b32_e32 v8, 0x54442d18, v54, vcc_lo
	v_cndmask_b32_e32 v19, v32, v34, vcc_lo
	v_dual_cndmask_b32 v14, v33, v35 :: v_dual_and_b32 v3, 0x400921fb, v14
	v_cndmask_b32_e32 v2, 0x3fe921fb, v55, vcc_lo
	v_cmp_ngt_f64_e32 vcc_lo, 0, v[15:16]
	s_delay_alu instid0(VALU_DEP_4) | instskip(NEXT) | instid1(VALU_DEP_4)
	v_cndmask_b32_e64 v12, v19, v12, s0
	v_cndmask_b32_e64 v3, v14, v3, s0
	v_cmp_nge_f64_e64 s0, 0, v[15:16]
	v_bfi_b32 v2, 0x7fffffff, v2, v5
	v_cndmask_b32_e64 v14, v30, 0, s4
	v_cndmask_b32_e64 v31, v31, 0x7ff00000, s4
	s_delay_alu instid0(VALU_DEP_1)
	v_cndmask_b32_e32 v19, 0x7ff80000, v31, vcc_lo
	s_and_b32 vcc_lo, s2, s1
	v_cndmask_b32_e32 v30, v12, v8, vcc_lo
	v_cndmask_b32_e64 v14, 0, v14, s0
	v_cmp_neq_f64_e64 s0, 0, v[15:16]
	v_cndmask_b32_e32 v31, v3, v2, vcc_lo
	s_delay_alu instid0(VALU_DEP_2)
	v_cndmask_b32_e64 v15, 0xfff00000, v19, s0
.LBB198_291:                            ;   in Loop: Header=BB198_162 Depth=1
	s_or_b32 exec_lo, exec_lo, s3
.LBB198_292:                            ;   in Loop: Header=BB198_162 Depth=1
	s_and_not1_saveexec_b32 s0, s94
	s_cbranch_execz .LBB198_161
; %bb.293:                              ;   in Loop: Header=BB198_162 Depth=1
	v_cmp_ngt_f64_e64 s1, 0x20000000, |v[2:3]|
	v_cmp_ngt_f64_e64 s2, 0x20000000, |v[4:5]|
                                        ; implicit-def: $vgpr15_vgpr16
	s_delay_alu instid0(VALU_DEP_1) | instskip(NEXT) | instid1(SALU_CYCLE_1)
	s_or_b32 s1, s1, s2
	s_and_saveexec_b32 s2, s1
	s_delay_alu instid0(SALU_CYCLE_1)
	s_xor_b32 s1, exec_lo, s2
; %bb.294:                              ;   in Loop: Header=BB198_162 Depth=1
	v_mul_f64 v[14:15], v[4:5], v[4:5]
	s_delay_alu instid0(VALU_DEP_1)
	v_fma_f64 v[15:16], v[2:3], v[2:3], v[14:15]
; %bb.295:                              ;   in Loop: Header=BB198_162 Depth=1
	s_and_not1_saveexec_b32 s1, s1
	s_cbranch_execz .LBB198_160
; %bb.296:                              ;   in Loop: Header=BB198_162 Depth=1
	v_mul_f64 v[14:15], v[4:5], 4.0
	v_mul_f64 v[2:3], v[2:3], 4.0
	s_delay_alu instid0(VALU_DEP_2) | instskip(NEXT) | instid1(VALU_DEP_1)
	v_mul_f64 v[14:15], v[14:15], v[14:15]
	v_fma_f64 v[2:3], v[2:3], v[2:3], v[14:15]
	s_delay_alu instid0(VALU_DEP_1)
	v_ldexp_f64 v[15:16], v[2:3], -4
	s_branch .LBB198_160
.LBB198_297:
	s_nop 0
	s_sendmsg sendmsg(MSG_DEALLOC_VGPRS)
	s_endpgm
	.section	.rodata,"a",@progbits
	.p2align	6, 0x0
	.amdhsa_kernel _ZN2at6native12_GLOBAL__N_125multi_tensor_apply_kernelINS1_18TensorListMetadataILi1EEENS1_14UnaryOpFunctorIN3c107complexIdEELi1ELi1ELi0EEEJNS0_4Log2IS8_EEEEEvT_T0_DpT1_
		.amdhsa_group_segment_fixed_size 0
		.amdhsa_private_segment_fixed_size 0
		.amdhsa_kernarg_size 3632
		.amdhsa_user_sgpr_count 15
		.amdhsa_user_sgpr_dispatch_ptr 0
		.amdhsa_user_sgpr_queue_ptr 0
		.amdhsa_user_sgpr_kernarg_segment_ptr 1
		.amdhsa_user_sgpr_dispatch_id 0
		.amdhsa_user_sgpr_private_segment_size 0
		.amdhsa_wavefront_size32 1
		.amdhsa_uses_dynamic_stack 0
		.amdhsa_enable_private_segment 0
		.amdhsa_system_sgpr_workgroup_id_x 1
		.amdhsa_system_sgpr_workgroup_id_y 0
		.amdhsa_system_sgpr_workgroup_id_z 0
		.amdhsa_system_sgpr_workgroup_info 0
		.amdhsa_system_vgpr_workitem_id 0
		.amdhsa_next_free_vgpr 74
		.amdhsa_next_free_sgpr 105
		.amdhsa_reserve_vcc 1
		.amdhsa_float_round_mode_32 0
		.amdhsa_float_round_mode_16_64 0
		.amdhsa_float_denorm_mode_32 3
		.amdhsa_float_denorm_mode_16_64 3
		.amdhsa_dx10_clamp 1
		.amdhsa_ieee_mode 1
		.amdhsa_fp16_overflow 0
		.amdhsa_workgroup_processor_mode 1
		.amdhsa_memory_ordered 1
		.amdhsa_forward_progress 0
		.amdhsa_shared_vgpr_count 0
		.amdhsa_exception_fp_ieee_invalid_op 0
		.amdhsa_exception_fp_denorm_src 0
		.amdhsa_exception_fp_ieee_div_zero 0
		.amdhsa_exception_fp_ieee_overflow 0
		.amdhsa_exception_fp_ieee_underflow 0
		.amdhsa_exception_fp_ieee_inexact 0
		.amdhsa_exception_int_div_zero 0
	.end_amdhsa_kernel
	.section	.text._ZN2at6native12_GLOBAL__N_125multi_tensor_apply_kernelINS1_18TensorListMetadataILi1EEENS1_14UnaryOpFunctorIN3c107complexIdEELi1ELi1ELi0EEEJNS0_4Log2IS8_EEEEEvT_T0_DpT1_,"axG",@progbits,_ZN2at6native12_GLOBAL__N_125multi_tensor_apply_kernelINS1_18TensorListMetadataILi1EEENS1_14UnaryOpFunctorIN3c107complexIdEELi1ELi1ELi0EEEJNS0_4Log2IS8_EEEEEvT_T0_DpT1_,comdat
.Lfunc_end198:
	.size	_ZN2at6native12_GLOBAL__N_125multi_tensor_apply_kernelINS1_18TensorListMetadataILi1EEENS1_14UnaryOpFunctorIN3c107complexIdEELi1ELi1ELi0EEEJNS0_4Log2IS8_EEEEEvT_T0_DpT1_, .Lfunc_end198-_ZN2at6native12_GLOBAL__N_125multi_tensor_apply_kernelINS1_18TensorListMetadataILi1EEENS1_14UnaryOpFunctorIN3c107complexIdEELi1ELi1ELi0EEEJNS0_4Log2IS8_EEEEEvT_T0_DpT1_
                                        ; -- End function
	.section	.AMDGPU.csdata,"",@progbits
; Kernel info:
; codeLenInByte = 100548
; NumSgprs: 107
; NumVgprs: 74
; ScratchSize: 0
; MemoryBound: 1
; FloatMode: 240
; IeeeMode: 1
; LDSByteSize: 0 bytes/workgroup (compile time only)
; SGPRBlocks: 13
; VGPRBlocks: 9
; NumSGPRsForWavesPerEU: 107
; NumVGPRsForWavesPerEU: 74
; Occupancy: 16
; WaveLimiterHint : 0
; COMPUTE_PGM_RSRC2:SCRATCH_EN: 0
; COMPUTE_PGM_RSRC2:USER_SGPR: 15
; COMPUTE_PGM_RSRC2:TRAP_HANDLER: 0
; COMPUTE_PGM_RSRC2:TGID_X_EN: 1
; COMPUTE_PGM_RSRC2:TGID_Y_EN: 0
; COMPUTE_PGM_RSRC2:TGID_Z_EN: 0
; COMPUTE_PGM_RSRC2:TIDIG_COMP_CNT: 0
	.section	.text._ZN2at6native12_GLOBAL__N_125multi_tensor_apply_kernelINS1_18TensorListMetadataILi1EEENS1_14UnaryOpFunctorIN3c107complexIfEELi1ELi1ELi0EEEJNS0_4Log2IS8_EEEEEvT_T0_DpT1_,"axG",@progbits,_ZN2at6native12_GLOBAL__N_125multi_tensor_apply_kernelINS1_18TensorListMetadataILi1EEENS1_14UnaryOpFunctorIN3c107complexIfEELi1ELi1ELi0EEEJNS0_4Log2IS8_EEEEEvT_T0_DpT1_,comdat
	.globl	_ZN2at6native12_GLOBAL__N_125multi_tensor_apply_kernelINS1_18TensorListMetadataILi1EEENS1_14UnaryOpFunctorIN3c107complexIfEELi1ELi1ELi0EEEJNS0_4Log2IS8_EEEEEvT_T0_DpT1_ ; -- Begin function _ZN2at6native12_GLOBAL__N_125multi_tensor_apply_kernelINS1_18TensorListMetadataILi1EEENS1_14UnaryOpFunctorIN3c107complexIfEELi1ELi1ELi0EEEJNS0_4Log2IS8_EEEEEvT_T0_DpT1_
	.p2align	8
	.type	_ZN2at6native12_GLOBAL__N_125multi_tensor_apply_kernelINS1_18TensorListMetadataILi1EEENS1_14UnaryOpFunctorIN3c107complexIfEELi1ELi1ELi0EEEJNS0_4Log2IS8_EEEEEvT_T0_DpT1_,@function
_ZN2at6native12_GLOBAL__N_125multi_tensor_apply_kernelINS1_18TensorListMetadataILi1EEENS1_14UnaryOpFunctorIN3c107complexIfEELi1ELi1ELi0EEEJNS0_4Log2IS8_EEEEEvT_T0_DpT1_: ; @_ZN2at6native12_GLOBAL__N_125multi_tensor_apply_kernelINS1_18TensorListMetadataILi1EEENS1_14UnaryOpFunctorIN3c107complexIfEELi1ELi1ELi0EEEJNS0_4Log2IS8_EEEEEvT_T0_DpT1_
; %bb.0:
	v_mov_b32_e32 v1, s15
	s_add_u32 s2, s0, s15
	s_mul_hi_u32 s3, s15, 3
	s_mul_i32 s15, s15, 3
	s_addc_u32 s4, s1, 0
	global_load_u8 v1, v1, s[0:1] offset:1760
	s_add_u32 s2, s2, s15
	s_addc_u32 s3, s4, s3
	s_mov_b32 s11, 0
	s_load_b32 s2, s[2:3], 0x820
	s_waitcnt vmcnt(0)
	v_readfirstlane_b32 s5, v1
	s_delay_alu instid0(VALU_DEP_1)
	s_lshl_b32 s3, s5, 3
	s_clause 0x1
	s_load_b64 s[4:5], s[0:1], s3 offset:0x0
	s_load_b64 s[6:7], s[0:1], s3 offset:0x370
	s_waitcnt lgkmcnt(0)
	s_ashr_i32 s3, s2, 31
	s_delay_alu instid0(SALU_CYCLE_1) | instskip(NEXT) | instid1(SALU_CYCLE_1)
	s_lshl_b64 s[8:9], s[2:3], 19
	s_add_u32 s13, s4, s8
	s_addc_u32 s20, s5, s9
	s_lshl_b64 s[2:3], s[2:3], 16
	s_and_b32 s10, s13, 31
	s_sub_u32 s14, s6, s2
	s_subb_u32 s15, s7, s3
	s_and_b32 s2, s6, 3
	s_mov_b32 s3, s11
	s_delay_alu instid0(SALU_CYCLE_1) | instskip(NEXT) | instid1(SALU_CYCLE_1)
	s_or_b64 s[2:3], s[10:11], s[2:3]
	s_cmp_eq_u64 s[2:3], 0
	s_cbranch_scc1 .LBB199_157
; %bb.1:
	v_cmp_lt_i64_e64 s2, s[14:15], 1
	s_delay_alu instid0(VALU_DEP_1)
	s_and_b32 vcc_lo, exec_lo, s2
	s_cbranch_vccnz .LBB199_156
; %bb.2:
	s_load_b32 s2, s[0:1], 0xd3c
	v_cmp_gt_u64_e64 s3, 0x10000, s[14:15]
	v_mov_b32_e32 v17, 0x4016cbe4
	s_mov_b64 s[16:17], 0
	s_mov_b32 s21, 0x3e9b6dac
	s_mov_b32 s26, 0x3b2d2a58
	s_waitcnt lgkmcnt(0)
	s_and_b32 s22, s2, 0xffff
	s_and_b32 s2, s3, exec_lo
	s_cselect_b32 s19, s15, 0
	s_cselect_b32 s18, s14, 0x10000
	s_lshl_b32 s23, s22, 1
	s_mul_i32 s24, s22, 3
	s_lshl_b32 s25, s22, 2
	s_branch .LBB199_4
.LBB199_3:                              ;   in Loop: Header=BB199_4 Depth=1
	s_or_b32 exec_lo, exec_lo, s2
	s_add_u32 s16, s16, s25
	s_addc_u32 s17, s17, 0
	s_delay_alu instid0(SALU_CYCLE_1) | instskip(SKIP_1) | instid1(VALU_DEP_1)
	v_cmp_ge_i64_e64 s2, s[16:17], s[14:15]
	v_cmp_lt_u64_e64 s3, 0xffff, s[16:17]
	s_or_b32 s2, s2, s3
	s_delay_alu instid0(SALU_CYCLE_1)
	s_and_b32 vcc_lo, exec_lo, s2
	s_cbranch_vccnz .LBB199_156
.LBB199_4:                              ; =>This Loop Header: Depth=1
                                        ;     Child Loop BB199_23 Depth 2
                                        ;     Child Loop BB199_57 Depth 2
	;; [unrolled: 1-line block ×4, first 2 shown]
	v_add_co_u32 v11, s2, s16, v0
	s_delay_alu instid0(VALU_DEP_1) | instskip(SKIP_1) | instid1(VALU_DEP_2)
	v_add_co_ci_u32_e64 v12, null, s17, 0, s2
	v_dual_mov_b32 v10, 0 :: v_dual_mov_b32 v9, 0
	v_cmp_gt_u64_e64 s2, s[18:19], v[11:12]
	v_lshlrev_b64 v[3:4], 3, v[11:12]
	s_delay_alu instid0(VALU_DEP_2)
	s_and_saveexec_b32 s3, s2
	s_cbranch_execz .LBB199_6
; %bb.5:                                ;   in Loop: Header=BB199_4 Depth=1
	s_delay_alu instid0(VALU_DEP_1) | instskip(NEXT) | instid1(VALU_DEP_2)
	v_add_co_u32 v1, vcc_lo, s13, v3
	v_add_co_ci_u32_e32 v2, vcc_lo, s20, v4, vcc_lo
	global_load_b64 v[9:10], v[1:2], off
.LBB199_6:                              ;   in Loop: Header=BB199_4 Depth=1
	s_or_b32 exec_lo, exec_lo, s3
	v_add_co_u32 v5, vcc_lo, v11, s22
	v_add_co_ci_u32_e32 v6, vcc_lo, 0, v12, vcc_lo
	v_dual_mov_b32 v2, 0 :: v_dual_mov_b32 v13, 0
	v_mov_b32_e32 v14, 0
	s_delay_alu instid0(VALU_DEP_3) | instskip(SKIP_1) | instid1(VALU_DEP_2)
	v_cmp_gt_u64_e64 s3, s[18:19], v[5:6]
	v_lshlrev_b64 v[5:6], 3, v[5:6]
	s_and_saveexec_b32 s4, s3
	s_cbranch_execz .LBB199_8
; %bb.7:                                ;   in Loop: Header=BB199_4 Depth=1
	s_delay_alu instid0(VALU_DEP_1) | instskip(NEXT) | instid1(VALU_DEP_2)
	v_add_co_u32 v7, vcc_lo, s13, v5
	v_add_co_ci_u32_e32 v8, vcc_lo, s20, v6, vcc_lo
	global_load_b64 v[13:14], v[7:8], off
.LBB199_8:                              ;   in Loop: Header=BB199_4 Depth=1
	s_or_b32 exec_lo, exec_lo, s4
	v_add_co_u32 v7, vcc_lo, v11, s23
	v_add_co_ci_u32_e32 v8, vcc_lo, 0, v12, vcc_lo
	v_mov_b32_e32 v1, 0
	s_delay_alu instid0(VALU_DEP_2) | instskip(SKIP_1) | instid1(VALU_DEP_2)
	v_cmp_gt_u64_e64 s4, s[18:19], v[7:8]
	v_lshlrev_b64 v[7:8], 3, v[7:8]
	s_and_saveexec_b32 s5, s4
	s_cbranch_execz .LBB199_10
; %bb.9:                                ;   in Loop: Header=BB199_4 Depth=1
	s_delay_alu instid0(VALU_DEP_1) | instskip(NEXT) | instid1(VALU_DEP_2)
	v_add_co_u32 v1, vcc_lo, s13, v7
	v_add_co_ci_u32_e32 v2, vcc_lo, s20, v8, vcc_lo
	global_load_b64 v[1:2], v[1:2], off
.LBB199_10:                             ;   in Loop: Header=BB199_4 Depth=1
	s_or_b32 exec_lo, exec_lo, s5
	v_add_co_u32 v11, vcc_lo, v11, s24
	v_add_co_ci_u32_e32 v12, vcc_lo, 0, v12, vcc_lo
	v_dual_mov_b32 v16, 0 :: v_dual_mov_b32 v15, 0
	s_delay_alu instid0(VALU_DEP_2) | instskip(SKIP_1) | instid1(VALU_DEP_2)
	v_cmp_gt_u64_e64 s5, s[18:19], v[11:12]
	v_lshlrev_b64 v[11:12], 3, v[11:12]
	s_and_saveexec_b32 s6, s5
	s_cbranch_execz .LBB199_12
; %bb.11:                               ;   in Loop: Header=BB199_4 Depth=1
	s_delay_alu instid0(VALU_DEP_1) | instskip(NEXT) | instid1(VALU_DEP_2)
	v_add_co_u32 v15, vcc_lo, s13, v11
	v_add_co_ci_u32_e32 v16, vcc_lo, s20, v12, vcc_lo
	global_load_b64 v[15:16], v[15:16], off
.LBB199_12:                             ;   in Loop: Header=BB199_4 Depth=1
	s_or_b32 exec_lo, exec_lo, s6
                                        ; implicit-def: $vgpr18
                                        ; implicit-def: $vgpr19
	s_delay_alu instid0(SALU_CYCLE_1)
	s_mov_b32 s6, exec_lo
	s_waitcnt vmcnt(0)
	v_cmpx_o_f32_e32 v10, v9
	s_xor_b32 s27, exec_lo, s6
	s_cbranch_execz .LBB199_40
; %bb.13:                               ;   in Loop: Header=BB199_4 Depth=1
	v_cmp_lt_f32_e64 s6, |v9|, |v10|
                                        ; implicit-def: $vgpr18
                                        ; implicit-def: $vgpr19
	s_mov_b32 s7, exec_lo
	s_delay_alu instid0(VALU_DEP_1) | instskip(NEXT) | instid1(VALU_DEP_1)
	v_cndmask_b32_e64 v20, |v10|, |v9|, s6
	v_cmpx_nlt_f32_e32 0x77f684df, v20
	s_xor_b32 s28, exec_lo, s7
	s_cbranch_execz .LBB199_37
; %bb.14:                               ;   in Loop: Header=BB199_4 Depth=1
	v_and_b32_e32 v18, 0x7fffffff, v10
                                        ; implicit-def: $vgpr19
	s_mov_b32 s7, exec_lo
	s_delay_alu instid0(VALU_DEP_1) | instskip(NEXT) | instid1(VALU_DEP_1)
	v_cndmask_b32_e64 v21, |v9|, v18, s6
                                        ; implicit-def: $vgpr18
	v_cmpx_neq_f32_e32 1.0, v21
	s_xor_b32 s29, exec_lo, s7
	s_cbranch_execz .LBB199_30
; %bb.15:                               ;   in Loop: Header=BB199_4 Depth=1
	v_dual_max_f32 v18, v20, v20 :: v_dual_max_f32 v19, v21, v21
	s_delay_alu instid0(VALU_DEP_1) | instskip(SKIP_1) | instid1(VALU_DEP_2)
	v_min_f32_e32 v22, v19, v18
	v_max_f32_e32 v18, v19, v18
                                        ; implicit-def: $vgpr19
	v_cmp_ngt_f32_e32 vcc_lo, 0x358637bd, v22
	s_delay_alu instid0(VALU_DEP_2) | instskip(NEXT) | instid1(VALU_DEP_1)
	v_cmp_nlt_f32_e64 s7, 0x49742400, v18
                                        ; implicit-def: $vgpr18
	s_and_b32 s7, s7, vcc_lo
	s_delay_alu instid0(SALU_CYCLE_1) | instskip(NEXT) | instid1(SALU_CYCLE_1)
	s_and_saveexec_b32 s8, s7
	s_xor_b32 s30, exec_lo, s8
	s_cbranch_execz .LBB199_27
; %bb.16:                               ;   in Loop: Header=BB199_4 Depth=1
                                        ; implicit-def: $vgpr18
                                        ; implicit-def: $vgpr19
	s_mov_b32 s7, exec_lo
	v_cmpx_le_f32_e32 1.0, v21
	s_xor_b32 s8, exec_lo, s7
	s_cbranch_execz .LBB199_18
; %bb.17:                               ;   in Loop: Header=BB199_4 Depth=1
	v_add_f32_e32 v18, -1.0, v21
	v_add_f32_e32 v19, 1.0, v21
	v_cmp_class_f32_e64 s9, v9, 0x204
	s_delay_alu instid0(VALU_DEP_2) | instskip(NEXT) | instid1(VALU_DEP_1)
	v_mul_f32_e32 v21, v18, v19
	v_fmac_f32_e32 v21, v20, v20
	s_delay_alu instid0(VALU_DEP_1) | instskip(SKIP_1) | instid1(VALU_DEP_2)
	v_add_f32_e32 v20, 1.0, v21
	v_cmp_neq_f32_e64 s7, -1.0, v21
	v_cvt_f64_f32_e32 v[18:19], v20
	s_delay_alu instid0(VALU_DEP_1) | instskip(SKIP_1) | instid1(VALU_DEP_1)
	v_frexp_exp_i32_f64_e32 v18, v[18:19]
	v_frexp_mant_f32_e32 v19, v20
	v_cmp_gt_f32_e32 vcc_lo, 0x3f2aaaab, v19
	v_add_f32_e32 v19, -1.0, v20
	s_delay_alu instid0(VALU_DEP_1) | instskip(SKIP_3) | instid1(VALU_DEP_2)
	v_sub_f32_e32 v23, v19, v20
	v_sub_f32_e32 v19, v21, v19
	v_subrev_co_ci_u32_e32 v18, vcc_lo, 0, v18, vcc_lo
	v_cmp_eq_f32_e32 vcc_lo, 0x7f800000, v21
	v_sub_nc_u32_e32 v22, 0, v18
	v_cvt_f32_i32_e32 v18, v18
	s_delay_alu instid0(VALU_DEP_2) | instskip(NEXT) | instid1(VALU_DEP_1)
	v_ldexp_f32 v20, v20, v22
	v_dual_add_f32 v24, 1.0, v20 :: v_dual_add_f32 v23, 1.0, v23
	s_delay_alu instid0(VALU_DEP_1) | instskip(NEXT) | instid1(VALU_DEP_2)
	v_add_f32_e32 v19, v19, v23
	v_add_f32_e32 v23, -1.0, v24
	s_delay_alu instid0(VALU_DEP_2) | instskip(NEXT) | instid1(VALU_DEP_2)
	v_ldexp_f32 v19, v19, v22
	v_dual_add_f32 v22, -1.0, v20 :: v_dual_sub_f32 v23, v20, v23
	s_delay_alu instid0(VALU_DEP_1) | instskip(NEXT) | instid1(VALU_DEP_1)
	v_add_f32_e32 v25, 1.0, v22
	v_dual_add_f32 v23, v19, v23 :: v_dual_sub_f32 v20, v20, v25
	s_delay_alu instid0(VALU_DEP_1) | instskip(NEXT) | instid1(VALU_DEP_2)
	v_add_f32_e32 v25, v24, v23
	v_add_f32_e32 v19, v19, v20
	s_delay_alu instid0(VALU_DEP_2) | instskip(SKIP_1) | instid1(VALU_DEP_1)
	v_rcp_f32_e32 v20, v25
	v_sub_f32_e32 v24, v25, v24
	v_dual_add_f32 v26, v22, v19 :: v_dual_sub_f32 v23, v23, v24
	s_delay_alu instid0(VALU_DEP_1) | instskip(SKIP_2) | instid1(VALU_DEP_1)
	v_sub_f32_e32 v22, v26, v22
	s_waitcnt_depctr 0xfff
	v_mul_f32_e32 v27, v26, v20
	v_mul_f32_e32 v28, v25, v27
	s_delay_alu instid0(VALU_DEP_1) | instskip(NEXT) | instid1(VALU_DEP_1)
	v_fma_f32 v24, v27, v25, -v28
	v_fmac_f32_e32 v24, v27, v23
	s_delay_alu instid0(VALU_DEP_1) | instskip(NEXT) | instid1(VALU_DEP_1)
	v_add_f32_e32 v29, v28, v24
	v_sub_f32_e32 v30, v26, v29
	s_delay_alu instid0(VALU_DEP_1) | instskip(NEXT) | instid1(VALU_DEP_1)
	v_sub_f32_e32 v26, v26, v30
	v_dual_sub_f32 v26, v26, v29 :: v_dual_sub_f32 v19, v19, v22
	v_sub_f32_e32 v22, v29, v28
	s_delay_alu instid0(VALU_DEP_1) | instskip(NEXT) | instid1(VALU_DEP_1)
	v_dual_sub_f32 v22, v22, v24 :: v_dual_add_f32 v19, v19, v26
	v_add_f32_e32 v19, v22, v19
	s_delay_alu instid0(VALU_DEP_1) | instskip(NEXT) | instid1(VALU_DEP_1)
	v_add_f32_e32 v22, v30, v19
	v_mul_f32_e32 v24, v20, v22
	s_delay_alu instid0(VALU_DEP_1) | instskip(NEXT) | instid1(VALU_DEP_1)
	v_dual_sub_f32 v29, v30, v22 :: v_dual_mul_f32 v26, v25, v24
	v_fma_f32 v25, v24, v25, -v26
	s_delay_alu instid0(VALU_DEP_1) | instskip(NEXT) | instid1(VALU_DEP_1)
	v_fmac_f32_e32 v25, v24, v23
	v_add_f32_e32 v23, v26, v25
	s_delay_alu instid0(VALU_DEP_1) | instskip(SKIP_1) | instid1(VALU_DEP_2)
	v_sub_f32_e32 v28, v22, v23
	v_sub_f32_e32 v26, v23, v26
	v_dual_sub_f32 v22, v22, v28 :: v_dual_add_f32 v19, v19, v29
	s_delay_alu instid0(VALU_DEP_1) | instskip(NEXT) | instid1(VALU_DEP_1)
	v_sub_f32_e32 v22, v22, v23
	v_add_f32_e32 v19, v19, v22
	s_delay_alu instid0(VALU_DEP_4) | instskip(SKIP_1) | instid1(VALU_DEP_2)
	v_dual_add_f32 v22, v27, v24 :: v_dual_sub_f32 v23, v26, v25
	v_max_f32_e64 v25, |v10|, |v10|
	v_add_f32_e32 v19, v23, v19
	s_delay_alu instid0(VALU_DEP_3) | instskip(NEXT) | instid1(VALU_DEP_2)
	v_sub_f32_e32 v23, v22, v27
	v_dual_add_f32 v19, v28, v19 :: v_dual_mul_f32 v28, 0x3f317218, v18
	s_delay_alu instid0(VALU_DEP_2) | instskip(NEXT) | instid1(VALU_DEP_2)
	v_sub_f32_e32 v23, v24, v23
	v_mul_f32_e32 v19, v20, v19
	s_delay_alu instid0(VALU_DEP_3) | instskip(NEXT) | instid1(VALU_DEP_1)
	v_fma_f32 v29, 0x3f317218, v18, -v28
	v_fmac_f32_e32 v29, 0xb102e308, v18
	s_delay_alu instid0(VALU_DEP_3) | instskip(NEXT) | instid1(VALU_DEP_1)
	v_add_f32_e32 v19, v23, v19
	v_add_f32_e32 v20, v22, v19
	s_delay_alu instid0(VALU_DEP_1) | instskip(NEXT) | instid1(VALU_DEP_1)
	v_mul_f32_e32 v23, v20, v20
	v_fmaak_f32 v24, s21, v23, 0x3ecc95a3
	s_delay_alu instid0(VALU_DEP_1) | instskip(SKIP_2) | instid1(VALU_DEP_3)
	v_dual_mul_f32 v26, v20, v23 :: v_dual_fmaak_f32 v23, v23, v24, 0x3f2aaada
	v_max_f32_e64 v24, |v9|, |v9|
	v_ldexp_f32 v27, v20, 1
	v_dual_sub_f32 v20, v20, v22 :: v_dual_mul_f32 v23, v26, v23
	s_delay_alu instid0(VALU_DEP_3) | instskip(NEXT) | instid1(VALU_DEP_2)
	v_max_f32_e32 v26, v24, v25
	v_dual_min_f32 v24, v24, v25 :: v_dual_sub_f32 v19, v19, v20
	s_delay_alu instid0(VALU_DEP_3) | instskip(NEXT) | instid1(VALU_DEP_3)
	v_add_f32_e32 v22, v27, v23
	v_frexp_mant_f32_e32 v25, v26
	v_frexp_exp_i32_f32_e32 v26, v26
	s_delay_alu instid0(VALU_DEP_4) | instskip(NEXT) | instid1(VALU_DEP_4)
	v_ldexp_f32 v19, v19, 1
	v_sub_f32_e32 v20, v22, v27
	s_delay_alu instid0(VALU_DEP_4) | instskip(SKIP_1) | instid1(VALU_DEP_2)
	v_rcp_f32_e32 v25, v25
	v_frexp_exp_i32_f32_e32 v27, v24
	v_sub_f32_e32 v20, v23, v20
	v_frexp_mant_f32_e32 v23, v24
	s_delay_alu instid0(VALU_DEP_3) | instskip(NEXT) | instid1(VALU_DEP_3)
	v_sub_nc_u32_e32 v24, v27, v26
	v_add_f32_e32 v18, v19, v20
	s_waitcnt_depctr 0xfff
	v_mul_f32_e32 v19, v23, v25
	v_add_f32_e32 v20, v28, v29
	s_delay_alu instid0(VALU_DEP_2) | instskip(NEXT) | instid1(VALU_DEP_1)
	v_ldexp_f32 v19, v19, v24
	v_dual_sub_f32 v28, v20, v28 :: v_dual_mul_f32 v25, v19, v19
	s_delay_alu instid0(VALU_DEP_1) | instskip(SKIP_1) | instid1(VALU_DEP_1)
	v_dual_sub_f32 v28, v29, v28 :: v_dual_fmaak_f32 v27, s26, v25, 0xbc7a590c
	v_add_f32_e32 v23, v22, v18
	v_add_f32_e32 v24, v20, v23
	v_sub_f32_e32 v22, v23, v22
	s_delay_alu instid0(VALU_DEP_2) | instskip(NEXT) | instid1(VALU_DEP_2)
	v_sub_f32_e32 v26, v24, v20
	v_dual_sub_f32 v18, v18, v22 :: v_dual_fmaak_f32 v27, v25, v27, 0x3d29fb3f
	s_delay_alu instid0(VALU_DEP_2) | instskip(NEXT) | instid1(VALU_DEP_2)
	v_sub_f32_e32 v30, v24, v26
	v_dual_sub_f32 v22, v23, v26 :: v_dual_fmaak_f32 v23, v25, v27, 0xbd97d4d7
	s_delay_alu instid0(VALU_DEP_3) | instskip(NEXT) | instid1(VALU_DEP_3)
	v_add_f32_e32 v26, v28, v18
	v_sub_f32_e32 v20, v20, v30
	s_delay_alu instid0(VALU_DEP_1) | instskip(NEXT) | instid1(VALU_DEP_1)
	v_add_f32_e32 v20, v22, v20
	v_add_f32_e32 v20, v26, v20
	v_dual_fmaak_f32 v22, v25, v23, 0x3dd931b2 :: v_dual_sub_f32 v23, v26, v28
	s_delay_alu instid0(VALU_DEP_1) | instskip(NEXT) | instid1(VALU_DEP_2)
	v_dual_add_f32 v27, v24, v20 :: v_dual_fmaak_f32 v22, v25, v22, 0xbe1160e6
	v_sub_f32_e32 v26, v26, v23
	v_sub_f32_e32 v18, v18, v23
	s_delay_alu instid0(VALU_DEP_3) | instskip(NEXT) | instid1(VALU_DEP_4)
	v_sub_f32_e32 v24, v27, v24
	v_fmaak_f32 v22, v25, v22, 0x3e4cb8bf
	s_delay_alu instid0(VALU_DEP_4) | instskip(NEXT) | instid1(VALU_DEP_2)
	v_sub_f32_e32 v23, v28, v26
	v_fmaak_f32 v22, v25, v22, 0xbeaaaa62
	s_delay_alu instid0(VALU_DEP_2) | instskip(NEXT) | instid1(VALU_DEP_2)
	v_add_f32_e32 v18, v18, v23
	v_mul_f32_e32 v22, v25, v22
	s_delay_alu instid0(VALU_DEP_1) | instskip(NEXT) | instid1(VALU_DEP_1)
	v_dual_fmac_f32 v19, v19, v22 :: v_dual_sub_f32 v20, v20, v24
	v_add_f32_e32 v18, v18, v20
	s_delay_alu instid0(VALU_DEP_2) | instskip(NEXT) | instid1(VALU_DEP_2)
	v_sub_f32_e32 v20, 0x3fc90fdb, v19
	v_add_f32_e32 v18, v27, v18
	s_delay_alu instid0(VALU_DEP_2) | instskip(NEXT) | instid1(VALU_DEP_2)
	v_cndmask_b32_e64 v19, v19, v20, s6
	v_cndmask_b32_e32 v18, v18, v21, vcc_lo
	v_cmp_gt_i32_e32 vcc_lo, 0, v9
	s_delay_alu instid0(VALU_DEP_3) | instskip(SKIP_4) | instid1(VALU_DEP_2)
	v_sub_f32_e32 v22, 0x40490fdb, v19
	v_cndmask_b32_e64 v20, 0, 0x40490fdb, vcc_lo
	v_cmp_ngt_f32_e32 vcc_lo, -1.0, v21
	v_cndmask_b32_e32 v18, 0x7fc00000, v18, vcc_lo
	v_cmp_gt_f32_e32 vcc_lo, 0, v9
	v_cndmask_b32_e64 v9, 0xff800000, v18, s7
	v_cndmask_b32_e32 v18, v19, v22, vcc_lo
	v_cndmask_b32_e32 v19, 0x3f490fdb, v17, vcc_lo
	v_cmp_gt_f32_e64 vcc_lo, 0x33800000, |v21|
	v_cmp_class_f32_e64 s7, v10, 0x204
	v_cndmask_b32_e32 v9, v9, v21, vcc_lo
	v_cmp_eq_f32_e32 vcc_lo, 0, v10
                                        ; implicit-def: $vgpr21
	v_cndmask_b32_e32 v20, v18, v20, vcc_lo
	s_delay_alu instid0(VALU_DEP_4) | instskip(NEXT) | instid1(VALU_DEP_1)
	s_and_b32 vcc_lo, s7, s9
	v_dual_mul_f32 v18, 0.5, v9 :: v_dual_cndmask_b32 v19, v20, v19
                                        ; implicit-def: $vgpr20
.LBB199_18:                             ;   in Loop: Header=BB199_4 Depth=1
	s_and_not1_saveexec_b32 s31, s8
	s_cbranch_execz .LBB199_26
; %bb.19:                               ;   in Loop: Header=BB199_4 Depth=1
	v_mul_f32_e32 v22, v20, v20
                                        ; implicit-def: $vgpr18
                                        ; implicit-def: $vgpr19
	s_mov_b32 s7, exec_lo
	s_delay_alu instid0(VALU_DEP_1) | instskip(NEXT) | instid1(VALU_DEP_1)
	v_fmac_f32_e32 v22, v21, v21
	v_cmpx_ge_f32_e32 0x3f333333, v22
	s_xor_b32 s8, exec_lo, s7
	s_cbranch_execz .LBB199_21
; %bb.20:                               ;   in Loop: Header=BB199_4 Depth=1
	v_max_f32_e64 v18, |v10|, |v10|
	v_max_f32_e64 v19, |v9|, |v9|
	v_cmp_gt_f32_e32 vcc_lo, 0x800000, v22
	v_cmp_gt_i32_e64 s7, 0, v9
	v_cmp_class_f32_e64 s9, v9, 0x204
	v_cmp_class_f32_e64 s10, v10, 0x204
	v_max_f32_e32 v20, v19, v18
	v_min_f32_e32 v18, v19, v18
	v_cndmask_b32_e64 v23, 0, 0x41b17218, vcc_lo
	s_delay_alu instid0(VALU_DEP_3) | instskip(SKIP_1) | instid1(VALU_DEP_2)
	v_frexp_mant_f32_e32 v21, v20
	v_frexp_exp_i32_f32_e32 v20, v20
	v_rcp_f32_e32 v19, v21
	v_frexp_exp_i32_f32_e32 v21, v18
	v_frexp_mant_f32_e32 v18, v18
	s_delay_alu instid0(VALU_DEP_2) | instskip(SKIP_4) | instid1(VALU_DEP_2)
	v_sub_nc_u32_e32 v20, v21, v20
	v_cndmask_b32_e64 v21, 1.0, 0x4f800000, vcc_lo
	s_waitcnt_depctr 0xfff
	v_mul_f32_e32 v18, v18, v19
	v_mul_f32_e32 v21, v22, v21
	v_ldexp_f32 v18, v18, v20
	s_delay_alu instid0(VALU_DEP_2) | instskip(NEXT) | instid1(VALU_DEP_1)
	v_log_f32_e32 v21, v21
	v_mul_f32_e32 v19, v18, v18
	s_delay_alu instid0(VALU_DEP_1) | instskip(SKIP_3) | instid1(VALU_DEP_1)
	v_fmaak_f32 v20, s26, v19, 0xbc7a590c
	s_waitcnt_depctr 0xfff
	v_cmp_gt_f32_e64 vcc_lo, 0x7f800000, |v21|
	v_fmaak_f32 v20, v19, v20, 0x3d29fb3f
	v_fmaak_f32 v20, v19, v20, 0xbd97d4d7
	s_delay_alu instid0(VALU_DEP_1) | instskip(NEXT) | instid1(VALU_DEP_1)
	v_fmaak_f32 v20, v19, v20, 0x3dd931b2
	v_fmaak_f32 v20, v19, v20, 0xbe1160e6
	s_delay_alu instid0(VALU_DEP_1) | instskip(NEXT) | instid1(VALU_DEP_1)
	;; [unrolled: 3-line block ×3, first 2 shown]
	v_dual_mul_f32 v19, v19, v20 :: v_dual_mul_f32 v20, 0x3f317217, v21
	v_fmac_f32_e32 v18, v18, v19
	s_delay_alu instid0(VALU_DEP_2) | instskip(NEXT) | instid1(VALU_DEP_1)
	v_fma_f32 v19, 0x3f317217, v21, -v20
	v_fmac_f32_e32 v19, 0x3377d1cf, v21
	s_delay_alu instid0(VALU_DEP_1) | instskip(NEXT) | instid1(VALU_DEP_1)
	v_dual_sub_f32 v22, 0x3fc90fdb, v18 :: v_dual_add_f32 v19, v20, v19
	v_cndmask_b32_e64 v18, v18, v22, s6
	v_cndmask_b32_e64 v20, 0, 0x40490fdb, s7
	v_cmp_eq_f32_e64 s7, 0, v10
	s_delay_alu instid0(VALU_DEP_3) | instskip(SKIP_1) | instid1(VALU_DEP_2)
	v_dual_cndmask_b32 v19, v21, v19 :: v_dual_sub_f32 v22, 0x40490fdb, v18
	v_cmp_gt_f32_e32 vcc_lo, 0, v9
                                        ; implicit-def: $vgpr21
	v_dual_sub_f32 v9, v19, v23 :: v_dual_cndmask_b32 v18, v18, v22
	s_delay_alu instid0(VALU_DEP_1) | instskip(SKIP_2) | instid1(VALU_DEP_1)
	v_cndmask_b32_e64 v19, v18, v20, s7
	v_cndmask_b32_e32 v20, 0x3f490fdb, v17, vcc_lo
	s_and_b32 vcc_lo, s10, s9
	v_dual_mul_f32 v18, 0.5, v9 :: v_dual_cndmask_b32 v19, v19, v20
                                        ; implicit-def: $vgpr20
.LBB199_21:                             ;   in Loop: Header=BB199_4 Depth=1
	s_and_not1_saveexec_b32 s33, s8
	s_cbranch_execz .LBB199_25
; %bb.22:                               ;   in Loop: Header=BB199_4 Depth=1
	v_and_b32_e32 v22, 0x7fff0000, v20
	v_and_b32_e32 v19, 0x7fff0000, v21
	s_mov_b32 s34, 0
	s_delay_alu instid0(VALU_DEP_2) | instskip(SKIP_1) | instid1(VALU_DEP_3)
	v_sub_f32_e32 v23, v20, v22
	v_mul_f32_e32 v20, v22, v22
	v_mul_f32_e32 v18, v19, v19
	v_sub_f32_e32 v21, v21, v19
	s_delay_alu instid0(VALU_DEP_1) | instskip(NEXT) | instid1(VALU_DEP_1)
	v_dual_add_f32 v29, v22, v22 :: v_dual_and_b32 v24, 0xffff0000, v21
	v_dual_sub_f32 v22, v21, v24 :: v_dual_and_b32 v25, 0xffff0000, v23
	s_delay_alu instid0(VALU_DEP_1) | instskip(SKIP_2) | instid1(VALU_DEP_3)
	v_dual_add_f32 v26, v19, v19 :: v_dual_mul_f32 v19, v29, v25
	v_dual_sub_f32 v30, v23, v25 :: v_dual_mul_f32 v21, v24, v24
	v_add_f32_e32 v23, v24, v24
	v_dual_mul_f32 v28, v26, v24 :: v_dual_add_f32 v31, v25, v25
	v_dual_mul_f32 v27, v25, v25 :: v_dual_mul_f32 v24, v26, v22
	s_delay_alu instid0(VALU_DEP_4) | instskip(NEXT) | instid1(VALU_DEP_4)
	v_mul_f32_e32 v26, v29, v30
	v_mul_f32_e32 v25, v23, v22
	;; [unrolled: 1-line block ×5, first 2 shown]
.LBB199_23:                             ;   Parent Loop BB199_4 Depth=1
                                        ; =>  This Inner Loop Header: Depth=2
	v_cmp_nlt_f32_e32 vcc_lo, v18, v20
	s_delay_alu instid0(VALU_DEP_2) | instskip(SKIP_1) | instid1(VALU_DEP_2)
	v_dual_mov_b32 v31, v29 :: v_dual_cndmask_b32 v30, v18, v20
	v_cndmask_b32_e32 v18, v20, v18, vcc_lo
	v_cmp_nlt_f32_e64 s7, v30, v28
	s_delay_alu instid0(VALU_DEP_1) | instskip(SKIP_2) | instid1(VALU_DEP_2)
	v_cndmask_b32_e64 v29, v30, v28, s7
	v_cndmask_b32_e64 v20, v28, v30, s7
	s_and_b32 s35, vcc_lo, s7
	v_cmp_nlt_f32_e64 s8, v29, v19
	s_delay_alu instid0(VALU_DEP_1) | instskip(SKIP_1) | instid1(VALU_DEP_2)
	v_cndmask_b32_e64 v32, v29, v19, s8
	v_cndmask_b32_e64 v28, v19, v29, s8
	v_cmp_nlt_f32_e64 s9, v32, v21
	s_delay_alu instid0(VALU_DEP_1) | instskip(SKIP_2) | instid1(VALU_DEP_2)
	v_cndmask_b32_e64 v30, v32, v21, s9
	v_cndmask_b32_e64 v19, v21, v32, s9
	s_and_b32 s36, s8, s9
	v_cmp_nlt_f32_e64 s10, v30, v27
	s_delay_alu instid0(VALU_DEP_1) | instskip(SKIP_1) | instid1(VALU_DEP_2)
	v_cndmask_b32_e64 v33, v30, v27, s10
	v_cndmask_b32_e64 v21, v27, v30, s10
	v_cmp_nlt_f32_e64 s11, v33, v24
	s_delay_alu instid0(VALU_DEP_1) | instskip(SKIP_2) | instid1(VALU_DEP_2)
	v_cndmask_b32_e64 v34, v33, v24, s11
	s_and_b32 s9, s10, s11
	v_cndmask_b32_e64 v27, v24, v33, s11
	v_cmp_nlt_f32_e64 s12, v34, v26
	s_delay_alu instid0(VALU_DEP_1) | instskip(SKIP_2) | instid1(VALU_DEP_2)
	v_cndmask_b32_e64 v35, v34, v26, s12
	s_and_b32 s9, s9, s12
	v_cndmask_b32_e64 v24, v26, v34, s12
	v_cmp_nlt_f32_e32 vcc_lo, v35, v25
	v_cndmask_b32_e32 v36, v35, v25, vcc_lo
	s_and_b32 s10, s9, vcc_lo
	v_cndmask_b32_e32 v26, v25, v35, vcc_lo
	s_delay_alu instid0(VALU_DEP_2) | instskip(NEXT) | instid1(VALU_DEP_1)
	v_cmp_nlt_f32_e64 s7, v36, v23
	v_cndmask_b32_e64 v32, v36, v23, s7
	s_and_b32 s10, s10, s7
	v_cndmask_b32_e64 v25, v23, v36, s7
	s_delay_alu instid0(VALU_DEP_2) | instskip(NEXT) | instid1(VALU_DEP_1)
	v_cmp_nlt_f32_e64 s8, v32, v22
	v_cndmask_b32_e64 v30, v32, v22, s8
	s_and_b32 s10, s10, s8
	v_cndmask_b32_e64 v23, v22, v32, s8
	s_delay_alu instid0(VALU_DEP_2) | instskip(NEXT) | instid1(VALU_DEP_1)
	v_cmp_nlt_f32_e64 s9, v30, v31
	s_and_b32 s10, s10, s9
	v_cndmask_b32_e64 v29, v30, v31, s9
	s_and_b32 s7, s10, s36
	v_cndmask_b32_e64 v22, v31, v30, s9
	s_and_b32 s7, s7, s35
	s_delay_alu instid0(SALU_CYCLE_1) | instskip(NEXT) | instid1(SALU_CYCLE_1)
	s_and_b32 s7, exec_lo, s7
	s_or_b32 s34, s7, s34
	s_delay_alu instid0(SALU_CYCLE_1)
	s_and_not1_b32 exec_lo, exec_lo, s34
	s_cbranch_execnz .LBB199_23
; %bb.24:                               ;   in Loop: Header=BB199_4 Depth=1
	s_or_b32 exec_lo, exec_lo, s34
	v_add_f32_e32 v18, -1.0, v18
	v_cmp_class_f32_e64 s8, v9, 0x204
	s_delay_alu instid0(VALU_DEP_2) | instskip(NEXT) | instid1(VALU_DEP_1)
	v_add_f32_e32 v18, v18, v20
	v_add_f32_e32 v18, v18, v28
	s_delay_alu instid0(VALU_DEP_1) | instskip(NEXT) | instid1(VALU_DEP_1)
	v_add_f32_e32 v18, v18, v19
	v_add_f32_e32 v18, v18, v21
	s_delay_alu instid0(VALU_DEP_1) | instskip(NEXT) | instid1(VALU_DEP_1)
	;; [unrolled: 3-line block ×5, first 2 shown]
	v_add_f32_e32 v20, v29, v18
	v_add_f32_e32 v21, 1.0, v20
	s_delay_alu instid0(VALU_DEP_1) | instskip(NEXT) | instid1(VALU_DEP_1)
	v_cvt_f64_f32_e32 v[18:19], v21
	v_frexp_exp_i32_f64_e32 v18, v[18:19]
	v_frexp_mant_f32_e32 v19, v21
	s_delay_alu instid0(VALU_DEP_1) | instskip(SKIP_1) | instid1(VALU_DEP_1)
	v_cmp_gt_f32_e32 vcc_lo, 0x3f2aaaab, v19
	v_add_f32_e32 v19, -1.0, v21
	v_sub_f32_e32 v23, v19, v21
	v_sub_f32_e32 v19, v20, v19
	s_delay_alu instid0(VALU_DEP_2) | instskip(NEXT) | instid1(VALU_DEP_1)
	v_add_f32_e32 v23, 1.0, v23
	v_add_f32_e32 v19, v19, v23
	v_subrev_co_ci_u32_e32 v18, vcc_lo, 0, v18, vcc_lo
	s_delay_alu instid0(VALU_DEP_1) | instskip(SKIP_1) | instid1(VALU_DEP_2)
	v_sub_nc_u32_e32 v22, 0, v18
	v_cvt_f32_i32_e32 v18, v18
	v_ldexp_f32 v21, v21, v22
	v_ldexp_f32 v19, v19, v22
	s_delay_alu instid0(VALU_DEP_2) | instskip(NEXT) | instid1(VALU_DEP_1)
	v_add_f32_e32 v24, 1.0, v21
	v_add_f32_e32 v23, -1.0, v24
	s_delay_alu instid0(VALU_DEP_1) | instskip(NEXT) | instid1(VALU_DEP_1)
	v_sub_f32_e32 v23, v21, v23
	v_dual_add_f32 v23, v19, v23 :: v_dual_add_f32 v22, -1.0, v21
	s_delay_alu instid0(VALU_DEP_1) | instskip(NEXT) | instid1(VALU_DEP_1)
	v_add_f32_e32 v25, 1.0, v22
	v_sub_f32_e32 v21, v21, v25
	s_delay_alu instid0(VALU_DEP_1) | instskip(NEXT) | instid1(VALU_DEP_1)
	v_add_f32_e32 v19, v19, v21
	v_add_f32_e32 v26, v22, v19
	s_delay_alu instid0(VALU_DEP_1) | instskip(NEXT) | instid1(VALU_DEP_1)
	v_sub_f32_e32 v22, v26, v22
	v_sub_f32_e32 v19, v19, v22
	v_add_f32_e32 v25, v24, v23
	v_cmp_eq_f32_e32 vcc_lo, 0x7f800000, v20
	v_cmp_neq_f32_e64 s7, -1.0, v20
	s_delay_alu instid0(VALU_DEP_3) | instskip(SKIP_1) | instid1(VALU_DEP_1)
	v_rcp_f32_e32 v21, v25
	v_sub_f32_e32 v24, v25, v24
	v_sub_f32_e32 v23, v23, v24
	s_waitcnt_depctr 0xfff
	v_mul_f32_e32 v27, v26, v21
	s_delay_alu instid0(VALU_DEP_1) | instskip(NEXT) | instid1(VALU_DEP_1)
	v_mul_f32_e32 v28, v25, v27
	v_fma_f32 v24, v27, v25, -v28
	s_delay_alu instid0(VALU_DEP_1) | instskip(NEXT) | instid1(VALU_DEP_1)
	v_fmac_f32_e32 v24, v27, v23
	v_add_f32_e32 v29, v28, v24
	s_delay_alu instid0(VALU_DEP_1) | instskip(NEXT) | instid1(VALU_DEP_1)
	v_sub_f32_e32 v30, v26, v29
	v_sub_f32_e32 v26, v26, v30
	s_delay_alu instid0(VALU_DEP_1) | instskip(NEXT) | instid1(VALU_DEP_1)
	v_sub_f32_e32 v26, v26, v29
	v_dual_add_f32 v19, v19, v26 :: v_dual_sub_f32 v22, v29, v28
	s_delay_alu instid0(VALU_DEP_1) | instskip(NEXT) | instid1(VALU_DEP_1)
	v_sub_f32_e32 v22, v22, v24
	v_add_f32_e32 v19, v22, v19
	s_delay_alu instid0(VALU_DEP_1) | instskip(NEXT) | instid1(VALU_DEP_1)
	v_add_f32_e32 v22, v30, v19
	v_mul_f32_e32 v24, v21, v22
	s_delay_alu instid0(VALU_DEP_1) | instskip(NEXT) | instid1(VALU_DEP_1)
	v_mul_f32_e32 v26, v25, v24
	v_fma_f32 v25, v24, v25, -v26
	s_delay_alu instid0(VALU_DEP_1) | instskip(SKIP_1) | instid1(VALU_DEP_2)
	v_fmac_f32_e32 v25, v24, v23
	v_sub_f32_e32 v29, v30, v22
	v_add_f32_e32 v23, v26, v25
	s_delay_alu instid0(VALU_DEP_1) | instskip(NEXT) | instid1(VALU_DEP_1)
	v_dual_add_f32 v19, v19, v29 :: v_dual_sub_f32 v28, v22, v23
	v_sub_f32_e32 v22, v22, v28
	s_delay_alu instid0(VALU_DEP_1) | instskip(NEXT) | instid1(VALU_DEP_1)
	v_sub_f32_e32 v22, v22, v23
	v_add_f32_e32 v19, v19, v22
	v_add_f32_e32 v22, v27, v24
	v_sub_f32_e32 v26, v23, v26
	s_delay_alu instid0(VALU_DEP_1) | instskip(SKIP_1) | instid1(VALU_DEP_2)
	v_sub_f32_e32 v23, v26, v25
	v_max_f32_e64 v25, |v10|, |v10|
	v_add_f32_e32 v19, v23, v19
	s_delay_alu instid0(VALU_DEP_1) | instskip(NEXT) | instid1(VALU_DEP_1)
	v_dual_add_f32 v19, v28, v19 :: v_dual_mul_f32 v28, 0x3f317218, v18
	v_mul_f32_e32 v19, v21, v19
	v_sub_f32_e32 v23, v22, v27
	s_delay_alu instid0(VALU_DEP_3) | instskip(NEXT) | instid1(VALU_DEP_2)
	v_fma_f32 v29, 0x3f317218, v18, -v28
	v_sub_f32_e32 v23, v24, v23
	s_delay_alu instid0(VALU_DEP_2) | instskip(NEXT) | instid1(VALU_DEP_2)
	v_fmac_f32_e32 v29, 0xb102e308, v18
	v_add_f32_e32 v19, v23, v19
	s_delay_alu instid0(VALU_DEP_1) | instskip(NEXT) | instid1(VALU_DEP_1)
	v_add_f32_e32 v21, v22, v19
	v_mul_f32_e32 v23, v21, v21
	s_delay_alu instid0(VALU_DEP_1) | instskip(NEXT) | instid1(VALU_DEP_1)
	v_fmaak_f32 v24, s21, v23, 0x3ecc95a3
	v_dual_mul_f32 v26, v21, v23 :: v_dual_fmaak_f32 v23, v23, v24, 0x3f2aaada
	v_max_f32_e64 v24, |v9|, |v9|
	s_delay_alu instid0(VALU_DEP_1) | instskip(SKIP_3) | instid1(VALU_DEP_4)
	v_dual_mul_f32 v23, v26, v23 :: v_dual_max_f32 v26, v24, v25
	v_min_f32_e32 v24, v24, v25
	v_ldexp_f32 v27, v21, 1
	v_sub_f32_e32 v21, v21, v22
	v_frexp_mant_f32_e32 v25, v26
	v_frexp_exp_i32_f32_e32 v26, v26
	s_delay_alu instid0(VALU_DEP_4) | instskip(NEXT) | instid1(VALU_DEP_4)
	v_add_f32_e32 v22, v27, v23
	v_sub_f32_e32 v19, v19, v21
	s_delay_alu instid0(VALU_DEP_4) | instskip(NEXT) | instid1(VALU_DEP_2)
	v_rcp_f32_e32 v25, v25
	v_sub_f32_e32 v21, v22, v27
	s_delay_alu instid0(VALU_DEP_2) | instskip(SKIP_1) | instid1(VALU_DEP_3)
	v_ldexp_f32 v19, v19, 1
	v_frexp_exp_i32_f32_e32 v27, v24
	v_sub_f32_e32 v21, v23, v21
	v_frexp_mant_f32_e32 v23, v24
	s_delay_alu instid0(VALU_DEP_3) | instskip(NEXT) | instid1(VALU_DEP_3)
	v_sub_nc_u32_e32 v24, v27, v26
	v_add_f32_e32 v18, v19, v21
	v_add_f32_e32 v21, v28, v29
	s_delay_alu instid0(VALU_DEP_1) | instskip(NEXT) | instid1(VALU_DEP_1)
	v_sub_f32_e32 v28, v21, v28
	v_dual_sub_f32 v28, v29, v28 :: v_dual_mul_f32 v19, v23, v25
	s_delay_alu instid0(VALU_DEP_4) | instskip(NEXT) | instid1(VALU_DEP_2)
	v_add_f32_e32 v23, v22, v18
	v_ldexp_f32 v19, v19, v24
	s_delay_alu instid0(VALU_DEP_2) | instskip(NEXT) | instid1(VALU_DEP_1)
	v_add_f32_e32 v24, v21, v23
	v_dual_sub_f32 v26, v24, v21 :: v_dual_mul_f32 v25, v19, v19
	v_sub_f32_e32 v22, v23, v22
	s_delay_alu instid0(VALU_DEP_2) | instskip(NEXT) | instid1(VALU_DEP_2)
	v_dual_sub_f32 v30, v24, v26 :: v_dual_fmaak_f32 v27, s26, v25, 0xbc7a590c
	v_sub_f32_e32 v18, v18, v22
	s_delay_alu instid0(VALU_DEP_2) | instskip(NEXT) | instid1(VALU_DEP_2)
	v_dual_sub_f32 v22, v23, v26 :: v_dual_fmaak_f32 v27, v25, v27, 0x3d29fb3f
	v_add_f32_e32 v26, v28, v18
	s_delay_alu instid0(VALU_DEP_4) | instskip(NEXT) | instid1(VALU_DEP_3)
	v_sub_f32_e32 v21, v21, v30
	v_fmaak_f32 v23, v25, v27, 0xbd97d4d7
	s_delay_alu instid0(VALU_DEP_1) | instskip(NEXT) | instid1(VALU_DEP_4)
	v_dual_add_f32 v21, v22, v21 :: v_dual_fmaak_f32 v22, v25, v23, 0x3dd931b2
	v_sub_f32_e32 v23, v26, v28
	s_delay_alu instid0(VALU_DEP_2) | instskip(NEXT) | instid1(VALU_DEP_1)
	v_dual_add_f32 v21, v26, v21 :: v_dual_fmaak_f32 v22, v25, v22, 0xbe1160e6
	v_dual_sub_f32 v26, v26, v23 :: v_dual_add_f32 v27, v24, v21
	v_sub_f32_e32 v18, v18, v23
	s_delay_alu instid0(VALU_DEP_3) | instskip(NEXT) | instid1(VALU_DEP_3)
	v_fmaak_f32 v22, v25, v22, 0x3e4cb8bf
	v_sub_f32_e32 v23, v28, v26
	s_delay_alu instid0(VALU_DEP_2) | instskip(NEXT) | instid1(VALU_DEP_1)
	v_fmaak_f32 v22, v25, v22, 0xbeaaaa62
	v_mul_f32_e32 v22, v25, v22
	s_delay_alu instid0(VALU_DEP_1) | instskip(SKIP_1) | instid1(VALU_DEP_1)
	v_fmac_f32_e32 v19, v19, v22
	v_sub_f32_e32 v24, v27, v24
	v_dual_add_f32 v18, v18, v23 :: v_dual_sub_f32 v21, v21, v24
	s_delay_alu instid0(VALU_DEP_1) | instskip(NEXT) | instid1(VALU_DEP_1)
	v_add_f32_e32 v18, v18, v21
	v_add_f32_e32 v18, v27, v18
	s_delay_alu instid0(VALU_DEP_1) | instskip(SKIP_1) | instid1(VALU_DEP_2)
	v_dual_cndmask_b32 v18, v18, v20 :: v_dual_sub_f32 v21, 0x3fc90fdb, v19
	v_cmp_gt_i32_e32 vcc_lo, 0, v9
	v_cndmask_b32_e64 v19, v19, v21, s6
	v_cndmask_b32_e64 v21, 0, 0x40490fdb, vcc_lo
	v_cmp_ngt_f32_e32 vcc_lo, -1.0, v20
	s_delay_alu instid0(VALU_DEP_3) | instskip(SKIP_2) | instid1(VALU_DEP_2)
	v_sub_f32_e32 v22, 0x40490fdb, v19
	v_cndmask_b32_e32 v18, 0x7fc00000, v18, vcc_lo
	v_cmp_gt_f32_e32 vcc_lo, 0, v9
	v_cndmask_b32_e64 v9, 0xff800000, v18, s7
	s_delay_alu instid0(VALU_DEP_4)
	v_cndmask_b32_e32 v18, v19, v22, vcc_lo
	v_cndmask_b32_e32 v19, 0x3f490fdb, v17, vcc_lo
	v_cmp_gt_f32_e64 vcc_lo, 0x33800000, |v20|
	v_cmp_class_f32_e64 s7, v10, 0x204
	v_cndmask_b32_e32 v9, v9, v20, vcc_lo
	v_cmp_eq_f32_e32 vcc_lo, 0, v10
	v_cndmask_b32_e32 v20, v18, v21, vcc_lo
	s_delay_alu instid0(VALU_DEP_4) | instskip(NEXT) | instid1(VALU_DEP_1)
	s_and_b32 vcc_lo, s7, s8
	v_dual_mul_f32 v18, 0.5, v9 :: v_dual_cndmask_b32 v19, v20, v19
.LBB199_25:                             ;   in Loop: Header=BB199_4 Depth=1
	s_or_b32 exec_lo, exec_lo, s33
.LBB199_26:                             ;   in Loop: Header=BB199_4 Depth=1
	s_delay_alu instid0(SALU_CYCLE_1)
	s_or_b32 exec_lo, exec_lo, s31
.LBB199_27:                             ;   in Loop: Header=BB199_4 Depth=1
	s_and_not1_saveexec_b32 s8, s30
	s_cbranch_execz .LBB199_29
; %bb.28:                               ;   in Loop: Header=BB199_4 Depth=1
	v_max_f32_e64 v20, |v10|, |v10|
	v_max_f32_e64 v21, |v9|, |v9|
	v_cmp_gt_i32_e64 s7, 0, v9
	v_cmp_class_f32_e64 s9, v9, 0x204
	v_cmp_class_f32_e64 s10, v10, 0x204
	s_delay_alu instid0(VALU_DEP_4) | instskip(SKIP_1) | instid1(VALU_DEP_2)
	v_max_f32_e32 v22, v21, v20
	v_min_f32_e32 v20, v21, v20
	v_cvt_f64_f32_e32 v[18:19], v22
	s_delay_alu instid0(VALU_DEP_2) | instskip(SKIP_1) | instid1(VALU_DEP_3)
	v_frexp_exp_i32_f32_e32 v23, v20
	v_frexp_mant_f32_e32 v20, v20
	v_frexp_exp_i32_f64_e32 v18, v[18:19]
	v_frexp_mant_f32_e32 v19, v22
	s_delay_alu instid0(VALU_DEP_1) | instskip(SKIP_4) | instid1(VALU_DEP_2)
	v_rcp_f32_e32 v19, v19
	s_waitcnt_depctr 0xfff
	v_mul_f32_e32 v19, v20, v19
	v_frexp_exp_i32_f32_e32 v21, v22
	v_cmp_neq_f32_e32 vcc_lo, 0x7f800000, v22
	v_sub_nc_u32_e32 v21, v23, v21
	s_delay_alu instid0(VALU_DEP_1) | instskip(NEXT) | instid1(VALU_DEP_1)
	v_ldexp_f32 v19, v19, v21
	v_mul_f32_e32 v23, v19, v19
	v_sub_nc_u32_e32 v24, 0, v18
	s_delay_alu instid0(VALU_DEP_1) | instskip(SKIP_1) | instid1(VALU_DEP_2)
	v_ldexp_f32 v20, |v10|, v24
	v_ldexp_f32 v21, |v9|, v24
	v_mul_f32_e32 v20, v20, v20
	s_delay_alu instid0(VALU_DEP_1) | instskip(NEXT) | instid1(VALU_DEP_1)
	v_dual_fmac_f32 v20, v21, v21 :: v_dual_fmaak_f32 v21, s26, v23, 0xbc7a590c
	v_sqrt_f32_e32 v20, v20
	s_delay_alu instid0(VALU_DEP_1) | instskip(NEXT) | instid1(VALU_DEP_1)
	v_fmaak_f32 v21, v23, v21, 0x3d29fb3f
	v_fmaak_f32 v21, v23, v21, 0xbd97d4d7
	s_waitcnt_depctr 0xfff
	v_ldexp_f32 v18, v20, v18
	v_fmaak_f32 v20, v23, v21, 0x3dd931b2
	s_delay_alu instid0(VALU_DEP_1) | instskip(NEXT) | instid1(VALU_DEP_1)
	v_fmaak_f32 v20, v23, v20, 0xbe1160e6
	v_fmaak_f32 v20, v23, v20, 0x3e4cb8bf
	s_delay_alu instid0(VALU_DEP_1) | instskip(NEXT) | instid1(VALU_DEP_1)
	v_fmaak_f32 v20, v23, v20, 0xbeaaaa62
	v_mul_f32_e32 v20, v23, v20
	s_delay_alu instid0(VALU_DEP_1) | instskip(NEXT) | instid1(VALU_DEP_1)
	v_dual_cndmask_b32 v18, 0x7f800000, v18 :: v_dual_fmac_f32 v19, v19, v20
	v_cmp_gt_f32_e32 vcc_lo, 0x800000, v18
	v_cndmask_b32_e64 v21, 1.0, 0x4f800000, vcc_lo
	s_delay_alu instid0(VALU_DEP_1) | instskip(NEXT) | instid1(VALU_DEP_1)
	v_dual_mul_f32 v18, v18, v21 :: v_dual_sub_f32 v21, 0x3fc90fdb, v19
	v_cndmask_b32_e64 v19, v19, v21, s6
	v_cndmask_b32_e64 v21, 0, 0x40490fdb, s7
	v_cmp_gt_f32_e64 s7, 0, v9
	s_delay_alu instid0(VALU_DEP_3) | instskip(SKIP_1) | instid1(VALU_DEP_1)
	v_sub_f32_e32 v23, 0x40490fdb, v19
	v_log_f32_e32 v18, v18
	v_cndmask_b32_e64 v19, v19, v23, s7
	s_waitcnt_depctr 0xfff
	v_mul_f32_e32 v20, 0x3f317217, v18
	s_delay_alu instid0(VALU_DEP_1) | instskip(NEXT) | instid1(VALU_DEP_1)
	v_fma_f32 v22, 0x3f317217, v18, -v20
	v_fmac_f32_e32 v22, 0x3377d1cf, v18
	s_delay_alu instid0(VALU_DEP_1) | instskip(SKIP_3) | instid1(VALU_DEP_4)
	v_add_f32_e32 v9, v20, v22
	v_cndmask_b32_e64 v22, 0, 0x41b17218, vcc_lo
	v_cmp_gt_f32_e64 vcc_lo, 0x7f800000, |v18|
	v_cndmask_b32_e64 v20, 0x3f490fdb, v17, s7
	v_cndmask_b32_e32 v9, v18, v9, vcc_lo
	v_cmp_eq_f32_e32 vcc_lo, 0, v10
	s_delay_alu instid0(VALU_DEP_2) | instskip(SKIP_1) | instid1(VALU_DEP_1)
	v_dual_sub_f32 v18, v9, v22 :: v_dual_cndmask_b32 v19, v19, v21
	s_and_b32 vcc_lo, s10, s9
	v_cndmask_b32_e32 v19, v19, v20, vcc_lo
.LBB199_29:                             ;   in Loop: Header=BB199_4 Depth=1
	s_or_b32 exec_lo, exec_lo, s8
                                        ; implicit-def: $vgpr20
.LBB199_30:                             ;   in Loop: Header=BB199_4 Depth=1
	s_and_not1_saveexec_b32 s8, s29
	s_cbranch_execz .LBB199_36
; %bb.31:                               ;   in Loop: Header=BB199_4 Depth=1
                                        ; implicit-def: $vgpr18
                                        ; implicit-def: $vgpr19
	s_mov_b32 s7, exec_lo
	v_cmpx_ngt_f32_e32 0x1fec1e4a, v20
	s_xor_b32 s9, exec_lo, s7
	s_cbranch_execz .LBB199_33
; %bb.32:                               ;   in Loop: Header=BB199_4 Depth=1
	v_mul_f32_e32 v20, v20, v20
	v_cmp_class_f32_e64 s10, v9, 0x204
	v_cmp_gt_f32_e64 s7, 0, v9
	v_cmp_class_f32_e64 s12, v10, 0x204
	s_delay_alu instid0(VALU_DEP_4) | instskip(NEXT) | instid1(VALU_DEP_1)
	v_add_f32_e32 v21, 1.0, v20
	v_cvt_f64_f32_e32 v[18:19], v21
	s_delay_alu instid0(VALU_DEP_1) | instskip(SKIP_1) | instid1(VALU_DEP_1)
	v_frexp_exp_i32_f64_e32 v18, v[18:19]
	v_frexp_mant_f32_e32 v19, v21
	v_cmp_gt_f32_e32 vcc_lo, 0x3f2aaaab, v19
	v_add_f32_e32 v19, -1.0, v21
	v_cmp_gt_f32_e64 s11, 0x33800000, |v20|
	s_delay_alu instid0(VALU_DEP_2) | instskip(SKIP_2) | instid1(VALU_DEP_2)
	v_sub_f32_e32 v23, v19, v21
	v_subrev_co_ci_u32_e32 v18, vcc_lo, 0, v18, vcc_lo
	v_cmp_gt_i32_e32 vcc_lo, 0, v9
	v_sub_nc_u32_e32 v22, 0, v18
	v_cvt_f32_i32_e32 v18, v18
	s_delay_alu instid0(VALU_DEP_2) | instskip(SKIP_1) | instid1(VALU_DEP_2)
	v_ldexp_f32 v21, v21, v22
	v_sub_f32_e32 v19, v20, v19
	v_dual_add_f32 v23, 1.0, v23 :: v_dual_add_f32 v24, 1.0, v21
	s_delay_alu instid0(VALU_DEP_1) | instskip(NEXT) | instid1(VALU_DEP_2)
	v_add_f32_e32 v19, v19, v23
	v_add_f32_e32 v23, -1.0, v24
	s_delay_alu instid0(VALU_DEP_2) | instskip(NEXT) | instid1(VALU_DEP_2)
	v_ldexp_f32 v19, v19, v22
	v_dual_add_f32 v22, -1.0, v21 :: v_dual_sub_f32 v23, v21, v23
	s_delay_alu instid0(VALU_DEP_1) | instskip(NEXT) | instid1(VALU_DEP_2)
	v_add_f32_e32 v25, 1.0, v22
	v_add_f32_e32 v23, v19, v23
	s_delay_alu instid0(VALU_DEP_2) | instskip(NEXT) | instid1(VALU_DEP_2)
	v_sub_f32_e32 v21, v21, v25
	v_add_f32_e32 v25, v24, v23
	s_delay_alu instid0(VALU_DEP_2) | instskip(NEXT) | instid1(VALU_DEP_2)
	v_add_f32_e32 v19, v19, v21
	v_rcp_f32_e32 v21, v25
	v_sub_f32_e32 v24, v24, v25
	s_delay_alu instid0(VALU_DEP_1) | instskip(NEXT) | instid1(VALU_DEP_1)
	v_dual_add_f32 v26, v22, v19 :: v_dual_add_f32 v23, v23, v24
	v_sub_f32_e32 v22, v22, v26
	s_waitcnt_depctr 0xfff
	v_mul_f32_e32 v27, v26, v21
	s_delay_alu instid0(VALU_DEP_1) | instskip(NEXT) | instid1(VALU_DEP_1)
	v_dual_add_f32 v19, v19, v22 :: v_dual_mul_f32 v28, v25, v27
	v_fma_f32 v24, v27, v25, -v28
	s_delay_alu instid0(VALU_DEP_1) | instskip(NEXT) | instid1(VALU_DEP_1)
	v_fmac_f32_e32 v24, v27, v23
	v_add_f32_e32 v29, v28, v24
	s_delay_alu instid0(VALU_DEP_1) | instskip(SKIP_1) | instid1(VALU_DEP_2)
	v_sub_f32_e32 v30, v26, v29
	v_sub_f32_e32 v22, v29, v28
	;; [unrolled: 1-line block ×3, first 2 shown]
	s_delay_alu instid0(VALU_DEP_2) | instskip(NEXT) | instid1(VALU_DEP_2)
	v_sub_f32_e32 v22, v22, v24
	v_sub_f32_e32 v26, v26, v29
	s_delay_alu instid0(VALU_DEP_1) | instskip(NEXT) | instid1(VALU_DEP_1)
	v_add_f32_e32 v19, v19, v26
	v_add_f32_e32 v19, v22, v19
	s_delay_alu instid0(VALU_DEP_1) | instskip(NEXT) | instid1(VALU_DEP_1)
	v_add_f32_e32 v22, v30, v19
	v_mul_f32_e32 v24, v21, v22
	s_delay_alu instid0(VALU_DEP_1) | instskip(NEXT) | instid1(VALU_DEP_1)
	v_dual_sub_f32 v29, v30, v22 :: v_dual_mul_f32 v26, v25, v24
	v_fma_f32 v25, v24, v25, -v26
	s_delay_alu instid0(VALU_DEP_1) | instskip(NEXT) | instid1(VALU_DEP_1)
	v_fmac_f32_e32 v25, v24, v23
	v_add_f32_e32 v23, v26, v25
	s_delay_alu instid0(VALU_DEP_1) | instskip(SKIP_1) | instid1(VALU_DEP_2)
	v_sub_f32_e32 v28, v22, v23
	v_sub_f32_e32 v26, v23, v26
	v_dual_sub_f32 v22, v22, v28 :: v_dual_add_f32 v19, v19, v29
	s_delay_alu instid0(VALU_DEP_1) | instskip(NEXT) | instid1(VALU_DEP_1)
	v_sub_f32_e32 v22, v22, v23
	v_add_f32_e32 v19, v19, v22
	s_delay_alu instid0(VALU_DEP_4) | instskip(NEXT) | instid1(VALU_DEP_1)
	v_dual_add_f32 v22, v27, v24 :: v_dual_sub_f32 v23, v26, v25
	v_add_f32_e32 v19, v23, v19
	s_delay_alu instid0(VALU_DEP_2) | instskip(NEXT) | instid1(VALU_DEP_2)
	v_sub_f32_e32 v23, v22, v27
	v_add_f32_e32 v19, v28, v19
	s_delay_alu instid0(VALU_DEP_2) | instskip(SKIP_1) | instid1(VALU_DEP_3)
	v_sub_f32_e32 v23, v24, v23
	v_max_f32_e64 v24, |v9|, |v9|
	v_mul_f32_e32 v19, v21, v19
	v_max_f32_e64 v21, |v10|, |v10|
	s_delay_alu instid0(VALU_DEP_1) | instskip(SKIP_1) | instid1(VALU_DEP_2)
	v_dual_add_f32 v19, v23, v19 :: v_dual_max_f32 v26, v24, v21
	v_min_f32_e32 v21, v24, v21
	v_add_f32_e32 v23, v22, v19
	s_delay_alu instid0(VALU_DEP_3) | instskip(SKIP_1) | instid1(VALU_DEP_3)
	v_frexp_mant_f32_e32 v28, v26
	v_frexp_exp_i32_f32_e32 v24, v26
	v_mul_f32_e32 v25, v23, v23
	v_ldexp_f32 v29, v23, 1
	s_delay_alu instid0(VALU_DEP_2) | instskip(SKIP_1) | instid1(VALU_DEP_2)
	v_dual_sub_f32 v22, v23, v22 :: v_dual_fmaak_f32 v27, s21, v25, 0x3ecc95a3
	v_mul_f32_e32 v26, v23, v25
	v_sub_f32_e32 v19, v19, v22
	s_delay_alu instid0(VALU_DEP_3)
	v_fmaak_f32 v25, v25, v27, 0x3f2aaada
	v_rcp_f32_e32 v27, v28
	v_frexp_exp_i32_f32_e32 v28, v21
	v_frexp_mant_f32_e32 v21, v21
	v_ldexp_f32 v19, v19, 1
	v_dual_mul_f32 v25, v26, v25 :: v_dual_mul_f32 v26, 0x3f317218, v18
	s_delay_alu instid0(VALU_DEP_4) | instskip(NEXT) | instid1(VALU_DEP_2)
	v_sub_nc_u32_e32 v24, v28, v24
	v_add_f32_e32 v23, v29, v25
	s_delay_alu instid0(TRANS32_DEP_1) | instid1(VALU_DEP_1)
	v_dual_mul_f32 v21, v21, v27 :: v_dual_sub_f32 v22, v23, v29
	s_delay_alu instid0(VALU_DEP_1) | instskip(SKIP_1) | instid1(VALU_DEP_3)
	v_ldexp_f32 v21, v21, v24
	v_fma_f32 v24, 0x3f317218, v18, -v26
	v_sub_f32_e32 v22, v25, v22
	s_delay_alu instid0(VALU_DEP_2) | instskip(NEXT) | instid1(VALU_DEP_2)
	v_fmac_f32_e32 v24, 0xb102e308, v18
	v_add_f32_e32 v18, v19, v22
	s_delay_alu instid0(VALU_DEP_1) | instskip(NEXT) | instid1(VALU_DEP_1)
	v_dual_add_f32 v22, v26, v24 :: v_dual_add_f32 v27, v23, v18
	v_sub_f32_e32 v26, v22, v26
	s_delay_alu instid0(VALU_DEP_2) | instskip(NEXT) | instid1(VALU_DEP_2)
	v_add_f32_e32 v28, v22, v27
	v_dual_sub_f32 v23, v27, v23 :: v_dual_sub_f32 v24, v24, v26
	s_delay_alu instid0(VALU_DEP_1) | instskip(NEXT) | instid1(VALU_DEP_1)
	v_dual_sub_f32 v29, v28, v22 :: v_dual_sub_f32 v18, v18, v23
	v_sub_f32_e32 v30, v28, v29
	s_delay_alu instid0(VALU_DEP_2) | instskip(NEXT) | instid1(VALU_DEP_2)
	v_dual_sub_f32 v23, v27, v29 :: v_dual_add_f32 v26, v24, v18
	v_sub_f32_e32 v22, v22, v30
	s_delay_alu instid0(VALU_DEP_1) | instskip(NEXT) | instid1(VALU_DEP_1)
	v_dual_add_f32 v22, v23, v22 :: v_dual_sub_f32 v23, v26, v24
	v_dual_add_f32 v22, v26, v22 :: v_dual_mul_f32 v25, v21, v21
	s_delay_alu instid0(VALU_DEP_1) | instskip(NEXT) | instid1(VALU_DEP_1)
	v_dual_sub_f32 v18, v18, v23 :: v_dual_fmaak_f32 v19, s26, v25, 0xbc7a590c
	v_fmaak_f32 v19, v25, v19, 0x3d29fb3f
	s_delay_alu instid0(VALU_DEP_1) | instskip(NEXT) | instid1(VALU_DEP_1)
	v_fmaak_f32 v19, v25, v19, 0xbd97d4d7
	v_fmaak_f32 v19, v25, v19, 0x3dd931b2
	s_delay_alu instid0(VALU_DEP_1) | instskip(NEXT) | instid1(VALU_DEP_1)
	v_fmaak_f32 v19, v25, v19, 0xbe1160e6
	v_fmaak_f32 v19, v25, v19, 0x3e4cb8bf
	s_delay_alu instid0(VALU_DEP_1) | instskip(NEXT) | instid1(VALU_DEP_1)
	v_fmaak_f32 v19, v25, v19, 0xbeaaaa62
	v_mul_f32_e32 v19, v25, v19
	v_dual_sub_f32 v25, v26, v23 :: v_dual_add_f32 v26, v28, v22
	s_delay_alu instid0(VALU_DEP_2) | instskip(NEXT) | instid1(VALU_DEP_2)
	v_fmac_f32_e32 v21, v21, v19
	v_sub_f32_e32 v19, v24, v25
	s_delay_alu instid0(VALU_DEP_2) | instskip(NEXT) | instid1(VALU_DEP_2)
	v_dual_sub_f32 v23, v26, v28 :: v_dual_sub_f32 v24, 0x3fc90fdb, v21
	v_add_f32_e32 v18, v18, v19
	s_delay_alu instid0(VALU_DEP_2) | instskip(SKIP_3) | instid1(VALU_DEP_4)
	v_sub_f32_e32 v19, v22, v23
	v_cndmask_b32_e64 v22, 0, 0x40490fdb, vcc_lo
	v_cmp_eq_f32_e32 vcc_lo, 0x7f800000, v20
	v_cndmask_b32_e64 v21, v21, v24, s6
	v_add_f32_e32 v18, v18, v19
	s_or_b32 vcc_lo, vcc_lo, s11
	s_delay_alu instid0(VALU_DEP_2) | instskip(NEXT) | instid1(VALU_DEP_2)
	v_sub_f32_e32 v19, 0x40490fdb, v21
	v_add_f32_e32 v9, v26, v18
	s_delay_alu instid0(VALU_DEP_2) | instskip(SKIP_1) | instid1(VALU_DEP_3)
	v_cndmask_b32_e64 v18, v21, v19, s7
	v_cndmask_b32_e64 v19, 0x3f490fdb, v17, s7
	v_cndmask_b32_e32 v9, v9, v20, vcc_lo
	v_cmp_eq_f32_e32 vcc_lo, 0, v10
	s_delay_alu instid0(VALU_DEP_4) | instskip(NEXT) | instid1(VALU_DEP_3)
	v_cndmask_b32_e32 v20, v18, v22, vcc_lo
	v_mul_f32_e32 v18, 0.5, v9
	s_and_b32 vcc_lo, s12, s10
	s_delay_alu instid0(VALU_DEP_2)
	v_cndmask_b32_e32 v19, v20, v19, vcc_lo
                                        ; implicit-def: $vgpr20
.LBB199_33:                             ;   in Loop: Header=BB199_4 Depth=1
	s_and_not1_saveexec_b32 s9, s9
	s_cbranch_execz .LBB199_35
; %bb.34:                               ;   in Loop: Header=BB199_4 Depth=1
	v_max_f32_e64 v18, |v10|, |v10|
	v_max_f32_e64 v19, |v9|, |v9|
	v_cmp_gt_i32_e32 vcc_lo, 0, v9
	v_cmp_eq_f32_e64 s7, 0, v10
	v_cmp_class_f32_e64 s10, v9, 0x204
	v_cmp_class_f32_e64 s11, v10, 0x204
	v_max_f32_e32 v21, v19, v18
	v_min_f32_e32 v18, v19, v18
	s_delay_alu instid0(VALU_DEP_2) | instskip(NEXT) | instid1(VALU_DEP_1)
	v_frexp_mant_f32_e32 v22, v21
	v_rcp_f32_e32 v19, v22
	s_delay_alu instid0(VALU_DEP_2) | instskip(SKIP_4) | instid1(VALU_DEP_1)
	v_frexp_exp_i32_f32_e32 v22, v18
	v_frexp_mant_f32_e32 v18, v18
	s_waitcnt_depctr 0xfff
	v_mul_f32_e32 v18, v18, v19
	v_frexp_exp_i32_f32_e32 v21, v21
	v_sub_nc_u32_e32 v21, v22, v21
	s_delay_alu instid0(VALU_DEP_1) | instskip(NEXT) | instid1(VALU_DEP_1)
	v_ldexp_f32 v18, v18, v21
	v_mul_f32_e32 v19, v18, v18
	s_delay_alu instid0(VALU_DEP_1) | instskip(NEXT) | instid1(VALU_DEP_1)
	v_fmaak_f32 v21, s26, v19, 0xbc7a590c
	v_fmaak_f32 v21, v19, v21, 0x3d29fb3f
	s_delay_alu instid0(VALU_DEP_1) | instskip(NEXT) | instid1(VALU_DEP_1)
	v_fmaak_f32 v21, v19, v21, 0xbd97d4d7
	v_fmaak_f32 v21, v19, v21, 0x3dd931b2
	s_delay_alu instid0(VALU_DEP_1) | instskip(NEXT) | instid1(VALU_DEP_1)
	v_fmaak_f32 v21, v19, v21, 0xbe1160e6
	v_fmaak_f32 v21, v19, v21, 0x3e4cb8bf
	s_delay_alu instid0(VALU_DEP_1) | instskip(NEXT) | instid1(VALU_DEP_1)
	v_fmaak_f32 v21, v19, v21, 0xbeaaaa62
	v_mul_f32_e32 v19, v19, v21
	v_cndmask_b32_e64 v21, 0, 0x40490fdb, vcc_lo
	v_cmp_gt_f32_e32 vcc_lo, 0, v9
	s_delay_alu instid0(VALU_DEP_3) | instskip(NEXT) | instid1(VALU_DEP_1)
	v_fmac_f32_e32 v18, v18, v19
	v_sub_f32_e32 v19, 0x3fc90fdb, v18
	s_delay_alu instid0(VALU_DEP_1) | instskip(NEXT) | instid1(VALU_DEP_1)
	v_cndmask_b32_e64 v18, v18, v19, s6
	v_sub_f32_e32 v19, 0x40490fdb, v18
	s_delay_alu instid0(VALU_DEP_1) | instskip(NEXT) | instid1(VALU_DEP_1)
	v_dual_cndmask_b32 v18, v18, v19 :: v_dual_mul_f32 v19, 0.5, v20
	v_cndmask_b32_e64 v9, v18, v21, s7
	s_delay_alu instid0(VALU_DEP_2) | instskip(SKIP_1) | instid1(VALU_DEP_1)
	v_dual_mul_f32 v18, v20, v19 :: v_dual_cndmask_b32 v21, 0x3f490fdb, v17
	s_and_b32 vcc_lo, s11, s10
	v_cndmask_b32_e32 v19, v9, v21, vcc_lo
.LBB199_35:                             ;   in Loop: Header=BB199_4 Depth=1
	s_or_b32 exec_lo, exec_lo, s9
.LBB199_36:                             ;   in Loop: Header=BB199_4 Depth=1
	s_delay_alu instid0(SALU_CYCLE_1)
	s_or_b32 exec_lo, exec_lo, s8
.LBB199_37:                             ;   in Loop: Header=BB199_4 Depth=1
	s_and_not1_saveexec_b32 s8, s28
	s_cbranch_execz .LBB199_39
; %bb.38:                               ;   in Loop: Header=BB199_4 Depth=1
	v_div_scale_f32 v18, null, 0x402df854, 0x402df854, v9
	v_div_scale_f32 v19, null, 0x402df854, 0x402df854, v10
	v_div_scale_f32 v24, vcc_lo, v9, 0x402df854, v9
	s_delay_alu instid0(VALU_DEP_3) | instskip(NEXT) | instid1(VALU_DEP_2)
	v_rcp_f32_e32 v20, v18
	v_rcp_f32_e32 v21, v19
	v_cmp_class_f32_e64 s9, v10, 0x204
	s_waitcnt_depctr 0xfff
	v_fma_f32 v22, -v18, v20, 1.0
	v_fma_f32 v23, -v19, v21, 1.0
	s_delay_alu instid0(VALU_DEP_1) | instskip(SKIP_1) | instid1(VALU_DEP_2)
	v_dual_fmac_f32 v20, v22, v20 :: v_dual_fmac_f32 v21, v23, v21
	v_div_scale_f32 v22, s7, v10, 0x402df854, v10
	v_mul_f32_e32 v23, v24, v20
	s_delay_alu instid0(VALU_DEP_1) | instskip(NEXT) | instid1(VALU_DEP_1)
	v_fma_f32 v26, -v18, v23, v24
	v_fmac_f32_e32 v23, v26, v20
	s_delay_alu instid0(VALU_DEP_1) | instskip(NEXT) | instid1(VALU_DEP_1)
	v_fma_f32 v18, -v18, v23, v24
	v_div_fmas_f32 v18, v18, v20, v23
	v_max_f32_e64 v23, |v9|, |v9|
	v_mul_f32_e32 v25, v22, v21
	s_mov_b32 vcc_lo, s7
	v_cmp_class_f32_e64 s7, v9, 0x204
	v_div_fixup_f32 v20, v18, 0x402df854, v9
	s_delay_alu instid0(VALU_DEP_3) | instskip(NEXT) | instid1(VALU_DEP_1)
	v_fma_f32 v27, -v19, v25, v22
	v_fmac_f32_e32 v25, v27, v21
	s_delay_alu instid0(VALU_DEP_1) | instskip(NEXT) | instid1(VALU_DEP_1)
	v_fma_f32 v19, -v19, v25, v22
	v_div_fmas_f32 v19, v19, v21, v25
	s_delay_alu instid0(VALU_DEP_1) | instskip(NEXT) | instid1(VALU_DEP_1)
	v_div_fixup_f32 v21, v19, 0x402df854, v10
	v_max_f32_e64 v22, |v20|, |v21|
	s_delay_alu instid0(VALU_DEP_1) | instskip(SKIP_1) | instid1(VALU_DEP_2)
	v_cvt_f64_f32_e32 v[18:19], v22
	v_cmp_neq_f32_e32 vcc_lo, 0x7f800000, v22
	v_frexp_exp_i32_f64_e32 v18, v[18:19]
	v_max_f32_e64 v19, |v10|, |v10|
	s_delay_alu instid0(VALU_DEP_1) | instskip(SKIP_1) | instid1(VALU_DEP_2)
	v_max_f32_e32 v24, v23, v19
	v_min_f32_e32 v19, v23, v19
	v_frexp_mant_f32_e32 v25, v24
	v_frexp_exp_i32_f32_e32 v24, v24
	s_delay_alu instid0(VALU_DEP_3) | instskip(SKIP_1) | instid1(VALU_DEP_4)
	v_frexp_exp_i32_f32_e32 v26, v19
	v_frexp_mant_f32_e32 v19, v19
	v_rcp_f32_e32 v23, v25
	s_delay_alu instid0(VALU_DEP_2) | instskip(SKIP_1) | instid1(VALU_DEP_1)
	v_sub_nc_u32_e32 v24, v26, v24
	v_sub_nc_u32_e32 v25, 0, v18
	v_ldexp_f32 v21, |v21|, v25
	v_ldexp_f32 v20, |v20|, v25
	s_delay_alu instid0(VALU_DEP_2) | instskip(NEXT) | instid1(VALU_DEP_1)
	v_mul_f32_e32 v21, v21, v21
	v_fmac_f32_e32 v21, v20, v20
	s_delay_alu instid0(VALU_DEP_1) | instskip(SKIP_2) | instid1(VALU_DEP_1)
	v_sqrt_f32_e32 v21, v21
	s_waitcnt_depctr 0xfff
	v_ldexp_f32 v18, v21, v18
	v_cndmask_b32_e32 v18, 0x7f800000, v18, vcc_lo
	s_delay_alu instid0(VALU_DEP_1) | instskip(SKIP_1) | instid1(VALU_DEP_1)
	v_cmp_gt_f32_e32 vcc_lo, 0x800000, v18
	v_cndmask_b32_e64 v22, 1.0, 0x4f800000, vcc_lo
	v_mul_f32_e32 v18, v18, v22
	s_delay_alu instid0(VALU_DEP_1) | instskip(SKIP_1) | instid1(VALU_DEP_1)
	v_log_f32_e32 v18, v18
	v_mul_f32_e32 v19, v19, v23
	v_ldexp_f32 v19, v19, v24
	s_delay_alu instid0(VALU_DEP_1) | instskip(NEXT) | instid1(VALU_DEP_1)
	v_mul_f32_e32 v20, v19, v19
	v_fmaak_f32 v23, s26, v20, 0xbc7a590c
	s_delay_alu instid0(VALU_DEP_1) | instskip(NEXT) | instid1(VALU_DEP_1)
	v_fmaak_f32 v23, v20, v23, 0x3d29fb3f
	v_fmaak_f32 v21, v20, v23, 0xbd97d4d7
	v_cndmask_b32_e64 v23, 0, 0x41b17218, vcc_lo
	s_delay_alu instid0(TRANS32_DEP_1) | instskip(NEXT) | instid1(VALU_DEP_3)
	v_cmp_gt_f32_e64 vcc_lo, 0x7f800000, |v18|
	v_fmaak_f32 v21, v20, v21, 0x3dd931b2
	s_delay_alu instid0(VALU_DEP_1) | instskip(NEXT) | instid1(VALU_DEP_1)
	v_fmaak_f32 v21, v20, v21, 0xbe1160e6
	v_fmaak_f32 v21, v20, v21, 0x3e4cb8bf
	s_delay_alu instid0(VALU_DEP_1) | instskip(NEXT) | instid1(VALU_DEP_1)
	v_fmaak_f32 v21, v20, v21, 0xbeaaaa62
	v_dual_mul_f32 v20, v20, v21 :: v_dual_mul_f32 v21, 0x3f317217, v18
	s_delay_alu instid0(VALU_DEP_1) | instskip(NEXT) | instid1(VALU_DEP_2)
	v_fmac_f32_e32 v19, v19, v20
	v_fma_f32 v20, 0x3f317217, v18, -v21
	s_delay_alu instid0(VALU_DEP_2) | instskip(NEXT) | instid1(VALU_DEP_2)
	v_sub_f32_e32 v22, 0x3fc90fdb, v19
	v_fmac_f32_e32 v20, 0x3377d1cf, v18
	s_delay_alu instid0(VALU_DEP_2) | instskip(SKIP_1) | instid1(VALU_DEP_2)
	v_cndmask_b32_e64 v19, v19, v22, s6
	v_cmp_gt_i32_e64 s6, 0, v9
	v_dual_add_f32 v20, v21, v20 :: v_dual_sub_f32 v21, 0x40490fdb, v19
	s_delay_alu instid0(VALU_DEP_2) | instskip(NEXT) | instid1(VALU_DEP_2)
	v_cndmask_b32_e64 v22, 0, 0x40490fdb, s6
	v_cndmask_b32_e32 v18, v18, v20, vcc_lo
	v_cmp_gt_f32_e64 s6, 0, v9
	v_cmp_eq_f32_e32 vcc_lo, 0, v10
	s_delay_alu instid0(VALU_DEP_3) | instskip(NEXT) | instid1(VALU_DEP_3)
	v_sub_f32_e32 v18, v18, v23
	v_cndmask_b32_e64 v9, v19, v21, s6
	v_cndmask_b32_e64 v19, 0x3f490fdb, v17, s6
	s_delay_alu instid0(VALU_DEP_3) | instskip(NEXT) | instid1(VALU_DEP_3)
	v_add_f32_e32 v18, 1.0, v18
	v_cndmask_b32_e32 v9, v9, v22, vcc_lo
	s_and_b32 vcc_lo, s9, s7
	s_delay_alu instid0(VALU_DEP_1)
	v_cndmask_b32_e32 v19, v9, v19, vcc_lo
.LBB199_39:                             ;   in Loop: Header=BB199_4 Depth=1
	s_or_b32 exec_lo, exec_lo, s8
.LBB199_40:                             ;   in Loop: Header=BB199_4 Depth=1
	s_and_not1_saveexec_b32 s6, s27
	s_cbranch_execz .LBB199_46
; %bb.41:                               ;   in Loop: Header=BB199_4 Depth=1
	v_cmp_ngt_f32_e64 s7, 0x20000000, |v9|
	v_cmp_ngt_f32_e64 s8, 0x20000000, |v10|
                                        ; implicit-def: $vgpr18
	s_delay_alu instid0(VALU_DEP_1) | instskip(NEXT) | instid1(SALU_CYCLE_1)
	s_or_b32 s7, s8, s7
	s_and_saveexec_b32 s8, s7
	s_delay_alu instid0(SALU_CYCLE_1)
	s_xor_b32 s7, exec_lo, s8
; %bb.42:                               ;   in Loop: Header=BB199_4 Depth=1
	v_mul_f32_e32 v18, v9, v9
	s_delay_alu instid0(VALU_DEP_1)
	v_fmac_f32_e32 v18, v10, v10
; %bb.43:                               ;   in Loop: Header=BB199_4 Depth=1
	s_and_not1_saveexec_b32 s7, s7
; %bb.44:                               ;   in Loop: Header=BB199_4 Depth=1
	v_dual_mul_f32 v9, 4.0, v9 :: v_dual_mul_f32 v18, 4.0, v10
	s_delay_alu instid0(VALU_DEP_1) | instskip(NEXT) | instid1(VALU_DEP_1)
	v_mul_f32_e32 v9, v9, v9
	v_fmac_f32_e32 v9, v18, v18
	s_delay_alu instid0(VALU_DEP_1)
	v_mul_f32_e32 v18, 0x3d800000, v9
; %bb.45:                               ;   in Loop: Header=BB199_4 Depth=1
	s_or_b32 exec_lo, exec_lo, s7
	s_delay_alu instid0(VALU_DEP_1) | instskip(SKIP_1) | instid1(VALU_DEP_1)
	v_cmp_gt_f32_e32 vcc_lo, 0x800000, v18
	v_cndmask_b32_e64 v9, 1.0, 0x4f800000, vcc_lo
	v_mul_f32_e32 v9, v18, v9
	s_delay_alu instid0(VALU_DEP_1) | instskip(SKIP_2) | instid1(VALU_DEP_1)
	v_log_f32_e32 v9, v9
	s_waitcnt_depctr 0xfff
	v_mul_f32_e32 v18, 0x3f317217, v9
	v_fma_f32 v19, 0x3f317217, v9, -v18
	s_delay_alu instid0(VALU_DEP_1) | instskip(NEXT) | instid1(VALU_DEP_1)
	v_fmac_f32_e32 v19, 0x3377d1cf, v9
	v_add_f32_e32 v18, v18, v19
	v_cndmask_b32_e64 v19, 0, 0x41b17218, vcc_lo
	v_cmp_gt_f32_e64 vcc_lo, 0x7f800000, |v9|
	s_delay_alu instid0(VALU_DEP_3) | instskip(NEXT) | instid1(VALU_DEP_1)
	v_cndmask_b32_e32 v9, v9, v18, vcc_lo
	v_dual_sub_f32 v18, v9, v19 :: v_dual_mov_b32 v19, 0x7fc00000
.LBB199_46:                             ;   in Loop: Header=BB199_4 Depth=1
	s_or_b32 exec_lo, exec_lo, s6
                                        ; implicit-def: $vgpr9
                                        ; implicit-def: $vgpr20
	s_delay_alu instid0(SALU_CYCLE_1)
	s_mov_b32 s6, exec_lo
	v_cmpx_o_f32_e32 v14, v13
	s_xor_b32 s27, exec_lo, s6
	s_cbranch_execz .LBB199_74
; %bb.47:                               ;   in Loop: Header=BB199_4 Depth=1
	v_cmp_lt_f32_e64 s6, |v13|, |v14|
                                        ; implicit-def: $vgpr9
                                        ; implicit-def: $vgpr20
	s_mov_b32 s7, exec_lo
	s_delay_alu instid0(VALU_DEP_1) | instskip(NEXT) | instid1(VALU_DEP_1)
	v_cndmask_b32_e64 v21, |v14|, |v13|, s6
	v_cmpx_nlt_f32_e32 0x77f684df, v21
	s_xor_b32 s28, exec_lo, s7
	s_cbranch_execz .LBB199_71
; %bb.48:                               ;   in Loop: Header=BB199_4 Depth=1
	v_and_b32_e32 v9, 0x7fffffff, v14
                                        ; implicit-def: $vgpr20
	s_mov_b32 s7, exec_lo
	s_delay_alu instid0(VALU_DEP_1) | instskip(NEXT) | instid1(VALU_DEP_1)
	v_cndmask_b32_e64 v22, |v13|, v9, s6
                                        ; implicit-def: $vgpr9
	v_cmpx_neq_f32_e32 1.0, v22
	s_xor_b32 s29, exec_lo, s7
	s_cbranch_execz .LBB199_64
; %bb.49:                               ;   in Loop: Header=BB199_4 Depth=1
	v_dual_max_f32 v9, v21, v21 :: v_dual_max_f32 v20, v22, v22
	s_delay_alu instid0(VALU_DEP_1) | instskip(SKIP_1) | instid1(VALU_DEP_2)
	v_min_f32_e32 v23, v20, v9
	v_max_f32_e32 v9, v20, v9
                                        ; implicit-def: $vgpr20
	v_cmp_ngt_f32_e32 vcc_lo, 0x358637bd, v23
	s_delay_alu instid0(VALU_DEP_2) | instskip(NEXT) | instid1(VALU_DEP_1)
	v_cmp_nlt_f32_e64 s7, 0x49742400, v9
                                        ; implicit-def: $vgpr9
	s_and_b32 s7, s7, vcc_lo
	s_delay_alu instid0(SALU_CYCLE_1) | instskip(NEXT) | instid1(SALU_CYCLE_1)
	s_and_saveexec_b32 s8, s7
	s_xor_b32 s30, exec_lo, s8
	s_cbranch_execz .LBB199_61
; %bb.50:                               ;   in Loop: Header=BB199_4 Depth=1
                                        ; implicit-def: $vgpr9
                                        ; implicit-def: $vgpr20
	s_mov_b32 s7, exec_lo
	v_cmpx_le_f32_e32 1.0, v22
	s_xor_b32 s8, exec_lo, s7
	s_cbranch_execz .LBB199_52
; %bb.51:                               ;   in Loop: Header=BB199_4 Depth=1
	v_add_f32_e32 v9, -1.0, v22
	v_add_f32_e32 v20, 1.0, v22
	v_cmp_class_f32_e64 s9, v13, 0x204
	s_delay_alu instid0(VALU_DEP_2) | instskip(NEXT) | instid1(VALU_DEP_1)
	v_mul_f32_e32 v9, v9, v20
	v_fmac_f32_e32 v9, v21, v21
	s_delay_alu instid0(VALU_DEP_1) | instskip(SKIP_1) | instid1(VALU_DEP_2)
	v_add_f32_e32 v22, 1.0, v9
	v_cmp_neq_f32_e64 s7, -1.0, v9
	v_cvt_f64_f32_e32 v[20:21], v22
	s_delay_alu instid0(VALU_DEP_1) | instskip(SKIP_1) | instid1(VALU_DEP_1)
	v_frexp_exp_i32_f64_e32 v20, v[20:21]
	v_frexp_mant_f32_e32 v21, v22
	v_cmp_gt_f32_e32 vcc_lo, 0x3f2aaaab, v21
	v_add_f32_e32 v21, -1.0, v22
	s_delay_alu instid0(VALU_DEP_1) | instskip(NEXT) | instid1(VALU_DEP_1)
	v_sub_f32_e32 v24, v21, v22
	v_dual_sub_f32 v21, v9, v21 :: v_dual_add_f32 v24, 1.0, v24
	s_delay_alu instid0(VALU_DEP_1) | instskip(SKIP_2) | instid1(VALU_DEP_2)
	v_add_f32_e32 v21, v21, v24
	v_subrev_co_ci_u32_e32 v20, vcc_lo, 0, v20, vcc_lo
	v_cmp_eq_f32_e32 vcc_lo, 0x7f800000, v9
	v_sub_nc_u32_e32 v23, 0, v20
	v_cvt_f32_i32_e32 v20, v20
	s_delay_alu instid0(VALU_DEP_2) | instskip(SKIP_1) | instid1(VALU_DEP_2)
	v_ldexp_f32 v22, v22, v23
	v_ldexp_f32 v21, v21, v23
	v_add_f32_e32 v25, 1.0, v22
	s_delay_alu instid0(VALU_DEP_1) | instskip(NEXT) | instid1(VALU_DEP_1)
	v_add_f32_e32 v24, -1.0, v25
	v_sub_f32_e32 v24, v22, v24
	s_delay_alu instid0(VALU_DEP_1) | instskip(NEXT) | instid1(VALU_DEP_1)
	v_dual_add_f32 v24, v21, v24 :: v_dual_add_f32 v23, -1.0, v22
	v_add_f32_e32 v26, 1.0, v23
	s_delay_alu instid0(VALU_DEP_1) | instskip(NEXT) | instid1(VALU_DEP_3)
	v_sub_f32_e32 v22, v22, v26
	v_add_f32_e32 v26, v25, v24
	s_delay_alu instid0(VALU_DEP_1) | instskip(NEXT) | instid1(VALU_DEP_3)
	v_sub_f32_e32 v25, v26, v25
	v_add_f32_e32 v21, v21, v22
	v_rcp_f32_e32 v22, v26
	s_delay_alu instid0(VALU_DEP_2) | instskip(NEXT) | instid1(VALU_DEP_2)
	v_sub_f32_e32 v24, v24, v25
	v_add_f32_e32 v27, v23, v21
	s_delay_alu instid0(VALU_DEP_1) | instskip(SKIP_2) | instid1(VALU_DEP_1)
	v_sub_f32_e32 v23, v27, v23
	s_waitcnt_depctr 0xfff
	v_dual_mul_f32 v28, v27, v22 :: v_dual_sub_f32 v21, v21, v23
	v_mul_f32_e32 v29, v26, v28
	s_delay_alu instid0(VALU_DEP_1) | instskip(NEXT) | instid1(VALU_DEP_1)
	v_fma_f32 v25, v28, v26, -v29
	v_fmac_f32_e32 v25, v28, v24
	s_delay_alu instid0(VALU_DEP_1) | instskip(NEXT) | instid1(VALU_DEP_1)
	v_add_f32_e32 v30, v29, v25
	v_sub_f32_e32 v31, v27, v30
	s_delay_alu instid0(VALU_DEP_1) | instskip(SKIP_1) | instid1(VALU_DEP_2)
	v_sub_f32_e32 v27, v27, v31
	v_sub_f32_e32 v23, v30, v29
	;; [unrolled: 1-line block ×3, first 2 shown]
	s_delay_alu instid0(VALU_DEP_2) | instskip(NEXT) | instid1(VALU_DEP_2)
	v_sub_f32_e32 v23, v23, v25
	v_add_f32_e32 v21, v21, v27
	s_delay_alu instid0(VALU_DEP_1) | instskip(NEXT) | instid1(VALU_DEP_1)
	v_add_f32_e32 v21, v23, v21
	v_add_f32_e32 v23, v31, v21
	s_delay_alu instid0(VALU_DEP_1) | instskip(NEXT) | instid1(VALU_DEP_1)
	v_mul_f32_e32 v25, v22, v23
	v_mul_f32_e32 v27, v26, v25
	s_delay_alu instid0(VALU_DEP_1) | instskip(NEXT) | instid1(VALU_DEP_1)
	v_fma_f32 v26, v25, v26, -v27
	v_fmac_f32_e32 v26, v25, v24
	v_sub_f32_e32 v30, v31, v23
	s_delay_alu instid0(VALU_DEP_2) | instskip(NEXT) | instid1(VALU_DEP_2)
	v_add_f32_e32 v24, v27, v26
	v_add_f32_e32 v21, v21, v30
	s_delay_alu instid0(VALU_DEP_2) | instskip(SKIP_1) | instid1(VALU_DEP_2)
	v_sub_f32_e32 v29, v23, v24
	v_sub_f32_e32 v27, v24, v27
	;; [unrolled: 1-line block ×3, first 2 shown]
	s_delay_alu instid0(VALU_DEP_1) | instskip(NEXT) | instid1(VALU_DEP_3)
	v_sub_f32_e32 v23, v23, v24
	v_sub_f32_e32 v24, v27, v26
	v_max_f32_e64 v26, |v14|, |v14|
	s_delay_alu instid0(VALU_DEP_3) | instskip(SKIP_1) | instid1(VALU_DEP_1)
	v_add_f32_e32 v21, v21, v23
	v_add_f32_e32 v23, v28, v25
	v_dual_add_f32 v21, v24, v21 :: v_dual_sub_f32 v24, v23, v28
	s_delay_alu instid0(VALU_DEP_1) | instskip(NEXT) | instid1(VALU_DEP_2)
	v_add_f32_e32 v21, v29, v21
	v_sub_f32_e32 v24, v25, v24
	v_mul_f32_e32 v29, 0x3f317218, v20
	s_delay_alu instid0(VALU_DEP_3) | instskip(NEXT) | instid1(VALU_DEP_2)
	v_mul_f32_e32 v21, v22, v21
	v_fma_f32 v30, 0x3f317218, v20, -v29
	s_delay_alu instid0(VALU_DEP_1) | instskip(NEXT) | instid1(VALU_DEP_1)
	v_dual_add_f32 v21, v24, v21 :: v_dual_fmac_f32 v30, 0xb102e308, v20
	v_add_f32_e32 v22, v23, v21
	s_delay_alu instid0(VALU_DEP_1) | instskip(SKIP_1) | instid1(VALU_DEP_2)
	v_mul_f32_e32 v24, v22, v22
	v_ldexp_f32 v28, v22, 1
	v_fmaak_f32 v25, s21, v24, 0x3ecc95a3
	v_mul_f32_e32 v27, v22, v24
	v_sub_f32_e32 v22, v22, v23
	s_delay_alu instid0(VALU_DEP_3) | instskip(SKIP_1) | instid1(VALU_DEP_2)
	v_fmaak_f32 v24, v24, v25, 0x3f2aaada
	v_max_f32_e64 v25, |v13|, |v13|
	v_dual_sub_f32 v21, v21, v22 :: v_dual_mul_f32 v24, v27, v24
	s_delay_alu instid0(VALU_DEP_2) | instskip(SKIP_1) | instid1(VALU_DEP_3)
	v_max_f32_e32 v27, v25, v26
	v_min_f32_e32 v25, v25, v26
	v_ldexp_f32 v21, v21, 1
	s_delay_alu instid0(VALU_DEP_4) | instskip(NEXT) | instid1(VALU_DEP_4)
	v_add_f32_e32 v23, v28, v24
	v_frexp_mant_f32_e32 v26, v27
	v_frexp_exp_i32_f32_e32 v27, v27
	s_delay_alu instid0(VALU_DEP_3) | instskip(NEXT) | instid1(VALU_DEP_3)
	v_sub_f32_e32 v22, v23, v28
	v_rcp_f32_e32 v26, v26
	v_frexp_exp_i32_f32_e32 v28, v25
	s_delay_alu instid0(VALU_DEP_2) | instskip(SKIP_1) | instid1(VALU_DEP_3)
	v_sub_f32_e32 v22, v24, v22
	v_frexp_mant_f32_e32 v24, v25
	v_sub_nc_u32_e32 v25, v28, v27
	s_delay_alu instid0(VALU_DEP_3) | instskip(SKIP_1) | instid1(VALU_DEP_1)
	v_add_f32_e32 v20, v21, v22
	v_add_f32_e32 v22, v29, v30
	v_sub_f32_e32 v29, v22, v29
	s_delay_alu instid0(VALU_DEP_1)
	v_sub_f32_e32 v29, v30, v29
	s_delay_alu instid0(TRANS32_DEP_1) | instid1(VALU_DEP_4)
	v_dual_mul_f32 v21, v24, v26 :: v_dual_add_f32 v24, v23, v20
	s_delay_alu instid0(VALU_DEP_1) | instskip(NEXT) | instid1(VALU_DEP_2)
	v_ldexp_f32 v21, v21, v25
	v_add_f32_e32 v25, v22, v24
	s_delay_alu instid0(VALU_DEP_2) | instskip(NEXT) | instid1(VALU_DEP_1)
	v_dual_sub_f32 v23, v24, v23 :: v_dual_mul_f32 v26, v21, v21
	v_dual_sub_f32 v27, v25, v22 :: v_dual_sub_f32 v20, v20, v23
	s_delay_alu instid0(VALU_DEP_1) | instskip(SKIP_1) | instid1(VALU_DEP_3)
	v_dual_fmaak_f32 v28, s26, v26, 0xbc7a590c :: v_dual_sub_f32 v31, v25, v27
	v_sub_f32_e32 v23, v24, v27
	v_add_f32_e32 v27, v29, v20
	s_delay_alu instid0(VALU_DEP_3) | instskip(NEXT) | instid1(VALU_DEP_4)
	v_fmaak_f32 v28, v26, v28, 0x3d29fb3f
	v_sub_f32_e32 v22, v22, v31
	s_delay_alu instid0(VALU_DEP_2) | instskip(NEXT) | instid1(VALU_DEP_1)
	v_fmaak_f32 v24, v26, v28, 0xbd97d4d7
	v_dual_add_f32 v22, v23, v22 :: v_dual_fmaak_f32 v23, v26, v24, 0x3dd931b2
	v_sub_f32_e32 v24, v27, v29
	s_delay_alu instid0(VALU_DEP_2) | instskip(NEXT) | instid1(VALU_DEP_1)
	v_dual_add_f32 v22, v27, v22 :: v_dual_fmaak_f32 v23, v26, v23, 0xbe1160e6
	v_dual_sub_f32 v27, v27, v24 :: v_dual_add_f32 v28, v25, v22
	s_delay_alu instid0(VALU_DEP_2) | instskip(NEXT) | instid1(VALU_DEP_2)
	v_dual_sub_f32 v20, v20, v24 :: v_dual_fmaak_f32 v23, v26, v23, 0x3e4cb8bf
	v_dual_sub_f32 v24, v29, v27 :: v_dual_sub_f32 v25, v28, v25
	s_delay_alu instid0(VALU_DEP_1) | instskip(NEXT) | instid1(VALU_DEP_2)
	v_dual_fmaak_f32 v23, v26, v23, 0xbeaaaa62 :: v_dual_add_f32 v20, v20, v24
	v_sub_f32_e32 v22, v22, v25
	s_delay_alu instid0(VALU_DEP_1) | instskip(NEXT) | instid1(VALU_DEP_1)
	v_dual_mul_f32 v23, v26, v23 :: v_dual_add_f32 v20, v20, v22
	v_dual_fmac_f32 v21, v21, v23 :: v_dual_add_f32 v20, v28, v20
	s_delay_alu instid0(VALU_DEP_1) | instskip(NEXT) | instid1(VALU_DEP_2)
	v_sub_f32_e32 v22, 0x3fc90fdb, v21
	v_cndmask_b32_e32 v20, v20, v9, vcc_lo
	v_cmp_gt_i32_e32 vcc_lo, 0, v13
	s_delay_alu instid0(VALU_DEP_3) | instskip(SKIP_2) | instid1(VALU_DEP_3)
	v_cndmask_b32_e64 v21, v21, v22, s6
	v_cndmask_b32_e64 v22, 0, 0x40490fdb, vcc_lo
	v_cmp_ngt_f32_e32 vcc_lo, -1.0, v9
	v_sub_f32_e32 v23, 0x40490fdb, v21
	v_cndmask_b32_e32 v20, 0x7fc00000, v20, vcc_lo
	v_cmp_gt_f32_e32 vcc_lo, 0, v13
	s_delay_alu instid0(VALU_DEP_2) | instskip(NEXT) | instid1(VALU_DEP_4)
	v_cndmask_b32_e64 v13, 0xff800000, v20, s7
	v_cndmask_b32_e32 v20, v21, v23, vcc_lo
	v_cndmask_b32_e32 v21, 0x3f490fdb, v17, vcc_lo
	v_cmp_gt_f32_e64 vcc_lo, 0x33800000, |v9|
	v_cmp_class_f32_e64 s7, v14, 0x204
	v_cndmask_b32_e32 v9, v13, v9, vcc_lo
	v_cmp_eq_f32_e32 vcc_lo, 0, v14
	s_delay_alu instid0(VALU_DEP_2) | instskip(SKIP_2) | instid1(VALU_DEP_1)
	v_mul_f32_e32 v9, 0.5, v9
	v_cndmask_b32_e32 v13, v20, v22, vcc_lo
	s_and_b32 vcc_lo, s7, s9
                                        ; implicit-def: $vgpr22
	v_cndmask_b32_e32 v20, v13, v21, vcc_lo
                                        ; implicit-def: $vgpr21
.LBB199_52:                             ;   in Loop: Header=BB199_4 Depth=1
	s_and_not1_saveexec_b32 s31, s8
	s_cbranch_execz .LBB199_60
; %bb.53:                               ;   in Loop: Header=BB199_4 Depth=1
	v_mul_f32_e32 v23, v21, v21
                                        ; implicit-def: $vgpr9
                                        ; implicit-def: $vgpr20
	s_mov_b32 s7, exec_lo
	s_delay_alu instid0(VALU_DEP_1) | instskip(NEXT) | instid1(VALU_DEP_1)
	v_fmac_f32_e32 v23, v22, v22
	v_cmpx_ge_f32_e32 0x3f333333, v23
	s_xor_b32 s8, exec_lo, s7
	s_cbranch_execz .LBB199_55
; %bb.54:                               ;   in Loop: Header=BB199_4 Depth=1
	v_max_f32_e64 v9, |v14|, |v14|
	v_max_f32_e64 v20, |v13|, |v13|
	v_cmp_gt_f32_e32 vcc_lo, 0x800000, v23
	v_cmp_gt_i32_e64 s7, 0, v13
	v_cmp_class_f32_e64 s9, v13, 0x204
	v_cmp_class_f32_e64 s10, v14, 0x204
	v_max_f32_e32 v21, v20, v9
	v_min_f32_e32 v9, v20, v9
	v_cndmask_b32_e64 v24, 0, 0x41b17218, vcc_lo
	s_delay_alu instid0(VALU_DEP_3) | instskip(SKIP_1) | instid1(VALU_DEP_2)
	v_frexp_mant_f32_e32 v22, v21
	v_frexp_exp_i32_f32_e32 v21, v21
	v_rcp_f32_e32 v20, v22
	v_frexp_exp_i32_f32_e32 v22, v9
	v_frexp_mant_f32_e32 v9, v9
	s_delay_alu instid0(VALU_DEP_2) | instskip(SKIP_3) | instid1(VALU_DEP_1)
	v_sub_nc_u32_e32 v21, v22, v21
	v_cndmask_b32_e64 v22, 1.0, 0x4f800000, vcc_lo
	s_waitcnt_depctr 0xfff
	v_dual_mul_f32 v9, v9, v20 :: v_dual_mul_f32 v22, v23, v22
	v_ldexp_f32 v9, v9, v21
	s_delay_alu instid0(VALU_DEP_2) | instskip(NEXT) | instid1(VALU_DEP_1)
	v_log_f32_e32 v22, v22
	v_mul_f32_e32 v20, v9, v9
	s_delay_alu instid0(VALU_DEP_1) | instskip(SKIP_3) | instid1(VALU_DEP_1)
	v_fmaak_f32 v21, s26, v20, 0xbc7a590c
	s_waitcnt_depctr 0xfff
	v_cmp_gt_f32_e64 vcc_lo, 0x7f800000, |v22|
	v_fmaak_f32 v21, v20, v21, 0x3d29fb3f
	v_fmaak_f32 v21, v20, v21, 0xbd97d4d7
	s_delay_alu instid0(VALU_DEP_1) | instskip(NEXT) | instid1(VALU_DEP_1)
	v_fmaak_f32 v21, v20, v21, 0x3dd931b2
	v_fmaak_f32 v21, v20, v21, 0xbe1160e6
	s_delay_alu instid0(VALU_DEP_1) | instskip(NEXT) | instid1(VALU_DEP_1)
	;; [unrolled: 3-line block ×3, first 2 shown]
	v_dual_mul_f32 v20, v20, v21 :: v_dual_mul_f32 v21, 0x3f317217, v22
	v_fmac_f32_e32 v9, v9, v20
	s_delay_alu instid0(VALU_DEP_2) | instskip(NEXT) | instid1(VALU_DEP_1)
	v_fma_f32 v20, 0x3f317217, v22, -v21
	v_fmac_f32_e32 v20, 0x3377d1cf, v22
	s_delay_alu instid0(VALU_DEP_1) | instskip(NEXT) | instid1(VALU_DEP_1)
	v_dual_sub_f32 v23, 0x3fc90fdb, v9 :: v_dual_add_f32 v20, v21, v20
	v_cndmask_b32_e64 v9, v9, v23, s6
	v_cndmask_b32_e64 v21, 0, 0x40490fdb, s7
	v_cmp_eq_f32_e64 s7, 0, v14
	s_delay_alu instid0(VALU_DEP_3) | instskip(SKIP_1) | instid1(VALU_DEP_2)
	v_dual_cndmask_b32 v20, v22, v20 :: v_dual_sub_f32 v23, 0x40490fdb, v9
	v_cmp_gt_f32_e32 vcc_lo, 0, v13
                                        ; implicit-def: $vgpr22
	v_sub_f32_e32 v13, v20, v24
	s_delay_alu instid0(VALU_DEP_3) | instskip(NEXT) | instid1(VALU_DEP_1)
	v_cndmask_b32_e32 v9, v9, v23, vcc_lo
	v_cndmask_b32_e64 v20, v9, v21, s7
	v_cndmask_b32_e32 v21, 0x3f490fdb, v17, vcc_lo
	s_and_b32 vcc_lo, s10, s9
	v_mul_f32_e32 v9, 0.5, v13
	s_delay_alu instid0(VALU_DEP_2)
	v_cndmask_b32_e32 v20, v20, v21, vcc_lo
                                        ; implicit-def: $vgpr21
.LBB199_55:                             ;   in Loop: Header=BB199_4 Depth=1
	s_and_not1_saveexec_b32 s33, s8
	s_cbranch_execz .LBB199_59
; %bb.56:                               ;   in Loop: Header=BB199_4 Depth=1
	v_and_b32_e32 v23, 0x7fff0000, v21
	v_and_b32_e32 v20, 0x7fff0000, v22
	s_mov_b32 s34, 0
	s_delay_alu instid0(VALU_DEP_2) | instskip(SKIP_1) | instid1(VALU_DEP_3)
	v_sub_f32_e32 v24, v21, v23
	v_mul_f32_e32 v21, v23, v23
	v_mul_f32_e32 v9, v20, v20
	v_sub_f32_e32 v22, v22, v20
	s_delay_alu instid0(VALU_DEP_1) | instskip(NEXT) | instid1(VALU_DEP_1)
	v_dual_add_f32 v30, v23, v23 :: v_dual_and_b32 v25, 0xffff0000, v22
	v_dual_sub_f32 v23, v22, v25 :: v_dual_and_b32 v26, 0xffff0000, v24
	s_delay_alu instid0(VALU_DEP_1) | instskip(SKIP_2) | instid1(VALU_DEP_3)
	v_dual_add_f32 v27, v20, v20 :: v_dual_mul_f32 v20, v30, v26
	v_dual_sub_f32 v31, v24, v26 :: v_dual_mul_f32 v22, v25, v25
	v_add_f32_e32 v24, v25, v25
	v_dual_mul_f32 v29, v27, v25 :: v_dual_add_f32 v32, v26, v26
	v_dual_mul_f32 v28, v26, v26 :: v_dual_mul_f32 v25, v27, v23
	s_delay_alu instid0(VALU_DEP_4) | instskip(NEXT) | instid1(VALU_DEP_4)
	v_mul_f32_e32 v27, v30, v31
	v_mul_f32_e32 v26, v24, v23
	;; [unrolled: 1-line block ×5, first 2 shown]
.LBB199_57:                             ;   Parent Loop BB199_4 Depth=1
                                        ; =>  This Inner Loop Header: Depth=2
	v_cmp_nlt_f32_e32 vcc_lo, v9, v21
	s_delay_alu instid0(VALU_DEP_2) | instskip(SKIP_1) | instid1(VALU_DEP_2)
	v_dual_mov_b32 v32, v30 :: v_dual_cndmask_b32 v31, v9, v21
	v_cndmask_b32_e32 v9, v21, v9, vcc_lo
	v_cmp_nlt_f32_e64 s7, v31, v29
	s_delay_alu instid0(VALU_DEP_1) | instskip(SKIP_2) | instid1(VALU_DEP_2)
	v_cndmask_b32_e64 v30, v31, v29, s7
	v_cndmask_b32_e64 v21, v29, v31, s7
	s_and_b32 s35, vcc_lo, s7
	v_cmp_nlt_f32_e64 s8, v30, v20
	s_delay_alu instid0(VALU_DEP_1) | instskip(SKIP_1) | instid1(VALU_DEP_2)
	v_cndmask_b32_e64 v33, v30, v20, s8
	v_cndmask_b32_e64 v29, v20, v30, s8
	v_cmp_nlt_f32_e64 s9, v33, v22
	s_delay_alu instid0(VALU_DEP_1) | instskip(SKIP_2) | instid1(VALU_DEP_2)
	v_cndmask_b32_e64 v31, v33, v22, s9
	v_cndmask_b32_e64 v20, v22, v33, s9
	s_and_b32 s36, s8, s9
	v_cmp_nlt_f32_e64 s10, v31, v28
	s_delay_alu instid0(VALU_DEP_1) | instskip(SKIP_1) | instid1(VALU_DEP_2)
	v_cndmask_b32_e64 v34, v31, v28, s10
	v_cndmask_b32_e64 v22, v28, v31, s10
	v_cmp_nlt_f32_e64 s11, v34, v25
	s_delay_alu instid0(VALU_DEP_1) | instskip(SKIP_2) | instid1(VALU_DEP_2)
	v_cndmask_b32_e64 v35, v34, v25, s11
	s_and_b32 s9, s10, s11
	v_cndmask_b32_e64 v28, v25, v34, s11
	v_cmp_nlt_f32_e64 s12, v35, v27
	s_delay_alu instid0(VALU_DEP_1) | instskip(SKIP_2) | instid1(VALU_DEP_2)
	v_cndmask_b32_e64 v36, v35, v27, s12
	s_and_b32 s9, s9, s12
	v_cndmask_b32_e64 v25, v27, v35, s12
	v_cmp_nlt_f32_e32 vcc_lo, v36, v26
	v_cndmask_b32_e32 v37, v36, v26, vcc_lo
	s_and_b32 s10, s9, vcc_lo
	v_cndmask_b32_e32 v27, v26, v36, vcc_lo
	s_delay_alu instid0(VALU_DEP_2) | instskip(NEXT) | instid1(VALU_DEP_1)
	v_cmp_nlt_f32_e64 s7, v37, v24
	v_cndmask_b32_e64 v33, v37, v24, s7
	s_and_b32 s10, s10, s7
	v_cndmask_b32_e64 v26, v24, v37, s7
	s_delay_alu instid0(VALU_DEP_2) | instskip(NEXT) | instid1(VALU_DEP_1)
	v_cmp_nlt_f32_e64 s8, v33, v23
	v_cndmask_b32_e64 v31, v33, v23, s8
	s_and_b32 s10, s10, s8
	v_cndmask_b32_e64 v24, v23, v33, s8
	s_delay_alu instid0(VALU_DEP_2) | instskip(NEXT) | instid1(VALU_DEP_1)
	v_cmp_nlt_f32_e64 s9, v31, v32
	s_and_b32 s10, s10, s9
	v_cndmask_b32_e64 v30, v31, v32, s9
	s_and_b32 s7, s10, s36
	v_cndmask_b32_e64 v23, v32, v31, s9
	s_and_b32 s7, s7, s35
	s_delay_alu instid0(SALU_CYCLE_1) | instskip(NEXT) | instid1(SALU_CYCLE_1)
	s_and_b32 s7, exec_lo, s7
	s_or_b32 s34, s7, s34
	s_delay_alu instid0(SALU_CYCLE_1)
	s_and_not1_b32 exec_lo, exec_lo, s34
	s_cbranch_execnz .LBB199_57
; %bb.58:                               ;   in Loop: Header=BB199_4 Depth=1
	s_or_b32 exec_lo, exec_lo, s34
	v_add_f32_e32 v9, -1.0, v9
	v_cmp_class_f32_e64 s8, v13, 0x204
	s_delay_alu instid0(VALU_DEP_2) | instskip(NEXT) | instid1(VALU_DEP_1)
	v_add_f32_e32 v9, v9, v21
	v_add_f32_e32 v9, v9, v29
	s_delay_alu instid0(VALU_DEP_1) | instskip(NEXT) | instid1(VALU_DEP_1)
	v_add_f32_e32 v9, v9, v20
	v_add_f32_e32 v9, v9, v22
	s_delay_alu instid0(VALU_DEP_1) | instskip(NEXT) | instid1(VALU_DEP_1)
	v_add_f32_e32 v9, v9, v28
	v_add_f32_e32 v9, v9, v25
	s_delay_alu instid0(VALU_DEP_1) | instskip(NEXT) | instid1(VALU_DEP_1)
	v_add_f32_e32 v9, v9, v27
	v_add_f32_e32 v9, v9, v26
	s_delay_alu instid0(VALU_DEP_1) | instskip(NEXT) | instid1(VALU_DEP_1)
	v_add_f32_e32 v9, v9, v24
	v_add_f32_e32 v9, v9, v23
	s_delay_alu instid0(VALU_DEP_1) | instskip(NEXT) | instid1(VALU_DEP_1)
	v_add_f32_e32 v9, v30, v9
	v_add_f32_e32 v22, 1.0, v9
	s_delay_alu instid0(VALU_DEP_1) | instskip(NEXT) | instid1(VALU_DEP_1)
	v_cvt_f64_f32_e32 v[20:21], v22
	v_frexp_exp_i32_f64_e32 v20, v[20:21]
	v_frexp_mant_f32_e32 v21, v22
	s_delay_alu instid0(VALU_DEP_1) | instskip(SKIP_1) | instid1(VALU_DEP_1)
	v_cmp_gt_f32_e32 vcc_lo, 0x3f2aaaab, v21
	v_add_f32_e32 v21, -1.0, v22
	v_sub_f32_e32 v24, v21, v22
	s_delay_alu instid0(VALU_DEP_1) | instskip(NEXT) | instid1(VALU_DEP_1)
	v_dual_sub_f32 v21, v9, v21 :: v_dual_add_f32 v24, 1.0, v24
	v_add_f32_e32 v21, v21, v24
	v_subrev_co_ci_u32_e32 v20, vcc_lo, 0, v20, vcc_lo
	s_delay_alu instid0(VALU_DEP_1) | instskip(SKIP_1) | instid1(VALU_DEP_2)
	v_sub_nc_u32_e32 v23, 0, v20
	v_cvt_f32_i32_e32 v20, v20
	v_ldexp_f32 v22, v22, v23
	v_ldexp_f32 v21, v21, v23
	s_delay_alu instid0(VALU_DEP_2) | instskip(NEXT) | instid1(VALU_DEP_1)
	v_add_f32_e32 v25, 1.0, v22
	v_dual_add_f32 v23, -1.0, v22 :: v_dual_add_f32 v24, -1.0, v25
	s_delay_alu instid0(VALU_DEP_1) | instskip(NEXT) | instid1(VALU_DEP_2)
	v_add_f32_e32 v26, 1.0, v23
	v_sub_f32_e32 v24, v22, v24
	s_delay_alu instid0(VALU_DEP_2) | instskip(NEXT) | instid1(VALU_DEP_2)
	v_sub_f32_e32 v22, v22, v26
	v_add_f32_e32 v24, v21, v24
	s_delay_alu instid0(VALU_DEP_2) | instskip(SKIP_2) | instid1(VALU_DEP_4)
	v_add_f32_e32 v21, v21, v22
	v_cmp_eq_f32_e32 vcc_lo, 0x7f800000, v9
	v_cmp_neq_f32_e64 s7, -1.0, v9
	v_add_f32_e32 v26, v25, v24
	s_delay_alu instid0(VALU_DEP_1) | instskip(SKIP_1) | instid1(VALU_DEP_1)
	v_rcp_f32_e32 v22, v26
	v_sub_f32_e32 v25, v26, v25
	v_sub_f32_e32 v24, v24, v25
	v_add_f32_e32 v27, v23, v21
	s_waitcnt_depctr 0xfff
	v_mul_f32_e32 v28, v27, v22
	s_delay_alu instid0(VALU_DEP_1) | instskip(NEXT) | instid1(VALU_DEP_1)
	v_mul_f32_e32 v29, v26, v28
	v_fma_f32 v25, v28, v26, -v29
	s_delay_alu instid0(VALU_DEP_1) | instskip(NEXT) | instid1(VALU_DEP_1)
	v_fmac_f32_e32 v25, v28, v24
	v_dual_add_f32 v30, v29, v25 :: v_dual_sub_f32 v23, v27, v23
	s_delay_alu instid0(VALU_DEP_1) | instskip(NEXT) | instid1(VALU_DEP_2)
	v_sub_f32_e32 v31, v27, v30
	v_sub_f32_e32 v21, v21, v23
	;; [unrolled: 1-line block ×3, first 2 shown]
	s_delay_alu instid0(VALU_DEP_3) | instskip(NEXT) | instid1(VALU_DEP_2)
	v_sub_f32_e32 v27, v27, v31
	v_sub_f32_e32 v23, v23, v25
	s_delay_alu instid0(VALU_DEP_2) | instskip(NEXT) | instid1(VALU_DEP_1)
	v_sub_f32_e32 v27, v27, v30
	v_add_f32_e32 v21, v21, v27
	s_delay_alu instid0(VALU_DEP_1) | instskip(NEXT) | instid1(VALU_DEP_1)
	v_add_f32_e32 v21, v23, v21
	v_add_f32_e32 v23, v31, v21
	s_delay_alu instid0(VALU_DEP_1) | instskip(NEXT) | instid1(VALU_DEP_1)
	v_mul_f32_e32 v25, v22, v23
	v_dual_sub_f32 v30, v31, v23 :: v_dual_mul_f32 v27, v26, v25
	s_delay_alu instid0(VALU_DEP_1) | instskip(NEXT) | instid1(VALU_DEP_2)
	v_add_f32_e32 v21, v21, v30
	v_fma_f32 v26, v25, v26, -v27
	s_delay_alu instid0(VALU_DEP_1) | instskip(NEXT) | instid1(VALU_DEP_1)
	v_fmac_f32_e32 v26, v25, v24
	v_add_f32_e32 v24, v27, v26
	s_delay_alu instid0(VALU_DEP_1) | instskip(SKIP_1) | instid1(VALU_DEP_2)
	v_sub_f32_e32 v29, v23, v24
	v_sub_f32_e32 v27, v24, v27
	;; [unrolled: 1-line block ×3, first 2 shown]
	s_delay_alu instid0(VALU_DEP_1) | instskip(NEXT) | instid1(VALU_DEP_3)
	v_sub_f32_e32 v23, v23, v24
	v_sub_f32_e32 v24, v27, v26
	v_max_f32_e64 v26, |v14|, |v14|
	s_delay_alu instid0(VALU_DEP_3) | instskip(SKIP_1) | instid1(VALU_DEP_1)
	v_add_f32_e32 v21, v21, v23
	v_add_f32_e32 v23, v28, v25
	v_dual_add_f32 v21, v24, v21 :: v_dual_sub_f32 v24, v23, v28
	s_delay_alu instid0(VALU_DEP_1) | instskip(NEXT) | instid1(VALU_DEP_2)
	v_add_f32_e32 v21, v29, v21
	v_sub_f32_e32 v24, v25, v24
	v_mul_f32_e32 v29, 0x3f317218, v20
	s_delay_alu instid0(VALU_DEP_3) | instskip(NEXT) | instid1(VALU_DEP_2)
	v_mul_f32_e32 v21, v22, v21
	v_fma_f32 v30, 0x3f317218, v20, -v29
	s_delay_alu instid0(VALU_DEP_1) | instskip(NEXT) | instid1(VALU_DEP_1)
	v_dual_add_f32 v21, v24, v21 :: v_dual_fmac_f32 v30, 0xb102e308, v20
	v_add_f32_e32 v22, v23, v21
	s_delay_alu instid0(VALU_DEP_1) | instskip(SKIP_1) | instid1(VALU_DEP_2)
	v_mul_f32_e32 v24, v22, v22
	v_ldexp_f32 v28, v22, 1
	v_fmaak_f32 v25, s21, v24, 0x3ecc95a3
	v_mul_f32_e32 v27, v22, v24
	v_sub_f32_e32 v22, v22, v23
	s_delay_alu instid0(VALU_DEP_3) | instskip(SKIP_1) | instid1(VALU_DEP_2)
	v_fmaak_f32 v24, v24, v25, 0x3f2aaada
	v_max_f32_e64 v25, |v13|, |v13|
	v_dual_sub_f32 v21, v21, v22 :: v_dual_mul_f32 v24, v27, v24
	s_delay_alu instid0(VALU_DEP_2) | instskip(SKIP_1) | instid1(VALU_DEP_3)
	v_max_f32_e32 v27, v25, v26
	v_min_f32_e32 v25, v25, v26
	v_ldexp_f32 v21, v21, 1
	s_delay_alu instid0(VALU_DEP_4) | instskip(NEXT) | instid1(VALU_DEP_4)
	v_add_f32_e32 v23, v28, v24
	v_frexp_mant_f32_e32 v26, v27
	v_frexp_exp_i32_f32_e32 v27, v27
	s_delay_alu instid0(VALU_DEP_3) | instskip(NEXT) | instid1(VALU_DEP_3)
	v_sub_f32_e32 v22, v23, v28
	v_rcp_f32_e32 v26, v26
	v_frexp_exp_i32_f32_e32 v28, v25
	s_delay_alu instid0(VALU_DEP_2) | instskip(SKIP_1) | instid1(VALU_DEP_3)
	v_sub_f32_e32 v22, v24, v22
	v_frexp_mant_f32_e32 v24, v25
	v_sub_nc_u32_e32 v25, v28, v27
	s_delay_alu instid0(VALU_DEP_3) | instskip(SKIP_4) | instid1(VALU_DEP_3)
	v_add_f32_e32 v20, v21, v22
	s_waitcnt_depctr 0xfff
	v_mul_f32_e32 v21, v24, v26
	v_add_f32_e32 v22, v29, v30
	v_add_f32_e32 v24, v23, v20
	v_ldexp_f32 v21, v21, v25
	s_delay_alu instid0(VALU_DEP_3) | instskip(NEXT) | instid1(VALU_DEP_2)
	v_sub_f32_e32 v29, v22, v29
	v_dual_add_f32 v25, v22, v24 :: v_dual_mul_f32 v26, v21, v21
	v_sub_f32_e32 v23, v24, v23
	s_delay_alu instid0(VALU_DEP_3) | instskip(NEXT) | instid1(VALU_DEP_3)
	v_sub_f32_e32 v29, v30, v29
	v_sub_f32_e32 v27, v25, v22
	s_delay_alu instid0(VALU_DEP_4) | instskip(NEXT) | instid1(VALU_DEP_4)
	v_fmaak_f32 v28, s26, v26, 0xbc7a590c
	v_sub_f32_e32 v20, v20, v23
	s_delay_alu instid0(VALU_DEP_2) | instskip(SKIP_1) | instid1(VALU_DEP_2)
	v_dual_sub_f32 v31, v25, v27 :: v_dual_fmaak_f32 v28, v26, v28, 0x3d29fb3f
	v_sub_f32_e32 v23, v24, v27
	v_dual_add_f32 v27, v29, v20 :: v_dual_sub_f32 v22, v22, v31
	s_delay_alu instid0(VALU_DEP_3) | instskip(NEXT) | instid1(VALU_DEP_1)
	v_fmaak_f32 v24, v26, v28, 0xbd97d4d7
	v_dual_add_f32 v22, v23, v22 :: v_dual_fmaak_f32 v23, v26, v24, 0x3dd931b2
	s_delay_alu instid0(VALU_DEP_3) | instskip(NEXT) | instid1(VALU_DEP_2)
	v_sub_f32_e32 v24, v27, v29
	v_dual_add_f32 v22, v27, v22 :: v_dual_fmaak_f32 v23, v26, v23, 0xbe1160e6
	s_delay_alu instid0(VALU_DEP_2) | instskip(SKIP_1) | instid1(VALU_DEP_3)
	v_sub_f32_e32 v27, v27, v24
	v_sub_f32_e32 v20, v20, v24
	v_dual_add_f32 v28, v25, v22 :: v_dual_fmaak_f32 v23, v26, v23, 0x3e4cb8bf
	s_delay_alu instid0(VALU_DEP_1) | instskip(NEXT) | instid1(VALU_DEP_1)
	v_dual_sub_f32 v24, v29, v27 :: v_dual_sub_f32 v25, v28, v25
	v_dual_fmaak_f32 v23, v26, v23, 0xbeaaaa62 :: v_dual_add_f32 v20, v20, v24
	s_delay_alu instid0(VALU_DEP_2) | instskip(NEXT) | instid1(VALU_DEP_1)
	v_sub_f32_e32 v22, v22, v25
	v_dual_mul_f32 v23, v26, v23 :: v_dual_add_f32 v20, v20, v22
	s_delay_alu instid0(VALU_DEP_1) | instskip(NEXT) | instid1(VALU_DEP_1)
	v_dual_fmac_f32 v21, v21, v23 :: v_dual_add_f32 v20, v28, v20
	v_sub_f32_e32 v22, 0x3fc90fdb, v21
	s_delay_alu instid0(VALU_DEP_2) | instskip(SKIP_1) | instid1(VALU_DEP_3)
	v_cndmask_b32_e32 v20, v20, v9, vcc_lo
	v_cmp_gt_i32_e32 vcc_lo, 0, v13
	v_cndmask_b32_e64 v21, v21, v22, s6
	v_cndmask_b32_e64 v22, 0, 0x40490fdb, vcc_lo
	v_cmp_ngt_f32_e32 vcc_lo, -1.0, v9
	s_delay_alu instid0(VALU_DEP_3) | instskip(SKIP_2) | instid1(VALU_DEP_2)
	v_sub_f32_e32 v23, 0x40490fdb, v21
	v_cndmask_b32_e32 v20, 0x7fc00000, v20, vcc_lo
	v_cmp_gt_f32_e32 vcc_lo, 0, v13
	v_cndmask_b32_e64 v13, 0xff800000, v20, s7
	s_delay_alu instid0(VALU_DEP_4)
	v_cndmask_b32_e32 v20, v21, v23, vcc_lo
	v_cndmask_b32_e32 v21, 0x3f490fdb, v17, vcc_lo
	v_cmp_gt_f32_e64 vcc_lo, 0x33800000, |v9|
	v_cmp_class_f32_e64 s7, v14, 0x204
	v_cndmask_b32_e32 v9, v13, v9, vcc_lo
	v_cmp_eq_f32_e32 vcc_lo, 0, v14
	s_delay_alu instid0(VALU_DEP_2) | instskip(SKIP_2) | instid1(VALU_DEP_1)
	v_mul_f32_e32 v9, 0.5, v9
	v_cndmask_b32_e32 v13, v20, v22, vcc_lo
	s_and_b32 vcc_lo, s7, s8
	v_cndmask_b32_e32 v20, v13, v21, vcc_lo
.LBB199_59:                             ;   in Loop: Header=BB199_4 Depth=1
	s_or_b32 exec_lo, exec_lo, s33
.LBB199_60:                             ;   in Loop: Header=BB199_4 Depth=1
	s_delay_alu instid0(SALU_CYCLE_1)
	s_or_b32 exec_lo, exec_lo, s31
.LBB199_61:                             ;   in Loop: Header=BB199_4 Depth=1
	s_and_not1_saveexec_b32 s8, s30
	s_cbranch_execz .LBB199_63
; %bb.62:                               ;   in Loop: Header=BB199_4 Depth=1
	v_max_f32_e64 v9, |v14|, |v14|
	v_max_f32_e64 v22, |v13|, |v13|
	v_cmp_gt_i32_e64 s7, 0, v13
	v_cmp_class_f32_e64 s9, v13, 0x204
	v_cmp_class_f32_e64 s10, v14, 0x204
	s_delay_alu instid0(VALU_DEP_4) | instskip(SKIP_1) | instid1(VALU_DEP_2)
	v_max_f32_e32 v23, v22, v9
	v_min_f32_e32 v9, v22, v9
	v_cvt_f64_f32_e32 v[20:21], v23
	v_frexp_exp_i32_f32_e32 v22, v23
	s_delay_alu instid0(VALU_DEP_3) | instskip(SKIP_1) | instid1(VALU_DEP_2)
	v_frexp_exp_i32_f32_e32 v24, v9
	v_frexp_mant_f32_e32 v9, v9
	v_sub_nc_u32_e32 v22, v24, v22
	v_frexp_exp_i32_f64_e32 v20, v[20:21]
	v_frexp_mant_f32_e32 v21, v23
	s_delay_alu instid0(VALU_DEP_1) | instskip(SKIP_2) | instid1(VALU_DEP_1)
	v_rcp_f32_e32 v21, v21
	s_waitcnt_depctr 0xfff
	v_mul_f32_e32 v9, v9, v21
	v_ldexp_f32 v9, v9, v22
	v_sub_nc_u32_e32 v25, 0, v20
	s_delay_alu instid0(VALU_DEP_1) | instskip(SKIP_1) | instid1(VALU_DEP_2)
	v_ldexp_f32 v21, |v14|, v25
	v_ldexp_f32 v22, |v13|, v25
	v_mul_f32_e32 v21, v21, v21
	s_delay_alu instid0(VALU_DEP_1) | instskip(NEXT) | instid1(VALU_DEP_1)
	v_dual_mul_f32 v24, v9, v9 :: v_dual_fmac_f32 v21, v22, v22
	v_fmaak_f32 v22, s26, v24, 0xbc7a590c
	v_cmp_neq_f32_e32 vcc_lo, 0x7f800000, v23
	s_delay_alu instid0(VALU_DEP_3) | instskip(NEXT) | instid1(VALU_DEP_2)
	v_sqrt_f32_e32 v21, v21
	v_fmaak_f32 v22, v24, v22, 0x3d29fb3f
	s_delay_alu instid0(VALU_DEP_1) | instskip(SKIP_3) | instid1(VALU_DEP_2)
	v_fmaak_f32 v22, v24, v22, 0xbd97d4d7
	s_waitcnt_depctr 0xfff
	v_ldexp_f32 v20, v21, v20
	v_fmaak_f32 v21, v24, v22, 0x3dd931b2
	v_cndmask_b32_e32 v20, 0x7f800000, v20, vcc_lo
	s_delay_alu instid0(VALU_DEP_2) | instskip(NEXT) | instid1(VALU_DEP_2)
	v_fmaak_f32 v21, v24, v21, 0xbe1160e6
	v_cmp_gt_f32_e32 vcc_lo, 0x800000, v20
	s_delay_alu instid0(VALU_DEP_2) | instskip(SKIP_1) | instid1(VALU_DEP_2)
	v_fmaak_f32 v21, v24, v21, 0x3e4cb8bf
	v_cndmask_b32_e64 v22, 1.0, 0x4f800000, vcc_lo
	v_fmaak_f32 v21, v24, v21, 0xbeaaaa62
	s_delay_alu instid0(VALU_DEP_1) | instskip(NEXT) | instid1(VALU_DEP_1)
	v_mul_f32_e32 v21, v24, v21
	v_dual_mul_f32 v20, v20, v22 :: v_dual_fmac_f32 v9, v9, v21
	s_delay_alu instid0(VALU_DEP_1) | instskip(SKIP_2) | instid1(VALU_DEP_1)
	v_log_f32_e32 v20, v20
	s_waitcnt_depctr 0xfff
	v_mul_f32_e32 v21, 0x3f317217, v20
	v_fma_f32 v23, 0x3f317217, v20, -v21
	s_delay_alu instid0(VALU_DEP_1) | instskip(SKIP_1) | instid1(VALU_DEP_1)
	v_fmac_f32_e32 v23, 0x3377d1cf, v20
	v_sub_f32_e32 v22, 0x3fc90fdb, v9
	v_cndmask_b32_e64 v9, v9, v22, s6
	v_cndmask_b32_e64 v22, 0, 0x40490fdb, s7
	v_cmp_gt_f32_e64 s7, 0, v13
	v_add_f32_e32 v13, v21, v23
	v_cndmask_b32_e64 v23, 0, 0x41b17218, vcc_lo
	v_cmp_gt_f32_e64 vcc_lo, 0x7f800000, |v20|
	s_delay_alu instid0(VALU_DEP_4) | instskip(NEXT) | instid1(VALU_DEP_4)
	v_cndmask_b32_e64 v21, 0x3f490fdb, v17, s7
	v_cndmask_b32_e32 v13, v20, v13, vcc_lo
	v_sub_f32_e32 v24, 0x40490fdb, v9
	v_cmp_eq_f32_e32 vcc_lo, 0, v14
	s_delay_alu instid0(VALU_DEP_2) | instskip(NEXT) | instid1(VALU_DEP_1)
	v_cndmask_b32_e64 v9, v9, v24, s7
	v_cndmask_b32_e32 v20, v9, v22, vcc_lo
	v_sub_f32_e32 v9, v13, v23
	s_and_b32 vcc_lo, s10, s9
	s_delay_alu instid0(VALU_DEP_2)
	v_cndmask_b32_e32 v20, v20, v21, vcc_lo
.LBB199_63:                             ;   in Loop: Header=BB199_4 Depth=1
	s_or_b32 exec_lo, exec_lo, s8
                                        ; implicit-def: $vgpr21
.LBB199_64:                             ;   in Loop: Header=BB199_4 Depth=1
	s_and_not1_saveexec_b32 s8, s29
	s_cbranch_execz .LBB199_70
; %bb.65:                               ;   in Loop: Header=BB199_4 Depth=1
                                        ; implicit-def: $vgpr9
                                        ; implicit-def: $vgpr20
	s_mov_b32 s7, exec_lo
	v_cmpx_ngt_f32_e32 0x1fec1e4a, v21
	s_xor_b32 s9, exec_lo, s7
	s_cbranch_execz .LBB199_67
; %bb.66:                               ;   in Loop: Header=BB199_4 Depth=1
	v_mul_f32_e32 v9, v21, v21
	v_cmp_class_f32_e64 s10, v13, 0x204
	v_cmp_gt_f32_e64 s7, 0, v13
	v_cmp_class_f32_e64 s12, v14, 0x204
	s_delay_alu instid0(VALU_DEP_4) | instskip(NEXT) | instid1(VALU_DEP_1)
	v_add_f32_e32 v22, 1.0, v9
	v_cvt_f64_f32_e32 v[20:21], v22
	s_delay_alu instid0(VALU_DEP_1) | instskip(SKIP_1) | instid1(VALU_DEP_1)
	v_frexp_exp_i32_f64_e32 v20, v[20:21]
	v_frexp_mant_f32_e32 v21, v22
	v_cmp_gt_f32_e32 vcc_lo, 0x3f2aaaab, v21
	v_add_f32_e32 v21, -1.0, v22
	s_delay_alu instid0(VALU_DEP_1) | instskip(NEXT) | instid1(VALU_DEP_1)
	v_sub_f32_e32 v24, v21, v22
	v_dual_add_f32 v24, 1.0, v24 :: v_dual_sub_f32 v21, v9, v21
	v_cmp_gt_f32_e64 s11, 0x33800000, |v9|
	s_delay_alu instid0(VALU_DEP_2) | instskip(SKIP_2) | instid1(VALU_DEP_2)
	v_add_f32_e32 v21, v21, v24
	v_subrev_co_ci_u32_e32 v20, vcc_lo, 0, v20, vcc_lo
	v_cmp_gt_i32_e32 vcc_lo, 0, v13
	v_sub_nc_u32_e32 v23, 0, v20
	v_cvt_f32_i32_e32 v20, v20
	s_delay_alu instid0(VALU_DEP_2) | instskip(SKIP_1) | instid1(VALU_DEP_2)
	v_ldexp_f32 v22, v22, v23
	v_ldexp_f32 v21, v21, v23
	v_add_f32_e32 v23, -1.0, v22
	s_delay_alu instid0(VALU_DEP_1) | instskip(NEXT) | instid1(VALU_DEP_1)
	v_dual_add_f32 v25, 1.0, v22 :: v_dual_add_f32 v26, 1.0, v23
	v_add_f32_e32 v24, -1.0, v25
	s_delay_alu instid0(VALU_DEP_1) | instskip(NEXT) | instid1(VALU_DEP_3)
	v_sub_f32_e32 v24, v22, v24
	v_sub_f32_e32 v22, v22, v26
	s_delay_alu instid0(VALU_DEP_2) | instskip(NEXT) | instid1(VALU_DEP_2)
	v_add_f32_e32 v24, v21, v24
	v_add_f32_e32 v21, v21, v22
	s_delay_alu instid0(VALU_DEP_1) | instskip(NEXT) | instid1(VALU_DEP_1)
	v_dual_add_f32 v27, v23, v21 :: v_dual_add_f32 v26, v25, v24
	v_rcp_f32_e32 v22, v26
	v_sub_f32_e32 v25, v25, v26
	s_delay_alu instid0(VALU_DEP_1) | instskip(SKIP_2) | instid1(VALU_DEP_1)
	v_dual_add_f32 v24, v24, v25 :: v_dual_sub_f32 v23, v23, v27
	s_waitcnt_depctr 0xfff
	v_dual_mul_f32 v28, v27, v22 :: v_dual_add_f32 v21, v21, v23
	v_mul_f32_e32 v29, v26, v28
	s_delay_alu instid0(VALU_DEP_1) | instskip(NEXT) | instid1(VALU_DEP_1)
	v_fma_f32 v25, v28, v26, -v29
	v_fmac_f32_e32 v25, v28, v24
	s_delay_alu instid0(VALU_DEP_1) | instskip(NEXT) | instid1(VALU_DEP_1)
	v_add_f32_e32 v30, v29, v25
	v_sub_f32_e32 v31, v27, v30
	s_delay_alu instid0(VALU_DEP_1) | instskip(SKIP_1) | instid1(VALU_DEP_2)
	v_sub_f32_e32 v27, v27, v31
	v_sub_f32_e32 v23, v30, v29
	;; [unrolled: 1-line block ×3, first 2 shown]
	s_delay_alu instid0(VALU_DEP_2) | instskip(NEXT) | instid1(VALU_DEP_2)
	v_sub_f32_e32 v23, v23, v25
	v_add_f32_e32 v21, v21, v27
	s_delay_alu instid0(VALU_DEP_1) | instskip(NEXT) | instid1(VALU_DEP_1)
	v_add_f32_e32 v21, v23, v21
	v_add_f32_e32 v23, v31, v21
	s_delay_alu instid0(VALU_DEP_1) | instskip(NEXT) | instid1(VALU_DEP_1)
	v_mul_f32_e32 v25, v22, v23
	v_dual_sub_f32 v30, v31, v23 :: v_dual_mul_f32 v27, v26, v25
	s_delay_alu instid0(VALU_DEP_1) | instskip(NEXT) | instid1(VALU_DEP_2)
	v_add_f32_e32 v21, v21, v30
	v_fma_f32 v26, v25, v26, -v27
	s_delay_alu instid0(VALU_DEP_1) | instskip(NEXT) | instid1(VALU_DEP_1)
	v_fmac_f32_e32 v26, v25, v24
	v_add_f32_e32 v24, v27, v26
	s_delay_alu instid0(VALU_DEP_1) | instskip(SKIP_1) | instid1(VALU_DEP_2)
	v_sub_f32_e32 v29, v23, v24
	v_sub_f32_e32 v27, v24, v27
	;; [unrolled: 1-line block ×3, first 2 shown]
	s_delay_alu instid0(VALU_DEP_1) | instskip(NEXT) | instid1(VALU_DEP_1)
	v_sub_f32_e32 v23, v23, v24
	v_dual_sub_f32 v24, v27, v26 :: v_dual_add_f32 v21, v21, v23
	v_add_f32_e32 v23, v28, v25
	s_delay_alu instid0(VALU_DEP_1) | instskip(NEXT) | instid1(VALU_DEP_1)
	v_dual_add_f32 v21, v24, v21 :: v_dual_sub_f32 v24, v23, v28
	v_add_f32_e32 v21, v29, v21
	s_delay_alu instid0(VALU_DEP_2) | instskip(SKIP_1) | instid1(VALU_DEP_3)
	v_sub_f32_e32 v24, v25, v24
	v_max_f32_e64 v25, |v13|, |v13|
	v_mul_f32_e32 v21, v22, v21
	v_max_f32_e64 v22, |v14|, |v14|
	s_delay_alu instid0(VALU_DEP_2) | instskip(NEXT) | instid1(VALU_DEP_2)
	v_add_f32_e32 v21, v24, v21
	v_max_f32_e32 v27, v25, v22
	v_min_f32_e32 v22, v25, v22
	s_delay_alu instid0(VALU_DEP_3) | instskip(NEXT) | instid1(VALU_DEP_3)
	v_add_f32_e32 v24, v23, v21
	v_frexp_mant_f32_e32 v29, v27
	v_frexp_exp_i32_f32_e32 v25, v27
	s_delay_alu instid0(VALU_DEP_3) | instskip(SKIP_1) | instid1(VALU_DEP_2)
	v_mul_f32_e32 v26, v24, v24
	v_ldexp_f32 v30, v24, 1
	v_dual_sub_f32 v23, v24, v23 :: v_dual_fmaak_f32 v28, s21, v26, 0x3ecc95a3
	v_mul_f32_e32 v27, v24, v26
	s_delay_alu instid0(VALU_DEP_2) | instskip(SKIP_3) | instid1(VALU_DEP_3)
	v_dual_sub_f32 v21, v21, v23 :: v_dual_fmaak_f32 v26, v26, v28, 0x3f2aaada
	v_rcp_f32_e32 v28, v29
	v_frexp_exp_i32_f32_e32 v29, v22
	v_frexp_mant_f32_e32 v22, v22
	v_ldexp_f32 v21, v21, 1
	v_dual_mul_f32 v26, v27, v26 :: v_dual_mul_f32 v27, 0x3f317218, v20
	s_delay_alu instid0(VALU_DEP_4) | instskip(NEXT) | instid1(VALU_DEP_2)
	v_sub_nc_u32_e32 v25, v29, v25
	v_add_f32_e32 v24, v30, v26
	s_delay_alu instid0(TRANS32_DEP_1) | instid1(VALU_DEP_1)
	v_dual_mul_f32 v22, v22, v28 :: v_dual_sub_f32 v23, v24, v30
	s_delay_alu instid0(VALU_DEP_1) | instskip(SKIP_1) | instid1(VALU_DEP_3)
	v_ldexp_f32 v22, v22, v25
	v_fma_f32 v25, 0x3f317218, v20, -v27
	v_sub_f32_e32 v23, v26, v23
	s_delay_alu instid0(VALU_DEP_2) | instskip(NEXT) | instid1(VALU_DEP_1)
	v_dual_mul_f32 v26, v22, v22 :: v_dual_fmac_f32 v25, 0xb102e308, v20
	v_dual_add_f32 v20, v21, v23 :: v_dual_fmaak_f32 v21, s26, v26, 0xbc7a590c
	s_delay_alu instid0(VALU_DEP_1) | instskip(NEXT) | instid1(VALU_DEP_2)
	v_dual_add_f32 v23, v27, v25 :: v_dual_add_f32 v28, v24, v20
	v_fmaak_f32 v21, v26, v21, 0x3d29fb3f
	s_delay_alu instid0(VALU_DEP_2) | instskip(NEXT) | instid1(VALU_DEP_3)
	v_sub_f32_e32 v27, v23, v27
	v_add_f32_e32 v29, v23, v28
	s_delay_alu instid0(VALU_DEP_3) | instskip(NEXT) | instid1(VALU_DEP_3)
	v_dual_fmaak_f32 v21, v26, v21, 0xbd97d4d7 :: v_dual_sub_f32 v24, v28, v24
	v_sub_f32_e32 v25, v25, v27
	s_delay_alu instid0(VALU_DEP_2) | instskip(NEXT) | instid1(VALU_DEP_1)
	v_dual_sub_f32 v30, v29, v23 :: v_dual_fmaak_f32 v21, v26, v21, 0x3dd931b2
	v_dual_sub_f32 v20, v20, v24 :: v_dual_sub_f32 v31, v29, v30
	s_delay_alu instid0(VALU_DEP_2) | instskip(NEXT) | instid1(VALU_DEP_2)
	v_dual_fmaak_f32 v21, v26, v21, 0xbe1160e6 :: v_dual_sub_f32 v24, v28, v30
	v_add_f32_e32 v27, v25, v20
	s_delay_alu instid0(VALU_DEP_3) | instskip(NEXT) | instid1(VALU_DEP_3)
	v_sub_f32_e32 v23, v23, v31
	v_fmaak_f32 v21, v26, v21, 0x3e4cb8bf
	s_delay_alu instid0(VALU_DEP_2) | instskip(NEXT) | instid1(VALU_DEP_2)
	v_add_f32_e32 v23, v24, v23
	v_fmaak_f32 v21, v26, v21, 0xbeaaaa62
	v_sub_f32_e32 v24, v27, v25
	s_delay_alu instid0(VALU_DEP_3) | instskip(NEXT) | instid1(VALU_DEP_2)
	v_add_f32_e32 v23, v27, v23
	v_dual_mul_f32 v21, v26, v21 :: v_dual_sub_f32 v26, v27, v24
	s_delay_alu instid0(VALU_DEP_2) | instskip(NEXT) | instid1(VALU_DEP_2)
	v_dual_sub_f32 v20, v20, v24 :: v_dual_add_f32 v27, v29, v23
	v_dual_fmac_f32 v22, v22, v21 :: v_dual_sub_f32 v21, v25, v26
	s_delay_alu instid0(VALU_DEP_1) | instskip(NEXT) | instid1(VALU_DEP_1)
	v_dual_sub_f32 v24, v27, v29 :: v_dual_sub_f32 v25, 0x3fc90fdb, v22
	v_dual_add_f32 v20, v20, v21 :: v_dual_sub_f32 v21, v23, v24
	s_delay_alu instid0(VALU_DEP_2) | instskip(SKIP_2) | instid1(VALU_DEP_3)
	v_cndmask_b32_e64 v22, v22, v25, s6
	v_cndmask_b32_e64 v23, 0, 0x40490fdb, vcc_lo
	v_cmp_eq_f32_e32 vcc_lo, 0x7f800000, v9
	v_dual_add_f32 v20, v20, v21 :: v_dual_sub_f32 v21, 0x40490fdb, v22
	s_or_b32 vcc_lo, vcc_lo, s11
	s_delay_alu instid0(VALU_DEP_1) | instskip(NEXT) | instid1(VALU_DEP_2)
	v_add_f32_e32 v13, v27, v20
	v_cndmask_b32_e64 v20, v22, v21, s7
	v_cndmask_b32_e64 v21, 0x3f490fdb, v17, s7
	s_delay_alu instid0(VALU_DEP_3) | instskip(SKIP_1) | instid1(VALU_DEP_2)
	v_cndmask_b32_e32 v9, v13, v9, vcc_lo
	v_cmp_eq_f32_e32 vcc_lo, 0, v14
	v_mul_f32_e32 v9, 0.5, v9
	v_cndmask_b32_e32 v13, v20, v23, vcc_lo
	s_and_b32 vcc_lo, s12, s10
	s_delay_alu instid0(VALU_DEP_1)
	v_cndmask_b32_e32 v20, v13, v21, vcc_lo
                                        ; implicit-def: $vgpr21
.LBB199_67:                             ;   in Loop: Header=BB199_4 Depth=1
	s_and_not1_saveexec_b32 s9, s9
	s_cbranch_execz .LBB199_69
; %bb.68:                               ;   in Loop: Header=BB199_4 Depth=1
	v_max_f32_e64 v9, |v14|, |v14|
	v_max_f32_e64 v20, |v13|, |v13|
	v_cmp_gt_i32_e32 vcc_lo, 0, v13
	v_cmp_eq_f32_e64 s7, 0, v14
	v_cmp_class_f32_e64 s10, v13, 0x204
	v_cmp_class_f32_e64 s11, v14, 0x204
	v_max_f32_e32 v22, v20, v9
	v_min_f32_e32 v9, v20, v9
	s_delay_alu instid0(VALU_DEP_2) | instskip(NEXT) | instid1(VALU_DEP_1)
	v_frexp_mant_f32_e32 v23, v22
	v_rcp_f32_e32 v20, v23
	s_delay_alu instid0(VALU_DEP_2) | instskip(SKIP_4) | instid1(VALU_DEP_1)
	v_frexp_exp_i32_f32_e32 v23, v9
	v_frexp_mant_f32_e32 v9, v9
	s_waitcnt_depctr 0xfff
	v_mul_f32_e32 v9, v9, v20
	v_frexp_exp_i32_f32_e32 v22, v22
	v_sub_nc_u32_e32 v22, v23, v22
	s_delay_alu instid0(VALU_DEP_1) | instskip(NEXT) | instid1(VALU_DEP_1)
	v_ldexp_f32 v9, v9, v22
	v_mul_f32_e32 v20, v9, v9
	s_delay_alu instid0(VALU_DEP_1) | instskip(NEXT) | instid1(VALU_DEP_1)
	v_fmaak_f32 v22, s26, v20, 0xbc7a590c
	v_fmaak_f32 v22, v20, v22, 0x3d29fb3f
	s_delay_alu instid0(VALU_DEP_1) | instskip(NEXT) | instid1(VALU_DEP_1)
	v_fmaak_f32 v22, v20, v22, 0xbd97d4d7
	v_fmaak_f32 v22, v20, v22, 0x3dd931b2
	;; [unrolled: 3-line block ×3, first 2 shown]
	s_delay_alu instid0(VALU_DEP_1) | instskip(NEXT) | instid1(VALU_DEP_1)
	v_fmaak_f32 v22, v20, v22, 0xbeaaaa62
	v_mul_f32_e32 v20, v20, v22
	v_cndmask_b32_e64 v22, 0, 0x40490fdb, vcc_lo
	v_cmp_gt_f32_e32 vcc_lo, 0, v13
	s_delay_alu instid0(VALU_DEP_3) | instskip(NEXT) | instid1(VALU_DEP_1)
	v_fmac_f32_e32 v9, v9, v20
	v_sub_f32_e32 v20, 0x3fc90fdb, v9
	s_delay_alu instid0(VALU_DEP_1) | instskip(NEXT) | instid1(VALU_DEP_1)
	v_cndmask_b32_e64 v9, v9, v20, s6
	v_sub_f32_e32 v20, 0x40490fdb, v9
	s_delay_alu instid0(VALU_DEP_1) | instskip(NEXT) | instid1(VALU_DEP_1)
	v_dual_cndmask_b32 v9, v9, v20 :: v_dual_mul_f32 v20, 0.5, v21
	v_cndmask_b32_e64 v13, v9, v22, s7
	s_delay_alu instid0(VALU_DEP_2) | instskip(SKIP_1) | instid1(VALU_DEP_1)
	v_dual_mul_f32 v9, v21, v20 :: v_dual_cndmask_b32 v22, 0x3f490fdb, v17
	s_and_b32 vcc_lo, s11, s10
	v_cndmask_b32_e32 v20, v13, v22, vcc_lo
.LBB199_69:                             ;   in Loop: Header=BB199_4 Depth=1
	s_or_b32 exec_lo, exec_lo, s9
.LBB199_70:                             ;   in Loop: Header=BB199_4 Depth=1
	s_delay_alu instid0(SALU_CYCLE_1)
	s_or_b32 exec_lo, exec_lo, s8
.LBB199_71:                             ;   in Loop: Header=BB199_4 Depth=1
	s_and_not1_saveexec_b32 s8, s28
	s_cbranch_execz .LBB199_73
; %bb.72:                               ;   in Loop: Header=BB199_4 Depth=1
	v_div_scale_f32 v9, null, 0x402df854, 0x402df854, v13
	v_div_scale_f32 v20, null, 0x402df854, 0x402df854, v14
	v_div_scale_f32 v25, vcc_lo, v13, 0x402df854, v13
	s_delay_alu instid0(VALU_DEP_3) | instskip(NEXT) | instid1(VALU_DEP_2)
	v_rcp_f32_e32 v21, v9
	v_rcp_f32_e32 v22, v20
	v_cmp_class_f32_e64 s9, v14, 0x204
	s_waitcnt_depctr 0xfff
	v_fma_f32 v23, -v9, v21, 1.0
	v_fma_f32 v24, -v20, v22, 1.0
	s_delay_alu instid0(VALU_DEP_1) | instskip(SKIP_1) | instid1(VALU_DEP_2)
	v_dual_fmac_f32 v21, v23, v21 :: v_dual_fmac_f32 v22, v24, v22
	v_div_scale_f32 v23, s7, v14, 0x402df854, v14
	v_mul_f32_e32 v24, v25, v21
	s_delay_alu instid0(VALU_DEP_1) | instskip(NEXT) | instid1(VALU_DEP_1)
	v_fma_f32 v27, -v9, v24, v25
	v_fmac_f32_e32 v24, v27, v21
	s_delay_alu instid0(VALU_DEP_1) | instskip(NEXT) | instid1(VALU_DEP_1)
	v_fma_f32 v9, -v9, v24, v25
	v_div_fmas_f32 v9, v9, v21, v24
	v_max_f32_e64 v24, |v13|, |v13|
	v_mul_f32_e32 v26, v23, v22
	s_mov_b32 vcc_lo, s7
	v_cmp_class_f32_e64 s7, v13, 0x204
	v_div_fixup_f32 v9, v9, 0x402df854, v13
	s_delay_alu instid0(VALU_DEP_3) | instskip(NEXT) | instid1(VALU_DEP_1)
	v_fma_f32 v28, -v20, v26, v23
	v_fmac_f32_e32 v26, v28, v22
	s_delay_alu instid0(VALU_DEP_1) | instskip(NEXT) | instid1(VALU_DEP_1)
	v_fma_f32 v20, -v20, v26, v23
	v_div_fmas_f32 v20, v20, v22, v26
	s_delay_alu instid0(VALU_DEP_1) | instskip(NEXT) | instid1(VALU_DEP_1)
	v_div_fixup_f32 v22, v20, 0x402df854, v14
	v_max_f32_e64 v23, |v9|, |v22|
	s_delay_alu instid0(VALU_DEP_1) | instskip(SKIP_1) | instid1(VALU_DEP_2)
	v_cvt_f64_f32_e32 v[20:21], v23
	v_cmp_neq_f32_e32 vcc_lo, 0x7f800000, v23
	v_frexp_exp_i32_f64_e32 v20, v[20:21]
	v_max_f32_e64 v21, |v14|, |v14|
	s_delay_alu instid0(VALU_DEP_1) | instskip(SKIP_1) | instid1(VALU_DEP_2)
	v_max_f32_e32 v25, v24, v21
	v_min_f32_e32 v21, v24, v21
	v_frexp_mant_f32_e32 v26, v25
	v_frexp_exp_i32_f32_e32 v25, v25
	s_delay_alu instid0(VALU_DEP_2) | instskip(SKIP_1) | instid1(VALU_DEP_1)
	v_rcp_f32_e32 v24, v26
	v_sub_nc_u32_e32 v26, 0, v20
	v_ldexp_f32 v22, |v22|, v26
	v_ldexp_f32 v9, |v9|, v26
	s_delay_alu instid0(VALU_DEP_2) | instskip(SKIP_2) | instid1(VALU_DEP_3)
	v_mul_f32_e32 v22, v22, v22
	v_frexp_exp_i32_f32_e32 v27, v21
	v_frexp_mant_f32_e32 v21, v21
	v_fmac_f32_e32 v22, v9, v9
	s_delay_alu instid0(VALU_DEP_3)
	v_sub_nc_u32_e32 v25, v27, v25
	s_delay_alu instid0(TRANS32_DEP_1) | instid1(VALU_DEP_3)
	v_mul_f32_e32 v21, v21, v24
	s_delay_alu instid0(VALU_DEP_3) | instskip(NEXT) | instid1(VALU_DEP_1)
	v_sqrt_f32_e32 v22, v22
	v_ldexp_f32 v21, v21, v25
	s_waitcnt_depctr 0xfff
	v_ldexp_f32 v20, v22, v20
	s_delay_alu instid0(VALU_DEP_1) | instskip(NEXT) | instid1(VALU_DEP_1)
	v_dual_mul_f32 v9, v21, v21 :: v_dual_cndmask_b32 v20, 0x7f800000, v20
	v_fmaak_f32 v24, s26, v9, 0xbc7a590c
	s_delay_alu instid0(VALU_DEP_2) | instskip(NEXT) | instid1(VALU_DEP_2)
	v_cmp_gt_f32_e32 vcc_lo, 0x800000, v20
	v_fmaak_f32 v24, v9, v24, 0x3d29fb3f
	v_cndmask_b32_e64 v23, 1.0, 0x4f800000, vcc_lo
	s_delay_alu instid0(VALU_DEP_1) | instskip(NEXT) | instid1(VALU_DEP_1)
	v_mul_f32_e32 v20, v20, v23
	v_log_f32_e32 v20, v20
	s_delay_alu instid0(VALU_DEP_3) | instskip(SKIP_1) | instid1(VALU_DEP_2)
	v_fmaak_f32 v22, v9, v24, 0xbd97d4d7
	v_cndmask_b32_e64 v24, 0, 0x41b17218, vcc_lo
	v_fmaak_f32 v22, v9, v22, 0x3dd931b2
	s_waitcnt_depctr 0xfff
	v_cmp_gt_f32_e64 vcc_lo, 0x7f800000, |v20|
	v_fmaak_f32 v22, v9, v22, 0xbe1160e6
	s_delay_alu instid0(VALU_DEP_1) | instskip(NEXT) | instid1(VALU_DEP_1)
	v_fmaak_f32 v22, v9, v22, 0x3e4cb8bf
	v_fmaak_f32 v22, v9, v22, 0xbeaaaa62
	s_delay_alu instid0(VALU_DEP_1) | instskip(NEXT) | instid1(VALU_DEP_1)
	v_mul_f32_e32 v9, v9, v22
	v_fmac_f32_e32 v21, v21, v9
	s_delay_alu instid0(VALU_DEP_1) | instskip(NEXT) | instid1(VALU_DEP_1)
	v_sub_f32_e32 v23, 0x3fc90fdb, v21
	v_cndmask_b32_e64 v21, v21, v23, s6
	v_cmp_gt_i32_e64 s6, 0, v13
	s_delay_alu instid0(VALU_DEP_1) | instskip(SKIP_2) | instid1(VALU_DEP_2)
	v_cndmask_b32_e64 v23, 0, 0x40490fdb, s6
	v_mul_f32_e32 v22, 0x3f317217, v20
	v_cmp_gt_f32_e64 s6, 0, v13
	v_fma_f32 v9, 0x3f317217, v20, -v22
	s_delay_alu instid0(VALU_DEP_1) | instskip(NEXT) | instid1(VALU_DEP_1)
	v_fmac_f32_e32 v9, 0x3377d1cf, v20
	v_add_f32_e32 v9, v22, v9
	s_delay_alu instid0(VALU_DEP_1) | instskip(SKIP_3) | instid1(VALU_DEP_4)
	v_cndmask_b32_e32 v9, v20, v9, vcc_lo
	v_sub_f32_e32 v22, 0x40490fdb, v21
	v_cmp_eq_f32_e32 vcc_lo, 0, v14
	v_cndmask_b32_e64 v20, 0x3f490fdb, v17, s6
	v_sub_f32_e32 v9, v9, v24
	s_delay_alu instid0(VALU_DEP_4) | instskip(NEXT) | instid1(VALU_DEP_2)
	v_cndmask_b32_e64 v13, v21, v22, s6
	v_add_f32_e32 v9, 1.0, v9
	s_delay_alu instid0(VALU_DEP_2) | instskip(SKIP_1) | instid1(VALU_DEP_1)
	v_cndmask_b32_e32 v13, v13, v23, vcc_lo
	s_and_b32 vcc_lo, s9, s7
	v_cndmask_b32_e32 v20, v13, v20, vcc_lo
.LBB199_73:                             ;   in Loop: Header=BB199_4 Depth=1
	s_or_b32 exec_lo, exec_lo, s8
.LBB199_74:                             ;   in Loop: Header=BB199_4 Depth=1
	s_and_not1_saveexec_b32 s6, s27
	s_cbranch_execz .LBB199_80
; %bb.75:                               ;   in Loop: Header=BB199_4 Depth=1
	v_cmp_ngt_f32_e64 s7, 0x20000000, |v13|
	v_cmp_ngt_f32_e64 s8, 0x20000000, |v14|
                                        ; implicit-def: $vgpr9
	s_delay_alu instid0(VALU_DEP_1) | instskip(NEXT) | instid1(SALU_CYCLE_1)
	s_or_b32 s7, s8, s7
	s_and_saveexec_b32 s8, s7
	s_delay_alu instid0(SALU_CYCLE_1)
	s_xor_b32 s7, exec_lo, s8
; %bb.76:                               ;   in Loop: Header=BB199_4 Depth=1
	v_mul_f32_e32 v9, v13, v13
	s_delay_alu instid0(VALU_DEP_1)
	v_fmac_f32_e32 v9, v14, v14
; %bb.77:                               ;   in Loop: Header=BB199_4 Depth=1
	s_and_not1_saveexec_b32 s7, s7
; %bb.78:                               ;   in Loop: Header=BB199_4 Depth=1
	v_mul_f32_e32 v9, 4.0, v13
	v_mul_f32_e32 v13, 4.0, v14
	s_delay_alu instid0(VALU_DEP_2) | instskip(NEXT) | instid1(VALU_DEP_1)
	v_mul_f32_e32 v9, v9, v9
	v_fmac_f32_e32 v9, v13, v13
	s_delay_alu instid0(VALU_DEP_1)
	v_mul_f32_e32 v9, 0x3d800000, v9
; %bb.79:                               ;   in Loop: Header=BB199_4 Depth=1
	s_or_b32 exec_lo, exec_lo, s7
	s_delay_alu instid0(VALU_DEP_1) | instskip(SKIP_1) | instid1(VALU_DEP_1)
	v_cmp_gt_f32_e32 vcc_lo, 0x800000, v9
	v_cndmask_b32_e64 v13, 1.0, 0x4f800000, vcc_lo
	v_mul_f32_e32 v9, v9, v13
	s_delay_alu instid0(VALU_DEP_1) | instskip(SKIP_2) | instid1(VALU_DEP_1)
	v_log_f32_e32 v9, v9
	s_waitcnt_depctr 0xfff
	v_mul_f32_e32 v13, 0x3f317217, v9
	v_fma_f32 v20, 0x3f317217, v9, -v13
	s_delay_alu instid0(VALU_DEP_1) | instskip(NEXT) | instid1(VALU_DEP_1)
	v_fmac_f32_e32 v20, 0x3377d1cf, v9
	v_add_f32_e32 v13, v13, v20
	v_cndmask_b32_e64 v20, 0, 0x41b17218, vcc_lo
	v_cmp_gt_f32_e64 vcc_lo, 0x7f800000, |v9|
	s_delay_alu instid0(VALU_DEP_3) | instskip(NEXT) | instid1(VALU_DEP_1)
	v_cndmask_b32_e32 v9, v9, v13, vcc_lo
	v_dual_sub_f32 v9, v9, v20 :: v_dual_mov_b32 v20, 0x7fc00000
.LBB199_80:                             ;   in Loop: Header=BB199_4 Depth=1
	s_or_b32 exec_lo, exec_lo, s6
                                        ; implicit-def: $vgpr13
                                        ; implicit-def: $vgpr21
	s_delay_alu instid0(SALU_CYCLE_1)
	s_mov_b32 s6, exec_lo
	v_cmpx_o_f32_e32 v2, v1
	s_xor_b32 s27, exec_lo, s6
	s_cbranch_execz .LBB199_108
; %bb.81:                               ;   in Loop: Header=BB199_4 Depth=1
	v_cmp_lt_f32_e64 s6, |v1|, |v2|
                                        ; implicit-def: $vgpr13
                                        ; implicit-def: $vgpr21
	s_mov_b32 s7, exec_lo
	s_delay_alu instid0(VALU_DEP_1) | instskip(NEXT) | instid1(VALU_DEP_1)
	v_cndmask_b32_e64 v22, |v2|, |v1|, s6
	v_cmpx_nlt_f32_e32 0x77f684df, v22
	s_xor_b32 s28, exec_lo, s7
	s_cbranch_execz .LBB199_105
; %bb.82:                               ;   in Loop: Header=BB199_4 Depth=1
	v_and_b32_e32 v13, 0x7fffffff, v2
                                        ; implicit-def: $vgpr21
	s_mov_b32 s7, exec_lo
	s_delay_alu instid0(VALU_DEP_1) | instskip(NEXT) | instid1(VALU_DEP_1)
	v_cndmask_b32_e64 v23, |v1|, v13, s6
                                        ; implicit-def: $vgpr13
	v_cmpx_neq_f32_e32 1.0, v23
	s_xor_b32 s29, exec_lo, s7
	s_cbranch_execz .LBB199_98
; %bb.83:                               ;   in Loop: Header=BB199_4 Depth=1
	v_max_f32_e32 v13, v22, v22
	v_max_f32_e32 v21, v23, v23
	s_delay_alu instid0(VALU_DEP_1) | instskip(SKIP_1) | instid1(VALU_DEP_2)
	v_min_f32_e32 v24, v21, v13
	v_max_f32_e32 v13, v21, v13
                                        ; implicit-def: $vgpr21
	v_cmp_ngt_f32_e32 vcc_lo, 0x358637bd, v24
	s_delay_alu instid0(VALU_DEP_2) | instskip(NEXT) | instid1(VALU_DEP_1)
	v_cmp_nlt_f32_e64 s7, 0x49742400, v13
                                        ; implicit-def: $vgpr13
	s_and_b32 s7, s7, vcc_lo
	s_delay_alu instid0(SALU_CYCLE_1) | instskip(NEXT) | instid1(SALU_CYCLE_1)
	s_and_saveexec_b32 s8, s7
	s_xor_b32 s30, exec_lo, s8
	s_cbranch_execz .LBB199_95
; %bb.84:                               ;   in Loop: Header=BB199_4 Depth=1
                                        ; implicit-def: $vgpr13
                                        ; implicit-def: $vgpr21
	s_mov_b32 s7, exec_lo
	v_cmpx_le_f32_e32 1.0, v23
	s_xor_b32 s8, exec_lo, s7
	s_cbranch_execz .LBB199_86
; %bb.85:                               ;   in Loop: Header=BB199_4 Depth=1
	v_add_f32_e32 v13, -1.0, v23
	v_add_f32_e32 v21, 1.0, v23
	v_cmp_class_f32_e64 s9, v1, 0x204
	s_delay_alu instid0(VALU_DEP_2) | instskip(NEXT) | instid1(VALU_DEP_1)
	v_mul_f32_e32 v13, v13, v21
	v_fmac_f32_e32 v13, v22, v22
	s_delay_alu instid0(VALU_DEP_1) | instskip(NEXT) | instid1(VALU_DEP_1)
	v_add_f32_e32 v23, 1.0, v13
	v_cvt_f64_f32_e32 v[21:22], v23
	s_delay_alu instid0(VALU_DEP_1) | instskip(SKIP_1) | instid1(VALU_DEP_1)
	v_frexp_exp_i32_f64_e32 v21, v[21:22]
	v_frexp_mant_f32_e32 v22, v23
	v_cmp_gt_f32_e32 vcc_lo, 0x3f2aaaab, v22
	v_add_f32_e32 v22, -1.0, v23
	s_delay_alu instid0(VALU_DEP_1) | instskip(SKIP_1) | instid1(VALU_DEP_1)
	v_sub_f32_e32 v25, v22, v23
	v_subrev_co_ci_u32_e32 v21, vcc_lo, 0, v21, vcc_lo
	v_sub_nc_u32_e32 v24, 0, v21
	v_cvt_f32_i32_e32 v21, v21
	s_delay_alu instid0(VALU_DEP_2) | instskip(NEXT) | instid1(VALU_DEP_1)
	v_ldexp_f32 v23, v23, v24
	v_dual_add_f32 v25, 1.0, v25 :: v_dual_add_f32 v26, 1.0, v23
	v_sub_f32_e32 v22, v13, v22
	v_cmp_eq_f32_e32 vcc_lo, 0x7f800000, v13
	v_cmp_neq_f32_e64 s7, -1.0, v13
	s_delay_alu instid0(VALU_DEP_3) | instskip(NEXT) | instid1(VALU_DEP_1)
	v_add_f32_e32 v22, v22, v25
	v_ldexp_f32 v22, v22, v24
	v_dual_add_f32 v24, -1.0, v23 :: v_dual_add_f32 v25, -1.0, v26
	s_delay_alu instid0(VALU_DEP_1) | instskip(NEXT) | instid1(VALU_DEP_2)
	v_add_f32_e32 v27, 1.0, v24
	v_sub_f32_e32 v25, v23, v25
	s_delay_alu instid0(VALU_DEP_2) | instskip(NEXT) | instid1(VALU_DEP_2)
	v_sub_f32_e32 v23, v23, v27
	v_add_f32_e32 v25, v22, v25
	s_delay_alu instid0(VALU_DEP_2) | instskip(NEXT) | instid1(VALU_DEP_1)
	v_add_f32_e32 v22, v22, v23
	v_add_f32_e32 v28, v24, v22
	s_delay_alu instid0(VALU_DEP_1) | instskip(NEXT) | instid1(VALU_DEP_1)
	v_dual_sub_f32 v24, v28, v24 :: v_dual_add_f32 v27, v26, v25
	v_sub_f32_e32 v22, v22, v24
	s_delay_alu instid0(VALU_DEP_2) | instskip(SKIP_1) | instid1(VALU_DEP_1)
	v_rcp_f32_e32 v23, v27
	v_sub_f32_e32 v26, v27, v26
	v_sub_f32_e32 v25, v25, v26
	s_waitcnt_depctr 0xfff
	v_mul_f32_e32 v29, v28, v23
	s_delay_alu instid0(VALU_DEP_1) | instskip(NEXT) | instid1(VALU_DEP_1)
	v_mul_f32_e32 v30, v27, v29
	v_fma_f32 v26, v29, v27, -v30
	s_delay_alu instid0(VALU_DEP_1) | instskip(NEXT) | instid1(VALU_DEP_1)
	v_fmac_f32_e32 v26, v29, v25
	v_add_f32_e32 v31, v30, v26
	s_delay_alu instid0(VALU_DEP_1) | instskip(SKIP_1) | instid1(VALU_DEP_2)
	v_sub_f32_e32 v32, v28, v31
	v_sub_f32_e32 v24, v31, v30
	;; [unrolled: 1-line block ×3, first 2 shown]
	s_delay_alu instid0(VALU_DEP_2) | instskip(NEXT) | instid1(VALU_DEP_2)
	v_sub_f32_e32 v24, v24, v26
	v_sub_f32_e32 v28, v28, v31
	s_delay_alu instid0(VALU_DEP_1) | instskip(NEXT) | instid1(VALU_DEP_1)
	v_add_f32_e32 v22, v22, v28
	v_add_f32_e32 v22, v24, v22
	s_delay_alu instid0(VALU_DEP_1) | instskip(NEXT) | instid1(VALU_DEP_1)
	v_add_f32_e32 v24, v32, v22
	v_mul_f32_e32 v26, v23, v24
	s_delay_alu instid0(VALU_DEP_1) | instskip(NEXT) | instid1(VALU_DEP_1)
	v_dual_sub_f32 v31, v32, v24 :: v_dual_mul_f32 v28, v27, v26
	v_add_f32_e32 v22, v22, v31
	s_delay_alu instid0(VALU_DEP_2) | instskip(NEXT) | instid1(VALU_DEP_1)
	v_fma_f32 v27, v26, v27, -v28
	v_fmac_f32_e32 v27, v26, v25
	s_delay_alu instid0(VALU_DEP_1) | instskip(NEXT) | instid1(VALU_DEP_1)
	v_add_f32_e32 v25, v28, v27
	v_sub_f32_e32 v30, v24, v25
	s_delay_alu instid0(VALU_DEP_1) | instskip(NEXT) | instid1(VALU_DEP_1)
	v_sub_f32_e32 v24, v24, v30
	v_sub_f32_e32 v24, v24, v25
	s_delay_alu instid0(VALU_DEP_1) | instskip(SKIP_2) | instid1(VALU_DEP_1)
	v_add_f32_e32 v22, v22, v24
	v_add_f32_e32 v24, v29, v26
	v_sub_f32_e32 v28, v25, v28
	v_sub_f32_e32 v25, v28, v27
	v_max_f32_e64 v27, |v2|, |v2|
	s_delay_alu instid0(VALU_DEP_2) | instskip(NEXT) | instid1(VALU_DEP_1)
	v_dual_add_f32 v22, v25, v22 :: v_dual_sub_f32 v25, v24, v29
	v_add_f32_e32 v22, v30, v22
	s_delay_alu instid0(VALU_DEP_2) | instskip(SKIP_1) | instid1(VALU_DEP_3)
	v_sub_f32_e32 v25, v26, v25
	v_mul_f32_e32 v30, 0x3f317218, v21
	v_mul_f32_e32 v22, v23, v22
	s_delay_alu instid0(VALU_DEP_2) | instskip(NEXT) | instid1(VALU_DEP_1)
	v_fma_f32 v31, 0x3f317218, v21, -v30
	v_dual_add_f32 v22, v25, v22 :: v_dual_fmac_f32 v31, 0xb102e308, v21
	s_delay_alu instid0(VALU_DEP_1) | instskip(NEXT) | instid1(VALU_DEP_1)
	v_add_f32_e32 v23, v24, v22
	v_mul_f32_e32 v25, v23, v23
	v_ldexp_f32 v29, v23, 1
	s_delay_alu instid0(VALU_DEP_2) | instskip(SKIP_2) | instid1(VALU_DEP_3)
	v_fmaak_f32 v26, s21, v25, 0x3ecc95a3
	v_mul_f32_e32 v28, v23, v25
	v_sub_f32_e32 v23, v23, v24
	v_fmaak_f32 v25, v25, v26, 0x3f2aaada
	v_max_f32_e64 v26, |v1|, |v1|
	s_delay_alu instid0(VALU_DEP_2) | instskip(NEXT) | instid1(VALU_DEP_2)
	v_dual_sub_f32 v22, v22, v23 :: v_dual_mul_f32 v25, v28, v25
	v_max_f32_e32 v28, v26, v27
	s_delay_alu instid0(VALU_DEP_2) | instskip(NEXT) | instid1(VALU_DEP_3)
	v_ldexp_f32 v22, v22, 1
	v_add_f32_e32 v24, v29, v25
	s_delay_alu instid0(VALU_DEP_1) | instskip(NEXT) | instid1(VALU_DEP_1)
	v_sub_f32_e32 v23, v24, v29
	v_sub_f32_e32 v23, v25, v23
	s_delay_alu instid0(VALU_DEP_1) | instskip(SKIP_4) | instid1(VALU_DEP_4)
	v_add_f32_e32 v21, v22, v23
	v_min_f32_e32 v26, v26, v27
	v_frexp_mant_f32_e32 v27, v28
	v_add_f32_e32 v23, v30, v31
	v_frexp_exp_i32_f32_e32 v28, v28
	v_frexp_mant_f32_e32 v25, v26
	s_delay_alu instid0(VALU_DEP_4) | instskip(NEXT) | instid1(VALU_DEP_3)
	v_rcp_f32_e32 v27, v27
	v_sub_f32_e32 v30, v23, v30
	s_delay_alu instid0(VALU_DEP_1) | instskip(SKIP_2) | instid1(VALU_DEP_1)
	v_sub_f32_e32 v30, v31, v30
	s_waitcnt_depctr 0xfff
	v_dual_mul_f32 v22, v25, v27 :: v_dual_add_f32 v25, v24, v21
	v_sub_f32_e32 v24, v25, v24
	s_delay_alu instid0(VALU_DEP_1) | instskip(SKIP_1) | instid1(VALU_DEP_1)
	v_sub_f32_e32 v21, v21, v24
	v_frexp_exp_i32_f32_e32 v29, v26
	v_sub_nc_u32_e32 v26, v29, v28
	s_delay_alu instid0(VALU_DEP_1) | instskip(NEXT) | instid1(VALU_DEP_1)
	v_ldexp_f32 v22, v22, v26
	v_dual_add_f32 v26, v23, v25 :: v_dual_mul_f32 v27, v22, v22
	s_delay_alu instid0(VALU_DEP_1) | instskip(NEXT) | instid1(VALU_DEP_1)
	v_sub_f32_e32 v28, v26, v23
	v_dual_fmaak_f32 v29, s26, v27, 0xbc7a590c :: v_dual_sub_f32 v32, v26, v28
	v_sub_f32_e32 v24, v25, v28
	v_add_f32_e32 v28, v30, v21
	s_delay_alu instid0(VALU_DEP_3) | instskip(NEXT) | instid1(VALU_DEP_4)
	v_fmaak_f32 v29, v27, v29, 0x3d29fb3f
	v_sub_f32_e32 v23, v23, v32
	s_delay_alu instid0(VALU_DEP_2) | instskip(NEXT) | instid1(VALU_DEP_1)
	v_fmaak_f32 v25, v27, v29, 0xbd97d4d7
	v_dual_add_f32 v23, v24, v23 :: v_dual_fmaak_f32 v24, v27, v25, 0x3dd931b2
	v_sub_f32_e32 v25, v28, v30
	s_delay_alu instid0(VALU_DEP_2) | instskip(NEXT) | instid1(VALU_DEP_1)
	v_add_f32_e32 v23, v28, v23
	v_dual_sub_f32 v28, v28, v25 :: v_dual_add_f32 v29, v26, v23
	v_sub_f32_e32 v21, v21, v25
	s_delay_alu instid0(VALU_DEP_2) | instskip(NEXT) | instid1(VALU_DEP_1)
	v_dual_sub_f32 v25, v30, v28 :: v_dual_sub_f32 v26, v29, v26
	v_add_f32_e32 v21, v21, v25
	s_delay_alu instid0(VALU_DEP_2) | instskip(NEXT) | instid1(VALU_DEP_1)
	v_sub_f32_e32 v23, v23, v26
	v_dual_add_f32 v21, v21, v23 :: v_dual_fmaak_f32 v24, v27, v24, 0xbe1160e6
	s_delay_alu instid0(VALU_DEP_1) | instskip(NEXT) | instid1(VALU_DEP_1)
	v_dual_add_f32 v21, v29, v21 :: v_dual_fmaak_f32 v24, v27, v24, 0x3e4cb8bf
	v_dual_cndmask_b32 v21, v21, v13 :: v_dual_fmaak_f32 v24, v27, v24, 0xbeaaaa62
	v_cmp_gt_i32_e32 vcc_lo, 0, v1
	s_delay_alu instid0(VALU_DEP_2) | instskip(NEXT) | instid1(VALU_DEP_1)
	v_mul_f32_e32 v24, v27, v24
	v_fmac_f32_e32 v22, v22, v24
	s_delay_alu instid0(VALU_DEP_1) | instskip(NEXT) | instid1(VALU_DEP_1)
	v_sub_f32_e32 v23, 0x3fc90fdb, v22
	v_cndmask_b32_e64 v22, v22, v23, s6
	v_cndmask_b32_e64 v23, 0, 0x40490fdb, vcc_lo
	v_cmp_ngt_f32_e32 vcc_lo, -1.0, v13
	s_delay_alu instid0(VALU_DEP_3) | instskip(SKIP_2) | instid1(VALU_DEP_2)
	v_sub_f32_e32 v24, 0x40490fdb, v22
	v_cndmask_b32_e32 v21, 0x7fc00000, v21, vcc_lo
	v_cmp_gt_f32_e32 vcc_lo, 0, v1
	v_cndmask_b32_e64 v1, 0xff800000, v21, s7
	s_delay_alu instid0(VALU_DEP_4)
	v_cndmask_b32_e32 v21, v22, v24, vcc_lo
	v_cndmask_b32_e32 v22, 0x3f490fdb, v17, vcc_lo
	v_cmp_gt_f32_e64 vcc_lo, 0x33800000, |v13|
	v_cmp_class_f32_e64 s7, v2, 0x204
	v_cndmask_b32_e32 v1, v1, v13, vcc_lo
	v_cmp_eq_f32_e32 vcc_lo, 0, v2
	s_delay_alu instid0(VALU_DEP_2) | instskip(SKIP_2) | instid1(VALU_DEP_1)
	v_mul_f32_e32 v13, 0.5, v1
	v_cndmask_b32_e32 v21, v21, v23, vcc_lo
	s_and_b32 vcc_lo, s7, s9
                                        ; implicit-def: $vgpr23
	v_cndmask_b32_e32 v21, v21, v22, vcc_lo
                                        ; implicit-def: $vgpr22
.LBB199_86:                             ;   in Loop: Header=BB199_4 Depth=1
	s_and_not1_saveexec_b32 s31, s8
	s_cbranch_execz .LBB199_94
; %bb.87:                               ;   in Loop: Header=BB199_4 Depth=1
	v_mul_f32_e32 v24, v22, v22
                                        ; implicit-def: $vgpr13
                                        ; implicit-def: $vgpr21
	s_mov_b32 s7, exec_lo
	s_delay_alu instid0(VALU_DEP_1) | instskip(NEXT) | instid1(VALU_DEP_1)
	v_fmac_f32_e32 v24, v23, v23
	v_cmpx_ge_f32_e32 0x3f333333, v24
	s_xor_b32 s8, exec_lo, s7
	s_cbranch_execz .LBB199_89
; %bb.88:                               ;   in Loop: Header=BB199_4 Depth=1
	v_max_f32_e64 v13, |v2|, |v2|
	v_max_f32_e64 v21, |v1|, |v1|
	v_cmp_gt_f32_e32 vcc_lo, 0x800000, v24
	v_cmp_gt_i32_e64 s7, 0, v1
	v_cmp_class_f32_e64 s9, v1, 0x204
	v_cmp_class_f32_e64 s10, v2, 0x204
	v_max_f32_e32 v22, v21, v13
	v_min_f32_e32 v13, v21, v13
	v_cndmask_b32_e64 v25, 0, 0x41b17218, vcc_lo
	s_delay_alu instid0(VALU_DEP_3) | instskip(SKIP_1) | instid1(VALU_DEP_2)
	v_frexp_mant_f32_e32 v23, v22
	v_frexp_exp_i32_f32_e32 v22, v22
	v_rcp_f32_e32 v21, v23
	v_frexp_exp_i32_f32_e32 v23, v13
	v_frexp_mant_f32_e32 v13, v13
	s_delay_alu instid0(VALU_DEP_2) | instskip(SKIP_4) | instid1(VALU_DEP_2)
	v_sub_nc_u32_e32 v22, v23, v22
	v_cndmask_b32_e64 v23, 1.0, 0x4f800000, vcc_lo
	s_waitcnt_depctr 0xfff
	v_mul_f32_e32 v13, v13, v21
	v_mul_f32_e32 v23, v24, v23
	v_ldexp_f32 v13, v13, v22
	s_delay_alu instid0(VALU_DEP_2) | instskip(NEXT) | instid1(VALU_DEP_1)
	v_log_f32_e32 v23, v23
	v_mul_f32_e32 v21, v13, v13
	s_delay_alu instid0(VALU_DEP_1) | instskip(SKIP_3) | instid1(VALU_DEP_1)
	v_fmaak_f32 v22, s26, v21, 0xbc7a590c
	s_waitcnt_depctr 0xfff
	v_cmp_gt_f32_e64 vcc_lo, 0x7f800000, |v23|
	v_fmaak_f32 v22, v21, v22, 0x3d29fb3f
	v_fmaak_f32 v22, v21, v22, 0xbd97d4d7
	s_delay_alu instid0(VALU_DEP_1) | instskip(NEXT) | instid1(VALU_DEP_1)
	v_fmaak_f32 v22, v21, v22, 0x3dd931b2
	v_fmaak_f32 v22, v21, v22, 0xbe1160e6
	s_delay_alu instid0(VALU_DEP_1) | instskip(NEXT) | instid1(VALU_DEP_1)
	;; [unrolled: 3-line block ×3, first 2 shown]
	v_dual_mul_f32 v21, v21, v22 :: v_dual_mul_f32 v22, 0x3f317217, v23
	v_fmac_f32_e32 v13, v13, v21
	s_delay_alu instid0(VALU_DEP_2) | instskip(NEXT) | instid1(VALU_DEP_2)
	v_fma_f32 v21, 0x3f317217, v23, -v22
	v_sub_f32_e32 v24, 0x3fc90fdb, v13
	s_delay_alu instid0(VALU_DEP_2) | instskip(NEXT) | instid1(VALU_DEP_2)
	v_fmac_f32_e32 v21, 0x3377d1cf, v23
	v_cndmask_b32_e64 v13, v13, v24, s6
	s_delay_alu instid0(VALU_DEP_2) | instskip(SKIP_2) | instid1(VALU_DEP_4)
	v_add_f32_e32 v21, v22, v21
	v_cndmask_b32_e64 v22, 0, 0x40490fdb, s7
	v_cmp_eq_f32_e64 s7, 0, v2
	v_sub_f32_e32 v24, 0x40490fdb, v13
	s_delay_alu instid0(VALU_DEP_4) | instskip(SKIP_1) | instid1(VALU_DEP_2)
	v_cndmask_b32_e32 v21, v23, v21, vcc_lo
	v_cmp_gt_f32_e32 vcc_lo, 0, v1
                                        ; implicit-def: $vgpr23
	v_sub_f32_e32 v1, v21, v25
	s_delay_alu instid0(VALU_DEP_4) | instskip(NEXT) | instid1(VALU_DEP_1)
	v_cndmask_b32_e32 v13, v13, v24, vcc_lo
	v_cndmask_b32_e64 v21, v13, v22, s7
	v_cndmask_b32_e32 v22, 0x3f490fdb, v17, vcc_lo
	s_and_b32 vcc_lo, s10, s9
	v_mul_f32_e32 v13, 0.5, v1
	s_delay_alu instid0(VALU_DEP_2)
	v_cndmask_b32_e32 v21, v21, v22, vcc_lo
                                        ; implicit-def: $vgpr22
.LBB199_89:                             ;   in Loop: Header=BB199_4 Depth=1
	s_and_not1_saveexec_b32 s33, s8
	s_cbranch_execz .LBB199_93
; %bb.90:                               ;   in Loop: Header=BB199_4 Depth=1
	v_and_b32_e32 v24, 0x7fff0000, v22
	v_and_b32_e32 v21, 0x7fff0000, v23
	s_mov_b32 s34, 0
	s_delay_alu instid0(VALU_DEP_2) | instskip(NEXT) | instid1(VALU_DEP_2)
	v_sub_f32_e32 v25, v22, v24
	v_dual_mul_f32 v22, v24, v24 :: v_dual_sub_f32 v23, v23, v21
	v_dual_add_f32 v28, v21, v21 :: v_dual_add_f32 v31, v24, v24
	s_delay_alu instid0(VALU_DEP_2) | instskip(NEXT) | instid1(VALU_DEP_4)
	v_and_b32_e32 v26, 0xffff0000, v23
	v_and_b32_e32 v27, 0xffff0000, v25
	s_delay_alu instid0(VALU_DEP_2) | instskip(NEXT) | instid1(VALU_DEP_4)
	v_dual_mul_f32 v13, v21, v21 :: v_dual_sub_f32 v24, v23, v26
	v_mul_f32_e32 v30, v28, v26
	s_delay_alu instid0(VALU_DEP_3)
	v_dual_sub_f32 v32, v25, v27 :: v_dual_mul_f32 v23, v26, v26
	v_add_f32_e32 v25, v26, v26
	v_add_f32_e32 v33, v27, v27
	v_dual_mul_f32 v21, v31, v27 :: v_dual_mul_f32 v26, v28, v24
	v_mul_f32_e32 v29, v27, v27
	v_mul_f32_e32 v28, v31, v32
	;; [unrolled: 1-line block ×6, first 2 shown]
.LBB199_91:                             ;   Parent Loop BB199_4 Depth=1
                                        ; =>  This Inner Loop Header: Depth=2
	v_cmp_nlt_f32_e32 vcc_lo, v13, v22
	s_delay_alu instid0(VALU_DEP_2) | instskip(SKIP_1) | instid1(VALU_DEP_2)
	v_dual_mov_b32 v33, v31 :: v_dual_cndmask_b32 v32, v13, v22
	v_cndmask_b32_e32 v13, v22, v13, vcc_lo
	v_cmp_nlt_f32_e64 s7, v32, v30
	s_delay_alu instid0(VALU_DEP_1) | instskip(SKIP_2) | instid1(VALU_DEP_2)
	v_cndmask_b32_e64 v31, v32, v30, s7
	v_cndmask_b32_e64 v22, v30, v32, s7
	s_and_b32 s35, vcc_lo, s7
	v_cmp_nlt_f32_e64 s8, v31, v21
	s_delay_alu instid0(VALU_DEP_1) | instskip(SKIP_1) | instid1(VALU_DEP_2)
	v_cndmask_b32_e64 v34, v31, v21, s8
	v_cndmask_b32_e64 v30, v21, v31, s8
	v_cmp_nlt_f32_e64 s9, v34, v23
	s_delay_alu instid0(VALU_DEP_1) | instskip(SKIP_2) | instid1(VALU_DEP_2)
	v_cndmask_b32_e64 v32, v34, v23, s9
	v_cndmask_b32_e64 v21, v23, v34, s9
	s_and_b32 s36, s8, s9
	v_cmp_nlt_f32_e64 s10, v32, v29
	s_delay_alu instid0(VALU_DEP_1) | instskip(SKIP_1) | instid1(VALU_DEP_2)
	v_cndmask_b32_e64 v35, v32, v29, s10
	v_cndmask_b32_e64 v23, v29, v32, s10
	v_cmp_nlt_f32_e64 s11, v35, v26
	s_delay_alu instid0(VALU_DEP_1) | instskip(SKIP_2) | instid1(VALU_DEP_2)
	v_cndmask_b32_e64 v36, v35, v26, s11
	s_and_b32 s9, s10, s11
	v_cndmask_b32_e64 v29, v26, v35, s11
	v_cmp_nlt_f32_e64 s12, v36, v28
	s_delay_alu instid0(VALU_DEP_1) | instskip(SKIP_2) | instid1(VALU_DEP_2)
	v_cndmask_b32_e64 v37, v36, v28, s12
	s_and_b32 s9, s9, s12
	v_cndmask_b32_e64 v26, v28, v36, s12
	v_cmp_nlt_f32_e32 vcc_lo, v37, v27
	v_cndmask_b32_e32 v38, v37, v27, vcc_lo
	s_and_b32 s10, s9, vcc_lo
	v_cndmask_b32_e32 v28, v27, v37, vcc_lo
	s_delay_alu instid0(VALU_DEP_2) | instskip(NEXT) | instid1(VALU_DEP_1)
	v_cmp_nlt_f32_e64 s7, v38, v25
	v_cndmask_b32_e64 v34, v38, v25, s7
	s_and_b32 s10, s10, s7
	v_cndmask_b32_e64 v27, v25, v38, s7
	s_delay_alu instid0(VALU_DEP_2) | instskip(NEXT) | instid1(VALU_DEP_1)
	v_cmp_nlt_f32_e64 s8, v34, v24
	v_cndmask_b32_e64 v32, v34, v24, s8
	s_and_b32 s10, s10, s8
	v_cndmask_b32_e64 v25, v24, v34, s8
	s_delay_alu instid0(VALU_DEP_2) | instskip(NEXT) | instid1(VALU_DEP_1)
	v_cmp_nlt_f32_e64 s9, v32, v33
	s_and_b32 s10, s10, s9
	v_cndmask_b32_e64 v31, v32, v33, s9
	s_and_b32 s7, s10, s36
	v_cndmask_b32_e64 v24, v33, v32, s9
	s_and_b32 s7, s7, s35
	s_delay_alu instid0(SALU_CYCLE_1) | instskip(NEXT) | instid1(SALU_CYCLE_1)
	s_and_b32 s7, exec_lo, s7
	s_or_b32 s34, s7, s34
	s_delay_alu instid0(SALU_CYCLE_1)
	s_and_not1_b32 exec_lo, exec_lo, s34
	s_cbranch_execnz .LBB199_91
; %bb.92:                               ;   in Loop: Header=BB199_4 Depth=1
	s_or_b32 exec_lo, exec_lo, s34
	v_add_f32_e32 v13, -1.0, v13
	v_cmp_class_f32_e64 s8, v1, 0x204
	s_delay_alu instid0(VALU_DEP_2) | instskip(NEXT) | instid1(VALU_DEP_1)
	v_add_f32_e32 v13, v13, v22
	v_add_f32_e32 v13, v13, v30
	s_delay_alu instid0(VALU_DEP_1) | instskip(NEXT) | instid1(VALU_DEP_1)
	v_add_f32_e32 v13, v13, v21
	v_add_f32_e32 v13, v13, v23
	s_delay_alu instid0(VALU_DEP_1) | instskip(NEXT) | instid1(VALU_DEP_1)
	;; [unrolled: 3-line block ×5, first 2 shown]
	v_add_f32_e32 v13, v31, v13
	v_add_f32_e32 v23, 1.0, v13
	s_delay_alu instid0(VALU_DEP_1) | instskip(NEXT) | instid1(VALU_DEP_1)
	v_cvt_f64_f32_e32 v[21:22], v23
	v_frexp_exp_i32_f64_e32 v21, v[21:22]
	v_frexp_mant_f32_e32 v22, v23
	s_delay_alu instid0(VALU_DEP_1) | instskip(SKIP_1) | instid1(VALU_DEP_1)
	v_cmp_gt_f32_e32 vcc_lo, 0x3f2aaaab, v22
	v_add_f32_e32 v22, -1.0, v23
	v_dual_sub_f32 v25, v22, v23 :: v_dual_sub_f32 v22, v13, v22
	s_delay_alu instid0(VALU_DEP_1) | instskip(NEXT) | instid1(VALU_DEP_1)
	v_add_f32_e32 v25, 1.0, v25
	v_add_f32_e32 v22, v22, v25
	v_subrev_co_ci_u32_e32 v21, vcc_lo, 0, v21, vcc_lo
	s_delay_alu instid0(VALU_DEP_1) | instskip(SKIP_1) | instid1(VALU_DEP_2)
	v_sub_nc_u32_e32 v24, 0, v21
	v_cvt_f32_i32_e32 v21, v21
	v_ldexp_f32 v23, v23, v24
	v_ldexp_f32 v22, v22, v24
	s_delay_alu instid0(VALU_DEP_2) | instskip(NEXT) | instid1(VALU_DEP_1)
	v_add_f32_e32 v26, 1.0, v23
	v_dual_add_f32 v24, -1.0, v23 :: v_dual_add_f32 v25, -1.0, v26
	s_delay_alu instid0(VALU_DEP_1) | instskip(NEXT) | instid1(VALU_DEP_2)
	v_add_f32_e32 v27, 1.0, v24
	v_sub_f32_e32 v25, v23, v25
	s_delay_alu instid0(VALU_DEP_2) | instskip(NEXT) | instid1(VALU_DEP_2)
	v_sub_f32_e32 v23, v23, v27
	v_add_f32_e32 v25, v22, v25
	s_delay_alu instid0(VALU_DEP_2) | instskip(NEXT) | instid1(VALU_DEP_1)
	v_add_f32_e32 v22, v22, v23
	v_dual_add_f32 v27, v26, v25 :: v_dual_add_f32 v28, v24, v22
	s_delay_alu instid0(VALU_DEP_1) | instskip(SKIP_1) | instid1(VALU_DEP_1)
	v_rcp_f32_e32 v23, v27
	v_sub_f32_e32 v26, v27, v26
	v_dual_sub_f32 v24, v28, v24 :: v_dual_sub_f32 v25, v25, v26
	s_waitcnt_depctr 0xfff
	v_dual_sub_f32 v22, v22, v24 :: v_dual_mul_f32 v29, v28, v23
	s_delay_alu instid0(VALU_DEP_1) | instskip(NEXT) | instid1(VALU_DEP_1)
	v_mul_f32_e32 v30, v27, v29
	v_fma_f32 v26, v29, v27, -v30
	s_delay_alu instid0(VALU_DEP_1) | instskip(NEXT) | instid1(VALU_DEP_1)
	v_fmac_f32_e32 v26, v29, v25
	v_add_f32_e32 v31, v30, v26
	s_delay_alu instid0(VALU_DEP_1) | instskip(SKIP_1) | instid1(VALU_DEP_2)
	v_sub_f32_e32 v32, v28, v31
	v_sub_f32_e32 v24, v31, v30
	;; [unrolled: 1-line block ×3, first 2 shown]
	s_delay_alu instid0(VALU_DEP_2) | instskip(SKIP_2) | instid1(VALU_DEP_4)
	v_sub_f32_e32 v24, v24, v26
	v_cmp_eq_f32_e32 vcc_lo, 0x7f800000, v13
	v_cmp_neq_f32_e64 s7, -1.0, v13
	v_sub_f32_e32 v28, v28, v31
	s_delay_alu instid0(VALU_DEP_1) | instskip(NEXT) | instid1(VALU_DEP_1)
	v_add_f32_e32 v22, v22, v28
	v_add_f32_e32 v22, v24, v22
	s_delay_alu instid0(VALU_DEP_1) | instskip(NEXT) | instid1(VALU_DEP_1)
	v_add_f32_e32 v24, v32, v22
	v_mul_f32_e32 v26, v23, v24
	s_delay_alu instid0(VALU_DEP_1) | instskip(NEXT) | instid1(VALU_DEP_1)
	v_dual_mul_f32 v28, v27, v26 :: v_dual_sub_f32 v31, v32, v24
	v_fma_f32 v27, v26, v27, -v28
	s_delay_alu instid0(VALU_DEP_2) | instskip(NEXT) | instid1(VALU_DEP_2)
	v_add_f32_e32 v22, v22, v31
	v_fmac_f32_e32 v27, v26, v25
	s_delay_alu instid0(VALU_DEP_1) | instskip(NEXT) | instid1(VALU_DEP_1)
	v_add_f32_e32 v25, v28, v27
	v_sub_f32_e32 v30, v24, v25
	s_delay_alu instid0(VALU_DEP_1) | instskip(NEXT) | instid1(VALU_DEP_1)
	v_sub_f32_e32 v24, v24, v30
	v_sub_f32_e32 v24, v24, v25
	s_delay_alu instid0(VALU_DEP_1) | instskip(SKIP_2) | instid1(VALU_DEP_1)
	v_add_f32_e32 v22, v22, v24
	v_add_f32_e32 v24, v29, v26
	v_sub_f32_e32 v28, v25, v28
	v_sub_f32_e32 v25, v28, v27
	v_max_f32_e64 v27, |v2|, |v2|
	s_delay_alu instid0(VALU_DEP_2) | instskip(NEXT) | instid1(VALU_DEP_1)
	v_dual_add_f32 v22, v25, v22 :: v_dual_sub_f32 v25, v24, v29
	v_sub_f32_e32 v25, v26, v25
	s_delay_alu instid0(VALU_DEP_2) | instskip(NEXT) | instid1(VALU_DEP_1)
	v_add_f32_e32 v22, v30, v22
	v_mul_f32_e32 v22, v23, v22
	s_delay_alu instid0(VALU_DEP_1) | instskip(NEXT) | instid1(VALU_DEP_1)
	v_add_f32_e32 v22, v25, v22
	v_add_f32_e32 v23, v24, v22
	s_delay_alu instid0(VALU_DEP_1) | instskip(NEXT) | instid1(VALU_DEP_1)
	v_mul_f32_e32 v25, v23, v23
	v_fmaak_f32 v26, s21, v25, 0x3ecc95a3
	v_mul_f32_e32 v28, v23, v25
	v_ldexp_f32 v29, v23, 1
	v_sub_f32_e32 v23, v23, v24
	s_delay_alu instid0(VALU_DEP_4) | instskip(SKIP_1) | instid1(VALU_DEP_2)
	v_fmaak_f32 v25, v25, v26, 0x3f2aaada
	v_max_f32_e64 v26, |v1|, |v1|
	v_dual_sub_f32 v22, v22, v23 :: v_dual_mul_f32 v25, v28, v25
	s_delay_alu instid0(VALU_DEP_1) | instskip(NEXT) | instid1(VALU_DEP_2)
	v_ldexp_f32 v22, v22, 1
	v_add_f32_e32 v24, v29, v25
	s_delay_alu instid0(VALU_DEP_1) | instskip(NEXT) | instid1(VALU_DEP_1)
	v_dual_max_f32 v28, v26, v27 :: v_dual_sub_f32 v23, v24, v29
	v_dual_mul_f32 v30, 0x3f317218, v21 :: v_dual_sub_f32 v23, v25, v23
	s_delay_alu instid0(VALU_DEP_1) | instskip(SKIP_1) | instid1(VALU_DEP_4)
	v_fma_f32 v31, 0x3f317218, v21, -v30
	v_min_f32_e32 v26, v26, v27
	v_frexp_mant_f32_e32 v27, v28
	v_frexp_exp_i32_f32_e32 v28, v28
	s_delay_alu instid0(VALU_DEP_4) | instskip(NEXT) | instid1(VALU_DEP_4)
	v_fmac_f32_e32 v31, 0xb102e308, v21
	v_frexp_exp_i32_f32_e32 v29, v26
	s_delay_alu instid0(VALU_DEP_4) | instskip(SKIP_2) | instid1(VALU_DEP_3)
	v_rcp_f32_e32 v27, v27
	v_frexp_mant_f32_e32 v25, v26
	v_add_f32_e32 v21, v22, v23
	v_sub_nc_u32_e32 v26, v29, v28
	s_waitcnt_depctr 0xfff
	v_dual_mul_f32 v22, v25, v27 :: v_dual_add_f32 v25, v24, v21
	v_add_f32_e32 v23, v30, v31
	s_delay_alu instid0(VALU_DEP_2) | instskip(NEXT) | instid1(VALU_DEP_3)
	v_ldexp_f32 v22, v22, v26
	v_sub_f32_e32 v24, v25, v24
	s_delay_alu instid0(VALU_DEP_3) | instskip(SKIP_1) | instid1(VALU_DEP_4)
	v_add_f32_e32 v26, v23, v25
	v_sub_f32_e32 v30, v23, v30
	v_mul_f32_e32 v27, v22, v22
	s_delay_alu instid0(VALU_DEP_3) | instskip(NEXT) | instid1(VALU_DEP_1)
	v_dual_sub_f32 v21, v21, v24 :: v_dual_sub_f32 v28, v26, v23
	v_dual_fmaak_f32 v29, s26, v27, 0xbc7a590c :: v_dual_sub_f32 v24, v25, v28
	s_delay_alu instid0(VALU_DEP_1) | instskip(NEXT) | instid1(VALU_DEP_1)
	v_dual_fmaak_f32 v29, v27, v29, 0x3d29fb3f :: v_dual_sub_f32 v32, v26, v28
	v_fmaak_f32 v25, v27, v29, 0xbd97d4d7
	s_delay_alu instid0(VALU_DEP_2) | instskip(NEXT) | instid1(VALU_DEP_1)
	v_sub_f32_e32 v23, v23, v32
	v_dual_sub_f32 v30, v31, v30 :: v_dual_add_f32 v23, v24, v23
	s_delay_alu instid0(VALU_DEP_1) | instskip(NEXT) | instid1(VALU_DEP_1)
	v_add_f32_e32 v28, v30, v21
	v_dual_fmaak_f32 v24, v27, v25, 0x3dd931b2 :: v_dual_add_f32 v23, v28, v23
	s_delay_alu instid0(VALU_DEP_1) | instskip(NEXT) | instid1(VALU_DEP_2)
	v_dual_sub_f32 v25, v28, v30 :: v_dual_fmaak_f32 v24, v27, v24, 0xbe1160e6
	v_add_f32_e32 v29, v26, v23
	s_delay_alu instid0(VALU_DEP_2) | instskip(NEXT) | instid1(VALU_DEP_2)
	v_dual_sub_f32 v21, v21, v25 :: v_dual_fmaak_f32 v24, v27, v24, 0x3e4cb8bf
	v_sub_f32_e32 v26, v29, v26
	s_delay_alu instid0(VALU_DEP_1) | instskip(NEXT) | instid1(VALU_DEP_1)
	v_dual_sub_f32 v28, v28, v25 :: v_dual_sub_f32 v23, v23, v26
	v_sub_f32_e32 v25, v30, v28
	s_delay_alu instid0(VALU_DEP_1) | instskip(NEXT) | instid1(VALU_DEP_1)
	v_dual_fmaak_f32 v24, v27, v24, 0xbeaaaa62 :: v_dual_add_f32 v21, v21, v25
	v_dual_mul_f32 v24, v27, v24 :: v_dual_add_f32 v21, v21, v23
	s_delay_alu instid0(VALU_DEP_1) | instskip(NEXT) | instid1(VALU_DEP_1)
	v_dual_fmac_f32 v22, v22, v24 :: v_dual_add_f32 v21, v29, v21
	v_sub_f32_e32 v23, 0x3fc90fdb, v22
	s_delay_alu instid0(VALU_DEP_2) | instskip(SKIP_1) | instid1(VALU_DEP_3)
	v_cndmask_b32_e32 v21, v21, v13, vcc_lo
	v_cmp_gt_i32_e32 vcc_lo, 0, v1
	v_cndmask_b32_e64 v22, v22, v23, s6
	v_cndmask_b32_e64 v23, 0, 0x40490fdb, vcc_lo
	v_cmp_ngt_f32_e32 vcc_lo, -1.0, v13
	s_delay_alu instid0(VALU_DEP_3) | instskip(SKIP_2) | instid1(VALU_DEP_2)
	v_sub_f32_e32 v24, 0x40490fdb, v22
	v_cndmask_b32_e32 v21, 0x7fc00000, v21, vcc_lo
	v_cmp_gt_f32_e32 vcc_lo, 0, v1
	v_cndmask_b32_e64 v1, 0xff800000, v21, s7
	s_delay_alu instid0(VALU_DEP_4)
	v_cndmask_b32_e32 v21, v22, v24, vcc_lo
	v_cndmask_b32_e32 v22, 0x3f490fdb, v17, vcc_lo
	v_cmp_gt_f32_e64 vcc_lo, 0x33800000, |v13|
	v_cmp_class_f32_e64 s7, v2, 0x204
	v_cndmask_b32_e32 v1, v1, v13, vcc_lo
	v_cmp_eq_f32_e32 vcc_lo, 0, v2
	s_delay_alu instid0(VALU_DEP_2) | instskip(SKIP_2) | instid1(VALU_DEP_1)
	v_mul_f32_e32 v13, 0.5, v1
	v_cndmask_b32_e32 v21, v21, v23, vcc_lo
	s_and_b32 vcc_lo, s7, s8
	v_cndmask_b32_e32 v21, v21, v22, vcc_lo
.LBB199_93:                             ;   in Loop: Header=BB199_4 Depth=1
	s_or_b32 exec_lo, exec_lo, s33
.LBB199_94:                             ;   in Loop: Header=BB199_4 Depth=1
	s_delay_alu instid0(SALU_CYCLE_1)
	s_or_b32 exec_lo, exec_lo, s31
.LBB199_95:                             ;   in Loop: Header=BB199_4 Depth=1
	s_and_not1_saveexec_b32 s8, s30
	s_cbranch_execz .LBB199_97
; %bb.96:                               ;   in Loop: Header=BB199_4 Depth=1
	v_max_f32_e64 v13, |v2|, |v2|
	v_max_f32_e64 v23, |v1|, |v1|
	v_cmp_gt_i32_e64 s7, 0, v1
	v_cmp_class_f32_e64 s9, v1, 0x204
	v_cmp_class_f32_e64 s10, v2, 0x204
	s_delay_alu instid0(VALU_DEP_4) | instskip(SKIP_1) | instid1(VALU_DEP_2)
	v_max_f32_e32 v24, v23, v13
	v_min_f32_e32 v13, v23, v13
	v_cvt_f64_f32_e32 v[21:22], v24
	s_delay_alu instid0(VALU_DEP_2) | instskip(SKIP_1) | instid1(VALU_DEP_3)
	v_frexp_exp_i32_f32_e32 v25, v13
	v_frexp_mant_f32_e32 v13, v13
	v_frexp_exp_i32_f64_e32 v21, v[21:22]
	v_frexp_mant_f32_e32 v22, v24
	s_delay_alu instid0(VALU_DEP_1) | instskip(SKIP_4) | instid1(VALU_DEP_2)
	v_rcp_f32_e32 v22, v22
	s_waitcnt_depctr 0xfff
	v_mul_f32_e32 v13, v13, v22
	v_frexp_exp_i32_f32_e32 v23, v24
	v_cmp_neq_f32_e32 vcc_lo, 0x7f800000, v24
	v_sub_nc_u32_e32 v23, v25, v23
	s_delay_alu instid0(VALU_DEP_1) | instskip(SKIP_1) | instid1(VALU_DEP_1)
	v_ldexp_f32 v13, v13, v23
	v_sub_nc_u32_e32 v26, 0, v21
	v_ldexp_f32 v22, |v2|, v26
	v_ldexp_f32 v23, |v1|, v26
	s_delay_alu instid0(VALU_DEP_2) | instskip(NEXT) | instid1(VALU_DEP_1)
	v_dual_mul_f32 v22, v22, v22 :: v_dual_mul_f32 v25, v13, v13
	v_dual_fmac_f32 v22, v23, v23 :: v_dual_fmaak_f32 v23, s26, v25, 0xbc7a590c
	s_delay_alu instid0(VALU_DEP_1) | instskip(NEXT) | instid1(VALU_DEP_1)
	v_sqrt_f32_e32 v22, v22
	v_fmaak_f32 v23, v25, v23, 0x3d29fb3f
	s_delay_alu instid0(VALU_DEP_1) | instskip(SKIP_3) | instid1(VALU_DEP_2)
	v_fmaak_f32 v23, v25, v23, 0xbd97d4d7
	s_waitcnt_depctr 0xfff
	v_ldexp_f32 v21, v22, v21
	v_fmaak_f32 v22, v25, v23, 0x3dd931b2
	v_cndmask_b32_e32 v21, 0x7f800000, v21, vcc_lo
	s_delay_alu instid0(VALU_DEP_2) | instskip(NEXT) | instid1(VALU_DEP_2)
	v_fmaak_f32 v22, v25, v22, 0xbe1160e6
	v_cmp_gt_f32_e32 vcc_lo, 0x800000, v21
	s_delay_alu instid0(VALU_DEP_2) | instskip(SKIP_1) | instid1(VALU_DEP_2)
	v_fmaak_f32 v22, v25, v22, 0x3e4cb8bf
	v_cndmask_b32_e64 v23, 1.0, 0x4f800000, vcc_lo
	v_fmaak_f32 v22, v25, v22, 0xbeaaaa62
	s_delay_alu instid0(VALU_DEP_2) | instskip(NEXT) | instid1(VALU_DEP_2)
	v_mul_f32_e32 v21, v21, v23
	v_mul_f32_e32 v22, v25, v22
	s_delay_alu instid0(VALU_DEP_2) | instskip(SKIP_2) | instid1(VALU_DEP_1)
	v_log_f32_e32 v21, v21
	s_waitcnt_depctr 0xfff
	v_dual_fmac_f32 v13, v13, v22 :: v_dual_mul_f32 v22, 0x3f317217, v21
	v_sub_f32_e32 v23, 0x3fc90fdb, v13
	s_delay_alu instid0(VALU_DEP_2) | instskip(NEXT) | instid1(VALU_DEP_2)
	v_fma_f32 v24, 0x3f317217, v21, -v22
	v_cndmask_b32_e64 v13, v13, v23, s6
	v_cndmask_b32_e64 v23, 0, 0x40490fdb, s7
	v_cmp_gt_f32_e64 s7, 0, v1
	s_delay_alu instid0(VALU_DEP_3) | instskip(NEXT) | instid1(VALU_DEP_1)
	v_sub_f32_e32 v25, 0x40490fdb, v13
	v_cndmask_b32_e64 v13, v13, v25, s7
	v_fmac_f32_e32 v24, 0x3377d1cf, v21
	s_delay_alu instid0(VALU_DEP_1) | instskip(SKIP_3) | instid1(VALU_DEP_4)
	v_add_f32_e32 v1, v22, v24
	v_cndmask_b32_e64 v24, 0, 0x41b17218, vcc_lo
	v_cmp_gt_f32_e64 vcc_lo, 0x7f800000, |v21|
	v_cndmask_b32_e64 v22, 0x3f490fdb, v17, s7
	v_cndmask_b32_e32 v1, v21, v1, vcc_lo
	v_cmp_eq_f32_e32 vcc_lo, 0, v2
	v_cndmask_b32_e32 v21, v13, v23, vcc_lo
	s_and_b32 vcc_lo, s10, s9
	s_delay_alu instid0(VALU_DEP_3) | instskip(NEXT) | instid1(VALU_DEP_2)
	v_sub_f32_e32 v13, v1, v24
	v_cndmask_b32_e32 v21, v21, v22, vcc_lo
.LBB199_97:                             ;   in Loop: Header=BB199_4 Depth=1
	s_or_b32 exec_lo, exec_lo, s8
                                        ; implicit-def: $vgpr22
.LBB199_98:                             ;   in Loop: Header=BB199_4 Depth=1
	s_and_not1_saveexec_b32 s8, s29
	s_cbranch_execz .LBB199_104
; %bb.99:                               ;   in Loop: Header=BB199_4 Depth=1
                                        ; implicit-def: $vgpr13
                                        ; implicit-def: $vgpr21
	s_mov_b32 s7, exec_lo
	v_cmpx_ngt_f32_e32 0x1fec1e4a, v22
	s_xor_b32 s9, exec_lo, s7
	s_cbranch_execz .LBB199_101
; %bb.100:                              ;   in Loop: Header=BB199_4 Depth=1
	v_mul_f32_e32 v13, v22, v22
	v_cmp_class_f32_e64 s10, v1, 0x204
	v_cmp_gt_f32_e64 s7, 0, v1
	v_cmp_class_f32_e64 s12, v2, 0x204
	s_delay_alu instid0(VALU_DEP_4) | instskip(NEXT) | instid1(VALU_DEP_1)
	v_add_f32_e32 v23, 1.0, v13
	v_cvt_f64_f32_e32 v[21:22], v23
	s_delay_alu instid0(VALU_DEP_1) | instskip(SKIP_1) | instid1(VALU_DEP_1)
	v_frexp_exp_i32_f64_e32 v21, v[21:22]
	v_frexp_mant_f32_e32 v22, v23
	v_cmp_gt_f32_e32 vcc_lo, 0x3f2aaaab, v22
	v_add_f32_e32 v22, -1.0, v23
	v_cmp_gt_f32_e64 s11, 0x33800000, |v13|
	s_delay_alu instid0(VALU_DEP_2) | instskip(SKIP_2) | instid1(VALU_DEP_2)
	v_dual_sub_f32 v25, v22, v23 :: v_dual_sub_f32 v22, v13, v22
	v_subrev_co_ci_u32_e32 v21, vcc_lo, 0, v21, vcc_lo
	v_cmp_gt_i32_e32 vcc_lo, 0, v1
	v_sub_nc_u32_e32 v24, 0, v21
	v_cvt_f32_i32_e32 v21, v21
	s_delay_alu instid0(VALU_DEP_2) | instskip(NEXT) | instid1(VALU_DEP_1)
	v_ldexp_f32 v23, v23, v24
	v_dual_add_f32 v25, 1.0, v25 :: v_dual_add_f32 v26, 1.0, v23
	s_delay_alu instid0(VALU_DEP_1) | instskip(NEXT) | instid1(VALU_DEP_1)
	v_dual_add_f32 v22, v22, v25 :: v_dual_add_f32 v25, -1.0, v26
	v_ldexp_f32 v22, v22, v24
	s_delay_alu instid0(VALU_DEP_2) | instskip(NEXT) | instid1(VALU_DEP_1)
	v_dual_add_f32 v24, -1.0, v23 :: v_dual_sub_f32 v25, v23, v25
	v_add_f32_e32 v27, 1.0, v24
	s_delay_alu instid0(VALU_DEP_2) | instskip(NEXT) | instid1(VALU_DEP_2)
	v_add_f32_e32 v25, v22, v25
	v_sub_f32_e32 v23, v23, v27
	s_delay_alu instid0(VALU_DEP_1) | instskip(NEXT) | instid1(VALU_DEP_1)
	v_add_f32_e32 v22, v22, v23
	v_dual_add_f32 v28, v24, v22 :: v_dual_add_f32 v27, v26, v25
	s_delay_alu instid0(VALU_DEP_1) | instskip(NEXT) | instid1(VALU_DEP_2)
	v_sub_f32_e32 v24, v24, v28
	v_rcp_f32_e32 v23, v27
	v_sub_f32_e32 v26, v26, v27
	s_delay_alu instid0(VALU_DEP_1) | instskip(SKIP_2) | instid1(VALU_DEP_1)
	v_dual_add_f32 v22, v22, v24 :: v_dual_add_f32 v25, v25, v26
	s_waitcnt_depctr 0xfff
	v_mul_f32_e32 v29, v28, v23
	v_mul_f32_e32 v30, v27, v29
	s_delay_alu instid0(VALU_DEP_1) | instskip(NEXT) | instid1(VALU_DEP_1)
	v_fma_f32 v26, v29, v27, -v30
	v_fmac_f32_e32 v26, v29, v25
	s_delay_alu instid0(VALU_DEP_1) | instskip(NEXT) | instid1(VALU_DEP_1)
	v_add_f32_e32 v31, v30, v26
	v_sub_f32_e32 v32, v28, v31
	s_delay_alu instid0(VALU_DEP_1) | instskip(SKIP_1) | instid1(VALU_DEP_2)
	v_sub_f32_e32 v28, v28, v32
	v_sub_f32_e32 v24, v31, v30
	;; [unrolled: 1-line block ×3, first 2 shown]
	s_delay_alu instid0(VALU_DEP_2) | instskip(NEXT) | instid1(VALU_DEP_2)
	v_sub_f32_e32 v24, v24, v26
	v_add_f32_e32 v22, v22, v28
	s_delay_alu instid0(VALU_DEP_1) | instskip(NEXT) | instid1(VALU_DEP_1)
	v_add_f32_e32 v22, v24, v22
	v_add_f32_e32 v24, v32, v22
	s_delay_alu instid0(VALU_DEP_1) | instskip(NEXT) | instid1(VALU_DEP_1)
	v_mul_f32_e32 v26, v23, v24
	v_dual_sub_f32 v31, v32, v24 :: v_dual_mul_f32 v28, v27, v26
	s_delay_alu instid0(VALU_DEP_1) | instskip(NEXT) | instid1(VALU_DEP_2)
	v_add_f32_e32 v22, v22, v31
	v_fma_f32 v27, v26, v27, -v28
	s_delay_alu instid0(VALU_DEP_1) | instskip(NEXT) | instid1(VALU_DEP_1)
	v_fmac_f32_e32 v27, v26, v25
	v_add_f32_e32 v25, v28, v27
	s_delay_alu instid0(VALU_DEP_1) | instskip(SKIP_1) | instid1(VALU_DEP_2)
	v_sub_f32_e32 v30, v24, v25
	v_sub_f32_e32 v28, v25, v28
	;; [unrolled: 1-line block ×3, first 2 shown]
	s_delay_alu instid0(VALU_DEP_1) | instskip(NEXT) | instid1(VALU_DEP_1)
	v_sub_f32_e32 v24, v24, v25
	v_dual_sub_f32 v25, v28, v27 :: v_dual_add_f32 v22, v22, v24
	v_add_f32_e32 v24, v29, v26
	s_delay_alu instid0(VALU_DEP_1) | instskip(NEXT) | instid1(VALU_DEP_1)
	v_dual_add_f32 v22, v25, v22 :: v_dual_sub_f32 v25, v24, v29
	v_add_f32_e32 v22, v30, v22
	s_delay_alu instid0(VALU_DEP_2) | instskip(SKIP_1) | instid1(VALU_DEP_3)
	v_sub_f32_e32 v25, v26, v25
	v_max_f32_e64 v26, |v1|, |v1|
	v_mul_f32_e32 v22, v23, v22
	v_max_f32_e64 v23, |v2|, |v2|
	s_delay_alu instid0(VALU_DEP_2) | instskip(NEXT) | instid1(VALU_DEP_2)
	v_add_f32_e32 v22, v25, v22
	v_max_f32_e32 v28, v26, v23
	v_min_f32_e32 v23, v26, v23
	s_delay_alu instid0(VALU_DEP_3) | instskip(NEXT) | instid1(VALU_DEP_3)
	v_add_f32_e32 v25, v24, v22
	v_frexp_mant_f32_e32 v30, v28
	v_frexp_exp_i32_f32_e32 v26, v28
	s_delay_alu instid0(VALU_DEP_3) | instskip(SKIP_2) | instid1(VALU_DEP_2)
	v_mul_f32_e32 v27, v25, v25
	v_sub_f32_e32 v24, v25, v24
	v_ldexp_f32 v31, v25, 1
	v_dual_fmaak_f32 v29, s21, v27, 0x3ecc95a3 :: v_dual_sub_f32 v22, v22, v24
	s_delay_alu instid0(VALU_DEP_1) | instskip(NEXT) | instid1(VALU_DEP_2)
	v_ldexp_f32 v22, v22, 1
	v_dual_mul_f32 v28, v25, v27 :: v_dual_fmaak_f32 v27, v27, v29, 0x3f2aaada
	v_rcp_f32_e32 v29, v30
	v_frexp_exp_i32_f32_e32 v30, v23
	v_frexp_mant_f32_e32 v23, v23
	s_delay_alu instid0(VALU_DEP_3) | instskip(NEXT) | instid1(VALU_DEP_3)
	v_dual_mul_f32 v27, v28, v27 :: v_dual_mul_f32 v28, 0x3f317218, v21
	v_sub_nc_u32_e32 v26, v30, v26
	s_delay_alu instid0(VALU_DEP_2) | instskip(SKIP_2) | instid1(VALU_DEP_1)
	v_add_f32_e32 v25, v31, v27
	s_waitcnt_depctr 0xfff
	v_mul_f32_e32 v23, v23, v29
	v_ldexp_f32 v23, v23, v26
	v_sub_f32_e32 v24, v25, v31
	v_fma_f32 v26, 0x3f317218, v21, -v28
	s_delay_alu instid0(VALU_DEP_2) | instskip(NEXT) | instid1(VALU_DEP_2)
	v_sub_f32_e32 v24, v27, v24
	v_dual_mul_f32 v27, v23, v23 :: v_dual_fmac_f32 v26, 0xb102e308, v21
	s_delay_alu instid0(VALU_DEP_1) | instskip(NEXT) | instid1(VALU_DEP_1)
	v_dual_add_f32 v21, v22, v24 :: v_dual_fmaak_f32 v22, s26, v27, 0xbc7a590c
	v_dual_add_f32 v24, v28, v26 :: v_dual_add_f32 v29, v25, v21
	s_delay_alu instid0(VALU_DEP_2) | instskip(NEXT) | instid1(VALU_DEP_2)
	v_fmaak_f32 v22, v27, v22, 0x3d29fb3f
	v_add_f32_e32 v30, v24, v29
	s_delay_alu instid0(VALU_DEP_2) | instskip(NEXT) | instid1(VALU_DEP_1)
	v_dual_fmaak_f32 v22, v27, v22, 0xbd97d4d7 :: v_dual_sub_f32 v25, v29, v25
	v_dual_sub_f32 v31, v30, v24 :: v_dual_fmaak_f32 v22, v27, v22, 0x3dd931b2
	s_delay_alu instid0(VALU_DEP_1) | instskip(SKIP_1) | instid1(VALU_DEP_3)
	v_dual_sub_f32 v21, v21, v25 :: v_dual_sub_f32 v32, v30, v31
	v_dual_sub_f32 v25, v29, v31 :: v_dual_sub_f32 v28, v24, v28
	v_fmaak_f32 v22, v27, v22, 0xbe1160e6
	s_delay_alu instid0(VALU_DEP_3) | instskip(NEXT) | instid1(VALU_DEP_3)
	v_sub_f32_e32 v24, v24, v32
	v_sub_f32_e32 v26, v26, v28
	s_delay_alu instid0(VALU_DEP_3) | instskip(NEXT) | instid1(VALU_DEP_3)
	v_fmaak_f32 v22, v27, v22, 0x3e4cb8bf
	v_add_f32_e32 v24, v25, v24
	s_delay_alu instid0(VALU_DEP_3) | instskip(NEXT) | instid1(VALU_DEP_3)
	v_add_f32_e32 v28, v26, v21
	v_fmaak_f32 v22, v27, v22, 0xbeaaaa62
	s_delay_alu instid0(VALU_DEP_2) | instskip(NEXT) | instid1(VALU_DEP_4)
	v_sub_f32_e32 v25, v28, v26
	v_add_f32_e32 v24, v28, v24
	s_delay_alu instid0(VALU_DEP_2) | instskip(NEXT) | instid1(VALU_DEP_1)
	v_dual_mul_f32 v22, v27, v22 :: v_dual_sub_f32 v27, v28, v25
	v_dual_add_f32 v28, v30, v24 :: v_dual_fmac_f32 v23, v23, v22
	s_delay_alu instid0(VALU_DEP_2) | instskip(NEXT) | instid1(VALU_DEP_2)
	v_dual_sub_f32 v21, v21, v25 :: v_dual_sub_f32 v22, v26, v27
	v_dual_sub_f32 v25, v28, v30 :: v_dual_sub_f32 v26, 0x3fc90fdb, v23
	s_delay_alu instid0(VALU_DEP_1) | instskip(NEXT) | instid1(VALU_DEP_2)
	v_dual_add_f32 v21, v21, v22 :: v_dual_sub_f32 v22, v24, v25
	v_cndmask_b32_e64 v23, v23, v26, s6
	v_cndmask_b32_e64 v24, 0, 0x40490fdb, vcc_lo
	v_cmp_eq_f32_e32 vcc_lo, 0x7f800000, v13
	s_delay_alu instid0(VALU_DEP_3) | instskip(SKIP_1) | instid1(VALU_DEP_1)
	v_dual_add_f32 v21, v21, v22 :: v_dual_sub_f32 v22, 0x40490fdb, v23
	s_or_b32 vcc_lo, vcc_lo, s11
	v_add_f32_e32 v1, v28, v21
	s_delay_alu instid0(VALU_DEP_2) | instskip(SKIP_1) | instid1(VALU_DEP_3)
	v_cndmask_b32_e64 v21, v23, v22, s7
	v_cndmask_b32_e64 v22, 0x3f490fdb, v17, s7
	v_cndmask_b32_e32 v1, v1, v13, vcc_lo
	v_cmp_eq_f32_e32 vcc_lo, 0, v2
	s_delay_alu instid0(VALU_DEP_2) | instskip(SKIP_2) | instid1(VALU_DEP_1)
	v_mul_f32_e32 v13, 0.5, v1
	v_cndmask_b32_e32 v21, v21, v24, vcc_lo
	s_and_b32 vcc_lo, s12, s10
	v_cndmask_b32_e32 v21, v21, v22, vcc_lo
                                        ; implicit-def: $vgpr22
.LBB199_101:                            ;   in Loop: Header=BB199_4 Depth=1
	s_and_not1_saveexec_b32 s9, s9
	s_cbranch_execz .LBB199_103
; %bb.102:                              ;   in Loop: Header=BB199_4 Depth=1
	v_max_f32_e64 v13, |v2|, |v2|
	v_max_f32_e64 v21, |v1|, |v1|
	v_cmp_gt_i32_e32 vcc_lo, 0, v1
	v_cmp_eq_f32_e64 s7, 0, v2
	v_cmp_class_f32_e64 s10, v1, 0x204
	v_cmp_class_f32_e64 s11, v2, 0x204
	v_max_f32_e32 v23, v21, v13
	v_min_f32_e32 v13, v21, v13
	s_delay_alu instid0(VALU_DEP_2) | instskip(SKIP_1) | instid1(VALU_DEP_2)
	v_frexp_mant_f32_e32 v24, v23
	v_frexp_exp_i32_f32_e32 v23, v23
	v_rcp_f32_e32 v21, v24
	s_delay_alu instid0(VALU_DEP_3) | instskip(SKIP_1) | instid1(VALU_DEP_2)
	v_frexp_exp_i32_f32_e32 v24, v13
	v_frexp_mant_f32_e32 v13, v13
	v_sub_nc_u32_e32 v23, v24, v23
	s_waitcnt_depctr 0xfff
	v_mul_f32_e32 v13, v13, v21
	s_delay_alu instid0(VALU_DEP_1) | instskip(NEXT) | instid1(VALU_DEP_1)
	v_ldexp_f32 v13, v13, v23
	v_mul_f32_e32 v21, v13, v13
	s_delay_alu instid0(VALU_DEP_1) | instskip(NEXT) | instid1(VALU_DEP_1)
	v_fmaak_f32 v23, s26, v21, 0xbc7a590c
	v_fmaak_f32 v23, v21, v23, 0x3d29fb3f
	s_delay_alu instid0(VALU_DEP_1) | instskip(NEXT) | instid1(VALU_DEP_1)
	v_fmaak_f32 v23, v21, v23, 0xbd97d4d7
	v_fmaak_f32 v23, v21, v23, 0x3dd931b2
	;; [unrolled: 3-line block ×3, first 2 shown]
	s_delay_alu instid0(VALU_DEP_1) | instskip(NEXT) | instid1(VALU_DEP_1)
	v_fmaak_f32 v23, v21, v23, 0xbeaaaa62
	v_mul_f32_e32 v21, v21, v23
	v_cndmask_b32_e64 v23, 0, 0x40490fdb, vcc_lo
	v_cmp_gt_f32_e32 vcc_lo, 0, v1
	s_delay_alu instid0(VALU_DEP_3) | instskip(NEXT) | instid1(VALU_DEP_1)
	v_fmac_f32_e32 v13, v13, v21
	v_sub_f32_e32 v21, 0x3fc90fdb, v13
	s_delay_alu instid0(VALU_DEP_1) | instskip(NEXT) | instid1(VALU_DEP_1)
	v_cndmask_b32_e64 v13, v13, v21, s6
	v_sub_f32_e32 v21, 0x40490fdb, v13
	s_delay_alu instid0(VALU_DEP_1) | instskip(SKIP_1) | instid1(VALU_DEP_2)
	v_cndmask_b32_e32 v13, v13, v21, vcc_lo
	v_mul_f32_e32 v21, 0.5, v22
	v_cndmask_b32_e64 v1, v13, v23, s7
	v_cndmask_b32_e32 v23, 0x3f490fdb, v17, vcc_lo
	s_and_b32 vcc_lo, s11, s10
	s_delay_alu instid0(VALU_DEP_3) | instskip(NEXT) | instid1(VALU_DEP_2)
	v_mul_f32_e32 v13, v22, v21
	v_cndmask_b32_e32 v21, v1, v23, vcc_lo
.LBB199_103:                            ;   in Loop: Header=BB199_4 Depth=1
	s_or_b32 exec_lo, exec_lo, s9
.LBB199_104:                            ;   in Loop: Header=BB199_4 Depth=1
	s_delay_alu instid0(SALU_CYCLE_1)
	s_or_b32 exec_lo, exec_lo, s8
.LBB199_105:                            ;   in Loop: Header=BB199_4 Depth=1
	s_and_not1_saveexec_b32 s8, s28
	s_cbranch_execz .LBB199_107
; %bb.106:                              ;   in Loop: Header=BB199_4 Depth=1
	v_div_scale_f32 v13, null, 0x402df854, 0x402df854, v1
	v_div_scale_f32 v21, null, 0x402df854, 0x402df854, v2
	v_div_scale_f32 v26, vcc_lo, v1, 0x402df854, v1
	s_delay_alu instid0(VALU_DEP_3) | instskip(NEXT) | instid1(VALU_DEP_2)
	v_rcp_f32_e32 v22, v13
	v_rcp_f32_e32 v23, v21
	v_cmp_class_f32_e64 s9, v2, 0x204
	s_waitcnt_depctr 0xfff
	v_fma_f32 v24, -v13, v22, 1.0
	v_fma_f32 v25, -v21, v23, 1.0
	s_delay_alu instid0(VALU_DEP_1) | instskip(SKIP_1) | instid1(VALU_DEP_2)
	v_dual_fmac_f32 v22, v24, v22 :: v_dual_fmac_f32 v23, v25, v23
	v_div_scale_f32 v24, s7, v2, 0x402df854, v2
	v_mul_f32_e32 v25, v26, v22
	s_delay_alu instid0(VALU_DEP_1) | instskip(NEXT) | instid1(VALU_DEP_1)
	v_fma_f32 v28, -v13, v25, v26
	v_fmac_f32_e32 v25, v28, v22
	s_delay_alu instid0(VALU_DEP_1) | instskip(NEXT) | instid1(VALU_DEP_1)
	v_fma_f32 v13, -v13, v25, v26
	v_div_fmas_f32 v13, v13, v22, v25
	v_max_f32_e64 v25, |v1|, |v1|
	v_mul_f32_e32 v27, v24, v23
	s_mov_b32 vcc_lo, s7
	v_cmp_class_f32_e64 s7, v1, 0x204
	v_div_fixup_f32 v13, v13, 0x402df854, v1
	s_delay_alu instid0(VALU_DEP_3) | instskip(NEXT) | instid1(VALU_DEP_1)
	v_fma_f32 v29, -v21, v27, v24
	v_fmac_f32_e32 v27, v29, v23
	s_delay_alu instid0(VALU_DEP_1) | instskip(NEXT) | instid1(VALU_DEP_1)
	v_fma_f32 v21, -v21, v27, v24
	v_div_fmas_f32 v21, v21, v23, v27
	s_delay_alu instid0(VALU_DEP_1) | instskip(NEXT) | instid1(VALU_DEP_1)
	v_div_fixup_f32 v23, v21, 0x402df854, v2
	v_max_f32_e64 v24, |v13|, |v23|
	s_delay_alu instid0(VALU_DEP_1) | instskip(SKIP_1) | instid1(VALU_DEP_2)
	v_cvt_f64_f32_e32 v[21:22], v24
	v_cmp_neq_f32_e32 vcc_lo, 0x7f800000, v24
	v_frexp_exp_i32_f64_e32 v21, v[21:22]
	v_max_f32_e64 v22, |v2|, |v2|
	s_delay_alu instid0(VALU_DEP_1) | instskip(SKIP_1) | instid1(VALU_DEP_2)
	v_max_f32_e32 v26, v25, v22
	v_min_f32_e32 v22, v25, v22
	v_frexp_mant_f32_e32 v27, v26
	v_frexp_exp_i32_f32_e32 v26, v26
	s_delay_alu instid0(VALU_DEP_2) | instskip(SKIP_1) | instid1(VALU_DEP_1)
	v_rcp_f32_e32 v25, v27
	v_sub_nc_u32_e32 v27, 0, v21
	v_ldexp_f32 v23, |v23|, v27
	v_ldexp_f32 v13, |v13|, v27
	s_delay_alu instid0(VALU_DEP_2) | instskip(SKIP_2) | instid1(VALU_DEP_3)
	v_mul_f32_e32 v23, v23, v23
	v_frexp_exp_i32_f32_e32 v28, v22
	v_frexp_mant_f32_e32 v22, v22
	v_fmac_f32_e32 v23, v13, v13
	s_delay_alu instid0(VALU_DEP_3)
	v_sub_nc_u32_e32 v26, v28, v26
	s_delay_alu instid0(TRANS32_DEP_1) | instid1(VALU_DEP_3)
	v_mul_f32_e32 v22, v22, v25
	s_delay_alu instid0(VALU_DEP_3) | instskip(NEXT) | instid1(VALU_DEP_1)
	v_sqrt_f32_e32 v23, v23
	v_ldexp_f32 v22, v22, v26
	s_delay_alu instid0(VALU_DEP_1) | instskip(SKIP_3) | instid1(VALU_DEP_2)
	v_mul_f32_e32 v13, v22, v22
	s_waitcnt_depctr 0xfff
	v_ldexp_f32 v21, v23, v21
	v_fmaak_f32 v25, s26, v13, 0xbc7a590c
	v_cndmask_b32_e32 v21, 0x7f800000, v21, vcc_lo
	s_delay_alu instid0(VALU_DEP_2) | instskip(NEXT) | instid1(VALU_DEP_2)
	v_fmaak_f32 v25, v13, v25, 0x3d29fb3f
	v_cmp_gt_f32_e32 vcc_lo, 0x800000, v21
	s_delay_alu instid0(VALU_DEP_2) | instskip(SKIP_2) | instid1(VALU_DEP_3)
	v_fmaak_f32 v23, v13, v25, 0xbd97d4d7
	v_cndmask_b32_e64 v24, 1.0, 0x4f800000, vcc_lo
	v_cndmask_b32_e64 v25, 0, 0x41b17218, vcc_lo
	v_fmaak_f32 v23, v13, v23, 0x3dd931b2
	s_delay_alu instid0(VALU_DEP_3) | instskip(NEXT) | instid1(VALU_DEP_2)
	v_mul_f32_e32 v21, v21, v24
	v_fmaak_f32 v23, v13, v23, 0xbe1160e6
	s_delay_alu instid0(VALU_DEP_2) | instskip(NEXT) | instid1(VALU_DEP_1)
	v_log_f32_e32 v21, v21
	v_fmaak_f32 v23, v13, v23, 0x3e4cb8bf
	s_delay_alu instid0(VALU_DEP_1) | instskip(SKIP_4) | instid1(VALU_DEP_2)
	v_fmaak_f32 v23, v13, v23, 0xbeaaaa62
	s_waitcnt_depctr 0xfff
	v_cmp_gt_f32_e64 vcc_lo, 0x7f800000, |v21|
	v_mul_f32_e32 v13, v13, v23
	v_mul_f32_e32 v23, 0x3f317217, v21
	v_fmac_f32_e32 v22, v22, v13
	s_delay_alu instid0(VALU_DEP_2) | instskip(NEXT) | instid1(VALU_DEP_2)
	v_fma_f32 v13, 0x3f317217, v21, -v23
	v_sub_f32_e32 v24, 0x3fc90fdb, v22
	s_delay_alu instid0(VALU_DEP_2) | instskip(NEXT) | instid1(VALU_DEP_2)
	v_fmac_f32_e32 v13, 0x3377d1cf, v21
	v_cndmask_b32_e64 v22, v22, v24, s6
	v_cmp_gt_i32_e64 s6, 0, v1
	s_delay_alu instid0(VALU_DEP_3) | instskip(NEXT) | instid1(VALU_DEP_3)
	v_add_f32_e32 v13, v23, v13
	v_sub_f32_e32 v23, 0x40490fdb, v22
	s_delay_alu instid0(VALU_DEP_3) | instskip(SKIP_1) | instid1(VALU_DEP_4)
	v_cndmask_b32_e64 v24, 0, 0x40490fdb, s6
	v_cmp_gt_f32_e64 s6, 0, v1
	v_cndmask_b32_e32 v13, v21, v13, vcc_lo
	v_cmp_eq_f32_e32 vcc_lo, 0, v2
	s_delay_alu instid0(VALU_DEP_3) | instskip(SKIP_1) | instid1(VALU_DEP_4)
	v_cndmask_b32_e64 v1, v22, v23, s6
	v_cndmask_b32_e64 v21, 0x3f490fdb, v17, s6
	v_sub_f32_e32 v13, v13, v25
	s_delay_alu instid0(VALU_DEP_3) | instskip(SKIP_1) | instid1(VALU_DEP_2)
	v_cndmask_b32_e32 v1, v1, v24, vcc_lo
	s_and_b32 vcc_lo, s9, s7
	v_add_f32_e32 v13, 1.0, v13
	s_delay_alu instid0(VALU_DEP_2)
	v_cndmask_b32_e32 v21, v1, v21, vcc_lo
.LBB199_107:                            ;   in Loop: Header=BB199_4 Depth=1
	s_or_b32 exec_lo, exec_lo, s8
.LBB199_108:                            ;   in Loop: Header=BB199_4 Depth=1
	s_and_not1_saveexec_b32 s6, s27
	s_cbranch_execz .LBB199_114
; %bb.109:                              ;   in Loop: Header=BB199_4 Depth=1
	v_cmp_ngt_f32_e64 s7, 0x20000000, |v1|
	v_cmp_ngt_f32_e64 s8, 0x20000000, |v2|
                                        ; implicit-def: $vgpr13
	s_delay_alu instid0(VALU_DEP_1) | instskip(NEXT) | instid1(SALU_CYCLE_1)
	s_or_b32 s7, s8, s7
	s_and_saveexec_b32 s8, s7
	s_delay_alu instid0(SALU_CYCLE_1)
	s_xor_b32 s7, exec_lo, s8
; %bb.110:                              ;   in Loop: Header=BB199_4 Depth=1
	v_mul_f32_e32 v13, v1, v1
	s_delay_alu instid0(VALU_DEP_1)
	v_fmac_f32_e32 v13, v2, v2
; %bb.111:                              ;   in Loop: Header=BB199_4 Depth=1
	s_and_not1_saveexec_b32 s7, s7
; %bb.112:                              ;   in Loop: Header=BB199_4 Depth=1
	v_mul_f32_e32 v1, 4.0, v1
	v_mul_f32_e32 v13, 4.0, v2
	s_delay_alu instid0(VALU_DEP_2) | instskip(NEXT) | instid1(VALU_DEP_1)
	v_mul_f32_e32 v1, v1, v1
	v_fmac_f32_e32 v1, v13, v13
	s_delay_alu instid0(VALU_DEP_1)
	v_mul_f32_e32 v13, 0x3d800000, v1
; %bb.113:                              ;   in Loop: Header=BB199_4 Depth=1
	s_or_b32 exec_lo, exec_lo, s7
	s_delay_alu instid0(VALU_DEP_1) | instskip(SKIP_1) | instid1(VALU_DEP_1)
	v_cmp_gt_f32_e32 vcc_lo, 0x800000, v13
	v_cndmask_b32_e64 v1, 1.0, 0x4f800000, vcc_lo
	v_mul_f32_e32 v1, v13, v1
	s_delay_alu instid0(VALU_DEP_1) | instskip(SKIP_2) | instid1(VALU_DEP_1)
	v_log_f32_e32 v1, v1
	s_waitcnt_depctr 0xfff
	v_mul_f32_e32 v13, 0x3f317217, v1
	v_fma_f32 v21, 0x3f317217, v1, -v13
	s_delay_alu instid0(VALU_DEP_1) | instskip(NEXT) | instid1(VALU_DEP_1)
	v_fmac_f32_e32 v21, 0x3377d1cf, v1
	v_add_f32_e32 v13, v13, v21
	v_cndmask_b32_e64 v21, 0, 0x41b17218, vcc_lo
	v_cmp_gt_f32_e64 vcc_lo, 0x7f800000, |v1|
	s_delay_alu instid0(VALU_DEP_3) | instskip(NEXT) | instid1(VALU_DEP_1)
	v_cndmask_b32_e32 v1, v1, v13, vcc_lo
	v_sub_f32_e32 v13, v1, v21
	v_mov_b32_e32 v21, 0x7fc00000
.LBB199_114:                            ;   in Loop: Header=BB199_4 Depth=1
	s_or_b32 exec_lo, exec_lo, s6
                                        ; implicit-def: $vgpr1
                                        ; implicit-def: $vgpr22
	s_delay_alu instid0(SALU_CYCLE_1)
	s_mov_b32 s6, exec_lo
	v_cmpx_o_f32_e32 v16, v15
	s_xor_b32 s27, exec_lo, s6
	s_cbranch_execnz .LBB199_120
; %bb.115:                              ;   in Loop: Header=BB199_4 Depth=1
	s_and_not1_saveexec_b32 s6, s27
	s_cbranch_execnz .LBB199_147
.LBB199_116:                            ;   in Loop: Header=BB199_4 Depth=1
	s_or_b32 exec_lo, exec_lo, s6
	s_and_saveexec_b32 s6, s2
	s_delay_alu instid0(SALU_CYCLE_1)
	s_xor_b32 s2, exec_lo, s6
	s_cbranch_execnz .LBB199_152
.LBB199_117:                            ;   in Loop: Header=BB199_4 Depth=1
	s_or_b32 exec_lo, exec_lo, s2
	s_and_saveexec_b32 s2, s3
	s_cbranch_execnz .LBB199_153
.LBB199_118:                            ;   in Loop: Header=BB199_4 Depth=1
	s_or_b32 exec_lo, exec_lo, s2
	s_and_saveexec_b32 s2, s4
	s_cbranch_execnz .LBB199_154
.LBB199_119:                            ;   in Loop: Header=BB199_4 Depth=1
	s_or_b32 exec_lo, exec_lo, s2
	s_and_saveexec_b32 s2, s5
	s_cbranch_execz .LBB199_3
	s_branch .LBB199_155
.LBB199_120:                            ;   in Loop: Header=BB199_4 Depth=1
	v_cmp_lt_f32_e64 s6, |v15|, |v16|
                                        ; implicit-def: $vgpr1
                                        ; implicit-def: $vgpr22
	s_mov_b32 s7, exec_lo
	s_delay_alu instid0(VALU_DEP_1) | instskip(NEXT) | instid1(VALU_DEP_1)
	v_cndmask_b32_e64 v23, |v16|, |v15|, s6
	v_cmpx_nlt_f32_e32 0x77f684df, v23
	s_xor_b32 s28, exec_lo, s7
	s_cbranch_execz .LBB199_144
; %bb.121:                              ;   in Loop: Header=BB199_4 Depth=1
	v_and_b32_e32 v1, 0x7fffffff, v16
                                        ; implicit-def: $vgpr22
	s_mov_b32 s7, exec_lo
	s_delay_alu instid0(VALU_DEP_1) | instskip(NEXT) | instid1(VALU_DEP_1)
	v_cndmask_b32_e64 v24, |v15|, v1, s6
                                        ; implicit-def: $vgpr1
	v_cmpx_neq_f32_e32 1.0, v24
	s_xor_b32 s29, exec_lo, s7
	s_cbranch_execz .LBB199_137
; %bb.122:                              ;   in Loop: Header=BB199_4 Depth=1
	v_dual_max_f32 v1, v23, v23 :: v_dual_max_f32 v22, v24, v24
	s_delay_alu instid0(VALU_DEP_1) | instskip(SKIP_1) | instid1(VALU_DEP_2)
	v_min_f32_e32 v25, v22, v1
	v_max_f32_e32 v1, v22, v1
                                        ; implicit-def: $vgpr22
	v_cmp_ngt_f32_e32 vcc_lo, 0x358637bd, v25
	s_delay_alu instid0(VALU_DEP_2) | instskip(NEXT) | instid1(VALU_DEP_1)
	v_cmp_nlt_f32_e64 s7, 0x49742400, v1
                                        ; implicit-def: $vgpr1
	s_and_b32 s7, s7, vcc_lo
	s_delay_alu instid0(SALU_CYCLE_1) | instskip(NEXT) | instid1(SALU_CYCLE_1)
	s_and_saveexec_b32 s8, s7
	s_xor_b32 s30, exec_lo, s8
	s_cbranch_execz .LBB199_134
; %bb.123:                              ;   in Loop: Header=BB199_4 Depth=1
                                        ; implicit-def: $vgpr1
                                        ; implicit-def: $vgpr22
	s_mov_b32 s7, exec_lo
	v_cmpx_le_f32_e32 1.0, v24
	s_xor_b32 s8, exec_lo, s7
	s_cbranch_execz .LBB199_125
; %bb.124:                              ;   in Loop: Header=BB199_4 Depth=1
	v_add_f32_e32 v1, -1.0, v24
	v_add_f32_e32 v22, 1.0, v24
	v_cmp_class_f32_e64 s9, v15, 0x204
	s_delay_alu instid0(VALU_DEP_2) | instskip(NEXT) | instid1(VALU_DEP_1)
	v_mul_f32_e32 v1, v1, v22
	v_fmac_f32_e32 v1, v23, v23
	s_delay_alu instid0(VALU_DEP_1) | instskip(SKIP_1) | instid1(VALU_DEP_2)
	v_add_f32_e32 v24, 1.0, v1
	v_cmp_neq_f32_e64 s7, -1.0, v1
	v_cvt_f64_f32_e32 v[22:23], v24
	s_delay_alu instid0(VALU_DEP_1) | instskip(SKIP_1) | instid1(VALU_DEP_1)
	v_frexp_exp_i32_f64_e32 v22, v[22:23]
	v_frexp_mant_f32_e32 v23, v24
	v_cmp_gt_f32_e32 vcc_lo, 0x3f2aaaab, v23
	v_add_f32_e32 v23, -1.0, v24
	s_delay_alu instid0(VALU_DEP_1) | instskip(NEXT) | instid1(VALU_DEP_1)
	v_dual_sub_f32 v26, v23, v24 :: v_dual_sub_f32 v23, v1, v23
	v_add_f32_e32 v26, 1.0, v26
	s_delay_alu instid0(VALU_DEP_1) | instskip(SKIP_2) | instid1(VALU_DEP_2)
	v_add_f32_e32 v23, v23, v26
	v_subrev_co_ci_u32_e32 v22, vcc_lo, 0, v22, vcc_lo
	v_cmp_eq_f32_e32 vcc_lo, 0x7f800000, v1
	v_sub_nc_u32_e32 v25, 0, v22
	v_cvt_f32_i32_e32 v22, v22
	s_delay_alu instid0(VALU_DEP_2) | instskip(SKIP_1) | instid1(VALU_DEP_2)
	v_ldexp_f32 v24, v24, v25
	v_ldexp_f32 v23, v23, v25
	v_add_f32_e32 v27, 1.0, v24
	s_delay_alu instid0(VALU_DEP_1) | instskip(NEXT) | instid1(VALU_DEP_1)
	v_add_f32_e32 v26, -1.0, v27
	v_dual_sub_f32 v26, v24, v26 :: v_dual_add_f32 v25, -1.0, v24
	s_delay_alu instid0(VALU_DEP_1) | instskip(NEXT) | instid1(VALU_DEP_2)
	v_add_f32_e32 v26, v23, v26
	v_add_f32_e32 v28, 1.0, v25
	s_delay_alu instid0(VALU_DEP_1) | instskip(NEXT) | instid1(VALU_DEP_1)
	v_sub_f32_e32 v24, v24, v28
	v_add_f32_e32 v23, v23, v24
	s_delay_alu instid0(VALU_DEP_1) | instskip(NEXT) | instid1(VALU_DEP_1)
	v_dual_add_f32 v29, v25, v23 :: v_dual_add_f32 v28, v27, v26
	v_sub_f32_e32 v25, v29, v25
	s_delay_alu instid0(VALU_DEP_2) | instskip(SKIP_1) | instid1(VALU_DEP_1)
	v_rcp_f32_e32 v24, v28
	v_sub_f32_e32 v27, v28, v27
	v_dual_sub_f32 v26, v26, v27 :: v_dual_sub_f32 v23, v23, v25
	s_waitcnt_depctr 0xfff
	v_mul_f32_e32 v30, v29, v24
	s_delay_alu instid0(VALU_DEP_1) | instskip(NEXT) | instid1(VALU_DEP_1)
	v_mul_f32_e32 v31, v28, v30
	v_fma_f32 v27, v30, v28, -v31
	s_delay_alu instid0(VALU_DEP_1) | instskip(NEXT) | instid1(VALU_DEP_1)
	v_fmac_f32_e32 v27, v30, v26
	v_add_f32_e32 v32, v31, v27
	s_delay_alu instid0(VALU_DEP_1) | instskip(SKIP_1) | instid1(VALU_DEP_2)
	v_sub_f32_e32 v33, v29, v32
	v_sub_f32_e32 v25, v32, v31
	;; [unrolled: 1-line block ×3, first 2 shown]
	s_delay_alu instid0(VALU_DEP_2) | instskip(NEXT) | instid1(VALU_DEP_2)
	v_sub_f32_e32 v25, v25, v27
	v_sub_f32_e32 v29, v29, v32
	s_delay_alu instid0(VALU_DEP_1) | instskip(NEXT) | instid1(VALU_DEP_1)
	v_add_f32_e32 v23, v23, v29
	v_add_f32_e32 v23, v25, v23
	s_delay_alu instid0(VALU_DEP_1) | instskip(NEXT) | instid1(VALU_DEP_1)
	v_add_f32_e32 v25, v33, v23
	v_mul_f32_e32 v27, v24, v25
	s_delay_alu instid0(VALU_DEP_1) | instskip(NEXT) | instid1(VALU_DEP_1)
	v_dual_sub_f32 v32, v33, v25 :: v_dual_mul_f32 v29, v28, v27
	v_add_f32_e32 v23, v23, v32
	s_delay_alu instid0(VALU_DEP_2) | instskip(NEXT) | instid1(VALU_DEP_1)
	v_fma_f32 v28, v27, v28, -v29
	v_fmac_f32_e32 v28, v27, v26
	s_delay_alu instid0(VALU_DEP_1) | instskip(NEXT) | instid1(VALU_DEP_1)
	v_add_f32_e32 v26, v29, v28
	v_sub_f32_e32 v31, v25, v26
	v_sub_f32_e32 v29, v26, v29
	s_delay_alu instid0(VALU_DEP_2) | instskip(NEXT) | instid1(VALU_DEP_1)
	v_sub_f32_e32 v25, v25, v31
	v_sub_f32_e32 v25, v25, v26
	s_delay_alu instid0(VALU_DEP_3) | instskip(SKIP_1) | instid1(VALU_DEP_3)
	v_sub_f32_e32 v26, v29, v28
	v_max_f32_e64 v28, |v16|, |v16|
	v_add_f32_e32 v23, v23, v25
	v_add_f32_e32 v25, v30, v27
	s_delay_alu instid0(VALU_DEP_1) | instskip(NEXT) | instid1(VALU_DEP_1)
	v_dual_add_f32 v23, v26, v23 :: v_dual_sub_f32 v26, v25, v30
	v_add_f32_e32 v23, v31, v23
	s_delay_alu instid0(VALU_DEP_2) | instskip(SKIP_1) | instid1(VALU_DEP_3)
	v_sub_f32_e32 v26, v27, v26
	v_mul_f32_e32 v31, 0x3f317218, v22
	v_mul_f32_e32 v23, v24, v23
	s_delay_alu instid0(VALU_DEP_2) | instskip(NEXT) | instid1(VALU_DEP_1)
	v_fma_f32 v32, 0x3f317218, v22, -v31
	v_dual_add_f32 v23, v26, v23 :: v_dual_fmac_f32 v32, 0xb102e308, v22
	s_delay_alu instid0(VALU_DEP_1) | instskip(NEXT) | instid1(VALU_DEP_1)
	v_add_f32_e32 v24, v25, v23
	v_mul_f32_e32 v26, v24, v24
	v_ldexp_f32 v30, v24, 1
	s_delay_alu instid0(VALU_DEP_2) | instskip(SKIP_2) | instid1(VALU_DEP_3)
	v_fmaak_f32 v27, s21, v26, 0x3ecc95a3
	v_mul_f32_e32 v29, v24, v26
	v_sub_f32_e32 v24, v24, v25
	v_fmaak_f32 v26, v26, v27, 0x3f2aaada
	v_max_f32_e64 v27, |v15|, |v15|
	s_delay_alu instid0(VALU_DEP_2) | instskip(NEXT) | instid1(VALU_DEP_2)
	v_dual_sub_f32 v23, v23, v24 :: v_dual_mul_f32 v26, v29, v26
	v_max_f32_e32 v29, v27, v28
	v_min_f32_e32 v27, v27, v28
	s_delay_alu instid0(VALU_DEP_3) | instskip(NEXT) | instid1(VALU_DEP_4)
	v_ldexp_f32 v23, v23, 1
	v_add_f32_e32 v25, v30, v26
	s_delay_alu instid0(VALU_DEP_4) | instskip(SKIP_1) | instid1(VALU_DEP_3)
	v_frexp_mant_f32_e32 v28, v29
	v_frexp_exp_i32_f32_e32 v29, v29
	v_sub_f32_e32 v24, v25, v30
	s_delay_alu instid0(VALU_DEP_3) | instskip(SKIP_1) | instid1(VALU_DEP_2)
	v_rcp_f32_e32 v28, v28
	v_frexp_exp_i32_f32_e32 v30, v27
	v_sub_f32_e32 v24, v26, v24
	v_frexp_mant_f32_e32 v26, v27
	s_delay_alu instid0(VALU_DEP_3) | instskip(NEXT) | instid1(VALU_DEP_3)
	v_sub_nc_u32_e32 v27, v30, v29
	v_add_f32_e32 v22, v23, v24
	v_add_f32_e32 v24, v31, v32
	s_delay_alu instid0(VALU_DEP_1) | instskip(NEXT) | instid1(VALU_DEP_1)
	v_sub_f32_e32 v31, v24, v31
	v_sub_f32_e32 v31, v32, v31
	s_delay_alu instid0(TRANS32_DEP_1) | instid1(VALU_DEP_4)
	v_dual_mul_f32 v23, v26, v28 :: v_dual_add_f32 v26, v25, v22
	s_delay_alu instid0(VALU_DEP_1) | instskip(NEXT) | instid1(VALU_DEP_2)
	v_ldexp_f32 v23, v23, v27
	v_add_f32_e32 v27, v24, v26
	s_delay_alu instid0(VALU_DEP_2) | instskip(NEXT) | instid1(VALU_DEP_1)
	v_dual_sub_f32 v25, v26, v25 :: v_dual_mul_f32 v28, v23, v23
	v_dual_sub_f32 v29, v27, v24 :: v_dual_sub_f32 v22, v22, v25
	s_delay_alu instid0(VALU_DEP_1) | instskip(SKIP_1) | instid1(VALU_DEP_3)
	v_dual_fmaak_f32 v30, s26, v28, 0xbc7a590c :: v_dual_sub_f32 v33, v27, v29
	v_sub_f32_e32 v25, v26, v29
	v_add_f32_e32 v29, v31, v22
	s_delay_alu instid0(VALU_DEP_3) | instskip(NEXT) | instid1(VALU_DEP_4)
	v_fmaak_f32 v30, v28, v30, 0x3d29fb3f
	v_sub_f32_e32 v24, v24, v33
	s_delay_alu instid0(VALU_DEP_2) | instskip(NEXT) | instid1(VALU_DEP_1)
	v_fmaak_f32 v26, v28, v30, 0xbd97d4d7
	v_dual_add_f32 v24, v25, v24 :: v_dual_fmaak_f32 v25, v28, v26, 0x3dd931b2
	v_sub_f32_e32 v26, v29, v31
	s_delay_alu instid0(VALU_DEP_2) | instskip(NEXT) | instid1(VALU_DEP_1)
	v_dual_add_f32 v24, v29, v24 :: v_dual_fmaak_f32 v25, v28, v25, 0xbe1160e6
	v_dual_sub_f32 v29, v29, v26 :: v_dual_add_f32 v30, v27, v24
	s_delay_alu instid0(VALU_DEP_2) | instskip(NEXT) | instid1(VALU_DEP_2)
	v_dual_sub_f32 v22, v22, v26 :: v_dual_fmaak_f32 v25, v28, v25, 0x3e4cb8bf
	v_dual_sub_f32 v26, v31, v29 :: v_dual_sub_f32 v27, v30, v27
	s_delay_alu instid0(VALU_DEP_1) | instskip(NEXT) | instid1(VALU_DEP_2)
	v_dual_fmaak_f32 v25, v28, v25, 0xbeaaaa62 :: v_dual_add_f32 v22, v22, v26
	v_sub_f32_e32 v24, v24, v27
	s_delay_alu instid0(VALU_DEP_1) | instskip(NEXT) | instid1(VALU_DEP_1)
	v_dual_mul_f32 v25, v28, v25 :: v_dual_add_f32 v22, v22, v24
	v_dual_fmac_f32 v23, v23, v25 :: v_dual_add_f32 v22, v30, v22
	s_delay_alu instid0(VALU_DEP_1) | instskip(NEXT) | instid1(VALU_DEP_2)
	v_sub_f32_e32 v24, 0x3fc90fdb, v23
	v_cndmask_b32_e32 v22, v22, v1, vcc_lo
	v_cmp_gt_i32_e32 vcc_lo, 0, v15
	s_delay_alu instid0(VALU_DEP_3) | instskip(SKIP_2) | instid1(VALU_DEP_3)
	v_cndmask_b32_e64 v23, v23, v24, s6
	v_cndmask_b32_e64 v24, 0, 0x40490fdb, vcc_lo
	v_cmp_ngt_f32_e32 vcc_lo, -1.0, v1
	v_sub_f32_e32 v25, 0x40490fdb, v23
	v_cndmask_b32_e32 v22, 0x7fc00000, v22, vcc_lo
	v_cmp_gt_f32_e32 vcc_lo, 0, v15
	s_delay_alu instid0(VALU_DEP_2) | instskip(NEXT) | instid1(VALU_DEP_4)
	v_cndmask_b32_e64 v15, 0xff800000, v22, s7
	v_cndmask_b32_e32 v22, v23, v25, vcc_lo
	v_cndmask_b32_e32 v23, 0x3f490fdb, v17, vcc_lo
	v_cmp_gt_f32_e64 vcc_lo, 0x33800000, |v1|
	v_cmp_class_f32_e64 s7, v16, 0x204
	v_cndmask_b32_e32 v1, v15, v1, vcc_lo
	v_cmp_eq_f32_e32 vcc_lo, 0, v16
	s_delay_alu instid0(VALU_DEP_2) | instskip(SKIP_2) | instid1(VALU_DEP_1)
	v_mul_f32_e32 v1, 0.5, v1
	v_cndmask_b32_e32 v15, v22, v24, vcc_lo
	s_and_b32 vcc_lo, s7, s9
                                        ; implicit-def: $vgpr24
	v_cndmask_b32_e32 v22, v15, v23, vcc_lo
                                        ; implicit-def: $vgpr23
.LBB199_125:                            ;   in Loop: Header=BB199_4 Depth=1
	s_and_not1_saveexec_b32 s31, s8
	s_cbranch_execz .LBB199_133
; %bb.126:                              ;   in Loop: Header=BB199_4 Depth=1
	v_mul_f32_e32 v25, v23, v23
                                        ; implicit-def: $vgpr1
                                        ; implicit-def: $vgpr22
	s_mov_b32 s7, exec_lo
	s_delay_alu instid0(VALU_DEP_1) | instskip(NEXT) | instid1(VALU_DEP_1)
	v_fmac_f32_e32 v25, v24, v24
	v_cmpx_ge_f32_e32 0x3f333333, v25
	s_xor_b32 s8, exec_lo, s7
	s_cbranch_execz .LBB199_128
; %bb.127:                              ;   in Loop: Header=BB199_4 Depth=1
	v_max_f32_e64 v1, |v16|, |v16|
	v_max_f32_e64 v22, |v15|, |v15|
	v_cmp_gt_f32_e32 vcc_lo, 0x800000, v25
	v_cmp_gt_i32_e64 s7, 0, v15
	v_cmp_class_f32_e64 s9, v15, 0x204
	v_cmp_class_f32_e64 s10, v16, 0x204
	v_max_f32_e32 v23, v22, v1
	v_min_f32_e32 v1, v22, v1
	v_cndmask_b32_e64 v26, 0, 0x41b17218, vcc_lo
	s_delay_alu instid0(VALU_DEP_3) | instskip(SKIP_1) | instid1(VALU_DEP_2)
	v_frexp_mant_f32_e32 v24, v23
	v_frexp_exp_i32_f32_e32 v23, v23
	v_rcp_f32_e32 v22, v24
	v_frexp_exp_i32_f32_e32 v24, v1
	v_frexp_mant_f32_e32 v1, v1
	s_delay_alu instid0(VALU_DEP_2) | instskip(SKIP_4) | instid1(VALU_DEP_2)
	v_sub_nc_u32_e32 v23, v24, v23
	v_cndmask_b32_e64 v24, 1.0, 0x4f800000, vcc_lo
	s_waitcnt_depctr 0xfff
	v_mul_f32_e32 v1, v1, v22
	v_mul_f32_e32 v24, v25, v24
	v_ldexp_f32 v1, v1, v23
	s_delay_alu instid0(VALU_DEP_2) | instskip(NEXT) | instid1(VALU_DEP_1)
	v_log_f32_e32 v24, v24
	v_mul_f32_e32 v22, v1, v1
	s_delay_alu instid0(VALU_DEP_1) | instskip(SKIP_3) | instid1(VALU_DEP_1)
	v_fmaak_f32 v23, s26, v22, 0xbc7a590c
	s_waitcnt_depctr 0xfff
	v_cmp_gt_f32_e64 vcc_lo, 0x7f800000, |v24|
	v_fmaak_f32 v23, v22, v23, 0x3d29fb3f
	v_fmaak_f32 v23, v22, v23, 0xbd97d4d7
	s_delay_alu instid0(VALU_DEP_1) | instskip(NEXT) | instid1(VALU_DEP_1)
	v_fmaak_f32 v23, v22, v23, 0x3dd931b2
	v_fmaak_f32 v23, v22, v23, 0xbe1160e6
	s_delay_alu instid0(VALU_DEP_1) | instskip(NEXT) | instid1(VALU_DEP_1)
	;; [unrolled: 3-line block ×3, first 2 shown]
	v_dual_mul_f32 v22, v22, v23 :: v_dual_mul_f32 v23, 0x3f317217, v24
	v_fmac_f32_e32 v1, v1, v22
	s_delay_alu instid0(VALU_DEP_2) | instskip(NEXT) | instid1(VALU_DEP_1)
	v_fma_f32 v22, 0x3f317217, v24, -v23
	v_fmac_f32_e32 v22, 0x3377d1cf, v24
	s_delay_alu instid0(VALU_DEP_1) | instskip(NEXT) | instid1(VALU_DEP_1)
	v_dual_sub_f32 v25, 0x3fc90fdb, v1 :: v_dual_add_f32 v22, v23, v22
	v_cndmask_b32_e64 v1, v1, v25, s6
	v_cndmask_b32_e64 v23, 0, 0x40490fdb, s7
	v_cmp_eq_f32_e64 s7, 0, v16
	s_delay_alu instid0(VALU_DEP_3) | instskip(SKIP_1) | instid1(VALU_DEP_2)
	v_dual_cndmask_b32 v22, v24, v22 :: v_dual_sub_f32 v25, 0x40490fdb, v1
	v_cmp_gt_f32_e32 vcc_lo, 0, v15
                                        ; implicit-def: $vgpr24
	v_sub_f32_e32 v15, v22, v26
	s_delay_alu instid0(VALU_DEP_3) | instskip(NEXT) | instid1(VALU_DEP_1)
	v_cndmask_b32_e32 v1, v1, v25, vcc_lo
	v_cndmask_b32_e64 v22, v1, v23, s7
	v_cndmask_b32_e32 v23, 0x3f490fdb, v17, vcc_lo
	s_and_b32 vcc_lo, s10, s9
	v_mul_f32_e32 v1, 0.5, v15
	s_delay_alu instid0(VALU_DEP_2)
	v_cndmask_b32_e32 v22, v22, v23, vcc_lo
                                        ; implicit-def: $vgpr23
.LBB199_128:                            ;   in Loop: Header=BB199_4 Depth=1
	s_and_not1_saveexec_b32 s33, s8
	s_cbranch_execz .LBB199_132
; %bb.129:                              ;   in Loop: Header=BB199_4 Depth=1
	v_and_b32_e32 v25, 0x7fff0000, v23
	v_and_b32_e32 v22, 0x7fff0000, v24
	s_mov_b32 s34, 0
	s_delay_alu instid0(VALU_DEP_2) | instskip(SKIP_1) | instid1(VALU_DEP_3)
	v_sub_f32_e32 v26, v23, v25
	v_mul_f32_e32 v23, v25, v25
	v_mul_f32_e32 v1, v22, v22
	v_sub_f32_e32 v24, v24, v22
	s_delay_alu instid0(VALU_DEP_1) | instskip(NEXT) | instid1(VALU_DEP_1)
	v_dual_add_f32 v32, v25, v25 :: v_dual_and_b32 v27, 0xffff0000, v24
	v_dual_sub_f32 v25, v24, v27 :: v_dual_and_b32 v28, 0xffff0000, v26
	s_delay_alu instid0(VALU_DEP_1) | instskip(SKIP_2) | instid1(VALU_DEP_3)
	v_dual_add_f32 v29, v22, v22 :: v_dual_mul_f32 v22, v32, v28
	v_dual_sub_f32 v33, v26, v28 :: v_dual_mul_f32 v24, v27, v27
	v_add_f32_e32 v26, v27, v27
	v_dual_mul_f32 v31, v29, v27 :: v_dual_add_f32 v34, v28, v28
	v_dual_mul_f32 v30, v28, v28 :: v_dual_mul_f32 v27, v29, v25
	s_delay_alu instid0(VALU_DEP_4) | instskip(NEXT) | instid1(VALU_DEP_4)
	v_mul_f32_e32 v29, v32, v33
	v_mul_f32_e32 v28, v26, v25
	v_mul_f32_e32 v25, v25, v25
	v_mul_f32_e32 v26, v34, v33
	v_mul_f32_e32 v32, v33, v33
.LBB199_130:                            ;   Parent Loop BB199_4 Depth=1
                                        ; =>  This Inner Loop Header: Depth=2
	v_cmp_nlt_f32_e32 vcc_lo, v1, v23
	s_delay_alu instid0(VALU_DEP_2) | instskip(SKIP_1) | instid1(VALU_DEP_2)
	v_dual_mov_b32 v34, v32 :: v_dual_cndmask_b32 v33, v1, v23
	v_cndmask_b32_e32 v1, v23, v1, vcc_lo
	v_cmp_nlt_f32_e64 s7, v33, v31
	s_delay_alu instid0(VALU_DEP_1) | instskip(SKIP_2) | instid1(VALU_DEP_2)
	v_cndmask_b32_e64 v32, v33, v31, s7
	v_cndmask_b32_e64 v23, v31, v33, s7
	s_and_b32 s35, vcc_lo, s7
	v_cmp_nlt_f32_e64 s8, v32, v22
	s_delay_alu instid0(VALU_DEP_1) | instskip(SKIP_1) | instid1(VALU_DEP_2)
	v_cndmask_b32_e64 v35, v32, v22, s8
	v_cndmask_b32_e64 v31, v22, v32, s8
	v_cmp_nlt_f32_e64 s9, v35, v24
	s_delay_alu instid0(VALU_DEP_1) | instskip(SKIP_2) | instid1(VALU_DEP_2)
	v_cndmask_b32_e64 v33, v35, v24, s9
	v_cndmask_b32_e64 v22, v24, v35, s9
	s_and_b32 s36, s8, s9
	v_cmp_nlt_f32_e64 s10, v33, v30
	s_delay_alu instid0(VALU_DEP_1) | instskip(SKIP_1) | instid1(VALU_DEP_2)
	v_cndmask_b32_e64 v36, v33, v30, s10
	v_cndmask_b32_e64 v24, v30, v33, s10
	v_cmp_nlt_f32_e64 s11, v36, v27
	s_delay_alu instid0(VALU_DEP_1) | instskip(SKIP_2) | instid1(VALU_DEP_2)
	v_cndmask_b32_e64 v37, v36, v27, s11
	s_and_b32 s9, s10, s11
	v_cndmask_b32_e64 v30, v27, v36, s11
	v_cmp_nlt_f32_e64 s12, v37, v29
	s_delay_alu instid0(VALU_DEP_1) | instskip(SKIP_2) | instid1(VALU_DEP_2)
	v_cndmask_b32_e64 v38, v37, v29, s12
	s_and_b32 s9, s9, s12
	v_cndmask_b32_e64 v27, v29, v37, s12
	v_cmp_nlt_f32_e32 vcc_lo, v38, v28
	v_cndmask_b32_e32 v39, v38, v28, vcc_lo
	s_and_b32 s10, s9, vcc_lo
	v_cndmask_b32_e32 v29, v28, v38, vcc_lo
	s_delay_alu instid0(VALU_DEP_2) | instskip(NEXT) | instid1(VALU_DEP_1)
	v_cmp_nlt_f32_e64 s7, v39, v26
	v_cndmask_b32_e64 v35, v39, v26, s7
	s_and_b32 s10, s10, s7
	v_cndmask_b32_e64 v28, v26, v39, s7
	s_delay_alu instid0(VALU_DEP_2) | instskip(NEXT) | instid1(VALU_DEP_1)
	v_cmp_nlt_f32_e64 s8, v35, v25
	v_cndmask_b32_e64 v33, v35, v25, s8
	s_and_b32 s10, s10, s8
	v_cndmask_b32_e64 v26, v25, v35, s8
	s_delay_alu instid0(VALU_DEP_2) | instskip(NEXT) | instid1(VALU_DEP_1)
	v_cmp_nlt_f32_e64 s9, v33, v34
	s_and_b32 s10, s10, s9
	v_cndmask_b32_e64 v32, v33, v34, s9
	s_and_b32 s7, s10, s36
	v_cndmask_b32_e64 v25, v34, v33, s9
	s_and_b32 s7, s7, s35
	s_delay_alu instid0(SALU_CYCLE_1) | instskip(NEXT) | instid1(SALU_CYCLE_1)
	s_and_b32 s7, exec_lo, s7
	s_or_b32 s34, s7, s34
	s_delay_alu instid0(SALU_CYCLE_1)
	s_and_not1_b32 exec_lo, exec_lo, s34
	s_cbranch_execnz .LBB199_130
; %bb.131:                              ;   in Loop: Header=BB199_4 Depth=1
	s_or_b32 exec_lo, exec_lo, s34
	v_add_f32_e32 v1, -1.0, v1
	v_cmp_class_f32_e64 s8, v15, 0x204
	s_delay_alu instid0(VALU_DEP_2) | instskip(NEXT) | instid1(VALU_DEP_1)
	v_add_f32_e32 v1, v1, v23
	v_add_f32_e32 v1, v1, v31
	s_delay_alu instid0(VALU_DEP_1) | instskip(NEXT) | instid1(VALU_DEP_1)
	v_add_f32_e32 v1, v1, v22
	v_add_f32_e32 v1, v1, v24
	s_delay_alu instid0(VALU_DEP_1) | instskip(NEXT) | instid1(VALU_DEP_1)
	;; [unrolled: 3-line block ×5, first 2 shown]
	v_add_f32_e32 v1, v32, v1
	v_add_f32_e32 v24, 1.0, v1
	s_delay_alu instid0(VALU_DEP_1) | instskip(NEXT) | instid1(VALU_DEP_1)
	v_cvt_f64_f32_e32 v[22:23], v24
	v_frexp_exp_i32_f64_e32 v22, v[22:23]
	v_frexp_mant_f32_e32 v23, v24
	s_delay_alu instid0(VALU_DEP_1) | instskip(SKIP_1) | instid1(VALU_DEP_1)
	v_cmp_gt_f32_e32 vcc_lo, 0x3f2aaaab, v23
	v_add_f32_e32 v23, -1.0, v24
	v_dual_sub_f32 v26, v23, v24 :: v_dual_sub_f32 v23, v1, v23
	s_delay_alu instid0(VALU_DEP_1) | instskip(NEXT) | instid1(VALU_DEP_1)
	v_add_f32_e32 v26, 1.0, v26
	v_add_f32_e32 v23, v23, v26
	v_subrev_co_ci_u32_e32 v22, vcc_lo, 0, v22, vcc_lo
	s_delay_alu instid0(VALU_DEP_1) | instskip(SKIP_1) | instid1(VALU_DEP_2)
	v_sub_nc_u32_e32 v25, 0, v22
	v_cvt_f32_i32_e32 v22, v22
	v_ldexp_f32 v24, v24, v25
	v_ldexp_f32 v23, v23, v25
	s_delay_alu instid0(VALU_DEP_2) | instskip(NEXT) | instid1(VALU_DEP_1)
	v_add_f32_e32 v27, 1.0, v24
	v_dual_add_f32 v25, -1.0, v24 :: v_dual_add_f32 v26, -1.0, v27
	s_delay_alu instid0(VALU_DEP_1) | instskip(NEXT) | instid1(VALU_DEP_2)
	v_add_f32_e32 v28, 1.0, v25
	v_sub_f32_e32 v26, v24, v26
	s_delay_alu instid0(VALU_DEP_2) | instskip(NEXT) | instid1(VALU_DEP_2)
	v_sub_f32_e32 v24, v24, v28
	v_add_f32_e32 v26, v23, v26
	s_delay_alu instid0(VALU_DEP_2) | instskip(NEXT) | instid1(VALU_DEP_1)
	v_add_f32_e32 v23, v23, v24
	v_dual_add_f32 v28, v27, v26 :: v_dual_add_f32 v29, v25, v23
	s_delay_alu instid0(VALU_DEP_1) | instskip(SKIP_1) | instid1(VALU_DEP_1)
	v_rcp_f32_e32 v24, v28
	v_sub_f32_e32 v27, v28, v27
	v_dual_sub_f32 v25, v29, v25 :: v_dual_sub_f32 v26, v26, v27
	s_waitcnt_depctr 0xfff
	v_dual_sub_f32 v23, v23, v25 :: v_dual_mul_f32 v30, v29, v24
	v_cmp_eq_f32_e32 vcc_lo, 0x7f800000, v1
	v_cmp_neq_f32_e64 s7, -1.0, v1
	s_delay_alu instid0(VALU_DEP_3) | instskip(NEXT) | instid1(VALU_DEP_1)
	v_mul_f32_e32 v31, v28, v30
	v_fma_f32 v27, v30, v28, -v31
	s_delay_alu instid0(VALU_DEP_1) | instskip(NEXT) | instid1(VALU_DEP_1)
	v_fmac_f32_e32 v27, v30, v26
	v_add_f32_e32 v32, v31, v27
	s_delay_alu instid0(VALU_DEP_1) | instskip(SKIP_1) | instid1(VALU_DEP_2)
	v_sub_f32_e32 v33, v29, v32
	v_sub_f32_e32 v25, v32, v31
	;; [unrolled: 1-line block ×3, first 2 shown]
	s_delay_alu instid0(VALU_DEP_2) | instskip(NEXT) | instid1(VALU_DEP_2)
	v_sub_f32_e32 v25, v25, v27
	v_sub_f32_e32 v29, v29, v32
	s_delay_alu instid0(VALU_DEP_1) | instskip(NEXT) | instid1(VALU_DEP_1)
	v_add_f32_e32 v23, v23, v29
	v_add_f32_e32 v23, v25, v23
	s_delay_alu instid0(VALU_DEP_1) | instskip(NEXT) | instid1(VALU_DEP_1)
	v_add_f32_e32 v25, v33, v23
	v_mul_f32_e32 v27, v24, v25
	s_delay_alu instid0(VALU_DEP_1) | instskip(NEXT) | instid1(VALU_DEP_1)
	v_dual_sub_f32 v32, v33, v25 :: v_dual_mul_f32 v29, v28, v27
	v_add_f32_e32 v23, v23, v32
	s_delay_alu instid0(VALU_DEP_2) | instskip(NEXT) | instid1(VALU_DEP_1)
	v_fma_f32 v28, v27, v28, -v29
	v_fmac_f32_e32 v28, v27, v26
	s_delay_alu instid0(VALU_DEP_1) | instskip(NEXT) | instid1(VALU_DEP_1)
	v_add_f32_e32 v26, v29, v28
	v_sub_f32_e32 v31, v25, v26
	v_sub_f32_e32 v29, v26, v29
	s_delay_alu instid0(VALU_DEP_2) | instskip(NEXT) | instid1(VALU_DEP_1)
	v_sub_f32_e32 v25, v25, v31
	v_sub_f32_e32 v25, v25, v26
	s_delay_alu instid0(VALU_DEP_3) | instskip(SKIP_1) | instid1(VALU_DEP_3)
	v_sub_f32_e32 v26, v29, v28
	v_max_f32_e64 v28, |v16|, |v16|
	v_add_f32_e32 v23, v23, v25
	v_add_f32_e32 v25, v30, v27
	s_delay_alu instid0(VALU_DEP_1) | instskip(NEXT) | instid1(VALU_DEP_1)
	v_dual_add_f32 v23, v26, v23 :: v_dual_sub_f32 v26, v25, v30
	v_add_f32_e32 v23, v31, v23
	s_delay_alu instid0(VALU_DEP_2) | instskip(SKIP_1) | instid1(VALU_DEP_3)
	v_sub_f32_e32 v26, v27, v26
	v_mul_f32_e32 v31, 0x3f317218, v22
	v_mul_f32_e32 v23, v24, v23
	s_delay_alu instid0(VALU_DEP_2) | instskip(NEXT) | instid1(VALU_DEP_1)
	v_fma_f32 v32, 0x3f317218, v22, -v31
	v_dual_add_f32 v23, v26, v23 :: v_dual_fmac_f32 v32, 0xb102e308, v22
	s_delay_alu instid0(VALU_DEP_1) | instskip(NEXT) | instid1(VALU_DEP_1)
	v_add_f32_e32 v24, v25, v23
	v_mul_f32_e32 v26, v24, v24
	v_ldexp_f32 v30, v24, 1
	s_delay_alu instid0(VALU_DEP_2) | instskip(SKIP_2) | instid1(VALU_DEP_3)
	v_fmaak_f32 v27, s21, v26, 0x3ecc95a3
	v_mul_f32_e32 v29, v24, v26
	v_sub_f32_e32 v24, v24, v25
	v_fmaak_f32 v26, v26, v27, 0x3f2aaada
	v_max_f32_e64 v27, |v15|, |v15|
	s_delay_alu instid0(VALU_DEP_2) | instskip(NEXT) | instid1(VALU_DEP_2)
	v_dual_sub_f32 v23, v23, v24 :: v_dual_mul_f32 v26, v29, v26
	v_max_f32_e32 v29, v27, v28
	v_min_f32_e32 v27, v27, v28
	s_delay_alu instid0(VALU_DEP_3) | instskip(NEXT) | instid1(VALU_DEP_4)
	v_ldexp_f32 v23, v23, 1
	v_add_f32_e32 v25, v30, v26
	s_delay_alu instid0(VALU_DEP_4) | instskip(SKIP_1) | instid1(VALU_DEP_3)
	v_frexp_mant_f32_e32 v28, v29
	v_frexp_exp_i32_f32_e32 v29, v29
	v_sub_f32_e32 v24, v25, v30
	s_delay_alu instid0(VALU_DEP_3) | instskip(SKIP_1) | instid1(VALU_DEP_2)
	v_rcp_f32_e32 v28, v28
	v_frexp_exp_i32_f32_e32 v30, v27
	v_sub_f32_e32 v24, v26, v24
	v_frexp_mant_f32_e32 v26, v27
	s_delay_alu instid0(VALU_DEP_3) | instskip(NEXT) | instid1(VALU_DEP_3)
	v_sub_nc_u32_e32 v27, v30, v29
	v_add_f32_e32 v22, v23, v24
	s_waitcnt_depctr 0xfff
	v_mul_f32_e32 v23, v26, v28
	v_add_f32_e32 v24, v31, v32
	v_add_f32_e32 v26, v25, v22
	s_delay_alu instid0(VALU_DEP_3) | instskip(NEXT) | instid1(VALU_DEP_3)
	v_ldexp_f32 v23, v23, v27
	v_sub_f32_e32 v31, v24, v31
	s_delay_alu instid0(VALU_DEP_2) | instskip(SKIP_1) | instid1(VALU_DEP_3)
	v_dual_add_f32 v27, v24, v26 :: v_dual_mul_f32 v28, v23, v23
	v_sub_f32_e32 v25, v26, v25
	v_sub_f32_e32 v31, v32, v31
	s_delay_alu instid0(VALU_DEP_3) | instskip(NEXT) | instid1(VALU_DEP_4)
	v_sub_f32_e32 v29, v27, v24
	v_fmaak_f32 v30, s26, v28, 0xbc7a590c
	s_delay_alu instid0(VALU_DEP_4) | instskip(NEXT) | instid1(VALU_DEP_2)
	v_sub_f32_e32 v22, v22, v25
	v_dual_sub_f32 v33, v27, v29 :: v_dual_fmaak_f32 v30, v28, v30, 0x3d29fb3f
	v_sub_f32_e32 v25, v26, v29
	s_delay_alu instid0(VALU_DEP_2) | instskip(NEXT) | instid1(VALU_DEP_3)
	v_dual_add_f32 v29, v31, v22 :: v_dual_sub_f32 v24, v24, v33
	v_fmaak_f32 v26, v28, v30, 0xbd97d4d7
	s_delay_alu instid0(VALU_DEP_1) | instskip(NEXT) | instid1(VALU_DEP_3)
	v_dual_add_f32 v24, v25, v24 :: v_dual_fmaak_f32 v25, v28, v26, 0x3dd931b2
	v_sub_f32_e32 v26, v29, v31
	s_delay_alu instid0(VALU_DEP_2) | instskip(NEXT) | instid1(VALU_DEP_2)
	v_dual_add_f32 v24, v29, v24 :: v_dual_fmaak_f32 v25, v28, v25, 0xbe1160e6
	v_sub_f32_e32 v29, v29, v26
	v_sub_f32_e32 v22, v22, v26
	s_delay_alu instid0(VALU_DEP_3) | instskip(NEXT) | instid1(VALU_DEP_1)
	v_dual_add_f32 v30, v27, v24 :: v_dual_fmaak_f32 v25, v28, v25, 0x3e4cb8bf
	v_dual_sub_f32 v26, v31, v29 :: v_dual_sub_f32 v27, v30, v27
	s_delay_alu instid0(VALU_DEP_1) | instskip(NEXT) | instid1(VALU_DEP_2)
	v_dual_fmaak_f32 v25, v28, v25, 0xbeaaaa62 :: v_dual_add_f32 v22, v22, v26
	v_sub_f32_e32 v24, v24, v27
	s_delay_alu instid0(VALU_DEP_1) | instskip(NEXT) | instid1(VALU_DEP_1)
	v_dual_mul_f32 v25, v28, v25 :: v_dual_add_f32 v22, v22, v24
	v_dual_fmac_f32 v23, v23, v25 :: v_dual_add_f32 v22, v30, v22
	s_delay_alu instid0(VALU_DEP_1) | instskip(NEXT) | instid1(VALU_DEP_2)
	v_sub_f32_e32 v24, 0x3fc90fdb, v23
	v_cndmask_b32_e32 v22, v22, v1, vcc_lo
	v_cmp_gt_i32_e32 vcc_lo, 0, v15
	s_delay_alu instid0(VALU_DEP_3) | instskip(SKIP_2) | instid1(VALU_DEP_3)
	v_cndmask_b32_e64 v23, v23, v24, s6
	v_cndmask_b32_e64 v24, 0, 0x40490fdb, vcc_lo
	v_cmp_ngt_f32_e32 vcc_lo, -1.0, v1
	v_sub_f32_e32 v25, 0x40490fdb, v23
	v_cndmask_b32_e32 v22, 0x7fc00000, v22, vcc_lo
	v_cmp_gt_f32_e32 vcc_lo, 0, v15
	s_delay_alu instid0(VALU_DEP_2) | instskip(NEXT) | instid1(VALU_DEP_4)
	v_cndmask_b32_e64 v15, 0xff800000, v22, s7
	v_cndmask_b32_e32 v22, v23, v25, vcc_lo
	v_cndmask_b32_e32 v23, 0x3f490fdb, v17, vcc_lo
	v_cmp_gt_f32_e64 vcc_lo, 0x33800000, |v1|
	v_cmp_class_f32_e64 s7, v16, 0x204
	v_cndmask_b32_e32 v1, v15, v1, vcc_lo
	v_cmp_eq_f32_e32 vcc_lo, 0, v16
	s_delay_alu instid0(VALU_DEP_2) | instskip(SKIP_2) | instid1(VALU_DEP_1)
	v_mul_f32_e32 v1, 0.5, v1
	v_cndmask_b32_e32 v15, v22, v24, vcc_lo
	s_and_b32 vcc_lo, s7, s8
	v_cndmask_b32_e32 v22, v15, v23, vcc_lo
.LBB199_132:                            ;   in Loop: Header=BB199_4 Depth=1
	s_or_b32 exec_lo, exec_lo, s33
.LBB199_133:                            ;   in Loop: Header=BB199_4 Depth=1
	s_delay_alu instid0(SALU_CYCLE_1)
	s_or_b32 exec_lo, exec_lo, s31
.LBB199_134:                            ;   in Loop: Header=BB199_4 Depth=1
	s_and_not1_saveexec_b32 s8, s30
	s_cbranch_execz .LBB199_136
; %bb.135:                              ;   in Loop: Header=BB199_4 Depth=1
	v_max_f32_e64 v1, |v16|, |v16|
	v_max_f32_e64 v24, |v15|, |v15|
	v_cmp_gt_i32_e64 s7, 0, v15
	v_cmp_class_f32_e64 s9, v15, 0x204
	v_cmp_class_f32_e64 s10, v16, 0x204
	s_delay_alu instid0(VALU_DEP_4) | instskip(SKIP_1) | instid1(VALU_DEP_2)
	v_max_f32_e32 v25, v24, v1
	v_min_f32_e32 v1, v24, v1
	v_cvt_f64_f32_e32 v[22:23], v25
	v_frexp_exp_i32_f32_e32 v24, v25
	s_delay_alu instid0(VALU_DEP_3) | instskip(SKIP_1) | instid1(VALU_DEP_2)
	v_frexp_exp_i32_f32_e32 v26, v1
	v_frexp_mant_f32_e32 v1, v1
	v_sub_nc_u32_e32 v24, v26, v24
	v_frexp_exp_i32_f64_e32 v22, v[22:23]
	v_frexp_mant_f32_e32 v23, v25
	s_delay_alu instid0(VALU_DEP_1) | instskip(SKIP_2) | instid1(VALU_DEP_1)
	v_rcp_f32_e32 v23, v23
	s_waitcnt_depctr 0xfff
	v_mul_f32_e32 v1, v1, v23
	v_ldexp_f32 v1, v1, v24
	s_delay_alu instid0(VALU_DEP_1) | instskip(SKIP_1) | instid1(VALU_DEP_1)
	v_mul_f32_e32 v26, v1, v1
	v_sub_nc_u32_e32 v27, 0, v22
	v_ldexp_f32 v23, |v16|, v27
	v_ldexp_f32 v24, |v15|, v27
	s_delay_alu instid0(VALU_DEP_2) | instskip(NEXT) | instid1(VALU_DEP_1)
	v_mul_f32_e32 v23, v23, v23
	v_dual_fmac_f32 v23, v24, v24 :: v_dual_fmaak_f32 v24, s26, v26, 0xbc7a590c
	v_cmp_neq_f32_e32 vcc_lo, 0x7f800000, v25
	s_delay_alu instid0(VALU_DEP_2) | instskip(NEXT) | instid1(VALU_DEP_2)
	v_sqrt_f32_e32 v23, v23
	v_fmaak_f32 v24, v26, v24, 0x3d29fb3f
	s_delay_alu instid0(VALU_DEP_1) | instskip(SKIP_3) | instid1(VALU_DEP_2)
	v_fmaak_f32 v24, v26, v24, 0xbd97d4d7
	s_waitcnt_depctr 0xfff
	v_ldexp_f32 v22, v23, v22
	v_fmaak_f32 v23, v26, v24, 0x3dd931b2
	v_cndmask_b32_e32 v22, 0x7f800000, v22, vcc_lo
	s_delay_alu instid0(VALU_DEP_2) | instskip(NEXT) | instid1(VALU_DEP_2)
	v_fmaak_f32 v23, v26, v23, 0xbe1160e6
	v_cmp_gt_f32_e32 vcc_lo, 0x800000, v22
	s_delay_alu instid0(VALU_DEP_2) | instskip(SKIP_1) | instid1(VALU_DEP_2)
	v_fmaak_f32 v23, v26, v23, 0x3e4cb8bf
	v_cndmask_b32_e64 v24, 1.0, 0x4f800000, vcc_lo
	v_fmaak_f32 v23, v26, v23, 0xbeaaaa62
	s_delay_alu instid0(VALU_DEP_1) | instskip(NEXT) | instid1(VALU_DEP_1)
	v_mul_f32_e32 v23, v26, v23
	v_dual_mul_f32 v22, v22, v24 :: v_dual_fmac_f32 v1, v1, v23
	s_delay_alu instid0(VALU_DEP_1) | instskip(NEXT) | instid1(VALU_DEP_1)
	v_log_f32_e32 v22, v22
	v_sub_f32_e32 v24, 0x3fc90fdb, v1
	s_delay_alu instid0(VALU_DEP_1) | instskip(SKIP_4) | instid1(VALU_DEP_3)
	v_cndmask_b32_e64 v1, v1, v24, s6
	s_waitcnt_depctr 0xfff
	v_mul_f32_e32 v23, 0x3f317217, v22
	v_cndmask_b32_e64 v24, 0, 0x40490fdb, s7
	v_cmp_gt_f32_e64 s7, 0, v15
	v_fma_f32 v25, 0x3f317217, v22, -v23
	s_delay_alu instid0(VALU_DEP_1) | instskip(NEXT) | instid1(VALU_DEP_1)
	v_fmac_f32_e32 v25, 0x3377d1cf, v22
	v_add_f32_e32 v15, v23, v25
	v_cndmask_b32_e64 v25, 0, 0x41b17218, vcc_lo
	v_cmp_gt_f32_e64 vcc_lo, 0x7f800000, |v22|
	v_sub_f32_e32 v26, 0x40490fdb, v1
	v_cndmask_b32_e64 v23, 0x3f490fdb, v17, s7
	v_cndmask_b32_e32 v15, v22, v15, vcc_lo
	s_delay_alu instid0(VALU_DEP_3) | instskip(SKIP_1) | instid1(VALU_DEP_2)
	v_cndmask_b32_e64 v1, v1, v26, s7
	v_cmp_eq_f32_e32 vcc_lo, 0, v16
	v_cndmask_b32_e32 v22, v1, v24, vcc_lo
	s_and_b32 vcc_lo, s10, s9
	s_delay_alu instid0(VALU_DEP_1)
	v_dual_sub_f32 v1, v15, v25 :: v_dual_cndmask_b32 v22, v22, v23
.LBB199_136:                            ;   in Loop: Header=BB199_4 Depth=1
	s_or_b32 exec_lo, exec_lo, s8
                                        ; implicit-def: $vgpr23
.LBB199_137:                            ;   in Loop: Header=BB199_4 Depth=1
	s_and_not1_saveexec_b32 s8, s29
	s_cbranch_execz .LBB199_143
; %bb.138:                              ;   in Loop: Header=BB199_4 Depth=1
                                        ; implicit-def: $vgpr1
                                        ; implicit-def: $vgpr22
	s_mov_b32 s7, exec_lo
	v_cmpx_ngt_f32_e32 0x1fec1e4a, v23
	s_xor_b32 s9, exec_lo, s7
	s_cbranch_execz .LBB199_140
; %bb.139:                              ;   in Loop: Header=BB199_4 Depth=1
	v_mul_f32_e32 v1, v23, v23
	v_cmp_class_f32_e64 s10, v15, 0x204
	v_cmp_gt_f32_e64 s7, 0, v15
	v_cmp_class_f32_e64 s12, v16, 0x204
	s_delay_alu instid0(VALU_DEP_4) | instskip(NEXT) | instid1(VALU_DEP_1)
	v_add_f32_e32 v24, 1.0, v1
	v_cvt_f64_f32_e32 v[22:23], v24
	s_delay_alu instid0(VALU_DEP_1) | instskip(SKIP_1) | instid1(VALU_DEP_1)
	v_frexp_exp_i32_f64_e32 v22, v[22:23]
	v_frexp_mant_f32_e32 v23, v24
	v_cmp_gt_f32_e32 vcc_lo, 0x3f2aaaab, v23
	v_add_f32_e32 v23, -1.0, v24
	s_delay_alu instid0(VALU_DEP_1) | instskip(NEXT) | instid1(VALU_DEP_1)
	v_sub_f32_e32 v26, v23, v24
	v_dual_add_f32 v26, 1.0, v26 :: v_dual_sub_f32 v23, v1, v23
	v_cmp_gt_f32_e64 s11, 0x33800000, |v1|
	s_delay_alu instid0(VALU_DEP_2) | instskip(SKIP_2) | instid1(VALU_DEP_2)
	v_add_f32_e32 v23, v23, v26
	v_subrev_co_ci_u32_e32 v22, vcc_lo, 0, v22, vcc_lo
	v_cmp_gt_i32_e32 vcc_lo, 0, v15
	v_sub_nc_u32_e32 v25, 0, v22
	v_cvt_f32_i32_e32 v22, v22
	s_delay_alu instid0(VALU_DEP_2) | instskip(SKIP_1) | instid1(VALU_DEP_2)
	v_ldexp_f32 v24, v24, v25
	v_ldexp_f32 v23, v23, v25
	v_add_f32_e32 v27, 1.0, v24
	s_delay_alu instid0(VALU_DEP_1) | instskip(NEXT) | instid1(VALU_DEP_1)
	v_add_f32_e32 v26, -1.0, v27
	v_dual_sub_f32 v26, v24, v26 :: v_dual_add_f32 v25, -1.0, v24
	s_delay_alu instid0(VALU_DEP_1) | instskip(NEXT) | instid1(VALU_DEP_2)
	v_add_f32_e32 v26, v23, v26
	v_add_f32_e32 v28, 1.0, v25
	s_delay_alu instid0(VALU_DEP_1) | instskip(NEXT) | instid1(VALU_DEP_1)
	v_sub_f32_e32 v24, v24, v28
	v_add_f32_e32 v23, v23, v24
	s_delay_alu instid0(VALU_DEP_1) | instskip(NEXT) | instid1(VALU_DEP_1)
	v_dual_add_f32 v29, v25, v23 :: v_dual_add_f32 v28, v27, v26
	v_rcp_f32_e32 v24, v28
	v_sub_f32_e32 v27, v27, v28
	s_delay_alu instid0(VALU_DEP_1) | instskip(SKIP_2) | instid1(VALU_DEP_1)
	v_dual_add_f32 v26, v26, v27 :: v_dual_sub_f32 v25, v25, v29
	s_waitcnt_depctr 0xfff
	v_dual_mul_f32 v30, v29, v24 :: v_dual_add_f32 v23, v23, v25
	v_mul_f32_e32 v31, v28, v30
	s_delay_alu instid0(VALU_DEP_1) | instskip(NEXT) | instid1(VALU_DEP_1)
	v_fma_f32 v27, v30, v28, -v31
	v_fmac_f32_e32 v27, v30, v26
	s_delay_alu instid0(VALU_DEP_1) | instskip(NEXT) | instid1(VALU_DEP_1)
	v_add_f32_e32 v32, v31, v27
	v_sub_f32_e32 v33, v29, v32
	s_delay_alu instid0(VALU_DEP_1) | instskip(SKIP_1) | instid1(VALU_DEP_2)
	v_sub_f32_e32 v29, v29, v33
	v_sub_f32_e32 v25, v32, v31
	;; [unrolled: 1-line block ×3, first 2 shown]
	s_delay_alu instid0(VALU_DEP_2) | instskip(NEXT) | instid1(VALU_DEP_2)
	v_sub_f32_e32 v25, v25, v27
	v_add_f32_e32 v23, v23, v29
	s_delay_alu instid0(VALU_DEP_1) | instskip(NEXT) | instid1(VALU_DEP_1)
	v_add_f32_e32 v23, v25, v23
	v_add_f32_e32 v25, v33, v23
	s_delay_alu instid0(VALU_DEP_1) | instskip(NEXT) | instid1(VALU_DEP_1)
	v_mul_f32_e32 v27, v24, v25
	v_dual_sub_f32 v32, v33, v25 :: v_dual_mul_f32 v29, v28, v27
	s_delay_alu instid0(VALU_DEP_1) | instskip(NEXT) | instid1(VALU_DEP_2)
	v_add_f32_e32 v23, v23, v32
	v_fma_f32 v28, v27, v28, -v29
	s_delay_alu instid0(VALU_DEP_1) | instskip(NEXT) | instid1(VALU_DEP_1)
	v_fmac_f32_e32 v28, v27, v26
	v_add_f32_e32 v26, v29, v28
	s_delay_alu instid0(VALU_DEP_1) | instskip(SKIP_1) | instid1(VALU_DEP_2)
	v_sub_f32_e32 v31, v25, v26
	v_sub_f32_e32 v29, v26, v29
	;; [unrolled: 1-line block ×3, first 2 shown]
	s_delay_alu instid0(VALU_DEP_1) | instskip(NEXT) | instid1(VALU_DEP_1)
	v_sub_f32_e32 v25, v25, v26
	v_dual_sub_f32 v26, v29, v28 :: v_dual_add_f32 v23, v23, v25
	v_add_f32_e32 v25, v30, v27
	s_delay_alu instid0(VALU_DEP_1) | instskip(NEXT) | instid1(VALU_DEP_1)
	v_dual_add_f32 v23, v26, v23 :: v_dual_sub_f32 v26, v25, v30
	v_add_f32_e32 v23, v31, v23
	s_delay_alu instid0(VALU_DEP_2) | instskip(SKIP_1) | instid1(VALU_DEP_3)
	v_sub_f32_e32 v26, v27, v26
	v_max_f32_e64 v27, |v15|, |v15|
	v_mul_f32_e32 v23, v24, v23
	v_max_f32_e64 v24, |v16|, |v16|
	s_delay_alu instid0(VALU_DEP_2) | instskip(NEXT) | instid1(VALU_DEP_2)
	v_add_f32_e32 v23, v26, v23
	v_max_f32_e32 v29, v27, v24
	v_min_f32_e32 v24, v27, v24
	s_delay_alu instid0(VALU_DEP_3) | instskip(NEXT) | instid1(VALU_DEP_3)
	v_add_f32_e32 v26, v25, v23
	v_frexp_mant_f32_e32 v31, v29
	v_frexp_exp_i32_f32_e32 v27, v29
	s_delay_alu instid0(VALU_DEP_3) | instskip(SKIP_1) | instid1(VALU_DEP_2)
	v_mul_f32_e32 v28, v26, v26
	v_ldexp_f32 v32, v26, 1
	v_dual_sub_f32 v25, v26, v25 :: v_dual_fmaak_f32 v30, s21, v28, 0x3ecc95a3
	v_mul_f32_e32 v29, v26, v28
	s_delay_alu instid0(VALU_DEP_2) | instskip(SKIP_3) | instid1(VALU_DEP_3)
	v_dual_sub_f32 v23, v23, v25 :: v_dual_fmaak_f32 v28, v28, v30, 0x3f2aaada
	v_rcp_f32_e32 v30, v31
	v_frexp_exp_i32_f32_e32 v31, v24
	v_frexp_mant_f32_e32 v24, v24
	v_ldexp_f32 v23, v23, 1
	v_dual_mul_f32 v28, v29, v28 :: v_dual_mul_f32 v29, 0x3f317218, v22
	s_delay_alu instid0(VALU_DEP_4) | instskip(NEXT) | instid1(VALU_DEP_2)
	v_sub_nc_u32_e32 v27, v31, v27
	v_add_f32_e32 v26, v32, v28
	s_delay_alu instid0(TRANS32_DEP_1) | instid1(VALU_DEP_1)
	v_dual_mul_f32 v24, v24, v30 :: v_dual_sub_f32 v25, v26, v32
	s_delay_alu instid0(VALU_DEP_1) | instskip(SKIP_1) | instid1(VALU_DEP_3)
	v_ldexp_f32 v24, v24, v27
	v_fma_f32 v27, 0x3f317218, v22, -v29
	v_sub_f32_e32 v25, v28, v25
	s_delay_alu instid0(VALU_DEP_2) | instskip(NEXT) | instid1(VALU_DEP_1)
	v_dual_mul_f32 v28, v24, v24 :: v_dual_fmac_f32 v27, 0xb102e308, v22
	v_dual_add_f32 v22, v23, v25 :: v_dual_fmaak_f32 v23, s26, v28, 0xbc7a590c
	s_delay_alu instid0(VALU_DEP_1) | instskip(NEXT) | instid1(VALU_DEP_2)
	v_dual_add_f32 v25, v29, v27 :: v_dual_add_f32 v30, v26, v22
	v_fmaak_f32 v23, v28, v23, 0x3d29fb3f
	s_delay_alu instid0(VALU_DEP_2) | instskip(NEXT) | instid1(VALU_DEP_3)
	v_sub_f32_e32 v29, v25, v29
	v_add_f32_e32 v31, v25, v30
	s_delay_alu instid0(VALU_DEP_3) | instskip(NEXT) | instid1(VALU_DEP_3)
	v_dual_fmaak_f32 v23, v28, v23, 0xbd97d4d7 :: v_dual_sub_f32 v26, v30, v26
	v_sub_f32_e32 v27, v27, v29
	s_delay_alu instid0(VALU_DEP_2) | instskip(NEXT) | instid1(VALU_DEP_1)
	v_dual_sub_f32 v32, v31, v25 :: v_dual_fmaak_f32 v23, v28, v23, 0x3dd931b2
	v_dual_sub_f32 v22, v22, v26 :: v_dual_sub_f32 v33, v31, v32
	s_delay_alu instid0(VALU_DEP_2) | instskip(NEXT) | instid1(VALU_DEP_2)
	v_dual_fmaak_f32 v23, v28, v23, 0xbe1160e6 :: v_dual_sub_f32 v26, v30, v32
	v_add_f32_e32 v29, v27, v22
	s_delay_alu instid0(VALU_DEP_3) | instskip(NEXT) | instid1(VALU_DEP_3)
	v_sub_f32_e32 v25, v25, v33
	v_fmaak_f32 v23, v28, v23, 0x3e4cb8bf
	s_delay_alu instid0(VALU_DEP_2) | instskip(NEXT) | instid1(VALU_DEP_2)
	v_add_f32_e32 v25, v26, v25
	v_fmaak_f32 v23, v28, v23, 0xbeaaaa62
	v_sub_f32_e32 v26, v29, v27
	s_delay_alu instid0(VALU_DEP_3) | instskip(NEXT) | instid1(VALU_DEP_2)
	v_add_f32_e32 v25, v29, v25
	v_dual_mul_f32 v23, v28, v23 :: v_dual_sub_f32 v28, v29, v26
	s_delay_alu instid0(VALU_DEP_2) | instskip(NEXT) | instid1(VALU_DEP_2)
	v_dual_sub_f32 v22, v22, v26 :: v_dual_add_f32 v29, v31, v25
	v_dual_fmac_f32 v24, v24, v23 :: v_dual_sub_f32 v23, v27, v28
	s_delay_alu instid0(VALU_DEP_1) | instskip(NEXT) | instid1(VALU_DEP_1)
	v_dual_sub_f32 v26, v29, v31 :: v_dual_sub_f32 v27, 0x3fc90fdb, v24
	v_dual_add_f32 v22, v22, v23 :: v_dual_sub_f32 v23, v25, v26
	s_delay_alu instid0(VALU_DEP_2) | instskip(SKIP_2) | instid1(VALU_DEP_3)
	v_cndmask_b32_e64 v24, v24, v27, s6
	v_cndmask_b32_e64 v25, 0, 0x40490fdb, vcc_lo
	v_cmp_eq_f32_e32 vcc_lo, 0x7f800000, v1
	v_dual_add_f32 v22, v22, v23 :: v_dual_sub_f32 v23, 0x40490fdb, v24
	s_or_b32 vcc_lo, vcc_lo, s11
	s_delay_alu instid0(VALU_DEP_1) | instskip(NEXT) | instid1(VALU_DEP_2)
	v_add_f32_e32 v15, v29, v22
	v_cndmask_b32_e64 v22, v24, v23, s7
	v_cndmask_b32_e64 v23, 0x3f490fdb, v17, s7
	s_delay_alu instid0(VALU_DEP_3) | instskip(SKIP_1) | instid1(VALU_DEP_2)
	v_cndmask_b32_e32 v1, v15, v1, vcc_lo
	v_cmp_eq_f32_e32 vcc_lo, 0, v16
	v_mul_f32_e32 v1, 0.5, v1
	v_cndmask_b32_e32 v15, v22, v25, vcc_lo
	s_and_b32 vcc_lo, s12, s10
	s_delay_alu instid0(VALU_DEP_1)
	v_cndmask_b32_e32 v22, v15, v23, vcc_lo
                                        ; implicit-def: $vgpr23
.LBB199_140:                            ;   in Loop: Header=BB199_4 Depth=1
	s_and_not1_saveexec_b32 s9, s9
	s_cbranch_execz .LBB199_142
; %bb.141:                              ;   in Loop: Header=BB199_4 Depth=1
	v_max_f32_e64 v1, |v16|, |v16|
	v_max_f32_e64 v22, |v15|, |v15|
	v_cmp_gt_i32_e32 vcc_lo, 0, v15
	v_cmp_eq_f32_e64 s7, 0, v16
	v_cmp_class_f32_e64 s10, v15, 0x204
	v_cmp_class_f32_e64 s11, v16, 0x204
	v_max_f32_e32 v24, v22, v1
	v_min_f32_e32 v1, v22, v1
	s_delay_alu instid0(VALU_DEP_2) | instskip(NEXT) | instid1(VALU_DEP_1)
	v_frexp_mant_f32_e32 v25, v24
	v_rcp_f32_e32 v22, v25
	s_delay_alu instid0(VALU_DEP_2) | instskip(SKIP_4) | instid1(VALU_DEP_1)
	v_frexp_exp_i32_f32_e32 v25, v1
	v_frexp_mant_f32_e32 v1, v1
	s_waitcnt_depctr 0xfff
	v_mul_f32_e32 v1, v1, v22
	v_frexp_exp_i32_f32_e32 v24, v24
	v_sub_nc_u32_e32 v24, v25, v24
	s_delay_alu instid0(VALU_DEP_1) | instskip(NEXT) | instid1(VALU_DEP_1)
	v_ldexp_f32 v1, v1, v24
	v_mul_f32_e32 v22, v1, v1
	s_delay_alu instid0(VALU_DEP_1) | instskip(NEXT) | instid1(VALU_DEP_1)
	v_fmaak_f32 v24, s26, v22, 0xbc7a590c
	v_fmaak_f32 v24, v22, v24, 0x3d29fb3f
	s_delay_alu instid0(VALU_DEP_1) | instskip(NEXT) | instid1(VALU_DEP_1)
	v_fmaak_f32 v24, v22, v24, 0xbd97d4d7
	v_fmaak_f32 v24, v22, v24, 0x3dd931b2
	;; [unrolled: 3-line block ×3, first 2 shown]
	s_delay_alu instid0(VALU_DEP_1) | instskip(NEXT) | instid1(VALU_DEP_1)
	v_fmaak_f32 v24, v22, v24, 0xbeaaaa62
	v_mul_f32_e32 v22, v22, v24
	v_cndmask_b32_e64 v24, 0, 0x40490fdb, vcc_lo
	v_cmp_gt_f32_e32 vcc_lo, 0, v15
	s_delay_alu instid0(VALU_DEP_3) | instskip(NEXT) | instid1(VALU_DEP_1)
	v_fmac_f32_e32 v1, v1, v22
	v_sub_f32_e32 v22, 0x3fc90fdb, v1
	s_delay_alu instid0(VALU_DEP_1) | instskip(NEXT) | instid1(VALU_DEP_1)
	v_cndmask_b32_e64 v1, v1, v22, s6
	v_sub_f32_e32 v22, 0x40490fdb, v1
	s_delay_alu instid0(VALU_DEP_1) | instskip(NEXT) | instid1(VALU_DEP_1)
	v_dual_cndmask_b32 v1, v1, v22 :: v_dual_mul_f32 v22, 0.5, v23
	v_cndmask_b32_e64 v15, v1, v24, s7
	s_delay_alu instid0(VALU_DEP_2) | instskip(SKIP_1) | instid1(VALU_DEP_1)
	v_dual_mul_f32 v1, v23, v22 :: v_dual_cndmask_b32 v24, 0x3f490fdb, v17
	s_and_b32 vcc_lo, s11, s10
	v_cndmask_b32_e32 v22, v15, v24, vcc_lo
.LBB199_142:                            ;   in Loop: Header=BB199_4 Depth=1
	s_or_b32 exec_lo, exec_lo, s9
.LBB199_143:                            ;   in Loop: Header=BB199_4 Depth=1
	s_delay_alu instid0(SALU_CYCLE_1)
	s_or_b32 exec_lo, exec_lo, s8
.LBB199_144:                            ;   in Loop: Header=BB199_4 Depth=1
	s_and_not1_saveexec_b32 s8, s28
	s_cbranch_execz .LBB199_146
; %bb.145:                              ;   in Loop: Header=BB199_4 Depth=1
	v_div_scale_f32 v1, null, 0x402df854, 0x402df854, v15
	v_div_scale_f32 v22, null, 0x402df854, 0x402df854, v16
	v_div_scale_f32 v27, vcc_lo, v15, 0x402df854, v15
	s_delay_alu instid0(VALU_DEP_3) | instskip(NEXT) | instid1(VALU_DEP_2)
	v_rcp_f32_e32 v23, v1
	v_rcp_f32_e32 v24, v22
	v_cmp_class_f32_e64 s9, v16, 0x204
	s_waitcnt_depctr 0xfff
	v_fma_f32 v25, -v1, v23, 1.0
	v_fma_f32 v26, -v22, v24, 1.0
	s_delay_alu instid0(VALU_DEP_1) | instskip(SKIP_1) | instid1(VALU_DEP_2)
	v_dual_fmac_f32 v23, v25, v23 :: v_dual_fmac_f32 v24, v26, v24
	v_div_scale_f32 v25, s7, v16, 0x402df854, v16
	v_mul_f32_e32 v26, v27, v23
	s_delay_alu instid0(VALU_DEP_1) | instskip(NEXT) | instid1(VALU_DEP_1)
	v_fma_f32 v29, -v1, v26, v27
	v_fmac_f32_e32 v26, v29, v23
	s_delay_alu instid0(VALU_DEP_1) | instskip(NEXT) | instid1(VALU_DEP_1)
	v_fma_f32 v1, -v1, v26, v27
	v_div_fmas_f32 v1, v1, v23, v26
	v_max_f32_e64 v26, |v15|, |v15|
	v_mul_f32_e32 v28, v25, v24
	s_mov_b32 vcc_lo, s7
	v_cmp_class_f32_e64 s7, v15, 0x204
	v_div_fixup_f32 v1, v1, 0x402df854, v15
	s_delay_alu instid0(VALU_DEP_3) | instskip(NEXT) | instid1(VALU_DEP_1)
	v_fma_f32 v30, -v22, v28, v25
	v_fmac_f32_e32 v28, v30, v24
	s_delay_alu instid0(VALU_DEP_1) | instskip(NEXT) | instid1(VALU_DEP_1)
	v_fma_f32 v22, -v22, v28, v25
	v_div_fmas_f32 v22, v22, v24, v28
	s_delay_alu instid0(VALU_DEP_1) | instskip(NEXT) | instid1(VALU_DEP_1)
	v_div_fixup_f32 v24, v22, 0x402df854, v16
	v_max_f32_e64 v25, |v1|, |v24|
	s_delay_alu instid0(VALU_DEP_1) | instskip(SKIP_1) | instid1(VALU_DEP_2)
	v_cvt_f64_f32_e32 v[22:23], v25
	v_cmp_neq_f32_e32 vcc_lo, 0x7f800000, v25
	v_frexp_exp_i32_f64_e32 v22, v[22:23]
	v_max_f32_e64 v23, |v16|, |v16|
	s_delay_alu instid0(VALU_DEP_1) | instskip(SKIP_1) | instid1(VALU_DEP_2)
	v_max_f32_e32 v27, v26, v23
	v_min_f32_e32 v23, v26, v23
	v_frexp_mant_f32_e32 v28, v27
	v_frexp_exp_i32_f32_e32 v27, v27
	s_delay_alu instid0(VALU_DEP_2) | instskip(SKIP_1) | instid1(VALU_DEP_1)
	v_rcp_f32_e32 v26, v28
	v_sub_nc_u32_e32 v28, 0, v22
	v_ldexp_f32 v24, |v24|, v28
	v_ldexp_f32 v1, |v1|, v28
	s_delay_alu instid0(VALU_DEP_2) | instskip(SKIP_2) | instid1(VALU_DEP_2)
	v_mul_f32_e32 v24, v24, v24
	v_frexp_exp_i32_f32_e32 v29, v23
	v_frexp_mant_f32_e32 v23, v23
	v_sub_nc_u32_e32 v27, v29, v27
	s_delay_alu instid0(TRANS32_DEP_1) | instid1(VALU_DEP_2)
	v_mul_f32_e32 v23, v23, v26
	s_delay_alu instid0(VALU_DEP_1) | instskip(NEXT) | instid1(VALU_DEP_1)
	v_ldexp_f32 v23, v23, v27
	v_dual_fmac_f32 v24, v1, v1 :: v_dual_mul_f32 v1, v23, v23
	s_delay_alu instid0(VALU_DEP_1) | instskip(NEXT) | instid1(VALU_DEP_1)
	v_sqrt_f32_e32 v24, v24
	v_fmaak_f32 v26, s26, v1, 0xbc7a590c
	s_delay_alu instid0(VALU_DEP_1) | instskip(SKIP_2) | instid1(VALU_DEP_1)
	v_fmaak_f32 v26, v1, v26, 0x3d29fb3f
	s_waitcnt_depctr 0xfff
	v_ldexp_f32 v22, v24, v22
	v_cndmask_b32_e32 v22, 0x7f800000, v22, vcc_lo
	s_delay_alu instid0(VALU_DEP_1) | instskip(SKIP_1) | instid1(VALU_DEP_1)
	v_cmp_gt_f32_e32 vcc_lo, 0x800000, v22
	v_cndmask_b32_e64 v25, 1.0, 0x4f800000, vcc_lo
	v_mul_f32_e32 v22, v22, v25
	s_delay_alu instid0(VALU_DEP_1) | instskip(SKIP_2) | instid1(VALU_DEP_2)
	v_log_f32_e32 v22, v22
	v_fmaak_f32 v24, v1, v26, 0xbd97d4d7
	v_cndmask_b32_e64 v26, 0, 0x41b17218, vcc_lo
	v_fmaak_f32 v24, v1, v24, 0x3dd931b2
	s_waitcnt_depctr 0xfff
	v_cmp_gt_f32_e64 vcc_lo, 0x7f800000, |v22|
	v_fmaak_f32 v24, v1, v24, 0xbe1160e6
	s_delay_alu instid0(VALU_DEP_1) | instskip(NEXT) | instid1(VALU_DEP_1)
	v_fmaak_f32 v24, v1, v24, 0x3e4cb8bf
	v_fmaak_f32 v24, v1, v24, 0xbeaaaa62
	s_delay_alu instid0(VALU_DEP_1) | instskip(NEXT) | instid1(VALU_DEP_1)
	v_dual_mul_f32 v1, v1, v24 :: v_dual_mul_f32 v24, 0x3f317217, v22
	v_fmac_f32_e32 v23, v23, v1
	s_delay_alu instid0(VALU_DEP_2) | instskip(NEXT) | instid1(VALU_DEP_2)
	v_fma_f32 v1, 0x3f317217, v22, -v24
	v_sub_f32_e32 v25, 0x3fc90fdb, v23
	s_delay_alu instid0(VALU_DEP_2) | instskip(NEXT) | instid1(VALU_DEP_2)
	v_fmac_f32_e32 v1, 0x3377d1cf, v22
	v_cndmask_b32_e64 v23, v23, v25, s6
	v_cmp_gt_i32_e64 s6, 0, v15
	s_delay_alu instid0(VALU_DEP_3) | instskip(NEXT) | instid1(VALU_DEP_2)
	v_add_f32_e32 v1, v24, v1
	v_cndmask_b32_e64 v25, 0, 0x40490fdb, s6
	v_cmp_gt_f32_e64 s6, 0, v15
	s_delay_alu instid0(VALU_DEP_3) | instskip(SKIP_1) | instid1(VALU_DEP_3)
	v_dual_cndmask_b32 v1, v22, v1 :: v_dual_sub_f32 v24, 0x40490fdb, v23
	v_cmp_eq_f32_e32 vcc_lo, 0, v16
	v_cndmask_b32_e64 v22, 0x3f490fdb, v17, s6
	s_delay_alu instid0(VALU_DEP_3) | instskip(NEXT) | instid1(VALU_DEP_4)
	v_sub_f32_e32 v1, v1, v26
	v_cndmask_b32_e64 v15, v23, v24, s6
	s_delay_alu instid0(VALU_DEP_2) | instskip(NEXT) | instid1(VALU_DEP_2)
	v_add_f32_e32 v1, 1.0, v1
	v_cndmask_b32_e32 v15, v15, v25, vcc_lo
	s_and_b32 vcc_lo, s9, s7
	s_delay_alu instid0(VALU_DEP_1)
	v_cndmask_b32_e32 v22, v15, v22, vcc_lo
.LBB199_146:                            ;   in Loop: Header=BB199_4 Depth=1
	s_or_b32 exec_lo, exec_lo, s8
	s_and_not1_saveexec_b32 s6, s27
	s_cbranch_execz .LBB199_116
.LBB199_147:                            ;   in Loop: Header=BB199_4 Depth=1
	v_cmp_ngt_f32_e64 s7, 0x20000000, |v15|
	v_cmp_ngt_f32_e64 s8, 0x20000000, |v16|
                                        ; implicit-def: $vgpr1
	s_delay_alu instid0(VALU_DEP_1) | instskip(NEXT) | instid1(SALU_CYCLE_1)
	s_or_b32 s7, s8, s7
	s_and_saveexec_b32 s8, s7
	s_delay_alu instid0(SALU_CYCLE_1)
	s_xor_b32 s7, exec_lo, s8
; %bb.148:                              ;   in Loop: Header=BB199_4 Depth=1
	v_mul_f32_e32 v1, v15, v15
	s_delay_alu instid0(VALU_DEP_1)
	v_fmac_f32_e32 v1, v16, v16
; %bb.149:                              ;   in Loop: Header=BB199_4 Depth=1
	s_and_not1_saveexec_b32 s7, s7
; %bb.150:                              ;   in Loop: Header=BB199_4 Depth=1
	v_mul_f32_e32 v1, 4.0, v15
	v_mul_f32_e32 v15, 4.0, v16
	s_delay_alu instid0(VALU_DEP_2) | instskip(NEXT) | instid1(VALU_DEP_1)
	v_mul_f32_e32 v1, v1, v1
	v_fmac_f32_e32 v1, v15, v15
	s_delay_alu instid0(VALU_DEP_1)
	v_mul_f32_e32 v1, 0x3d800000, v1
; %bb.151:                              ;   in Loop: Header=BB199_4 Depth=1
	s_or_b32 exec_lo, exec_lo, s7
	s_delay_alu instid0(VALU_DEP_1) | instskip(SKIP_1) | instid1(VALU_DEP_1)
	v_cmp_gt_f32_e32 vcc_lo, 0x800000, v1
	v_cndmask_b32_e64 v15, 1.0, 0x4f800000, vcc_lo
	v_mul_f32_e32 v1, v1, v15
	s_delay_alu instid0(VALU_DEP_1) | instskip(SKIP_2) | instid1(VALU_DEP_1)
	v_log_f32_e32 v1, v1
	s_waitcnt_depctr 0xfff
	v_mul_f32_e32 v15, 0x3f317217, v1
	v_fma_f32 v22, 0x3f317217, v1, -v15
	s_delay_alu instid0(VALU_DEP_1) | instskip(NEXT) | instid1(VALU_DEP_1)
	v_fmac_f32_e32 v22, 0x3377d1cf, v1
	v_add_f32_e32 v15, v15, v22
	v_cndmask_b32_e64 v22, 0, 0x41b17218, vcc_lo
	v_cmp_gt_f32_e64 vcc_lo, 0x7f800000, |v1|
	s_delay_alu instid0(VALU_DEP_3) | instskip(NEXT) | instid1(VALU_DEP_1)
	v_cndmask_b32_e32 v1, v1, v15, vcc_lo
	v_dual_sub_f32 v1, v1, v22 :: v_dual_mov_b32 v22, 0x7fc00000
	s_or_b32 exec_lo, exec_lo, s6
	s_and_saveexec_b32 s6, s2
	s_delay_alu instid0(SALU_CYCLE_1)
	s_xor_b32 s2, exec_lo, s6
	s_cbranch_execz .LBB199_117
.LBB199_152:                            ;   in Loop: Header=BB199_4 Depth=1
	v_bfi_b32 v10, 0x7fffffff, v19, v10
	v_add_co_u32 v3, vcc_lo, s13, v3
	v_add_co_ci_u32_e32 v4, vcc_lo, s20, v4, vcc_lo
	s_delay_alu instid0(VALU_DEP_3) | instskip(SKIP_1) | instid1(VALU_DEP_1)
	v_fma_f32 v15, 0, v10, v18
	v_fmac_f32_e32 v10, 0x80000000, v18
	v_dual_mul_f32 v18, 0x3fb8aa3b, v15 :: v_dual_mul_f32 v19, 0x3fb8aa3b, v10
	global_store_b64 v[3:4], v[18:19], off
	s_or_b32 exec_lo, exec_lo, s2
	s_and_saveexec_b32 s2, s3
	s_cbranch_execz .LBB199_118
.LBB199_153:                            ;   in Loop: Header=BB199_4 Depth=1
	v_bfi_b32 v4, 0x7fffffff, v20, v14
	v_add_co_u32 v5, vcc_lo, s13, v5
	v_add_co_ci_u32_e32 v6, vcc_lo, s20, v6, vcc_lo
	s_delay_alu instid0(VALU_DEP_3) | instskip(SKIP_1) | instid1(VALU_DEP_1)
	v_fma_f32 v3, 0, v4, v9
	v_fmac_f32_e32 v4, 0x80000000, v9
	v_dual_mul_f32 v3, 0x3fb8aa3b, v3 :: v_dual_mul_f32 v4, 0x3fb8aa3b, v4
	global_store_b64 v[5:6], v[3:4], off
	s_or_b32 exec_lo, exec_lo, s2
	s_and_saveexec_b32 s2, s4
	s_cbranch_execz .LBB199_119
.LBB199_154:                            ;   in Loop: Header=BB199_4 Depth=1
	v_bfi_b32 v3, 0x7fffffff, v21, v2
	v_add_co_u32 v4, vcc_lo, s13, v7
	v_add_co_ci_u32_e32 v5, vcc_lo, s20, v8, vcc_lo
	s_delay_alu instid0(VALU_DEP_3) | instskip(SKIP_1) | instid1(VALU_DEP_1)
	v_fma_f32 v2, 0, v3, v13
	v_fmac_f32_e32 v3, 0x80000000, v13
	v_dual_mul_f32 v2, 0x3fb8aa3b, v2 :: v_dual_mul_f32 v3, 0x3fb8aa3b, v3
	global_store_b64 v[4:5], v[2:3], off
	s_or_b32 exec_lo, exec_lo, s2
	s_and_saveexec_b32 s2, s5
	s_cbranch_execz .LBB199_3
.LBB199_155:                            ;   in Loop: Header=BB199_4 Depth=1
	v_bfi_b32 v2, 0x7fffffff, v22, v16
	s_delay_alu instid0(VALU_DEP_1) | instskip(SKIP_1) | instid1(VALU_DEP_1)
	v_fma_f32 v3, 0, v2, v1
	v_fmac_f32_e32 v2, 0x80000000, v1
	v_dual_mul_f32 v1, 0x3fb8aa3b, v3 :: v_dual_mul_f32 v2, 0x3fb8aa3b, v2
	v_add_co_u32 v3, vcc_lo, s13, v11
	v_add_co_ci_u32_e32 v4, vcc_lo, s20, v12, vcc_lo
	global_store_b64 v[3:4], v[1:2], off
	s_branch .LBB199_3
.LBB199_156:
	s_cbranch_execz .LBB199_158
	s_branch .LBB199_297
.LBB199_157:
.LBB199_158:
	v_dual_mov_b32 v2, 0 :: v_dual_lshlrev_b32 v1, 2, v0
	s_mov_b32 s7, 0
	s_mov_b32 s2, exec_lo
	s_delay_alu instid0(VALU_DEP_1)
	v_cmpx_gt_i64_e64 s[14:15], v[1:2]
	s_cbranch_execz .LBB199_297
; %bb.159:
	s_load_b32 s0, s[0:1], 0xd3c
	v_dual_mov_b32 v1, v2 :: v_dual_mov_b32 v12, 0x4016cbe4
	s_mov_b32 s8, 0x3e9b6dac
	s_mov_b32 s10, 0x3b2d2a58
	s_waitcnt lgkmcnt(0)
	s_and_b32 s9, s0, 0xffff
	s_branch .LBB199_162
.LBB199_160:                            ;   in Loop: Header=BB199_162 Depth=1
	s_or_b32 exec_lo, exec_lo, s1
	s_delay_alu instid0(VALU_DEP_1) | instskip(SKIP_1) | instid1(VALU_DEP_1)
	v_cmp_gt_f32_e32 vcc_lo, 0x800000, v2
	v_cndmask_b32_e64 v4, 1.0, 0x4f800000, vcc_lo
	v_mul_f32_e32 v2, v2, v4
	s_delay_alu instid0(VALU_DEP_1) | instskip(SKIP_2) | instid1(VALU_DEP_1)
	v_log_f32_e32 v2, v2
	s_waitcnt_depctr 0xfff
	v_mul_f32_e32 v4, 0x3f317217, v2
	v_fma_f32 v17, 0x3f317217, v2, -v4
	s_delay_alu instid0(VALU_DEP_1) | instskip(NEXT) | instid1(VALU_DEP_1)
	v_fmac_f32_e32 v17, 0x3377d1cf, v2
	v_add_f32_e32 v4, v4, v17
	v_cndmask_b32_e64 v17, 0, 0x41b17218, vcc_lo
	v_cmp_gt_f32_e64 vcc_lo, 0x7f800000, |v2|
	s_delay_alu instid0(VALU_DEP_3) | instskip(NEXT) | instid1(VALU_DEP_1)
	v_cndmask_b32_e32 v2, v2, v4, vcc_lo
	v_dual_sub_f32 v2, v2, v17 :: v_dual_mov_b32 v17, 0x7fc00000
.LBB199_161:                            ;   in Loop: Header=BB199_162 Depth=1
	s_or_b32 exec_lo, exec_lo, s0
	v_add_co_u32 v0, vcc_lo, v0, s9
	v_bfi_b32 v4, 0x7fffffff, v16, v3
	v_add_co_ci_u32_e32 v1, vcc_lo, 0, v1, vcc_lo
	v_bfi_b32 v9, 0x7fffffff, v15, v9
	v_bfi_b32 v14, 0x7fffffff, v14, v7
	s_delay_alu instid0(VALU_DEP_4)
	v_fma_f32 v3, 0, v4, v8
	v_fmac_f32_e32 v4, 0x80000000, v8
	v_lshlrev_b64 v[7:8], 2, v[0:1]
	v_bfi_b32 v17, 0x7fffffff, v17, v5
	v_fma_f32 v15, 0, v9, v6
	v_fmac_f32_e32 v9, 0x80000000, v6
	v_fma_f32 v5, 0, v14, v13
	v_fmac_f32_e32 v14, 0x80000000, v13
	v_cmp_le_i64_e32 vcc_lo, s[14:15], v[7:8]
	v_cmp_lt_u64_e64 s0, 0xffff, v[7:8]
	v_fma_f32 v6, 0, v17, v2
	v_fmac_f32_e32 v17, 0x80000000, v2
	v_dual_mul_f32 v15, 0x3fb8aa3b, v15 :: v_dual_mul_f32 v16, 0x3fb8aa3b, v9
	v_dual_mul_f32 v13, 0x3fb8aa3b, v5 :: v_dual_mul_f32 v14, 0x3fb8aa3b, v14
	s_or_b32 s0, vcc_lo, s0
	v_dual_mul_f32 v3, 0x3fb8aa3b, v3 :: v_dual_mul_f32 v4, 0x3fb8aa3b, v4
	v_dual_mul_f32 v5, 0x3fb8aa3b, v6 :: v_dual_mul_f32 v6, 0x3fb8aa3b, v17
	s_and_b32 s0, exec_lo, s0
	s_clause 0x1
	global_store_b128 v[10:11], v[13:16], off
	global_store_b128 v[10:11], v[3:6], off offset:16
	s_or_b32 s7, s0, s7
	s_delay_alu instid0(SALU_CYCLE_1)
	s_and_not1_b32 exec_lo, exec_lo, s7
	s_cbranch_execz .LBB199_297
.LBB199_162:                            ; =>This Loop Header: Depth=1
                                        ;     Child Loop BB199_173 Depth 2
                                        ;     Child Loop BB199_207 Depth 2
	;; [unrolled: 1-line block ×4, first 2 shown]
	v_lshlrev_b64 v[2:3], 5, v[0:1]
                                        ; implicit-def: $vgpr13
                                        ; implicit-def: $vgpr14
	s_mov_b32 s0, exec_lo
	s_delay_alu instid0(VALU_DEP_1) | instskip(NEXT) | instid1(VALU_DEP_2)
	v_add_co_u32 v10, vcc_lo, s13, v2
	v_add_co_ci_u32_e32 v11, vcc_lo, s20, v3, vcc_lo
	s_clause 0x1
	global_load_b128 v[6:9], v[10:11], off
	global_load_b128 v[2:5], v[10:11], off offset:16
	s_waitcnt vmcnt(1)
	v_cmpx_o_f32_e32 v7, v6
	s_xor_b32 s11, exec_lo, s0
	s_cbranch_execz .LBB199_190
; %bb.163:                              ;   in Loop: Header=BB199_162 Depth=1
	v_cmp_lt_f32_e64 s0, |v6|, |v7|
                                        ; implicit-def: $vgpr13
                                        ; implicit-def: $vgpr14
	s_mov_b32 s1, exec_lo
	s_delay_alu instid0(VALU_DEP_1) | instskip(NEXT) | instid1(VALU_DEP_1)
	v_cndmask_b32_e64 v15, |v7|, |v6|, s0
	v_cmpx_nlt_f32_e32 0x77f684df, v15
	s_xor_b32 s12, exec_lo, s1
	s_cbranch_execz .LBB199_187
; %bb.164:                              ;   in Loop: Header=BB199_162 Depth=1
	v_and_b32_e32 v13, 0x7fffffff, v7
                                        ; implicit-def: $vgpr14
	s_mov_b32 s1, exec_lo
	s_delay_alu instid0(VALU_DEP_1) | instskip(NEXT) | instid1(VALU_DEP_1)
	v_cndmask_b32_e64 v16, |v6|, v13, s0
                                        ; implicit-def: $vgpr13
	v_cmpx_neq_f32_e32 1.0, v16
	s_xor_b32 s16, exec_lo, s1
	s_cbranch_execz .LBB199_180
; %bb.165:                              ;   in Loop: Header=BB199_162 Depth=1
	v_dual_max_f32 v13, v15, v15 :: v_dual_max_f32 v14, v16, v16
	s_delay_alu instid0(VALU_DEP_1) | instskip(SKIP_1) | instid1(VALU_DEP_2)
	v_min_f32_e32 v17, v14, v13
	v_max_f32_e32 v13, v14, v13
                                        ; implicit-def: $vgpr14
	v_cmp_ngt_f32_e32 vcc_lo, 0x358637bd, v17
	s_delay_alu instid0(VALU_DEP_2) | instskip(NEXT) | instid1(VALU_DEP_1)
	v_cmp_nlt_f32_e64 s1, 0x49742400, v13
                                        ; implicit-def: $vgpr13
	s_and_b32 s1, s1, vcc_lo
	s_delay_alu instid0(SALU_CYCLE_1) | instskip(NEXT) | instid1(SALU_CYCLE_1)
	s_and_saveexec_b32 s2, s1
	s_xor_b32 s17, exec_lo, s2
	s_cbranch_execz .LBB199_177
; %bb.166:                              ;   in Loop: Header=BB199_162 Depth=1
                                        ; implicit-def: $vgpr13
                                        ; implicit-def: $vgpr14
	s_mov_b32 s1, exec_lo
	v_cmpx_le_f32_e32 1.0, v16
	s_xor_b32 s2, exec_lo, s1
	s_cbranch_execz .LBB199_168
; %bb.167:                              ;   in Loop: Header=BB199_162 Depth=1
	v_add_f32_e32 v13, -1.0, v16
	v_add_f32_e32 v14, 1.0, v16
	v_cmp_class_f32_e64 s3, v6, 0x204
	s_delay_alu instid0(VALU_DEP_2) | instskip(NEXT) | instid1(VALU_DEP_1)
	v_mul_f32_e32 v16, v13, v14
	v_fmac_f32_e32 v16, v15, v15
	s_delay_alu instid0(VALU_DEP_1) | instskip(SKIP_1) | instid1(VALU_DEP_2)
	v_add_f32_e32 v15, 1.0, v16
	v_cmp_neq_f32_e64 s1, -1.0, v16
	v_cvt_f64_f32_e32 v[13:14], v15
	s_delay_alu instid0(VALU_DEP_1) | instskip(SKIP_1) | instid1(VALU_DEP_1)
	v_frexp_exp_i32_f64_e32 v13, v[13:14]
	v_frexp_mant_f32_e32 v14, v15
	v_cmp_gt_f32_e32 vcc_lo, 0x3f2aaaab, v14
	v_add_f32_e32 v14, -1.0, v15
	s_delay_alu instid0(VALU_DEP_1) | instskip(SKIP_3) | instid1(VALU_DEP_2)
	v_sub_f32_e32 v18, v14, v15
	v_sub_f32_e32 v14, v16, v14
	v_subrev_co_ci_u32_e32 v13, vcc_lo, 0, v13, vcc_lo
	v_cmp_eq_f32_e32 vcc_lo, 0x7f800000, v16
	v_sub_nc_u32_e32 v17, 0, v13
	v_cvt_f32_i32_e32 v13, v13
	s_delay_alu instid0(VALU_DEP_2) | instskip(NEXT) | instid1(VALU_DEP_1)
	v_ldexp_f32 v15, v15, v17
	v_dual_add_f32 v19, 1.0, v15 :: v_dual_add_f32 v18, 1.0, v18
	s_delay_alu instid0(VALU_DEP_1) | instskip(NEXT) | instid1(VALU_DEP_2)
	v_add_f32_e32 v14, v14, v18
	v_add_f32_e32 v18, -1.0, v19
	s_delay_alu instid0(VALU_DEP_2) | instskip(NEXT) | instid1(VALU_DEP_2)
	v_ldexp_f32 v14, v14, v17
	v_dual_add_f32 v17, -1.0, v15 :: v_dual_sub_f32 v18, v15, v18
	s_delay_alu instid0(VALU_DEP_1) | instskip(NEXT) | instid1(VALU_DEP_1)
	v_add_f32_e32 v20, 1.0, v17
	v_dual_add_f32 v18, v14, v18 :: v_dual_sub_f32 v15, v15, v20
	s_delay_alu instid0(VALU_DEP_1) | instskip(NEXT) | instid1(VALU_DEP_2)
	v_add_f32_e32 v20, v19, v18
	v_add_f32_e32 v14, v14, v15
	s_delay_alu instid0(VALU_DEP_2) | instskip(SKIP_1) | instid1(VALU_DEP_1)
	v_rcp_f32_e32 v15, v20
	v_sub_f32_e32 v19, v20, v19
	v_dual_add_f32 v21, v17, v14 :: v_dual_sub_f32 v18, v18, v19
	s_delay_alu instid0(VALU_DEP_1) | instskip(SKIP_2) | instid1(VALU_DEP_1)
	v_sub_f32_e32 v17, v21, v17
	s_waitcnt_depctr 0xfff
	v_mul_f32_e32 v22, v21, v15
	v_mul_f32_e32 v23, v20, v22
	s_delay_alu instid0(VALU_DEP_1) | instskip(NEXT) | instid1(VALU_DEP_1)
	v_fma_f32 v19, v22, v20, -v23
	v_fmac_f32_e32 v19, v22, v18
	s_delay_alu instid0(VALU_DEP_1) | instskip(NEXT) | instid1(VALU_DEP_1)
	v_add_f32_e32 v24, v23, v19
	v_sub_f32_e32 v25, v21, v24
	s_delay_alu instid0(VALU_DEP_1) | instskip(NEXT) | instid1(VALU_DEP_1)
	v_sub_f32_e32 v21, v21, v25
	v_dual_sub_f32 v21, v21, v24 :: v_dual_sub_f32 v14, v14, v17
	v_sub_f32_e32 v17, v24, v23
	s_delay_alu instid0(VALU_DEP_1) | instskip(NEXT) | instid1(VALU_DEP_1)
	v_dual_sub_f32 v17, v17, v19 :: v_dual_add_f32 v14, v14, v21
	v_add_f32_e32 v14, v17, v14
	s_delay_alu instid0(VALU_DEP_1) | instskip(NEXT) | instid1(VALU_DEP_1)
	v_add_f32_e32 v17, v25, v14
	v_mul_f32_e32 v19, v15, v17
	s_delay_alu instid0(VALU_DEP_1) | instskip(NEXT) | instid1(VALU_DEP_1)
	v_dual_sub_f32 v24, v25, v17 :: v_dual_mul_f32 v21, v20, v19
	v_fma_f32 v20, v19, v20, -v21
	s_delay_alu instid0(VALU_DEP_1) | instskip(NEXT) | instid1(VALU_DEP_1)
	v_fmac_f32_e32 v20, v19, v18
	v_add_f32_e32 v18, v21, v20
	s_delay_alu instid0(VALU_DEP_1) | instskip(SKIP_1) | instid1(VALU_DEP_2)
	v_sub_f32_e32 v23, v17, v18
	v_sub_f32_e32 v21, v18, v21
	v_dual_sub_f32 v17, v17, v23 :: v_dual_add_f32 v14, v14, v24
	s_delay_alu instid0(VALU_DEP_1) | instskip(NEXT) | instid1(VALU_DEP_1)
	v_sub_f32_e32 v17, v17, v18
	v_add_f32_e32 v14, v14, v17
	s_delay_alu instid0(VALU_DEP_4) | instskip(SKIP_1) | instid1(VALU_DEP_2)
	v_dual_add_f32 v17, v22, v19 :: v_dual_sub_f32 v18, v21, v20
	v_max_f32_e64 v20, |v7|, |v7|
	v_add_f32_e32 v14, v18, v14
	s_delay_alu instid0(VALU_DEP_3) | instskip(NEXT) | instid1(VALU_DEP_2)
	v_sub_f32_e32 v18, v17, v22
	v_dual_add_f32 v14, v23, v14 :: v_dual_mul_f32 v23, 0x3f317218, v13
	s_delay_alu instid0(VALU_DEP_2) | instskip(NEXT) | instid1(VALU_DEP_2)
	v_sub_f32_e32 v18, v19, v18
	v_mul_f32_e32 v14, v15, v14
	s_delay_alu instid0(VALU_DEP_3) | instskip(NEXT) | instid1(VALU_DEP_1)
	v_fma_f32 v24, 0x3f317218, v13, -v23
	v_fmac_f32_e32 v24, 0xb102e308, v13
	s_delay_alu instid0(VALU_DEP_3) | instskip(NEXT) | instid1(VALU_DEP_1)
	v_add_f32_e32 v14, v18, v14
	v_add_f32_e32 v15, v17, v14
	s_delay_alu instid0(VALU_DEP_1) | instskip(NEXT) | instid1(VALU_DEP_1)
	v_mul_f32_e32 v18, v15, v15
	v_fmaak_f32 v19, s8, v18, 0x3ecc95a3
	s_delay_alu instid0(VALU_DEP_1) | instskip(SKIP_2) | instid1(VALU_DEP_3)
	v_dual_mul_f32 v21, v15, v18 :: v_dual_fmaak_f32 v18, v18, v19, 0x3f2aaada
	v_max_f32_e64 v19, |v6|, |v6|
	v_ldexp_f32 v22, v15, 1
	v_dual_sub_f32 v15, v15, v17 :: v_dual_mul_f32 v18, v21, v18
	s_delay_alu instid0(VALU_DEP_3) | instskip(NEXT) | instid1(VALU_DEP_2)
	v_max_f32_e32 v21, v19, v20
	v_dual_min_f32 v19, v19, v20 :: v_dual_sub_f32 v14, v14, v15
	s_delay_alu instid0(VALU_DEP_3) | instskip(NEXT) | instid1(VALU_DEP_3)
	v_add_f32_e32 v17, v22, v18
	v_frexp_mant_f32_e32 v20, v21
	v_frexp_exp_i32_f32_e32 v21, v21
	s_delay_alu instid0(VALU_DEP_4) | instskip(NEXT) | instid1(VALU_DEP_4)
	v_ldexp_f32 v14, v14, 1
	v_sub_f32_e32 v15, v17, v22
	s_delay_alu instid0(VALU_DEP_4) | instskip(SKIP_1) | instid1(VALU_DEP_2)
	v_rcp_f32_e32 v20, v20
	v_frexp_exp_i32_f32_e32 v22, v19
	v_sub_f32_e32 v15, v18, v15
	v_frexp_mant_f32_e32 v18, v19
	s_delay_alu instid0(VALU_DEP_3) | instskip(NEXT) | instid1(VALU_DEP_3)
	v_sub_nc_u32_e32 v19, v22, v21
	v_add_f32_e32 v13, v14, v15
	s_waitcnt_depctr 0xfff
	v_mul_f32_e32 v14, v18, v20
	v_add_f32_e32 v15, v23, v24
	s_delay_alu instid0(VALU_DEP_2) | instskip(NEXT) | instid1(VALU_DEP_1)
	v_ldexp_f32 v14, v14, v19
	v_dual_sub_f32 v23, v15, v23 :: v_dual_mul_f32 v20, v14, v14
	s_delay_alu instid0(VALU_DEP_1) | instskip(SKIP_1) | instid1(VALU_DEP_1)
	v_dual_sub_f32 v23, v24, v23 :: v_dual_fmaak_f32 v22, s10, v20, 0xbc7a590c
	v_add_f32_e32 v18, v17, v13
	v_add_f32_e32 v19, v15, v18
	v_sub_f32_e32 v17, v18, v17
	s_delay_alu instid0(VALU_DEP_2) | instskip(NEXT) | instid1(VALU_DEP_2)
	v_sub_f32_e32 v21, v19, v15
	v_dual_sub_f32 v13, v13, v17 :: v_dual_fmaak_f32 v22, v20, v22, 0x3d29fb3f
	s_delay_alu instid0(VALU_DEP_2) | instskip(NEXT) | instid1(VALU_DEP_2)
	v_sub_f32_e32 v25, v19, v21
	v_dual_sub_f32 v17, v18, v21 :: v_dual_fmaak_f32 v18, v20, v22, 0xbd97d4d7
	s_delay_alu instid0(VALU_DEP_3) | instskip(NEXT) | instid1(VALU_DEP_3)
	v_add_f32_e32 v21, v23, v13
	v_sub_f32_e32 v15, v15, v25
	s_delay_alu instid0(VALU_DEP_1) | instskip(NEXT) | instid1(VALU_DEP_1)
	v_add_f32_e32 v15, v17, v15
	v_add_f32_e32 v15, v21, v15
	v_dual_fmaak_f32 v17, v20, v18, 0x3dd931b2 :: v_dual_sub_f32 v18, v21, v23
	s_delay_alu instid0(VALU_DEP_1) | instskip(NEXT) | instid1(VALU_DEP_2)
	v_dual_add_f32 v22, v19, v15 :: v_dual_fmaak_f32 v17, v20, v17, 0xbe1160e6
	v_sub_f32_e32 v21, v21, v18
	v_sub_f32_e32 v13, v13, v18
	s_delay_alu instid0(VALU_DEP_3) | instskip(NEXT) | instid1(VALU_DEP_4)
	v_sub_f32_e32 v19, v22, v19
	v_fmaak_f32 v17, v20, v17, 0x3e4cb8bf
	s_delay_alu instid0(VALU_DEP_4) | instskip(NEXT) | instid1(VALU_DEP_2)
	v_sub_f32_e32 v18, v23, v21
	v_fmaak_f32 v17, v20, v17, 0xbeaaaa62
	s_delay_alu instid0(VALU_DEP_2) | instskip(NEXT) | instid1(VALU_DEP_2)
	v_add_f32_e32 v13, v13, v18
	v_mul_f32_e32 v17, v20, v17
	s_delay_alu instid0(VALU_DEP_1) | instskip(NEXT) | instid1(VALU_DEP_1)
	v_dual_fmac_f32 v14, v14, v17 :: v_dual_sub_f32 v15, v15, v19
	v_add_f32_e32 v13, v13, v15
	s_delay_alu instid0(VALU_DEP_2) | instskip(NEXT) | instid1(VALU_DEP_2)
	v_sub_f32_e32 v15, 0x3fc90fdb, v14
	v_add_f32_e32 v13, v22, v13
	s_delay_alu instid0(VALU_DEP_2) | instskip(NEXT) | instid1(VALU_DEP_2)
	v_cndmask_b32_e64 v14, v14, v15, s0
	v_cndmask_b32_e32 v13, v13, v16, vcc_lo
	v_cmp_gt_i32_e32 vcc_lo, 0, v6
	s_delay_alu instid0(VALU_DEP_3) | instskip(SKIP_4) | instid1(VALU_DEP_2)
	v_sub_f32_e32 v17, 0x40490fdb, v14
	v_cndmask_b32_e64 v15, 0, 0x40490fdb, vcc_lo
	v_cmp_ngt_f32_e32 vcc_lo, -1.0, v16
	v_cndmask_b32_e32 v13, 0x7fc00000, v13, vcc_lo
	v_cmp_gt_f32_e32 vcc_lo, 0, v6
	v_cndmask_b32_e64 v13, 0xff800000, v13, s1
	v_cndmask_b32_e32 v14, v14, v17, vcc_lo
	v_cndmask_b32_e32 v17, 0x3f490fdb, v12, vcc_lo
	v_cmp_gt_f32_e64 vcc_lo, 0x33800000, |v16|
	v_cmp_class_f32_e64 s1, v7, 0x204
	v_cndmask_b32_e32 v13, v13, v16, vcc_lo
	v_cmp_eq_f32_e32 vcc_lo, 0, v7
                                        ; implicit-def: $vgpr16
	s_delay_alu instid0(VALU_DEP_2) | instskip(NEXT) | instid1(VALU_DEP_4)
	v_dual_mul_f32 v13, 0.5, v13 :: v_dual_cndmask_b32 v14, v14, v15
	s_and_b32 vcc_lo, s3, s1
                                        ; implicit-def: $vgpr15
	s_delay_alu instid0(VALU_DEP_1)
	v_cndmask_b32_e32 v14, v14, v17, vcc_lo
.LBB199_168:                            ;   in Loop: Header=BB199_162 Depth=1
	s_and_not1_saveexec_b32 s18, s2
	s_cbranch_execz .LBB199_176
; %bb.169:                              ;   in Loop: Header=BB199_162 Depth=1
	v_mul_f32_e32 v17, v15, v15
                                        ; implicit-def: $vgpr13
                                        ; implicit-def: $vgpr14
	s_mov_b32 s1, exec_lo
	s_delay_alu instid0(VALU_DEP_1) | instskip(NEXT) | instid1(VALU_DEP_1)
	v_fmac_f32_e32 v17, v16, v16
	v_cmpx_ge_f32_e32 0x3f333333, v17
	s_xor_b32 s2, exec_lo, s1
	s_cbranch_execz .LBB199_171
; %bb.170:                              ;   in Loop: Header=BB199_162 Depth=1
	v_max_f32_e64 v13, |v7|, |v7|
	v_max_f32_e64 v14, |v6|, |v6|
	v_cmp_gt_f32_e32 vcc_lo, 0x800000, v17
	v_cmp_gt_i32_e64 s1, 0, v6
	v_cmp_class_f32_e64 s3, v6, 0x204
	v_cmp_class_f32_e64 s4, v7, 0x204
	v_max_f32_e32 v15, v14, v13
	v_min_f32_e32 v13, v14, v13
	v_cndmask_b32_e64 v18, 0, 0x41b17218, vcc_lo
	s_delay_alu instid0(VALU_DEP_3) | instskip(SKIP_1) | instid1(VALU_DEP_2)
	v_frexp_mant_f32_e32 v16, v15
	v_frexp_exp_i32_f32_e32 v15, v15
	v_rcp_f32_e32 v14, v16
	v_frexp_exp_i32_f32_e32 v16, v13
	v_frexp_mant_f32_e32 v13, v13
	s_delay_alu instid0(VALU_DEP_2) | instskip(SKIP_4) | instid1(VALU_DEP_2)
	v_sub_nc_u32_e32 v15, v16, v15
	v_cndmask_b32_e64 v16, 1.0, 0x4f800000, vcc_lo
	s_waitcnt_depctr 0xfff
	v_mul_f32_e32 v13, v13, v14
	v_mul_f32_e32 v16, v17, v16
	v_ldexp_f32 v13, v13, v15
	s_delay_alu instid0(VALU_DEP_2) | instskip(NEXT) | instid1(VALU_DEP_1)
	v_log_f32_e32 v16, v16
	v_mul_f32_e32 v14, v13, v13
	s_delay_alu instid0(VALU_DEP_1) | instskip(SKIP_3) | instid1(VALU_DEP_1)
	v_fmaak_f32 v15, s10, v14, 0xbc7a590c
	s_waitcnt_depctr 0xfff
	v_cmp_gt_f32_e64 vcc_lo, 0x7f800000, |v16|
	v_fmaak_f32 v15, v14, v15, 0x3d29fb3f
	v_fmaak_f32 v15, v14, v15, 0xbd97d4d7
	s_delay_alu instid0(VALU_DEP_1) | instskip(NEXT) | instid1(VALU_DEP_1)
	v_fmaak_f32 v15, v14, v15, 0x3dd931b2
	v_fmaak_f32 v15, v14, v15, 0xbe1160e6
	s_delay_alu instid0(VALU_DEP_1) | instskip(NEXT) | instid1(VALU_DEP_1)
	;; [unrolled: 3-line block ×3, first 2 shown]
	v_dual_mul_f32 v14, v14, v15 :: v_dual_mul_f32 v15, 0x3f317217, v16
	v_fmac_f32_e32 v13, v13, v14
	s_delay_alu instid0(VALU_DEP_2) | instskip(NEXT) | instid1(VALU_DEP_1)
	v_fma_f32 v14, 0x3f317217, v16, -v15
	v_fmac_f32_e32 v14, 0x3377d1cf, v16
	s_delay_alu instid0(VALU_DEP_1) | instskip(SKIP_2) | instid1(VALU_DEP_3)
	v_add_f32_e32 v14, v15, v14
	v_cndmask_b32_e64 v15, 0, 0x40490fdb, s1
	v_cmp_eq_f32_e64 s1, 0, v7
	v_cndmask_b32_e32 v14, v16, v14, vcc_lo
	v_cmp_gt_f32_e32 vcc_lo, 0, v6
	s_delay_alu instid0(VALU_DEP_2) | instskip(SKIP_2) | instid1(VALU_DEP_1)
	v_sub_f32_e32 v14, v14, v18
	v_cndmask_b32_e32 v16, 0x3f490fdb, v12, vcc_lo
	v_sub_f32_e32 v17, 0x3fc90fdb, v13
	v_cndmask_b32_e64 v13, v13, v17, s0
	s_delay_alu instid0(VALU_DEP_1) | instskip(NEXT) | instid1(VALU_DEP_1)
	v_sub_f32_e32 v17, 0x40490fdb, v13
	v_cndmask_b32_e32 v13, v13, v17, vcc_lo
	s_and_b32 vcc_lo, s3, s4
	s_delay_alu instid0(VALU_DEP_1) | instskip(NEXT) | instid1(VALU_DEP_1)
	v_cndmask_b32_e64 v15, v13, v15, s1
	v_dual_mul_f32 v13, 0.5, v14 :: v_dual_cndmask_b32 v14, v15, v16
                                        ; implicit-def: $vgpr16
                                        ; implicit-def: $vgpr15
.LBB199_171:                            ;   in Loop: Header=BB199_162 Depth=1
	s_and_not1_saveexec_b32 s19, s2
	s_cbranch_execz .LBB199_175
; %bb.172:                              ;   in Loop: Header=BB199_162 Depth=1
	v_and_b32_e32 v17, 0x7fff0000, v15
	v_and_b32_e32 v14, 0x7fff0000, v16
	s_mov_b32 s21, 0
	s_delay_alu instid0(VALU_DEP_2) | instskip(SKIP_1) | instid1(VALU_DEP_3)
	v_sub_f32_e32 v18, v15, v17
	v_mul_f32_e32 v15, v17, v17
	v_mul_f32_e32 v13, v14, v14
	v_sub_f32_e32 v16, v16, v14
	s_delay_alu instid0(VALU_DEP_1) | instskip(NEXT) | instid1(VALU_DEP_1)
	v_dual_add_f32 v24, v17, v17 :: v_dual_and_b32 v19, 0xffff0000, v16
	v_dual_sub_f32 v17, v16, v19 :: v_dual_and_b32 v20, 0xffff0000, v18
	s_delay_alu instid0(VALU_DEP_1) | instskip(SKIP_2) | instid1(VALU_DEP_3)
	v_dual_add_f32 v21, v14, v14 :: v_dual_mul_f32 v14, v24, v20
	v_dual_sub_f32 v25, v18, v20 :: v_dual_mul_f32 v16, v19, v19
	v_add_f32_e32 v18, v19, v19
	v_dual_mul_f32 v23, v21, v19 :: v_dual_add_f32 v26, v20, v20
	v_dual_mul_f32 v22, v20, v20 :: v_dual_mul_f32 v19, v21, v17
	s_delay_alu instid0(VALU_DEP_4) | instskip(NEXT) | instid1(VALU_DEP_4)
	v_mul_f32_e32 v21, v24, v25
	v_mul_f32_e32 v20, v18, v17
	;; [unrolled: 1-line block ×5, first 2 shown]
.LBB199_173:                            ;   Parent Loop BB199_162 Depth=1
                                        ; =>  This Inner Loop Header: Depth=2
	v_cmp_nlt_f32_e32 vcc_lo, v13, v15
	s_delay_alu instid0(VALU_DEP_2) | instskip(SKIP_1) | instid1(VALU_DEP_2)
	v_dual_mov_b32 v26, v24 :: v_dual_cndmask_b32 v25, v13, v15
	v_cndmask_b32_e32 v13, v15, v13, vcc_lo
	v_cmp_nlt_f32_e64 s1, v25, v23
	s_delay_alu instid0(VALU_DEP_1) | instskip(SKIP_2) | instid1(VALU_DEP_2)
	v_cndmask_b32_e64 v24, v25, v23, s1
	v_cndmask_b32_e64 v15, v23, v25, s1
	s_and_b32 s22, vcc_lo, s1
	v_cmp_nlt_f32_e64 s2, v24, v14
	s_delay_alu instid0(VALU_DEP_1) | instskip(SKIP_1) | instid1(VALU_DEP_2)
	v_cndmask_b32_e64 v27, v24, v14, s2
	v_cndmask_b32_e64 v23, v14, v24, s2
	v_cmp_nlt_f32_e64 s3, v27, v16
	s_delay_alu instid0(VALU_DEP_1) | instskip(SKIP_2) | instid1(VALU_DEP_2)
	v_cndmask_b32_e64 v25, v27, v16, s3
	v_cndmask_b32_e64 v14, v16, v27, s3
	s_and_b32 s23, s2, s3
	v_cmp_nlt_f32_e64 s4, v25, v22
	s_delay_alu instid0(VALU_DEP_1) | instskip(SKIP_1) | instid1(VALU_DEP_2)
	v_cndmask_b32_e64 v28, v25, v22, s4
	v_cndmask_b32_e64 v16, v22, v25, s4
	v_cmp_nlt_f32_e64 s5, v28, v19
	s_delay_alu instid0(VALU_DEP_1) | instskip(SKIP_2) | instid1(VALU_DEP_2)
	v_cndmask_b32_e64 v29, v28, v19, s5
	s_and_b32 s3, s4, s5
	v_cndmask_b32_e64 v22, v19, v28, s5
	v_cmp_nlt_f32_e64 s6, v29, v21
	s_delay_alu instid0(VALU_DEP_1) | instskip(SKIP_2) | instid1(VALU_DEP_2)
	v_cndmask_b32_e64 v30, v29, v21, s6
	s_and_b32 s3, s3, s6
	v_cndmask_b32_e64 v19, v21, v29, s6
	v_cmp_nlt_f32_e32 vcc_lo, v30, v20
	v_cndmask_b32_e32 v31, v30, v20, vcc_lo
	s_and_b32 s4, s3, vcc_lo
	v_cndmask_b32_e32 v21, v20, v30, vcc_lo
	s_delay_alu instid0(VALU_DEP_2) | instskip(NEXT) | instid1(VALU_DEP_1)
	v_cmp_nlt_f32_e64 s1, v31, v18
	v_cndmask_b32_e64 v27, v31, v18, s1
	s_and_b32 s4, s4, s1
	v_cndmask_b32_e64 v20, v18, v31, s1
	s_delay_alu instid0(VALU_DEP_2) | instskip(NEXT) | instid1(VALU_DEP_1)
	v_cmp_nlt_f32_e64 s2, v27, v17
	v_cndmask_b32_e64 v25, v27, v17, s2
	s_and_b32 s4, s4, s2
	v_cndmask_b32_e64 v18, v17, v27, s2
	s_delay_alu instid0(VALU_DEP_2) | instskip(NEXT) | instid1(VALU_DEP_1)
	v_cmp_nlt_f32_e64 s3, v25, v26
	s_and_b32 s4, s4, s3
	v_cndmask_b32_e64 v24, v25, v26, s3
	s_and_b32 s1, s4, s23
	v_cndmask_b32_e64 v17, v26, v25, s3
	s_and_b32 s1, s1, s22
	s_delay_alu instid0(SALU_CYCLE_1) | instskip(NEXT) | instid1(SALU_CYCLE_1)
	s_and_b32 s1, exec_lo, s1
	s_or_b32 s21, s1, s21
	s_delay_alu instid0(SALU_CYCLE_1)
	s_and_not1_b32 exec_lo, exec_lo, s21
	s_cbranch_execnz .LBB199_173
; %bb.174:                              ;   in Loop: Header=BB199_162 Depth=1
	s_or_b32 exec_lo, exec_lo, s21
	v_add_f32_e32 v13, -1.0, v13
	v_cmp_class_f32_e64 s2, v6, 0x204
	s_delay_alu instid0(VALU_DEP_2) | instskip(NEXT) | instid1(VALU_DEP_1)
	v_add_f32_e32 v13, v13, v15
	v_add_f32_e32 v13, v13, v23
	s_delay_alu instid0(VALU_DEP_1) | instskip(NEXT) | instid1(VALU_DEP_1)
	v_add_f32_e32 v13, v13, v14
	v_add_f32_e32 v13, v13, v16
	s_delay_alu instid0(VALU_DEP_1) | instskip(NEXT) | instid1(VALU_DEP_1)
	;; [unrolled: 3-line block ×5, first 2 shown]
	v_add_f32_e32 v15, v24, v13
	v_add_f32_e32 v16, 1.0, v15
	s_delay_alu instid0(VALU_DEP_1) | instskip(NEXT) | instid1(VALU_DEP_1)
	v_cvt_f64_f32_e32 v[13:14], v16
	v_frexp_exp_i32_f64_e32 v13, v[13:14]
	v_frexp_mant_f32_e32 v14, v16
	s_delay_alu instid0(VALU_DEP_1) | instskip(SKIP_1) | instid1(VALU_DEP_1)
	v_cmp_gt_f32_e32 vcc_lo, 0x3f2aaaab, v14
	v_add_f32_e32 v14, -1.0, v16
	v_sub_f32_e32 v18, v14, v16
	v_sub_f32_e32 v14, v15, v14
	s_delay_alu instid0(VALU_DEP_2) | instskip(NEXT) | instid1(VALU_DEP_1)
	v_add_f32_e32 v18, 1.0, v18
	v_add_f32_e32 v14, v14, v18
	v_subrev_co_ci_u32_e32 v13, vcc_lo, 0, v13, vcc_lo
	s_delay_alu instid0(VALU_DEP_1) | instskip(SKIP_1) | instid1(VALU_DEP_2)
	v_sub_nc_u32_e32 v17, 0, v13
	v_cvt_f32_i32_e32 v13, v13
	v_ldexp_f32 v16, v16, v17
	v_ldexp_f32 v14, v14, v17
	s_delay_alu instid0(VALU_DEP_2) | instskip(NEXT) | instid1(VALU_DEP_1)
	v_add_f32_e32 v19, 1.0, v16
	v_add_f32_e32 v18, -1.0, v19
	s_delay_alu instid0(VALU_DEP_1) | instskip(NEXT) | instid1(VALU_DEP_1)
	v_sub_f32_e32 v18, v16, v18
	v_dual_add_f32 v18, v14, v18 :: v_dual_add_f32 v17, -1.0, v16
	s_delay_alu instid0(VALU_DEP_1) | instskip(NEXT) | instid1(VALU_DEP_1)
	v_add_f32_e32 v20, 1.0, v17
	v_sub_f32_e32 v16, v16, v20
	s_delay_alu instid0(VALU_DEP_1) | instskip(NEXT) | instid1(VALU_DEP_1)
	v_add_f32_e32 v14, v14, v16
	v_add_f32_e32 v21, v17, v14
	s_delay_alu instid0(VALU_DEP_1) | instskip(NEXT) | instid1(VALU_DEP_1)
	v_sub_f32_e32 v17, v21, v17
	v_sub_f32_e32 v14, v14, v17
	v_add_f32_e32 v20, v19, v18
	v_cmp_eq_f32_e32 vcc_lo, 0x7f800000, v15
	v_cmp_neq_f32_e64 s1, -1.0, v15
	s_delay_alu instid0(VALU_DEP_3) | instskip(SKIP_1) | instid1(VALU_DEP_1)
	v_rcp_f32_e32 v16, v20
	v_sub_f32_e32 v19, v20, v19
	v_sub_f32_e32 v18, v18, v19
	s_waitcnt_depctr 0xfff
	v_mul_f32_e32 v22, v21, v16
	s_delay_alu instid0(VALU_DEP_1) | instskip(NEXT) | instid1(VALU_DEP_1)
	v_mul_f32_e32 v23, v20, v22
	v_fma_f32 v19, v22, v20, -v23
	s_delay_alu instid0(VALU_DEP_1) | instskip(NEXT) | instid1(VALU_DEP_1)
	v_fmac_f32_e32 v19, v22, v18
	v_add_f32_e32 v24, v23, v19
	s_delay_alu instid0(VALU_DEP_1) | instskip(NEXT) | instid1(VALU_DEP_1)
	v_sub_f32_e32 v25, v21, v24
	v_sub_f32_e32 v21, v21, v25
	s_delay_alu instid0(VALU_DEP_1) | instskip(NEXT) | instid1(VALU_DEP_1)
	v_sub_f32_e32 v21, v21, v24
	v_dual_add_f32 v14, v14, v21 :: v_dual_sub_f32 v17, v24, v23
	s_delay_alu instid0(VALU_DEP_1) | instskip(NEXT) | instid1(VALU_DEP_1)
	v_sub_f32_e32 v17, v17, v19
	v_add_f32_e32 v14, v17, v14
	s_delay_alu instid0(VALU_DEP_1) | instskip(NEXT) | instid1(VALU_DEP_1)
	v_add_f32_e32 v17, v25, v14
	v_mul_f32_e32 v19, v16, v17
	s_delay_alu instid0(VALU_DEP_1) | instskip(NEXT) | instid1(VALU_DEP_1)
	v_mul_f32_e32 v21, v20, v19
	v_fma_f32 v20, v19, v20, -v21
	s_delay_alu instid0(VALU_DEP_1) | instskip(SKIP_1) | instid1(VALU_DEP_2)
	v_fmac_f32_e32 v20, v19, v18
	v_sub_f32_e32 v24, v25, v17
	v_add_f32_e32 v18, v21, v20
	s_delay_alu instid0(VALU_DEP_1) | instskip(NEXT) | instid1(VALU_DEP_1)
	v_dual_add_f32 v14, v14, v24 :: v_dual_sub_f32 v23, v17, v18
	v_sub_f32_e32 v17, v17, v23
	s_delay_alu instid0(VALU_DEP_1) | instskip(NEXT) | instid1(VALU_DEP_1)
	v_sub_f32_e32 v17, v17, v18
	v_add_f32_e32 v14, v14, v17
	v_add_f32_e32 v17, v22, v19
	v_sub_f32_e32 v21, v18, v21
	s_delay_alu instid0(VALU_DEP_1) | instskip(SKIP_1) | instid1(VALU_DEP_2)
	v_sub_f32_e32 v18, v21, v20
	v_max_f32_e64 v20, |v7|, |v7|
	v_add_f32_e32 v14, v18, v14
	s_delay_alu instid0(VALU_DEP_1) | instskip(NEXT) | instid1(VALU_DEP_1)
	v_dual_add_f32 v14, v23, v14 :: v_dual_mul_f32 v23, 0x3f317218, v13
	v_mul_f32_e32 v14, v16, v14
	v_sub_f32_e32 v18, v17, v22
	s_delay_alu instid0(VALU_DEP_3) | instskip(NEXT) | instid1(VALU_DEP_2)
	v_fma_f32 v24, 0x3f317218, v13, -v23
	v_sub_f32_e32 v18, v19, v18
	s_delay_alu instid0(VALU_DEP_2) | instskip(NEXT) | instid1(VALU_DEP_2)
	v_fmac_f32_e32 v24, 0xb102e308, v13
	v_add_f32_e32 v14, v18, v14
	s_delay_alu instid0(VALU_DEP_1) | instskip(NEXT) | instid1(VALU_DEP_1)
	v_add_f32_e32 v16, v17, v14
	v_mul_f32_e32 v18, v16, v16
	s_delay_alu instid0(VALU_DEP_1) | instskip(NEXT) | instid1(VALU_DEP_1)
	v_fmaak_f32 v19, s8, v18, 0x3ecc95a3
	v_dual_mul_f32 v21, v16, v18 :: v_dual_fmaak_f32 v18, v18, v19, 0x3f2aaada
	v_max_f32_e64 v19, |v6|, |v6|
	s_delay_alu instid0(VALU_DEP_1) | instskip(SKIP_3) | instid1(VALU_DEP_4)
	v_dual_mul_f32 v18, v21, v18 :: v_dual_max_f32 v21, v19, v20
	v_min_f32_e32 v19, v19, v20
	v_ldexp_f32 v22, v16, 1
	v_sub_f32_e32 v16, v16, v17
	v_frexp_mant_f32_e32 v20, v21
	v_frexp_exp_i32_f32_e32 v21, v21
	s_delay_alu instid0(VALU_DEP_4) | instskip(NEXT) | instid1(VALU_DEP_4)
	v_add_f32_e32 v17, v22, v18
	v_sub_f32_e32 v14, v14, v16
	s_delay_alu instid0(VALU_DEP_4) | instskip(NEXT) | instid1(VALU_DEP_2)
	v_rcp_f32_e32 v20, v20
	v_sub_f32_e32 v16, v17, v22
	s_delay_alu instid0(VALU_DEP_2) | instskip(SKIP_1) | instid1(VALU_DEP_3)
	v_ldexp_f32 v14, v14, 1
	v_frexp_exp_i32_f32_e32 v22, v19
	v_sub_f32_e32 v16, v18, v16
	v_frexp_mant_f32_e32 v18, v19
	s_delay_alu instid0(VALU_DEP_3) | instskip(NEXT) | instid1(VALU_DEP_3)
	v_sub_nc_u32_e32 v19, v22, v21
	v_add_f32_e32 v13, v14, v16
	v_add_f32_e32 v16, v23, v24
	s_delay_alu instid0(VALU_DEP_1) | instskip(NEXT) | instid1(VALU_DEP_1)
	v_sub_f32_e32 v23, v16, v23
	v_dual_sub_f32 v23, v24, v23 :: v_dual_mul_f32 v14, v18, v20
	s_delay_alu instid0(VALU_DEP_4) | instskip(NEXT) | instid1(VALU_DEP_2)
	v_add_f32_e32 v18, v17, v13
	v_ldexp_f32 v14, v14, v19
	s_delay_alu instid0(VALU_DEP_2) | instskip(NEXT) | instid1(VALU_DEP_1)
	v_add_f32_e32 v19, v16, v18
	v_dual_sub_f32 v21, v19, v16 :: v_dual_mul_f32 v20, v14, v14
	v_sub_f32_e32 v17, v18, v17
	s_delay_alu instid0(VALU_DEP_2) | instskip(NEXT) | instid1(VALU_DEP_2)
	v_dual_sub_f32 v25, v19, v21 :: v_dual_fmaak_f32 v22, s10, v20, 0xbc7a590c
	v_sub_f32_e32 v13, v13, v17
	s_delay_alu instid0(VALU_DEP_2) | instskip(NEXT) | instid1(VALU_DEP_2)
	v_dual_sub_f32 v17, v18, v21 :: v_dual_fmaak_f32 v22, v20, v22, 0x3d29fb3f
	v_add_f32_e32 v21, v23, v13
	s_delay_alu instid0(VALU_DEP_4) | instskip(NEXT) | instid1(VALU_DEP_3)
	v_sub_f32_e32 v16, v16, v25
	v_fmaak_f32 v18, v20, v22, 0xbd97d4d7
	s_delay_alu instid0(VALU_DEP_1) | instskip(NEXT) | instid1(VALU_DEP_4)
	v_dual_add_f32 v16, v17, v16 :: v_dual_fmaak_f32 v17, v20, v18, 0x3dd931b2
	v_sub_f32_e32 v18, v21, v23
	s_delay_alu instid0(VALU_DEP_2) | instskip(NEXT) | instid1(VALU_DEP_1)
	v_dual_add_f32 v16, v21, v16 :: v_dual_fmaak_f32 v17, v20, v17, 0xbe1160e6
	v_dual_sub_f32 v21, v21, v18 :: v_dual_add_f32 v22, v19, v16
	v_sub_f32_e32 v13, v13, v18
	s_delay_alu instid0(VALU_DEP_3) | instskip(NEXT) | instid1(VALU_DEP_3)
	v_fmaak_f32 v17, v20, v17, 0x3e4cb8bf
	v_sub_f32_e32 v18, v23, v21
	s_delay_alu instid0(VALU_DEP_2) | instskip(NEXT) | instid1(VALU_DEP_1)
	v_fmaak_f32 v17, v20, v17, 0xbeaaaa62
	v_mul_f32_e32 v17, v20, v17
	s_delay_alu instid0(VALU_DEP_1) | instskip(SKIP_1) | instid1(VALU_DEP_1)
	v_fmac_f32_e32 v14, v14, v17
	v_sub_f32_e32 v19, v22, v19
	v_dual_add_f32 v13, v13, v18 :: v_dual_sub_f32 v16, v16, v19
	s_delay_alu instid0(VALU_DEP_1) | instskip(NEXT) | instid1(VALU_DEP_1)
	v_add_f32_e32 v13, v13, v16
	v_add_f32_e32 v13, v22, v13
	s_delay_alu instid0(VALU_DEP_1) | instskip(SKIP_1) | instid1(VALU_DEP_2)
	v_dual_cndmask_b32 v13, v13, v15 :: v_dual_sub_f32 v16, 0x3fc90fdb, v14
	v_cmp_gt_i32_e32 vcc_lo, 0, v6
	v_cndmask_b32_e64 v14, v14, v16, s0
	v_cndmask_b32_e64 v16, 0, 0x40490fdb, vcc_lo
	v_cmp_ngt_f32_e32 vcc_lo, -1.0, v15
	s_delay_alu instid0(VALU_DEP_3) | instskip(SKIP_2) | instid1(VALU_DEP_2)
	v_sub_f32_e32 v17, 0x40490fdb, v14
	v_cndmask_b32_e32 v13, 0x7fc00000, v13, vcc_lo
	v_cmp_gt_f32_e32 vcc_lo, 0, v6
	v_cndmask_b32_e64 v13, 0xff800000, v13, s1
	s_delay_alu instid0(VALU_DEP_4)
	v_cndmask_b32_e32 v14, v14, v17, vcc_lo
	v_cndmask_b32_e32 v17, 0x3f490fdb, v12, vcc_lo
	v_cmp_gt_f32_e64 vcc_lo, 0x33800000, |v15|
	v_cmp_class_f32_e64 s1, v7, 0x204
	v_cndmask_b32_e32 v13, v13, v15, vcc_lo
	v_cmp_eq_f32_e32 vcc_lo, 0, v7
	v_cndmask_b32_e32 v14, v14, v16, vcc_lo
	s_delay_alu instid0(VALU_DEP_4) | instskip(NEXT) | instid1(VALU_DEP_1)
	s_and_b32 vcc_lo, s2, s1
	v_cndmask_b32_e32 v14, v14, v17, vcc_lo
	v_mul_f32_e32 v13, 0.5, v13
.LBB199_175:                            ;   in Loop: Header=BB199_162 Depth=1
	s_or_b32 exec_lo, exec_lo, s19
.LBB199_176:                            ;   in Loop: Header=BB199_162 Depth=1
	s_delay_alu instid0(SALU_CYCLE_1)
	s_or_b32 exec_lo, exec_lo, s18
.LBB199_177:                            ;   in Loop: Header=BB199_162 Depth=1
	s_and_not1_saveexec_b32 s2, s17
	s_cbranch_execz .LBB199_179
; %bb.178:                              ;   in Loop: Header=BB199_162 Depth=1
	v_max_f32_e64 v15, |v7|, |v7|
	v_max_f32_e64 v16, |v6|, |v6|
	v_cmp_gt_i32_e64 s1, 0, v6
	v_cmp_class_f32_e64 s3, v6, 0x204
	v_cmp_class_f32_e64 s4, v7, 0x204
	s_delay_alu instid0(VALU_DEP_4) | instskip(SKIP_1) | instid1(VALU_DEP_2)
	v_max_f32_e32 v17, v16, v15
	v_min_f32_e32 v15, v16, v15
	v_cvt_f64_f32_e32 v[13:14], v17
	s_delay_alu instid0(VALU_DEP_2) | instskip(SKIP_1) | instid1(VALU_DEP_3)
	v_frexp_exp_i32_f32_e32 v18, v15
	v_frexp_mant_f32_e32 v15, v15
	v_frexp_exp_i32_f64_e32 v13, v[13:14]
	v_frexp_mant_f32_e32 v14, v17
	s_delay_alu instid0(VALU_DEP_1) | instskip(SKIP_4) | instid1(VALU_DEP_2)
	v_rcp_f32_e32 v14, v14
	s_waitcnt_depctr 0xfff
	v_mul_f32_e32 v14, v15, v14
	v_frexp_exp_i32_f32_e32 v16, v17
	v_cmp_neq_f32_e32 vcc_lo, 0x7f800000, v17
	v_sub_nc_u32_e32 v16, v18, v16
	s_delay_alu instid0(VALU_DEP_1) | instskip(NEXT) | instid1(VALU_DEP_1)
	v_ldexp_f32 v14, v14, v16
	v_mul_f32_e32 v18, v14, v14
	v_sub_nc_u32_e32 v19, 0, v13
	s_delay_alu instid0(VALU_DEP_1) | instskip(SKIP_1) | instid1(VALU_DEP_2)
	v_ldexp_f32 v15, |v7|, v19
	v_ldexp_f32 v16, |v6|, v19
	v_mul_f32_e32 v15, v15, v15
	s_delay_alu instid0(VALU_DEP_1) | instskip(NEXT) | instid1(VALU_DEP_1)
	v_dual_fmac_f32 v15, v16, v16 :: v_dual_fmaak_f32 v16, s10, v18, 0xbc7a590c
	v_sqrt_f32_e32 v15, v15
	s_delay_alu instid0(VALU_DEP_1) | instskip(NEXT) | instid1(VALU_DEP_1)
	v_fmaak_f32 v16, v18, v16, 0x3d29fb3f
	v_fmaak_f32 v16, v18, v16, 0xbd97d4d7
	s_waitcnt_depctr 0xfff
	v_ldexp_f32 v13, v15, v13
	v_fmaak_f32 v15, v18, v16, 0x3dd931b2
	s_delay_alu instid0(VALU_DEP_1) | instskip(NEXT) | instid1(VALU_DEP_1)
	v_fmaak_f32 v15, v18, v15, 0xbe1160e6
	v_fmaak_f32 v15, v18, v15, 0x3e4cb8bf
	s_delay_alu instid0(VALU_DEP_1) | instskip(NEXT) | instid1(VALU_DEP_1)
	v_fmaak_f32 v15, v18, v15, 0xbeaaaa62
	v_mul_f32_e32 v15, v18, v15
	s_delay_alu instid0(VALU_DEP_1) | instskip(NEXT) | instid1(VALU_DEP_1)
	v_dual_cndmask_b32 v13, 0x7f800000, v13 :: v_dual_fmac_f32 v14, v14, v15
	v_cmp_gt_f32_e32 vcc_lo, 0x800000, v13
	v_cndmask_b32_e64 v16, 1.0, 0x4f800000, vcc_lo
	s_delay_alu instid0(VALU_DEP_1) | instskip(NEXT) | instid1(VALU_DEP_1)
	v_dual_mul_f32 v13, v13, v16 :: v_dual_sub_f32 v16, 0x3fc90fdb, v14
	v_cndmask_b32_e64 v14, v14, v16, s0
	v_cndmask_b32_e64 v16, 0, 0x40490fdb, s1
	v_cmp_gt_f32_e64 s1, 0, v6
	s_delay_alu instid0(VALU_DEP_3) | instskip(SKIP_1) | instid1(VALU_DEP_1)
	v_sub_f32_e32 v18, 0x40490fdb, v14
	v_log_f32_e32 v13, v13
	v_cndmask_b32_e64 v14, v14, v18, s1
	v_cndmask_b32_e64 v18, 0, 0x41b17218, vcc_lo
	s_waitcnt_depctr 0xfff
	v_mul_f32_e32 v15, 0x3f317217, v13
	v_cmp_gt_f32_e64 vcc_lo, 0x7f800000, |v13|
	s_delay_alu instid0(VALU_DEP_2) | instskip(NEXT) | instid1(VALU_DEP_1)
	v_fma_f32 v17, 0x3f317217, v13, -v15
	v_fmac_f32_e32 v17, 0x3377d1cf, v13
	s_delay_alu instid0(VALU_DEP_1) | instskip(SKIP_1) | instid1(VALU_DEP_2)
	v_add_f32_e32 v15, v15, v17
	v_cndmask_b32_e64 v17, 0x3f490fdb, v12, s1
	v_cndmask_b32_e32 v13, v13, v15, vcc_lo
	v_cmp_eq_f32_e32 vcc_lo, 0, v7
	v_cndmask_b32_e32 v14, v14, v16, vcc_lo
	s_and_b32 vcc_lo, s3, s4
	s_delay_alu instid0(VALU_DEP_1)
	v_dual_sub_f32 v13, v13, v18 :: v_dual_cndmask_b32 v14, v14, v17
.LBB199_179:                            ;   in Loop: Header=BB199_162 Depth=1
	s_or_b32 exec_lo, exec_lo, s2
                                        ; implicit-def: $vgpr15
.LBB199_180:                            ;   in Loop: Header=BB199_162 Depth=1
	s_and_not1_saveexec_b32 s2, s16
	s_cbranch_execz .LBB199_186
; %bb.181:                              ;   in Loop: Header=BB199_162 Depth=1
                                        ; implicit-def: $vgpr13
                                        ; implicit-def: $vgpr14
	s_mov_b32 s1, exec_lo
	v_cmpx_ngt_f32_e32 0x1fec1e4a, v15
	s_xor_b32 s3, exec_lo, s1
	s_cbranch_execz .LBB199_183
; %bb.182:                              ;   in Loop: Header=BB199_162 Depth=1
	v_mul_f32_e32 v15, v15, v15
	v_cmp_gt_f32_e64 s1, 0, v6
	v_cmp_class_f32_e64 s4, v6, 0x204
	v_cmp_class_f32_e64 s6, v7, 0x204
	s_delay_alu instid0(VALU_DEP_4) | instskip(NEXT) | instid1(VALU_DEP_1)
	v_add_f32_e32 v16, 1.0, v15
	v_cvt_f64_f32_e32 v[13:14], v16
	s_delay_alu instid0(VALU_DEP_1) | instskip(SKIP_1) | instid1(VALU_DEP_1)
	v_frexp_exp_i32_f64_e32 v13, v[13:14]
	v_frexp_mant_f32_e32 v14, v16
	v_cmp_gt_f32_e32 vcc_lo, 0x3f2aaaab, v14
	v_add_f32_e32 v14, -1.0, v16
	v_cmp_gt_f32_e64 s5, 0x33800000, |v15|
	s_delay_alu instid0(VALU_DEP_2) | instskip(SKIP_2) | instid1(VALU_DEP_2)
	v_sub_f32_e32 v18, v14, v16
	v_subrev_co_ci_u32_e32 v13, vcc_lo, 0, v13, vcc_lo
	v_cmp_gt_i32_e32 vcc_lo, 0, v6
	v_sub_nc_u32_e32 v17, 0, v13
	v_cvt_f32_i32_e32 v13, v13
	s_delay_alu instid0(VALU_DEP_2) | instskip(SKIP_1) | instid1(VALU_DEP_2)
	v_ldexp_f32 v16, v16, v17
	v_sub_f32_e32 v14, v15, v14
	v_dual_add_f32 v18, 1.0, v18 :: v_dual_add_f32 v19, 1.0, v16
	s_delay_alu instid0(VALU_DEP_1) | instskip(NEXT) | instid1(VALU_DEP_2)
	v_add_f32_e32 v14, v14, v18
	v_add_f32_e32 v18, -1.0, v19
	s_delay_alu instid0(VALU_DEP_2) | instskip(NEXT) | instid1(VALU_DEP_2)
	v_ldexp_f32 v14, v14, v17
	v_dual_add_f32 v17, -1.0, v16 :: v_dual_sub_f32 v18, v16, v18
	s_delay_alu instid0(VALU_DEP_1) | instskip(NEXT) | instid1(VALU_DEP_2)
	v_add_f32_e32 v20, 1.0, v17
	v_add_f32_e32 v18, v14, v18
	s_delay_alu instid0(VALU_DEP_2) | instskip(NEXT) | instid1(VALU_DEP_2)
	v_sub_f32_e32 v16, v16, v20
	v_add_f32_e32 v20, v19, v18
	s_delay_alu instid0(VALU_DEP_2) | instskip(NEXT) | instid1(VALU_DEP_2)
	v_add_f32_e32 v14, v14, v16
	v_rcp_f32_e32 v16, v20
	v_sub_f32_e32 v19, v19, v20
	s_delay_alu instid0(VALU_DEP_1) | instskip(NEXT) | instid1(VALU_DEP_1)
	v_dual_add_f32 v21, v17, v14 :: v_dual_add_f32 v18, v18, v19
	v_sub_f32_e32 v17, v17, v21
	s_waitcnt_depctr 0xfff
	v_mul_f32_e32 v22, v21, v16
	s_delay_alu instid0(VALU_DEP_1) | instskip(NEXT) | instid1(VALU_DEP_1)
	v_dual_add_f32 v14, v14, v17 :: v_dual_mul_f32 v23, v20, v22
	v_fma_f32 v19, v22, v20, -v23
	s_delay_alu instid0(VALU_DEP_1) | instskip(NEXT) | instid1(VALU_DEP_1)
	v_fmac_f32_e32 v19, v22, v18
	v_add_f32_e32 v24, v23, v19
	s_delay_alu instid0(VALU_DEP_1) | instskip(SKIP_1) | instid1(VALU_DEP_2)
	v_sub_f32_e32 v25, v21, v24
	v_sub_f32_e32 v17, v24, v23
	;; [unrolled: 1-line block ×3, first 2 shown]
	s_delay_alu instid0(VALU_DEP_2) | instskip(NEXT) | instid1(VALU_DEP_2)
	v_sub_f32_e32 v17, v17, v19
	v_sub_f32_e32 v21, v21, v24
	s_delay_alu instid0(VALU_DEP_1) | instskip(NEXT) | instid1(VALU_DEP_1)
	v_add_f32_e32 v14, v14, v21
	v_add_f32_e32 v14, v17, v14
	s_delay_alu instid0(VALU_DEP_1) | instskip(NEXT) | instid1(VALU_DEP_1)
	v_add_f32_e32 v17, v25, v14
	v_mul_f32_e32 v19, v16, v17
	s_delay_alu instid0(VALU_DEP_1) | instskip(NEXT) | instid1(VALU_DEP_1)
	v_dual_sub_f32 v24, v25, v17 :: v_dual_mul_f32 v21, v20, v19
	v_fma_f32 v20, v19, v20, -v21
	s_delay_alu instid0(VALU_DEP_1) | instskip(NEXT) | instid1(VALU_DEP_1)
	v_fmac_f32_e32 v20, v19, v18
	v_add_f32_e32 v18, v21, v20
	s_delay_alu instid0(VALU_DEP_1) | instskip(SKIP_1) | instid1(VALU_DEP_2)
	v_sub_f32_e32 v23, v17, v18
	v_sub_f32_e32 v21, v18, v21
	v_dual_sub_f32 v17, v17, v23 :: v_dual_add_f32 v14, v14, v24
	s_delay_alu instid0(VALU_DEP_1) | instskip(NEXT) | instid1(VALU_DEP_1)
	v_sub_f32_e32 v17, v17, v18
	v_add_f32_e32 v14, v14, v17
	s_delay_alu instid0(VALU_DEP_4) | instskip(NEXT) | instid1(VALU_DEP_1)
	v_dual_add_f32 v17, v22, v19 :: v_dual_sub_f32 v18, v21, v20
	v_add_f32_e32 v14, v18, v14
	s_delay_alu instid0(VALU_DEP_2) | instskip(NEXT) | instid1(VALU_DEP_2)
	v_sub_f32_e32 v18, v17, v22
	v_add_f32_e32 v14, v23, v14
	s_delay_alu instid0(VALU_DEP_2) | instskip(SKIP_1) | instid1(VALU_DEP_3)
	v_sub_f32_e32 v18, v19, v18
	v_max_f32_e64 v19, |v6|, |v6|
	v_mul_f32_e32 v14, v16, v14
	v_max_f32_e64 v16, |v7|, |v7|
	s_delay_alu instid0(VALU_DEP_1) | instskip(SKIP_1) | instid1(VALU_DEP_2)
	v_dual_add_f32 v14, v18, v14 :: v_dual_max_f32 v21, v19, v16
	v_min_f32_e32 v16, v19, v16
	v_add_f32_e32 v18, v17, v14
	s_delay_alu instid0(VALU_DEP_3) | instskip(SKIP_1) | instid1(VALU_DEP_3)
	v_frexp_mant_f32_e32 v23, v21
	v_frexp_exp_i32_f32_e32 v19, v21
	v_mul_f32_e32 v20, v18, v18
	v_ldexp_f32 v24, v18, 1
	s_delay_alu instid0(VALU_DEP_2) | instskip(SKIP_1) | instid1(VALU_DEP_2)
	v_dual_sub_f32 v17, v18, v17 :: v_dual_fmaak_f32 v22, s8, v20, 0x3ecc95a3
	v_mul_f32_e32 v21, v18, v20
	v_sub_f32_e32 v14, v14, v17
	s_delay_alu instid0(VALU_DEP_3)
	v_fmaak_f32 v20, v20, v22, 0x3f2aaada
	v_rcp_f32_e32 v22, v23
	v_frexp_exp_i32_f32_e32 v23, v16
	v_frexp_mant_f32_e32 v16, v16
	v_ldexp_f32 v14, v14, 1
	v_dual_mul_f32 v20, v21, v20 :: v_dual_mul_f32 v21, 0x3f317218, v13
	s_delay_alu instid0(VALU_DEP_4) | instskip(NEXT) | instid1(VALU_DEP_2)
	v_sub_nc_u32_e32 v19, v23, v19
	v_add_f32_e32 v18, v24, v20
	s_delay_alu instid0(TRANS32_DEP_1) | instid1(VALU_DEP_1)
	v_dual_mul_f32 v16, v16, v22 :: v_dual_sub_f32 v17, v18, v24
	s_delay_alu instid0(VALU_DEP_1) | instskip(SKIP_1) | instid1(VALU_DEP_3)
	v_ldexp_f32 v16, v16, v19
	v_fma_f32 v19, 0x3f317218, v13, -v21
	v_sub_f32_e32 v17, v20, v17
	s_delay_alu instid0(VALU_DEP_2) | instskip(NEXT) | instid1(VALU_DEP_2)
	v_fmac_f32_e32 v19, 0xb102e308, v13
	v_add_f32_e32 v13, v14, v17
	s_delay_alu instid0(VALU_DEP_1) | instskip(NEXT) | instid1(VALU_DEP_1)
	v_dual_add_f32 v17, v21, v19 :: v_dual_add_f32 v22, v18, v13
	v_sub_f32_e32 v21, v17, v21
	s_delay_alu instid0(VALU_DEP_2) | instskip(NEXT) | instid1(VALU_DEP_2)
	v_add_f32_e32 v23, v17, v22
	v_dual_sub_f32 v18, v22, v18 :: v_dual_sub_f32 v19, v19, v21
	s_delay_alu instid0(VALU_DEP_1) | instskip(NEXT) | instid1(VALU_DEP_1)
	v_dual_sub_f32 v24, v23, v17 :: v_dual_sub_f32 v13, v13, v18
	v_sub_f32_e32 v25, v23, v24
	s_delay_alu instid0(VALU_DEP_2) | instskip(NEXT) | instid1(VALU_DEP_2)
	v_dual_sub_f32 v18, v22, v24 :: v_dual_add_f32 v21, v19, v13
	v_sub_f32_e32 v17, v17, v25
	s_delay_alu instid0(VALU_DEP_1) | instskip(NEXT) | instid1(VALU_DEP_1)
	v_dual_add_f32 v17, v18, v17 :: v_dual_sub_f32 v18, v21, v19
	v_dual_add_f32 v17, v21, v17 :: v_dual_mul_f32 v20, v16, v16
	s_delay_alu instid0(VALU_DEP_1) | instskip(NEXT) | instid1(VALU_DEP_1)
	v_dual_sub_f32 v13, v13, v18 :: v_dual_fmaak_f32 v14, s10, v20, 0xbc7a590c
	v_fmaak_f32 v14, v20, v14, 0x3d29fb3f
	s_delay_alu instid0(VALU_DEP_1) | instskip(NEXT) | instid1(VALU_DEP_1)
	v_fmaak_f32 v14, v20, v14, 0xbd97d4d7
	v_fmaak_f32 v14, v20, v14, 0x3dd931b2
	s_delay_alu instid0(VALU_DEP_1) | instskip(NEXT) | instid1(VALU_DEP_1)
	v_fmaak_f32 v14, v20, v14, 0xbe1160e6
	;; [unrolled: 3-line block ×3, first 2 shown]
	v_mul_f32_e32 v14, v20, v14
	v_dual_sub_f32 v20, v21, v18 :: v_dual_add_f32 v21, v23, v17
	s_delay_alu instid0(VALU_DEP_2) | instskip(NEXT) | instid1(VALU_DEP_2)
	v_fmac_f32_e32 v16, v16, v14
	v_sub_f32_e32 v14, v19, v20
	s_delay_alu instid0(VALU_DEP_2) | instskip(NEXT) | instid1(VALU_DEP_2)
	v_dual_sub_f32 v18, v21, v23 :: v_dual_sub_f32 v19, 0x3fc90fdb, v16
	v_add_f32_e32 v13, v13, v14
	s_delay_alu instid0(VALU_DEP_2) | instskip(SKIP_3) | instid1(VALU_DEP_4)
	v_sub_f32_e32 v14, v17, v18
	v_cndmask_b32_e64 v17, 0, 0x40490fdb, vcc_lo
	v_cmp_eq_f32_e32 vcc_lo, 0x7f800000, v15
	v_cndmask_b32_e64 v16, v16, v19, s0
	v_add_f32_e32 v13, v13, v14
	s_or_b32 vcc_lo, vcc_lo, s5
	s_delay_alu instid0(VALU_DEP_1) | instskip(NEXT) | instid1(VALU_DEP_1)
	v_dual_sub_f32 v14, 0x40490fdb, v16 :: v_dual_add_f32 v13, v21, v13
	v_cndmask_b32_e64 v14, v16, v14, s1
	v_cndmask_b32_e64 v16, 0x3f490fdb, v12, s1
	s_delay_alu instid0(VALU_DEP_3) | instskip(SKIP_1) | instid1(VALU_DEP_2)
	v_cndmask_b32_e32 v13, v13, v15, vcc_lo
	v_cmp_eq_f32_e32 vcc_lo, 0, v7
                                        ; implicit-def: $vgpr15
	v_mul_f32_e32 v13, 0.5, v13
	v_cndmask_b32_e32 v14, v14, v17, vcc_lo
	s_and_b32 vcc_lo, s4, s6
	s_delay_alu instid0(VALU_DEP_1)
	v_cndmask_b32_e32 v14, v14, v16, vcc_lo
.LBB199_183:                            ;   in Loop: Header=BB199_162 Depth=1
	s_and_not1_saveexec_b32 s3, s3
	s_cbranch_execz .LBB199_185
; %bb.184:                              ;   in Loop: Header=BB199_162 Depth=1
	v_max_f32_e64 v13, |v7|, |v7|
	v_max_f32_e64 v14, |v6|, |v6|
	v_cmp_gt_i32_e32 vcc_lo, 0, v6
	v_cmp_eq_f32_e64 s1, 0, v7
	v_cmp_class_f32_e64 s4, v6, 0x204
	v_cmp_class_f32_e64 s5, v7, 0x204
	v_max_f32_e32 v16, v14, v13
	v_min_f32_e32 v13, v14, v13
	s_delay_alu instid0(VALU_DEP_2) | instskip(NEXT) | instid1(VALU_DEP_1)
	v_frexp_mant_f32_e32 v17, v16
	v_rcp_f32_e32 v14, v17
	s_delay_alu instid0(VALU_DEP_2) | instskip(SKIP_4) | instid1(VALU_DEP_1)
	v_frexp_exp_i32_f32_e32 v17, v13
	v_frexp_mant_f32_e32 v13, v13
	s_waitcnt_depctr 0xfff
	v_mul_f32_e32 v13, v13, v14
	v_frexp_exp_i32_f32_e32 v16, v16
	v_sub_nc_u32_e32 v16, v17, v16
	s_delay_alu instid0(VALU_DEP_1) | instskip(NEXT) | instid1(VALU_DEP_1)
	v_ldexp_f32 v13, v13, v16
	v_mul_f32_e32 v14, v13, v13
	s_delay_alu instid0(VALU_DEP_1) | instskip(NEXT) | instid1(VALU_DEP_1)
	v_fmaak_f32 v16, s10, v14, 0xbc7a590c
	v_fmaak_f32 v16, v14, v16, 0x3d29fb3f
	s_delay_alu instid0(VALU_DEP_1) | instskip(NEXT) | instid1(VALU_DEP_1)
	v_fmaak_f32 v16, v14, v16, 0xbd97d4d7
	v_fmaak_f32 v16, v14, v16, 0x3dd931b2
	;; [unrolled: 3-line block ×3, first 2 shown]
	s_delay_alu instid0(VALU_DEP_1) | instskip(NEXT) | instid1(VALU_DEP_1)
	v_fmaak_f32 v16, v14, v16, 0xbeaaaa62
	v_mul_f32_e32 v14, v14, v16
	v_cndmask_b32_e64 v16, 0, 0x40490fdb, vcc_lo
	v_cmp_gt_f32_e32 vcc_lo, 0, v6
	s_delay_alu instid0(VALU_DEP_3) | instskip(SKIP_1) | instid1(VALU_DEP_2)
	v_fmac_f32_e32 v13, v13, v14
	v_cndmask_b32_e32 v17, 0x3f490fdb, v12, vcc_lo
	v_sub_f32_e32 v14, 0x3fc90fdb, v13
	s_delay_alu instid0(VALU_DEP_1) | instskip(NEXT) | instid1(VALU_DEP_1)
	v_cndmask_b32_e64 v13, v13, v14, s0
	v_sub_f32_e32 v14, 0x40490fdb, v13
	s_delay_alu instid0(VALU_DEP_1) | instskip(SKIP_1) | instid1(VALU_DEP_1)
	v_dual_cndmask_b32 v13, v13, v14 :: v_dual_mul_f32 v14, 0.5, v15
	s_and_b32 vcc_lo, s4, s5
	v_cndmask_b32_e64 v16, v13, v16, s1
	s_delay_alu instid0(VALU_DEP_1)
	v_dual_mul_f32 v13, v15, v14 :: v_dual_cndmask_b32 v14, v16, v17
.LBB199_185:                            ;   in Loop: Header=BB199_162 Depth=1
	s_or_b32 exec_lo, exec_lo, s3
.LBB199_186:                            ;   in Loop: Header=BB199_162 Depth=1
	s_delay_alu instid0(SALU_CYCLE_1)
	s_or_b32 exec_lo, exec_lo, s2
.LBB199_187:                            ;   in Loop: Header=BB199_162 Depth=1
	s_and_not1_saveexec_b32 s2, s12
	s_cbranch_execz .LBB199_189
; %bb.188:                              ;   in Loop: Header=BB199_162 Depth=1
	v_div_scale_f32 v13, null, 0x402df854, 0x402df854, v6
	v_div_scale_f32 v14, null, 0x402df854, 0x402df854, v7
	v_div_scale_f32 v19, vcc_lo, v6, 0x402df854, v6
	s_delay_alu instid0(VALU_DEP_3) | instskip(NEXT) | instid1(VALU_DEP_2)
	v_rcp_f32_e32 v15, v13
	v_rcp_f32_e32 v16, v14
	v_cmp_class_f32_e64 s3, v7, 0x204
	s_waitcnt_depctr 0xfff
	v_fma_f32 v17, -v13, v15, 1.0
	v_fma_f32 v18, -v14, v16, 1.0
	s_delay_alu instid0(VALU_DEP_1) | instskip(SKIP_1) | instid1(VALU_DEP_2)
	v_dual_fmac_f32 v15, v17, v15 :: v_dual_fmac_f32 v16, v18, v16
	v_div_scale_f32 v17, s1, v7, 0x402df854, v7
	v_mul_f32_e32 v18, v19, v15
	s_delay_alu instid0(VALU_DEP_1) | instskip(NEXT) | instid1(VALU_DEP_1)
	v_fma_f32 v21, -v13, v18, v19
	v_fmac_f32_e32 v18, v21, v15
	s_delay_alu instid0(VALU_DEP_1) | instskip(NEXT) | instid1(VALU_DEP_1)
	v_fma_f32 v13, -v13, v18, v19
	v_div_fmas_f32 v13, v13, v15, v18
	v_max_f32_e64 v18, |v6|, |v6|
	v_mul_f32_e32 v20, v17, v16
	s_mov_b32 vcc_lo, s1
	v_cmp_class_f32_e64 s1, v6, 0x204
	v_div_fixup_f32 v15, v13, 0x402df854, v6
	s_delay_alu instid0(VALU_DEP_3) | instskip(NEXT) | instid1(VALU_DEP_1)
	v_fma_f32 v22, -v14, v20, v17
	v_fmac_f32_e32 v20, v22, v16
	s_delay_alu instid0(VALU_DEP_1) | instskip(NEXT) | instid1(VALU_DEP_1)
	v_fma_f32 v14, -v14, v20, v17
	v_div_fmas_f32 v14, v14, v16, v20
	s_delay_alu instid0(VALU_DEP_1) | instskip(NEXT) | instid1(VALU_DEP_1)
	v_div_fixup_f32 v16, v14, 0x402df854, v7
	v_max_f32_e64 v17, |v15|, |v16|
	s_delay_alu instid0(VALU_DEP_1) | instskip(SKIP_1) | instid1(VALU_DEP_2)
	v_cvt_f64_f32_e32 v[13:14], v17
	v_cmp_neq_f32_e32 vcc_lo, 0x7f800000, v17
	v_frexp_exp_i32_f64_e32 v13, v[13:14]
	v_max_f32_e64 v14, |v7|, |v7|
	s_delay_alu instid0(VALU_DEP_1) | instskip(SKIP_1) | instid1(VALU_DEP_2)
	v_max_f32_e32 v19, v18, v14
	v_min_f32_e32 v14, v18, v14
	v_frexp_mant_f32_e32 v20, v19
	v_frexp_exp_i32_f32_e32 v19, v19
	s_delay_alu instid0(VALU_DEP_3) | instskip(SKIP_1) | instid1(VALU_DEP_4)
	v_frexp_exp_i32_f32_e32 v21, v14
	v_frexp_mant_f32_e32 v14, v14
	v_rcp_f32_e32 v18, v20
	s_delay_alu instid0(VALU_DEP_2) | instskip(SKIP_1) | instid1(VALU_DEP_1)
	v_sub_nc_u32_e32 v19, v21, v19
	v_sub_nc_u32_e32 v20, 0, v13
	v_ldexp_f32 v16, |v16|, v20
	v_ldexp_f32 v15, |v15|, v20
	s_delay_alu instid0(VALU_DEP_2) | instskip(NEXT) | instid1(VALU_DEP_1)
	v_mul_f32_e32 v16, v16, v16
	v_fmac_f32_e32 v16, v15, v15
	s_delay_alu instid0(VALU_DEP_1) | instskip(SKIP_2) | instid1(VALU_DEP_1)
	v_sqrt_f32_e32 v16, v16
	s_waitcnt_depctr 0xfff
	v_ldexp_f32 v13, v16, v13
	v_cndmask_b32_e32 v13, 0x7f800000, v13, vcc_lo
	s_delay_alu instid0(VALU_DEP_1) | instskip(SKIP_1) | instid1(VALU_DEP_1)
	v_cmp_gt_f32_e32 vcc_lo, 0x800000, v13
	v_cndmask_b32_e64 v17, 1.0, 0x4f800000, vcc_lo
	v_mul_f32_e32 v13, v13, v17
	s_delay_alu instid0(VALU_DEP_1) | instskip(SKIP_1) | instid1(VALU_DEP_1)
	v_log_f32_e32 v13, v13
	v_mul_f32_e32 v14, v14, v18
	v_ldexp_f32 v14, v14, v19
	s_delay_alu instid0(VALU_DEP_1) | instskip(NEXT) | instid1(VALU_DEP_1)
	v_mul_f32_e32 v15, v14, v14
	v_fmaak_f32 v18, s10, v15, 0xbc7a590c
	s_delay_alu instid0(VALU_DEP_1) | instskip(NEXT) | instid1(VALU_DEP_1)
	v_fmaak_f32 v18, v15, v18, 0x3d29fb3f
	v_fmaak_f32 v16, v15, v18, 0xbd97d4d7
	v_cndmask_b32_e64 v18, 0, 0x41b17218, vcc_lo
	s_delay_alu instid0(TRANS32_DEP_1) | instskip(NEXT) | instid1(VALU_DEP_3)
	v_cmp_gt_f32_e64 vcc_lo, 0x7f800000, |v13|
	v_fmaak_f32 v16, v15, v16, 0x3dd931b2
	s_delay_alu instid0(VALU_DEP_1) | instskip(NEXT) | instid1(VALU_DEP_1)
	v_fmaak_f32 v16, v15, v16, 0xbe1160e6
	v_fmaak_f32 v16, v15, v16, 0x3e4cb8bf
	s_delay_alu instid0(VALU_DEP_1) | instskip(NEXT) | instid1(VALU_DEP_1)
	v_fmaak_f32 v16, v15, v16, 0xbeaaaa62
	v_dual_mul_f32 v15, v15, v16 :: v_dual_mul_f32 v16, 0x3f317217, v13
	s_delay_alu instid0(VALU_DEP_1) | instskip(NEXT) | instid1(VALU_DEP_2)
	v_fmac_f32_e32 v14, v14, v15
	v_fma_f32 v15, 0x3f317217, v13, -v16
	s_delay_alu instid0(VALU_DEP_2) | instskip(NEXT) | instid1(VALU_DEP_2)
	v_sub_f32_e32 v17, 0x3fc90fdb, v14
	v_fmac_f32_e32 v15, 0x3377d1cf, v13
	s_delay_alu instid0(VALU_DEP_2) | instskip(SKIP_1) | instid1(VALU_DEP_2)
	v_cndmask_b32_e64 v14, v14, v17, s0
	v_cmp_gt_i32_e64 s0, 0, v6
	v_dual_add_f32 v15, v16, v15 :: v_dual_sub_f32 v16, 0x40490fdb, v14
	s_delay_alu instid0(VALU_DEP_2) | instskip(NEXT) | instid1(VALU_DEP_2)
	v_cndmask_b32_e64 v17, 0, 0x40490fdb, s0
	v_cndmask_b32_e32 v13, v13, v15, vcc_lo
	v_cmp_gt_f32_e64 s0, 0, v6
	v_cmp_eq_f32_e32 vcc_lo, 0, v7
	s_delay_alu instid0(VALU_DEP_3) | instskip(NEXT) | instid1(VALU_DEP_3)
	v_sub_f32_e32 v13, v13, v18
	v_cndmask_b32_e64 v14, v14, v16, s0
	v_cndmask_b32_e64 v15, 0x3f490fdb, v12, s0
	s_delay_alu instid0(VALU_DEP_3) | instskip(NEXT) | instid1(VALU_DEP_3)
	v_add_f32_e32 v13, 1.0, v13
	v_cndmask_b32_e32 v14, v14, v17, vcc_lo
	s_and_b32 vcc_lo, s1, s3
	s_delay_alu instid0(VALU_DEP_1)
	v_cndmask_b32_e32 v14, v14, v15, vcc_lo
.LBB199_189:                            ;   in Loop: Header=BB199_162 Depth=1
	s_or_b32 exec_lo, exec_lo, s2
.LBB199_190:                            ;   in Loop: Header=BB199_162 Depth=1
	s_and_not1_saveexec_b32 s0, s11
	s_cbranch_execz .LBB199_196
; %bb.191:                              ;   in Loop: Header=BB199_162 Depth=1
	v_cmp_ngt_f32_e64 s1, 0x20000000, |v6|
	v_cmp_ngt_f32_e64 s2, 0x20000000, |v7|
                                        ; implicit-def: $vgpr13
	s_delay_alu instid0(VALU_DEP_1) | instskip(NEXT) | instid1(SALU_CYCLE_1)
	s_or_b32 s1, s1, s2
	s_and_saveexec_b32 s2, s1
	s_delay_alu instid0(SALU_CYCLE_1)
	s_xor_b32 s1, exec_lo, s2
; %bb.192:                              ;   in Loop: Header=BB199_162 Depth=1
	v_mul_f32_e32 v13, v7, v7
	s_delay_alu instid0(VALU_DEP_1)
	v_fmac_f32_e32 v13, v6, v6
; %bb.193:                              ;   in Loop: Header=BB199_162 Depth=1
	s_and_not1_saveexec_b32 s1, s1
; %bb.194:                              ;   in Loop: Header=BB199_162 Depth=1
	v_dual_mul_f32 v13, 4.0, v7 :: v_dual_mul_f32 v6, 4.0, v6
	s_delay_alu instid0(VALU_DEP_1) | instskip(NEXT) | instid1(VALU_DEP_1)
	v_mul_f32_e32 v13, v13, v13
	v_fmac_f32_e32 v13, v6, v6
	s_delay_alu instid0(VALU_DEP_1)
	v_mul_f32_e32 v13, 0x3d800000, v13
; %bb.195:                              ;   in Loop: Header=BB199_162 Depth=1
	s_or_b32 exec_lo, exec_lo, s1
	s_delay_alu instid0(VALU_DEP_1) | instskip(SKIP_1) | instid1(VALU_DEP_1)
	v_cmp_gt_f32_e32 vcc_lo, 0x800000, v13
	v_cndmask_b32_e64 v6, 1.0, 0x4f800000, vcc_lo
	v_mul_f32_e32 v6, v13, v6
	s_delay_alu instid0(VALU_DEP_1) | instskip(SKIP_2) | instid1(VALU_DEP_1)
	v_log_f32_e32 v6, v6
	s_waitcnt_depctr 0xfff
	v_mul_f32_e32 v13, 0x3f317217, v6
	v_fma_f32 v14, 0x3f317217, v6, -v13
	s_delay_alu instid0(VALU_DEP_1) | instskip(NEXT) | instid1(VALU_DEP_1)
	v_fmac_f32_e32 v14, 0x3377d1cf, v6
	v_add_f32_e32 v13, v13, v14
	v_cndmask_b32_e64 v14, 0, 0x41b17218, vcc_lo
	v_cmp_gt_f32_e64 vcc_lo, 0x7f800000, |v6|
	s_delay_alu instid0(VALU_DEP_3) | instskip(NEXT) | instid1(VALU_DEP_1)
	v_cndmask_b32_e32 v6, v6, v13, vcc_lo
	v_dual_sub_f32 v13, v6, v14 :: v_dual_mov_b32 v14, 0x7fc00000
.LBB199_196:                            ;   in Loop: Header=BB199_162 Depth=1
	s_or_b32 exec_lo, exec_lo, s0
                                        ; implicit-def: $vgpr6
                                        ; implicit-def: $vgpr15
	s_delay_alu instid0(SALU_CYCLE_1)
	s_mov_b32 s0, exec_lo
	v_cmpx_o_f32_e32 v9, v8
	s_xor_b32 s11, exec_lo, s0
	s_cbranch_execz .LBB199_224
; %bb.197:                              ;   in Loop: Header=BB199_162 Depth=1
	v_cmp_lt_f32_e64 s0, |v8|, |v9|
                                        ; implicit-def: $vgpr6
                                        ; implicit-def: $vgpr15
	s_mov_b32 s1, exec_lo
	s_delay_alu instid0(VALU_DEP_1) | instskip(NEXT) | instid1(VALU_DEP_1)
	v_cndmask_b32_e64 v16, |v9|, |v8|, s0
	v_cmpx_nlt_f32_e32 0x77f684df, v16
	s_xor_b32 s12, exec_lo, s1
	s_cbranch_execz .LBB199_221
; %bb.198:                              ;   in Loop: Header=BB199_162 Depth=1
	v_and_b32_e32 v6, 0x7fffffff, v9
                                        ; implicit-def: $vgpr15
	s_mov_b32 s1, exec_lo
	s_delay_alu instid0(VALU_DEP_1) | instskip(NEXT) | instid1(VALU_DEP_1)
	v_cndmask_b32_e64 v17, |v8|, v6, s0
                                        ; implicit-def: $vgpr6
	v_cmpx_neq_f32_e32 1.0, v17
	s_xor_b32 s16, exec_lo, s1
	s_cbranch_execz .LBB199_214
; %bb.199:                              ;   in Loop: Header=BB199_162 Depth=1
	v_dual_max_f32 v6, v16, v16 :: v_dual_max_f32 v15, v17, v17
	s_delay_alu instid0(VALU_DEP_1) | instskip(SKIP_1) | instid1(VALU_DEP_2)
	v_min_f32_e32 v18, v15, v6
	v_max_f32_e32 v6, v15, v6
                                        ; implicit-def: $vgpr15
	v_cmp_ngt_f32_e32 vcc_lo, 0x358637bd, v18
	s_delay_alu instid0(VALU_DEP_2) | instskip(NEXT) | instid1(VALU_DEP_1)
	v_cmp_nlt_f32_e64 s1, 0x49742400, v6
                                        ; implicit-def: $vgpr6
	s_and_b32 s1, s1, vcc_lo
	s_delay_alu instid0(SALU_CYCLE_1) | instskip(NEXT) | instid1(SALU_CYCLE_1)
	s_and_saveexec_b32 s2, s1
	s_xor_b32 s17, exec_lo, s2
	s_cbranch_execz .LBB199_211
; %bb.200:                              ;   in Loop: Header=BB199_162 Depth=1
                                        ; implicit-def: $vgpr6
                                        ; implicit-def: $vgpr15
	s_mov_b32 s1, exec_lo
	v_cmpx_le_f32_e32 1.0, v17
	s_xor_b32 s2, exec_lo, s1
	s_cbranch_execz .LBB199_202
; %bb.201:                              ;   in Loop: Header=BB199_162 Depth=1
	v_add_f32_e32 v6, -1.0, v17
	v_add_f32_e32 v15, 1.0, v17
	v_cmp_class_f32_e64 s3, v8, 0x204
	s_delay_alu instid0(VALU_DEP_2) | instskip(NEXT) | instid1(VALU_DEP_1)
	v_mul_f32_e32 v6, v6, v15
	v_fmac_f32_e32 v6, v16, v16
	s_delay_alu instid0(VALU_DEP_1) | instskip(SKIP_1) | instid1(VALU_DEP_2)
	v_add_f32_e32 v17, 1.0, v6
	v_cmp_neq_f32_e64 s1, -1.0, v6
	v_cvt_f64_f32_e32 v[15:16], v17
	s_delay_alu instid0(VALU_DEP_1) | instskip(SKIP_1) | instid1(VALU_DEP_1)
	v_frexp_exp_i32_f64_e32 v15, v[15:16]
	v_frexp_mant_f32_e32 v16, v17
	v_cmp_gt_f32_e32 vcc_lo, 0x3f2aaaab, v16
	v_add_f32_e32 v16, -1.0, v17
	s_delay_alu instid0(VALU_DEP_1) | instskip(NEXT) | instid1(VALU_DEP_1)
	v_dual_sub_f32 v19, v16, v17 :: v_dual_sub_f32 v16, v6, v16
	v_add_f32_e32 v19, 1.0, v19
	s_delay_alu instid0(VALU_DEP_1) | instskip(SKIP_2) | instid1(VALU_DEP_2)
	v_add_f32_e32 v16, v16, v19
	v_subrev_co_ci_u32_e32 v15, vcc_lo, 0, v15, vcc_lo
	v_cmp_eq_f32_e32 vcc_lo, 0x7f800000, v6
	v_sub_nc_u32_e32 v18, 0, v15
	v_cvt_f32_i32_e32 v15, v15
	s_delay_alu instid0(VALU_DEP_2) | instskip(SKIP_1) | instid1(VALU_DEP_2)
	v_ldexp_f32 v17, v17, v18
	v_ldexp_f32 v16, v16, v18
	v_add_f32_e32 v20, 1.0, v17
	s_delay_alu instid0(VALU_DEP_1) | instskip(NEXT) | instid1(VALU_DEP_1)
	v_add_f32_e32 v19, -1.0, v20
	v_dual_sub_f32 v19, v17, v19 :: v_dual_add_f32 v18, -1.0, v17
	s_delay_alu instid0(VALU_DEP_1) | instskip(NEXT) | instid1(VALU_DEP_2)
	v_add_f32_e32 v19, v16, v19
	v_add_f32_e32 v21, 1.0, v18
	s_delay_alu instid0(VALU_DEP_1) | instskip(NEXT) | instid1(VALU_DEP_1)
	v_sub_f32_e32 v17, v17, v21
	v_add_f32_e32 v16, v16, v17
	s_delay_alu instid0(VALU_DEP_1) | instskip(NEXT) | instid1(VALU_DEP_1)
	v_dual_add_f32 v22, v18, v16 :: v_dual_add_f32 v21, v20, v19
	v_sub_f32_e32 v18, v22, v18
	s_delay_alu instid0(VALU_DEP_2) | instskip(SKIP_1) | instid1(VALU_DEP_1)
	v_rcp_f32_e32 v17, v21
	v_sub_f32_e32 v20, v21, v20
	v_dual_sub_f32 v19, v19, v20 :: v_dual_sub_f32 v16, v16, v18
	s_waitcnt_depctr 0xfff
	v_mul_f32_e32 v23, v22, v17
	s_delay_alu instid0(VALU_DEP_1) | instskip(NEXT) | instid1(VALU_DEP_1)
	v_mul_f32_e32 v24, v21, v23
	v_fma_f32 v20, v23, v21, -v24
	s_delay_alu instid0(VALU_DEP_1) | instskip(NEXT) | instid1(VALU_DEP_1)
	v_fmac_f32_e32 v20, v23, v19
	v_add_f32_e32 v25, v24, v20
	s_delay_alu instid0(VALU_DEP_1) | instskip(SKIP_1) | instid1(VALU_DEP_2)
	v_sub_f32_e32 v26, v22, v25
	v_sub_f32_e32 v18, v25, v24
	;; [unrolled: 1-line block ×3, first 2 shown]
	s_delay_alu instid0(VALU_DEP_2) | instskip(NEXT) | instid1(VALU_DEP_2)
	v_sub_f32_e32 v18, v18, v20
	v_sub_f32_e32 v22, v22, v25
	s_delay_alu instid0(VALU_DEP_1) | instskip(NEXT) | instid1(VALU_DEP_1)
	v_add_f32_e32 v16, v16, v22
	v_add_f32_e32 v16, v18, v16
	s_delay_alu instid0(VALU_DEP_1) | instskip(NEXT) | instid1(VALU_DEP_1)
	v_add_f32_e32 v18, v26, v16
	v_mul_f32_e32 v20, v17, v18
	s_delay_alu instid0(VALU_DEP_1) | instskip(NEXT) | instid1(VALU_DEP_1)
	v_dual_sub_f32 v25, v26, v18 :: v_dual_mul_f32 v22, v21, v20
	v_add_f32_e32 v16, v16, v25
	s_delay_alu instid0(VALU_DEP_2) | instskip(NEXT) | instid1(VALU_DEP_1)
	v_fma_f32 v21, v20, v21, -v22
	v_fmac_f32_e32 v21, v20, v19
	s_delay_alu instid0(VALU_DEP_1) | instskip(NEXT) | instid1(VALU_DEP_1)
	v_add_f32_e32 v19, v22, v21
	v_sub_f32_e32 v24, v18, v19
	v_sub_f32_e32 v22, v19, v22
	s_delay_alu instid0(VALU_DEP_2) | instskip(NEXT) | instid1(VALU_DEP_1)
	v_sub_f32_e32 v18, v18, v24
	v_sub_f32_e32 v18, v18, v19
	s_delay_alu instid0(VALU_DEP_3) | instskip(SKIP_1) | instid1(VALU_DEP_3)
	v_sub_f32_e32 v19, v22, v21
	v_max_f32_e64 v21, |v9|, |v9|
	v_add_f32_e32 v16, v16, v18
	v_add_f32_e32 v18, v23, v20
	s_delay_alu instid0(VALU_DEP_1) | instskip(NEXT) | instid1(VALU_DEP_1)
	v_dual_add_f32 v16, v19, v16 :: v_dual_sub_f32 v19, v18, v23
	v_add_f32_e32 v16, v24, v16
	s_delay_alu instid0(VALU_DEP_2) | instskip(SKIP_1) | instid1(VALU_DEP_3)
	v_sub_f32_e32 v19, v20, v19
	v_mul_f32_e32 v24, 0x3f317218, v15
	v_mul_f32_e32 v16, v17, v16
	s_delay_alu instid0(VALU_DEP_2) | instskip(NEXT) | instid1(VALU_DEP_1)
	v_fma_f32 v25, 0x3f317218, v15, -v24
	v_dual_add_f32 v16, v19, v16 :: v_dual_fmac_f32 v25, 0xb102e308, v15
	s_delay_alu instid0(VALU_DEP_1) | instskip(NEXT) | instid1(VALU_DEP_1)
	v_add_f32_e32 v17, v18, v16
	v_mul_f32_e32 v19, v17, v17
	v_ldexp_f32 v23, v17, 1
	s_delay_alu instid0(VALU_DEP_2) | instskip(SKIP_2) | instid1(VALU_DEP_3)
	v_fmaak_f32 v20, s8, v19, 0x3ecc95a3
	v_mul_f32_e32 v22, v17, v19
	v_sub_f32_e32 v17, v17, v18
	v_fmaak_f32 v19, v19, v20, 0x3f2aaada
	v_max_f32_e64 v20, |v8|, |v8|
	s_delay_alu instid0(VALU_DEP_2) | instskip(NEXT) | instid1(VALU_DEP_2)
	v_dual_sub_f32 v16, v16, v17 :: v_dual_mul_f32 v19, v22, v19
	v_max_f32_e32 v22, v20, v21
	v_min_f32_e32 v20, v20, v21
	s_delay_alu instid0(VALU_DEP_3) | instskip(NEXT) | instid1(VALU_DEP_4)
	v_ldexp_f32 v16, v16, 1
	v_add_f32_e32 v18, v23, v19
	s_delay_alu instid0(VALU_DEP_4) | instskip(SKIP_1) | instid1(VALU_DEP_3)
	v_frexp_mant_f32_e32 v21, v22
	v_frexp_exp_i32_f32_e32 v22, v22
	v_sub_f32_e32 v17, v18, v23
	s_delay_alu instid0(VALU_DEP_3) | instskip(SKIP_1) | instid1(VALU_DEP_2)
	v_rcp_f32_e32 v21, v21
	v_frexp_exp_i32_f32_e32 v23, v20
	v_sub_f32_e32 v17, v19, v17
	v_frexp_mant_f32_e32 v19, v20
	s_delay_alu instid0(VALU_DEP_3) | instskip(NEXT) | instid1(VALU_DEP_3)
	v_sub_nc_u32_e32 v20, v23, v22
	v_add_f32_e32 v15, v16, v17
	v_add_f32_e32 v17, v24, v25
	s_delay_alu instid0(VALU_DEP_1) | instskip(NEXT) | instid1(VALU_DEP_1)
	v_sub_f32_e32 v24, v17, v24
	v_sub_f32_e32 v24, v25, v24
	s_delay_alu instid0(TRANS32_DEP_1) | instid1(VALU_DEP_4)
	v_dual_mul_f32 v16, v19, v21 :: v_dual_add_f32 v19, v18, v15
	s_delay_alu instid0(VALU_DEP_1) | instskip(NEXT) | instid1(VALU_DEP_2)
	v_ldexp_f32 v16, v16, v20
	v_add_f32_e32 v20, v17, v19
	s_delay_alu instid0(VALU_DEP_2) | instskip(NEXT) | instid1(VALU_DEP_1)
	v_dual_sub_f32 v18, v19, v18 :: v_dual_mul_f32 v21, v16, v16
	v_dual_sub_f32 v22, v20, v17 :: v_dual_sub_f32 v15, v15, v18
	s_delay_alu instid0(VALU_DEP_1) | instskip(SKIP_1) | instid1(VALU_DEP_3)
	v_dual_fmaak_f32 v23, s10, v21, 0xbc7a590c :: v_dual_sub_f32 v26, v20, v22
	v_sub_f32_e32 v18, v19, v22
	v_add_f32_e32 v22, v24, v15
	s_delay_alu instid0(VALU_DEP_3) | instskip(NEXT) | instid1(VALU_DEP_4)
	v_fmaak_f32 v23, v21, v23, 0x3d29fb3f
	v_sub_f32_e32 v17, v17, v26
	s_delay_alu instid0(VALU_DEP_2) | instskip(NEXT) | instid1(VALU_DEP_1)
	v_fmaak_f32 v19, v21, v23, 0xbd97d4d7
	v_dual_add_f32 v17, v18, v17 :: v_dual_fmaak_f32 v18, v21, v19, 0x3dd931b2
	v_sub_f32_e32 v19, v22, v24
	s_delay_alu instid0(VALU_DEP_2) | instskip(NEXT) | instid1(VALU_DEP_1)
	v_dual_add_f32 v17, v22, v17 :: v_dual_fmaak_f32 v18, v21, v18, 0xbe1160e6
	v_dual_sub_f32 v22, v22, v19 :: v_dual_add_f32 v23, v20, v17
	s_delay_alu instid0(VALU_DEP_2) | instskip(NEXT) | instid1(VALU_DEP_2)
	v_dual_sub_f32 v15, v15, v19 :: v_dual_fmaak_f32 v18, v21, v18, 0x3e4cb8bf
	v_dual_sub_f32 v19, v24, v22 :: v_dual_sub_f32 v20, v23, v20
	s_delay_alu instid0(VALU_DEP_1) | instskip(NEXT) | instid1(VALU_DEP_2)
	v_dual_fmaak_f32 v18, v21, v18, 0xbeaaaa62 :: v_dual_add_f32 v15, v15, v19
	v_sub_f32_e32 v17, v17, v20
	s_delay_alu instid0(VALU_DEP_1) | instskip(NEXT) | instid1(VALU_DEP_1)
	v_dual_mul_f32 v18, v21, v18 :: v_dual_add_f32 v15, v15, v17
	v_dual_fmac_f32 v16, v16, v18 :: v_dual_add_f32 v15, v23, v15
	s_delay_alu instid0(VALU_DEP_1) | instskip(NEXT) | instid1(VALU_DEP_2)
	v_sub_f32_e32 v17, 0x3fc90fdb, v16
	v_cndmask_b32_e32 v15, v15, v6, vcc_lo
	v_cmp_gt_i32_e32 vcc_lo, 0, v8
	s_delay_alu instid0(VALU_DEP_3) | instskip(SKIP_2) | instid1(VALU_DEP_3)
	v_cndmask_b32_e64 v16, v16, v17, s0
	v_cndmask_b32_e64 v17, 0, 0x40490fdb, vcc_lo
	v_cmp_ngt_f32_e32 vcc_lo, -1.0, v6
	v_sub_f32_e32 v18, 0x40490fdb, v16
	v_cndmask_b32_e32 v15, 0x7fc00000, v15, vcc_lo
	v_cmp_gt_f32_e32 vcc_lo, 0, v8
	s_delay_alu instid0(VALU_DEP_2) | instskip(NEXT) | instid1(VALU_DEP_4)
	v_cndmask_b32_e64 v15, 0xff800000, v15, s1
	v_cndmask_b32_e32 v16, v16, v18, vcc_lo
	v_cndmask_b32_e32 v18, 0x3f490fdb, v12, vcc_lo
	v_cmp_gt_f32_e64 vcc_lo, 0x33800000, |v6|
	v_cmp_class_f32_e64 s1, v9, 0x204
	v_cndmask_b32_e32 v6, v15, v6, vcc_lo
	v_cmp_eq_f32_e32 vcc_lo, 0, v9
	s_delay_alu instid0(VALU_DEP_2) | instskip(NEXT) | instid1(VALU_DEP_4)
	v_dual_mul_f32 v6, 0.5, v6 :: v_dual_cndmask_b32 v15, v16, v17
	s_and_b32 vcc_lo, s3, s1
                                        ; implicit-def: $vgpr16
                                        ; implicit-def: $vgpr17
	s_delay_alu instid0(VALU_DEP_1)
	v_cndmask_b32_e32 v15, v15, v18, vcc_lo
.LBB199_202:                            ;   in Loop: Header=BB199_162 Depth=1
	s_and_not1_saveexec_b32 s18, s2
	s_cbranch_execz .LBB199_210
; %bb.203:                              ;   in Loop: Header=BB199_162 Depth=1
	v_mul_f32_e32 v18, v16, v16
                                        ; implicit-def: $vgpr6
                                        ; implicit-def: $vgpr15
	s_mov_b32 s1, exec_lo
	s_delay_alu instid0(VALU_DEP_1) | instskip(NEXT) | instid1(VALU_DEP_1)
	v_fmac_f32_e32 v18, v17, v17
	v_cmpx_ge_f32_e32 0x3f333333, v18
	s_xor_b32 s2, exec_lo, s1
	s_cbranch_execz .LBB199_205
; %bb.204:                              ;   in Loop: Header=BB199_162 Depth=1
	v_max_f32_e64 v6, |v9|, |v9|
	v_max_f32_e64 v15, |v8|, |v8|
	v_cmp_gt_f32_e32 vcc_lo, 0x800000, v18
	v_cmp_gt_i32_e64 s1, 0, v8
	v_cmp_class_f32_e64 s3, v8, 0x204
	v_cmp_class_f32_e64 s4, v9, 0x204
	v_max_f32_e32 v16, v15, v6
	v_min_f32_e32 v6, v15, v6
	v_cndmask_b32_e64 v19, 0, 0x41b17218, vcc_lo
	s_delay_alu instid0(VALU_DEP_3) | instskip(SKIP_1) | instid1(VALU_DEP_2)
	v_frexp_mant_f32_e32 v17, v16
	v_frexp_exp_i32_f32_e32 v16, v16
	v_rcp_f32_e32 v15, v17
	v_frexp_exp_i32_f32_e32 v17, v6
	v_frexp_mant_f32_e32 v6, v6
	s_delay_alu instid0(VALU_DEP_2) | instskip(SKIP_4) | instid1(VALU_DEP_2)
	v_sub_nc_u32_e32 v16, v17, v16
	v_cndmask_b32_e64 v17, 1.0, 0x4f800000, vcc_lo
	s_waitcnt_depctr 0xfff
	v_mul_f32_e32 v6, v6, v15
	v_mul_f32_e32 v17, v18, v17
	v_ldexp_f32 v6, v6, v16
	s_delay_alu instid0(VALU_DEP_2) | instskip(NEXT) | instid1(VALU_DEP_1)
	v_log_f32_e32 v17, v17
	v_mul_f32_e32 v15, v6, v6
	s_delay_alu instid0(VALU_DEP_1) | instskip(SKIP_3) | instid1(VALU_DEP_1)
	v_fmaak_f32 v16, s10, v15, 0xbc7a590c
	s_waitcnt_depctr 0xfff
	v_cmp_gt_f32_e64 vcc_lo, 0x7f800000, |v17|
	v_fmaak_f32 v16, v15, v16, 0x3d29fb3f
	v_fmaak_f32 v16, v15, v16, 0xbd97d4d7
	s_delay_alu instid0(VALU_DEP_1) | instskip(NEXT) | instid1(VALU_DEP_1)
	v_fmaak_f32 v16, v15, v16, 0x3dd931b2
	v_fmaak_f32 v16, v15, v16, 0xbe1160e6
	s_delay_alu instid0(VALU_DEP_1) | instskip(NEXT) | instid1(VALU_DEP_1)
	;; [unrolled: 3-line block ×3, first 2 shown]
	v_dual_mul_f32 v15, v15, v16 :: v_dual_mul_f32 v16, 0x3f317217, v17
	v_fmac_f32_e32 v6, v6, v15
	s_delay_alu instid0(VALU_DEP_2) | instskip(NEXT) | instid1(VALU_DEP_1)
	v_fma_f32 v15, 0x3f317217, v17, -v16
	v_fmac_f32_e32 v15, 0x3377d1cf, v17
	s_delay_alu instid0(VALU_DEP_1) | instskip(SKIP_2) | instid1(VALU_DEP_3)
	v_add_f32_e32 v15, v16, v15
	v_cndmask_b32_e64 v16, 0, 0x40490fdb, s1
	v_cmp_eq_f32_e64 s1, 0, v9
	v_cndmask_b32_e32 v15, v17, v15, vcc_lo
	v_cmp_gt_f32_e32 vcc_lo, 0, v8
	s_delay_alu instid0(VALU_DEP_2) | instskip(SKIP_2) | instid1(VALU_DEP_1)
	v_sub_f32_e32 v15, v15, v19
	v_cndmask_b32_e32 v17, 0x3f490fdb, v12, vcc_lo
	v_sub_f32_e32 v18, 0x3fc90fdb, v6
	v_cndmask_b32_e64 v6, v6, v18, s0
	s_delay_alu instid0(VALU_DEP_1) | instskip(NEXT) | instid1(VALU_DEP_1)
	v_sub_f32_e32 v18, 0x40490fdb, v6
	v_cndmask_b32_e32 v6, v6, v18, vcc_lo
	s_and_b32 vcc_lo, s3, s4
	s_delay_alu instid0(VALU_DEP_1) | instskip(NEXT) | instid1(VALU_DEP_1)
	v_cndmask_b32_e64 v16, v6, v16, s1
	v_dual_mul_f32 v6, 0.5, v15 :: v_dual_cndmask_b32 v15, v16, v17
                                        ; implicit-def: $vgpr17
                                        ; implicit-def: $vgpr16
.LBB199_205:                            ;   in Loop: Header=BB199_162 Depth=1
	s_and_not1_saveexec_b32 s19, s2
	s_cbranch_execz .LBB199_209
; %bb.206:                              ;   in Loop: Header=BB199_162 Depth=1
	v_and_b32_e32 v18, 0x7fff0000, v16
	v_and_b32_e32 v15, 0x7fff0000, v17
	s_mov_b32 s21, 0
	s_delay_alu instid0(VALU_DEP_2) | instskip(SKIP_1) | instid1(VALU_DEP_3)
	v_sub_f32_e32 v19, v16, v18
	v_mul_f32_e32 v16, v18, v18
	v_mul_f32_e32 v6, v15, v15
	v_sub_f32_e32 v17, v17, v15
	s_delay_alu instid0(VALU_DEP_1) | instskip(NEXT) | instid1(VALU_DEP_1)
	v_dual_add_f32 v25, v18, v18 :: v_dual_and_b32 v20, 0xffff0000, v17
	v_dual_sub_f32 v18, v17, v20 :: v_dual_and_b32 v21, 0xffff0000, v19
	s_delay_alu instid0(VALU_DEP_1) | instskip(SKIP_2) | instid1(VALU_DEP_3)
	v_dual_add_f32 v22, v15, v15 :: v_dual_mul_f32 v15, v25, v21
	v_dual_sub_f32 v26, v19, v21 :: v_dual_mul_f32 v17, v20, v20
	v_add_f32_e32 v19, v20, v20
	v_dual_mul_f32 v24, v22, v20 :: v_dual_add_f32 v27, v21, v21
	v_dual_mul_f32 v23, v21, v21 :: v_dual_mul_f32 v20, v22, v18
	s_delay_alu instid0(VALU_DEP_4) | instskip(NEXT) | instid1(VALU_DEP_4)
	v_mul_f32_e32 v22, v25, v26
	v_mul_f32_e32 v21, v19, v18
	;; [unrolled: 1-line block ×5, first 2 shown]
.LBB199_207:                            ;   Parent Loop BB199_162 Depth=1
                                        ; =>  This Inner Loop Header: Depth=2
	v_cmp_nlt_f32_e32 vcc_lo, v6, v16
	s_delay_alu instid0(VALU_DEP_2) | instskip(SKIP_1) | instid1(VALU_DEP_2)
	v_dual_mov_b32 v27, v25 :: v_dual_cndmask_b32 v26, v6, v16
	v_cndmask_b32_e32 v6, v16, v6, vcc_lo
	v_cmp_nlt_f32_e64 s1, v26, v24
	s_delay_alu instid0(VALU_DEP_1) | instskip(SKIP_2) | instid1(VALU_DEP_2)
	v_cndmask_b32_e64 v25, v26, v24, s1
	v_cndmask_b32_e64 v16, v24, v26, s1
	s_and_b32 s22, vcc_lo, s1
	v_cmp_nlt_f32_e64 s2, v25, v15
	s_delay_alu instid0(VALU_DEP_1) | instskip(SKIP_1) | instid1(VALU_DEP_2)
	v_cndmask_b32_e64 v28, v25, v15, s2
	v_cndmask_b32_e64 v24, v15, v25, s2
	v_cmp_nlt_f32_e64 s3, v28, v17
	s_delay_alu instid0(VALU_DEP_1) | instskip(SKIP_2) | instid1(VALU_DEP_2)
	v_cndmask_b32_e64 v26, v28, v17, s3
	v_cndmask_b32_e64 v15, v17, v28, s3
	s_and_b32 s23, s2, s3
	v_cmp_nlt_f32_e64 s4, v26, v23
	s_delay_alu instid0(VALU_DEP_1) | instskip(SKIP_1) | instid1(VALU_DEP_2)
	v_cndmask_b32_e64 v29, v26, v23, s4
	v_cndmask_b32_e64 v17, v23, v26, s4
	v_cmp_nlt_f32_e64 s5, v29, v20
	s_delay_alu instid0(VALU_DEP_1) | instskip(SKIP_2) | instid1(VALU_DEP_2)
	v_cndmask_b32_e64 v30, v29, v20, s5
	s_and_b32 s3, s4, s5
	v_cndmask_b32_e64 v23, v20, v29, s5
	v_cmp_nlt_f32_e64 s6, v30, v22
	s_delay_alu instid0(VALU_DEP_1) | instskip(SKIP_2) | instid1(VALU_DEP_2)
	v_cndmask_b32_e64 v31, v30, v22, s6
	s_and_b32 s3, s3, s6
	v_cndmask_b32_e64 v20, v22, v30, s6
	v_cmp_nlt_f32_e32 vcc_lo, v31, v21
	v_cndmask_b32_e32 v32, v31, v21, vcc_lo
	s_and_b32 s4, s3, vcc_lo
	v_cndmask_b32_e32 v22, v21, v31, vcc_lo
	s_delay_alu instid0(VALU_DEP_2) | instskip(NEXT) | instid1(VALU_DEP_1)
	v_cmp_nlt_f32_e64 s1, v32, v19
	v_cndmask_b32_e64 v28, v32, v19, s1
	s_and_b32 s4, s4, s1
	v_cndmask_b32_e64 v21, v19, v32, s1
	s_delay_alu instid0(VALU_DEP_2) | instskip(NEXT) | instid1(VALU_DEP_1)
	v_cmp_nlt_f32_e64 s2, v28, v18
	v_cndmask_b32_e64 v26, v28, v18, s2
	s_and_b32 s4, s4, s2
	v_cndmask_b32_e64 v19, v18, v28, s2
	s_delay_alu instid0(VALU_DEP_2) | instskip(NEXT) | instid1(VALU_DEP_1)
	v_cmp_nlt_f32_e64 s3, v26, v27
	s_and_b32 s4, s4, s3
	v_cndmask_b32_e64 v25, v26, v27, s3
	s_and_b32 s1, s4, s23
	v_cndmask_b32_e64 v18, v27, v26, s3
	s_and_b32 s1, s1, s22
	s_delay_alu instid0(SALU_CYCLE_1) | instskip(NEXT) | instid1(SALU_CYCLE_1)
	s_and_b32 s1, exec_lo, s1
	s_or_b32 s21, s1, s21
	s_delay_alu instid0(SALU_CYCLE_1)
	s_and_not1_b32 exec_lo, exec_lo, s21
	s_cbranch_execnz .LBB199_207
; %bb.208:                              ;   in Loop: Header=BB199_162 Depth=1
	s_or_b32 exec_lo, exec_lo, s21
	v_add_f32_e32 v6, -1.0, v6
	v_cmp_class_f32_e64 s2, v8, 0x204
	s_delay_alu instid0(VALU_DEP_2) | instskip(NEXT) | instid1(VALU_DEP_1)
	v_add_f32_e32 v6, v6, v16
	v_add_f32_e32 v6, v6, v24
	s_delay_alu instid0(VALU_DEP_1) | instskip(NEXT) | instid1(VALU_DEP_1)
	v_add_f32_e32 v6, v6, v15
	v_add_f32_e32 v6, v6, v17
	s_delay_alu instid0(VALU_DEP_1) | instskip(NEXT) | instid1(VALU_DEP_1)
	v_add_f32_e32 v6, v6, v23
	v_add_f32_e32 v6, v6, v20
	s_delay_alu instid0(VALU_DEP_1) | instskip(NEXT) | instid1(VALU_DEP_1)
	v_add_f32_e32 v6, v6, v22
	v_add_f32_e32 v6, v6, v21
	s_delay_alu instid0(VALU_DEP_1) | instskip(NEXT) | instid1(VALU_DEP_1)
	v_add_f32_e32 v6, v6, v19
	v_add_f32_e32 v6, v6, v18
	s_delay_alu instid0(VALU_DEP_1) | instskip(NEXT) | instid1(VALU_DEP_1)
	v_add_f32_e32 v6, v25, v6
	v_add_f32_e32 v17, 1.0, v6
	s_delay_alu instid0(VALU_DEP_1) | instskip(NEXT) | instid1(VALU_DEP_1)
	v_cvt_f64_f32_e32 v[15:16], v17
	v_frexp_exp_i32_f64_e32 v15, v[15:16]
	v_frexp_mant_f32_e32 v16, v17
	s_delay_alu instid0(VALU_DEP_1) | instskip(SKIP_1) | instid1(VALU_DEP_1)
	v_cmp_gt_f32_e32 vcc_lo, 0x3f2aaaab, v16
	v_add_f32_e32 v16, -1.0, v17
	v_dual_sub_f32 v19, v16, v17 :: v_dual_sub_f32 v16, v6, v16
	s_delay_alu instid0(VALU_DEP_1) | instskip(NEXT) | instid1(VALU_DEP_1)
	v_add_f32_e32 v19, 1.0, v19
	v_add_f32_e32 v16, v16, v19
	v_subrev_co_ci_u32_e32 v15, vcc_lo, 0, v15, vcc_lo
	s_delay_alu instid0(VALU_DEP_1) | instskip(SKIP_1) | instid1(VALU_DEP_2)
	v_sub_nc_u32_e32 v18, 0, v15
	v_cvt_f32_i32_e32 v15, v15
	v_ldexp_f32 v17, v17, v18
	v_ldexp_f32 v16, v16, v18
	s_delay_alu instid0(VALU_DEP_2) | instskip(NEXT) | instid1(VALU_DEP_1)
	v_add_f32_e32 v20, 1.0, v17
	v_dual_add_f32 v18, -1.0, v17 :: v_dual_add_f32 v19, -1.0, v20
	s_delay_alu instid0(VALU_DEP_1) | instskip(NEXT) | instid1(VALU_DEP_2)
	v_add_f32_e32 v21, 1.0, v18
	v_sub_f32_e32 v19, v17, v19
	s_delay_alu instid0(VALU_DEP_2) | instskip(NEXT) | instid1(VALU_DEP_2)
	v_sub_f32_e32 v17, v17, v21
	v_add_f32_e32 v19, v16, v19
	s_delay_alu instid0(VALU_DEP_2) | instskip(NEXT) | instid1(VALU_DEP_1)
	v_add_f32_e32 v16, v16, v17
	v_dual_add_f32 v21, v20, v19 :: v_dual_add_f32 v22, v18, v16
	s_delay_alu instid0(VALU_DEP_1) | instskip(SKIP_1) | instid1(VALU_DEP_1)
	v_rcp_f32_e32 v17, v21
	v_sub_f32_e32 v20, v21, v20
	v_dual_sub_f32 v18, v22, v18 :: v_dual_sub_f32 v19, v19, v20
	s_waitcnt_depctr 0xfff
	v_dual_sub_f32 v16, v16, v18 :: v_dual_mul_f32 v23, v22, v17
	v_cmp_eq_f32_e32 vcc_lo, 0x7f800000, v6
	v_cmp_neq_f32_e64 s1, -1.0, v6
	s_delay_alu instid0(VALU_DEP_3) | instskip(NEXT) | instid1(VALU_DEP_1)
	v_mul_f32_e32 v24, v21, v23
	v_fma_f32 v20, v23, v21, -v24
	s_delay_alu instid0(VALU_DEP_1) | instskip(NEXT) | instid1(VALU_DEP_1)
	v_fmac_f32_e32 v20, v23, v19
	v_add_f32_e32 v25, v24, v20
	s_delay_alu instid0(VALU_DEP_1) | instskip(SKIP_1) | instid1(VALU_DEP_2)
	v_sub_f32_e32 v26, v22, v25
	v_sub_f32_e32 v18, v25, v24
	;; [unrolled: 1-line block ×3, first 2 shown]
	s_delay_alu instid0(VALU_DEP_2) | instskip(NEXT) | instid1(VALU_DEP_2)
	v_sub_f32_e32 v18, v18, v20
	v_sub_f32_e32 v22, v22, v25
	s_delay_alu instid0(VALU_DEP_1) | instskip(NEXT) | instid1(VALU_DEP_1)
	v_add_f32_e32 v16, v16, v22
	v_add_f32_e32 v16, v18, v16
	s_delay_alu instid0(VALU_DEP_1) | instskip(NEXT) | instid1(VALU_DEP_1)
	v_add_f32_e32 v18, v26, v16
	v_mul_f32_e32 v20, v17, v18
	s_delay_alu instid0(VALU_DEP_1) | instskip(NEXT) | instid1(VALU_DEP_1)
	v_dual_sub_f32 v25, v26, v18 :: v_dual_mul_f32 v22, v21, v20
	v_add_f32_e32 v16, v16, v25
	s_delay_alu instid0(VALU_DEP_2) | instskip(NEXT) | instid1(VALU_DEP_1)
	v_fma_f32 v21, v20, v21, -v22
	v_fmac_f32_e32 v21, v20, v19
	s_delay_alu instid0(VALU_DEP_1) | instskip(NEXT) | instid1(VALU_DEP_1)
	v_add_f32_e32 v19, v22, v21
	v_sub_f32_e32 v24, v18, v19
	v_sub_f32_e32 v22, v19, v22
	s_delay_alu instid0(VALU_DEP_2) | instskip(NEXT) | instid1(VALU_DEP_1)
	v_sub_f32_e32 v18, v18, v24
	v_sub_f32_e32 v18, v18, v19
	s_delay_alu instid0(VALU_DEP_3) | instskip(SKIP_1) | instid1(VALU_DEP_3)
	v_sub_f32_e32 v19, v22, v21
	v_max_f32_e64 v21, |v9|, |v9|
	v_add_f32_e32 v16, v16, v18
	v_add_f32_e32 v18, v23, v20
	s_delay_alu instid0(VALU_DEP_1) | instskip(NEXT) | instid1(VALU_DEP_1)
	v_dual_add_f32 v16, v19, v16 :: v_dual_sub_f32 v19, v18, v23
	v_add_f32_e32 v16, v24, v16
	s_delay_alu instid0(VALU_DEP_2) | instskip(SKIP_1) | instid1(VALU_DEP_3)
	v_sub_f32_e32 v19, v20, v19
	v_mul_f32_e32 v24, 0x3f317218, v15
	v_mul_f32_e32 v16, v17, v16
	s_delay_alu instid0(VALU_DEP_2) | instskip(NEXT) | instid1(VALU_DEP_1)
	v_fma_f32 v25, 0x3f317218, v15, -v24
	v_dual_add_f32 v16, v19, v16 :: v_dual_fmac_f32 v25, 0xb102e308, v15
	s_delay_alu instid0(VALU_DEP_1) | instskip(NEXT) | instid1(VALU_DEP_1)
	v_add_f32_e32 v17, v18, v16
	v_mul_f32_e32 v19, v17, v17
	v_ldexp_f32 v23, v17, 1
	s_delay_alu instid0(VALU_DEP_2) | instskip(SKIP_2) | instid1(VALU_DEP_3)
	v_fmaak_f32 v20, s8, v19, 0x3ecc95a3
	v_mul_f32_e32 v22, v17, v19
	v_sub_f32_e32 v17, v17, v18
	v_fmaak_f32 v19, v19, v20, 0x3f2aaada
	v_max_f32_e64 v20, |v8|, |v8|
	s_delay_alu instid0(VALU_DEP_2) | instskip(NEXT) | instid1(VALU_DEP_2)
	v_dual_sub_f32 v16, v16, v17 :: v_dual_mul_f32 v19, v22, v19
	v_max_f32_e32 v22, v20, v21
	v_min_f32_e32 v20, v20, v21
	s_delay_alu instid0(VALU_DEP_3) | instskip(NEXT) | instid1(VALU_DEP_4)
	v_ldexp_f32 v16, v16, 1
	v_add_f32_e32 v18, v23, v19
	s_delay_alu instid0(VALU_DEP_4) | instskip(SKIP_1) | instid1(VALU_DEP_3)
	v_frexp_mant_f32_e32 v21, v22
	v_frexp_exp_i32_f32_e32 v22, v22
	v_sub_f32_e32 v17, v18, v23
	s_delay_alu instid0(VALU_DEP_3) | instskip(SKIP_1) | instid1(VALU_DEP_2)
	v_rcp_f32_e32 v21, v21
	v_frexp_exp_i32_f32_e32 v23, v20
	v_sub_f32_e32 v17, v19, v17
	v_frexp_mant_f32_e32 v19, v20
	s_delay_alu instid0(VALU_DEP_3) | instskip(NEXT) | instid1(VALU_DEP_3)
	v_sub_nc_u32_e32 v20, v23, v22
	v_add_f32_e32 v15, v16, v17
	s_waitcnt_depctr 0xfff
	v_mul_f32_e32 v16, v19, v21
	v_add_f32_e32 v17, v24, v25
	v_add_f32_e32 v19, v18, v15
	s_delay_alu instid0(VALU_DEP_3) | instskip(NEXT) | instid1(VALU_DEP_3)
	v_ldexp_f32 v16, v16, v20
	v_sub_f32_e32 v24, v17, v24
	s_delay_alu instid0(VALU_DEP_2) | instskip(SKIP_1) | instid1(VALU_DEP_3)
	v_dual_add_f32 v20, v17, v19 :: v_dual_mul_f32 v21, v16, v16
	v_sub_f32_e32 v18, v19, v18
	v_sub_f32_e32 v24, v25, v24
	s_delay_alu instid0(VALU_DEP_3) | instskip(NEXT) | instid1(VALU_DEP_4)
	v_sub_f32_e32 v22, v20, v17
	v_fmaak_f32 v23, s10, v21, 0xbc7a590c
	s_delay_alu instid0(VALU_DEP_4) | instskip(NEXT) | instid1(VALU_DEP_2)
	v_sub_f32_e32 v15, v15, v18
	v_dual_sub_f32 v26, v20, v22 :: v_dual_fmaak_f32 v23, v21, v23, 0x3d29fb3f
	v_sub_f32_e32 v18, v19, v22
	s_delay_alu instid0(VALU_DEP_2) | instskip(NEXT) | instid1(VALU_DEP_3)
	v_dual_add_f32 v22, v24, v15 :: v_dual_sub_f32 v17, v17, v26
	v_fmaak_f32 v19, v21, v23, 0xbd97d4d7
	s_delay_alu instid0(VALU_DEP_1) | instskip(NEXT) | instid1(VALU_DEP_3)
	v_dual_add_f32 v17, v18, v17 :: v_dual_fmaak_f32 v18, v21, v19, 0x3dd931b2
	v_sub_f32_e32 v19, v22, v24
	s_delay_alu instid0(VALU_DEP_2) | instskip(NEXT) | instid1(VALU_DEP_2)
	v_dual_add_f32 v17, v22, v17 :: v_dual_fmaak_f32 v18, v21, v18, 0xbe1160e6
	v_sub_f32_e32 v22, v22, v19
	v_sub_f32_e32 v15, v15, v19
	s_delay_alu instid0(VALU_DEP_3) | instskip(NEXT) | instid1(VALU_DEP_1)
	v_dual_add_f32 v23, v20, v17 :: v_dual_fmaak_f32 v18, v21, v18, 0x3e4cb8bf
	v_dual_sub_f32 v19, v24, v22 :: v_dual_sub_f32 v20, v23, v20
	s_delay_alu instid0(VALU_DEP_1) | instskip(NEXT) | instid1(VALU_DEP_2)
	v_dual_fmaak_f32 v18, v21, v18, 0xbeaaaa62 :: v_dual_add_f32 v15, v15, v19
	v_sub_f32_e32 v17, v17, v20
	s_delay_alu instid0(VALU_DEP_1) | instskip(NEXT) | instid1(VALU_DEP_1)
	v_dual_mul_f32 v18, v21, v18 :: v_dual_add_f32 v15, v15, v17
	v_dual_fmac_f32 v16, v16, v18 :: v_dual_add_f32 v15, v23, v15
	s_delay_alu instid0(VALU_DEP_1) | instskip(NEXT) | instid1(VALU_DEP_2)
	v_sub_f32_e32 v17, 0x3fc90fdb, v16
	v_cndmask_b32_e32 v15, v15, v6, vcc_lo
	v_cmp_gt_i32_e32 vcc_lo, 0, v8
	s_delay_alu instid0(VALU_DEP_3) | instskip(SKIP_2) | instid1(VALU_DEP_3)
	v_cndmask_b32_e64 v16, v16, v17, s0
	v_cndmask_b32_e64 v17, 0, 0x40490fdb, vcc_lo
	v_cmp_ngt_f32_e32 vcc_lo, -1.0, v6
	v_sub_f32_e32 v18, 0x40490fdb, v16
	v_cndmask_b32_e32 v15, 0x7fc00000, v15, vcc_lo
	v_cmp_gt_f32_e32 vcc_lo, 0, v8
	s_delay_alu instid0(VALU_DEP_2) | instskip(NEXT) | instid1(VALU_DEP_4)
	v_cndmask_b32_e64 v15, 0xff800000, v15, s1
	v_cndmask_b32_e32 v16, v16, v18, vcc_lo
	v_cndmask_b32_e32 v18, 0x3f490fdb, v12, vcc_lo
	v_cmp_gt_f32_e64 vcc_lo, 0x33800000, |v6|
	v_cmp_class_f32_e64 s1, v9, 0x204
	v_cndmask_b32_e32 v6, v15, v6, vcc_lo
	v_cmp_eq_f32_e32 vcc_lo, 0, v9
	s_delay_alu instid0(VALU_DEP_2) | instskip(NEXT) | instid1(VALU_DEP_4)
	v_dual_mul_f32 v6, 0.5, v6 :: v_dual_cndmask_b32 v15, v16, v17
	s_and_b32 vcc_lo, s2, s1
	s_delay_alu instid0(VALU_DEP_1)
	v_cndmask_b32_e32 v15, v15, v18, vcc_lo
.LBB199_209:                            ;   in Loop: Header=BB199_162 Depth=1
	s_or_b32 exec_lo, exec_lo, s19
.LBB199_210:                            ;   in Loop: Header=BB199_162 Depth=1
	s_delay_alu instid0(SALU_CYCLE_1)
	s_or_b32 exec_lo, exec_lo, s18
.LBB199_211:                            ;   in Loop: Header=BB199_162 Depth=1
	s_and_not1_saveexec_b32 s2, s17
	s_cbranch_execz .LBB199_213
; %bb.212:                              ;   in Loop: Header=BB199_162 Depth=1
	v_max_f32_e64 v6, |v9|, |v9|
	v_max_f32_e64 v17, |v8|, |v8|
	v_cmp_gt_i32_e64 s1, 0, v8
	v_cmp_class_f32_e64 s3, v8, 0x204
	v_cmp_class_f32_e64 s4, v9, 0x204
	s_delay_alu instid0(VALU_DEP_4) | instskip(SKIP_1) | instid1(VALU_DEP_2)
	v_max_f32_e32 v18, v17, v6
	v_min_f32_e32 v6, v17, v6
	v_cvt_f64_f32_e32 v[15:16], v18
	v_frexp_exp_i32_f32_e32 v17, v18
	s_delay_alu instid0(VALU_DEP_3) | instskip(SKIP_1) | instid1(VALU_DEP_2)
	v_frexp_exp_i32_f32_e32 v19, v6
	v_frexp_mant_f32_e32 v6, v6
	v_sub_nc_u32_e32 v17, v19, v17
	v_frexp_exp_i32_f64_e32 v15, v[15:16]
	v_frexp_mant_f32_e32 v16, v18
	s_delay_alu instid0(VALU_DEP_1) | instskip(SKIP_2) | instid1(VALU_DEP_1)
	v_rcp_f32_e32 v16, v16
	s_waitcnt_depctr 0xfff
	v_mul_f32_e32 v6, v6, v16
	v_ldexp_f32 v6, v6, v17
	s_delay_alu instid0(VALU_DEP_1) | instskip(SKIP_1) | instid1(VALU_DEP_1)
	v_mul_f32_e32 v19, v6, v6
	v_sub_nc_u32_e32 v20, 0, v15
	v_ldexp_f32 v16, |v9|, v20
	v_ldexp_f32 v17, |v8|, v20
	s_delay_alu instid0(VALU_DEP_2) | instskip(NEXT) | instid1(VALU_DEP_1)
	v_mul_f32_e32 v16, v16, v16
	v_dual_fmac_f32 v16, v17, v17 :: v_dual_fmaak_f32 v17, s10, v19, 0xbc7a590c
	v_cmp_neq_f32_e32 vcc_lo, 0x7f800000, v18
	s_delay_alu instid0(VALU_DEP_2) | instskip(NEXT) | instid1(VALU_DEP_2)
	v_sqrt_f32_e32 v16, v16
	v_fmaak_f32 v17, v19, v17, 0x3d29fb3f
	s_delay_alu instid0(VALU_DEP_1) | instskip(SKIP_3) | instid1(VALU_DEP_2)
	v_fmaak_f32 v17, v19, v17, 0xbd97d4d7
	s_waitcnt_depctr 0xfff
	v_ldexp_f32 v15, v16, v15
	v_fmaak_f32 v16, v19, v17, 0x3dd931b2
	v_cndmask_b32_e32 v15, 0x7f800000, v15, vcc_lo
	s_delay_alu instid0(VALU_DEP_2) | instskip(NEXT) | instid1(VALU_DEP_2)
	v_fmaak_f32 v16, v19, v16, 0xbe1160e6
	v_cmp_gt_f32_e32 vcc_lo, 0x800000, v15
	s_delay_alu instid0(VALU_DEP_2) | instskip(SKIP_1) | instid1(VALU_DEP_2)
	v_fmaak_f32 v16, v19, v16, 0x3e4cb8bf
	v_cndmask_b32_e64 v17, 1.0, 0x4f800000, vcc_lo
	v_fmaak_f32 v16, v19, v16, 0xbeaaaa62
	s_delay_alu instid0(VALU_DEP_1) | instskip(NEXT) | instid1(VALU_DEP_1)
	v_mul_f32_e32 v16, v19, v16
	v_dual_mul_f32 v15, v15, v17 :: v_dual_fmac_f32 v6, v6, v16
	s_delay_alu instid0(VALU_DEP_1) | instskip(NEXT) | instid1(VALU_DEP_1)
	v_log_f32_e32 v15, v15
	v_sub_f32_e32 v17, 0x3fc90fdb, v6
	s_delay_alu instid0(VALU_DEP_1)
	v_cndmask_b32_e64 v6, v6, v17, s0
	s_waitcnt_depctr 0xfff
	v_mul_f32_e32 v16, 0x3f317217, v15
	v_cndmask_b32_e64 v17, 0, 0x40490fdb, s1
	v_cmp_gt_f32_e64 s1, 0, v8
	v_sub_f32_e32 v19, 0x40490fdb, v6
	s_delay_alu instid0(VALU_DEP_4) | instskip(NEXT) | instid1(VALU_DEP_2)
	v_fma_f32 v18, 0x3f317217, v15, -v16
	v_cndmask_b32_e64 v6, v6, v19, s1
	v_cndmask_b32_e64 v19, 0, 0x41b17218, vcc_lo
	v_cmp_gt_f32_e64 vcc_lo, 0x7f800000, |v15|
	s_delay_alu instid0(VALU_DEP_4) | instskip(NEXT) | instid1(VALU_DEP_1)
	v_fmac_f32_e32 v18, 0x3377d1cf, v15
	v_add_f32_e32 v16, v16, v18
	v_cndmask_b32_e64 v18, 0x3f490fdb, v12, s1
	s_delay_alu instid0(VALU_DEP_2) | instskip(SKIP_3) | instid1(VALU_DEP_1)
	v_cndmask_b32_e32 v15, v15, v16, vcc_lo
	v_cmp_eq_f32_e32 vcc_lo, 0, v9
	v_cndmask_b32_e32 v16, v6, v17, vcc_lo
	s_and_b32 vcc_lo, s3, s4
	v_dual_sub_f32 v6, v15, v19 :: v_dual_cndmask_b32 v15, v16, v18
.LBB199_213:                            ;   in Loop: Header=BB199_162 Depth=1
	s_or_b32 exec_lo, exec_lo, s2
                                        ; implicit-def: $vgpr16
.LBB199_214:                            ;   in Loop: Header=BB199_162 Depth=1
	s_and_not1_saveexec_b32 s2, s16
	s_cbranch_execz .LBB199_220
; %bb.215:                              ;   in Loop: Header=BB199_162 Depth=1
                                        ; implicit-def: $vgpr6
                                        ; implicit-def: $vgpr15
	s_mov_b32 s1, exec_lo
	v_cmpx_ngt_f32_e32 0x1fec1e4a, v16
	s_xor_b32 s3, exec_lo, s1
	s_cbranch_execz .LBB199_217
; %bb.216:                              ;   in Loop: Header=BB199_162 Depth=1
	v_mul_f32_e32 v6, v16, v16
	v_cmp_gt_f32_e64 s1, 0, v8
	v_cmp_class_f32_e64 s4, v8, 0x204
	v_cmp_class_f32_e64 s6, v9, 0x204
	s_delay_alu instid0(VALU_DEP_4) | instskip(NEXT) | instid1(VALU_DEP_1)
	v_add_f32_e32 v17, 1.0, v6
	v_cvt_f64_f32_e32 v[15:16], v17
	s_delay_alu instid0(VALU_DEP_1) | instskip(SKIP_1) | instid1(VALU_DEP_1)
	v_frexp_exp_i32_f64_e32 v15, v[15:16]
	v_frexp_mant_f32_e32 v16, v17
	v_cmp_gt_f32_e32 vcc_lo, 0x3f2aaaab, v16
	v_add_f32_e32 v16, -1.0, v17
	s_delay_alu instid0(VALU_DEP_1) | instskip(NEXT) | instid1(VALU_DEP_1)
	v_sub_f32_e32 v19, v16, v17
	v_dual_add_f32 v19, 1.0, v19 :: v_dual_sub_f32 v16, v6, v16
	v_cmp_gt_f32_e64 s5, 0x33800000, |v6|
	s_delay_alu instid0(VALU_DEP_2) | instskip(SKIP_2) | instid1(VALU_DEP_2)
	v_add_f32_e32 v16, v16, v19
	v_subrev_co_ci_u32_e32 v15, vcc_lo, 0, v15, vcc_lo
	v_cmp_gt_i32_e32 vcc_lo, 0, v8
	v_sub_nc_u32_e32 v18, 0, v15
	v_cvt_f32_i32_e32 v15, v15
	s_delay_alu instid0(VALU_DEP_2) | instskip(SKIP_1) | instid1(VALU_DEP_2)
	v_ldexp_f32 v17, v17, v18
	v_ldexp_f32 v16, v16, v18
	v_add_f32_e32 v20, 1.0, v17
	s_delay_alu instid0(VALU_DEP_1) | instskip(NEXT) | instid1(VALU_DEP_1)
	v_add_f32_e32 v19, -1.0, v20
	v_dual_sub_f32 v19, v17, v19 :: v_dual_add_f32 v18, -1.0, v17
	s_delay_alu instid0(VALU_DEP_1) | instskip(NEXT) | instid1(VALU_DEP_2)
	v_add_f32_e32 v19, v16, v19
	v_add_f32_e32 v21, 1.0, v18
	s_delay_alu instid0(VALU_DEP_1) | instskip(NEXT) | instid1(VALU_DEP_1)
	v_sub_f32_e32 v17, v17, v21
	v_add_f32_e32 v16, v16, v17
	s_delay_alu instid0(VALU_DEP_1) | instskip(NEXT) | instid1(VALU_DEP_1)
	v_dual_add_f32 v22, v18, v16 :: v_dual_add_f32 v21, v20, v19
	v_rcp_f32_e32 v17, v21
	v_sub_f32_e32 v20, v20, v21
	s_delay_alu instid0(VALU_DEP_1) | instskip(SKIP_2) | instid1(VALU_DEP_1)
	v_dual_add_f32 v19, v19, v20 :: v_dual_sub_f32 v18, v18, v22
	s_waitcnt_depctr 0xfff
	v_dual_mul_f32 v23, v22, v17 :: v_dual_add_f32 v16, v16, v18
	v_mul_f32_e32 v24, v21, v23
	s_delay_alu instid0(VALU_DEP_1) | instskip(NEXT) | instid1(VALU_DEP_1)
	v_fma_f32 v20, v23, v21, -v24
	v_fmac_f32_e32 v20, v23, v19
	s_delay_alu instid0(VALU_DEP_1) | instskip(NEXT) | instid1(VALU_DEP_1)
	v_add_f32_e32 v25, v24, v20
	v_sub_f32_e32 v26, v22, v25
	s_delay_alu instid0(VALU_DEP_1) | instskip(SKIP_1) | instid1(VALU_DEP_2)
	v_sub_f32_e32 v22, v22, v26
	v_sub_f32_e32 v18, v25, v24
	;; [unrolled: 1-line block ×3, first 2 shown]
	s_delay_alu instid0(VALU_DEP_2) | instskip(NEXT) | instid1(VALU_DEP_2)
	v_sub_f32_e32 v18, v18, v20
	v_add_f32_e32 v16, v16, v22
	s_delay_alu instid0(VALU_DEP_1) | instskip(NEXT) | instid1(VALU_DEP_1)
	v_add_f32_e32 v16, v18, v16
	v_add_f32_e32 v18, v26, v16
	s_delay_alu instid0(VALU_DEP_1) | instskip(NEXT) | instid1(VALU_DEP_1)
	v_mul_f32_e32 v20, v17, v18
	v_dual_sub_f32 v25, v26, v18 :: v_dual_mul_f32 v22, v21, v20
	s_delay_alu instid0(VALU_DEP_1) | instskip(NEXT) | instid1(VALU_DEP_2)
	v_add_f32_e32 v16, v16, v25
	v_fma_f32 v21, v20, v21, -v22
	s_delay_alu instid0(VALU_DEP_1) | instskip(NEXT) | instid1(VALU_DEP_1)
	v_fmac_f32_e32 v21, v20, v19
	v_add_f32_e32 v19, v22, v21
	s_delay_alu instid0(VALU_DEP_1) | instskip(SKIP_1) | instid1(VALU_DEP_2)
	v_sub_f32_e32 v24, v18, v19
	v_sub_f32_e32 v22, v19, v22
	;; [unrolled: 1-line block ×3, first 2 shown]
	s_delay_alu instid0(VALU_DEP_1) | instskip(NEXT) | instid1(VALU_DEP_1)
	v_sub_f32_e32 v18, v18, v19
	v_dual_sub_f32 v19, v22, v21 :: v_dual_add_f32 v16, v16, v18
	v_add_f32_e32 v18, v23, v20
	s_delay_alu instid0(VALU_DEP_1) | instskip(NEXT) | instid1(VALU_DEP_1)
	v_dual_add_f32 v16, v19, v16 :: v_dual_sub_f32 v19, v18, v23
	v_add_f32_e32 v16, v24, v16
	s_delay_alu instid0(VALU_DEP_2) | instskip(SKIP_1) | instid1(VALU_DEP_3)
	v_sub_f32_e32 v19, v20, v19
	v_max_f32_e64 v20, |v8|, |v8|
	v_mul_f32_e32 v16, v17, v16
	v_max_f32_e64 v17, |v9|, |v9|
	s_delay_alu instid0(VALU_DEP_2) | instskip(NEXT) | instid1(VALU_DEP_2)
	v_add_f32_e32 v16, v19, v16
	v_max_f32_e32 v22, v20, v17
	v_min_f32_e32 v17, v20, v17
	s_delay_alu instid0(VALU_DEP_3) | instskip(NEXT) | instid1(VALU_DEP_3)
	v_add_f32_e32 v19, v18, v16
	v_frexp_mant_f32_e32 v24, v22
	v_frexp_exp_i32_f32_e32 v20, v22
	s_delay_alu instid0(VALU_DEP_3) | instskip(SKIP_1) | instid1(VALU_DEP_2)
	v_mul_f32_e32 v21, v19, v19
	v_ldexp_f32 v25, v19, 1
	v_dual_sub_f32 v18, v19, v18 :: v_dual_fmaak_f32 v23, s8, v21, 0x3ecc95a3
	v_mul_f32_e32 v22, v19, v21
	s_delay_alu instid0(VALU_DEP_2) | instskip(SKIP_3) | instid1(VALU_DEP_3)
	v_dual_sub_f32 v16, v16, v18 :: v_dual_fmaak_f32 v21, v21, v23, 0x3f2aaada
	v_rcp_f32_e32 v23, v24
	v_frexp_exp_i32_f32_e32 v24, v17
	v_frexp_mant_f32_e32 v17, v17
	v_ldexp_f32 v16, v16, 1
	v_dual_mul_f32 v21, v22, v21 :: v_dual_mul_f32 v22, 0x3f317218, v15
	s_delay_alu instid0(VALU_DEP_4) | instskip(NEXT) | instid1(VALU_DEP_2)
	v_sub_nc_u32_e32 v20, v24, v20
	v_add_f32_e32 v19, v25, v21
	s_delay_alu instid0(TRANS32_DEP_1) | instid1(VALU_DEP_1)
	v_dual_mul_f32 v17, v17, v23 :: v_dual_sub_f32 v18, v19, v25
	s_delay_alu instid0(VALU_DEP_1) | instskip(SKIP_1) | instid1(VALU_DEP_3)
	v_ldexp_f32 v17, v17, v20
	v_fma_f32 v20, 0x3f317218, v15, -v22
	v_sub_f32_e32 v18, v21, v18
	s_delay_alu instid0(VALU_DEP_2) | instskip(NEXT) | instid1(VALU_DEP_1)
	v_dual_mul_f32 v21, v17, v17 :: v_dual_fmac_f32 v20, 0xb102e308, v15
	v_dual_add_f32 v15, v16, v18 :: v_dual_fmaak_f32 v16, s10, v21, 0xbc7a590c
	s_delay_alu instid0(VALU_DEP_1) | instskip(NEXT) | instid1(VALU_DEP_2)
	v_dual_add_f32 v18, v22, v20 :: v_dual_add_f32 v23, v19, v15
	v_fmaak_f32 v16, v21, v16, 0x3d29fb3f
	s_delay_alu instid0(VALU_DEP_2) | instskip(NEXT) | instid1(VALU_DEP_3)
	v_sub_f32_e32 v22, v18, v22
	v_add_f32_e32 v24, v18, v23
	s_delay_alu instid0(VALU_DEP_3) | instskip(NEXT) | instid1(VALU_DEP_3)
	v_dual_fmaak_f32 v16, v21, v16, 0xbd97d4d7 :: v_dual_sub_f32 v19, v23, v19
	v_sub_f32_e32 v20, v20, v22
	s_delay_alu instid0(VALU_DEP_2) | instskip(NEXT) | instid1(VALU_DEP_1)
	v_dual_sub_f32 v25, v24, v18 :: v_dual_fmaak_f32 v16, v21, v16, 0x3dd931b2
	v_dual_sub_f32 v15, v15, v19 :: v_dual_sub_f32 v26, v24, v25
	s_delay_alu instid0(VALU_DEP_2) | instskip(NEXT) | instid1(VALU_DEP_2)
	v_dual_fmaak_f32 v16, v21, v16, 0xbe1160e6 :: v_dual_sub_f32 v19, v23, v25
	v_add_f32_e32 v22, v20, v15
	s_delay_alu instid0(VALU_DEP_3) | instskip(NEXT) | instid1(VALU_DEP_3)
	v_sub_f32_e32 v18, v18, v26
	v_fmaak_f32 v16, v21, v16, 0x3e4cb8bf
	s_delay_alu instid0(VALU_DEP_2) | instskip(NEXT) | instid1(VALU_DEP_2)
	v_add_f32_e32 v18, v19, v18
	v_fmaak_f32 v16, v21, v16, 0xbeaaaa62
	v_sub_f32_e32 v19, v22, v20
	s_delay_alu instid0(VALU_DEP_3) | instskip(NEXT) | instid1(VALU_DEP_2)
	v_add_f32_e32 v18, v22, v18
	v_dual_mul_f32 v16, v21, v16 :: v_dual_sub_f32 v21, v22, v19
	s_delay_alu instid0(VALU_DEP_2) | instskip(NEXT) | instid1(VALU_DEP_2)
	v_dual_sub_f32 v15, v15, v19 :: v_dual_add_f32 v22, v24, v18
	v_dual_fmac_f32 v17, v17, v16 :: v_dual_sub_f32 v16, v20, v21
	s_delay_alu instid0(VALU_DEP_1) | instskip(NEXT) | instid1(VALU_DEP_1)
	v_dual_sub_f32 v19, v22, v24 :: v_dual_sub_f32 v20, 0x3fc90fdb, v17
	v_dual_add_f32 v15, v15, v16 :: v_dual_sub_f32 v16, v18, v19
	s_delay_alu instid0(VALU_DEP_2) | instskip(SKIP_2) | instid1(VALU_DEP_3)
	v_cndmask_b32_e64 v17, v17, v20, s0
	v_cndmask_b32_e64 v18, 0, 0x40490fdb, vcc_lo
	v_cmp_eq_f32_e32 vcc_lo, 0x7f800000, v6
	v_dual_add_f32 v15, v15, v16 :: v_dual_sub_f32 v16, 0x40490fdb, v17
	s_or_b32 vcc_lo, vcc_lo, s5
	s_delay_alu instid0(VALU_DEP_1) | instskip(NEXT) | instid1(VALU_DEP_2)
	v_add_f32_e32 v15, v22, v15
	v_cndmask_b32_e64 v16, v17, v16, s1
	v_cndmask_b32_e64 v17, 0x3f490fdb, v12, s1
	s_delay_alu instid0(VALU_DEP_3) | instskip(SKIP_1) | instid1(VALU_DEP_2)
	v_cndmask_b32_e32 v6, v15, v6, vcc_lo
	v_cmp_eq_f32_e32 vcc_lo, 0, v9
	v_mul_f32_e32 v6, 0.5, v6
	v_cndmask_b32_e32 v15, v16, v18, vcc_lo
	s_and_b32 vcc_lo, s4, s6
                                        ; implicit-def: $vgpr16
	s_delay_alu instid0(VALU_DEP_1)
	v_cndmask_b32_e32 v15, v15, v17, vcc_lo
.LBB199_217:                            ;   in Loop: Header=BB199_162 Depth=1
	s_and_not1_saveexec_b32 s3, s3
	s_cbranch_execz .LBB199_219
; %bb.218:                              ;   in Loop: Header=BB199_162 Depth=1
	v_max_f32_e64 v6, |v9|, |v9|
	v_max_f32_e64 v15, |v8|, |v8|
	v_cmp_gt_i32_e32 vcc_lo, 0, v8
	v_cmp_eq_f32_e64 s1, 0, v9
	v_cmp_class_f32_e64 s4, v8, 0x204
	v_cmp_class_f32_e64 s5, v9, 0x204
	v_max_f32_e32 v17, v15, v6
	v_min_f32_e32 v6, v15, v6
	s_delay_alu instid0(VALU_DEP_2) | instskip(NEXT) | instid1(VALU_DEP_1)
	v_frexp_mant_f32_e32 v18, v17
	v_rcp_f32_e32 v15, v18
	s_delay_alu instid0(VALU_DEP_2) | instskip(SKIP_4) | instid1(VALU_DEP_1)
	v_frexp_exp_i32_f32_e32 v18, v6
	v_frexp_mant_f32_e32 v6, v6
	s_waitcnt_depctr 0xfff
	v_mul_f32_e32 v6, v6, v15
	v_frexp_exp_i32_f32_e32 v17, v17
	v_sub_nc_u32_e32 v17, v18, v17
	s_delay_alu instid0(VALU_DEP_1) | instskip(NEXT) | instid1(VALU_DEP_1)
	v_ldexp_f32 v6, v6, v17
	v_mul_f32_e32 v15, v6, v6
	s_delay_alu instid0(VALU_DEP_1) | instskip(NEXT) | instid1(VALU_DEP_1)
	v_fmaak_f32 v17, s10, v15, 0xbc7a590c
	v_fmaak_f32 v17, v15, v17, 0x3d29fb3f
	s_delay_alu instid0(VALU_DEP_1) | instskip(NEXT) | instid1(VALU_DEP_1)
	v_fmaak_f32 v17, v15, v17, 0xbd97d4d7
	v_fmaak_f32 v17, v15, v17, 0x3dd931b2
	;; [unrolled: 3-line block ×3, first 2 shown]
	s_delay_alu instid0(VALU_DEP_1) | instskip(NEXT) | instid1(VALU_DEP_1)
	v_fmaak_f32 v17, v15, v17, 0xbeaaaa62
	v_mul_f32_e32 v15, v15, v17
	v_cndmask_b32_e64 v17, 0, 0x40490fdb, vcc_lo
	v_cmp_gt_f32_e32 vcc_lo, 0, v8
	s_delay_alu instid0(VALU_DEP_3) | instskip(SKIP_1) | instid1(VALU_DEP_2)
	v_fmac_f32_e32 v6, v6, v15
	v_cndmask_b32_e32 v18, 0x3f490fdb, v12, vcc_lo
	v_sub_f32_e32 v15, 0x3fc90fdb, v6
	s_delay_alu instid0(VALU_DEP_1) | instskip(NEXT) | instid1(VALU_DEP_1)
	v_cndmask_b32_e64 v6, v6, v15, s0
	v_sub_f32_e32 v15, 0x40490fdb, v6
	s_delay_alu instid0(VALU_DEP_1) | instskip(SKIP_1) | instid1(VALU_DEP_1)
	v_dual_cndmask_b32 v6, v6, v15 :: v_dual_mul_f32 v15, 0.5, v16
	s_and_b32 vcc_lo, s4, s5
	v_cndmask_b32_e64 v17, v6, v17, s1
	s_delay_alu instid0(VALU_DEP_1)
	v_dual_mul_f32 v6, v16, v15 :: v_dual_cndmask_b32 v15, v17, v18
.LBB199_219:                            ;   in Loop: Header=BB199_162 Depth=1
	s_or_b32 exec_lo, exec_lo, s3
.LBB199_220:                            ;   in Loop: Header=BB199_162 Depth=1
	s_delay_alu instid0(SALU_CYCLE_1)
	s_or_b32 exec_lo, exec_lo, s2
.LBB199_221:                            ;   in Loop: Header=BB199_162 Depth=1
	s_and_not1_saveexec_b32 s2, s12
	s_cbranch_execz .LBB199_223
; %bb.222:                              ;   in Loop: Header=BB199_162 Depth=1
	v_div_scale_f32 v6, null, 0x402df854, 0x402df854, v8
	v_div_scale_f32 v15, null, 0x402df854, 0x402df854, v9
	v_div_scale_f32 v20, vcc_lo, v8, 0x402df854, v8
	s_delay_alu instid0(VALU_DEP_3) | instskip(NEXT) | instid1(VALU_DEP_2)
	v_rcp_f32_e32 v16, v6
	v_rcp_f32_e32 v17, v15
	v_cmp_class_f32_e64 s3, v9, 0x204
	s_waitcnt_depctr 0xfff
	v_fma_f32 v18, -v6, v16, 1.0
	v_fma_f32 v19, -v15, v17, 1.0
	s_delay_alu instid0(VALU_DEP_1) | instskip(SKIP_1) | instid1(VALU_DEP_2)
	v_dual_fmac_f32 v16, v18, v16 :: v_dual_fmac_f32 v17, v19, v17
	v_div_scale_f32 v18, s1, v9, 0x402df854, v9
	v_mul_f32_e32 v19, v20, v16
	s_delay_alu instid0(VALU_DEP_1) | instskip(NEXT) | instid1(VALU_DEP_1)
	v_fma_f32 v22, -v6, v19, v20
	v_fmac_f32_e32 v19, v22, v16
	s_delay_alu instid0(VALU_DEP_1) | instskip(NEXT) | instid1(VALU_DEP_1)
	v_fma_f32 v6, -v6, v19, v20
	v_div_fmas_f32 v6, v6, v16, v19
	v_max_f32_e64 v19, |v8|, |v8|
	v_mul_f32_e32 v21, v18, v17
	s_mov_b32 vcc_lo, s1
	v_cmp_class_f32_e64 s1, v8, 0x204
	v_div_fixup_f32 v6, v6, 0x402df854, v8
	s_delay_alu instid0(VALU_DEP_3) | instskip(NEXT) | instid1(VALU_DEP_1)
	v_fma_f32 v23, -v15, v21, v18
	v_fmac_f32_e32 v21, v23, v17
	s_delay_alu instid0(VALU_DEP_1) | instskip(NEXT) | instid1(VALU_DEP_1)
	v_fma_f32 v15, -v15, v21, v18
	v_div_fmas_f32 v15, v15, v17, v21
	s_delay_alu instid0(VALU_DEP_1) | instskip(NEXT) | instid1(VALU_DEP_1)
	v_div_fixup_f32 v17, v15, 0x402df854, v9
	v_max_f32_e64 v18, |v6|, |v17|
	s_delay_alu instid0(VALU_DEP_1) | instskip(SKIP_1) | instid1(VALU_DEP_2)
	v_cvt_f64_f32_e32 v[15:16], v18
	v_cmp_neq_f32_e32 vcc_lo, 0x7f800000, v18
	v_frexp_exp_i32_f64_e32 v15, v[15:16]
	v_max_f32_e64 v16, |v9|, |v9|
	s_delay_alu instid0(VALU_DEP_1) | instskip(SKIP_1) | instid1(VALU_DEP_2)
	v_max_f32_e32 v20, v19, v16
	v_min_f32_e32 v16, v19, v16
	v_frexp_mant_f32_e32 v21, v20
	v_frexp_exp_i32_f32_e32 v20, v20
	s_delay_alu instid0(VALU_DEP_2) | instskip(SKIP_1) | instid1(VALU_DEP_1)
	v_rcp_f32_e32 v19, v21
	v_sub_nc_u32_e32 v21, 0, v15
	v_ldexp_f32 v17, |v17|, v21
	v_ldexp_f32 v6, |v6|, v21
	s_delay_alu instid0(VALU_DEP_2) | instskip(SKIP_2) | instid1(VALU_DEP_2)
	v_mul_f32_e32 v17, v17, v17
	v_frexp_exp_i32_f32_e32 v22, v16
	v_frexp_mant_f32_e32 v16, v16
	v_sub_nc_u32_e32 v20, v22, v20
	s_delay_alu instid0(TRANS32_DEP_1) | instid1(VALU_DEP_2)
	v_mul_f32_e32 v16, v16, v19
	s_delay_alu instid0(VALU_DEP_1) | instskip(NEXT) | instid1(VALU_DEP_1)
	v_ldexp_f32 v16, v16, v20
	v_dual_fmac_f32 v17, v6, v6 :: v_dual_mul_f32 v6, v16, v16
	s_delay_alu instid0(VALU_DEP_1) | instskip(NEXT) | instid1(VALU_DEP_1)
	v_sqrt_f32_e32 v17, v17
	v_fmaak_f32 v19, s10, v6, 0xbc7a590c
	s_delay_alu instid0(VALU_DEP_1) | instskip(SKIP_2) | instid1(VALU_DEP_1)
	v_fmaak_f32 v19, v6, v19, 0x3d29fb3f
	s_waitcnt_depctr 0xfff
	v_ldexp_f32 v15, v17, v15
	v_cndmask_b32_e32 v15, 0x7f800000, v15, vcc_lo
	s_delay_alu instid0(VALU_DEP_1) | instskip(SKIP_1) | instid1(VALU_DEP_1)
	v_cmp_gt_f32_e32 vcc_lo, 0x800000, v15
	v_cndmask_b32_e64 v18, 1.0, 0x4f800000, vcc_lo
	v_mul_f32_e32 v15, v15, v18
	s_delay_alu instid0(VALU_DEP_1) | instskip(SKIP_2) | instid1(VALU_DEP_2)
	v_log_f32_e32 v15, v15
	v_fmaak_f32 v17, v6, v19, 0xbd97d4d7
	v_cndmask_b32_e64 v19, 0, 0x41b17218, vcc_lo
	v_fmaak_f32 v17, v6, v17, 0x3dd931b2
	s_waitcnt_depctr 0xfff
	v_cmp_gt_f32_e64 vcc_lo, 0x7f800000, |v15|
	v_fmaak_f32 v17, v6, v17, 0xbe1160e6
	s_delay_alu instid0(VALU_DEP_1) | instskip(NEXT) | instid1(VALU_DEP_1)
	v_fmaak_f32 v17, v6, v17, 0x3e4cb8bf
	v_fmaak_f32 v17, v6, v17, 0xbeaaaa62
	s_delay_alu instid0(VALU_DEP_1) | instskip(NEXT) | instid1(VALU_DEP_1)
	v_dual_mul_f32 v6, v6, v17 :: v_dual_mul_f32 v17, 0x3f317217, v15
	v_fmac_f32_e32 v16, v16, v6
	s_delay_alu instid0(VALU_DEP_2) | instskip(NEXT) | instid1(VALU_DEP_2)
	v_fma_f32 v6, 0x3f317217, v15, -v17
	v_sub_f32_e32 v18, 0x3fc90fdb, v16
	s_delay_alu instid0(VALU_DEP_1) | instskip(SKIP_1) | instid1(VALU_DEP_1)
	v_cndmask_b32_e64 v16, v16, v18, s0
	v_cmp_gt_i32_e64 s0, 0, v8
	v_cndmask_b32_e64 v18, 0, 0x40490fdb, s0
	v_fmac_f32_e32 v6, 0x3377d1cf, v15
	v_cmp_gt_f32_e64 s0, 0, v8
	s_delay_alu instid0(VALU_DEP_2) | instskip(NEXT) | instid1(VALU_DEP_1)
	v_add_f32_e32 v6, v17, v6
	v_dual_cndmask_b32 v6, v15, v6 :: v_dual_sub_f32 v17, 0x40490fdb, v16
	v_cmp_eq_f32_e32 vcc_lo, 0, v9
	s_delay_alu instid0(VALU_DEP_2) | instskip(NEXT) | instid1(VALU_DEP_3)
	v_sub_f32_e32 v6, v6, v19
	v_cndmask_b32_e64 v15, v16, v17, s0
	v_cndmask_b32_e64 v16, 0x3f490fdb, v12, s0
	s_delay_alu instid0(VALU_DEP_3) | instskip(NEXT) | instid1(VALU_DEP_3)
	v_add_f32_e32 v6, 1.0, v6
	v_cndmask_b32_e32 v15, v15, v18, vcc_lo
	s_and_b32 vcc_lo, s1, s3
	s_delay_alu instid0(VALU_DEP_1)
	v_cndmask_b32_e32 v15, v15, v16, vcc_lo
.LBB199_223:                            ;   in Loop: Header=BB199_162 Depth=1
	s_or_b32 exec_lo, exec_lo, s2
.LBB199_224:                            ;   in Loop: Header=BB199_162 Depth=1
	s_and_not1_saveexec_b32 s0, s11
	s_cbranch_execz .LBB199_230
; %bb.225:                              ;   in Loop: Header=BB199_162 Depth=1
	v_cmp_ngt_f32_e64 s1, 0x20000000, |v8|
	v_cmp_ngt_f32_e64 s2, 0x20000000, |v9|
                                        ; implicit-def: $vgpr6
	s_delay_alu instid0(VALU_DEP_1) | instskip(NEXT) | instid1(SALU_CYCLE_1)
	s_or_b32 s1, s1, s2
	s_and_saveexec_b32 s2, s1
	s_delay_alu instid0(SALU_CYCLE_1)
	s_xor_b32 s1, exec_lo, s2
; %bb.226:                              ;   in Loop: Header=BB199_162 Depth=1
	v_mul_f32_e32 v6, v9, v9
	s_delay_alu instid0(VALU_DEP_1)
	v_fmac_f32_e32 v6, v8, v8
; %bb.227:                              ;   in Loop: Header=BB199_162 Depth=1
	s_and_not1_saveexec_b32 s1, s1
; %bb.228:                              ;   in Loop: Header=BB199_162 Depth=1
	v_mul_f32_e32 v6, 4.0, v9
	v_mul_f32_e32 v8, 4.0, v8
	s_delay_alu instid0(VALU_DEP_2) | instskip(NEXT) | instid1(VALU_DEP_1)
	v_mul_f32_e32 v6, v6, v6
	v_fmac_f32_e32 v6, v8, v8
	s_delay_alu instid0(VALU_DEP_1)
	v_mul_f32_e32 v6, 0x3d800000, v6
; %bb.229:                              ;   in Loop: Header=BB199_162 Depth=1
	s_or_b32 exec_lo, exec_lo, s1
	s_delay_alu instid0(VALU_DEP_1) | instskip(SKIP_1) | instid1(VALU_DEP_1)
	v_cmp_gt_f32_e32 vcc_lo, 0x800000, v6
	v_cndmask_b32_e64 v8, 1.0, 0x4f800000, vcc_lo
	v_mul_f32_e32 v6, v6, v8
	s_delay_alu instid0(VALU_DEP_1) | instskip(SKIP_2) | instid1(VALU_DEP_1)
	v_log_f32_e32 v6, v6
	s_waitcnt_depctr 0xfff
	v_mul_f32_e32 v8, 0x3f317217, v6
	v_fma_f32 v15, 0x3f317217, v6, -v8
	s_delay_alu instid0(VALU_DEP_1) | instskip(NEXT) | instid1(VALU_DEP_1)
	v_fmac_f32_e32 v15, 0x3377d1cf, v6
	v_add_f32_e32 v8, v8, v15
	v_cndmask_b32_e64 v15, 0, 0x41b17218, vcc_lo
	v_cmp_gt_f32_e64 vcc_lo, 0x7f800000, |v6|
	s_delay_alu instid0(VALU_DEP_3) | instskip(NEXT) | instid1(VALU_DEP_1)
	v_cndmask_b32_e32 v6, v6, v8, vcc_lo
	v_dual_sub_f32 v6, v6, v15 :: v_dual_mov_b32 v15, 0x7fc00000
.LBB199_230:                            ;   in Loop: Header=BB199_162 Depth=1
	s_or_b32 exec_lo, exec_lo, s0
                                        ; implicit-def: $vgpr8
                                        ; implicit-def: $vgpr16
	s_delay_alu instid0(SALU_CYCLE_1)
	s_mov_b32 s0, exec_lo
	s_waitcnt vmcnt(0)
	v_cmpx_o_f32_e32 v3, v2
	s_xor_b32 s11, exec_lo, s0
	s_cbranch_execz .LBB199_258
; %bb.231:                              ;   in Loop: Header=BB199_162 Depth=1
	v_cmp_lt_f32_e64 s0, |v2|, |v3|
                                        ; implicit-def: $vgpr8
                                        ; implicit-def: $vgpr16
	s_mov_b32 s1, exec_lo
	s_delay_alu instid0(VALU_DEP_1) | instskip(NEXT) | instid1(VALU_DEP_1)
	v_cndmask_b32_e64 v17, |v3|, |v2|, s0
	v_cmpx_nlt_f32_e32 0x77f684df, v17
	s_xor_b32 s12, exec_lo, s1
	s_cbranch_execz .LBB199_255
; %bb.232:                              ;   in Loop: Header=BB199_162 Depth=1
	v_and_b32_e32 v8, 0x7fffffff, v3
                                        ; implicit-def: $vgpr16
	s_mov_b32 s1, exec_lo
	s_delay_alu instid0(VALU_DEP_1) | instskip(NEXT) | instid1(VALU_DEP_1)
	v_cndmask_b32_e64 v18, |v2|, v8, s0
                                        ; implicit-def: $vgpr8
	v_cmpx_neq_f32_e32 1.0, v18
	s_xor_b32 s16, exec_lo, s1
	s_cbranch_execz .LBB199_248
; %bb.233:                              ;   in Loop: Header=BB199_162 Depth=1
	v_max_f32_e32 v8, v17, v17
	v_max_f32_e32 v16, v18, v18
	s_delay_alu instid0(VALU_DEP_1) | instskip(SKIP_1) | instid1(VALU_DEP_2)
	v_min_f32_e32 v19, v16, v8
	v_max_f32_e32 v8, v16, v8
                                        ; implicit-def: $vgpr16
	v_cmp_ngt_f32_e32 vcc_lo, 0x358637bd, v19
	s_delay_alu instid0(VALU_DEP_2) | instskip(NEXT) | instid1(VALU_DEP_1)
	v_cmp_nlt_f32_e64 s1, 0x49742400, v8
                                        ; implicit-def: $vgpr8
	s_and_b32 s1, s1, vcc_lo
	s_delay_alu instid0(SALU_CYCLE_1) | instskip(NEXT) | instid1(SALU_CYCLE_1)
	s_and_saveexec_b32 s2, s1
	s_xor_b32 s17, exec_lo, s2
	s_cbranch_execz .LBB199_245
; %bb.234:                              ;   in Loop: Header=BB199_162 Depth=1
                                        ; implicit-def: $vgpr8
                                        ; implicit-def: $vgpr16
	s_mov_b32 s1, exec_lo
	v_cmpx_le_f32_e32 1.0, v18
	s_xor_b32 s2, exec_lo, s1
	s_cbranch_execz .LBB199_236
; %bb.235:                              ;   in Loop: Header=BB199_162 Depth=1
	v_add_f32_e32 v8, -1.0, v18
	v_add_f32_e32 v16, 1.0, v18
	v_cmp_class_f32_e64 s3, v2, 0x204
	s_delay_alu instid0(VALU_DEP_2) | instskip(NEXT) | instid1(VALU_DEP_1)
	v_mul_f32_e32 v8, v8, v16
	v_fmac_f32_e32 v8, v17, v17
	s_delay_alu instid0(VALU_DEP_1) | instskip(NEXT) | instid1(VALU_DEP_1)
	v_add_f32_e32 v18, 1.0, v8
	v_cvt_f64_f32_e32 v[16:17], v18
	s_delay_alu instid0(VALU_DEP_1) | instskip(SKIP_1) | instid1(VALU_DEP_1)
	v_frexp_exp_i32_f64_e32 v16, v[16:17]
	v_frexp_mant_f32_e32 v17, v18
	v_cmp_gt_f32_e32 vcc_lo, 0x3f2aaaab, v17
	v_add_f32_e32 v17, -1.0, v18
	s_delay_alu instid0(VALU_DEP_1) | instskip(SKIP_1) | instid1(VALU_DEP_1)
	v_sub_f32_e32 v20, v17, v18
	v_subrev_co_ci_u32_e32 v16, vcc_lo, 0, v16, vcc_lo
	v_sub_nc_u32_e32 v19, 0, v16
	v_cvt_f32_i32_e32 v16, v16
	s_delay_alu instid0(VALU_DEP_2) | instskip(NEXT) | instid1(VALU_DEP_1)
	v_ldexp_f32 v18, v18, v19
	v_dual_add_f32 v20, 1.0, v20 :: v_dual_add_f32 v21, 1.0, v18
	v_sub_f32_e32 v17, v8, v17
	v_cmp_eq_f32_e32 vcc_lo, 0x7f800000, v8
	v_cmp_neq_f32_e64 s1, -1.0, v8
	s_delay_alu instid0(VALU_DEP_3) | instskip(NEXT) | instid1(VALU_DEP_1)
	v_add_f32_e32 v17, v17, v20
	v_ldexp_f32 v17, v17, v19
	v_dual_add_f32 v19, -1.0, v18 :: v_dual_add_f32 v20, -1.0, v21
	s_delay_alu instid0(VALU_DEP_1) | instskip(NEXT) | instid1(VALU_DEP_2)
	v_add_f32_e32 v22, 1.0, v19
	v_sub_f32_e32 v20, v18, v20
	s_delay_alu instid0(VALU_DEP_2) | instskip(NEXT) | instid1(VALU_DEP_2)
	v_sub_f32_e32 v18, v18, v22
	v_add_f32_e32 v20, v17, v20
	s_delay_alu instid0(VALU_DEP_2) | instskip(NEXT) | instid1(VALU_DEP_1)
	v_add_f32_e32 v17, v17, v18
	v_add_f32_e32 v23, v19, v17
	s_delay_alu instid0(VALU_DEP_1) | instskip(NEXT) | instid1(VALU_DEP_1)
	v_dual_sub_f32 v19, v23, v19 :: v_dual_add_f32 v22, v21, v20
	v_sub_f32_e32 v17, v17, v19
	s_delay_alu instid0(VALU_DEP_2) | instskip(SKIP_1) | instid1(VALU_DEP_1)
	v_rcp_f32_e32 v18, v22
	v_sub_f32_e32 v21, v22, v21
	v_sub_f32_e32 v20, v20, v21
	s_waitcnt_depctr 0xfff
	v_mul_f32_e32 v24, v23, v18
	s_delay_alu instid0(VALU_DEP_1) | instskip(NEXT) | instid1(VALU_DEP_1)
	v_mul_f32_e32 v25, v22, v24
	v_fma_f32 v21, v24, v22, -v25
	s_delay_alu instid0(VALU_DEP_1) | instskip(NEXT) | instid1(VALU_DEP_1)
	v_fmac_f32_e32 v21, v24, v20
	v_add_f32_e32 v26, v25, v21
	s_delay_alu instid0(VALU_DEP_1) | instskip(SKIP_1) | instid1(VALU_DEP_2)
	v_sub_f32_e32 v27, v23, v26
	v_sub_f32_e32 v19, v26, v25
	;; [unrolled: 1-line block ×3, first 2 shown]
	s_delay_alu instid0(VALU_DEP_2) | instskip(NEXT) | instid1(VALU_DEP_2)
	v_sub_f32_e32 v19, v19, v21
	v_sub_f32_e32 v23, v23, v26
	s_delay_alu instid0(VALU_DEP_1) | instskip(NEXT) | instid1(VALU_DEP_1)
	v_add_f32_e32 v17, v17, v23
	v_add_f32_e32 v17, v19, v17
	s_delay_alu instid0(VALU_DEP_1) | instskip(NEXT) | instid1(VALU_DEP_1)
	v_add_f32_e32 v19, v27, v17
	v_mul_f32_e32 v21, v18, v19
	s_delay_alu instid0(VALU_DEP_1) | instskip(NEXT) | instid1(VALU_DEP_1)
	v_dual_sub_f32 v26, v27, v19 :: v_dual_mul_f32 v23, v22, v21
	v_add_f32_e32 v17, v17, v26
	s_delay_alu instid0(VALU_DEP_2) | instskip(NEXT) | instid1(VALU_DEP_1)
	v_fma_f32 v22, v21, v22, -v23
	v_fmac_f32_e32 v22, v21, v20
	s_delay_alu instid0(VALU_DEP_1) | instskip(NEXT) | instid1(VALU_DEP_1)
	v_add_f32_e32 v20, v23, v22
	v_sub_f32_e32 v25, v19, v20
	s_delay_alu instid0(VALU_DEP_1) | instskip(NEXT) | instid1(VALU_DEP_1)
	v_sub_f32_e32 v19, v19, v25
	v_sub_f32_e32 v19, v19, v20
	s_delay_alu instid0(VALU_DEP_1) | instskip(SKIP_2) | instid1(VALU_DEP_1)
	v_add_f32_e32 v17, v17, v19
	v_add_f32_e32 v19, v24, v21
	v_sub_f32_e32 v23, v20, v23
	v_sub_f32_e32 v20, v23, v22
	v_max_f32_e64 v22, |v3|, |v3|
	s_delay_alu instid0(VALU_DEP_2) | instskip(NEXT) | instid1(VALU_DEP_1)
	v_dual_add_f32 v17, v20, v17 :: v_dual_sub_f32 v20, v19, v24
	v_add_f32_e32 v17, v25, v17
	s_delay_alu instid0(VALU_DEP_2) | instskip(SKIP_1) | instid1(VALU_DEP_3)
	v_sub_f32_e32 v20, v21, v20
	v_mul_f32_e32 v25, 0x3f317218, v16
	v_mul_f32_e32 v17, v18, v17
	s_delay_alu instid0(VALU_DEP_2) | instskip(NEXT) | instid1(VALU_DEP_1)
	v_fma_f32 v26, 0x3f317218, v16, -v25
	v_dual_add_f32 v17, v20, v17 :: v_dual_fmac_f32 v26, 0xb102e308, v16
	s_delay_alu instid0(VALU_DEP_1) | instskip(NEXT) | instid1(VALU_DEP_1)
	v_add_f32_e32 v18, v19, v17
	v_mul_f32_e32 v20, v18, v18
	v_ldexp_f32 v24, v18, 1
	s_delay_alu instid0(VALU_DEP_2) | instskip(SKIP_2) | instid1(VALU_DEP_3)
	v_fmaak_f32 v21, s8, v20, 0x3ecc95a3
	v_mul_f32_e32 v23, v18, v20
	v_sub_f32_e32 v18, v18, v19
	v_fmaak_f32 v20, v20, v21, 0x3f2aaada
	v_max_f32_e64 v21, |v2|, |v2|
	s_delay_alu instid0(VALU_DEP_2) | instskip(NEXT) | instid1(VALU_DEP_2)
	v_dual_sub_f32 v17, v17, v18 :: v_dual_mul_f32 v20, v23, v20
	v_max_f32_e32 v23, v21, v22
	s_delay_alu instid0(VALU_DEP_2) | instskip(NEXT) | instid1(VALU_DEP_3)
	v_ldexp_f32 v17, v17, 1
	v_add_f32_e32 v19, v24, v20
	s_delay_alu instid0(VALU_DEP_1) | instskip(NEXT) | instid1(VALU_DEP_1)
	v_sub_f32_e32 v18, v19, v24
	v_sub_f32_e32 v18, v20, v18
	s_delay_alu instid0(VALU_DEP_1) | instskip(SKIP_4) | instid1(VALU_DEP_4)
	v_add_f32_e32 v16, v17, v18
	v_min_f32_e32 v21, v21, v22
	v_frexp_mant_f32_e32 v22, v23
	v_add_f32_e32 v18, v25, v26
	v_frexp_exp_i32_f32_e32 v23, v23
	v_frexp_mant_f32_e32 v20, v21
	s_delay_alu instid0(VALU_DEP_4) | instskip(NEXT) | instid1(VALU_DEP_3)
	v_rcp_f32_e32 v22, v22
	v_sub_f32_e32 v25, v18, v25
	s_delay_alu instid0(VALU_DEP_1) | instskip(SKIP_2) | instid1(VALU_DEP_1)
	v_sub_f32_e32 v25, v26, v25
	s_waitcnt_depctr 0xfff
	v_dual_mul_f32 v17, v20, v22 :: v_dual_add_f32 v20, v19, v16
	v_sub_f32_e32 v19, v20, v19
	s_delay_alu instid0(VALU_DEP_1) | instskip(SKIP_1) | instid1(VALU_DEP_1)
	v_sub_f32_e32 v16, v16, v19
	v_frexp_exp_i32_f32_e32 v24, v21
	v_sub_nc_u32_e32 v21, v24, v23
	s_delay_alu instid0(VALU_DEP_1) | instskip(NEXT) | instid1(VALU_DEP_1)
	v_ldexp_f32 v17, v17, v21
	v_dual_add_f32 v21, v18, v20 :: v_dual_mul_f32 v22, v17, v17
	s_delay_alu instid0(VALU_DEP_1) | instskip(NEXT) | instid1(VALU_DEP_1)
	v_sub_f32_e32 v23, v21, v18
	v_dual_fmaak_f32 v24, s10, v22, 0xbc7a590c :: v_dual_sub_f32 v27, v21, v23
	v_sub_f32_e32 v19, v20, v23
	v_add_f32_e32 v23, v25, v16
	s_delay_alu instid0(VALU_DEP_3) | instskip(NEXT) | instid1(VALU_DEP_4)
	v_fmaak_f32 v24, v22, v24, 0x3d29fb3f
	v_sub_f32_e32 v18, v18, v27
	s_delay_alu instid0(VALU_DEP_2) | instskip(NEXT) | instid1(VALU_DEP_1)
	v_fmaak_f32 v20, v22, v24, 0xbd97d4d7
	v_dual_add_f32 v18, v19, v18 :: v_dual_fmaak_f32 v19, v22, v20, 0x3dd931b2
	v_sub_f32_e32 v20, v23, v25
	s_delay_alu instid0(VALU_DEP_2) | instskip(NEXT) | instid1(VALU_DEP_1)
	v_add_f32_e32 v18, v23, v18
	v_dual_sub_f32 v23, v23, v20 :: v_dual_add_f32 v24, v21, v18
	v_sub_f32_e32 v16, v16, v20
	s_delay_alu instid0(VALU_DEP_2) | instskip(NEXT) | instid1(VALU_DEP_1)
	v_dual_sub_f32 v20, v25, v23 :: v_dual_sub_f32 v21, v24, v21
	v_add_f32_e32 v16, v16, v20
	s_delay_alu instid0(VALU_DEP_2) | instskip(NEXT) | instid1(VALU_DEP_1)
	v_sub_f32_e32 v18, v18, v21
	v_dual_add_f32 v16, v16, v18 :: v_dual_fmaak_f32 v19, v22, v19, 0xbe1160e6
	s_delay_alu instid0(VALU_DEP_1) | instskip(NEXT) | instid1(VALU_DEP_1)
	v_dual_add_f32 v16, v24, v16 :: v_dual_fmaak_f32 v19, v22, v19, 0x3e4cb8bf
	v_dual_cndmask_b32 v16, v16, v8 :: v_dual_fmaak_f32 v19, v22, v19, 0xbeaaaa62
	v_cmp_gt_i32_e32 vcc_lo, 0, v2
	s_delay_alu instid0(VALU_DEP_2) | instskip(NEXT) | instid1(VALU_DEP_1)
	v_mul_f32_e32 v19, v22, v19
	v_fmac_f32_e32 v17, v17, v19
	s_delay_alu instid0(VALU_DEP_1) | instskip(NEXT) | instid1(VALU_DEP_1)
	v_sub_f32_e32 v18, 0x3fc90fdb, v17
	v_cndmask_b32_e64 v17, v17, v18, s0
	v_cndmask_b32_e64 v18, 0, 0x40490fdb, vcc_lo
	v_cmp_ngt_f32_e32 vcc_lo, -1.0, v8
	s_delay_alu instid0(VALU_DEP_3) | instskip(SKIP_2) | instid1(VALU_DEP_2)
	v_sub_f32_e32 v19, 0x40490fdb, v17
	v_cndmask_b32_e32 v16, 0x7fc00000, v16, vcc_lo
	v_cmp_gt_f32_e32 vcc_lo, 0, v2
	v_cndmask_b32_e64 v16, 0xff800000, v16, s1
	s_delay_alu instid0(VALU_DEP_4)
	v_cndmask_b32_e32 v17, v17, v19, vcc_lo
	v_cndmask_b32_e32 v19, 0x3f490fdb, v12, vcc_lo
	v_cmp_gt_f32_e64 vcc_lo, 0x33800000, |v8|
	v_cmp_class_f32_e64 s1, v3, 0x204
	v_cndmask_b32_e32 v8, v16, v8, vcc_lo
	v_cmp_eq_f32_e32 vcc_lo, 0, v3
	s_delay_alu instid0(VALU_DEP_2) | instskip(SKIP_2) | instid1(VALU_DEP_1)
	v_mul_f32_e32 v8, 0.5, v8
	v_cndmask_b32_e32 v16, v17, v18, vcc_lo
	s_and_b32 vcc_lo, s3, s1
                                        ; implicit-def: $vgpr17
                                        ; implicit-def: $vgpr18
	v_cndmask_b32_e32 v16, v16, v19, vcc_lo
.LBB199_236:                            ;   in Loop: Header=BB199_162 Depth=1
	s_and_not1_saveexec_b32 s18, s2
	s_cbranch_execz .LBB199_244
; %bb.237:                              ;   in Loop: Header=BB199_162 Depth=1
	v_mul_f32_e32 v19, v17, v17
                                        ; implicit-def: $vgpr8
                                        ; implicit-def: $vgpr16
	s_mov_b32 s1, exec_lo
	s_delay_alu instid0(VALU_DEP_1) | instskip(NEXT) | instid1(VALU_DEP_1)
	v_fmac_f32_e32 v19, v18, v18
	v_cmpx_ge_f32_e32 0x3f333333, v19
	s_xor_b32 s2, exec_lo, s1
	s_cbranch_execz .LBB199_239
; %bb.238:                              ;   in Loop: Header=BB199_162 Depth=1
	v_max_f32_e64 v8, |v3|, |v3|
	v_max_f32_e64 v16, |v2|, |v2|
	v_cmp_gt_f32_e32 vcc_lo, 0x800000, v19
	v_cmp_gt_i32_e64 s1, 0, v2
	v_cmp_class_f32_e64 s3, v2, 0x204
	v_cmp_class_f32_e64 s4, v3, 0x204
	v_max_f32_e32 v17, v16, v8
	v_min_f32_e32 v8, v16, v8
	v_cndmask_b32_e64 v20, 0, 0x41b17218, vcc_lo
	s_delay_alu instid0(VALU_DEP_3) | instskip(SKIP_1) | instid1(VALU_DEP_2)
	v_frexp_mant_f32_e32 v18, v17
	v_frexp_exp_i32_f32_e32 v17, v17
	v_rcp_f32_e32 v16, v18
	v_frexp_exp_i32_f32_e32 v18, v8
	v_frexp_mant_f32_e32 v8, v8
	s_delay_alu instid0(VALU_DEP_2) | instskip(SKIP_4) | instid1(VALU_DEP_2)
	v_sub_nc_u32_e32 v17, v18, v17
	v_cndmask_b32_e64 v18, 1.0, 0x4f800000, vcc_lo
	s_waitcnt_depctr 0xfff
	v_mul_f32_e32 v8, v8, v16
	v_mul_f32_e32 v18, v19, v18
	v_ldexp_f32 v8, v8, v17
	s_delay_alu instid0(VALU_DEP_2) | instskip(NEXT) | instid1(VALU_DEP_1)
	v_log_f32_e32 v18, v18
	v_mul_f32_e32 v16, v8, v8
	s_delay_alu instid0(VALU_DEP_1) | instskip(SKIP_3) | instid1(VALU_DEP_1)
	v_fmaak_f32 v17, s10, v16, 0xbc7a590c
	s_waitcnt_depctr 0xfff
	v_cmp_gt_f32_e64 vcc_lo, 0x7f800000, |v18|
	v_fmaak_f32 v17, v16, v17, 0x3d29fb3f
	v_fmaak_f32 v17, v16, v17, 0xbd97d4d7
	s_delay_alu instid0(VALU_DEP_1) | instskip(NEXT) | instid1(VALU_DEP_1)
	v_fmaak_f32 v17, v16, v17, 0x3dd931b2
	v_fmaak_f32 v17, v16, v17, 0xbe1160e6
	s_delay_alu instid0(VALU_DEP_1) | instskip(NEXT) | instid1(VALU_DEP_1)
	;; [unrolled: 3-line block ×3, first 2 shown]
	v_dual_mul_f32 v16, v16, v17 :: v_dual_mul_f32 v17, 0x3f317217, v18
	v_fmac_f32_e32 v8, v8, v16
	s_delay_alu instid0(VALU_DEP_2) | instskip(NEXT) | instid1(VALU_DEP_2)
	v_fma_f32 v16, 0x3f317217, v18, -v17
	v_sub_f32_e32 v19, 0x3fc90fdb, v8
	s_delay_alu instid0(VALU_DEP_2) | instskip(NEXT) | instid1(VALU_DEP_2)
	v_fmac_f32_e32 v16, 0x3377d1cf, v18
	v_cndmask_b32_e64 v8, v8, v19, s0
	s_delay_alu instid0(VALU_DEP_2) | instskip(SKIP_2) | instid1(VALU_DEP_3)
	v_add_f32_e32 v16, v17, v16
	v_cndmask_b32_e64 v17, 0, 0x40490fdb, s1
	v_cmp_eq_f32_e64 s1, 0, v3
	v_cndmask_b32_e32 v16, v18, v16, vcc_lo
	v_cmp_gt_f32_e32 vcc_lo, 0, v2
	s_delay_alu instid0(VALU_DEP_2) | instskip(SKIP_2) | instid1(VALU_DEP_1)
	v_sub_f32_e32 v16, v16, v20
	v_cndmask_b32_e32 v18, 0x3f490fdb, v12, vcc_lo
	v_sub_f32_e32 v19, 0x40490fdb, v8
	v_cndmask_b32_e32 v8, v8, v19, vcc_lo
	s_and_b32 vcc_lo, s3, s4
	s_delay_alu instid0(VALU_DEP_1) | instskip(SKIP_1) | instid1(VALU_DEP_2)
	v_cndmask_b32_e64 v17, v8, v17, s1
	v_mul_f32_e32 v8, 0.5, v16
	v_cndmask_b32_e32 v16, v17, v18, vcc_lo
                                        ; implicit-def: $vgpr18
                                        ; implicit-def: $vgpr17
.LBB199_239:                            ;   in Loop: Header=BB199_162 Depth=1
	s_and_not1_saveexec_b32 s19, s2
	s_cbranch_execz .LBB199_243
; %bb.240:                              ;   in Loop: Header=BB199_162 Depth=1
	v_and_b32_e32 v19, 0x7fff0000, v17
	v_and_b32_e32 v16, 0x7fff0000, v18
	s_mov_b32 s21, 0
	s_delay_alu instid0(VALU_DEP_2) | instskip(NEXT) | instid1(VALU_DEP_2)
	v_sub_f32_e32 v20, v17, v19
	v_dual_mul_f32 v17, v19, v19 :: v_dual_sub_f32 v18, v18, v16
	v_dual_add_f32 v23, v16, v16 :: v_dual_add_f32 v26, v19, v19
	s_delay_alu instid0(VALU_DEP_2) | instskip(NEXT) | instid1(VALU_DEP_4)
	v_and_b32_e32 v21, 0xffff0000, v18
	v_and_b32_e32 v22, 0xffff0000, v20
	s_delay_alu instid0(VALU_DEP_2) | instskip(NEXT) | instid1(VALU_DEP_4)
	v_dual_mul_f32 v8, v16, v16 :: v_dual_sub_f32 v19, v18, v21
	v_mul_f32_e32 v25, v23, v21
	s_delay_alu instid0(VALU_DEP_3)
	v_dual_sub_f32 v27, v20, v22 :: v_dual_mul_f32 v18, v21, v21
	v_add_f32_e32 v20, v21, v21
	v_add_f32_e32 v28, v22, v22
	v_dual_mul_f32 v16, v26, v22 :: v_dual_mul_f32 v21, v23, v19
	v_mul_f32_e32 v24, v22, v22
	v_mul_f32_e32 v23, v26, v27
	;; [unrolled: 1-line block ×6, first 2 shown]
.LBB199_241:                            ;   Parent Loop BB199_162 Depth=1
                                        ; =>  This Inner Loop Header: Depth=2
	v_cmp_nlt_f32_e32 vcc_lo, v8, v17
	s_delay_alu instid0(VALU_DEP_2) | instskip(SKIP_1) | instid1(VALU_DEP_2)
	v_dual_mov_b32 v28, v26 :: v_dual_cndmask_b32 v27, v8, v17
	v_cndmask_b32_e32 v8, v17, v8, vcc_lo
	v_cmp_nlt_f32_e64 s1, v27, v25
	s_delay_alu instid0(VALU_DEP_1) | instskip(SKIP_2) | instid1(VALU_DEP_2)
	v_cndmask_b32_e64 v26, v27, v25, s1
	v_cndmask_b32_e64 v17, v25, v27, s1
	s_and_b32 s22, vcc_lo, s1
	v_cmp_nlt_f32_e64 s2, v26, v16
	s_delay_alu instid0(VALU_DEP_1) | instskip(SKIP_1) | instid1(VALU_DEP_2)
	v_cndmask_b32_e64 v29, v26, v16, s2
	v_cndmask_b32_e64 v25, v16, v26, s2
	v_cmp_nlt_f32_e64 s3, v29, v18
	s_delay_alu instid0(VALU_DEP_1) | instskip(SKIP_2) | instid1(VALU_DEP_2)
	v_cndmask_b32_e64 v27, v29, v18, s3
	v_cndmask_b32_e64 v16, v18, v29, s3
	s_and_b32 s23, s2, s3
	v_cmp_nlt_f32_e64 s4, v27, v24
	s_delay_alu instid0(VALU_DEP_1) | instskip(SKIP_1) | instid1(VALU_DEP_2)
	v_cndmask_b32_e64 v30, v27, v24, s4
	v_cndmask_b32_e64 v18, v24, v27, s4
	v_cmp_nlt_f32_e64 s5, v30, v21
	s_delay_alu instid0(VALU_DEP_1) | instskip(SKIP_2) | instid1(VALU_DEP_2)
	v_cndmask_b32_e64 v31, v30, v21, s5
	s_and_b32 s3, s4, s5
	v_cndmask_b32_e64 v24, v21, v30, s5
	v_cmp_nlt_f32_e64 s6, v31, v23
	s_delay_alu instid0(VALU_DEP_1) | instskip(SKIP_2) | instid1(VALU_DEP_2)
	v_cndmask_b32_e64 v32, v31, v23, s6
	s_and_b32 s3, s3, s6
	v_cndmask_b32_e64 v21, v23, v31, s6
	v_cmp_nlt_f32_e32 vcc_lo, v32, v22
	v_cndmask_b32_e32 v33, v32, v22, vcc_lo
	s_and_b32 s4, s3, vcc_lo
	v_cndmask_b32_e32 v23, v22, v32, vcc_lo
	s_delay_alu instid0(VALU_DEP_2) | instskip(NEXT) | instid1(VALU_DEP_1)
	v_cmp_nlt_f32_e64 s1, v33, v20
	v_cndmask_b32_e64 v29, v33, v20, s1
	s_and_b32 s4, s4, s1
	v_cndmask_b32_e64 v22, v20, v33, s1
	s_delay_alu instid0(VALU_DEP_2) | instskip(NEXT) | instid1(VALU_DEP_1)
	v_cmp_nlt_f32_e64 s2, v29, v19
	v_cndmask_b32_e64 v27, v29, v19, s2
	s_and_b32 s4, s4, s2
	v_cndmask_b32_e64 v20, v19, v29, s2
	s_delay_alu instid0(VALU_DEP_2) | instskip(NEXT) | instid1(VALU_DEP_1)
	v_cmp_nlt_f32_e64 s3, v27, v28
	s_and_b32 s4, s4, s3
	v_cndmask_b32_e64 v26, v27, v28, s3
	s_and_b32 s1, s4, s23
	v_cndmask_b32_e64 v19, v28, v27, s3
	s_and_b32 s1, s1, s22
	s_delay_alu instid0(SALU_CYCLE_1) | instskip(NEXT) | instid1(SALU_CYCLE_1)
	s_and_b32 s1, exec_lo, s1
	s_or_b32 s21, s1, s21
	s_delay_alu instid0(SALU_CYCLE_1)
	s_and_not1_b32 exec_lo, exec_lo, s21
	s_cbranch_execnz .LBB199_241
; %bb.242:                              ;   in Loop: Header=BB199_162 Depth=1
	s_or_b32 exec_lo, exec_lo, s21
	v_add_f32_e32 v8, -1.0, v8
	v_cmp_class_f32_e64 s2, v2, 0x204
	s_delay_alu instid0(VALU_DEP_2) | instskip(NEXT) | instid1(VALU_DEP_1)
	v_add_f32_e32 v8, v8, v17
	v_add_f32_e32 v8, v8, v25
	s_delay_alu instid0(VALU_DEP_1) | instskip(NEXT) | instid1(VALU_DEP_1)
	v_add_f32_e32 v8, v8, v16
	v_add_f32_e32 v8, v8, v18
	s_delay_alu instid0(VALU_DEP_1) | instskip(NEXT) | instid1(VALU_DEP_1)
	;; [unrolled: 3-line block ×5, first 2 shown]
	v_add_f32_e32 v8, v26, v8
	v_add_f32_e32 v18, 1.0, v8
	s_delay_alu instid0(VALU_DEP_1) | instskip(NEXT) | instid1(VALU_DEP_1)
	v_cvt_f64_f32_e32 v[16:17], v18
	v_frexp_exp_i32_f64_e32 v16, v[16:17]
	v_frexp_mant_f32_e32 v17, v18
	s_delay_alu instid0(VALU_DEP_1) | instskip(SKIP_1) | instid1(VALU_DEP_1)
	v_cmp_gt_f32_e32 vcc_lo, 0x3f2aaaab, v17
	v_add_f32_e32 v17, -1.0, v18
	v_dual_sub_f32 v20, v17, v18 :: v_dual_sub_f32 v17, v8, v17
	s_delay_alu instid0(VALU_DEP_1) | instskip(NEXT) | instid1(VALU_DEP_1)
	v_add_f32_e32 v20, 1.0, v20
	v_add_f32_e32 v17, v17, v20
	v_subrev_co_ci_u32_e32 v16, vcc_lo, 0, v16, vcc_lo
	s_delay_alu instid0(VALU_DEP_1) | instskip(SKIP_1) | instid1(VALU_DEP_2)
	v_sub_nc_u32_e32 v19, 0, v16
	v_cvt_f32_i32_e32 v16, v16
	v_ldexp_f32 v18, v18, v19
	v_ldexp_f32 v17, v17, v19
	s_delay_alu instid0(VALU_DEP_2) | instskip(NEXT) | instid1(VALU_DEP_1)
	v_add_f32_e32 v21, 1.0, v18
	v_dual_add_f32 v19, -1.0, v18 :: v_dual_add_f32 v20, -1.0, v21
	s_delay_alu instid0(VALU_DEP_1) | instskip(NEXT) | instid1(VALU_DEP_2)
	v_add_f32_e32 v22, 1.0, v19
	v_sub_f32_e32 v20, v18, v20
	s_delay_alu instid0(VALU_DEP_2) | instskip(NEXT) | instid1(VALU_DEP_2)
	v_sub_f32_e32 v18, v18, v22
	v_add_f32_e32 v20, v17, v20
	s_delay_alu instid0(VALU_DEP_2) | instskip(NEXT) | instid1(VALU_DEP_1)
	v_add_f32_e32 v17, v17, v18
	v_dual_add_f32 v22, v21, v20 :: v_dual_add_f32 v23, v19, v17
	s_delay_alu instid0(VALU_DEP_1) | instskip(SKIP_1) | instid1(VALU_DEP_1)
	v_rcp_f32_e32 v18, v22
	v_sub_f32_e32 v21, v22, v21
	v_dual_sub_f32 v19, v23, v19 :: v_dual_sub_f32 v20, v20, v21
	s_waitcnt_depctr 0xfff
	v_dual_sub_f32 v17, v17, v19 :: v_dual_mul_f32 v24, v23, v18
	s_delay_alu instid0(VALU_DEP_1) | instskip(NEXT) | instid1(VALU_DEP_1)
	v_mul_f32_e32 v25, v22, v24
	v_fma_f32 v21, v24, v22, -v25
	s_delay_alu instid0(VALU_DEP_1) | instskip(NEXT) | instid1(VALU_DEP_1)
	v_fmac_f32_e32 v21, v24, v20
	v_add_f32_e32 v26, v25, v21
	s_delay_alu instid0(VALU_DEP_1) | instskip(SKIP_1) | instid1(VALU_DEP_2)
	v_sub_f32_e32 v27, v23, v26
	v_sub_f32_e32 v19, v26, v25
	;; [unrolled: 1-line block ×3, first 2 shown]
	s_delay_alu instid0(VALU_DEP_2) | instskip(SKIP_2) | instid1(VALU_DEP_4)
	v_sub_f32_e32 v19, v19, v21
	v_cmp_eq_f32_e32 vcc_lo, 0x7f800000, v8
	v_cmp_neq_f32_e64 s1, -1.0, v8
	v_sub_f32_e32 v23, v23, v26
	s_delay_alu instid0(VALU_DEP_1) | instskip(NEXT) | instid1(VALU_DEP_1)
	v_add_f32_e32 v17, v17, v23
	v_add_f32_e32 v17, v19, v17
	s_delay_alu instid0(VALU_DEP_1) | instskip(NEXT) | instid1(VALU_DEP_1)
	v_add_f32_e32 v19, v27, v17
	v_mul_f32_e32 v21, v18, v19
	s_delay_alu instid0(VALU_DEP_1) | instskip(NEXT) | instid1(VALU_DEP_1)
	v_dual_mul_f32 v23, v22, v21 :: v_dual_sub_f32 v26, v27, v19
	v_fma_f32 v22, v21, v22, -v23
	s_delay_alu instid0(VALU_DEP_2) | instskip(NEXT) | instid1(VALU_DEP_2)
	v_add_f32_e32 v17, v17, v26
	v_fmac_f32_e32 v22, v21, v20
	s_delay_alu instid0(VALU_DEP_1) | instskip(NEXT) | instid1(VALU_DEP_1)
	v_add_f32_e32 v20, v23, v22
	v_sub_f32_e32 v25, v19, v20
	s_delay_alu instid0(VALU_DEP_1) | instskip(NEXT) | instid1(VALU_DEP_1)
	v_sub_f32_e32 v19, v19, v25
	v_sub_f32_e32 v19, v19, v20
	s_delay_alu instid0(VALU_DEP_1) | instskip(SKIP_2) | instid1(VALU_DEP_1)
	v_add_f32_e32 v17, v17, v19
	v_add_f32_e32 v19, v24, v21
	v_sub_f32_e32 v23, v20, v23
	v_sub_f32_e32 v20, v23, v22
	v_max_f32_e64 v22, |v3|, |v3|
	s_delay_alu instid0(VALU_DEP_2) | instskip(NEXT) | instid1(VALU_DEP_1)
	v_dual_add_f32 v17, v20, v17 :: v_dual_sub_f32 v20, v19, v24
	v_sub_f32_e32 v20, v21, v20
	s_delay_alu instid0(VALU_DEP_2) | instskip(NEXT) | instid1(VALU_DEP_1)
	v_add_f32_e32 v17, v25, v17
	v_mul_f32_e32 v17, v18, v17
	s_delay_alu instid0(VALU_DEP_1) | instskip(NEXT) | instid1(VALU_DEP_1)
	v_add_f32_e32 v17, v20, v17
	v_add_f32_e32 v18, v19, v17
	s_delay_alu instid0(VALU_DEP_1) | instskip(NEXT) | instid1(VALU_DEP_1)
	v_mul_f32_e32 v20, v18, v18
	v_fmaak_f32 v21, s8, v20, 0x3ecc95a3
	v_mul_f32_e32 v23, v18, v20
	v_ldexp_f32 v24, v18, 1
	v_sub_f32_e32 v18, v18, v19
	s_delay_alu instid0(VALU_DEP_4) | instskip(SKIP_1) | instid1(VALU_DEP_2)
	v_fmaak_f32 v20, v20, v21, 0x3f2aaada
	v_max_f32_e64 v21, |v2|, |v2|
	v_dual_sub_f32 v17, v17, v18 :: v_dual_mul_f32 v20, v23, v20
	s_delay_alu instid0(VALU_DEP_1) | instskip(NEXT) | instid1(VALU_DEP_2)
	v_ldexp_f32 v17, v17, 1
	v_add_f32_e32 v19, v24, v20
	s_delay_alu instid0(VALU_DEP_1) | instskip(NEXT) | instid1(VALU_DEP_1)
	v_dual_max_f32 v23, v21, v22 :: v_dual_sub_f32 v18, v19, v24
	v_dual_mul_f32 v25, 0x3f317218, v16 :: v_dual_sub_f32 v18, v20, v18
	s_delay_alu instid0(VALU_DEP_1) | instskip(SKIP_1) | instid1(VALU_DEP_4)
	v_fma_f32 v26, 0x3f317218, v16, -v25
	v_min_f32_e32 v21, v21, v22
	v_frexp_mant_f32_e32 v22, v23
	v_frexp_exp_i32_f32_e32 v23, v23
	s_delay_alu instid0(VALU_DEP_4) | instskip(NEXT) | instid1(VALU_DEP_4)
	v_fmac_f32_e32 v26, 0xb102e308, v16
	v_frexp_exp_i32_f32_e32 v24, v21
	s_delay_alu instid0(VALU_DEP_4) | instskip(SKIP_2) | instid1(VALU_DEP_3)
	v_rcp_f32_e32 v22, v22
	v_frexp_mant_f32_e32 v20, v21
	v_add_f32_e32 v16, v17, v18
	v_sub_nc_u32_e32 v21, v24, v23
	s_waitcnt_depctr 0xfff
	v_dual_mul_f32 v17, v20, v22 :: v_dual_add_f32 v20, v19, v16
	v_add_f32_e32 v18, v25, v26
	s_delay_alu instid0(VALU_DEP_2) | instskip(NEXT) | instid1(VALU_DEP_3)
	v_ldexp_f32 v17, v17, v21
	v_sub_f32_e32 v19, v20, v19
	s_delay_alu instid0(VALU_DEP_3) | instskip(SKIP_1) | instid1(VALU_DEP_4)
	v_add_f32_e32 v21, v18, v20
	v_sub_f32_e32 v25, v18, v25
	v_mul_f32_e32 v22, v17, v17
	s_delay_alu instid0(VALU_DEP_3) | instskip(NEXT) | instid1(VALU_DEP_1)
	v_dual_sub_f32 v16, v16, v19 :: v_dual_sub_f32 v23, v21, v18
	v_dual_fmaak_f32 v24, s10, v22, 0xbc7a590c :: v_dual_sub_f32 v19, v20, v23
	s_delay_alu instid0(VALU_DEP_1) | instskip(NEXT) | instid1(VALU_DEP_1)
	v_dual_fmaak_f32 v24, v22, v24, 0x3d29fb3f :: v_dual_sub_f32 v27, v21, v23
	v_fmaak_f32 v20, v22, v24, 0xbd97d4d7
	s_delay_alu instid0(VALU_DEP_2) | instskip(NEXT) | instid1(VALU_DEP_1)
	v_sub_f32_e32 v18, v18, v27
	v_dual_sub_f32 v25, v26, v25 :: v_dual_add_f32 v18, v19, v18
	s_delay_alu instid0(VALU_DEP_1) | instskip(NEXT) | instid1(VALU_DEP_1)
	v_add_f32_e32 v23, v25, v16
	v_dual_fmaak_f32 v19, v22, v20, 0x3dd931b2 :: v_dual_add_f32 v18, v23, v18
	s_delay_alu instid0(VALU_DEP_1) | instskip(NEXT) | instid1(VALU_DEP_2)
	v_dual_sub_f32 v20, v23, v25 :: v_dual_fmaak_f32 v19, v22, v19, 0xbe1160e6
	v_add_f32_e32 v24, v21, v18
	s_delay_alu instid0(VALU_DEP_2) | instskip(NEXT) | instid1(VALU_DEP_2)
	v_dual_sub_f32 v16, v16, v20 :: v_dual_fmaak_f32 v19, v22, v19, 0x3e4cb8bf
	v_sub_f32_e32 v21, v24, v21
	s_delay_alu instid0(VALU_DEP_1) | instskip(NEXT) | instid1(VALU_DEP_1)
	v_dual_sub_f32 v23, v23, v20 :: v_dual_sub_f32 v18, v18, v21
	v_sub_f32_e32 v20, v25, v23
	s_delay_alu instid0(VALU_DEP_1) | instskip(NEXT) | instid1(VALU_DEP_1)
	v_dual_fmaak_f32 v19, v22, v19, 0xbeaaaa62 :: v_dual_add_f32 v16, v16, v20
	v_dual_mul_f32 v19, v22, v19 :: v_dual_add_f32 v16, v16, v18
	s_delay_alu instid0(VALU_DEP_1) | instskip(NEXT) | instid1(VALU_DEP_1)
	v_dual_fmac_f32 v17, v17, v19 :: v_dual_add_f32 v16, v24, v16
	v_sub_f32_e32 v18, 0x3fc90fdb, v17
	s_delay_alu instid0(VALU_DEP_2) | instskip(SKIP_1) | instid1(VALU_DEP_3)
	v_cndmask_b32_e32 v16, v16, v8, vcc_lo
	v_cmp_gt_i32_e32 vcc_lo, 0, v2
	v_cndmask_b32_e64 v17, v17, v18, s0
	v_cndmask_b32_e64 v18, 0, 0x40490fdb, vcc_lo
	v_cmp_ngt_f32_e32 vcc_lo, -1.0, v8
	s_delay_alu instid0(VALU_DEP_3) | instskip(SKIP_2) | instid1(VALU_DEP_2)
	v_sub_f32_e32 v19, 0x40490fdb, v17
	v_cndmask_b32_e32 v16, 0x7fc00000, v16, vcc_lo
	v_cmp_gt_f32_e32 vcc_lo, 0, v2
	v_cndmask_b32_e64 v16, 0xff800000, v16, s1
	s_delay_alu instid0(VALU_DEP_4)
	v_cndmask_b32_e32 v17, v17, v19, vcc_lo
	v_cndmask_b32_e32 v19, 0x3f490fdb, v12, vcc_lo
	v_cmp_gt_f32_e64 vcc_lo, 0x33800000, |v8|
	v_cmp_class_f32_e64 s1, v3, 0x204
	v_cndmask_b32_e32 v8, v16, v8, vcc_lo
	v_cmp_eq_f32_e32 vcc_lo, 0, v3
	s_delay_alu instid0(VALU_DEP_2) | instskip(SKIP_2) | instid1(VALU_DEP_1)
	v_mul_f32_e32 v8, 0.5, v8
	v_cndmask_b32_e32 v16, v17, v18, vcc_lo
	s_and_b32 vcc_lo, s2, s1
	v_cndmask_b32_e32 v16, v16, v19, vcc_lo
.LBB199_243:                            ;   in Loop: Header=BB199_162 Depth=1
	s_or_b32 exec_lo, exec_lo, s19
.LBB199_244:                            ;   in Loop: Header=BB199_162 Depth=1
	s_delay_alu instid0(SALU_CYCLE_1)
	s_or_b32 exec_lo, exec_lo, s18
.LBB199_245:                            ;   in Loop: Header=BB199_162 Depth=1
	s_and_not1_saveexec_b32 s2, s17
	s_cbranch_execz .LBB199_247
; %bb.246:                              ;   in Loop: Header=BB199_162 Depth=1
	v_max_f32_e64 v8, |v3|, |v3|
	v_max_f32_e64 v18, |v2|, |v2|
	v_cmp_gt_i32_e64 s1, 0, v2
	v_cmp_class_f32_e64 s3, v2, 0x204
	v_cmp_class_f32_e64 s4, v3, 0x204
	s_delay_alu instid0(VALU_DEP_4) | instskip(SKIP_1) | instid1(VALU_DEP_2)
	v_max_f32_e32 v19, v18, v8
	v_min_f32_e32 v8, v18, v8
	v_cvt_f64_f32_e32 v[16:17], v19
	s_delay_alu instid0(VALU_DEP_2) | instskip(SKIP_1) | instid1(VALU_DEP_3)
	v_frexp_exp_i32_f32_e32 v20, v8
	v_frexp_mant_f32_e32 v8, v8
	v_frexp_exp_i32_f64_e32 v16, v[16:17]
	v_frexp_mant_f32_e32 v17, v19
	s_delay_alu instid0(VALU_DEP_1) | instskip(SKIP_4) | instid1(VALU_DEP_2)
	v_rcp_f32_e32 v17, v17
	s_waitcnt_depctr 0xfff
	v_mul_f32_e32 v8, v8, v17
	v_frexp_exp_i32_f32_e32 v18, v19
	v_cmp_neq_f32_e32 vcc_lo, 0x7f800000, v19
	v_sub_nc_u32_e32 v18, v20, v18
	s_delay_alu instid0(VALU_DEP_1) | instskip(SKIP_1) | instid1(VALU_DEP_1)
	v_ldexp_f32 v8, v8, v18
	v_sub_nc_u32_e32 v21, 0, v16
	v_ldexp_f32 v17, |v3|, v21
	v_ldexp_f32 v18, |v2|, v21
	s_delay_alu instid0(VALU_DEP_2) | instskip(NEXT) | instid1(VALU_DEP_1)
	v_dual_mul_f32 v17, v17, v17 :: v_dual_mul_f32 v20, v8, v8
	v_dual_fmac_f32 v17, v18, v18 :: v_dual_fmaak_f32 v18, s10, v20, 0xbc7a590c
	s_delay_alu instid0(VALU_DEP_1) | instskip(NEXT) | instid1(VALU_DEP_1)
	v_sqrt_f32_e32 v17, v17
	v_fmaak_f32 v18, v20, v18, 0x3d29fb3f
	s_delay_alu instid0(VALU_DEP_1) | instskip(SKIP_3) | instid1(VALU_DEP_2)
	v_fmaak_f32 v18, v20, v18, 0xbd97d4d7
	s_waitcnt_depctr 0xfff
	v_ldexp_f32 v16, v17, v16
	v_fmaak_f32 v17, v20, v18, 0x3dd931b2
	v_cndmask_b32_e32 v16, 0x7f800000, v16, vcc_lo
	s_delay_alu instid0(VALU_DEP_2) | instskip(NEXT) | instid1(VALU_DEP_2)
	v_fmaak_f32 v17, v20, v17, 0xbe1160e6
	v_cmp_gt_f32_e32 vcc_lo, 0x800000, v16
	s_delay_alu instid0(VALU_DEP_2) | instskip(SKIP_1) | instid1(VALU_DEP_2)
	v_fmaak_f32 v17, v20, v17, 0x3e4cb8bf
	v_cndmask_b32_e64 v18, 1.0, 0x4f800000, vcc_lo
	v_fmaak_f32 v17, v20, v17, 0xbeaaaa62
	s_delay_alu instid0(VALU_DEP_2) | instskip(NEXT) | instid1(VALU_DEP_2)
	v_mul_f32_e32 v16, v16, v18
	v_mul_f32_e32 v17, v20, v17
	s_delay_alu instid0(VALU_DEP_2) | instskip(SKIP_2) | instid1(VALU_DEP_1)
	v_log_f32_e32 v16, v16
	s_waitcnt_depctr 0xfff
	v_dual_fmac_f32 v8, v8, v17 :: v_dual_mul_f32 v17, 0x3f317217, v16
	v_sub_f32_e32 v18, 0x3fc90fdb, v8
	s_delay_alu instid0(VALU_DEP_2) | instskip(NEXT) | instid1(VALU_DEP_2)
	v_fma_f32 v19, 0x3f317217, v16, -v17
	v_cndmask_b32_e64 v8, v8, v18, s0
	v_cndmask_b32_e64 v18, 0, 0x40490fdb, s1
	v_cmp_gt_f32_e64 s1, 0, v2
	s_delay_alu instid0(VALU_DEP_3) | instskip(NEXT) | instid1(VALU_DEP_1)
	v_sub_f32_e32 v20, 0x40490fdb, v8
	v_cndmask_b32_e64 v8, v8, v20, s1
	v_cndmask_b32_e64 v20, 0, 0x41b17218, vcc_lo
	v_cmp_gt_f32_e64 vcc_lo, 0x7f800000, |v16|
	v_fmac_f32_e32 v19, 0x3377d1cf, v16
	s_delay_alu instid0(VALU_DEP_1) | instskip(SKIP_1) | instid1(VALU_DEP_2)
	v_add_f32_e32 v17, v17, v19
	v_cndmask_b32_e64 v19, 0x3f490fdb, v12, s1
	v_cndmask_b32_e32 v16, v16, v17, vcc_lo
	v_cmp_eq_f32_e32 vcc_lo, 0, v3
	v_cndmask_b32_e32 v17, v8, v18, vcc_lo
	s_and_b32 vcc_lo, s3, s4
	s_delay_alu instid0(VALU_DEP_3) | instskip(NEXT) | instid1(VALU_DEP_2)
	v_sub_f32_e32 v8, v16, v20
	v_cndmask_b32_e32 v16, v17, v19, vcc_lo
.LBB199_247:                            ;   in Loop: Header=BB199_162 Depth=1
	s_or_b32 exec_lo, exec_lo, s2
                                        ; implicit-def: $vgpr17
.LBB199_248:                            ;   in Loop: Header=BB199_162 Depth=1
	s_and_not1_saveexec_b32 s2, s16
	s_cbranch_execz .LBB199_254
; %bb.249:                              ;   in Loop: Header=BB199_162 Depth=1
                                        ; implicit-def: $vgpr8
                                        ; implicit-def: $vgpr16
	s_mov_b32 s1, exec_lo
	v_cmpx_ngt_f32_e32 0x1fec1e4a, v17
	s_xor_b32 s3, exec_lo, s1
	s_cbranch_execz .LBB199_251
; %bb.250:                              ;   in Loop: Header=BB199_162 Depth=1
	v_mul_f32_e32 v8, v17, v17
	v_cmp_gt_f32_e64 s1, 0, v2
	v_cmp_class_f32_e64 s4, v2, 0x204
	v_cmp_class_f32_e64 s6, v3, 0x204
	s_delay_alu instid0(VALU_DEP_4) | instskip(NEXT) | instid1(VALU_DEP_1)
	v_add_f32_e32 v18, 1.0, v8
	v_cvt_f64_f32_e32 v[16:17], v18
	s_delay_alu instid0(VALU_DEP_1) | instskip(SKIP_1) | instid1(VALU_DEP_1)
	v_frexp_exp_i32_f64_e32 v16, v[16:17]
	v_frexp_mant_f32_e32 v17, v18
	v_cmp_gt_f32_e32 vcc_lo, 0x3f2aaaab, v17
	v_add_f32_e32 v17, -1.0, v18
	v_cmp_gt_f32_e64 s5, 0x33800000, |v8|
	s_delay_alu instid0(VALU_DEP_2) | instskip(SKIP_2) | instid1(VALU_DEP_2)
	v_dual_sub_f32 v20, v17, v18 :: v_dual_sub_f32 v17, v8, v17
	v_subrev_co_ci_u32_e32 v16, vcc_lo, 0, v16, vcc_lo
	v_cmp_gt_i32_e32 vcc_lo, 0, v2
	v_sub_nc_u32_e32 v19, 0, v16
	v_cvt_f32_i32_e32 v16, v16
	s_delay_alu instid0(VALU_DEP_2) | instskip(NEXT) | instid1(VALU_DEP_1)
	v_ldexp_f32 v18, v18, v19
	v_dual_add_f32 v20, 1.0, v20 :: v_dual_add_f32 v21, 1.0, v18
	s_delay_alu instid0(VALU_DEP_1) | instskip(NEXT) | instid1(VALU_DEP_1)
	v_dual_add_f32 v17, v17, v20 :: v_dual_add_f32 v20, -1.0, v21
	v_ldexp_f32 v17, v17, v19
	s_delay_alu instid0(VALU_DEP_2) | instskip(NEXT) | instid1(VALU_DEP_1)
	v_dual_add_f32 v19, -1.0, v18 :: v_dual_sub_f32 v20, v18, v20
	v_add_f32_e32 v22, 1.0, v19
	s_delay_alu instid0(VALU_DEP_2) | instskip(NEXT) | instid1(VALU_DEP_2)
	v_add_f32_e32 v20, v17, v20
	v_sub_f32_e32 v18, v18, v22
	s_delay_alu instid0(VALU_DEP_1) | instskip(NEXT) | instid1(VALU_DEP_1)
	v_add_f32_e32 v17, v17, v18
	v_dual_add_f32 v23, v19, v17 :: v_dual_add_f32 v22, v21, v20
	s_delay_alu instid0(VALU_DEP_1) | instskip(NEXT) | instid1(VALU_DEP_2)
	v_sub_f32_e32 v19, v19, v23
	v_rcp_f32_e32 v18, v22
	v_sub_f32_e32 v21, v21, v22
	s_delay_alu instid0(VALU_DEP_1) | instskip(SKIP_2) | instid1(VALU_DEP_1)
	v_dual_add_f32 v17, v17, v19 :: v_dual_add_f32 v20, v20, v21
	s_waitcnt_depctr 0xfff
	v_mul_f32_e32 v24, v23, v18
	v_mul_f32_e32 v25, v22, v24
	s_delay_alu instid0(VALU_DEP_1) | instskip(NEXT) | instid1(VALU_DEP_1)
	v_fma_f32 v21, v24, v22, -v25
	v_fmac_f32_e32 v21, v24, v20
	s_delay_alu instid0(VALU_DEP_1) | instskip(NEXT) | instid1(VALU_DEP_1)
	v_add_f32_e32 v26, v25, v21
	v_sub_f32_e32 v27, v23, v26
	s_delay_alu instid0(VALU_DEP_1) | instskip(SKIP_1) | instid1(VALU_DEP_2)
	v_sub_f32_e32 v23, v23, v27
	v_sub_f32_e32 v19, v26, v25
	;; [unrolled: 1-line block ×3, first 2 shown]
	s_delay_alu instid0(VALU_DEP_2) | instskip(NEXT) | instid1(VALU_DEP_2)
	v_sub_f32_e32 v19, v19, v21
	v_add_f32_e32 v17, v17, v23
	s_delay_alu instid0(VALU_DEP_1) | instskip(NEXT) | instid1(VALU_DEP_1)
	v_add_f32_e32 v17, v19, v17
	v_add_f32_e32 v19, v27, v17
	s_delay_alu instid0(VALU_DEP_1) | instskip(NEXT) | instid1(VALU_DEP_1)
	v_mul_f32_e32 v21, v18, v19
	v_dual_sub_f32 v26, v27, v19 :: v_dual_mul_f32 v23, v22, v21
	s_delay_alu instid0(VALU_DEP_1) | instskip(NEXT) | instid1(VALU_DEP_2)
	v_add_f32_e32 v17, v17, v26
	v_fma_f32 v22, v21, v22, -v23
	s_delay_alu instid0(VALU_DEP_1) | instskip(NEXT) | instid1(VALU_DEP_1)
	v_fmac_f32_e32 v22, v21, v20
	v_add_f32_e32 v20, v23, v22
	s_delay_alu instid0(VALU_DEP_1) | instskip(SKIP_1) | instid1(VALU_DEP_2)
	v_sub_f32_e32 v25, v19, v20
	v_sub_f32_e32 v23, v20, v23
	;; [unrolled: 1-line block ×3, first 2 shown]
	s_delay_alu instid0(VALU_DEP_1) | instskip(NEXT) | instid1(VALU_DEP_1)
	v_sub_f32_e32 v19, v19, v20
	v_dual_sub_f32 v20, v23, v22 :: v_dual_add_f32 v17, v17, v19
	v_add_f32_e32 v19, v24, v21
	s_delay_alu instid0(VALU_DEP_1) | instskip(NEXT) | instid1(VALU_DEP_1)
	v_dual_add_f32 v17, v20, v17 :: v_dual_sub_f32 v20, v19, v24
	v_add_f32_e32 v17, v25, v17
	s_delay_alu instid0(VALU_DEP_2) | instskip(SKIP_1) | instid1(VALU_DEP_3)
	v_sub_f32_e32 v20, v21, v20
	v_max_f32_e64 v21, |v2|, |v2|
	v_mul_f32_e32 v17, v18, v17
	v_max_f32_e64 v18, |v3|, |v3|
	s_delay_alu instid0(VALU_DEP_2) | instskip(NEXT) | instid1(VALU_DEP_2)
	v_add_f32_e32 v17, v20, v17
	v_max_f32_e32 v23, v21, v18
	v_min_f32_e32 v18, v21, v18
	s_delay_alu instid0(VALU_DEP_3) | instskip(NEXT) | instid1(VALU_DEP_3)
	v_add_f32_e32 v20, v19, v17
	v_frexp_mant_f32_e32 v25, v23
	v_frexp_exp_i32_f32_e32 v21, v23
	s_delay_alu instid0(VALU_DEP_3) | instskip(SKIP_2) | instid1(VALU_DEP_2)
	v_mul_f32_e32 v22, v20, v20
	v_sub_f32_e32 v19, v20, v19
	v_ldexp_f32 v26, v20, 1
	v_dual_fmaak_f32 v24, s8, v22, 0x3ecc95a3 :: v_dual_sub_f32 v17, v17, v19
	s_delay_alu instid0(VALU_DEP_1) | instskip(NEXT) | instid1(VALU_DEP_2)
	v_ldexp_f32 v17, v17, 1
	v_dual_mul_f32 v23, v20, v22 :: v_dual_fmaak_f32 v22, v22, v24, 0x3f2aaada
	v_rcp_f32_e32 v24, v25
	v_frexp_exp_i32_f32_e32 v25, v18
	v_frexp_mant_f32_e32 v18, v18
	s_delay_alu instid0(VALU_DEP_3) | instskip(NEXT) | instid1(VALU_DEP_3)
	v_dual_mul_f32 v22, v23, v22 :: v_dual_mul_f32 v23, 0x3f317218, v16
	v_sub_nc_u32_e32 v21, v25, v21
	s_delay_alu instid0(VALU_DEP_2) | instskip(SKIP_2) | instid1(VALU_DEP_1)
	v_add_f32_e32 v20, v26, v22
	s_waitcnt_depctr 0xfff
	v_mul_f32_e32 v18, v18, v24
	v_ldexp_f32 v18, v18, v21
	v_sub_f32_e32 v19, v20, v26
	v_fma_f32 v21, 0x3f317218, v16, -v23
	s_delay_alu instid0(VALU_DEP_2) | instskip(NEXT) | instid1(VALU_DEP_2)
	v_sub_f32_e32 v19, v22, v19
	v_dual_mul_f32 v22, v18, v18 :: v_dual_fmac_f32 v21, 0xb102e308, v16
	s_delay_alu instid0(VALU_DEP_1) | instskip(NEXT) | instid1(VALU_DEP_1)
	v_dual_add_f32 v16, v17, v19 :: v_dual_fmaak_f32 v17, s10, v22, 0xbc7a590c
	v_dual_add_f32 v19, v23, v21 :: v_dual_add_f32 v24, v20, v16
	s_delay_alu instid0(VALU_DEP_2) | instskip(NEXT) | instid1(VALU_DEP_2)
	v_fmaak_f32 v17, v22, v17, 0x3d29fb3f
	v_add_f32_e32 v25, v19, v24
	s_delay_alu instid0(VALU_DEP_2) | instskip(NEXT) | instid1(VALU_DEP_1)
	v_dual_fmaak_f32 v17, v22, v17, 0xbd97d4d7 :: v_dual_sub_f32 v20, v24, v20
	v_dual_sub_f32 v26, v25, v19 :: v_dual_fmaak_f32 v17, v22, v17, 0x3dd931b2
	s_delay_alu instid0(VALU_DEP_1) | instskip(SKIP_1) | instid1(VALU_DEP_3)
	v_dual_sub_f32 v16, v16, v20 :: v_dual_sub_f32 v27, v25, v26
	v_dual_sub_f32 v20, v24, v26 :: v_dual_sub_f32 v23, v19, v23
	v_fmaak_f32 v17, v22, v17, 0xbe1160e6
	s_delay_alu instid0(VALU_DEP_3) | instskip(NEXT) | instid1(VALU_DEP_3)
	v_sub_f32_e32 v19, v19, v27
	v_sub_f32_e32 v21, v21, v23
	s_delay_alu instid0(VALU_DEP_3) | instskip(NEXT) | instid1(VALU_DEP_3)
	v_fmaak_f32 v17, v22, v17, 0x3e4cb8bf
	v_add_f32_e32 v19, v20, v19
	s_delay_alu instid0(VALU_DEP_3) | instskip(NEXT) | instid1(VALU_DEP_3)
	v_add_f32_e32 v23, v21, v16
	v_fmaak_f32 v17, v22, v17, 0xbeaaaa62
	s_delay_alu instid0(VALU_DEP_2) | instskip(NEXT) | instid1(VALU_DEP_4)
	v_sub_f32_e32 v20, v23, v21
	v_add_f32_e32 v19, v23, v19
	s_delay_alu instid0(VALU_DEP_2) | instskip(NEXT) | instid1(VALU_DEP_1)
	v_dual_mul_f32 v17, v22, v17 :: v_dual_sub_f32 v22, v23, v20
	v_dual_add_f32 v23, v25, v19 :: v_dual_fmac_f32 v18, v18, v17
	s_delay_alu instid0(VALU_DEP_2) | instskip(NEXT) | instid1(VALU_DEP_2)
	v_dual_sub_f32 v16, v16, v20 :: v_dual_sub_f32 v17, v21, v22
	v_sub_f32_e32 v20, v23, v25
	s_delay_alu instid0(VALU_DEP_1) | instskip(SKIP_2) | instid1(VALU_DEP_3)
	v_dual_add_f32 v16, v16, v17 :: v_dual_sub_f32 v17, v19, v20
	v_cndmask_b32_e64 v19, 0, 0x40490fdb, vcc_lo
	v_cmp_eq_f32_e32 vcc_lo, 0x7f800000, v8
	v_add_f32_e32 v16, v16, v17
	s_or_b32 vcc_lo, vcc_lo, s5
	s_delay_alu instid0(VALU_DEP_1) | instskip(NEXT) | instid1(VALU_DEP_1)
	v_add_f32_e32 v16, v23, v16
	v_cndmask_b32_e32 v8, v16, v8, vcc_lo
	v_cmp_eq_f32_e32 vcc_lo, 0, v3
	s_delay_alu instid0(VALU_DEP_2) | instskip(NEXT) | instid1(VALU_DEP_1)
	v_dual_sub_f32 v21, 0x3fc90fdb, v18 :: v_dual_mul_f32 v8, 0.5, v8
	v_cndmask_b32_e64 v18, v18, v21, s0
	s_delay_alu instid0(VALU_DEP_1) | instskip(NEXT) | instid1(VALU_DEP_1)
	v_sub_f32_e32 v17, 0x40490fdb, v18
	v_cndmask_b32_e64 v17, v18, v17, s1
	v_cndmask_b32_e64 v18, 0x3f490fdb, v12, s1
	s_delay_alu instid0(VALU_DEP_2) | instskip(SKIP_1) | instid1(VALU_DEP_1)
	v_cndmask_b32_e32 v16, v17, v19, vcc_lo
	s_and_b32 vcc_lo, s4, s6
                                        ; implicit-def: $vgpr17
	v_cndmask_b32_e32 v16, v16, v18, vcc_lo
.LBB199_251:                            ;   in Loop: Header=BB199_162 Depth=1
	s_and_not1_saveexec_b32 s3, s3
	s_cbranch_execz .LBB199_253
; %bb.252:                              ;   in Loop: Header=BB199_162 Depth=1
	v_max_f32_e64 v8, |v3|, |v3|
	v_max_f32_e64 v16, |v2|, |v2|
	v_cmp_gt_i32_e32 vcc_lo, 0, v2
	v_cmp_eq_f32_e64 s1, 0, v3
	v_cmp_class_f32_e64 s4, v2, 0x204
	v_cmp_class_f32_e64 s5, v3, 0x204
	v_max_f32_e32 v18, v16, v8
	v_min_f32_e32 v8, v16, v8
	s_delay_alu instid0(VALU_DEP_2) | instskip(SKIP_1) | instid1(VALU_DEP_2)
	v_frexp_mant_f32_e32 v19, v18
	v_frexp_exp_i32_f32_e32 v18, v18
	v_rcp_f32_e32 v16, v19
	s_delay_alu instid0(VALU_DEP_3) | instskip(SKIP_1) | instid1(VALU_DEP_2)
	v_frexp_exp_i32_f32_e32 v19, v8
	v_frexp_mant_f32_e32 v8, v8
	v_sub_nc_u32_e32 v18, v19, v18
	s_waitcnt_depctr 0xfff
	v_mul_f32_e32 v8, v8, v16
	s_delay_alu instid0(VALU_DEP_1) | instskip(NEXT) | instid1(VALU_DEP_1)
	v_ldexp_f32 v8, v8, v18
	v_mul_f32_e32 v16, v8, v8
	s_delay_alu instid0(VALU_DEP_1) | instskip(NEXT) | instid1(VALU_DEP_1)
	v_fmaak_f32 v18, s10, v16, 0xbc7a590c
	v_fmaak_f32 v18, v16, v18, 0x3d29fb3f
	s_delay_alu instid0(VALU_DEP_1) | instskip(NEXT) | instid1(VALU_DEP_1)
	v_fmaak_f32 v18, v16, v18, 0xbd97d4d7
	v_fmaak_f32 v18, v16, v18, 0x3dd931b2
	;; [unrolled: 3-line block ×3, first 2 shown]
	s_delay_alu instid0(VALU_DEP_1) | instskip(NEXT) | instid1(VALU_DEP_1)
	v_fmaak_f32 v18, v16, v18, 0xbeaaaa62
	v_mul_f32_e32 v16, v16, v18
	v_cndmask_b32_e64 v18, 0, 0x40490fdb, vcc_lo
	v_cmp_gt_f32_e32 vcc_lo, 0, v2
	v_cndmask_b32_e32 v19, 0x3f490fdb, v12, vcc_lo
	s_delay_alu instid0(VALU_DEP_4) | instskip(NEXT) | instid1(VALU_DEP_1)
	v_fmac_f32_e32 v8, v8, v16
	v_sub_f32_e32 v16, 0x3fc90fdb, v8
	s_delay_alu instid0(VALU_DEP_1) | instskip(NEXT) | instid1(VALU_DEP_1)
	v_cndmask_b32_e64 v8, v8, v16, s0
	v_sub_f32_e32 v16, 0x40490fdb, v8
	s_delay_alu instid0(VALU_DEP_1) | instskip(SKIP_2) | instid1(VALU_DEP_2)
	v_cndmask_b32_e32 v8, v8, v16, vcc_lo
	v_mul_f32_e32 v16, 0.5, v17
	s_and_b32 vcc_lo, s4, s5
	v_cndmask_b32_e64 v18, v8, v18, s1
	s_delay_alu instid0(VALU_DEP_2) | instskip(NEXT) | instid1(VALU_DEP_2)
	v_mul_f32_e32 v8, v17, v16
	v_cndmask_b32_e32 v16, v18, v19, vcc_lo
.LBB199_253:                            ;   in Loop: Header=BB199_162 Depth=1
	s_or_b32 exec_lo, exec_lo, s3
.LBB199_254:                            ;   in Loop: Header=BB199_162 Depth=1
	s_delay_alu instid0(SALU_CYCLE_1)
	s_or_b32 exec_lo, exec_lo, s2
.LBB199_255:                            ;   in Loop: Header=BB199_162 Depth=1
	s_and_not1_saveexec_b32 s2, s12
	s_cbranch_execz .LBB199_257
; %bb.256:                              ;   in Loop: Header=BB199_162 Depth=1
	v_div_scale_f32 v8, null, 0x402df854, 0x402df854, v2
	v_div_scale_f32 v16, null, 0x402df854, 0x402df854, v3
	v_div_scale_f32 v21, vcc_lo, v2, 0x402df854, v2
	s_delay_alu instid0(VALU_DEP_3) | instskip(NEXT) | instid1(VALU_DEP_2)
	v_rcp_f32_e32 v17, v8
	v_rcp_f32_e32 v18, v16
	v_cmp_class_f32_e64 s3, v3, 0x204
	s_waitcnt_depctr 0xfff
	v_fma_f32 v19, -v8, v17, 1.0
	v_fma_f32 v20, -v16, v18, 1.0
	s_delay_alu instid0(VALU_DEP_1) | instskip(SKIP_1) | instid1(VALU_DEP_2)
	v_dual_fmac_f32 v17, v19, v17 :: v_dual_fmac_f32 v18, v20, v18
	v_div_scale_f32 v19, s1, v3, 0x402df854, v3
	v_mul_f32_e32 v20, v21, v17
	s_delay_alu instid0(VALU_DEP_1) | instskip(NEXT) | instid1(VALU_DEP_1)
	v_fma_f32 v23, -v8, v20, v21
	v_fmac_f32_e32 v20, v23, v17
	s_delay_alu instid0(VALU_DEP_1) | instskip(NEXT) | instid1(VALU_DEP_1)
	v_fma_f32 v8, -v8, v20, v21
	v_div_fmas_f32 v8, v8, v17, v20
	v_max_f32_e64 v20, |v2|, |v2|
	v_mul_f32_e32 v22, v19, v18
	s_mov_b32 vcc_lo, s1
	v_cmp_class_f32_e64 s1, v2, 0x204
	v_div_fixup_f32 v8, v8, 0x402df854, v2
	s_delay_alu instid0(VALU_DEP_3) | instskip(NEXT) | instid1(VALU_DEP_1)
	v_fma_f32 v24, -v16, v22, v19
	v_fmac_f32_e32 v22, v24, v18
	s_delay_alu instid0(VALU_DEP_1) | instskip(NEXT) | instid1(VALU_DEP_1)
	v_fma_f32 v16, -v16, v22, v19
	v_div_fmas_f32 v16, v16, v18, v22
	s_delay_alu instid0(VALU_DEP_1) | instskip(NEXT) | instid1(VALU_DEP_1)
	v_div_fixup_f32 v18, v16, 0x402df854, v3
	v_max_f32_e64 v19, |v8|, |v18|
	s_delay_alu instid0(VALU_DEP_1) | instskip(SKIP_1) | instid1(VALU_DEP_2)
	v_cvt_f64_f32_e32 v[16:17], v19
	v_cmp_neq_f32_e32 vcc_lo, 0x7f800000, v19
	v_frexp_exp_i32_f64_e32 v16, v[16:17]
	v_max_f32_e64 v17, |v3|, |v3|
	s_delay_alu instid0(VALU_DEP_1) | instskip(SKIP_1) | instid1(VALU_DEP_2)
	v_max_f32_e32 v21, v20, v17
	v_min_f32_e32 v17, v20, v17
	v_frexp_mant_f32_e32 v22, v21
	v_frexp_exp_i32_f32_e32 v21, v21
	s_delay_alu instid0(VALU_DEP_2) | instskip(SKIP_1) | instid1(VALU_DEP_1)
	v_rcp_f32_e32 v20, v22
	v_sub_nc_u32_e32 v22, 0, v16
	v_ldexp_f32 v18, |v18|, v22
	v_ldexp_f32 v8, |v8|, v22
	s_delay_alu instid0(VALU_DEP_2) | instskip(SKIP_2) | instid1(VALU_DEP_3)
	v_mul_f32_e32 v18, v18, v18
	v_frexp_exp_i32_f32_e32 v23, v17
	v_frexp_mant_f32_e32 v17, v17
	v_fmac_f32_e32 v18, v8, v8
	s_delay_alu instid0(VALU_DEP_3)
	v_sub_nc_u32_e32 v21, v23, v21
	s_delay_alu instid0(TRANS32_DEP_1) | instid1(VALU_DEP_3)
	v_mul_f32_e32 v17, v17, v20
	s_delay_alu instid0(VALU_DEP_3) | instskip(NEXT) | instid1(VALU_DEP_1)
	v_sqrt_f32_e32 v18, v18
	v_ldexp_f32 v17, v17, v21
	s_delay_alu instid0(VALU_DEP_1) | instskip(SKIP_3) | instid1(VALU_DEP_2)
	v_mul_f32_e32 v8, v17, v17
	s_waitcnt_depctr 0xfff
	v_ldexp_f32 v16, v18, v16
	v_fmaak_f32 v20, s10, v8, 0xbc7a590c
	v_cndmask_b32_e32 v16, 0x7f800000, v16, vcc_lo
	s_delay_alu instid0(VALU_DEP_2) | instskip(NEXT) | instid1(VALU_DEP_2)
	v_fmaak_f32 v20, v8, v20, 0x3d29fb3f
	v_cmp_gt_f32_e32 vcc_lo, 0x800000, v16
	s_delay_alu instid0(VALU_DEP_2) | instskip(SKIP_2) | instid1(VALU_DEP_3)
	v_fmaak_f32 v18, v8, v20, 0xbd97d4d7
	v_cndmask_b32_e64 v19, 1.0, 0x4f800000, vcc_lo
	v_cndmask_b32_e64 v20, 0, 0x41b17218, vcc_lo
	v_fmaak_f32 v18, v8, v18, 0x3dd931b2
	s_delay_alu instid0(VALU_DEP_3) | instskip(NEXT) | instid1(VALU_DEP_2)
	v_mul_f32_e32 v16, v16, v19
	v_fmaak_f32 v18, v8, v18, 0xbe1160e6
	s_delay_alu instid0(VALU_DEP_2) | instskip(NEXT) | instid1(VALU_DEP_1)
	v_log_f32_e32 v16, v16
	v_fmaak_f32 v18, v8, v18, 0x3e4cb8bf
	s_delay_alu instid0(VALU_DEP_1) | instskip(SKIP_4) | instid1(VALU_DEP_2)
	v_fmaak_f32 v18, v8, v18, 0xbeaaaa62
	s_waitcnt_depctr 0xfff
	v_cmp_gt_f32_e64 vcc_lo, 0x7f800000, |v16|
	v_mul_f32_e32 v8, v8, v18
	v_mul_f32_e32 v18, 0x3f317217, v16
	v_fmac_f32_e32 v17, v17, v8
	s_delay_alu instid0(VALU_DEP_2) | instskip(NEXT) | instid1(VALU_DEP_2)
	v_fma_f32 v8, 0x3f317217, v16, -v18
	v_sub_f32_e32 v19, 0x3fc90fdb, v17
	s_delay_alu instid0(VALU_DEP_2) | instskip(NEXT) | instid1(VALU_DEP_2)
	v_fmac_f32_e32 v8, 0x3377d1cf, v16
	v_cndmask_b32_e64 v17, v17, v19, s0
	v_cmp_gt_i32_e64 s0, 0, v2
	s_delay_alu instid0(VALU_DEP_3) | instskip(NEXT) | instid1(VALU_DEP_3)
	v_add_f32_e32 v8, v18, v8
	v_sub_f32_e32 v18, 0x40490fdb, v17
	s_delay_alu instid0(VALU_DEP_3) | instskip(SKIP_1) | instid1(VALU_DEP_4)
	v_cndmask_b32_e64 v19, 0, 0x40490fdb, s0
	v_cmp_gt_f32_e64 s0, 0, v2
	v_cndmask_b32_e32 v8, v16, v8, vcc_lo
	v_cmp_eq_f32_e32 vcc_lo, 0, v3
	s_delay_alu instid0(VALU_DEP_3) | instskip(SKIP_1) | instid1(VALU_DEP_4)
	v_cndmask_b32_e64 v16, v17, v18, s0
	v_cndmask_b32_e64 v17, 0x3f490fdb, v12, s0
	v_sub_f32_e32 v8, v8, v20
	s_delay_alu instid0(VALU_DEP_3) | instskip(SKIP_1) | instid1(VALU_DEP_2)
	v_cndmask_b32_e32 v16, v16, v19, vcc_lo
	s_and_b32 vcc_lo, s1, s3
	v_add_f32_e32 v8, 1.0, v8
	s_delay_alu instid0(VALU_DEP_2)
	v_cndmask_b32_e32 v16, v16, v17, vcc_lo
.LBB199_257:                            ;   in Loop: Header=BB199_162 Depth=1
	s_or_b32 exec_lo, exec_lo, s2
.LBB199_258:                            ;   in Loop: Header=BB199_162 Depth=1
	s_and_not1_saveexec_b32 s0, s11
	s_cbranch_execz .LBB199_264
; %bb.259:                              ;   in Loop: Header=BB199_162 Depth=1
	v_cmp_ngt_f32_e64 s1, 0x20000000, |v2|
	v_cmp_ngt_f32_e64 s2, 0x20000000, |v3|
                                        ; implicit-def: $vgpr8
	s_delay_alu instid0(VALU_DEP_1) | instskip(NEXT) | instid1(SALU_CYCLE_1)
	s_or_b32 s1, s1, s2
	s_and_saveexec_b32 s2, s1
	s_delay_alu instid0(SALU_CYCLE_1)
	s_xor_b32 s1, exec_lo, s2
; %bb.260:                              ;   in Loop: Header=BB199_162 Depth=1
	v_mul_f32_e32 v8, v3, v3
	s_delay_alu instid0(VALU_DEP_1)
	v_fmac_f32_e32 v8, v2, v2
; %bb.261:                              ;   in Loop: Header=BB199_162 Depth=1
	s_and_not1_saveexec_b32 s1, s1
; %bb.262:                              ;   in Loop: Header=BB199_162 Depth=1
	v_mul_f32_e32 v8, 4.0, v3
	v_mul_f32_e32 v2, 4.0, v2
	s_delay_alu instid0(VALU_DEP_2) | instskip(NEXT) | instid1(VALU_DEP_1)
	v_mul_f32_e32 v8, v8, v8
	v_fmac_f32_e32 v8, v2, v2
	s_delay_alu instid0(VALU_DEP_1)
	v_mul_f32_e32 v8, 0x3d800000, v8
; %bb.263:                              ;   in Loop: Header=BB199_162 Depth=1
	s_or_b32 exec_lo, exec_lo, s1
	s_delay_alu instid0(VALU_DEP_1) | instskip(SKIP_1) | instid1(VALU_DEP_1)
	v_cmp_gt_f32_e32 vcc_lo, 0x800000, v8
	v_cndmask_b32_e64 v2, 1.0, 0x4f800000, vcc_lo
	v_mul_f32_e32 v2, v8, v2
	s_delay_alu instid0(VALU_DEP_1) | instskip(SKIP_2) | instid1(VALU_DEP_1)
	v_log_f32_e32 v2, v2
	s_waitcnt_depctr 0xfff
	v_mul_f32_e32 v8, 0x3f317217, v2
	v_fma_f32 v16, 0x3f317217, v2, -v8
	s_delay_alu instid0(VALU_DEP_1) | instskip(NEXT) | instid1(VALU_DEP_1)
	v_fmac_f32_e32 v16, 0x3377d1cf, v2
	v_add_f32_e32 v8, v8, v16
	v_cndmask_b32_e64 v16, 0, 0x41b17218, vcc_lo
	v_cmp_gt_f32_e64 vcc_lo, 0x7f800000, |v2|
	s_delay_alu instid0(VALU_DEP_3) | instskip(NEXT) | instid1(VALU_DEP_1)
	v_cndmask_b32_e32 v2, v2, v8, vcc_lo
	v_sub_f32_e32 v8, v2, v16
	v_mov_b32_e32 v16, 0x7fc00000
.LBB199_264:                            ;   in Loop: Header=BB199_162 Depth=1
	s_or_b32 exec_lo, exec_lo, s0
                                        ; implicit-def: $vgpr2
                                        ; implicit-def: $vgpr17
	s_delay_alu instid0(SALU_CYCLE_1)
	s_mov_b32 s0, exec_lo
	v_cmpx_o_f32_e32 v5, v4
	s_xor_b32 s11, exec_lo, s0
	s_cbranch_execz .LBB199_292
; %bb.265:                              ;   in Loop: Header=BB199_162 Depth=1
	v_cmp_lt_f32_e64 s0, |v4|, |v5|
                                        ; implicit-def: $vgpr2
                                        ; implicit-def: $vgpr17
	s_mov_b32 s1, exec_lo
	s_delay_alu instid0(VALU_DEP_1) | instskip(NEXT) | instid1(VALU_DEP_1)
	v_cndmask_b32_e64 v18, |v5|, |v4|, s0
	v_cmpx_nlt_f32_e32 0x77f684df, v18
	s_xor_b32 s12, exec_lo, s1
	s_cbranch_execz .LBB199_289
; %bb.266:                              ;   in Loop: Header=BB199_162 Depth=1
	v_and_b32_e32 v2, 0x7fffffff, v5
                                        ; implicit-def: $vgpr17
	s_mov_b32 s1, exec_lo
	s_delay_alu instid0(VALU_DEP_1) | instskip(NEXT) | instid1(VALU_DEP_1)
	v_cndmask_b32_e64 v19, |v4|, v2, s0
                                        ; implicit-def: $vgpr2
	v_cmpx_neq_f32_e32 1.0, v19
	s_xor_b32 s16, exec_lo, s1
	s_cbranch_execz .LBB199_282
; %bb.267:                              ;   in Loop: Header=BB199_162 Depth=1
	v_dual_max_f32 v2, v18, v18 :: v_dual_max_f32 v17, v19, v19
	s_delay_alu instid0(VALU_DEP_1) | instskip(SKIP_1) | instid1(VALU_DEP_2)
	v_min_f32_e32 v20, v17, v2
	v_max_f32_e32 v2, v17, v2
                                        ; implicit-def: $vgpr17
	v_cmp_ngt_f32_e32 vcc_lo, 0x358637bd, v20
	s_delay_alu instid0(VALU_DEP_2) | instskip(NEXT) | instid1(VALU_DEP_1)
	v_cmp_nlt_f32_e64 s1, 0x49742400, v2
                                        ; implicit-def: $vgpr2
	s_and_b32 s1, s1, vcc_lo
	s_delay_alu instid0(SALU_CYCLE_1) | instskip(NEXT) | instid1(SALU_CYCLE_1)
	s_and_saveexec_b32 s2, s1
	s_xor_b32 s17, exec_lo, s2
	s_cbranch_execz .LBB199_279
; %bb.268:                              ;   in Loop: Header=BB199_162 Depth=1
                                        ; implicit-def: $vgpr2
                                        ; implicit-def: $vgpr17
	s_mov_b32 s1, exec_lo
	v_cmpx_le_f32_e32 1.0, v19
	s_xor_b32 s2, exec_lo, s1
	s_cbranch_execz .LBB199_270
; %bb.269:                              ;   in Loop: Header=BB199_162 Depth=1
	v_add_f32_e32 v2, -1.0, v19
	v_add_f32_e32 v17, 1.0, v19
	v_cmp_class_f32_e64 s3, v4, 0x204
	s_delay_alu instid0(VALU_DEP_2) | instskip(NEXT) | instid1(VALU_DEP_1)
	v_mul_f32_e32 v2, v2, v17
	v_fmac_f32_e32 v2, v18, v18
	s_delay_alu instid0(VALU_DEP_1) | instskip(SKIP_1) | instid1(VALU_DEP_2)
	v_add_f32_e32 v19, 1.0, v2
	v_cmp_neq_f32_e64 s1, -1.0, v2
	v_cvt_f64_f32_e32 v[17:18], v19
	s_delay_alu instid0(VALU_DEP_1) | instskip(SKIP_1) | instid1(VALU_DEP_1)
	v_frexp_exp_i32_f64_e32 v17, v[17:18]
	v_frexp_mant_f32_e32 v18, v19
	v_cmp_gt_f32_e32 vcc_lo, 0x3f2aaaab, v18
	v_add_f32_e32 v18, -1.0, v19
	s_delay_alu instid0(VALU_DEP_1) | instskip(NEXT) | instid1(VALU_DEP_1)
	v_sub_f32_e32 v21, v18, v19
	v_dual_sub_f32 v18, v2, v18 :: v_dual_add_f32 v21, 1.0, v21
	s_delay_alu instid0(VALU_DEP_1) | instskip(SKIP_2) | instid1(VALU_DEP_2)
	v_add_f32_e32 v18, v18, v21
	v_subrev_co_ci_u32_e32 v17, vcc_lo, 0, v17, vcc_lo
	v_cmp_eq_f32_e32 vcc_lo, 0x7f800000, v2
	v_sub_nc_u32_e32 v20, 0, v17
	v_cvt_f32_i32_e32 v17, v17
	s_delay_alu instid0(VALU_DEP_2) | instskip(SKIP_1) | instid1(VALU_DEP_2)
	v_ldexp_f32 v19, v19, v20
	v_ldexp_f32 v18, v18, v20
	v_add_f32_e32 v22, 1.0, v19
	s_delay_alu instid0(VALU_DEP_1) | instskip(NEXT) | instid1(VALU_DEP_1)
	v_add_f32_e32 v21, -1.0, v22
	v_sub_f32_e32 v21, v19, v21
	s_delay_alu instid0(VALU_DEP_1) | instskip(NEXT) | instid1(VALU_DEP_1)
	v_dual_add_f32 v21, v18, v21 :: v_dual_add_f32 v20, -1.0, v19
	v_add_f32_e32 v23, 1.0, v20
	s_delay_alu instid0(VALU_DEP_1) | instskip(NEXT) | instid1(VALU_DEP_3)
	v_sub_f32_e32 v19, v19, v23
	v_add_f32_e32 v23, v22, v21
	s_delay_alu instid0(VALU_DEP_1) | instskip(NEXT) | instid1(VALU_DEP_3)
	v_sub_f32_e32 v22, v23, v22
	v_add_f32_e32 v18, v18, v19
	v_rcp_f32_e32 v19, v23
	s_delay_alu instid0(VALU_DEP_2) | instskip(NEXT) | instid1(VALU_DEP_2)
	v_sub_f32_e32 v21, v21, v22
	v_add_f32_e32 v24, v20, v18
	s_delay_alu instid0(VALU_DEP_1) | instskip(SKIP_2) | instid1(VALU_DEP_1)
	v_sub_f32_e32 v20, v24, v20
	s_waitcnt_depctr 0xfff
	v_dual_mul_f32 v25, v24, v19 :: v_dual_sub_f32 v18, v18, v20
	v_mul_f32_e32 v26, v23, v25
	s_delay_alu instid0(VALU_DEP_1) | instskip(NEXT) | instid1(VALU_DEP_1)
	v_fma_f32 v22, v25, v23, -v26
	v_fmac_f32_e32 v22, v25, v21
	s_delay_alu instid0(VALU_DEP_1) | instskip(NEXT) | instid1(VALU_DEP_1)
	v_add_f32_e32 v27, v26, v22
	v_sub_f32_e32 v28, v24, v27
	s_delay_alu instid0(VALU_DEP_1) | instskip(SKIP_1) | instid1(VALU_DEP_2)
	v_sub_f32_e32 v24, v24, v28
	v_sub_f32_e32 v20, v27, v26
	;; [unrolled: 1-line block ×3, first 2 shown]
	s_delay_alu instid0(VALU_DEP_2) | instskip(NEXT) | instid1(VALU_DEP_2)
	v_sub_f32_e32 v20, v20, v22
	v_add_f32_e32 v18, v18, v24
	s_delay_alu instid0(VALU_DEP_1) | instskip(NEXT) | instid1(VALU_DEP_1)
	v_add_f32_e32 v18, v20, v18
	v_add_f32_e32 v20, v28, v18
	s_delay_alu instid0(VALU_DEP_1) | instskip(NEXT) | instid1(VALU_DEP_1)
	v_mul_f32_e32 v22, v19, v20
	v_mul_f32_e32 v24, v23, v22
	s_delay_alu instid0(VALU_DEP_1) | instskip(NEXT) | instid1(VALU_DEP_1)
	v_fma_f32 v23, v22, v23, -v24
	v_fmac_f32_e32 v23, v22, v21
	v_sub_f32_e32 v27, v28, v20
	s_delay_alu instid0(VALU_DEP_2) | instskip(NEXT) | instid1(VALU_DEP_2)
	v_add_f32_e32 v21, v24, v23
	v_add_f32_e32 v18, v18, v27
	s_delay_alu instid0(VALU_DEP_2) | instskip(SKIP_1) | instid1(VALU_DEP_2)
	v_sub_f32_e32 v26, v20, v21
	v_sub_f32_e32 v24, v21, v24
	;; [unrolled: 1-line block ×3, first 2 shown]
	s_delay_alu instid0(VALU_DEP_1) | instskip(NEXT) | instid1(VALU_DEP_3)
	v_sub_f32_e32 v20, v20, v21
	v_sub_f32_e32 v21, v24, v23
	v_max_f32_e64 v23, |v5|, |v5|
	s_delay_alu instid0(VALU_DEP_3) | instskip(SKIP_1) | instid1(VALU_DEP_1)
	v_add_f32_e32 v18, v18, v20
	v_add_f32_e32 v20, v25, v22
	v_dual_add_f32 v18, v21, v18 :: v_dual_sub_f32 v21, v20, v25
	s_delay_alu instid0(VALU_DEP_1) | instskip(NEXT) | instid1(VALU_DEP_2)
	v_add_f32_e32 v18, v26, v18
	v_sub_f32_e32 v21, v22, v21
	v_mul_f32_e32 v26, 0x3f317218, v17
	s_delay_alu instid0(VALU_DEP_3) | instskip(NEXT) | instid1(VALU_DEP_2)
	v_mul_f32_e32 v18, v19, v18
	v_fma_f32 v27, 0x3f317218, v17, -v26
	s_delay_alu instid0(VALU_DEP_1) | instskip(NEXT) | instid1(VALU_DEP_1)
	v_dual_add_f32 v18, v21, v18 :: v_dual_fmac_f32 v27, 0xb102e308, v17
	v_add_f32_e32 v19, v20, v18
	s_delay_alu instid0(VALU_DEP_1) | instskip(SKIP_1) | instid1(VALU_DEP_2)
	v_mul_f32_e32 v21, v19, v19
	v_ldexp_f32 v25, v19, 1
	v_fmaak_f32 v22, s8, v21, 0x3ecc95a3
	v_mul_f32_e32 v24, v19, v21
	v_sub_f32_e32 v19, v19, v20
	s_delay_alu instid0(VALU_DEP_3) | instskip(SKIP_1) | instid1(VALU_DEP_2)
	v_fmaak_f32 v21, v21, v22, 0x3f2aaada
	v_max_f32_e64 v22, |v4|, |v4|
	v_dual_sub_f32 v18, v18, v19 :: v_dual_mul_f32 v21, v24, v21
	s_delay_alu instid0(VALU_DEP_2) | instskip(SKIP_1) | instid1(VALU_DEP_3)
	v_max_f32_e32 v24, v22, v23
	v_min_f32_e32 v22, v22, v23
	v_ldexp_f32 v18, v18, 1
	s_delay_alu instid0(VALU_DEP_4) | instskip(NEXT) | instid1(VALU_DEP_4)
	v_add_f32_e32 v20, v25, v21
	v_frexp_mant_f32_e32 v23, v24
	v_frexp_exp_i32_f32_e32 v24, v24
	s_delay_alu instid0(VALU_DEP_3) | instskip(NEXT) | instid1(VALU_DEP_3)
	v_sub_f32_e32 v19, v20, v25
	v_rcp_f32_e32 v23, v23
	v_frexp_exp_i32_f32_e32 v25, v22
	s_delay_alu instid0(VALU_DEP_2) | instskip(SKIP_1) | instid1(VALU_DEP_3)
	v_sub_f32_e32 v19, v21, v19
	v_frexp_mant_f32_e32 v21, v22
	v_sub_nc_u32_e32 v22, v25, v24
	s_delay_alu instid0(VALU_DEP_3) | instskip(SKIP_1) | instid1(VALU_DEP_1)
	v_add_f32_e32 v17, v18, v19
	v_add_f32_e32 v19, v26, v27
	v_sub_f32_e32 v26, v19, v26
	s_delay_alu instid0(VALU_DEP_1)
	v_sub_f32_e32 v26, v27, v26
	s_delay_alu instid0(TRANS32_DEP_1) | instid1(VALU_DEP_4)
	v_dual_mul_f32 v18, v21, v23 :: v_dual_add_f32 v21, v20, v17
	s_delay_alu instid0(VALU_DEP_1) | instskip(NEXT) | instid1(VALU_DEP_2)
	v_ldexp_f32 v18, v18, v22
	v_add_f32_e32 v22, v19, v21
	s_delay_alu instid0(VALU_DEP_2) | instskip(NEXT) | instid1(VALU_DEP_1)
	v_dual_sub_f32 v20, v21, v20 :: v_dual_mul_f32 v23, v18, v18
	v_dual_sub_f32 v24, v22, v19 :: v_dual_sub_f32 v17, v17, v20
	s_delay_alu instid0(VALU_DEP_1) | instskip(SKIP_1) | instid1(VALU_DEP_3)
	v_dual_fmaak_f32 v25, s10, v23, 0xbc7a590c :: v_dual_sub_f32 v28, v22, v24
	v_sub_f32_e32 v20, v21, v24
	v_add_f32_e32 v24, v26, v17
	s_delay_alu instid0(VALU_DEP_3) | instskip(NEXT) | instid1(VALU_DEP_4)
	v_fmaak_f32 v25, v23, v25, 0x3d29fb3f
	v_sub_f32_e32 v19, v19, v28
	s_delay_alu instid0(VALU_DEP_2) | instskip(NEXT) | instid1(VALU_DEP_1)
	v_fmaak_f32 v21, v23, v25, 0xbd97d4d7
	v_dual_add_f32 v19, v20, v19 :: v_dual_fmaak_f32 v20, v23, v21, 0x3dd931b2
	v_sub_f32_e32 v21, v24, v26
	s_delay_alu instid0(VALU_DEP_2) | instskip(NEXT) | instid1(VALU_DEP_1)
	v_dual_add_f32 v19, v24, v19 :: v_dual_fmaak_f32 v20, v23, v20, 0xbe1160e6
	v_dual_sub_f32 v24, v24, v21 :: v_dual_add_f32 v25, v22, v19
	s_delay_alu instid0(VALU_DEP_2) | instskip(NEXT) | instid1(VALU_DEP_2)
	v_dual_sub_f32 v17, v17, v21 :: v_dual_fmaak_f32 v20, v23, v20, 0x3e4cb8bf
	v_dual_sub_f32 v21, v26, v24 :: v_dual_sub_f32 v22, v25, v22
	s_delay_alu instid0(VALU_DEP_1) | instskip(NEXT) | instid1(VALU_DEP_2)
	v_dual_fmaak_f32 v20, v23, v20, 0xbeaaaa62 :: v_dual_add_f32 v17, v17, v21
	v_sub_f32_e32 v19, v19, v22
	s_delay_alu instid0(VALU_DEP_1) | instskip(NEXT) | instid1(VALU_DEP_1)
	v_dual_mul_f32 v20, v23, v20 :: v_dual_add_f32 v17, v17, v19
	v_dual_fmac_f32 v18, v18, v20 :: v_dual_add_f32 v17, v25, v17
	s_delay_alu instid0(VALU_DEP_1) | instskip(NEXT) | instid1(VALU_DEP_2)
	v_sub_f32_e32 v19, 0x3fc90fdb, v18
	v_cndmask_b32_e32 v17, v17, v2, vcc_lo
	v_cmp_gt_i32_e32 vcc_lo, 0, v4
	s_delay_alu instid0(VALU_DEP_3) | instskip(SKIP_2) | instid1(VALU_DEP_3)
	v_cndmask_b32_e64 v18, v18, v19, s0
	v_cndmask_b32_e64 v19, 0, 0x40490fdb, vcc_lo
	v_cmp_ngt_f32_e32 vcc_lo, -1.0, v2
	v_sub_f32_e32 v20, 0x40490fdb, v18
	v_cndmask_b32_e32 v17, 0x7fc00000, v17, vcc_lo
	v_cmp_gt_f32_e32 vcc_lo, 0, v4
	s_delay_alu instid0(VALU_DEP_2) | instskip(NEXT) | instid1(VALU_DEP_4)
	v_cndmask_b32_e64 v17, 0xff800000, v17, s1
	v_cndmask_b32_e32 v18, v18, v20, vcc_lo
	v_cndmask_b32_e32 v20, 0x3f490fdb, v12, vcc_lo
	v_cmp_gt_f32_e64 vcc_lo, 0x33800000, |v2|
	v_cmp_class_f32_e64 s1, v5, 0x204
	v_cndmask_b32_e32 v2, v17, v2, vcc_lo
	v_cmp_eq_f32_e32 vcc_lo, 0, v5
	s_delay_alu instid0(VALU_DEP_2) | instskip(NEXT) | instid1(VALU_DEP_4)
	v_dual_mul_f32 v2, 0.5, v2 :: v_dual_cndmask_b32 v17, v18, v19
	s_and_b32 vcc_lo, s3, s1
                                        ; implicit-def: $vgpr18
                                        ; implicit-def: $vgpr19
	s_delay_alu instid0(VALU_DEP_1)
	v_cndmask_b32_e32 v17, v17, v20, vcc_lo
.LBB199_270:                            ;   in Loop: Header=BB199_162 Depth=1
	s_and_not1_saveexec_b32 s18, s2
	s_cbranch_execz .LBB199_278
; %bb.271:                              ;   in Loop: Header=BB199_162 Depth=1
	v_mul_f32_e32 v20, v18, v18
                                        ; implicit-def: $vgpr2
                                        ; implicit-def: $vgpr17
	s_mov_b32 s1, exec_lo
	s_delay_alu instid0(VALU_DEP_1) | instskip(NEXT) | instid1(VALU_DEP_1)
	v_fmac_f32_e32 v20, v19, v19
	v_cmpx_ge_f32_e32 0x3f333333, v20
	s_xor_b32 s2, exec_lo, s1
	s_cbranch_execz .LBB199_273
; %bb.272:                              ;   in Loop: Header=BB199_162 Depth=1
	v_max_f32_e64 v2, |v5|, |v5|
	v_max_f32_e64 v17, |v4|, |v4|
	v_cmp_gt_f32_e32 vcc_lo, 0x800000, v20
	v_cmp_gt_i32_e64 s1, 0, v4
	v_cmp_class_f32_e64 s3, v4, 0x204
	v_cmp_class_f32_e64 s4, v5, 0x204
	v_max_f32_e32 v18, v17, v2
	v_min_f32_e32 v2, v17, v2
	v_cndmask_b32_e64 v21, 0, 0x41b17218, vcc_lo
	s_delay_alu instid0(VALU_DEP_3) | instskip(SKIP_1) | instid1(VALU_DEP_2)
	v_frexp_mant_f32_e32 v19, v18
	v_frexp_exp_i32_f32_e32 v18, v18
	v_rcp_f32_e32 v17, v19
	v_frexp_exp_i32_f32_e32 v19, v2
	v_frexp_mant_f32_e32 v2, v2
	s_delay_alu instid0(VALU_DEP_2) | instskip(SKIP_3) | instid1(VALU_DEP_1)
	v_sub_nc_u32_e32 v18, v19, v18
	v_cndmask_b32_e64 v19, 1.0, 0x4f800000, vcc_lo
	s_waitcnt_depctr 0xfff
	v_dual_mul_f32 v2, v2, v17 :: v_dual_mul_f32 v19, v20, v19
	v_ldexp_f32 v2, v2, v18
	s_delay_alu instid0(VALU_DEP_2) | instskip(NEXT) | instid1(VALU_DEP_1)
	v_log_f32_e32 v19, v19
	v_mul_f32_e32 v17, v2, v2
	s_delay_alu instid0(VALU_DEP_1) | instskip(SKIP_3) | instid1(VALU_DEP_1)
	v_fmaak_f32 v18, s10, v17, 0xbc7a590c
	s_waitcnt_depctr 0xfff
	v_cmp_gt_f32_e64 vcc_lo, 0x7f800000, |v19|
	v_fmaak_f32 v18, v17, v18, 0x3d29fb3f
	v_fmaak_f32 v18, v17, v18, 0xbd97d4d7
	s_delay_alu instid0(VALU_DEP_1) | instskip(NEXT) | instid1(VALU_DEP_1)
	v_fmaak_f32 v18, v17, v18, 0x3dd931b2
	v_fmaak_f32 v18, v17, v18, 0xbe1160e6
	s_delay_alu instid0(VALU_DEP_1) | instskip(NEXT) | instid1(VALU_DEP_1)
	v_fmaak_f32 v18, v17, v18, 0x3e4cb8bf
	v_fmaak_f32 v18, v17, v18, 0xbeaaaa62
	s_delay_alu instid0(VALU_DEP_1) | instskip(NEXT) | instid1(VALU_DEP_1)
	v_dual_mul_f32 v17, v17, v18 :: v_dual_mul_f32 v18, 0x3f317217, v19
	v_fmac_f32_e32 v2, v2, v17
	s_delay_alu instid0(VALU_DEP_2) | instskip(NEXT) | instid1(VALU_DEP_1)
	v_fma_f32 v17, 0x3f317217, v19, -v18
	v_fmac_f32_e32 v17, 0x3377d1cf, v19
	s_delay_alu instid0(VALU_DEP_1) | instskip(SKIP_2) | instid1(VALU_DEP_3)
	v_add_f32_e32 v17, v18, v17
	v_cndmask_b32_e64 v18, 0, 0x40490fdb, s1
	v_cmp_eq_f32_e64 s1, 0, v5
	v_cndmask_b32_e32 v17, v19, v17, vcc_lo
	v_cmp_gt_f32_e32 vcc_lo, 0, v4
	s_delay_alu instid0(VALU_DEP_2) | instskip(SKIP_2) | instid1(VALU_DEP_1)
	v_sub_f32_e32 v17, v17, v21
	v_cndmask_b32_e32 v19, 0x3f490fdb, v12, vcc_lo
	v_sub_f32_e32 v20, 0x3fc90fdb, v2
	v_cndmask_b32_e64 v2, v2, v20, s0
	s_delay_alu instid0(VALU_DEP_1) | instskip(NEXT) | instid1(VALU_DEP_1)
	v_sub_f32_e32 v20, 0x40490fdb, v2
	v_cndmask_b32_e32 v2, v2, v20, vcc_lo
	s_and_b32 vcc_lo, s3, s4
	s_delay_alu instid0(VALU_DEP_1) | instskip(NEXT) | instid1(VALU_DEP_1)
	v_cndmask_b32_e64 v18, v2, v18, s1
	v_dual_mul_f32 v2, 0.5, v17 :: v_dual_cndmask_b32 v17, v18, v19
                                        ; implicit-def: $vgpr19
                                        ; implicit-def: $vgpr18
.LBB199_273:                            ;   in Loop: Header=BB199_162 Depth=1
	s_and_not1_saveexec_b32 s19, s2
	s_cbranch_execz .LBB199_277
; %bb.274:                              ;   in Loop: Header=BB199_162 Depth=1
	v_and_b32_e32 v20, 0x7fff0000, v18
	v_and_b32_e32 v17, 0x7fff0000, v19
	s_mov_b32 s21, 0
	s_delay_alu instid0(VALU_DEP_2) | instskip(SKIP_1) | instid1(VALU_DEP_3)
	v_sub_f32_e32 v21, v18, v20
	v_mul_f32_e32 v18, v20, v20
	v_mul_f32_e32 v2, v17, v17
	v_sub_f32_e32 v19, v19, v17
	s_delay_alu instid0(VALU_DEP_1) | instskip(NEXT) | instid1(VALU_DEP_1)
	v_dual_add_f32 v27, v20, v20 :: v_dual_and_b32 v22, 0xffff0000, v19
	v_dual_sub_f32 v20, v19, v22 :: v_dual_and_b32 v23, 0xffff0000, v21
	s_delay_alu instid0(VALU_DEP_1) | instskip(SKIP_2) | instid1(VALU_DEP_3)
	v_dual_add_f32 v24, v17, v17 :: v_dual_mul_f32 v17, v27, v23
	v_dual_sub_f32 v28, v21, v23 :: v_dual_mul_f32 v19, v22, v22
	v_add_f32_e32 v21, v22, v22
	v_dual_mul_f32 v26, v24, v22 :: v_dual_add_f32 v29, v23, v23
	v_dual_mul_f32 v25, v23, v23 :: v_dual_mul_f32 v22, v24, v20
	s_delay_alu instid0(VALU_DEP_4) | instskip(NEXT) | instid1(VALU_DEP_4)
	v_mul_f32_e32 v24, v27, v28
	v_mul_f32_e32 v23, v21, v20
	;; [unrolled: 1-line block ×5, first 2 shown]
.LBB199_275:                            ;   Parent Loop BB199_162 Depth=1
                                        ; =>  This Inner Loop Header: Depth=2
	v_cmp_nlt_f32_e32 vcc_lo, v2, v18
	s_delay_alu instid0(VALU_DEP_2) | instskip(SKIP_1) | instid1(VALU_DEP_2)
	v_dual_mov_b32 v29, v27 :: v_dual_cndmask_b32 v28, v2, v18
	v_cndmask_b32_e32 v2, v18, v2, vcc_lo
	v_cmp_nlt_f32_e64 s1, v28, v26
	s_delay_alu instid0(VALU_DEP_1) | instskip(SKIP_2) | instid1(VALU_DEP_2)
	v_cndmask_b32_e64 v27, v28, v26, s1
	v_cndmask_b32_e64 v18, v26, v28, s1
	s_and_b32 s22, vcc_lo, s1
	v_cmp_nlt_f32_e64 s2, v27, v17
	s_delay_alu instid0(VALU_DEP_1) | instskip(SKIP_1) | instid1(VALU_DEP_2)
	v_cndmask_b32_e64 v30, v27, v17, s2
	v_cndmask_b32_e64 v26, v17, v27, s2
	v_cmp_nlt_f32_e64 s3, v30, v19
	s_delay_alu instid0(VALU_DEP_1) | instskip(SKIP_2) | instid1(VALU_DEP_2)
	v_cndmask_b32_e64 v28, v30, v19, s3
	v_cndmask_b32_e64 v17, v19, v30, s3
	s_and_b32 s23, s2, s3
	v_cmp_nlt_f32_e64 s4, v28, v25
	s_delay_alu instid0(VALU_DEP_1) | instskip(SKIP_1) | instid1(VALU_DEP_2)
	v_cndmask_b32_e64 v31, v28, v25, s4
	v_cndmask_b32_e64 v19, v25, v28, s4
	v_cmp_nlt_f32_e64 s5, v31, v22
	s_delay_alu instid0(VALU_DEP_1) | instskip(SKIP_2) | instid1(VALU_DEP_2)
	v_cndmask_b32_e64 v32, v31, v22, s5
	s_and_b32 s3, s4, s5
	v_cndmask_b32_e64 v25, v22, v31, s5
	v_cmp_nlt_f32_e64 s6, v32, v24
	s_delay_alu instid0(VALU_DEP_1) | instskip(SKIP_2) | instid1(VALU_DEP_2)
	v_cndmask_b32_e64 v33, v32, v24, s6
	s_and_b32 s3, s3, s6
	v_cndmask_b32_e64 v22, v24, v32, s6
	v_cmp_nlt_f32_e32 vcc_lo, v33, v23
	v_cndmask_b32_e32 v34, v33, v23, vcc_lo
	s_and_b32 s4, s3, vcc_lo
	v_cndmask_b32_e32 v24, v23, v33, vcc_lo
	s_delay_alu instid0(VALU_DEP_2) | instskip(NEXT) | instid1(VALU_DEP_1)
	v_cmp_nlt_f32_e64 s1, v34, v21
	v_cndmask_b32_e64 v30, v34, v21, s1
	s_and_b32 s4, s4, s1
	v_cndmask_b32_e64 v23, v21, v34, s1
	s_delay_alu instid0(VALU_DEP_2) | instskip(NEXT) | instid1(VALU_DEP_1)
	v_cmp_nlt_f32_e64 s2, v30, v20
	v_cndmask_b32_e64 v28, v30, v20, s2
	s_and_b32 s4, s4, s2
	v_cndmask_b32_e64 v21, v20, v30, s2
	s_delay_alu instid0(VALU_DEP_2) | instskip(NEXT) | instid1(VALU_DEP_1)
	v_cmp_nlt_f32_e64 s3, v28, v29
	s_and_b32 s4, s4, s3
	v_cndmask_b32_e64 v27, v28, v29, s3
	s_and_b32 s1, s4, s23
	v_cndmask_b32_e64 v20, v29, v28, s3
	s_and_b32 s1, s1, s22
	s_delay_alu instid0(SALU_CYCLE_1) | instskip(NEXT) | instid1(SALU_CYCLE_1)
	s_and_b32 s1, exec_lo, s1
	s_or_b32 s21, s1, s21
	s_delay_alu instid0(SALU_CYCLE_1)
	s_and_not1_b32 exec_lo, exec_lo, s21
	s_cbranch_execnz .LBB199_275
; %bb.276:                              ;   in Loop: Header=BB199_162 Depth=1
	s_or_b32 exec_lo, exec_lo, s21
	v_add_f32_e32 v2, -1.0, v2
	v_cmp_class_f32_e64 s2, v4, 0x204
	s_delay_alu instid0(VALU_DEP_2) | instskip(NEXT) | instid1(VALU_DEP_1)
	v_add_f32_e32 v2, v2, v18
	v_add_f32_e32 v2, v2, v26
	s_delay_alu instid0(VALU_DEP_1) | instskip(NEXT) | instid1(VALU_DEP_1)
	v_add_f32_e32 v2, v2, v17
	v_add_f32_e32 v2, v2, v19
	s_delay_alu instid0(VALU_DEP_1) | instskip(NEXT) | instid1(VALU_DEP_1)
	v_add_f32_e32 v2, v2, v25
	v_add_f32_e32 v2, v2, v22
	s_delay_alu instid0(VALU_DEP_1) | instskip(NEXT) | instid1(VALU_DEP_1)
	v_add_f32_e32 v2, v2, v24
	v_add_f32_e32 v2, v2, v23
	s_delay_alu instid0(VALU_DEP_1) | instskip(NEXT) | instid1(VALU_DEP_1)
	v_add_f32_e32 v2, v2, v21
	v_add_f32_e32 v2, v2, v20
	s_delay_alu instid0(VALU_DEP_1) | instskip(NEXT) | instid1(VALU_DEP_1)
	v_add_f32_e32 v2, v27, v2
	v_add_f32_e32 v19, 1.0, v2
	s_delay_alu instid0(VALU_DEP_1) | instskip(NEXT) | instid1(VALU_DEP_1)
	v_cvt_f64_f32_e32 v[17:18], v19
	v_frexp_exp_i32_f64_e32 v17, v[17:18]
	v_frexp_mant_f32_e32 v18, v19
	s_delay_alu instid0(VALU_DEP_1) | instskip(SKIP_1) | instid1(VALU_DEP_1)
	v_cmp_gt_f32_e32 vcc_lo, 0x3f2aaaab, v18
	v_add_f32_e32 v18, -1.0, v19
	v_sub_f32_e32 v21, v18, v19
	s_delay_alu instid0(VALU_DEP_1) | instskip(NEXT) | instid1(VALU_DEP_1)
	v_dual_sub_f32 v18, v2, v18 :: v_dual_add_f32 v21, 1.0, v21
	v_add_f32_e32 v18, v18, v21
	v_subrev_co_ci_u32_e32 v17, vcc_lo, 0, v17, vcc_lo
	s_delay_alu instid0(VALU_DEP_1) | instskip(SKIP_1) | instid1(VALU_DEP_2)
	v_sub_nc_u32_e32 v20, 0, v17
	v_cvt_f32_i32_e32 v17, v17
	v_ldexp_f32 v19, v19, v20
	v_ldexp_f32 v18, v18, v20
	s_delay_alu instid0(VALU_DEP_2) | instskip(NEXT) | instid1(VALU_DEP_1)
	v_add_f32_e32 v22, 1.0, v19
	v_dual_add_f32 v20, -1.0, v19 :: v_dual_add_f32 v21, -1.0, v22
	s_delay_alu instid0(VALU_DEP_1) | instskip(NEXT) | instid1(VALU_DEP_2)
	v_add_f32_e32 v23, 1.0, v20
	v_sub_f32_e32 v21, v19, v21
	s_delay_alu instid0(VALU_DEP_2) | instskip(NEXT) | instid1(VALU_DEP_2)
	v_sub_f32_e32 v19, v19, v23
	v_add_f32_e32 v21, v18, v21
	s_delay_alu instid0(VALU_DEP_2) | instskip(SKIP_2) | instid1(VALU_DEP_4)
	v_add_f32_e32 v18, v18, v19
	v_cmp_eq_f32_e32 vcc_lo, 0x7f800000, v2
	v_cmp_neq_f32_e64 s1, -1.0, v2
	v_add_f32_e32 v23, v22, v21
	s_delay_alu instid0(VALU_DEP_1) | instskip(SKIP_1) | instid1(VALU_DEP_1)
	v_rcp_f32_e32 v19, v23
	v_sub_f32_e32 v22, v23, v22
	v_sub_f32_e32 v21, v21, v22
	v_add_f32_e32 v24, v20, v18
	s_waitcnt_depctr 0xfff
	v_mul_f32_e32 v25, v24, v19
	s_delay_alu instid0(VALU_DEP_1) | instskip(NEXT) | instid1(VALU_DEP_1)
	v_mul_f32_e32 v26, v23, v25
	v_fma_f32 v22, v25, v23, -v26
	s_delay_alu instid0(VALU_DEP_1) | instskip(NEXT) | instid1(VALU_DEP_1)
	v_fmac_f32_e32 v22, v25, v21
	v_dual_add_f32 v27, v26, v22 :: v_dual_sub_f32 v20, v24, v20
	s_delay_alu instid0(VALU_DEP_1) | instskip(NEXT) | instid1(VALU_DEP_2)
	v_sub_f32_e32 v28, v24, v27
	v_sub_f32_e32 v18, v18, v20
	;; [unrolled: 1-line block ×3, first 2 shown]
	s_delay_alu instid0(VALU_DEP_3) | instskip(NEXT) | instid1(VALU_DEP_2)
	v_sub_f32_e32 v24, v24, v28
	v_sub_f32_e32 v20, v20, v22
	s_delay_alu instid0(VALU_DEP_2) | instskip(NEXT) | instid1(VALU_DEP_1)
	v_sub_f32_e32 v24, v24, v27
	v_add_f32_e32 v18, v18, v24
	s_delay_alu instid0(VALU_DEP_1) | instskip(NEXT) | instid1(VALU_DEP_1)
	v_add_f32_e32 v18, v20, v18
	v_add_f32_e32 v20, v28, v18
	s_delay_alu instid0(VALU_DEP_1) | instskip(NEXT) | instid1(VALU_DEP_1)
	v_mul_f32_e32 v22, v19, v20
	v_dual_sub_f32 v27, v28, v20 :: v_dual_mul_f32 v24, v23, v22
	s_delay_alu instid0(VALU_DEP_1) | instskip(NEXT) | instid1(VALU_DEP_2)
	v_add_f32_e32 v18, v18, v27
	v_fma_f32 v23, v22, v23, -v24
	s_delay_alu instid0(VALU_DEP_1) | instskip(NEXT) | instid1(VALU_DEP_1)
	v_fmac_f32_e32 v23, v22, v21
	v_add_f32_e32 v21, v24, v23
	s_delay_alu instid0(VALU_DEP_1) | instskip(SKIP_1) | instid1(VALU_DEP_2)
	v_sub_f32_e32 v26, v20, v21
	v_sub_f32_e32 v24, v21, v24
	;; [unrolled: 1-line block ×3, first 2 shown]
	s_delay_alu instid0(VALU_DEP_1) | instskip(NEXT) | instid1(VALU_DEP_3)
	v_sub_f32_e32 v20, v20, v21
	v_sub_f32_e32 v21, v24, v23
	v_max_f32_e64 v23, |v5|, |v5|
	s_delay_alu instid0(VALU_DEP_3) | instskip(SKIP_1) | instid1(VALU_DEP_1)
	v_add_f32_e32 v18, v18, v20
	v_add_f32_e32 v20, v25, v22
	v_dual_add_f32 v18, v21, v18 :: v_dual_sub_f32 v21, v20, v25
	s_delay_alu instid0(VALU_DEP_1) | instskip(NEXT) | instid1(VALU_DEP_2)
	v_add_f32_e32 v18, v26, v18
	v_sub_f32_e32 v21, v22, v21
	v_mul_f32_e32 v26, 0x3f317218, v17
	s_delay_alu instid0(VALU_DEP_3) | instskip(NEXT) | instid1(VALU_DEP_2)
	v_mul_f32_e32 v18, v19, v18
	v_fma_f32 v27, 0x3f317218, v17, -v26
	s_delay_alu instid0(VALU_DEP_1) | instskip(NEXT) | instid1(VALU_DEP_1)
	v_dual_add_f32 v18, v21, v18 :: v_dual_fmac_f32 v27, 0xb102e308, v17
	v_add_f32_e32 v19, v20, v18
	s_delay_alu instid0(VALU_DEP_1) | instskip(SKIP_1) | instid1(VALU_DEP_2)
	v_mul_f32_e32 v21, v19, v19
	v_ldexp_f32 v25, v19, 1
	v_fmaak_f32 v22, s8, v21, 0x3ecc95a3
	v_mul_f32_e32 v24, v19, v21
	v_sub_f32_e32 v19, v19, v20
	s_delay_alu instid0(VALU_DEP_3) | instskip(SKIP_1) | instid1(VALU_DEP_2)
	v_fmaak_f32 v21, v21, v22, 0x3f2aaada
	v_max_f32_e64 v22, |v4|, |v4|
	v_dual_sub_f32 v18, v18, v19 :: v_dual_mul_f32 v21, v24, v21
	s_delay_alu instid0(VALU_DEP_2) | instskip(SKIP_1) | instid1(VALU_DEP_3)
	v_max_f32_e32 v24, v22, v23
	v_min_f32_e32 v22, v22, v23
	v_ldexp_f32 v18, v18, 1
	s_delay_alu instid0(VALU_DEP_4) | instskip(NEXT) | instid1(VALU_DEP_4)
	v_add_f32_e32 v20, v25, v21
	v_frexp_mant_f32_e32 v23, v24
	v_frexp_exp_i32_f32_e32 v24, v24
	s_delay_alu instid0(VALU_DEP_3) | instskip(NEXT) | instid1(VALU_DEP_3)
	v_sub_f32_e32 v19, v20, v25
	v_rcp_f32_e32 v23, v23
	v_frexp_exp_i32_f32_e32 v25, v22
	s_delay_alu instid0(VALU_DEP_2) | instskip(SKIP_1) | instid1(VALU_DEP_3)
	v_sub_f32_e32 v19, v21, v19
	v_frexp_mant_f32_e32 v21, v22
	v_sub_nc_u32_e32 v22, v25, v24
	s_delay_alu instid0(VALU_DEP_3) | instskip(SKIP_4) | instid1(VALU_DEP_3)
	v_add_f32_e32 v17, v18, v19
	s_waitcnt_depctr 0xfff
	v_mul_f32_e32 v18, v21, v23
	v_add_f32_e32 v19, v26, v27
	v_add_f32_e32 v21, v20, v17
	v_ldexp_f32 v18, v18, v22
	s_delay_alu instid0(VALU_DEP_3) | instskip(NEXT) | instid1(VALU_DEP_2)
	v_sub_f32_e32 v26, v19, v26
	v_dual_add_f32 v22, v19, v21 :: v_dual_mul_f32 v23, v18, v18
	v_sub_f32_e32 v20, v21, v20
	s_delay_alu instid0(VALU_DEP_3) | instskip(NEXT) | instid1(VALU_DEP_3)
	v_sub_f32_e32 v26, v27, v26
	v_sub_f32_e32 v24, v22, v19
	s_delay_alu instid0(VALU_DEP_4) | instskip(NEXT) | instid1(VALU_DEP_4)
	v_fmaak_f32 v25, s10, v23, 0xbc7a590c
	v_sub_f32_e32 v17, v17, v20
	s_delay_alu instid0(VALU_DEP_2) | instskip(SKIP_1) | instid1(VALU_DEP_2)
	v_dual_sub_f32 v28, v22, v24 :: v_dual_fmaak_f32 v25, v23, v25, 0x3d29fb3f
	v_sub_f32_e32 v20, v21, v24
	v_dual_add_f32 v24, v26, v17 :: v_dual_sub_f32 v19, v19, v28
	s_delay_alu instid0(VALU_DEP_3) | instskip(NEXT) | instid1(VALU_DEP_1)
	v_fmaak_f32 v21, v23, v25, 0xbd97d4d7
	v_dual_add_f32 v19, v20, v19 :: v_dual_fmaak_f32 v20, v23, v21, 0x3dd931b2
	s_delay_alu instid0(VALU_DEP_3) | instskip(NEXT) | instid1(VALU_DEP_2)
	v_sub_f32_e32 v21, v24, v26
	v_dual_add_f32 v19, v24, v19 :: v_dual_fmaak_f32 v20, v23, v20, 0xbe1160e6
	s_delay_alu instid0(VALU_DEP_2) | instskip(SKIP_1) | instid1(VALU_DEP_3)
	v_sub_f32_e32 v24, v24, v21
	v_sub_f32_e32 v17, v17, v21
	v_dual_add_f32 v25, v22, v19 :: v_dual_fmaak_f32 v20, v23, v20, 0x3e4cb8bf
	s_delay_alu instid0(VALU_DEP_1) | instskip(NEXT) | instid1(VALU_DEP_1)
	v_dual_sub_f32 v21, v26, v24 :: v_dual_sub_f32 v22, v25, v22
	v_dual_fmaak_f32 v20, v23, v20, 0xbeaaaa62 :: v_dual_add_f32 v17, v17, v21
	s_delay_alu instid0(VALU_DEP_2) | instskip(NEXT) | instid1(VALU_DEP_1)
	v_sub_f32_e32 v19, v19, v22
	v_dual_mul_f32 v20, v23, v20 :: v_dual_add_f32 v17, v17, v19
	s_delay_alu instid0(VALU_DEP_1) | instskip(NEXT) | instid1(VALU_DEP_1)
	v_dual_fmac_f32 v18, v18, v20 :: v_dual_add_f32 v17, v25, v17
	v_sub_f32_e32 v19, 0x3fc90fdb, v18
	s_delay_alu instid0(VALU_DEP_2) | instskip(SKIP_1) | instid1(VALU_DEP_3)
	v_cndmask_b32_e32 v17, v17, v2, vcc_lo
	v_cmp_gt_i32_e32 vcc_lo, 0, v4
	v_cndmask_b32_e64 v18, v18, v19, s0
	v_cndmask_b32_e64 v19, 0, 0x40490fdb, vcc_lo
	v_cmp_ngt_f32_e32 vcc_lo, -1.0, v2
	s_delay_alu instid0(VALU_DEP_3) | instskip(SKIP_2) | instid1(VALU_DEP_2)
	v_sub_f32_e32 v20, 0x40490fdb, v18
	v_cndmask_b32_e32 v17, 0x7fc00000, v17, vcc_lo
	v_cmp_gt_f32_e32 vcc_lo, 0, v4
	v_cndmask_b32_e64 v17, 0xff800000, v17, s1
	s_delay_alu instid0(VALU_DEP_4)
	v_cndmask_b32_e32 v18, v18, v20, vcc_lo
	v_cndmask_b32_e32 v20, 0x3f490fdb, v12, vcc_lo
	v_cmp_gt_f32_e64 vcc_lo, 0x33800000, |v2|
	v_cmp_class_f32_e64 s1, v5, 0x204
	v_cndmask_b32_e32 v2, v17, v2, vcc_lo
	v_cmp_eq_f32_e32 vcc_lo, 0, v5
	s_delay_alu instid0(VALU_DEP_2) | instskip(NEXT) | instid1(VALU_DEP_4)
	v_dual_mul_f32 v2, 0.5, v2 :: v_dual_cndmask_b32 v17, v18, v19
	s_and_b32 vcc_lo, s2, s1
	s_delay_alu instid0(VALU_DEP_1)
	v_cndmask_b32_e32 v17, v17, v20, vcc_lo
.LBB199_277:                            ;   in Loop: Header=BB199_162 Depth=1
	s_or_b32 exec_lo, exec_lo, s19
.LBB199_278:                            ;   in Loop: Header=BB199_162 Depth=1
	s_delay_alu instid0(SALU_CYCLE_1)
	s_or_b32 exec_lo, exec_lo, s18
.LBB199_279:                            ;   in Loop: Header=BB199_162 Depth=1
	s_and_not1_saveexec_b32 s2, s17
	s_cbranch_execz .LBB199_281
; %bb.280:                              ;   in Loop: Header=BB199_162 Depth=1
	v_max_f32_e64 v2, |v5|, |v5|
	v_max_f32_e64 v19, |v4|, |v4|
	v_cmp_gt_i32_e64 s1, 0, v4
	v_cmp_class_f32_e64 s3, v4, 0x204
	v_cmp_class_f32_e64 s4, v5, 0x204
	s_delay_alu instid0(VALU_DEP_4) | instskip(SKIP_1) | instid1(VALU_DEP_2)
	v_max_f32_e32 v20, v19, v2
	v_min_f32_e32 v2, v19, v2
	v_cvt_f64_f32_e32 v[17:18], v20
	v_frexp_exp_i32_f32_e32 v19, v20
	s_delay_alu instid0(VALU_DEP_3) | instskip(SKIP_1) | instid1(VALU_DEP_2)
	v_frexp_exp_i32_f32_e32 v21, v2
	v_frexp_mant_f32_e32 v2, v2
	v_sub_nc_u32_e32 v19, v21, v19
	v_frexp_exp_i32_f64_e32 v17, v[17:18]
	v_frexp_mant_f32_e32 v18, v20
	s_delay_alu instid0(VALU_DEP_1) | instskip(SKIP_2) | instid1(VALU_DEP_1)
	v_rcp_f32_e32 v18, v18
	s_waitcnt_depctr 0xfff
	v_mul_f32_e32 v2, v2, v18
	v_ldexp_f32 v2, v2, v19
	v_sub_nc_u32_e32 v22, 0, v17
	s_delay_alu instid0(VALU_DEP_1) | instskip(SKIP_1) | instid1(VALU_DEP_2)
	v_ldexp_f32 v18, |v5|, v22
	v_ldexp_f32 v19, |v4|, v22
	v_mul_f32_e32 v18, v18, v18
	s_delay_alu instid0(VALU_DEP_1) | instskip(NEXT) | instid1(VALU_DEP_1)
	v_dual_mul_f32 v21, v2, v2 :: v_dual_fmac_f32 v18, v19, v19
	v_fmaak_f32 v19, s10, v21, 0xbc7a590c
	v_cmp_neq_f32_e32 vcc_lo, 0x7f800000, v20
	s_delay_alu instid0(VALU_DEP_3) | instskip(NEXT) | instid1(VALU_DEP_2)
	v_sqrt_f32_e32 v18, v18
	v_fmaak_f32 v19, v21, v19, 0x3d29fb3f
	s_delay_alu instid0(VALU_DEP_1) | instskip(SKIP_3) | instid1(VALU_DEP_2)
	v_fmaak_f32 v19, v21, v19, 0xbd97d4d7
	s_waitcnt_depctr 0xfff
	v_ldexp_f32 v17, v18, v17
	v_fmaak_f32 v18, v21, v19, 0x3dd931b2
	v_cndmask_b32_e32 v17, 0x7f800000, v17, vcc_lo
	s_delay_alu instid0(VALU_DEP_2) | instskip(NEXT) | instid1(VALU_DEP_2)
	v_fmaak_f32 v18, v21, v18, 0xbe1160e6
	v_cmp_gt_f32_e32 vcc_lo, 0x800000, v17
	s_delay_alu instid0(VALU_DEP_2) | instskip(SKIP_1) | instid1(VALU_DEP_2)
	v_fmaak_f32 v18, v21, v18, 0x3e4cb8bf
	v_cndmask_b32_e64 v19, 1.0, 0x4f800000, vcc_lo
	v_fmaak_f32 v18, v21, v18, 0xbeaaaa62
	s_delay_alu instid0(VALU_DEP_1) | instskip(NEXT) | instid1(VALU_DEP_1)
	v_mul_f32_e32 v18, v21, v18
	v_dual_mul_f32 v17, v17, v19 :: v_dual_fmac_f32 v2, v2, v18
	s_delay_alu instid0(VALU_DEP_1) | instskip(SKIP_2) | instid1(VALU_DEP_1)
	v_log_f32_e32 v17, v17
	s_waitcnt_depctr 0xfff
	v_mul_f32_e32 v18, 0x3f317217, v17
	v_fma_f32 v20, 0x3f317217, v17, -v18
	s_delay_alu instid0(VALU_DEP_1) | instskip(NEXT) | instid1(VALU_DEP_1)
	v_fmac_f32_e32 v20, 0x3377d1cf, v17
	v_dual_sub_f32 v19, 0x3fc90fdb, v2 :: v_dual_add_f32 v18, v18, v20
	s_delay_alu instid0(VALU_DEP_1) | instskip(SKIP_2) | instid1(VALU_DEP_3)
	v_cndmask_b32_e64 v2, v2, v19, s0
	v_cndmask_b32_e64 v19, 0, 0x40490fdb, s1
	v_cmp_gt_f32_e64 s1, 0, v4
	v_sub_f32_e32 v21, 0x40490fdb, v2
	s_delay_alu instid0(VALU_DEP_2) | instskip(NEXT) | instid1(VALU_DEP_2)
	v_cndmask_b32_e64 v20, 0x3f490fdb, v12, s1
	v_cndmask_b32_e64 v2, v2, v21, s1
	v_cndmask_b32_e64 v21, 0, 0x41b17218, vcc_lo
	v_cmp_gt_f32_e64 vcc_lo, 0x7f800000, |v17|
	v_cndmask_b32_e32 v17, v17, v18, vcc_lo
	v_cmp_eq_f32_e32 vcc_lo, 0, v5
	v_cndmask_b32_e32 v18, v2, v19, vcc_lo
	s_and_b32 vcc_lo, s3, s4
	s_delay_alu instid0(VALU_DEP_1)
	v_dual_sub_f32 v2, v17, v21 :: v_dual_cndmask_b32 v17, v18, v20
.LBB199_281:                            ;   in Loop: Header=BB199_162 Depth=1
	s_or_b32 exec_lo, exec_lo, s2
                                        ; implicit-def: $vgpr18
.LBB199_282:                            ;   in Loop: Header=BB199_162 Depth=1
	s_and_not1_saveexec_b32 s2, s16
	s_cbranch_execz .LBB199_288
; %bb.283:                              ;   in Loop: Header=BB199_162 Depth=1
                                        ; implicit-def: $vgpr2
                                        ; implicit-def: $vgpr17
	s_mov_b32 s1, exec_lo
	v_cmpx_ngt_f32_e32 0x1fec1e4a, v18
	s_xor_b32 s3, exec_lo, s1
	s_cbranch_execz .LBB199_285
; %bb.284:                              ;   in Loop: Header=BB199_162 Depth=1
	v_mul_f32_e32 v2, v18, v18
	v_cmp_gt_f32_e64 s1, 0, v4
	v_cmp_class_f32_e64 s4, v4, 0x204
	v_cmp_class_f32_e64 s6, v5, 0x204
	s_delay_alu instid0(VALU_DEP_4) | instskip(NEXT) | instid1(VALU_DEP_1)
	v_add_f32_e32 v19, 1.0, v2
	v_cvt_f64_f32_e32 v[17:18], v19
	s_delay_alu instid0(VALU_DEP_1) | instskip(SKIP_1) | instid1(VALU_DEP_1)
	v_frexp_exp_i32_f64_e32 v17, v[17:18]
	v_frexp_mant_f32_e32 v18, v19
	v_cmp_gt_f32_e32 vcc_lo, 0x3f2aaaab, v18
	v_add_f32_e32 v18, -1.0, v19
	s_delay_alu instid0(VALU_DEP_1) | instskip(NEXT) | instid1(VALU_DEP_1)
	v_sub_f32_e32 v21, v18, v19
	v_dual_add_f32 v21, 1.0, v21 :: v_dual_sub_f32 v18, v2, v18
	v_cmp_gt_f32_e64 s5, 0x33800000, |v2|
	s_delay_alu instid0(VALU_DEP_2) | instskip(SKIP_2) | instid1(VALU_DEP_2)
	v_add_f32_e32 v18, v18, v21
	v_subrev_co_ci_u32_e32 v17, vcc_lo, 0, v17, vcc_lo
	v_cmp_gt_i32_e32 vcc_lo, 0, v4
	v_sub_nc_u32_e32 v20, 0, v17
	v_cvt_f32_i32_e32 v17, v17
	s_delay_alu instid0(VALU_DEP_2) | instskip(SKIP_1) | instid1(VALU_DEP_2)
	v_ldexp_f32 v19, v19, v20
	v_ldexp_f32 v18, v18, v20
	v_add_f32_e32 v20, -1.0, v19
	s_delay_alu instid0(VALU_DEP_1) | instskip(NEXT) | instid1(VALU_DEP_1)
	v_dual_add_f32 v22, 1.0, v19 :: v_dual_add_f32 v23, 1.0, v20
	v_add_f32_e32 v21, -1.0, v22
	s_delay_alu instid0(VALU_DEP_1) | instskip(NEXT) | instid1(VALU_DEP_3)
	v_sub_f32_e32 v21, v19, v21
	v_sub_f32_e32 v19, v19, v23
	s_delay_alu instid0(VALU_DEP_2) | instskip(NEXT) | instid1(VALU_DEP_2)
	v_add_f32_e32 v21, v18, v21
	v_add_f32_e32 v18, v18, v19
	s_delay_alu instid0(VALU_DEP_1) | instskip(NEXT) | instid1(VALU_DEP_1)
	v_dual_add_f32 v24, v20, v18 :: v_dual_add_f32 v23, v22, v21
	v_rcp_f32_e32 v19, v23
	v_sub_f32_e32 v22, v22, v23
	s_delay_alu instid0(VALU_DEP_1) | instskip(SKIP_2) | instid1(VALU_DEP_1)
	v_dual_add_f32 v21, v21, v22 :: v_dual_sub_f32 v20, v20, v24
	s_waitcnt_depctr 0xfff
	v_dual_mul_f32 v25, v24, v19 :: v_dual_add_f32 v18, v18, v20
	v_mul_f32_e32 v26, v23, v25
	s_delay_alu instid0(VALU_DEP_1) | instskip(NEXT) | instid1(VALU_DEP_1)
	v_fma_f32 v22, v25, v23, -v26
	v_fmac_f32_e32 v22, v25, v21
	s_delay_alu instid0(VALU_DEP_1) | instskip(NEXT) | instid1(VALU_DEP_1)
	v_add_f32_e32 v27, v26, v22
	v_sub_f32_e32 v28, v24, v27
	s_delay_alu instid0(VALU_DEP_1) | instskip(SKIP_1) | instid1(VALU_DEP_2)
	v_sub_f32_e32 v24, v24, v28
	v_sub_f32_e32 v20, v27, v26
	;; [unrolled: 1-line block ×3, first 2 shown]
	s_delay_alu instid0(VALU_DEP_2) | instskip(NEXT) | instid1(VALU_DEP_2)
	v_sub_f32_e32 v20, v20, v22
	v_add_f32_e32 v18, v18, v24
	s_delay_alu instid0(VALU_DEP_1) | instskip(NEXT) | instid1(VALU_DEP_1)
	v_add_f32_e32 v18, v20, v18
	v_add_f32_e32 v20, v28, v18
	s_delay_alu instid0(VALU_DEP_1) | instskip(NEXT) | instid1(VALU_DEP_1)
	v_mul_f32_e32 v22, v19, v20
	v_dual_sub_f32 v27, v28, v20 :: v_dual_mul_f32 v24, v23, v22
	s_delay_alu instid0(VALU_DEP_1) | instskip(NEXT) | instid1(VALU_DEP_2)
	v_add_f32_e32 v18, v18, v27
	v_fma_f32 v23, v22, v23, -v24
	s_delay_alu instid0(VALU_DEP_1) | instskip(NEXT) | instid1(VALU_DEP_1)
	v_fmac_f32_e32 v23, v22, v21
	v_add_f32_e32 v21, v24, v23
	s_delay_alu instid0(VALU_DEP_1) | instskip(SKIP_1) | instid1(VALU_DEP_2)
	v_sub_f32_e32 v26, v20, v21
	v_sub_f32_e32 v24, v21, v24
	;; [unrolled: 1-line block ×3, first 2 shown]
	s_delay_alu instid0(VALU_DEP_1) | instskip(NEXT) | instid1(VALU_DEP_1)
	v_sub_f32_e32 v20, v20, v21
	v_dual_sub_f32 v21, v24, v23 :: v_dual_add_f32 v18, v18, v20
	v_add_f32_e32 v20, v25, v22
	s_delay_alu instid0(VALU_DEP_1) | instskip(NEXT) | instid1(VALU_DEP_1)
	v_dual_add_f32 v18, v21, v18 :: v_dual_sub_f32 v21, v20, v25
	v_add_f32_e32 v18, v26, v18
	s_delay_alu instid0(VALU_DEP_2) | instskip(SKIP_1) | instid1(VALU_DEP_3)
	v_sub_f32_e32 v21, v22, v21
	v_max_f32_e64 v22, |v4|, |v4|
	v_mul_f32_e32 v18, v19, v18
	v_max_f32_e64 v19, |v5|, |v5|
	s_delay_alu instid0(VALU_DEP_2) | instskip(NEXT) | instid1(VALU_DEP_2)
	v_add_f32_e32 v18, v21, v18
	v_max_f32_e32 v24, v22, v19
	v_min_f32_e32 v19, v22, v19
	s_delay_alu instid0(VALU_DEP_3) | instskip(NEXT) | instid1(VALU_DEP_3)
	v_add_f32_e32 v21, v20, v18
	v_frexp_mant_f32_e32 v26, v24
	v_frexp_exp_i32_f32_e32 v22, v24
	s_delay_alu instid0(VALU_DEP_3) | instskip(SKIP_1) | instid1(VALU_DEP_2)
	v_mul_f32_e32 v23, v21, v21
	v_ldexp_f32 v27, v21, 1
	v_dual_sub_f32 v20, v21, v20 :: v_dual_fmaak_f32 v25, s8, v23, 0x3ecc95a3
	v_mul_f32_e32 v24, v21, v23
	s_delay_alu instid0(VALU_DEP_2) | instskip(SKIP_3) | instid1(VALU_DEP_3)
	v_dual_sub_f32 v18, v18, v20 :: v_dual_fmaak_f32 v23, v23, v25, 0x3f2aaada
	v_rcp_f32_e32 v25, v26
	v_frexp_exp_i32_f32_e32 v26, v19
	v_frexp_mant_f32_e32 v19, v19
	v_ldexp_f32 v18, v18, 1
	v_dual_mul_f32 v23, v24, v23 :: v_dual_mul_f32 v24, 0x3f317218, v17
	s_delay_alu instid0(VALU_DEP_4) | instskip(NEXT) | instid1(VALU_DEP_2)
	v_sub_nc_u32_e32 v22, v26, v22
	v_add_f32_e32 v21, v27, v23
	s_delay_alu instid0(TRANS32_DEP_1) | instid1(VALU_DEP_1)
	v_dual_mul_f32 v19, v19, v25 :: v_dual_sub_f32 v20, v21, v27
	s_delay_alu instid0(VALU_DEP_1) | instskip(SKIP_1) | instid1(VALU_DEP_3)
	v_ldexp_f32 v19, v19, v22
	v_fma_f32 v22, 0x3f317218, v17, -v24
	v_sub_f32_e32 v20, v23, v20
	s_delay_alu instid0(VALU_DEP_2) | instskip(NEXT) | instid1(VALU_DEP_1)
	v_dual_mul_f32 v23, v19, v19 :: v_dual_fmac_f32 v22, 0xb102e308, v17
	v_dual_add_f32 v17, v18, v20 :: v_dual_fmaak_f32 v18, s10, v23, 0xbc7a590c
	s_delay_alu instid0(VALU_DEP_1) | instskip(NEXT) | instid1(VALU_DEP_2)
	v_dual_add_f32 v20, v24, v22 :: v_dual_add_f32 v25, v21, v17
	v_fmaak_f32 v18, v23, v18, 0x3d29fb3f
	s_delay_alu instid0(VALU_DEP_2) | instskip(NEXT) | instid1(VALU_DEP_3)
	v_sub_f32_e32 v24, v20, v24
	v_add_f32_e32 v26, v20, v25
	s_delay_alu instid0(VALU_DEP_3) | instskip(NEXT) | instid1(VALU_DEP_3)
	v_dual_fmaak_f32 v18, v23, v18, 0xbd97d4d7 :: v_dual_sub_f32 v21, v25, v21
	v_sub_f32_e32 v22, v22, v24
	s_delay_alu instid0(VALU_DEP_2) | instskip(NEXT) | instid1(VALU_DEP_1)
	v_dual_sub_f32 v27, v26, v20 :: v_dual_fmaak_f32 v18, v23, v18, 0x3dd931b2
	v_dual_sub_f32 v17, v17, v21 :: v_dual_sub_f32 v28, v26, v27
	s_delay_alu instid0(VALU_DEP_2) | instskip(NEXT) | instid1(VALU_DEP_2)
	v_dual_fmaak_f32 v18, v23, v18, 0xbe1160e6 :: v_dual_sub_f32 v21, v25, v27
	v_add_f32_e32 v24, v22, v17
	s_delay_alu instid0(VALU_DEP_3) | instskip(NEXT) | instid1(VALU_DEP_3)
	v_sub_f32_e32 v20, v20, v28
	v_fmaak_f32 v18, v23, v18, 0x3e4cb8bf
	s_delay_alu instid0(VALU_DEP_2) | instskip(NEXT) | instid1(VALU_DEP_2)
	v_add_f32_e32 v20, v21, v20
	v_fmaak_f32 v18, v23, v18, 0xbeaaaa62
	v_sub_f32_e32 v21, v24, v22
	s_delay_alu instid0(VALU_DEP_3) | instskip(NEXT) | instid1(VALU_DEP_2)
	v_add_f32_e32 v20, v24, v20
	v_dual_mul_f32 v18, v23, v18 :: v_dual_sub_f32 v23, v24, v21
	s_delay_alu instid0(VALU_DEP_2) | instskip(NEXT) | instid1(VALU_DEP_2)
	v_dual_sub_f32 v17, v17, v21 :: v_dual_add_f32 v24, v26, v20
	v_dual_fmac_f32 v19, v19, v18 :: v_dual_sub_f32 v18, v22, v23
	s_delay_alu instid0(VALU_DEP_1) | instskip(NEXT) | instid1(VALU_DEP_1)
	v_dual_sub_f32 v21, v24, v26 :: v_dual_sub_f32 v22, 0x3fc90fdb, v19
	v_dual_add_f32 v17, v17, v18 :: v_dual_sub_f32 v18, v20, v21
	s_delay_alu instid0(VALU_DEP_2) | instskip(SKIP_2) | instid1(VALU_DEP_3)
	v_cndmask_b32_e64 v19, v19, v22, s0
	v_cndmask_b32_e64 v20, 0, 0x40490fdb, vcc_lo
	v_cmp_eq_f32_e32 vcc_lo, 0x7f800000, v2
	v_dual_add_f32 v17, v17, v18 :: v_dual_sub_f32 v18, 0x40490fdb, v19
	s_or_b32 vcc_lo, vcc_lo, s5
	s_delay_alu instid0(VALU_DEP_1) | instskip(NEXT) | instid1(VALU_DEP_2)
	v_add_f32_e32 v17, v24, v17
	v_cndmask_b32_e64 v18, v19, v18, s1
	v_cndmask_b32_e64 v19, 0x3f490fdb, v12, s1
	s_delay_alu instid0(VALU_DEP_3) | instskip(SKIP_1) | instid1(VALU_DEP_2)
	v_cndmask_b32_e32 v2, v17, v2, vcc_lo
	v_cmp_eq_f32_e32 vcc_lo, 0, v5
	v_dual_mul_f32 v2, 0.5, v2 :: v_dual_cndmask_b32 v17, v18, v20
	s_and_b32 vcc_lo, s4, s6
                                        ; implicit-def: $vgpr18
	s_delay_alu instid0(VALU_DEP_1)
	v_cndmask_b32_e32 v17, v17, v19, vcc_lo
.LBB199_285:                            ;   in Loop: Header=BB199_162 Depth=1
	s_and_not1_saveexec_b32 s3, s3
	s_cbranch_execz .LBB199_287
; %bb.286:                              ;   in Loop: Header=BB199_162 Depth=1
	v_max_f32_e64 v2, |v5|, |v5|
	v_max_f32_e64 v17, |v4|, |v4|
	v_cmp_gt_i32_e32 vcc_lo, 0, v4
	v_cmp_eq_f32_e64 s1, 0, v5
	v_cmp_class_f32_e64 s4, v4, 0x204
	v_cmp_class_f32_e64 s5, v5, 0x204
	v_max_f32_e32 v19, v17, v2
	v_min_f32_e32 v2, v17, v2
	s_delay_alu instid0(VALU_DEP_2) | instskip(NEXT) | instid1(VALU_DEP_1)
	v_frexp_mant_f32_e32 v20, v19
	v_rcp_f32_e32 v17, v20
	s_delay_alu instid0(VALU_DEP_2) | instskip(SKIP_4) | instid1(VALU_DEP_1)
	v_frexp_exp_i32_f32_e32 v20, v2
	v_frexp_mant_f32_e32 v2, v2
	s_waitcnt_depctr 0xfff
	v_mul_f32_e32 v2, v2, v17
	v_frexp_exp_i32_f32_e32 v19, v19
	v_sub_nc_u32_e32 v19, v20, v19
	s_delay_alu instid0(VALU_DEP_1) | instskip(NEXT) | instid1(VALU_DEP_1)
	v_ldexp_f32 v2, v2, v19
	v_mul_f32_e32 v17, v2, v2
	s_delay_alu instid0(VALU_DEP_1) | instskip(NEXT) | instid1(VALU_DEP_1)
	v_fmaak_f32 v19, s10, v17, 0xbc7a590c
	v_fmaak_f32 v19, v17, v19, 0x3d29fb3f
	s_delay_alu instid0(VALU_DEP_1) | instskip(NEXT) | instid1(VALU_DEP_1)
	v_fmaak_f32 v19, v17, v19, 0xbd97d4d7
	v_fmaak_f32 v19, v17, v19, 0x3dd931b2
	;; [unrolled: 3-line block ×3, first 2 shown]
	s_delay_alu instid0(VALU_DEP_1) | instskip(NEXT) | instid1(VALU_DEP_1)
	v_fmaak_f32 v19, v17, v19, 0xbeaaaa62
	v_mul_f32_e32 v17, v17, v19
	v_cndmask_b32_e64 v19, 0, 0x40490fdb, vcc_lo
	v_cmp_gt_f32_e32 vcc_lo, 0, v4
	s_delay_alu instid0(VALU_DEP_3) | instskip(SKIP_1) | instid1(VALU_DEP_2)
	v_fmac_f32_e32 v2, v2, v17
	v_cndmask_b32_e32 v20, 0x3f490fdb, v12, vcc_lo
	v_sub_f32_e32 v17, 0x3fc90fdb, v2
	s_delay_alu instid0(VALU_DEP_1) | instskip(NEXT) | instid1(VALU_DEP_1)
	v_cndmask_b32_e64 v2, v2, v17, s0
	v_sub_f32_e32 v17, 0x40490fdb, v2
	s_delay_alu instid0(VALU_DEP_1) | instskip(SKIP_1) | instid1(VALU_DEP_1)
	v_dual_cndmask_b32 v2, v2, v17 :: v_dual_mul_f32 v17, 0.5, v18
	s_and_b32 vcc_lo, s4, s5
	v_cndmask_b32_e64 v19, v2, v19, s1
	s_delay_alu instid0(VALU_DEP_1)
	v_dual_mul_f32 v2, v18, v17 :: v_dual_cndmask_b32 v17, v19, v20
.LBB199_287:                            ;   in Loop: Header=BB199_162 Depth=1
	s_or_b32 exec_lo, exec_lo, s3
.LBB199_288:                            ;   in Loop: Header=BB199_162 Depth=1
	s_delay_alu instid0(SALU_CYCLE_1)
	s_or_b32 exec_lo, exec_lo, s2
.LBB199_289:                            ;   in Loop: Header=BB199_162 Depth=1
	s_and_not1_saveexec_b32 s2, s12
	s_cbranch_execz .LBB199_291
; %bb.290:                              ;   in Loop: Header=BB199_162 Depth=1
	v_div_scale_f32 v2, null, 0x402df854, 0x402df854, v4
	v_div_scale_f32 v17, null, 0x402df854, 0x402df854, v5
	v_div_scale_f32 v22, vcc_lo, v4, 0x402df854, v4
	s_delay_alu instid0(VALU_DEP_3) | instskip(NEXT) | instid1(VALU_DEP_2)
	v_rcp_f32_e32 v18, v2
	v_rcp_f32_e32 v19, v17
	v_cmp_class_f32_e64 s3, v5, 0x204
	s_waitcnt_depctr 0xfff
	v_fma_f32 v20, -v2, v18, 1.0
	v_fma_f32 v21, -v17, v19, 1.0
	s_delay_alu instid0(VALU_DEP_1) | instskip(SKIP_1) | instid1(VALU_DEP_2)
	v_dual_fmac_f32 v18, v20, v18 :: v_dual_fmac_f32 v19, v21, v19
	v_div_scale_f32 v20, s1, v5, 0x402df854, v5
	v_mul_f32_e32 v21, v22, v18
	s_delay_alu instid0(VALU_DEP_1) | instskip(NEXT) | instid1(VALU_DEP_1)
	v_fma_f32 v24, -v2, v21, v22
	v_fmac_f32_e32 v21, v24, v18
	s_delay_alu instid0(VALU_DEP_1) | instskip(NEXT) | instid1(VALU_DEP_1)
	v_fma_f32 v2, -v2, v21, v22
	v_div_fmas_f32 v2, v2, v18, v21
	v_max_f32_e64 v21, |v4|, |v4|
	v_mul_f32_e32 v23, v20, v19
	s_mov_b32 vcc_lo, s1
	v_cmp_class_f32_e64 s1, v4, 0x204
	v_div_fixup_f32 v2, v2, 0x402df854, v4
	s_delay_alu instid0(VALU_DEP_3) | instskip(NEXT) | instid1(VALU_DEP_1)
	v_fma_f32 v25, -v17, v23, v20
	v_fmac_f32_e32 v23, v25, v19
	s_delay_alu instid0(VALU_DEP_1) | instskip(NEXT) | instid1(VALU_DEP_1)
	v_fma_f32 v17, -v17, v23, v20
	v_div_fmas_f32 v17, v17, v19, v23
	s_delay_alu instid0(VALU_DEP_1) | instskip(NEXT) | instid1(VALU_DEP_1)
	v_div_fixup_f32 v19, v17, 0x402df854, v5
	v_max_f32_e64 v20, |v2|, |v19|
	s_delay_alu instid0(VALU_DEP_1) | instskip(SKIP_1) | instid1(VALU_DEP_2)
	v_cvt_f64_f32_e32 v[17:18], v20
	v_cmp_neq_f32_e32 vcc_lo, 0x7f800000, v20
	v_frexp_exp_i32_f64_e32 v17, v[17:18]
	v_max_f32_e64 v18, |v5|, |v5|
	s_delay_alu instid0(VALU_DEP_1) | instskip(SKIP_1) | instid1(VALU_DEP_2)
	v_max_f32_e32 v22, v21, v18
	v_min_f32_e32 v18, v21, v18
	v_frexp_mant_f32_e32 v23, v22
	v_frexp_exp_i32_f32_e32 v22, v22
	s_delay_alu instid0(VALU_DEP_2) | instskip(SKIP_1) | instid1(VALU_DEP_1)
	v_rcp_f32_e32 v21, v23
	v_sub_nc_u32_e32 v23, 0, v17
	v_ldexp_f32 v19, |v19|, v23
	v_ldexp_f32 v2, |v2|, v23
	s_delay_alu instid0(VALU_DEP_2) | instskip(SKIP_2) | instid1(VALU_DEP_3)
	v_mul_f32_e32 v19, v19, v19
	v_frexp_exp_i32_f32_e32 v24, v18
	v_frexp_mant_f32_e32 v18, v18
	v_fmac_f32_e32 v19, v2, v2
	s_delay_alu instid0(VALU_DEP_3)
	v_sub_nc_u32_e32 v22, v24, v22
	s_delay_alu instid0(TRANS32_DEP_1) | instid1(VALU_DEP_3)
	v_mul_f32_e32 v18, v18, v21
	s_delay_alu instid0(VALU_DEP_3) | instskip(NEXT) | instid1(VALU_DEP_1)
	v_sqrt_f32_e32 v19, v19
	v_ldexp_f32 v18, v18, v22
	s_waitcnt_depctr 0xfff
	v_ldexp_f32 v17, v19, v17
	s_delay_alu instid0(VALU_DEP_1) | instskip(NEXT) | instid1(VALU_DEP_1)
	v_dual_mul_f32 v2, v18, v18 :: v_dual_cndmask_b32 v17, 0x7f800000, v17
	v_fmaak_f32 v21, s10, v2, 0xbc7a590c
	s_delay_alu instid0(VALU_DEP_2) | instskip(NEXT) | instid1(VALU_DEP_2)
	v_cmp_gt_f32_e32 vcc_lo, 0x800000, v17
	v_fmaak_f32 v21, v2, v21, 0x3d29fb3f
	v_cndmask_b32_e64 v20, 1.0, 0x4f800000, vcc_lo
	s_delay_alu instid0(VALU_DEP_1) | instskip(NEXT) | instid1(VALU_DEP_1)
	v_mul_f32_e32 v17, v17, v20
	v_log_f32_e32 v17, v17
	s_delay_alu instid0(VALU_DEP_3) | instskip(SKIP_1) | instid1(VALU_DEP_2)
	v_fmaak_f32 v19, v2, v21, 0xbd97d4d7
	v_cndmask_b32_e64 v21, 0, 0x41b17218, vcc_lo
	v_fmaak_f32 v19, v2, v19, 0x3dd931b2
	s_waitcnt_depctr 0xfff
	v_cmp_gt_f32_e64 vcc_lo, 0x7f800000, |v17|
	v_fmaak_f32 v19, v2, v19, 0xbe1160e6
	s_delay_alu instid0(VALU_DEP_1) | instskip(NEXT) | instid1(VALU_DEP_1)
	v_fmaak_f32 v19, v2, v19, 0x3e4cb8bf
	v_fmaak_f32 v19, v2, v19, 0xbeaaaa62
	s_delay_alu instid0(VALU_DEP_1) | instskip(NEXT) | instid1(VALU_DEP_1)
	v_dual_mul_f32 v2, v2, v19 :: v_dual_mul_f32 v19, 0x3f317217, v17
	v_fmac_f32_e32 v18, v18, v2
	s_delay_alu instid0(VALU_DEP_2) | instskip(NEXT) | instid1(VALU_DEP_2)
	v_fma_f32 v2, 0x3f317217, v17, -v19
	v_sub_f32_e32 v20, 0x3fc90fdb, v18
	s_delay_alu instid0(VALU_DEP_2) | instskip(NEXT) | instid1(VALU_DEP_2)
	v_fmac_f32_e32 v2, 0x3377d1cf, v17
	v_cndmask_b32_e64 v18, v18, v20, s0
	v_cmp_gt_i32_e64 s0, 0, v4
	s_delay_alu instid0(VALU_DEP_3) | instskip(NEXT) | instid1(VALU_DEP_2)
	v_add_f32_e32 v2, v19, v2
	v_cndmask_b32_e64 v20, 0, 0x40490fdb, s0
	v_cmp_gt_f32_e64 s0, 0, v4
	s_delay_alu instid0(VALU_DEP_3) | instskip(SKIP_2) | instid1(VALU_DEP_3)
	v_cndmask_b32_e32 v2, v17, v2, vcc_lo
	v_sub_f32_e32 v19, 0x40490fdb, v18
	v_cmp_eq_f32_e32 vcc_lo, 0, v5
	v_sub_f32_e32 v2, v2, v21
	s_delay_alu instid0(VALU_DEP_3) | instskip(SKIP_1) | instid1(VALU_DEP_2)
	v_cndmask_b32_e64 v17, v18, v19, s0
	v_cndmask_b32_e64 v18, 0x3f490fdb, v12, s0
	v_dual_add_f32 v2, 1.0, v2 :: v_dual_cndmask_b32 v17, v17, v20
	s_and_b32 vcc_lo, s1, s3
	s_delay_alu instid0(VALU_DEP_1)
	v_cndmask_b32_e32 v17, v17, v18, vcc_lo
.LBB199_291:                            ;   in Loop: Header=BB199_162 Depth=1
	s_or_b32 exec_lo, exec_lo, s2
.LBB199_292:                            ;   in Loop: Header=BB199_162 Depth=1
	s_and_not1_saveexec_b32 s0, s11
	s_cbranch_execz .LBB199_161
; %bb.293:                              ;   in Loop: Header=BB199_162 Depth=1
	v_cmp_ngt_f32_e64 s1, 0x20000000, |v4|
	v_cmp_ngt_f32_e64 s2, 0x20000000, |v5|
                                        ; implicit-def: $vgpr2
	s_delay_alu instid0(VALU_DEP_1) | instskip(NEXT) | instid1(SALU_CYCLE_1)
	s_or_b32 s1, s1, s2
	s_and_saveexec_b32 s2, s1
	s_delay_alu instid0(SALU_CYCLE_1)
	s_xor_b32 s1, exec_lo, s2
; %bb.294:                              ;   in Loop: Header=BB199_162 Depth=1
	v_mul_f32_e32 v2, v5, v5
	s_delay_alu instid0(VALU_DEP_1)
	v_fmac_f32_e32 v2, v4, v4
; %bb.295:                              ;   in Loop: Header=BB199_162 Depth=1
	s_and_not1_saveexec_b32 s1, s1
	s_cbranch_execz .LBB199_160
; %bb.296:                              ;   in Loop: Header=BB199_162 Depth=1
	v_mul_f32_e32 v2, 4.0, v5
	v_mul_f32_e32 v4, 4.0, v4
	s_delay_alu instid0(VALU_DEP_2) | instskip(NEXT) | instid1(VALU_DEP_1)
	v_mul_f32_e32 v2, v2, v2
	v_fmac_f32_e32 v2, v4, v4
	s_delay_alu instid0(VALU_DEP_1)
	v_mul_f32_e32 v2, 0x3d800000, v2
	s_branch .LBB199_160
.LBB199_297:
	s_nop 0
	s_sendmsg sendmsg(MSG_DEALLOC_VGPRS)
	s_endpgm
	.section	.rodata,"a",@progbits
	.p2align	6, 0x0
	.amdhsa_kernel _ZN2at6native12_GLOBAL__N_125multi_tensor_apply_kernelINS1_18TensorListMetadataILi1EEENS1_14UnaryOpFunctorIN3c107complexIfEELi1ELi1ELi0EEEJNS0_4Log2IS8_EEEEEvT_T0_DpT1_
		.amdhsa_group_segment_fixed_size 0
		.amdhsa_private_segment_fixed_size 0
		.amdhsa_kernarg_size 3632
		.amdhsa_user_sgpr_count 15
		.amdhsa_user_sgpr_dispatch_ptr 0
		.amdhsa_user_sgpr_queue_ptr 0
		.amdhsa_user_sgpr_kernarg_segment_ptr 1
		.amdhsa_user_sgpr_dispatch_id 0
		.amdhsa_user_sgpr_private_segment_size 0
		.amdhsa_wavefront_size32 1
		.amdhsa_uses_dynamic_stack 0
		.amdhsa_enable_private_segment 0
		.amdhsa_system_sgpr_workgroup_id_x 1
		.amdhsa_system_sgpr_workgroup_id_y 0
		.amdhsa_system_sgpr_workgroup_id_z 0
		.amdhsa_system_sgpr_workgroup_info 0
		.amdhsa_system_vgpr_workitem_id 0
		.amdhsa_next_free_vgpr 40
		.amdhsa_next_free_sgpr 37
		.amdhsa_reserve_vcc 1
		.amdhsa_float_round_mode_32 0
		.amdhsa_float_round_mode_16_64 0
		.amdhsa_float_denorm_mode_32 3
		.amdhsa_float_denorm_mode_16_64 3
		.amdhsa_dx10_clamp 1
		.amdhsa_ieee_mode 1
		.amdhsa_fp16_overflow 0
		.amdhsa_workgroup_processor_mode 1
		.amdhsa_memory_ordered 1
		.amdhsa_forward_progress 0
		.amdhsa_shared_vgpr_count 0
		.amdhsa_exception_fp_ieee_invalid_op 0
		.amdhsa_exception_fp_denorm_src 0
		.amdhsa_exception_fp_ieee_div_zero 0
		.amdhsa_exception_fp_ieee_overflow 0
		.amdhsa_exception_fp_ieee_underflow 0
		.amdhsa_exception_fp_ieee_inexact 0
		.amdhsa_exception_int_div_zero 0
	.end_amdhsa_kernel
	.section	.text._ZN2at6native12_GLOBAL__N_125multi_tensor_apply_kernelINS1_18TensorListMetadataILi1EEENS1_14UnaryOpFunctorIN3c107complexIfEELi1ELi1ELi0EEEJNS0_4Log2IS8_EEEEEvT_T0_DpT1_,"axG",@progbits,_ZN2at6native12_GLOBAL__N_125multi_tensor_apply_kernelINS1_18TensorListMetadataILi1EEENS1_14UnaryOpFunctorIN3c107complexIfEELi1ELi1ELi0EEEJNS0_4Log2IS8_EEEEEvT_T0_DpT1_,comdat
.Lfunc_end199:
	.size	_ZN2at6native12_GLOBAL__N_125multi_tensor_apply_kernelINS1_18TensorListMetadataILi1EEENS1_14UnaryOpFunctorIN3c107complexIfEELi1ELi1ELi0EEEJNS0_4Log2IS8_EEEEEvT_T0_DpT1_, .Lfunc_end199-_ZN2at6native12_GLOBAL__N_125multi_tensor_apply_kernelINS1_18TensorListMetadataILi1EEENS1_14UnaryOpFunctorIN3c107complexIfEELi1ELi1ELi0EEEJNS0_4Log2IS8_EEEEEvT_T0_DpT1_
                                        ; -- End function
	.section	.AMDGPU.csdata,"",@progbits
; Kernel info:
; codeLenInByte = 47564
; NumSgprs: 39
; NumVgprs: 40
; ScratchSize: 0
; MemoryBound: 1
; FloatMode: 240
; IeeeMode: 1
; LDSByteSize: 0 bytes/workgroup (compile time only)
; SGPRBlocks: 4
; VGPRBlocks: 4
; NumSGPRsForWavesPerEU: 39
; NumVGPRsForWavesPerEU: 40
; Occupancy: 16
; WaveLimiterHint : 0
; COMPUTE_PGM_RSRC2:SCRATCH_EN: 0
; COMPUTE_PGM_RSRC2:USER_SGPR: 15
; COMPUTE_PGM_RSRC2:TRAP_HANDLER: 0
; COMPUTE_PGM_RSRC2:TGID_X_EN: 1
; COMPUTE_PGM_RSRC2:TGID_Y_EN: 0
; COMPUTE_PGM_RSRC2:TGID_Z_EN: 0
; COMPUTE_PGM_RSRC2:TIDIG_COMP_CNT: 0
	.section	.text._ZN2at6native12_GLOBAL__N_125multi_tensor_apply_kernelINS1_18TensorListMetadataILi1EEENS1_14UnaryOpFunctorIN3c104HalfELi1ELi1ELi0EEEJNS0_4Log2IfEEEEEvT_T0_DpT1_,"axG",@progbits,_ZN2at6native12_GLOBAL__N_125multi_tensor_apply_kernelINS1_18TensorListMetadataILi1EEENS1_14UnaryOpFunctorIN3c104HalfELi1ELi1ELi0EEEJNS0_4Log2IfEEEEEvT_T0_DpT1_,comdat
	.globl	_ZN2at6native12_GLOBAL__N_125multi_tensor_apply_kernelINS1_18TensorListMetadataILi1EEENS1_14UnaryOpFunctorIN3c104HalfELi1ELi1ELi0EEEJNS0_4Log2IfEEEEEvT_T0_DpT1_ ; -- Begin function _ZN2at6native12_GLOBAL__N_125multi_tensor_apply_kernelINS1_18TensorListMetadataILi1EEENS1_14UnaryOpFunctorIN3c104HalfELi1ELi1ELi0EEEJNS0_4Log2IfEEEEEvT_T0_DpT1_
	.p2align	8
	.type	_ZN2at6native12_GLOBAL__N_125multi_tensor_apply_kernelINS1_18TensorListMetadataILi1EEENS1_14UnaryOpFunctorIN3c104HalfELi1ELi1ELi0EEEJNS0_4Log2IfEEEEEvT_T0_DpT1_,@function
_ZN2at6native12_GLOBAL__N_125multi_tensor_apply_kernelINS1_18TensorListMetadataILi1EEENS1_14UnaryOpFunctorIN3c104HalfELi1ELi1ELi0EEEJNS0_4Log2IfEEEEEvT_T0_DpT1_: ; @_ZN2at6native12_GLOBAL__N_125multi_tensor_apply_kernelINS1_18TensorListMetadataILi1EEENS1_14UnaryOpFunctorIN3c104HalfELi1ELi1ELi0EEEJNS0_4Log2IfEEEEEvT_T0_DpT1_
; %bb.0:
	v_mov_b32_e32 v1, s15
	s_add_u32 s2, s0, s15
	s_mul_hi_u32 s3, s15, 3
	s_mul_i32 s15, s15, 3
	s_addc_u32 s4, s1, 0
	global_load_u8 v1, v1, s[0:1] offset:1760
	s_add_u32 s2, s2, s15
	s_addc_u32 s3, s4, s3
	s_mov_b32 s13, 0
	s_load_b32 s2, s[2:3], 0x820
	s_waitcnt vmcnt(0)
	v_readfirstlane_b32 s5, v1
	s_delay_alu instid0(VALU_DEP_1)
	s_lshl_b32 s3, s5, 3
	s_clause 0x1
	s_load_b64 s[8:9], s[0:1], s3 offset:0x0
	s_load_b64 s[4:5], s[0:1], s3 offset:0x370
	s_waitcnt lgkmcnt(0)
	s_ashr_i32 s3, s2, 31
	s_delay_alu instid0(SALU_CYCLE_1)
	s_lshl_b64 s[10:11], s[2:3], 17
	s_lshl_b64 s[2:3], s[2:3], 16
	s_and_b32 s12, s8, 7
	s_sub_u32 s6, s4, s2
	s_subb_u32 s7, s5, s3
	s_and_b32 s2, s4, 3
	s_mov_b32 s3, s13
	s_delay_alu instid0(SALU_CYCLE_1) | instskip(NEXT) | instid1(SALU_CYCLE_1)
	s_or_b64 s[2:3], s[12:13], s[2:3]
	s_cmp_eq_u64 s[2:3], 0
	s_cbranch_scc1 .LBB200_21
; %bb.1:
	v_cmp_lt_i64_e64 s2, s[6:7], 1
	s_delay_alu instid0(VALU_DEP_1)
	s_and_b32 vcc_lo, exec_lo, s2
	s_cbranch_vccnz .LBB200_20
; %bb.2:
	s_load_b32 s2, s[0:1], 0xd3c
	v_cmp_gt_u64_e64 s3, 0x10000, s[6:7]
	v_lshlrev_b32_e32 v1, 1, v0
	s_waitcnt lgkmcnt(0)
	s_and_b32 s2, s2, 0xffff
	s_delay_alu instid0(VALU_DEP_2)
	s_and_b32 s3, s3, exec_lo
	v_add_co_u32 v5, s5, v0, s2
	s_cselect_b32 s13, s7, 0
	s_cselect_b32 s12, s6, 0x10000
	s_lshl_b32 s3, s2, 1
	s_lshl_b32 s16, s2, 2
	v_lshlrev_b32_e32 v3, 1, v5
	v_add_co_ci_u32_e64 v6, null, 0, 0, s5
	s_add_u32 s5, s8, s10
	v_add_co_u32 v9, s3, s3, v0
	s_mul_i32 s4, s2, 3
	s_addc_u32 s14, s9, s11
	v_add_co_ci_u32_e64 v10, null, 0, 0, s3
	v_add_co_u32 v1, s3, s5, v1
	v_add_co_u32 v7, s4, s4, v0
	v_add_co_ci_u32_e64 v2, null, s14, 0, s3
	v_add_co_u32 v3, s3, s5, v3
	v_add_co_ci_u32_e64 v8, null, 0, 0, s4
	v_add_co_ci_u32_e64 v4, null, s14, 0, s3
	s_lshl_b32 s17, s2, 3
	s_mul_i32 s18, s2, 6
	s_mov_b64 s[14:15], 0
	s_branch .LBB200_4
.LBB200_3:                              ;   in Loop: Header=BB200_4 Depth=1
	s_or_b32 exec_lo, exec_lo, s2
	s_add_u32 s14, s14, s16
	s_addc_u32 s15, s15, 0
	v_add_co_u32 v1, vcc_lo, v1, s17
	v_cmp_lt_i64_e64 s2, s[14:15], s[6:7]
	v_cmp_gt_u64_e64 s3, 0x10000, s[14:15]
	v_add_co_ci_u32_e32 v2, vcc_lo, 0, v2, vcc_lo
	v_add_co_u32 v3, vcc_lo, v3, s17
	v_add_co_ci_u32_e32 v4, vcc_lo, 0, v4, vcc_lo
	s_delay_alu instid0(VALU_DEP_4) | instskip(NEXT) | instid1(SALU_CYCLE_1)
	s_and_b32 s2, s2, s3
	s_and_b32 vcc_lo, exec_lo, s2
	s_cbranch_vccz .LBB200_20
.LBB200_4:                              ; =>This Inner Loop Header: Depth=1
	s_waitcnt vmcnt(0)
	v_add_co_u32 v11, s2, v0, s14
	s_delay_alu instid0(VALU_DEP_1) | instskip(NEXT) | instid1(VALU_DEP_1)
	v_add_co_ci_u32_e64 v12, null, 0, s15, s2
	v_cmp_gt_u64_e32 vcc_lo, s[12:13], v[11:12]
	v_mov_b32_e32 v12, 0
	s_and_saveexec_b32 s2, vcc_lo
	s_cbranch_execz .LBB200_6
; %bb.5:                                ;   in Loop: Header=BB200_4 Depth=1
	global_load_u16 v12, v[1:2], off
.LBB200_6:                              ;   in Loop: Header=BB200_4 Depth=1
	s_or_b32 exec_lo, exec_lo, s2
	v_add_co_u32 v13, s2, v5, s14
	s_delay_alu instid0(VALU_DEP_1) | instskip(NEXT) | instid1(VALU_DEP_1)
	v_add_co_ci_u32_e64 v14, s2, s15, v6, s2
	v_cmp_gt_u64_e64 s2, s[12:13], v[13:14]
	v_mov_b32_e32 v13, 0
	s_delay_alu instid0(VALU_DEP_2)
	s_and_saveexec_b32 s3, s2
	s_cbranch_execz .LBB200_8
; %bb.7:                                ;   in Loop: Header=BB200_4 Depth=1
	global_load_u16 v13, v[3:4], off
.LBB200_8:                              ;   in Loop: Header=BB200_4 Depth=1
	s_or_b32 exec_lo, exec_lo, s3
	v_add_co_u32 v14, s3, v9, s14
	s_delay_alu instid0(VALU_DEP_1) | instskip(SKIP_1) | instid1(VALU_DEP_2)
	v_add_co_ci_u32_e64 v15, s3, s15, v10, s3
	v_mov_b32_e32 v11, 0
	v_cmp_gt_u64_e64 s3, s[12:13], v[14:15]
	v_mov_b32_e32 v14, 0
	s_delay_alu instid0(VALU_DEP_2)
	s_and_saveexec_b32 s5, s3
	s_cbranch_execz .LBB200_10
; %bb.9:                                ;   in Loop: Header=BB200_4 Depth=1
	v_add_co_u32 v14, s4, v1, s16
	s_delay_alu instid0(VALU_DEP_1)
	v_add_co_ci_u32_e64 v15, s4, 0, v2, s4
	global_load_u16 v14, v[14:15], off
.LBB200_10:                             ;   in Loop: Header=BB200_4 Depth=1
	s_or_b32 exec_lo, exec_lo, s5
	v_add_co_u32 v15, s4, v7, s14
	s_delay_alu instid0(VALU_DEP_1) | instskip(NEXT) | instid1(VALU_DEP_1)
	v_add_co_ci_u32_e64 v16, s4, s15, v8, s4
	v_cmp_gt_u64_e64 s4, s[12:13], v[15:16]
	s_delay_alu instid0(VALU_DEP_1)
	s_and_saveexec_b32 s19, s4
	s_cbranch_execnz .LBB200_15
; %bb.11:                               ;   in Loop: Header=BB200_4 Depth=1
	s_or_b32 exec_lo, exec_lo, s19
	s_and_saveexec_b32 s5, vcc_lo
	s_cbranch_execnz .LBB200_16
.LBB200_12:                             ;   in Loop: Header=BB200_4 Depth=1
	s_or_b32 exec_lo, exec_lo, s5
	s_and_saveexec_b32 s5, s2
	s_cbranch_execnz .LBB200_17
.LBB200_13:                             ;   in Loop: Header=BB200_4 Depth=1
	s_or_b32 exec_lo, exec_lo, s5
	s_and_saveexec_b32 s2, s3
	s_cbranch_execnz .LBB200_18
.LBB200_14:                             ;   in Loop: Header=BB200_4 Depth=1
	s_or_b32 exec_lo, exec_lo, s2
	s_and_saveexec_b32 s2, s4
	s_cbranch_execz .LBB200_3
	s_branch .LBB200_19
.LBB200_15:                             ;   in Loop: Header=BB200_4 Depth=1
	v_add_co_u32 v15, s5, v1, s18
	s_delay_alu instid0(VALU_DEP_1)
	v_add_co_ci_u32_e64 v16, s5, 0, v2, s5
	global_load_u16 v11, v[15:16], off
	s_or_b32 exec_lo, exec_lo, s19
	s_and_saveexec_b32 s5, vcc_lo
	s_cbranch_execz .LBB200_12
.LBB200_16:                             ;   in Loop: Header=BB200_4 Depth=1
	s_waitcnt vmcnt(0)
	v_cvt_f32_f16_e32 v12, v12
	s_delay_alu instid0(VALU_DEP_1)
	v_log_f32_e32 v12, v12
	s_waitcnt_depctr 0xfff
	v_cvt_f16_f32_e32 v12, v12
	global_store_b16 v[1:2], v12, off
	s_or_b32 exec_lo, exec_lo, s5
	s_and_saveexec_b32 s5, s2
	s_cbranch_execz .LBB200_13
.LBB200_17:                             ;   in Loop: Header=BB200_4 Depth=1
	s_waitcnt vmcnt(0)
	v_cvt_f32_f16_e32 v12, v13
	s_delay_alu instid0(VALU_DEP_1)
	v_log_f32_e32 v12, v12
	s_waitcnt_depctr 0xfff
	v_cvt_f16_f32_e32 v12, v12
	global_store_b16 v[3:4], v12, off
	s_or_b32 exec_lo, exec_lo, s5
	s_and_saveexec_b32 s2, s3
	s_cbranch_execz .LBB200_14
.LBB200_18:                             ;   in Loop: Header=BB200_4 Depth=1
	s_waitcnt vmcnt(0)
	v_cvt_f32_f16_e32 v12, v14
	s_delay_alu instid0(VALU_DEP_1)
	v_log_f32_e32 v12, v12
	s_waitcnt_depctr 0xfff
	v_cvt_f16_f32_e32 v14, v12
	v_add_co_u32 v12, vcc_lo, v1, s16
	v_add_co_ci_u32_e32 v13, vcc_lo, 0, v2, vcc_lo
	global_store_b16 v[12:13], v14, off
	s_or_b32 exec_lo, exec_lo, s2
	s_and_saveexec_b32 s2, s4
	s_cbranch_execz .LBB200_3
.LBB200_19:                             ;   in Loop: Header=BB200_4 Depth=1
	s_waitcnt vmcnt(0)
	v_cvt_f32_f16_e32 v11, v11
	s_delay_alu instid0(VALU_DEP_1)
	v_log_f32_e32 v11, v11
	s_waitcnt_depctr 0xfff
	v_cvt_f16_f32_e32 v13, v11
	v_add_co_u32 v11, vcc_lo, v1, s18
	v_add_co_ci_u32_e32 v12, vcc_lo, 0, v2, vcc_lo
	global_store_b16 v[11:12], v13, off
	s_branch .LBB200_3
.LBB200_20:
	s_cbranch_execz .LBB200_22
	s_branch .LBB200_25
.LBB200_21:
.LBB200_22:
	v_dual_mov_b32 v2, 0 :: v_dual_lshlrev_b32 v1, 2, v0
	s_mov_b32 s2, 0
	s_mov_b32 s3, exec_lo
	s_delay_alu instid0(VALU_DEP_1)
	v_cmpx_gt_i64_e64 s[6:7], v[1:2]
	s_cbranch_execz .LBB200_25
; %bb.23:
	s_load_b32 s0, s[0:1], 0xd3c
	v_lshlrev_b32_e32 v1, 3, v0
	s_waitcnt lgkmcnt(0)
	s_and_b32 s0, s0, 0xffff
	s_delay_alu instid0(SALU_CYCLE_1) | instskip(SKIP_3) | instid1(VALU_DEP_1)
	s_lshl_b32 s3, s0, 2
	s_add_u32 s1, s8, s10
	s_addc_u32 s4, s9, s11
	v_add_co_u32 v3, s1, s1, v1
	v_add_co_ci_u32_e64 v4, null, s4, 0, s1
	v_add_lshl_u32 v1, v0, s0, 2
	s_delay_alu instid0(VALU_DEP_3) | instskip(NEXT) | instid1(VALU_DEP_3)
	v_add_co_u32 v3, vcc_lo, v3, 4
	v_add_co_ci_u32_e32 v4, vcc_lo, 0, v4, vcc_lo
	s_lshl_b32 s4, s0, 3
	s_set_inst_prefetch_distance 0x1
	.p2align	6
.LBB200_24:                             ; =>This Inner Loop Header: Depth=1
	global_load_b64 v[5:6], v[3:4], off offset:-4
	v_cmp_le_i64_e32 vcc_lo, s[6:7], v[1:2]
	v_cmp_lt_u64_e64 s0, 0xffff, v[1:2]
	v_add_co_u32 v1, s1, v1, s3
	s_delay_alu instid0(VALU_DEP_1) | instskip(NEXT) | instid1(VALU_DEP_3)
	v_add_co_ci_u32_e64 v2, s1, 0, v2, s1
	s_or_b32 s0, vcc_lo, s0
	s_delay_alu instid0(SALU_CYCLE_1) | instskip(NEXT) | instid1(SALU_CYCLE_1)
	s_and_b32 s0, exec_lo, s0
	s_or_b32 s2, s0, s2
	s_waitcnt vmcnt(0)
	v_lshrrev_b32_e32 v0, 16, v6
	v_lshrrev_b32_e32 v7, 16, v5
	v_cvt_f32_f16_e32 v5, v5
	v_cvt_f32_f16_e32 v6, v6
	s_delay_alu instid0(VALU_DEP_4) | instskip(NEXT) | instid1(VALU_DEP_4)
	v_cvt_f32_f16_e32 v0, v0
	v_cvt_f32_f16_e32 v7, v7
	s_delay_alu instid0(VALU_DEP_4) | instskip(NEXT) | instid1(VALU_DEP_3)
	v_log_f32_e32 v5, v5
	v_log_f32_e32 v6, v6
	s_delay_alu instid0(VALU_DEP_2) | instskip(NEXT) | instid1(VALU_DEP_1)
	v_log_f32_e32 v0, v0
	v_log_f32_e32 v7, v7
	v_cvt_f16_f32_e32 v5, v5
	s_delay_alu instid0(TRANS32_DEP_3) | instskip(SKIP_3) | instid1(VALU_DEP_2)
	v_cvt_f16_f32_e32 v6, v6
	s_waitcnt_depctr 0xfff
	v_cvt_f16_f32_e32 v0, v0
	v_cvt_f16_f32_e32 v7, v7
	v_pack_b32_f16 v6, v6, v0
	s_delay_alu instid0(VALU_DEP_2)
	v_pack_b32_f16 v5, v5, v7
	global_store_b64 v[3:4], v[5:6], off offset:-4
	v_add_co_u32 v3, vcc_lo, v3, s4
	v_add_co_ci_u32_e32 v4, vcc_lo, 0, v4, vcc_lo
	s_and_not1_b32 exec_lo, exec_lo, s2
	s_cbranch_execnz .LBB200_24
.LBB200_25:
	s_set_inst_prefetch_distance 0x2
	s_nop 0
	s_sendmsg sendmsg(MSG_DEALLOC_VGPRS)
	s_endpgm
	.section	.rodata,"a",@progbits
	.p2align	6, 0x0
	.amdhsa_kernel _ZN2at6native12_GLOBAL__N_125multi_tensor_apply_kernelINS1_18TensorListMetadataILi1EEENS1_14UnaryOpFunctorIN3c104HalfELi1ELi1ELi0EEEJNS0_4Log2IfEEEEEvT_T0_DpT1_
		.amdhsa_group_segment_fixed_size 0
		.amdhsa_private_segment_fixed_size 0
		.amdhsa_kernarg_size 3632
		.amdhsa_user_sgpr_count 15
		.amdhsa_user_sgpr_dispatch_ptr 0
		.amdhsa_user_sgpr_queue_ptr 0
		.amdhsa_user_sgpr_kernarg_segment_ptr 1
		.amdhsa_user_sgpr_dispatch_id 0
		.amdhsa_user_sgpr_private_segment_size 0
		.amdhsa_wavefront_size32 1
		.amdhsa_uses_dynamic_stack 0
		.amdhsa_enable_private_segment 0
		.amdhsa_system_sgpr_workgroup_id_x 1
		.amdhsa_system_sgpr_workgroup_id_y 0
		.amdhsa_system_sgpr_workgroup_id_z 0
		.amdhsa_system_sgpr_workgroup_info 0
		.amdhsa_system_vgpr_workitem_id 0
		.amdhsa_next_free_vgpr 17
		.amdhsa_next_free_sgpr 20
		.amdhsa_reserve_vcc 1
		.amdhsa_float_round_mode_32 0
		.amdhsa_float_round_mode_16_64 0
		.amdhsa_float_denorm_mode_32 3
		.amdhsa_float_denorm_mode_16_64 3
		.amdhsa_dx10_clamp 1
		.amdhsa_ieee_mode 1
		.amdhsa_fp16_overflow 0
		.amdhsa_workgroup_processor_mode 1
		.amdhsa_memory_ordered 1
		.amdhsa_forward_progress 0
		.amdhsa_shared_vgpr_count 0
		.amdhsa_exception_fp_ieee_invalid_op 0
		.amdhsa_exception_fp_denorm_src 0
		.amdhsa_exception_fp_ieee_div_zero 0
		.amdhsa_exception_fp_ieee_overflow 0
		.amdhsa_exception_fp_ieee_underflow 0
		.amdhsa_exception_fp_ieee_inexact 0
		.amdhsa_exception_int_div_zero 0
	.end_amdhsa_kernel
	.section	.text._ZN2at6native12_GLOBAL__N_125multi_tensor_apply_kernelINS1_18TensorListMetadataILi1EEENS1_14UnaryOpFunctorIN3c104HalfELi1ELi1ELi0EEEJNS0_4Log2IfEEEEEvT_T0_DpT1_,"axG",@progbits,_ZN2at6native12_GLOBAL__N_125multi_tensor_apply_kernelINS1_18TensorListMetadataILi1EEENS1_14UnaryOpFunctorIN3c104HalfELi1ELi1ELi0EEEJNS0_4Log2IfEEEEEvT_T0_DpT1_,comdat
.Lfunc_end200:
	.size	_ZN2at6native12_GLOBAL__N_125multi_tensor_apply_kernelINS1_18TensorListMetadataILi1EEENS1_14UnaryOpFunctorIN3c104HalfELi1ELi1ELi0EEEJNS0_4Log2IfEEEEEvT_T0_DpT1_, .Lfunc_end200-_ZN2at6native12_GLOBAL__N_125multi_tensor_apply_kernelINS1_18TensorListMetadataILi1EEENS1_14UnaryOpFunctorIN3c104HalfELi1ELi1ELi0EEEJNS0_4Log2IfEEEEEvT_T0_DpT1_
                                        ; -- End function
	.section	.AMDGPU.csdata,"",@progbits
; Kernel info:
; codeLenInByte = 1252
; NumSgprs: 22
; NumVgprs: 17
; ScratchSize: 0
; MemoryBound: 0
; FloatMode: 240
; IeeeMode: 1
; LDSByteSize: 0 bytes/workgroup (compile time only)
; SGPRBlocks: 2
; VGPRBlocks: 2
; NumSGPRsForWavesPerEU: 22
; NumVGPRsForWavesPerEU: 17
; Occupancy: 16
; WaveLimiterHint : 0
; COMPUTE_PGM_RSRC2:SCRATCH_EN: 0
; COMPUTE_PGM_RSRC2:USER_SGPR: 15
; COMPUTE_PGM_RSRC2:TRAP_HANDLER: 0
; COMPUTE_PGM_RSRC2:TGID_X_EN: 1
; COMPUTE_PGM_RSRC2:TGID_Y_EN: 0
; COMPUTE_PGM_RSRC2:TGID_Z_EN: 0
; COMPUTE_PGM_RSRC2:TIDIG_COMP_CNT: 0
	.section	.text._ZN2at6native12_GLOBAL__N_125multi_tensor_apply_kernelINS1_18TensorListMetadataILi1EEENS1_14UnaryOpFunctorIN3c108BFloat16ELi1ELi1ELi0EEEJNS0_4Log2IfEEEEEvT_T0_DpT1_,"axG",@progbits,_ZN2at6native12_GLOBAL__N_125multi_tensor_apply_kernelINS1_18TensorListMetadataILi1EEENS1_14UnaryOpFunctorIN3c108BFloat16ELi1ELi1ELi0EEEJNS0_4Log2IfEEEEEvT_T0_DpT1_,comdat
	.globl	_ZN2at6native12_GLOBAL__N_125multi_tensor_apply_kernelINS1_18TensorListMetadataILi1EEENS1_14UnaryOpFunctorIN3c108BFloat16ELi1ELi1ELi0EEEJNS0_4Log2IfEEEEEvT_T0_DpT1_ ; -- Begin function _ZN2at6native12_GLOBAL__N_125multi_tensor_apply_kernelINS1_18TensorListMetadataILi1EEENS1_14UnaryOpFunctorIN3c108BFloat16ELi1ELi1ELi0EEEJNS0_4Log2IfEEEEEvT_T0_DpT1_
	.p2align	8
	.type	_ZN2at6native12_GLOBAL__N_125multi_tensor_apply_kernelINS1_18TensorListMetadataILi1EEENS1_14UnaryOpFunctorIN3c108BFloat16ELi1ELi1ELi0EEEJNS0_4Log2IfEEEEEvT_T0_DpT1_,@function
_ZN2at6native12_GLOBAL__N_125multi_tensor_apply_kernelINS1_18TensorListMetadataILi1EEENS1_14UnaryOpFunctorIN3c108BFloat16ELi1ELi1ELi0EEEJNS0_4Log2IfEEEEEvT_T0_DpT1_: ; @_ZN2at6native12_GLOBAL__N_125multi_tensor_apply_kernelINS1_18TensorListMetadataILi1EEENS1_14UnaryOpFunctorIN3c108BFloat16ELi1ELi1ELi0EEEJNS0_4Log2IfEEEEEvT_T0_DpT1_
; %bb.0:
	v_mov_b32_e32 v1, s15
	s_add_u32 s2, s0, s15
	s_mul_hi_u32 s3, s15, 3
	s_mul_i32 s15, s15, 3
	s_addc_u32 s4, s1, 0
	global_load_u8 v1, v1, s[0:1] offset:1760
	s_add_u32 s2, s2, s15
	s_addc_u32 s3, s4, s3
	s_mov_b32 s13, 0
	s_load_b32 s2, s[2:3], 0x820
	s_waitcnt vmcnt(0)
	v_readfirstlane_b32 s5, v1
	s_delay_alu instid0(VALU_DEP_1)
	s_lshl_b32 s3, s5, 3
	s_clause 0x1
	s_load_b64 s[8:9], s[0:1], s3 offset:0x0
	s_load_b64 s[4:5], s[0:1], s3 offset:0x370
	s_waitcnt lgkmcnt(0)
	s_ashr_i32 s3, s2, 31
	s_delay_alu instid0(SALU_CYCLE_1)
	s_lshl_b64 s[10:11], s[2:3], 17
	s_lshl_b64 s[2:3], s[2:3], 16
	s_and_b32 s12, s8, 7
	s_sub_u32 s6, s4, s2
	s_subb_u32 s7, s5, s3
	s_and_b32 s2, s4, 3
	s_mov_b32 s3, s13
	s_delay_alu instid0(SALU_CYCLE_1) | instskip(NEXT) | instid1(SALU_CYCLE_1)
	s_or_b64 s[2:3], s[12:13], s[2:3]
	s_cmp_eq_u64 s[2:3], 0
	s_cbranch_scc1 .LBB201_21
; %bb.1:
	v_cmp_lt_i64_e64 s2, s[6:7], 1
	s_delay_alu instid0(VALU_DEP_1)
	s_and_b32 vcc_lo, exec_lo, s2
	s_cbranch_vccnz .LBB201_20
; %bb.2:
	s_load_b32 s2, s[0:1], 0xd3c
	v_cmp_gt_u64_e64 s3, 0x10000, s[6:7]
	v_lshlrev_b32_e32 v1, 1, v0
	s_waitcnt lgkmcnt(0)
	s_and_b32 s2, s2, 0xffff
	s_delay_alu instid0(VALU_DEP_2)
	s_and_b32 s3, s3, exec_lo
	v_add_co_u32 v5, s5, v0, s2
	s_cselect_b32 s13, s7, 0
	s_cselect_b32 s12, s6, 0x10000
	s_lshl_b32 s3, s2, 1
	s_lshl_b32 s16, s2, 2
	v_lshlrev_b32_e32 v3, 1, v5
	v_add_co_ci_u32_e64 v6, null, 0, 0, s5
	s_add_u32 s5, s8, s10
	v_add_co_u32 v9, s3, s3, v0
	s_mul_i32 s4, s2, 3
	s_addc_u32 s14, s9, s11
	v_add_co_ci_u32_e64 v10, null, 0, 0, s3
	v_add_co_u32 v1, s3, s5, v1
	v_add_co_u32 v7, s4, s4, v0
	v_add_co_ci_u32_e64 v2, null, s14, 0, s3
	v_add_co_u32 v3, s3, s5, v3
	v_add_co_ci_u32_e64 v8, null, 0, 0, s4
	v_add_co_ci_u32_e64 v4, null, s14, 0, s3
	s_lshl_b32 s17, s2, 3
	s_mul_i32 s18, s2, 6
	s_mov_b64 s[14:15], 0
	s_branch .LBB201_4
.LBB201_3:                              ;   in Loop: Header=BB201_4 Depth=1
	s_or_b32 exec_lo, exec_lo, s2
	s_add_u32 s14, s14, s16
	s_addc_u32 s15, s15, 0
	v_add_co_u32 v1, vcc_lo, v1, s17
	v_cmp_lt_i64_e64 s2, s[14:15], s[6:7]
	v_cmp_gt_u64_e64 s3, 0x10000, s[14:15]
	v_add_co_ci_u32_e32 v2, vcc_lo, 0, v2, vcc_lo
	v_add_co_u32 v3, vcc_lo, v3, s17
	v_add_co_ci_u32_e32 v4, vcc_lo, 0, v4, vcc_lo
	s_delay_alu instid0(VALU_DEP_4) | instskip(NEXT) | instid1(SALU_CYCLE_1)
	s_and_b32 s2, s2, s3
	s_and_b32 vcc_lo, exec_lo, s2
	s_cbranch_vccz .LBB201_20
.LBB201_4:                              ; =>This Inner Loop Header: Depth=1
	s_waitcnt vmcnt(0)
	v_add_co_u32 v11, s2, v0, s14
	s_delay_alu instid0(VALU_DEP_1) | instskip(SKIP_1) | instid1(VALU_DEP_2)
	v_add_co_ci_u32_e64 v12, null, 0, s15, s2
	v_mov_b32_e32 v14, 0
	v_cmp_gt_u64_e64 s4, s[12:13], v[11:12]
	s_delay_alu instid0(VALU_DEP_1)
	s_and_saveexec_b32 s2, s4
	s_cbranch_execz .LBB201_6
; %bb.5:                                ;   in Loop: Header=BB201_4 Depth=1
	global_load_u16 v14, v[1:2], off
.LBB201_6:                              ;   in Loop: Header=BB201_4 Depth=1
	s_or_b32 exec_lo, exec_lo, s2
	v_add_co_u32 v11, vcc_lo, v5, s14
	v_add_co_ci_u32_e32 v12, vcc_lo, s15, v6, vcc_lo
	s_delay_alu instid0(VALU_DEP_1) | instskip(SKIP_1) | instid1(VALU_DEP_2)
	v_cmp_gt_u64_e64 s3, s[12:13], v[11:12]
	v_mov_b32_e32 v12, 0
	s_and_saveexec_b32 s2, s3
	s_cbranch_execz .LBB201_8
; %bb.7:                                ;   in Loop: Header=BB201_4 Depth=1
	global_load_u16 v12, v[3:4], off
.LBB201_8:                              ;   in Loop: Header=BB201_4 Depth=1
	s_or_b32 exec_lo, exec_lo, s2
	v_add_co_u32 v15, vcc_lo, v9, s14
	v_add_co_ci_u32_e32 v16, vcc_lo, s15, v10, vcc_lo
	v_mov_b32_e32 v11, 0
	v_mov_b32_e32 v13, 0
	s_delay_alu instid0(VALU_DEP_3) | instskip(NEXT) | instid1(VALU_DEP_1)
	v_cmp_gt_u64_e64 s2, s[12:13], v[15:16]
	s_and_saveexec_b32 s5, s2
	s_cbranch_execz .LBB201_10
; %bb.9:                                ;   in Loop: Header=BB201_4 Depth=1
	v_add_co_u32 v15, vcc_lo, v1, s16
	v_add_co_ci_u32_e32 v16, vcc_lo, 0, v2, vcc_lo
	global_load_u16 v13, v[15:16], off
.LBB201_10:                             ;   in Loop: Header=BB201_4 Depth=1
	s_or_b32 exec_lo, exec_lo, s5
	v_add_co_u32 v15, vcc_lo, v7, s14
	v_add_co_ci_u32_e32 v16, vcc_lo, s15, v8, vcc_lo
	s_delay_alu instid0(VALU_DEP_1)
	v_cmp_gt_u64_e32 vcc_lo, s[12:13], v[15:16]
	s_and_saveexec_b32 s19, vcc_lo
	s_cbranch_execnz .LBB201_15
; %bb.11:                               ;   in Loop: Header=BB201_4 Depth=1
	s_or_b32 exec_lo, exec_lo, s19
	s_and_saveexec_b32 s5, s4
	s_cbranch_execnz .LBB201_16
.LBB201_12:                             ;   in Loop: Header=BB201_4 Depth=1
	s_or_b32 exec_lo, exec_lo, s5
	s_and_saveexec_b32 s4, s3
	s_cbranch_execnz .LBB201_17
.LBB201_13:                             ;   in Loop: Header=BB201_4 Depth=1
	s_or_b32 exec_lo, exec_lo, s4
	s_and_saveexec_b32 s3, s2
	s_cbranch_execnz .LBB201_18
.LBB201_14:                             ;   in Loop: Header=BB201_4 Depth=1
	s_or_b32 exec_lo, exec_lo, s3
	s_and_saveexec_b32 s2, vcc_lo
	s_cbranch_execz .LBB201_3
	s_branch .LBB201_19
.LBB201_15:                             ;   in Loop: Header=BB201_4 Depth=1
	v_add_co_u32 v15, s5, v1, s18
	s_delay_alu instid0(VALU_DEP_1)
	v_add_co_ci_u32_e64 v16, s5, 0, v2, s5
	global_load_u16 v11, v[15:16], off
	s_or_b32 exec_lo, exec_lo, s19
	s_and_saveexec_b32 s5, s4
	s_cbranch_execz .LBB201_12
.LBB201_16:                             ;   in Loop: Header=BB201_4 Depth=1
	s_waitcnt vmcnt(0)
	v_lshlrev_b32_e32 v14, 16, v14
	s_delay_alu instid0(VALU_DEP_1) | instskip(NEXT) | instid1(VALU_DEP_1)
	v_cmp_gt_f32_e64 s4, 0x800000, v14
	v_cndmask_b32_e64 v16, 1.0, 0x4f800000, s4
	v_cndmask_b32_e64 v15, 0, 0x42000000, s4
	s_delay_alu instid0(VALU_DEP_2) | instskip(NEXT) | instid1(VALU_DEP_1)
	v_mul_f32_e32 v14, v14, v16
	v_log_f32_e32 v14, v14
	s_waitcnt_depctr 0xfff
	v_sub_f32_e32 v14, v14, v15
	s_delay_alu instid0(VALU_DEP_1) | instskip(SKIP_1) | instid1(VALU_DEP_2)
	v_bfe_u32 v15, v14, 16, 1
	v_cmp_o_f32_e64 s4, v14, v14
	v_add3_u32 v15, v14, v15, 0x7fff
	s_delay_alu instid0(VALU_DEP_1) | instskip(NEXT) | instid1(VALU_DEP_1)
	v_lshrrev_b32_e32 v15, 16, v15
	v_cndmask_b32_e64 v14, 0x7fc0, v15, s4
	global_store_b16 v[1:2], v14, off
	s_or_b32 exec_lo, exec_lo, s5
	s_and_saveexec_b32 s4, s3
	s_cbranch_execz .LBB201_13
.LBB201_17:                             ;   in Loop: Header=BB201_4 Depth=1
	s_waitcnt vmcnt(0)
	v_lshlrev_b32_e32 v12, 16, v12
	s_delay_alu instid0(VALU_DEP_1) | instskip(NEXT) | instid1(VALU_DEP_1)
	v_cmp_gt_f32_e64 s3, 0x800000, v12
	v_cndmask_b32_e64 v15, 1.0, 0x4f800000, s3
	v_cndmask_b32_e64 v14, 0, 0x42000000, s3
	s_delay_alu instid0(VALU_DEP_2) | instskip(NEXT) | instid1(VALU_DEP_1)
	v_mul_f32_e32 v12, v12, v15
	v_log_f32_e32 v12, v12
	s_waitcnt_depctr 0xfff
	v_sub_f32_e32 v12, v12, v14
	s_delay_alu instid0(VALU_DEP_1) | instskip(SKIP_1) | instid1(VALU_DEP_2)
	v_bfe_u32 v14, v12, 16, 1
	v_cmp_o_f32_e64 s3, v12, v12
	v_add3_u32 v14, v12, v14, 0x7fff
	s_delay_alu instid0(VALU_DEP_1) | instskip(NEXT) | instid1(VALU_DEP_1)
	v_lshrrev_b32_e32 v14, 16, v14
	v_cndmask_b32_e64 v12, 0x7fc0, v14, s3
	global_store_b16 v[3:4], v12, off
	s_or_b32 exec_lo, exec_lo, s4
	s_and_saveexec_b32 s3, s2
	s_cbranch_execz .LBB201_14
.LBB201_18:                             ;   in Loop: Header=BB201_4 Depth=1
	s_waitcnt vmcnt(0)
	v_lshlrev_b32_e32 v12, 16, v13
	s_delay_alu instid0(VALU_DEP_1) | instskip(NEXT) | instid1(VALU_DEP_1)
	v_cmp_gt_f32_e64 s2, 0x800000, v12
	v_cndmask_b32_e64 v14, 1.0, 0x4f800000, s2
	v_cndmask_b32_e64 v13, 0, 0x42000000, s2
	s_delay_alu instid0(VALU_DEP_2) | instskip(NEXT) | instid1(VALU_DEP_1)
	v_mul_f32_e32 v12, v12, v14
	v_log_f32_e32 v12, v12
	s_waitcnt_depctr 0xfff
	v_sub_f32_e32 v12, v12, v13
	s_delay_alu instid0(VALU_DEP_1) | instskip(SKIP_1) | instid1(VALU_DEP_2)
	v_bfe_u32 v13, v12, 16, 1
	v_cmp_o_f32_e64 s2, v12, v12
	v_add3_u32 v13, v12, v13, 0x7fff
	s_delay_alu instid0(VALU_DEP_1) | instskip(NEXT) | instid1(VALU_DEP_1)
	v_lshrrev_b32_e32 v13, 16, v13
	v_cndmask_b32_e64 v14, 0x7fc0, v13, s2
	v_add_co_u32 v12, s2, v1, s16
	s_delay_alu instid0(VALU_DEP_1)
	v_add_co_ci_u32_e64 v13, s2, 0, v2, s2
	global_store_b16 v[12:13], v14, off
	s_or_b32 exec_lo, exec_lo, s3
	s_and_saveexec_b32 s2, vcc_lo
	s_cbranch_execz .LBB201_3
.LBB201_19:                             ;   in Loop: Header=BB201_4 Depth=1
	s_waitcnt vmcnt(0)
	v_lshlrev_b32_e32 v11, 16, v11
	s_delay_alu instid0(VALU_DEP_1) | instskip(SKIP_2) | instid1(VALU_DEP_2)
	v_cmp_gt_f32_e32 vcc_lo, 0x800000, v11
	v_cndmask_b32_e64 v13, 1.0, 0x4f800000, vcc_lo
	v_cndmask_b32_e64 v12, 0, 0x42000000, vcc_lo
	v_mul_f32_e32 v11, v11, v13
	s_delay_alu instid0(VALU_DEP_1) | instskip(SKIP_2) | instid1(VALU_DEP_1)
	v_log_f32_e32 v11, v11
	s_waitcnt_depctr 0xfff
	v_sub_f32_e32 v11, v11, v12
	v_bfe_u32 v12, v11, 16, 1
	v_cmp_o_f32_e32 vcc_lo, v11, v11
	s_delay_alu instid0(VALU_DEP_2) | instskip(NEXT) | instid1(VALU_DEP_1)
	v_add3_u32 v12, v11, v12, 0x7fff
	v_lshrrev_b32_e32 v12, 16, v12
	s_delay_alu instid0(VALU_DEP_1)
	v_cndmask_b32_e32 v13, 0x7fc0, v12, vcc_lo
	v_add_co_u32 v11, vcc_lo, v1, s18
	v_add_co_ci_u32_e32 v12, vcc_lo, 0, v2, vcc_lo
	global_store_b16 v[11:12], v13, off
	s_branch .LBB201_3
.LBB201_20:
	s_cbranch_execz .LBB201_22
	s_branch .LBB201_25
.LBB201_21:
.LBB201_22:
	v_dual_mov_b32 v2, 0 :: v_dual_lshlrev_b32 v1, 2, v0
	s_mov_b32 s3, 0
	s_mov_b32 s2, exec_lo
	s_delay_alu instid0(VALU_DEP_1)
	v_cmpx_gt_i64_e64 s[6:7], v[1:2]
	s_cbranch_execz .LBB201_25
; %bb.23:
	s_load_b32 s0, s[0:1], 0xd3c
	v_lshlrev_b32_e32 v1, 3, v0
	s_waitcnt lgkmcnt(0)
	s_and_b32 s0, s0, 0xffff
	s_add_u32 s1, s8, s10
	s_addc_u32 s2, s9, s11
	v_add_co_u32 v3, s1, s1, v1
	s_delay_alu instid0(VALU_DEP_1)
	v_add_co_ci_u32_e64 v4, null, s2, 0, s1
	v_add_lshl_u32 v1, v0, s0, 2
	s_lshl_b32 s4, s0, 3
	s_lshl_b32 s5, s0, 2
.LBB201_24:                             ; =>This Inner Loop Header: Depth=1
	global_load_b64 v[5:6], v[3:4], off
	s_waitcnt vmcnt(0)
	v_alignbit_b32 v7, v6, v5, 16
	s_delay_alu instid0(VALU_DEP_1) | instskip(NEXT) | instid1(VALU_DEP_1)
	v_and_b32_e32 v7, 0xffff0000, v7
	v_cmp_gt_f32_e64 s2, 0x800000, v7
	s_delay_alu instid0(VALU_DEP_1) | instskip(NEXT) | instid1(VALU_DEP_1)
	v_cndmask_b32_e64 v11, 1.0, 0x4f800000, s2
	v_dual_mul_f32 v7, v7, v11 :: v_dual_lshlrev_b32 v0, 16, v5
	s_delay_alu instid0(VALU_DEP_1) | instskip(SKIP_1) | instid1(VALU_DEP_3)
	v_cmp_gt_f32_e32 vcc_lo, 0x800000, v0
	v_cndmask_b32_e64 v11, 0, 0x42000000, s2
	v_log_f32_e32 v7, v7
	v_cndmask_b32_e64 v8, 1.0, 0x4f800000, vcc_lo
	s_delay_alu instid0(VALU_DEP_1) | instskip(NEXT) | instid1(VALU_DEP_1)
	v_dual_mul_f32 v0, v0, v8 :: v_dual_and_b32 v5, 0xffff0000, v5
	v_cmp_gt_f32_e64 s0, 0x800000, v5
	s_waitcnt_depctr 0xfff
	v_sub_f32_e32 v7, v7, v11
	v_log_f32_e32 v0, v0
	v_cndmask_b32_e64 v9, 1.0, 0x4f800000, s0
	v_and_b32_e32 v6, 0xffff0000, v6
	v_cndmask_b32_e64 v8, 0, 0x42000000, s0
	v_cmp_lt_u64_e64 s0, 0xffff, v[1:2]
	v_bfe_u32 v11, v7, 16, 1
	v_mul_f32_e32 v5, v5, v9
	v_cmp_gt_f32_e64 s1, 0x800000, v6
	v_cndmask_b32_e64 v9, 0, 0x42000000, vcc_lo
	s_delay_alu instid0(VALU_DEP_4) | instskip(NEXT) | instid1(VALU_DEP_4)
	v_add3_u32 v11, v7, v11, 0x7fff
	v_log_f32_e32 v5, v5
	s_delay_alu instid0(VALU_DEP_3) | instskip(NEXT) | instid1(VALU_DEP_3)
	v_cndmask_b32_e64 v10, 1.0, 0x4f800000, s1
	v_sub_f32_e32 v0, v0, v9
	s_delay_alu instid0(VALU_DEP_3) | instskip(NEXT) | instid1(VALU_DEP_3)
	v_lshrrev_b32_e32 v11, 16, v11
	v_mul_f32_e32 v6, v6, v10
	v_cndmask_b32_e64 v10, 0, 0x42000000, s1
	s_delay_alu instid0(VALU_DEP_4) | instskip(NEXT) | instid1(TRANS32_DEP_1)
	v_bfe_u32 v9, v0, 16, 1
	v_sub_f32_e32 v5, v5, v8
	s_delay_alu instid0(VALU_DEP_4) | instskip(NEXT) | instid1(VALU_DEP_2)
	v_log_f32_e32 v6, v6
	v_add3_u32 v9, v0, v9, 0x7fff
	s_delay_alu instid0(VALU_DEP_2) | instskip(SKIP_1) | instid1(VALU_DEP_3)
	v_bfe_u32 v8, v5, 16, 1
	v_cmp_o_f32_e32 vcc_lo, v5, v5
	v_lshrrev_b32_e32 v9, 16, v9
	s_delay_alu instid0(VALU_DEP_3) | instskip(SKIP_3) | instid1(VALU_DEP_2)
	v_add3_u32 v8, v5, v8, 0x7fff
	s_waitcnt_depctr 0xfff
	v_sub_f32_e32 v6, v6, v10
	v_and_b32_e32 v8, 0xffff0000, v8
	v_bfe_u32 v10, v6, 16, 1
	s_delay_alu instid0(VALU_DEP_2) | instskip(NEXT) | instid1(VALU_DEP_2)
	v_cndmask_b32_e32 v5, 0x7fc00000, v8, vcc_lo
	v_add3_u32 v10, v6, v10, 0x7fff
	v_cmp_o_f32_e32 vcc_lo, v0, v0
	s_delay_alu instid0(VALU_DEP_2) | instskip(SKIP_2) | instid1(VALU_DEP_2)
	v_and_b32_e32 v10, 0xffff0000, v10
	v_cndmask_b32_e32 v0, 0x7fc0, v9, vcc_lo
	v_cmp_o_f32_e32 vcc_lo, v6, v6
	v_or_b32_e32 v0, v0, v5
	s_delay_alu instid0(VALU_DEP_4) | instskip(SKIP_1) | instid1(VALU_DEP_3)
	v_cndmask_b32_e32 v6, 0x7fc00000, v10, vcc_lo
	v_cmp_o_f32_e32 vcc_lo, v7, v7
	v_or3_b32 v5, v0, 0, 0
	v_cndmask_b32_e32 v7, 0x7fc0, v11, vcc_lo
	v_cmp_le_i64_e32 vcc_lo, s[6:7], v[1:2]
	v_add_co_u32 v1, s1, v1, s5
	s_delay_alu instid0(VALU_DEP_1) | instskip(NEXT) | instid1(VALU_DEP_4)
	v_add_co_ci_u32_e64 v2, s1, 0, v2, s1
	v_or3_b32 v6, 0, v7, v6
	s_or_b32 s0, vcc_lo, s0
	s_delay_alu instid0(SALU_CYCLE_1) | instskip(SKIP_4) | instid1(SALU_CYCLE_1)
	s_and_b32 s0, exec_lo, s0
	global_store_b64 v[3:4], v[5:6], off
	v_add_co_u32 v3, vcc_lo, v3, s4
	v_add_co_ci_u32_e32 v4, vcc_lo, 0, v4, vcc_lo
	s_or_b32 s3, s0, s3
	s_and_not1_b32 exec_lo, exec_lo, s3
	s_cbranch_execnz .LBB201_24
.LBB201_25:
	s_nop 0
	s_sendmsg sendmsg(MSG_DEALLOC_VGPRS)
	s_endpgm
	.section	.rodata,"a",@progbits
	.p2align	6, 0x0
	.amdhsa_kernel _ZN2at6native12_GLOBAL__N_125multi_tensor_apply_kernelINS1_18TensorListMetadataILi1EEENS1_14UnaryOpFunctorIN3c108BFloat16ELi1ELi1ELi0EEEJNS0_4Log2IfEEEEEvT_T0_DpT1_
		.amdhsa_group_segment_fixed_size 0
		.amdhsa_private_segment_fixed_size 0
		.amdhsa_kernarg_size 3632
		.amdhsa_user_sgpr_count 15
		.amdhsa_user_sgpr_dispatch_ptr 0
		.amdhsa_user_sgpr_queue_ptr 0
		.amdhsa_user_sgpr_kernarg_segment_ptr 1
		.amdhsa_user_sgpr_dispatch_id 0
		.amdhsa_user_sgpr_private_segment_size 0
		.amdhsa_wavefront_size32 1
		.amdhsa_uses_dynamic_stack 0
		.amdhsa_enable_private_segment 0
		.amdhsa_system_sgpr_workgroup_id_x 1
		.amdhsa_system_sgpr_workgroup_id_y 0
		.amdhsa_system_sgpr_workgroup_id_z 0
		.amdhsa_system_sgpr_workgroup_info 0
		.amdhsa_system_vgpr_workitem_id 0
		.amdhsa_next_free_vgpr 17
		.amdhsa_next_free_sgpr 20
		.amdhsa_reserve_vcc 1
		.amdhsa_float_round_mode_32 0
		.amdhsa_float_round_mode_16_64 0
		.amdhsa_float_denorm_mode_32 3
		.amdhsa_float_denorm_mode_16_64 3
		.amdhsa_dx10_clamp 1
		.amdhsa_ieee_mode 1
		.amdhsa_fp16_overflow 0
		.amdhsa_workgroup_processor_mode 1
		.amdhsa_memory_ordered 1
		.amdhsa_forward_progress 0
		.amdhsa_shared_vgpr_count 0
		.amdhsa_exception_fp_ieee_invalid_op 0
		.amdhsa_exception_fp_denorm_src 0
		.amdhsa_exception_fp_ieee_div_zero 0
		.amdhsa_exception_fp_ieee_overflow 0
		.amdhsa_exception_fp_ieee_underflow 0
		.amdhsa_exception_fp_ieee_inexact 0
		.amdhsa_exception_int_div_zero 0
	.end_amdhsa_kernel
	.section	.text._ZN2at6native12_GLOBAL__N_125multi_tensor_apply_kernelINS1_18TensorListMetadataILi1EEENS1_14UnaryOpFunctorIN3c108BFloat16ELi1ELi1ELi0EEEJNS0_4Log2IfEEEEEvT_T0_DpT1_,"axG",@progbits,_ZN2at6native12_GLOBAL__N_125multi_tensor_apply_kernelINS1_18TensorListMetadataILi1EEENS1_14UnaryOpFunctorIN3c108BFloat16ELi1ELi1ELi0EEEJNS0_4Log2IfEEEEEvT_T0_DpT1_,comdat
.Lfunc_end201:
	.size	_ZN2at6native12_GLOBAL__N_125multi_tensor_apply_kernelINS1_18TensorListMetadataILi1EEENS1_14UnaryOpFunctorIN3c108BFloat16ELi1ELi1ELi0EEEJNS0_4Log2IfEEEEEvT_T0_DpT1_, .Lfunc_end201-_ZN2at6native12_GLOBAL__N_125multi_tensor_apply_kernelINS1_18TensorListMetadataILi1EEENS1_14UnaryOpFunctorIN3c108BFloat16ELi1ELi1ELi0EEEJNS0_4Log2IfEEEEEvT_T0_DpT1_
                                        ; -- End function
	.section	.AMDGPU.csdata,"",@progbits
; Kernel info:
; codeLenInByte = 1944
; NumSgprs: 22
; NumVgprs: 17
; ScratchSize: 0
; MemoryBound: 0
; FloatMode: 240
; IeeeMode: 1
; LDSByteSize: 0 bytes/workgroup (compile time only)
; SGPRBlocks: 2
; VGPRBlocks: 2
; NumSGPRsForWavesPerEU: 22
; NumVGPRsForWavesPerEU: 17
; Occupancy: 16
; WaveLimiterHint : 0
; COMPUTE_PGM_RSRC2:SCRATCH_EN: 0
; COMPUTE_PGM_RSRC2:USER_SGPR: 15
; COMPUTE_PGM_RSRC2:TRAP_HANDLER: 0
; COMPUTE_PGM_RSRC2:TGID_X_EN: 1
; COMPUTE_PGM_RSRC2:TGID_Y_EN: 0
; COMPUTE_PGM_RSRC2:TGID_Z_EN: 0
; COMPUTE_PGM_RSRC2:TIDIG_COMP_CNT: 0
	.section	.text._ZN2at6native12_GLOBAL__N_125multi_tensor_apply_kernelINS1_18TensorListMetadataILi2EEENS1_14UnaryOpFunctorIdLi2ELi1ELi1EEEJNS0_5Log1pIdEEEEEvT_T0_DpT1_,"axG",@progbits,_ZN2at6native12_GLOBAL__N_125multi_tensor_apply_kernelINS1_18TensorListMetadataILi2EEENS1_14UnaryOpFunctorIdLi2ELi1ELi1EEEJNS0_5Log1pIdEEEEEvT_T0_DpT1_,comdat
	.globl	_ZN2at6native12_GLOBAL__N_125multi_tensor_apply_kernelINS1_18TensorListMetadataILi2EEENS1_14UnaryOpFunctorIdLi2ELi1ELi1EEEJNS0_5Log1pIdEEEEEvT_T0_DpT1_ ; -- Begin function _ZN2at6native12_GLOBAL__N_125multi_tensor_apply_kernelINS1_18TensorListMetadataILi2EEENS1_14UnaryOpFunctorIdLi2ELi1ELi1EEEJNS0_5Log1pIdEEEEEvT_T0_DpT1_
	.p2align	8
	.type	_ZN2at6native12_GLOBAL__N_125multi_tensor_apply_kernelINS1_18TensorListMetadataILi2EEENS1_14UnaryOpFunctorIdLi2ELi1ELi1EEEJNS0_5Log1pIdEEEEEvT_T0_DpT1_,@function
_ZN2at6native12_GLOBAL__N_125multi_tensor_apply_kernelINS1_18TensorListMetadataILi2EEENS1_14UnaryOpFunctorIdLi2ELi1ELi1EEEJNS0_5Log1pIdEEEEEvT_T0_DpT1_: ; @_ZN2at6native12_GLOBAL__N_125multi_tensor_apply_kernelINS1_18TensorListMetadataILi2EEENS1_14UnaryOpFunctorIdLi2ELi1ELi1EEEJNS0_5Log1pIdEEEEEvT_T0_DpT1_
; %bb.0:
	v_mov_b32_e32 v1, s15
	s_add_u32 s2, s0, s15
	s_mul_hi_u32 s3, s15, 3
	s_mul_i32 s15, s15, 3
	s_addc_u32 s4, s1, 0
	global_load_u8 v1, v1, s[0:1] offset:1536
	s_add_u32 s2, s2, s15
	s_addc_u32 s3, s4, s3
	s_mov_b32 s7, 0
	s_load_b32 s2, s[2:3], 0x740
	s_mov_b32 s13, s7
	s_mov_b32 s19, s7
	s_waitcnt vmcnt(0)
	v_readfirstlane_b32 s5, v1
	s_delay_alu instid0(VALU_DEP_1)
	s_lshl_b32 s3, s5, 3
	s_clause 0x2
	s_load_b64 s[16:17], s[0:1], s3 offset:0x0
	s_load_b64 s[14:15], s[0:1], s3 offset:0x200
	;; [unrolled: 1-line block ×3, first 2 shown]
	s_waitcnt lgkmcnt(0)
	s_ashr_i32 s3, s2, 31
	s_delay_alu instid0(SALU_CYCLE_1) | instskip(NEXT) | instid1(SALU_CYCLE_1)
	s_lshl_b64 s[10:11], s[2:3], 19
	s_add_u32 s9, s16, s10
	s_addc_u32 s33, s17, s11
	s_and_b32 s6, s9, 31
	s_add_u32 s40, s14, s10
	s_addc_u32 s41, s15, s11
	s_and_b32 s12, s4, 3
	s_and_b32 s18, s40, 31
	s_or_b64 s[6:7], s[6:7], s[12:13]
	s_lshl_b64 s[2:3], s[2:3], 16
	s_or_b64 s[6:7], s[18:19], s[6:7]
	s_sub_u32 s12, s4, s2
	s_subb_u32 s13, s5, s3
	s_cmp_eq_u64 s[6:7], 0
	s_mov_b32 s2, -1
	s_cbranch_scc0 .LBB202_5
; %bb.1:
	v_dual_mov_b32 v10, 0 :: v_dual_lshlrev_b32 v9, 2, v0
	s_mov_b32 s42, exec_lo
	s_delay_alu instid0(VALU_DEP_1)
	v_cmpx_gt_i64_e64 s[12:13], v[9:10]
	s_cbranch_execz .LBB202_4
; %bb.2:
	s_load_b32 s2, s[0:1], 0xc5c
	v_lshlrev_b32_e32 v11, 5, v0
	s_mov_b32 s36, 0x55555555
	s_mov_b32 s37, 0x3fe55555
	;; [unrolled: 1-line block ×18, first 2 shown]
	s_waitcnt lgkmcnt(0)
	s_and_b32 s2, s2, 0xffff
	s_mov_b32 s35, 0x3c7abc9e
	v_add_lshl_u32 v9, v0, s2, 2
	s_lshl_b32 s44, s2, 2
	s_lshl_b32 s45, s2, 5
	s_mov_b32 s38, 0x55555780
	s_mov_b32 s39, s37
.LBB202_3:                              ; =>This Inner Loop Header: Depth=1
	v_add_co_u32 v5, s2, s9, v11
	s_delay_alu instid0(VALU_DEP_1)
	v_add_co_ci_u32_e64 v6, null, s33, 0, s2
	v_cmp_le_i64_e64 s5, s[12:13], v[9:10]
	v_cmp_lt_u64_e64 s6, 0xffff, v[9:10]
	s_clause 0x1
	global_load_b128 v[1:4], v[5:6], off
	global_load_b128 v[5:8], v[5:6], off offset:16
	s_or_b32 s46, s5, s6
	s_add_u32 s9, s9, s45
	s_addc_u32 s33, s33, 0
	s_waitcnt vmcnt(1)
	v_add_f64 v[12:13], v[1:2], 1.0
	v_add_f64 v[14:15], v[3:4], 1.0
	s_waitcnt vmcnt(0)
	v_add_f64 v[16:17], v[5:6], 1.0
	v_add_f64 v[18:19], v[7:8], 1.0
	v_cmp_eq_f64_e64 s2, 0x7ff00000, v[3:4]
	v_cmp_eq_f64_e64 s4, 0x7ff00000, v[7:8]
	;; [unrolled: 1-line block ×3, first 2 shown]
	v_cmp_ngt_f64_e64 s8, -1.0, v[1:2]
	v_cmp_nge_f64_e64 s5, -1.0, v[3:4]
	v_cmp_nge_f64_e64 s6, -1.0, v[5:6]
	v_frexp_mant_f64_e32 v[22:23], v[12:13]
	v_frexp_exp_i32_f64_e32 v38, v[12:13]
	v_frexp_mant_f64_e32 v[26:27], v[14:15]
	v_frexp_exp_i32_f64_e32 v39, v[14:15]
	;; [unrolled: 2-line block ×3, first 2 shown]
	v_frexp_mant_f64_e32 v[34:35], v[18:19]
	v_add_f64 v[20:21], v[12:13], -1.0
	v_add_f64 v[24:25], v[14:15], -1.0
	;; [unrolled: 1-line block ×4, first 2 shown]
	v_frexp_exp_i32_f64_e32 v41, v[18:19]
	v_cmp_gt_f64_e32 vcc_lo, s[36:37], v[22:23]
	v_add_f64 v[36:37], v[20:21], -v[12:13]
	v_add_f64 v[22:23], v[24:25], -v[14:15]
	;; [unrolled: 1-line block ×4, first 2 shown]
	v_subrev_co_ci_u32_e32 v88, vcc_lo, 0, v38, vcc_lo
	v_cmp_gt_f64_e32 vcc_lo, s[36:37], v[26:27]
	v_add_f64 v[26:27], v[28:29], -v[16:17]
	v_add_f64 v[28:29], v[5:6], -v[28:29]
	s_delay_alu instid0(VALU_DEP_4) | instskip(SKIP_1) | instid1(VALU_DEP_2)
	v_sub_nc_u32_e32 v60, 0, v88
	v_add_f64 v[22:23], v[22:23], 1.0
	v_ldexp_f64 v[12:13], v[12:13], v60
	v_subrev_co_ci_u32_e32 v89, vcc_lo, 0, v39, vcc_lo
	v_cmp_gt_f64_e32 vcc_lo, s[36:37], v[30:31]
	v_add_f64 v[30:31], v[32:33], -v[18:19]
	v_add_f64 v[32:33], v[7:8], -v[32:33]
	s_delay_alu instid0(VALU_DEP_4) | instskip(SKIP_3) | instid1(VALU_DEP_4)
	v_sub_nc_u32_e32 v61, 0, v89
	v_add_f64 v[26:27], v[26:27], 1.0
	v_add_f64 v[22:23], v[24:25], v[22:23]
	v_add_f64 v[38:39], v[12:13], 1.0
	v_ldexp_f64 v[14:15], v[14:15], v61
	v_subrev_co_ci_u32_e32 v90, vcc_lo, 0, v40, vcc_lo
	v_cmp_gt_f64_e32 vcc_lo, s[36:37], v[34:35]
	v_add_f64 v[34:35], v[36:37], 1.0
	v_add_f64 v[30:31], v[30:31], 1.0
	s_delay_alu instid0(VALU_DEP_4)
	v_sub_nc_u32_e32 v62, 0, v90
	v_add_f64 v[36:37], v[12:13], -1.0
	v_add_f64 v[24:25], v[28:29], v[26:27]
	v_add_f64 v[42:43], v[14:15], 1.0
	v_ldexp_f64 v[22:23], v[22:23], v61
	v_ldexp_f64 v[16:17], v[16:17], v62
	v_subrev_co_ci_u32_e32 v91, vcc_lo, 0, v41, vcc_lo
	v_add_f64 v[40:41], v[14:15], -1.0
	v_add_f64 v[20:21], v[20:21], v[34:35]
	v_add_f64 v[26:27], v[32:33], v[30:31]
	s_delay_alu instid0(VALU_DEP_4)
	v_sub_nc_u32_e32 v63, 0, v91
	v_add_f64 v[28:29], v[36:37], 1.0
	v_add_f64 v[30:31], v[38:39], -1.0
	v_add_f64 v[44:45], v[16:17], -1.0
	v_add_f64 v[46:47], v[16:17], 1.0
	v_ldexp_f64 v[18:19], v[18:19], v63
	v_add_f64 v[34:35], v[42:43], -1.0
	v_ldexp_f64 v[24:25], v[24:25], v62
	v_cmp_eq_f64_e32 vcc_lo, 0x7ff00000, v[1:2]
	v_add_f64 v[32:33], v[40:41], 1.0
	v_ldexp_f64 v[20:21], v[20:21], v60
	v_ldexp_f64 v[26:27], v[26:27], v63
	v_add_f64 v[28:29], v[12:13], -v[28:29]
	v_add_f64 v[12:13], v[12:13], -v[30:31]
	v_add_f64 v[52:53], v[44:45], 1.0
	v_add_f64 v[54:55], v[46:47], -1.0
	v_add_f64 v[48:49], v[18:19], -1.0
	v_add_f64 v[50:51], v[18:19], 1.0
	v_add_f64 v[30:31], v[14:15], -v[32:33]
	v_add_f64 v[14:15], v[14:15], -v[34:35]
	v_add_f64 v[28:29], v[20:21], v[28:29]
	v_add_f64 v[12:13], v[20:21], v[12:13]
	v_add_f64 v[32:33], v[16:17], -v[52:53]
	v_add_f64 v[16:17], v[16:17], -v[54:55]
	v_add_f64 v[56:57], v[48:49], 1.0
	v_add_f64 v[58:59], v[50:51], -1.0
	v_add_f64 v[20:21], v[22:23], v[30:31]
	v_add_f64 v[14:15], v[22:23], v[14:15]
	;; [unrolled: 1-line block ×5, first 2 shown]
	v_add_f64 v[34:35], v[18:19], -v[56:57]
	v_add_f64 v[18:19], v[18:19], -v[58:59]
	v_add_f64 v[32:33], v[40:41], v[20:21]
	v_rcp_f64_e32 v[60:61], v[30:31]
	v_add_f64 v[38:39], v[30:31], -v[38:39]
	v_add_f64 v[54:55], v[46:47], v[16:17]
	v_add_f64 v[24:25], v[26:27], v[34:35]
	;; [unrolled: 1-line block ×6, first 2 shown]
	v_add_f64 v[40:41], v[32:33], -v[40:41]
	v_add_f64 v[12:13], v[12:13], -v[38:39]
	v_rcp_f64_e32 v[64:65], v[54:55]
	v_add_f64 v[46:47], v[54:55], -v[46:47]
	v_rcp_f64_e32 v[62:63], v[34:35]
	v_add_f64 v[58:59], v[50:51], v[18:19]
	v_add_f64 v[36:37], v[26:27], -v[36:37]
	v_add_f64 v[42:43], v[34:35], -v[42:43]
	;; [unrolled: 1-line block ×3, first 2 shown]
	v_add_f64 v[56:57], v[48:49], v[24:25]
	v_add_f64 v[20:21], v[20:21], -v[40:41]
	v_add_f64 v[16:17], v[16:17], -v[46:47]
	s_delay_alu instid0(TRANS32_DEP_2) | instskip(SKIP_3) | instid1(TRANS32_DEP_2)
	v_fma_f64 v[40:41], -v[54:55], v[64:65], 1.0
	v_rcp_f64_e32 v[66:67], v[58:59]
	v_add_f64 v[28:29], v[28:29], -v[36:37]
	v_fma_f64 v[36:37], -v[30:31], v[60:61], 1.0
	v_fma_f64 v[38:39], -v[34:35], v[62:63], 1.0
	v_add_f64 v[14:15], v[14:15], -v[42:43]
	v_add_f64 v[22:23], v[22:23], -v[44:45]
	;; [unrolled: 1-line block ×4, first 2 shown]
	v_fma_f64 v[40:41], v[40:41], v[64:65], v[64:65]
	v_fma_f64 v[36:37], v[36:37], v[60:61], v[60:61]
	;; [unrolled: 1-line block ×3, first 2 shown]
	s_delay_alu instid0(TRANS32_DEP_1)
	v_fma_f64 v[42:43], -v[58:59], v[66:67], 1.0
	v_add_f64 v[24:25], v[24:25], -v[48:49]
	v_add_f64 v[18:19], v[18:19], -v[50:51]
	v_fma_f64 v[48:49], -v[54:55], v[40:41], 1.0
	v_fma_f64 v[44:45], -v[30:31], v[36:37], 1.0
	;; [unrolled: 1-line block ×3, first 2 shown]
	v_fma_f64 v[42:43], v[42:43], v[66:67], v[66:67]
	s_delay_alu instid0(VALU_DEP_4) | instskip(NEXT) | instid1(VALU_DEP_4)
	v_fma_f64 v[40:41], v[48:49], v[40:41], v[40:41]
	v_fma_f64 v[36:37], v[44:45], v[36:37], v[36:37]
	s_delay_alu instid0(VALU_DEP_4) | instskip(NEXT) | instid1(VALU_DEP_4)
	v_fma_f64 v[38:39], v[46:47], v[38:39], v[38:39]
	v_fma_f64 v[50:51], -v[58:59], v[42:43], 1.0
	s_delay_alu instid0(VALU_DEP_4) | instskip(NEXT) | instid1(VALU_DEP_4)
	v_mul_f64 v[48:49], v[52:53], v[40:41]
	v_mul_f64 v[44:45], v[26:27], v[36:37]
	s_delay_alu instid0(VALU_DEP_4) | instskip(NEXT) | instid1(VALU_DEP_4)
	v_mul_f64 v[46:47], v[32:33], v[38:39]
	v_fma_f64 v[42:43], v[50:51], v[42:43], v[42:43]
	s_delay_alu instid0(VALU_DEP_4) | instskip(NEXT) | instid1(VALU_DEP_4)
	v_mul_f64 v[64:65], v[54:55], v[48:49]
	v_mul_f64 v[60:61], v[30:31], v[44:45]
	s_delay_alu instid0(VALU_DEP_4) | instskip(NEXT) | instid1(VALU_DEP_4)
	v_mul_f64 v[62:63], v[34:35], v[46:47]
	v_mul_f64 v[50:51], v[56:57], v[42:43]
	s_delay_alu instid0(VALU_DEP_4) | instskip(NEXT) | instid1(VALU_DEP_4)
	v_fma_f64 v[72:73], v[48:49], v[54:55], -v[64:65]
	v_fma_f64 v[68:69], v[44:45], v[30:31], -v[60:61]
	s_delay_alu instid0(VALU_DEP_4) | instskip(NEXT) | instid1(VALU_DEP_4)
	v_fma_f64 v[70:71], v[46:47], v[34:35], -v[62:63]
	v_mul_f64 v[66:67], v[58:59], v[50:51]
	s_delay_alu instid0(VALU_DEP_4) | instskip(NEXT) | instid1(VALU_DEP_4)
	v_fma_f64 v[72:73], v[48:49], v[16:17], v[72:73]
	v_fma_f64 v[68:69], v[44:45], v[12:13], v[68:69]
	s_delay_alu instid0(VALU_DEP_4) | instskip(NEXT) | instid1(VALU_DEP_4)
	v_fma_f64 v[70:71], v[46:47], v[14:15], v[70:71]
	v_fma_f64 v[74:75], v[50:51], v[58:59], -v[66:67]
	s_delay_alu instid0(VALU_DEP_4) | instskip(NEXT) | instid1(VALU_DEP_4)
	v_add_f64 v[80:81], v[64:65], v[72:73]
	v_add_f64 v[76:77], v[60:61], v[68:69]
	s_delay_alu instid0(VALU_DEP_4) | instskip(NEXT) | instid1(VALU_DEP_4)
	v_add_f64 v[78:79], v[62:63], v[70:71]
	v_fma_f64 v[74:75], v[50:51], v[18:19], v[74:75]
	s_delay_alu instid0(VALU_DEP_4) | instskip(NEXT) | instid1(VALU_DEP_4)
	v_add_f64 v[64:65], v[80:81], -v[64:65]
	v_add_f64 v[84:85], v[26:27], -v[76:77]
	s_delay_alu instid0(VALU_DEP_4) | instskip(NEXT) | instid1(VALU_DEP_4)
	v_add_f64 v[86:87], v[32:33], -v[78:79]
	v_add_f64 v[82:83], v[66:67], v[74:75]
	v_add_f64 v[60:61], v[76:77], -v[60:61]
	v_add_f64 v[62:63], v[78:79], -v[62:63]
	;; [unrolled: 1-line block ×13, first 2 shown]
	v_add_f64 v[26:27], v[28:29], v[26:27]
	v_add_f64 v[52:53], v[52:53], -v[76:77]
	v_add_f64 v[20:21], v[20:21], v[32:33]
	v_add_f64 v[56:57], v[56:57], -v[78:79]
	s_delay_alu instid0(VALU_DEP_4) | instskip(NEXT) | instid1(VALU_DEP_4)
	v_add_f64 v[26:27], v[60:61], v[26:27]
	v_add_f64 v[52:53], v[52:53], -v[80:81]
	s_delay_alu instid0(VALU_DEP_4) | instskip(NEXT) | instid1(VALU_DEP_4)
	;; [unrolled: 3-line block ×3, first 2 shown]
	v_add_f64 v[28:29], v[84:85], v[26:27]
	v_add_f64 v[22:23], v[22:23], v[52:53]
	s_delay_alu instid0(VALU_DEP_4) | instskip(NEXT) | instid1(VALU_DEP_4)
	v_add_f64 v[32:33], v[86:87], v[20:21]
	v_add_f64 v[24:25], v[24:25], v[56:57]
	s_delay_alu instid0(VALU_DEP_4) | instskip(NEXT) | instid1(VALU_DEP_4)
	v_mul_f64 v[60:61], v[36:37], v[28:29]
	v_add_f64 v[22:23], v[64:65], v[22:23]
	s_delay_alu instid0(VALU_DEP_4) | instskip(NEXT) | instid1(VALU_DEP_4)
	v_mul_f64 v[62:63], v[38:39], v[32:33]
	v_add_f64 v[24:25], v[66:67], v[24:25]
	v_add_f64 v[82:83], v[86:87], -v[32:33]
	v_mul_f64 v[68:69], v[30:31], v[60:61]
	v_add_f64 v[52:53], v[76:77], v[22:23]
	v_mul_f64 v[70:71], v[34:35], v[62:63]
	v_add_f64 v[56:57], v[78:79], v[24:25]
	v_add_f64 v[20:21], v[20:21], v[82:83]
	v_fma_f64 v[30:31], v[60:61], v[30:31], -v[68:69]
	v_mul_f64 v[64:65], v[40:41], v[52:53]
	v_fma_f64 v[34:35], v[62:63], v[34:35], -v[70:71]
	v_mul_f64 v[66:67], v[42:43], v[56:57]
	v_add_f64 v[76:77], v[76:77], -v[52:53]
	v_add_f64 v[78:79], v[78:79], -v[56:57]
	v_fma_f64 v[12:13], v[60:61], v[12:13], v[30:31]
	v_mul_f64 v[72:73], v[54:55], v[64:65]
	v_fma_f64 v[14:15], v[62:63], v[14:15], v[34:35]
	v_mul_f64 v[74:75], v[58:59], v[66:67]
	v_add_f64 v[30:31], v[84:85], -v[28:29]
	v_add_f64 v[24:25], v[24:25], v[78:79]
	v_add_f64 v[22:23], v[22:23], v[76:77]
	;; [unrolled: 1-line block ×3, first 2 shown]
	v_fma_f64 v[54:55], v[64:65], v[54:55], -v[72:73]
	v_fma_f64 v[58:59], v[66:67], v[58:59], -v[74:75]
	v_add_f64 v[26:27], v[26:27], v[30:31]
	s_delay_alu instid0(VALU_DEP_4) | instskip(NEXT) | instid1(VALU_DEP_4)
	v_add_f64 v[30:31], v[28:29], -v[34:35]
	v_fma_f64 v[16:17], v[64:65], v[16:17], v[54:55]
	v_add_f64 v[54:55], v[70:71], v[14:15]
	v_fma_f64 v[18:19], v[66:67], v[18:19], v[58:59]
	v_add_f64 v[68:69], v[34:35], -v[68:69]
	v_add_f64 v[28:29], v[28:29], -v[30:31]
	v_add_f64 v[58:59], v[72:73], v[16:17]
	v_add_f64 v[82:83], v[32:33], -v[54:55]
	v_add_f64 v[80:81], v[74:75], v[18:19]
	v_add_f64 v[70:71], v[54:55], -v[70:71]
	v_add_f64 v[12:13], v[68:69], -v[12:13]
	;; [unrolled: 1-line block ×9, first 2 shown]
	v_add_f64 v[26:27], v[26:27], v[28:29]
	v_add_f64 v[52:53], v[52:53], -v[84:85]
	v_add_f64 v[32:33], v[32:33], -v[54:55]
	;; [unrolled: 1-line block ×5, first 2 shown]
	v_add_f64 v[28:29], v[44:45], v[60:61]
	v_add_f64 v[12:13], v[12:13], v[26:27]
	v_add_f64 v[34:35], v[52:53], -v[58:59]
	v_add_f64 v[20:21], v[20:21], v[32:33]
	v_add_f64 v[52:53], v[56:57], -v[80:81]
	v_add_f64 v[32:33], v[46:47], v[62:63]
	v_add_f64 v[12:13], v[30:31], v[12:13]
	;; [unrolled: 1-line block ×7, first 2 shown]
	v_add_f64 v[20:21], v[28:29], -v[44:45]
	v_mul_f64 v[12:13], v[36:37], v[12:13]
	v_add_f64 v[16:17], v[16:17], v[22:23]
	v_add_f64 v[22:23], v[32:33], -v[46:47]
	v_add_f64 v[18:19], v[18:19], v[24:25]
	v_add_f64 v[26:27], v[52:53], -v[50:51]
	;; [unrolled: 2-line block ×3, first 2 shown]
	v_add_f64 v[20:21], v[60:61], -v[20:21]
	v_add_f64 v[16:17], v[84:85], v[16:17]
	v_add_f64 v[22:23], v[62:63], -v[22:23]
	v_add_f64 v[18:19], v[86:87], v[18:19]
	v_add_f64 v[26:27], v[66:67], -v[26:27]
	v_mul_f64 v[14:15], v[38:39], v[14:15]
	v_add_f64 v[24:25], v[64:65], -v[24:25]
	v_add_f64 v[12:13], v[20:21], v[12:13]
	v_mul_f64 v[16:17], v[40:41], v[16:17]
	v_mul_f64 v[18:19], v[42:43], v[18:19]
	v_add_f64 v[14:15], v[22:23], v[14:15]
	s_delay_alu instid0(VALU_DEP_4) | instskip(NEXT) | instid1(VALU_DEP_4)
	v_add_f64 v[20:21], v[28:29], v[12:13]
	v_add_f64 v[16:17], v[24:25], v[16:17]
	s_delay_alu instid0(VALU_DEP_4) | instskip(NEXT) | instid1(VALU_DEP_4)
	v_add_f64 v[18:19], v[26:27], v[18:19]
	v_add_f64 v[22:23], v[32:33], v[14:15]
	s_delay_alu instid0(VALU_DEP_4) | instskip(NEXT) | instid1(VALU_DEP_4)
	v_mul_f64 v[30:31], v[20:21], v[20:21]
	v_add_f64 v[24:25], v[34:35], v[16:17]
	s_delay_alu instid0(VALU_DEP_4) | instskip(NEXT) | instid1(VALU_DEP_4)
	v_add_f64 v[26:27], v[52:53], v[18:19]
	v_mul_f64 v[36:37], v[22:23], v[22:23]
	s_delay_alu instid0(VALU_DEP_4)
	v_fma_f64 v[42:43], v[30:31], s[20:21], s[18:19]
	v_mul_f64 v[50:51], v[20:21], v[30:31]
	v_mul_f64 v[38:39], v[24:25], v[24:25]
	;; [unrolled: 1-line block ×3, first 2 shown]
	v_fma_f64 v[44:45], v[36:37], s[20:21], s[18:19]
	v_mul_f64 v[54:55], v[22:23], v[36:37]
	v_fma_f64 v[42:43], v[30:31], v[42:43], s[22:23]
	v_fma_f64 v[46:47], v[38:39], s[20:21], s[18:19]
	v_mul_f64 v[56:57], v[24:25], v[38:39]
	v_fma_f64 v[48:49], v[40:41], s[20:21], s[18:19]
	v_mul_f64 v[58:59], v[26:27], v[40:41]
	v_fma_f64 v[44:45], v[36:37], v[44:45], s[22:23]
	v_fma_f64 v[42:43], v[30:31], v[42:43], s[24:25]
	v_fma_f64 v[46:47], v[38:39], v[46:47], s[22:23]
	v_fma_f64 v[48:49], v[40:41], v[48:49], s[22:23]
	s_delay_alu instid0(VALU_DEP_4) | instskip(NEXT) | instid1(VALU_DEP_4)
	v_fma_f64 v[44:45], v[36:37], v[44:45], s[24:25]
	v_fma_f64 v[42:43], v[30:31], v[42:43], s[26:27]
	s_delay_alu instid0(VALU_DEP_4) | instskip(NEXT) | instid1(VALU_DEP_4)
	v_fma_f64 v[46:47], v[38:39], v[46:47], s[24:25]
	v_fma_f64 v[48:49], v[40:41], v[48:49], s[24:25]
	;; [unrolled: 3-line block ×5, first 2 shown]
	v_ldexp_f64 v[42:43], v[20:21], 1
	v_add_f64 v[20:21], v[20:21], -v[28:29]
	v_fma_f64 v[46:47], v[38:39], v[46:47], s[28:29]
	v_fma_f64 v[48:49], v[40:41], v[48:49], s[28:29]
	;; [unrolled: 1-line block ×3, first 2 shown]
	v_ldexp_f64 v[44:45], v[22:23], 1
	v_mul_f64 v[30:31], v[50:51], v[30:31]
	v_cvt_f64_i32_e32 v[50:51], v88
	v_add_f64 v[22:23], v[22:23], -v[32:33]
	v_add_f64 v[12:13], v[12:13], -v[20:21]
	v_fma_f64 v[38:39], v[38:39], v[46:47], s[38:39]
	v_ldexp_f64 v[46:47], v[24:25], 1
	v_fma_f64 v[40:41], v[40:41], v[48:49], s[38:39]
	v_ldexp_f64 v[48:49], v[26:27], 1
	v_mul_f64 v[36:37], v[54:55], v[36:37]
	v_cvt_f64_i32_e32 v[54:55], v89
	v_add_f64 v[26:27], v[26:27], -v[52:53]
	v_add_f64 v[28:29], v[42:43], v[30:31]
	v_add_f64 v[24:25], v[24:25], -v[34:35]
	v_mul_f64 v[60:61], v[50:51], s[30:31]
	v_add_f64 v[14:15], v[14:15], -v[22:23]
	v_ldexp_f64 v[12:13], v[12:13], 1
	v_mul_f64 v[38:39], v[56:57], v[38:39]
	v_cvt_f64_i32_e32 v[56:57], v90
	v_mul_f64 v[40:41], v[58:59], v[40:41]
	v_cvt_f64_i32_e32 v[58:59], v91
	v_add_f64 v[32:33], v[44:45], v[36:37]
	v_mul_f64 v[62:63], v[54:55], s[30:31]
	v_add_f64 v[18:19], v[18:19], -v[26:27]
	v_add_f64 v[20:21], v[28:29], -v[42:43]
	;; [unrolled: 1-line block ×3, first 2 shown]
	v_fma_f64 v[42:43], v[50:51], s[30:31], -v[60:61]
	v_ldexp_f64 v[14:15], v[14:15], 1
	v_add_f64 v[34:35], v[46:47], v[38:39]
	v_mul_f64 v[64:65], v[56:57], s[30:31]
	v_add_f64 v[52:53], v[48:49], v[40:41]
	v_mul_f64 v[66:67], v[58:59], s[30:31]
	v_add_f64 v[22:23], v[32:33], -v[44:45]
	v_fma_f64 v[44:45], v[54:55], s[30:31], -v[62:63]
	v_ldexp_f64 v[18:19], v[18:19], 1
	v_add_f64 v[20:21], v[30:31], -v[20:21]
	v_ldexp_f64 v[16:17], v[16:17], 1
	v_fma_f64 v[30:31], v[50:51], s[34:35], v[42:43]
	v_add_f64 v[24:25], v[34:35], -v[46:47]
	v_fma_f64 v[46:47], v[56:57], s[30:31], -v[64:65]
	v_add_f64 v[26:27], v[52:53], -v[48:49]
	v_fma_f64 v[48:49], v[58:59], s[30:31], -v[66:67]
	v_add_f64 v[22:23], v[36:37], -v[22:23]
	v_fma_f64 v[36:37], v[54:55], s[34:35], v[44:45]
	v_add_f64 v[12:13], v[12:13], v[20:21]
	v_add_f64 v[20:21], v[60:61], v[30:31]
	v_add_f64 v[24:25], v[38:39], -v[24:25]
	v_fma_f64 v[38:39], v[56:57], s[34:35], v[46:47]
	v_add_f64 v[26:27], v[40:41], -v[26:27]
	v_fma_f64 v[40:41], v[58:59], s[34:35], v[48:49]
	v_add_f64 v[14:15], v[14:15], v[22:23]
	v_add_f64 v[22:23], v[62:63], v[36:37]
	;; [unrolled: 1-line block ×3, first 2 shown]
	v_add_f64 v[60:61], v[20:21], -v[60:61]
	v_add_f64 v[16:17], v[16:17], v[24:25]
	v_add_f64 v[24:25], v[64:65], v[38:39]
	;; [unrolled: 1-line block ×5, first 2 shown]
	v_add_f64 v[62:63], v[22:23], -v[62:63]
	v_add_f64 v[50:51], v[20:21], v[42:43]
	v_add_f64 v[28:29], v[42:43], -v[28:29]
	v_add_f64 v[30:31], v[30:31], -v[60:61]
	v_add_f64 v[46:47], v[34:35], v[16:17]
	v_add_f64 v[64:65], v[24:25], -v[64:65]
	v_add_f64 v[48:49], v[52:53], v[18:19]
	;; [unrolled: 2-line block ×3, first 2 shown]
	v_add_f64 v[32:33], v[44:45], -v[32:33]
	v_add_f64 v[36:37], v[36:37], -v[62:63]
	;; [unrolled: 1-line block ×4, first 2 shown]
	v_add_f64 v[56:57], v[24:25], v[46:47]
	v_add_f64 v[34:35], v[46:47], -v[34:35]
	v_add_f64 v[58:59], v[26:27], v[48:49]
	v_add_f64 v[52:53], v[48:49], -v[52:53]
	v_add_f64 v[70:71], v[54:55], -v[22:23]
	;; [unrolled: 1-line block ×13, first 2 shown]
	v_add_f64 v[44:45], v[30:31], v[12:13]
	v_add_f64 v[20:21], v[20:21], -v[76:77]
	v_add_f64 v[80:81], v[56:57], -v[72:73]
	;; [unrolled: 1-line block ×6, first 2 shown]
	v_add_f64 v[46:47], v[36:37], v[14:15]
	v_add_f64 v[48:49], v[38:39], v[16:17]
	;; [unrolled: 1-line block ×4, first 2 shown]
	v_add_f64 v[28:29], v[44:45], -v[30:31]
	v_add_f64 v[24:25], v[24:25], -v[80:81]
	;; [unrolled: 1-line block ×3, first 2 shown]
	v_add_f64 v[22:23], v[32:33], v[22:23]
	v_add_f64 v[32:33], v[46:47], -v[36:37]
	v_add_f64 v[20:21], v[44:45], v[20:21]
	v_add_f64 v[44:45], v[44:45], -v[28:29]
	v_add_f64 v[12:13], v[12:13], -v[28:29]
	v_add_f64 v[24:25], v[34:35], v[24:25]
	v_add_f64 v[34:35], v[48:49], -v[38:39]
	v_add_f64 v[26:27], v[42:43], v[26:27]
	;; [unrolled: 2-line block ×3, first 2 shown]
	v_add_f64 v[46:47], v[46:47], -v[32:33]
	v_add_f64 v[14:15], v[14:15], -v[32:33]
	v_add_f64 v[60:61], v[50:51], v[20:21]
	v_add_f64 v[28:29], v[30:31], -v[44:45]
	v_add_f64 v[24:25], v[48:49], v[24:25]
	;; [unrolled: 2-line block ×4, first 2 shown]
	v_add_f64 v[16:17], v[16:17], -v[34:35]
	v_add_f64 v[18:19], v[18:19], -v[42:43]
	;; [unrolled: 1-line block ×4, first 2 shown]
	v_add_f64 v[12:13], v[12:13], v[28:29]
	v_add_f64 v[64:65], v[56:57], v[24:25]
	v_add_f64 v[32:33], v[38:39], -v[48:49]
	v_add_f64 v[66:67], v[58:59], v[26:27]
	v_add_f64 v[34:35], v[40:41], -v[52:53]
	v_add_f64 v[38:39], v[62:63], -v[54:55]
	v_add_f64 v[14:15], v[14:15], v[30:31]
	v_add_f64 v[20:21], v[20:21], -v[36:37]
	;; [unrolled: 3-line block ×3, first 2 shown]
	v_add_f64 v[18:19], v[18:19], v[34:35]
	v_add_f64 v[22:23], v[22:23], -v[38:39]
	v_add_f64 v[12:13], v[12:13], v[20:21]
	v_add_co_u32 v20, s7, s40, v11
	s_delay_alu instid0(VALU_DEP_1) | instskip(SKIP_1) | instid1(VALU_DEP_1)
	v_add_co_ci_u32_e64 v21, null, s41, 0, s7
	v_add_co_u32 v9, s7, v9, s44
	v_add_co_ci_u32_e64 v10, s7, 0, v10, s7
	v_cmp_nge_f64_e64 s7, -1.0, v[7:8]
	s_add_u32 s40, s40, s45
	s_addc_u32 s41, s41, 0
	v_add_f64 v[24:25], v[24:25], -v[40:41]
	v_add_f64 v[26:27], v[26:27], -v[42:43]
	v_add_f64 v[14:15], v[14:15], v[22:23]
	v_add_f64 v[12:13], v[60:61], v[12:13]
	s_delay_alu instid0(VALU_DEP_4) | instskip(NEXT) | instid1(VALU_DEP_4)
	v_add_f64 v[16:17], v[16:17], v[24:25]
	v_add_f64 v[18:19], v[18:19], v[26:27]
	s_delay_alu instid0(VALU_DEP_4) | instskip(NEXT) | instid1(VALU_DEP_4)
	v_add_f64 v[14:15], v[62:63], v[14:15]
	v_dual_cndmask_b32 v12, v12, v1 :: v_dual_cndmask_b32 v13, v13, v2
	v_cmp_nge_f64_e32 vcc_lo, -1.0, v[1:2]
	s_delay_alu instid0(VALU_DEP_2)
	v_cndmask_b32_e64 v13, 0x7ff80000, v13, s8
	v_add_f64 v[16:17], v[64:65], v[16:17]
	v_add_f64 v[18:19], v[66:67], v[18:19]
	v_cndmask_b32_e64 v14, v14, v3, s2
	v_cndmask_b32_e64 v15, v15, v4, s2
	v_cmp_ngt_f64_e64 s2, -1.0, v[3:4]
	s_delay_alu instid0(VALU_DEP_3)
	v_cndmask_b32_e64 v14, 0, v14, s5
	v_cndmask_b32_e32 v12, 0, v12, vcc_lo
	v_cmp_neq_f64_e32 vcc_lo, -1.0, v[3:4]
	v_cndmask_b32_e64 v16, v16, v5, s3
	v_cndmask_b32_e64 v17, v17, v6, s3
	;; [unrolled: 1-line block ×4, first 2 shown]
	v_cmp_ngt_f64_e64 s4, -1.0, v[7:8]
	v_cmp_ngt_f64_e64 s3, -1.0, v[5:6]
	v_cndmask_b32_e64 v15, 0x7ff80000, v15, s2
	v_cmp_neq_f64_e64 s2, -1.0, v[5:6]
	v_cndmask_b32_e64 v3, 0, v16, s6
	v_cndmask_b32_e64 v5, 0, v18, s7
	s_delay_alu instid0(VALU_DEP_4) | instskip(SKIP_4) | instid1(VALU_DEP_2)
	v_cndmask_b32_e32 v15, 0xfff00000, v15, vcc_lo
	v_cndmask_b32_e64 v6, 0x7ff80000, v19, s4
	v_cmp_neq_f64_e64 s4, -1.0, v[1:2]
	v_cndmask_b32_e64 v4, 0x7ff80000, v17, s3
	v_cmp_neq_f64_e64 s3, -1.0, v[7:8]
	v_cndmask_b32_e64 v4, 0xfff00000, v4, s2
	s_and_b32 s2, exec_lo, s46
	s_delay_alu instid0(SALU_CYCLE_1) | instskip(NEXT) | instid1(VALU_DEP_4)
	s_or_b32 s43, s2, s43
	v_cndmask_b32_e64 v13, 0xfff00000, v13, s4
	s_delay_alu instid0(VALU_DEP_3)
	v_cndmask_b32_e64 v6, 0xfff00000, v6, s3
	s_clause 0x1
	global_store_b128 v[20:21], v[12:15], off
	global_store_b128 v[20:21], v[3:6], off offset:16
	s_and_not1_b32 exec_lo, exec_lo, s43
	s_cbranch_execnz .LBB202_3
.LBB202_4:
	s_or_b32 exec_lo, exec_lo, s42
	s_mov_b32 s2, 0
.LBB202_5:
	s_delay_alu instid0(SALU_CYCLE_1)
	s_and_not1_b32 vcc_lo, exec_lo, s2
	s_cbranch_vccnz .LBB202_25
; %bb.6:
	v_cmp_lt_i64_e64 s2, s[12:13], 1
	s_delay_alu instid0(VALU_DEP_1)
	s_and_b32 vcc_lo, exec_lo, s2
	s_cbranch_vccnz .LBB202_25
; %bb.7:
	s_load_b32 s0, s[0:1], 0xc5c
	v_dual_mov_b32 v2, 0 :: v_dual_lshlrev_b32 v1, 3, v0
	v_cmp_gt_u64_e64 s1, 0x10000, s[12:13]
	s_mov_b32 s6, 0x55555555
	s_mov_b32 s8, 0xfefa39ef
	s_delay_alu instid0(VALU_DEP_2) | instskip(NEXT) | instid1(VALU_DEP_1)
	v_add_co_u32 v9, s2, s16, v1
	v_add_co_ci_u32_e64 v10, null, s17, 0, s2
	v_add_co_u32 v11, s2, s14, v1
	s_delay_alu instid0(VALU_DEP_1)
	v_add_co_ci_u32_e64 v12, null, s15, 0, s2
	s_mov_b32 s18, 0x6b47b09a
	s_mov_b32 s20, 0xbf559e2b
	;; [unrolled: 1-line block ×6, first 2 shown]
	s_waitcnt lgkmcnt(0)
	s_and_b32 s0, s0, 0xffff
	s_and_b32 s1, s1, exec_lo
	v_mad_u64_u32 v[3:4], null, s0, 24, v[1:2]
	s_cselect_b32 s5, s13, 0
	s_cselect_b32 s4, s12, 0x10000
	s_lshl_b32 s3, s0, 4
	s_mul_i32 s2, s0, 3
	v_add_co_u32 v1, s3, s3, v1
	s_delay_alu instid0(VALU_DEP_2) | instskip(NEXT) | instid1(VALU_DEP_3)
	v_add_co_u32 v13, vcc_lo, s16, v3
	v_add_co_ci_u32_e32 v14, vcc_lo, s17, v4, vcc_lo
	v_add_co_u32 v17, s2, s2, v0
	v_add_co_u32 v15, vcc_lo, s14, v3
	v_add_co_ci_u32_e64 v2, null, 0, 0, s3
	v_add_co_ci_u32_e64 v18, null, 0, 0, s2
	v_add_co_u32 v21, s2, v0, s0
	v_add_co_ci_u32_e32 v16, vcc_lo, s15, v4, vcc_lo
	v_add_co_u32 v19, vcc_lo, s16, v1
	v_add_co_ci_u32_e32 v20, vcc_lo, s17, v2, vcc_lo
	v_add_co_u32 v22, vcc_lo, s14, v1
	v_lshlrev_b32_e32 v1, 3, v21
	s_lshl_b32 s1, s0, 1
	v_add_co_ci_u32_e32 v23, vcc_lo, s15, v2, vcc_lo
	v_add_co_u32 v25, s1, s1, v0
	s_delay_alu instid0(VALU_DEP_1) | instskip(SKIP_1) | instid1(VALU_DEP_1)
	v_add_co_ci_u32_e64 v26, null, 0, 0, s1
	v_add_co_u32 v27, s1, s16, v1
	v_add_co_ci_u32_e64 v28, null, s17, 0, s1
	v_add_co_u32 v29, s1, s14, v1
	v_add_co_ci_u32_e64 v24, null, 0, 0, s2
	v_add_co_ci_u32_e64 v30, null, s15, 0, s1
	s_mov_b32 s16, 0x3b39803f
	s_lshl_b32 s33, s0, 2
	s_mov_b32 s7, 0x3fe55555
	s_mov_b32 s9, 0x3fe62e42
	;; [unrolled: 1-line block ×9, first 2 shown]
	s_lshl_b32 s34, s0, 5
	s_mov_b64 s[14:15], 0
	s_mov_b32 s30, 0x55555780
	s_branch .LBB202_9
.LBB202_8:                              ;   in Loop: Header=BB202_9 Depth=1
	s_or_b32 exec_lo, exec_lo, s0
	v_add_co_u32 v9, vcc_lo, v9, s34
	v_add_co_ci_u32_e32 v10, vcc_lo, 0, v10, vcc_lo
	v_add_co_u32 v11, vcc_lo, v11, s34
	v_add_co_ci_u32_e32 v12, vcc_lo, 0, v12, vcc_lo
	;; [unrolled: 2-line block ×5, first 2 shown]
	s_add_u32 s14, s14, s33
	v_add_co_u32 v22, vcc_lo, v22, s34
	s_addc_u32 s15, s15, 0
	v_add_co_ci_u32_e32 v23, vcc_lo, 0, v23, vcc_lo
	v_cmp_ge_i64_e64 s0, s[14:15], s[12:13]
	v_cmp_lt_u64_e64 s1, 0xffff, s[14:15]
	v_add_co_u32 v27, vcc_lo, v27, s34
	v_add_co_ci_u32_e32 v28, vcc_lo, 0, v28, vcc_lo
	v_add_co_u32 v29, vcc_lo, v29, s34
	v_add_co_ci_u32_e32 v30, vcc_lo, 0, v30, vcc_lo
	s_or_b32 s0, s0, s1
	s_delay_alu instid0(SALU_CYCLE_1)
	s_and_b32 vcc_lo, exec_lo, s0
	s_cbranch_vccnz .LBB202_25
.LBB202_9:                              ; =>This Inner Loop Header: Depth=1
	s_waitcnt vmcnt(0)
	v_add_co_u32 v1, s0, v0, s14
	s_delay_alu instid0(VALU_DEP_1) | instskip(SKIP_2) | instid1(VALU_DEP_3)
	v_add_co_ci_u32_e64 v2, null, 0, s15, s0
	v_mov_b32_e32 v5, 0
	v_mov_b32_e32 v6, 0
	v_cmp_gt_u64_e64 s2, s[4:5], v[1:2]
	s_delay_alu instid0(VALU_DEP_2) | instskip(NEXT) | instid1(VALU_DEP_2)
	v_dual_mov_b32 v8, v6 :: v_dual_mov_b32 v7, v5
	s_and_saveexec_b32 s0, s2
	s_cbranch_execz .LBB202_11
; %bb.10:                               ;   in Loop: Header=BB202_9 Depth=1
	v_add_co_u32 v1, vcc_lo, v9, s10
	v_add_co_ci_u32_e32 v2, vcc_lo, s11, v10, vcc_lo
	global_load_b64 v[7:8], v[1:2], off
.LBB202_11:                             ;   in Loop: Header=BB202_9 Depth=1
	s_or_b32 exec_lo, exec_lo, s0
	v_add_co_u32 v1, vcc_lo, v21, s14
	v_add_co_ci_u32_e32 v2, vcc_lo, s15, v24, vcc_lo
	s_delay_alu instid0(VALU_DEP_1) | instskip(NEXT) | instid1(VALU_DEP_1)
	v_cmp_gt_u64_e64 s1, s[4:5], v[1:2]
	s_and_saveexec_b32 s0, s1
	s_cbranch_execz .LBB202_13
; %bb.12:                               ;   in Loop: Header=BB202_9 Depth=1
	v_add_co_u32 v1, vcc_lo, v27, s10
	v_add_co_ci_u32_e32 v2, vcc_lo, s11, v28, vcc_lo
	global_load_b64 v[5:6], v[1:2], off
.LBB202_13:                             ;   in Loop: Header=BB202_9 Depth=1
	s_or_b32 exec_lo, exec_lo, s0
	v_add_co_u32 v3, vcc_lo, v25, s14
	v_add_co_ci_u32_e32 v4, vcc_lo, s15, v26, vcc_lo
	v_mov_b32_e32 v1, 0
	v_mov_b32_e32 v2, 0
	s_delay_alu instid0(VALU_DEP_3) | instskip(NEXT) | instid1(VALU_DEP_2)
	v_cmp_gt_u64_e64 s0, s[4:5], v[3:4]
	v_dual_mov_b32 v4, v2 :: v_dual_mov_b32 v3, v1
	s_delay_alu instid0(VALU_DEP_2)
	s_and_saveexec_b32 s3, s0
	s_cbranch_execz .LBB202_15
; %bb.14:                               ;   in Loop: Header=BB202_9 Depth=1
	v_add_co_u32 v3, vcc_lo, v19, s10
	v_add_co_ci_u32_e32 v4, vcc_lo, s11, v20, vcc_lo
	global_load_b64 v[3:4], v[3:4], off
.LBB202_15:                             ;   in Loop: Header=BB202_9 Depth=1
	s_or_b32 exec_lo, exec_lo, s3
	v_add_co_u32 v31, vcc_lo, v17, s14
	v_add_co_ci_u32_e32 v32, vcc_lo, s15, v18, vcc_lo
	s_delay_alu instid0(VALU_DEP_1)
	v_cmp_gt_u64_e32 vcc_lo, s[4:5], v[31:32]
	s_and_saveexec_b32 s31, vcc_lo
	s_cbranch_execnz .LBB202_20
; %bb.16:                               ;   in Loop: Header=BB202_9 Depth=1
	s_or_b32 exec_lo, exec_lo, s31
	s_and_saveexec_b32 s3, s2
	s_cbranch_execnz .LBB202_21
.LBB202_17:                             ;   in Loop: Header=BB202_9 Depth=1
	s_or_b32 exec_lo, exec_lo, s3
	s_and_saveexec_b32 s2, s1
	s_cbranch_execnz .LBB202_22
.LBB202_18:                             ;   in Loop: Header=BB202_9 Depth=1
	s_or_b32 exec_lo, exec_lo, s2
	s_and_saveexec_b32 s1, s0
	s_cbranch_execnz .LBB202_23
.LBB202_19:                             ;   in Loop: Header=BB202_9 Depth=1
	s_or_b32 exec_lo, exec_lo, s1
	s_and_saveexec_b32 s0, vcc_lo
	s_cbranch_execz .LBB202_8
	s_branch .LBB202_24
.LBB202_20:                             ;   in Loop: Header=BB202_9 Depth=1
	v_add_co_u32 v1, s3, v13, s10
	s_delay_alu instid0(VALU_DEP_1)
	v_add_co_ci_u32_e64 v2, s3, s11, v14, s3
	global_load_b64 v[1:2], v[1:2], off
	s_or_b32 exec_lo, exec_lo, s31
	s_and_saveexec_b32 s3, s2
	s_cbranch_execz .LBB202_17
.LBB202_21:                             ;   in Loop: Header=BB202_9 Depth=1
	s_waitcnt vmcnt(0)
	v_add_f64 v[31:32], v[7:8], 1.0
	s_mov_b32 s31, s7
	s_delay_alu instid0(VALU_DEP_1) | instskip(SKIP_2) | instid1(VALU_DEP_3)
	v_frexp_mant_f64_e32 v[33:34], v[31:32]
	v_frexp_exp_i32_f64_e32 v37, v[31:32]
	v_add_f64 v[35:36], v[31:32], -1.0
	v_cmp_gt_f64_e64 s2, s[6:7], v[33:34]
	s_delay_alu instid0(VALU_DEP_2) | instskip(SKIP_1) | instid1(VALU_DEP_3)
	v_add_f64 v[33:34], v[35:36], -v[31:32]
	v_add_f64 v[35:36], v[7:8], -v[35:36]
	v_subrev_co_ci_u32_e64 v53, s2, 0, v37, s2
	s_delay_alu instid0(VALU_DEP_3) | instskip(SKIP_1) | instid1(VALU_DEP_3)
	v_add_f64 v[33:34], v[33:34], 1.0
	v_cmp_eq_f64_e64 s2, 0x7ff00000, v[7:8]
	v_sub_nc_u32_e32 v39, 0, v53
	s_delay_alu instid0(VALU_DEP_1) | instskip(NEXT) | instid1(VALU_DEP_4)
	v_ldexp_f64 v[31:32], v[31:32], v39
	v_add_f64 v[33:34], v[35:36], v[33:34]
	s_delay_alu instid0(VALU_DEP_2) | instskip(SKIP_1) | instid1(VALU_DEP_3)
	v_add_f64 v[37:38], v[31:32], 1.0
	v_add_f64 v[43:44], v[31:32], -1.0
	v_ldexp_f64 v[33:34], v[33:34], v39
	s_delay_alu instid0(VALU_DEP_3) | instskip(NEXT) | instid1(VALU_DEP_3)
	v_add_f64 v[35:36], v[37:38], -1.0
	v_add_f64 v[45:46], v[43:44], 1.0
	s_delay_alu instid0(VALU_DEP_2) | instskip(NEXT) | instid1(VALU_DEP_2)
	v_add_f64 v[35:36], v[31:32], -v[35:36]
	v_add_f64 v[31:32], v[31:32], -v[45:46]
	s_delay_alu instid0(VALU_DEP_2) | instskip(NEXT) | instid1(VALU_DEP_2)
	v_add_f64 v[35:36], v[33:34], v[35:36]
	v_add_f64 v[31:32], v[33:34], v[31:32]
	s_delay_alu instid0(VALU_DEP_2) | instskip(NEXT) | instid1(VALU_DEP_2)
	v_add_f64 v[39:40], v[37:38], v[35:36]
	v_add_f64 v[45:46], v[43:44], v[31:32]
	s_delay_alu instid0(VALU_DEP_2) | instskip(SKIP_1) | instid1(VALU_DEP_2)
	v_rcp_f64_e32 v[41:42], v[39:40]
	v_add_f64 v[37:38], v[39:40], -v[37:38]
	v_add_f64 v[43:44], v[45:46], -v[43:44]
	s_delay_alu instid0(VALU_DEP_2) | instskip(SKIP_3) | instid1(VALU_DEP_2)
	v_add_f64 v[35:36], v[35:36], -v[37:38]
	s_waitcnt_depctr 0xfff
	v_fma_f64 v[47:48], -v[39:40], v[41:42], 1.0
	v_add_f64 v[31:32], v[31:32], -v[43:44]
	v_fma_f64 v[41:42], v[47:48], v[41:42], v[41:42]
	s_delay_alu instid0(VALU_DEP_1) | instskip(NEXT) | instid1(VALU_DEP_1)
	v_fma_f64 v[33:34], -v[39:40], v[41:42], 1.0
	v_fma_f64 v[33:34], v[33:34], v[41:42], v[41:42]
	s_delay_alu instid0(VALU_DEP_1) | instskip(NEXT) | instid1(VALU_DEP_1)
	v_mul_f64 v[41:42], v[45:46], v[33:34]
	v_mul_f64 v[47:48], v[39:40], v[41:42]
	s_delay_alu instid0(VALU_DEP_1) | instskip(NEXT) | instid1(VALU_DEP_1)
	v_fma_f64 v[37:38], v[41:42], v[39:40], -v[47:48]
	v_fma_f64 v[37:38], v[41:42], v[35:36], v[37:38]
	s_delay_alu instid0(VALU_DEP_1) | instskip(NEXT) | instid1(VALU_DEP_1)
	v_add_f64 v[49:50], v[47:48], v[37:38]
	v_add_f64 v[51:52], v[45:46], -v[49:50]
	v_add_f64 v[43:44], v[49:50], -v[47:48]
	s_delay_alu instid0(VALU_DEP_2) | instskip(NEXT) | instid1(VALU_DEP_2)
	v_add_f64 v[45:46], v[45:46], -v[51:52]
	v_add_f64 v[37:38], v[43:44], -v[37:38]
	s_delay_alu instid0(VALU_DEP_2) | instskip(NEXT) | instid1(VALU_DEP_1)
	v_add_f64 v[45:46], v[45:46], -v[49:50]
	v_add_f64 v[31:32], v[31:32], v[45:46]
	s_delay_alu instid0(VALU_DEP_1) | instskip(NEXT) | instid1(VALU_DEP_1)
	v_add_f64 v[31:32], v[37:38], v[31:32]
	v_add_f64 v[37:38], v[51:52], v[31:32]
	s_delay_alu instid0(VALU_DEP_1) | instskip(SKIP_1) | instid1(VALU_DEP_2)
	v_mul_f64 v[43:44], v[33:34], v[37:38]
	v_add_f64 v[49:50], v[51:52], -v[37:38]
	v_mul_f64 v[45:46], v[39:40], v[43:44]
	s_delay_alu instid0(VALU_DEP_2) | instskip(NEXT) | instid1(VALU_DEP_2)
	v_add_f64 v[31:32], v[31:32], v[49:50]
	v_fma_f64 v[39:40], v[43:44], v[39:40], -v[45:46]
	s_delay_alu instid0(VALU_DEP_1) | instskip(NEXT) | instid1(VALU_DEP_1)
	v_fma_f64 v[35:36], v[43:44], v[35:36], v[39:40]
	v_add_f64 v[39:40], v[45:46], v[35:36]
	s_delay_alu instid0(VALU_DEP_1) | instskip(SKIP_1) | instid1(VALU_DEP_2)
	v_add_f64 v[47:48], v[37:38], -v[39:40]
	v_add_f64 v[45:46], v[39:40], -v[45:46]
	;; [unrolled: 1-line block ×3, first 2 shown]
	s_delay_alu instid0(VALU_DEP_2) | instskip(NEXT) | instid1(VALU_DEP_2)
	v_add_f64 v[35:36], v[45:46], -v[35:36]
	v_add_f64 v[37:38], v[37:38], -v[39:40]
	s_delay_alu instid0(VALU_DEP_1) | instskip(SKIP_1) | instid1(VALU_DEP_2)
	v_add_f64 v[31:32], v[31:32], v[37:38]
	v_add_f64 v[37:38], v[41:42], v[43:44]
	;; [unrolled: 1-line block ×3, first 2 shown]
	s_delay_alu instid0(VALU_DEP_2) | instskip(NEXT) | instid1(VALU_DEP_2)
	v_add_f64 v[35:36], v[37:38], -v[41:42]
	v_add_f64 v[31:32], v[47:48], v[31:32]
	s_delay_alu instid0(VALU_DEP_2) | instskip(NEXT) | instid1(VALU_DEP_2)
	v_add_f64 v[35:36], v[43:44], -v[35:36]
	v_mul_f64 v[31:32], v[33:34], v[31:32]
	s_delay_alu instid0(VALU_DEP_1) | instskip(NEXT) | instid1(VALU_DEP_1)
	v_add_f64 v[31:32], v[35:36], v[31:32]
	v_add_f64 v[33:34], v[37:38], v[31:32]
	s_delay_alu instid0(VALU_DEP_1) | instskip(NEXT) | instid1(VALU_DEP_1)
	v_mul_f64 v[35:36], v[33:34], v[33:34]
	v_fma_f64 v[39:40], v[35:36], s[20:21], s[18:19]
	v_mul_f64 v[41:42], v[33:34], v[35:36]
	s_delay_alu instid0(VALU_DEP_2) | instskip(NEXT) | instid1(VALU_DEP_1)
	v_fma_f64 v[39:40], v[35:36], v[39:40], s[22:23]
	v_fma_f64 v[39:40], v[35:36], v[39:40], s[24:25]
	s_delay_alu instid0(VALU_DEP_1) | instskip(NEXT) | instid1(VALU_DEP_1)
	v_fma_f64 v[39:40], v[35:36], v[39:40], s[26:27]
	v_fma_f64 v[39:40], v[35:36], v[39:40], s[28:29]
	s_delay_alu instid0(VALU_DEP_1) | instskip(SKIP_2) | instid1(VALU_DEP_3)
	v_fma_f64 v[35:36], v[35:36], v[39:40], s[30:31]
	v_ldexp_f64 v[39:40], v[33:34], 1
	v_add_f64 v[33:34], v[33:34], -v[37:38]
	v_mul_f64 v[35:36], v[41:42], v[35:36]
	v_cvt_f64_i32_e32 v[41:42], v53
	s_delay_alu instid0(VALU_DEP_3) | instskip(NEXT) | instid1(VALU_DEP_3)
	v_add_f64 v[31:32], v[31:32], -v[33:34]
	v_add_f64 v[37:38], v[39:40], v[35:36]
	s_delay_alu instid0(VALU_DEP_3) | instskip(NEXT) | instid1(VALU_DEP_3)
	v_mul_f64 v[43:44], v[41:42], s[8:9]
	v_ldexp_f64 v[31:32], v[31:32], 1
	s_delay_alu instid0(VALU_DEP_3) | instskip(NEXT) | instid1(VALU_DEP_3)
	v_add_f64 v[33:34], v[37:38], -v[39:40]
	v_fma_f64 v[39:40], v[41:42], s[8:9], -v[43:44]
	s_delay_alu instid0(VALU_DEP_2) | instskip(NEXT) | instid1(VALU_DEP_2)
	v_add_f64 v[33:34], v[35:36], -v[33:34]
	v_fma_f64 v[35:36], v[41:42], s[16:17], v[39:40]
	s_delay_alu instid0(VALU_DEP_2) | instskip(NEXT) | instid1(VALU_DEP_2)
	v_add_f64 v[31:32], v[31:32], v[33:34]
	v_add_f64 v[33:34], v[43:44], v[35:36]
	s_delay_alu instid0(VALU_DEP_2) | instskip(NEXT) | instid1(VALU_DEP_2)
	v_add_f64 v[39:40], v[37:38], v[31:32]
	v_add_f64 v[43:44], v[33:34], -v[43:44]
	s_delay_alu instid0(VALU_DEP_2) | instskip(SKIP_1) | instid1(VALU_DEP_3)
	v_add_f64 v[41:42], v[33:34], v[39:40]
	v_add_f64 v[37:38], v[39:40], -v[37:38]
	v_add_f64 v[35:36], v[35:36], -v[43:44]
	s_delay_alu instid0(VALU_DEP_3) | instskip(NEXT) | instid1(VALU_DEP_3)
	v_add_f64 v[45:46], v[41:42], -v[33:34]
	v_add_f64 v[31:32], v[31:32], -v[37:38]
	s_delay_alu instid0(VALU_DEP_2) | instskip(SKIP_1) | instid1(VALU_DEP_3)
	v_add_f64 v[47:48], v[41:42], -v[45:46]
	v_add_f64 v[37:38], v[39:40], -v[45:46]
	v_add_f64 v[39:40], v[35:36], v[31:32]
	s_delay_alu instid0(VALU_DEP_3) | instskip(NEXT) | instid1(VALU_DEP_1)
	v_add_f64 v[33:34], v[33:34], -v[47:48]
	v_add_f64 v[33:34], v[37:38], v[33:34]
	s_delay_alu instid0(VALU_DEP_3) | instskip(NEXT) | instid1(VALU_DEP_2)
	v_add_f64 v[37:38], v[39:40], -v[35:36]
	v_add_f64 v[33:34], v[39:40], v[33:34]
	s_delay_alu instid0(VALU_DEP_2) | instskip(SKIP_1) | instid1(VALU_DEP_3)
	v_add_f64 v[39:40], v[39:40], -v[37:38]
	v_add_f64 v[31:32], v[31:32], -v[37:38]
	v_add_f64 v[43:44], v[41:42], v[33:34]
	s_delay_alu instid0(VALU_DEP_3) | instskip(NEXT) | instid1(VALU_DEP_2)
	v_add_f64 v[35:36], v[35:36], -v[39:40]
	v_add_f64 v[37:38], v[43:44], -v[41:42]
	s_delay_alu instid0(VALU_DEP_2) | instskip(NEXT) | instid1(VALU_DEP_2)
	v_add_f64 v[31:32], v[31:32], v[35:36]
	v_add_f64 v[33:34], v[33:34], -v[37:38]
	s_delay_alu instid0(VALU_DEP_1) | instskip(NEXT) | instid1(VALU_DEP_1)
	v_add_f64 v[31:32], v[31:32], v[33:34]
	v_add_f64 v[31:32], v[43:44], v[31:32]
	s_delay_alu instid0(VALU_DEP_1) | instskip(NEXT) | instid1(VALU_DEP_2)
	v_cndmask_b32_e64 v31, v31, v7, s2
	v_cndmask_b32_e64 v32, v32, v8, s2
	v_cmp_ngt_f64_e64 s2, -1.0, v[7:8]
	s_delay_alu instid0(VALU_DEP_1) | instskip(SKIP_1) | instid1(VALU_DEP_1)
	v_cndmask_b32_e64 v32, 0x7ff80000, v32, s2
	v_cmp_nge_f64_e64 s2, -1.0, v[7:8]
	v_cndmask_b32_e64 v31, 0, v31, s2
	v_cmp_neq_f64_e64 s2, -1.0, v[7:8]
	s_delay_alu instid0(VALU_DEP_1) | instskip(SKIP_1) | instid1(VALU_DEP_1)
	v_cndmask_b32_e64 v32, 0xfff00000, v32, s2
	v_add_co_u32 v7, s2, v11, s10
	v_add_co_ci_u32_e64 v8, s2, s11, v12, s2
	global_store_b64 v[7:8], v[31:32], off
	s_or_b32 exec_lo, exec_lo, s3
	s_and_saveexec_b32 s2, s1
	s_cbranch_execz .LBB202_18
.LBB202_22:                             ;   in Loop: Header=BB202_9 Depth=1
	s_waitcnt vmcnt(0)
	v_add_f64 v[7:8], v[5:6], 1.0
	s_mov_b32 s31, s7
	s_delay_alu instid0(VALU_DEP_1) | instskip(SKIP_2) | instid1(VALU_DEP_3)
	v_frexp_mant_f64_e32 v[31:32], v[7:8]
	v_frexp_exp_i32_f64_e32 v35, v[7:8]
	v_add_f64 v[33:34], v[7:8], -1.0
	v_cmp_gt_f64_e64 s1, s[6:7], v[31:32]
	s_delay_alu instid0(VALU_DEP_2) | instskip(SKIP_1) | instid1(VALU_DEP_3)
	v_add_f64 v[31:32], v[33:34], -v[7:8]
	v_add_f64 v[33:34], v[5:6], -v[33:34]
	v_subrev_co_ci_u32_e64 v51, s1, 0, v35, s1
	s_delay_alu instid0(VALU_DEP_3) | instskip(SKIP_1) | instid1(VALU_DEP_3)
	v_add_f64 v[31:32], v[31:32], 1.0
	v_cmp_eq_f64_e64 s1, 0x7ff00000, v[5:6]
	v_sub_nc_u32_e32 v37, 0, v51
	s_delay_alu instid0(VALU_DEP_1) | instskip(NEXT) | instid1(VALU_DEP_4)
	v_ldexp_f64 v[7:8], v[7:8], v37
	v_add_f64 v[31:32], v[33:34], v[31:32]
	s_delay_alu instid0(VALU_DEP_2) | instskip(SKIP_1) | instid1(VALU_DEP_3)
	v_add_f64 v[35:36], v[7:8], 1.0
	v_add_f64 v[41:42], v[7:8], -1.0
	v_ldexp_f64 v[31:32], v[31:32], v37
	s_delay_alu instid0(VALU_DEP_3) | instskip(NEXT) | instid1(VALU_DEP_3)
	v_add_f64 v[33:34], v[35:36], -1.0
	v_add_f64 v[43:44], v[41:42], 1.0
	s_delay_alu instid0(VALU_DEP_2) | instskip(NEXT) | instid1(VALU_DEP_2)
	v_add_f64 v[33:34], v[7:8], -v[33:34]
	v_add_f64 v[7:8], v[7:8], -v[43:44]
	s_delay_alu instid0(VALU_DEP_2) | instskip(NEXT) | instid1(VALU_DEP_2)
	v_add_f64 v[33:34], v[31:32], v[33:34]
	v_add_f64 v[7:8], v[31:32], v[7:8]
	s_delay_alu instid0(VALU_DEP_2) | instskip(NEXT) | instid1(VALU_DEP_2)
	v_add_f64 v[37:38], v[35:36], v[33:34]
	v_add_f64 v[43:44], v[41:42], v[7:8]
	s_delay_alu instid0(VALU_DEP_2) | instskip(SKIP_1) | instid1(VALU_DEP_2)
	v_rcp_f64_e32 v[39:40], v[37:38]
	v_add_f64 v[35:36], v[37:38], -v[35:36]
	v_add_f64 v[41:42], v[43:44], -v[41:42]
	s_delay_alu instid0(VALU_DEP_2) | instskip(SKIP_3) | instid1(VALU_DEP_2)
	v_add_f64 v[33:34], v[33:34], -v[35:36]
	s_waitcnt_depctr 0xfff
	v_fma_f64 v[45:46], -v[37:38], v[39:40], 1.0
	v_add_f64 v[7:8], v[7:8], -v[41:42]
	v_fma_f64 v[39:40], v[45:46], v[39:40], v[39:40]
	s_delay_alu instid0(VALU_DEP_1) | instskip(NEXT) | instid1(VALU_DEP_1)
	v_fma_f64 v[31:32], -v[37:38], v[39:40], 1.0
	v_fma_f64 v[31:32], v[31:32], v[39:40], v[39:40]
	s_delay_alu instid0(VALU_DEP_1) | instskip(NEXT) | instid1(VALU_DEP_1)
	v_mul_f64 v[39:40], v[43:44], v[31:32]
	v_mul_f64 v[45:46], v[37:38], v[39:40]
	s_delay_alu instid0(VALU_DEP_1) | instskip(NEXT) | instid1(VALU_DEP_1)
	v_fma_f64 v[35:36], v[39:40], v[37:38], -v[45:46]
	v_fma_f64 v[35:36], v[39:40], v[33:34], v[35:36]
	s_delay_alu instid0(VALU_DEP_1) | instskip(NEXT) | instid1(VALU_DEP_1)
	v_add_f64 v[47:48], v[45:46], v[35:36]
	v_add_f64 v[49:50], v[43:44], -v[47:48]
	v_add_f64 v[41:42], v[47:48], -v[45:46]
	s_delay_alu instid0(VALU_DEP_2) | instskip(NEXT) | instid1(VALU_DEP_2)
	v_add_f64 v[43:44], v[43:44], -v[49:50]
	v_add_f64 v[35:36], v[41:42], -v[35:36]
	s_delay_alu instid0(VALU_DEP_2) | instskip(NEXT) | instid1(VALU_DEP_1)
	v_add_f64 v[43:44], v[43:44], -v[47:48]
	v_add_f64 v[7:8], v[7:8], v[43:44]
	s_delay_alu instid0(VALU_DEP_1) | instskip(NEXT) | instid1(VALU_DEP_1)
	v_add_f64 v[7:8], v[35:36], v[7:8]
	v_add_f64 v[35:36], v[49:50], v[7:8]
	s_delay_alu instid0(VALU_DEP_1) | instskip(SKIP_1) | instid1(VALU_DEP_2)
	v_mul_f64 v[41:42], v[31:32], v[35:36]
	v_add_f64 v[47:48], v[49:50], -v[35:36]
	v_mul_f64 v[43:44], v[37:38], v[41:42]
	s_delay_alu instid0(VALU_DEP_2) | instskip(NEXT) | instid1(VALU_DEP_2)
	v_add_f64 v[7:8], v[7:8], v[47:48]
	v_fma_f64 v[37:38], v[41:42], v[37:38], -v[43:44]
	s_delay_alu instid0(VALU_DEP_1) | instskip(NEXT) | instid1(VALU_DEP_1)
	v_fma_f64 v[33:34], v[41:42], v[33:34], v[37:38]
	v_add_f64 v[37:38], v[43:44], v[33:34]
	s_delay_alu instid0(VALU_DEP_1) | instskip(SKIP_1) | instid1(VALU_DEP_2)
	v_add_f64 v[45:46], v[35:36], -v[37:38]
	v_add_f64 v[43:44], v[37:38], -v[43:44]
	;; [unrolled: 1-line block ×3, first 2 shown]
	s_delay_alu instid0(VALU_DEP_2) | instskip(NEXT) | instid1(VALU_DEP_2)
	v_add_f64 v[33:34], v[43:44], -v[33:34]
	v_add_f64 v[35:36], v[35:36], -v[37:38]
	s_delay_alu instid0(VALU_DEP_1) | instskip(SKIP_1) | instid1(VALU_DEP_2)
	v_add_f64 v[7:8], v[7:8], v[35:36]
	v_add_f64 v[35:36], v[39:40], v[41:42]
	;; [unrolled: 1-line block ×3, first 2 shown]
	s_delay_alu instid0(VALU_DEP_2) | instskip(NEXT) | instid1(VALU_DEP_2)
	v_add_f64 v[33:34], v[35:36], -v[39:40]
	v_add_f64 v[7:8], v[45:46], v[7:8]
	s_delay_alu instid0(VALU_DEP_2) | instskip(NEXT) | instid1(VALU_DEP_2)
	v_add_f64 v[33:34], v[41:42], -v[33:34]
	v_mul_f64 v[7:8], v[31:32], v[7:8]
	s_delay_alu instid0(VALU_DEP_1) | instskip(NEXT) | instid1(VALU_DEP_1)
	v_add_f64 v[7:8], v[33:34], v[7:8]
	v_add_f64 v[31:32], v[35:36], v[7:8]
	s_delay_alu instid0(VALU_DEP_1) | instskip(NEXT) | instid1(VALU_DEP_1)
	v_mul_f64 v[33:34], v[31:32], v[31:32]
	v_fma_f64 v[37:38], v[33:34], s[20:21], s[18:19]
	v_mul_f64 v[39:40], v[31:32], v[33:34]
	s_delay_alu instid0(VALU_DEP_2) | instskip(NEXT) | instid1(VALU_DEP_1)
	v_fma_f64 v[37:38], v[33:34], v[37:38], s[22:23]
	v_fma_f64 v[37:38], v[33:34], v[37:38], s[24:25]
	s_delay_alu instid0(VALU_DEP_1) | instskip(NEXT) | instid1(VALU_DEP_1)
	v_fma_f64 v[37:38], v[33:34], v[37:38], s[26:27]
	v_fma_f64 v[37:38], v[33:34], v[37:38], s[28:29]
	s_delay_alu instid0(VALU_DEP_1) | instskip(SKIP_2) | instid1(VALU_DEP_3)
	v_fma_f64 v[33:34], v[33:34], v[37:38], s[30:31]
	v_ldexp_f64 v[37:38], v[31:32], 1
	v_add_f64 v[31:32], v[31:32], -v[35:36]
	v_mul_f64 v[33:34], v[39:40], v[33:34]
	v_cvt_f64_i32_e32 v[39:40], v51
	s_delay_alu instid0(VALU_DEP_3) | instskip(NEXT) | instid1(VALU_DEP_3)
	v_add_f64 v[7:8], v[7:8], -v[31:32]
	v_add_f64 v[35:36], v[37:38], v[33:34]
	s_delay_alu instid0(VALU_DEP_3) | instskip(NEXT) | instid1(VALU_DEP_3)
	v_mul_f64 v[41:42], v[39:40], s[8:9]
	v_ldexp_f64 v[7:8], v[7:8], 1
	s_delay_alu instid0(VALU_DEP_3) | instskip(NEXT) | instid1(VALU_DEP_3)
	v_add_f64 v[31:32], v[35:36], -v[37:38]
	v_fma_f64 v[37:38], v[39:40], s[8:9], -v[41:42]
	s_delay_alu instid0(VALU_DEP_2) | instskip(NEXT) | instid1(VALU_DEP_2)
	v_add_f64 v[31:32], v[33:34], -v[31:32]
	v_fma_f64 v[33:34], v[39:40], s[16:17], v[37:38]
	s_delay_alu instid0(VALU_DEP_2) | instskip(NEXT) | instid1(VALU_DEP_2)
	v_add_f64 v[7:8], v[7:8], v[31:32]
	v_add_f64 v[31:32], v[41:42], v[33:34]
	s_delay_alu instid0(VALU_DEP_2) | instskip(NEXT) | instid1(VALU_DEP_2)
	v_add_f64 v[37:38], v[35:36], v[7:8]
	v_add_f64 v[41:42], v[31:32], -v[41:42]
	s_delay_alu instid0(VALU_DEP_2) | instskip(SKIP_1) | instid1(VALU_DEP_3)
	v_add_f64 v[39:40], v[31:32], v[37:38]
	v_add_f64 v[35:36], v[37:38], -v[35:36]
	v_add_f64 v[33:34], v[33:34], -v[41:42]
	s_delay_alu instid0(VALU_DEP_3) | instskip(NEXT) | instid1(VALU_DEP_3)
	v_add_f64 v[43:44], v[39:40], -v[31:32]
	v_add_f64 v[7:8], v[7:8], -v[35:36]
	s_delay_alu instid0(VALU_DEP_2) | instskip(SKIP_1) | instid1(VALU_DEP_3)
	v_add_f64 v[45:46], v[39:40], -v[43:44]
	v_add_f64 v[35:36], v[37:38], -v[43:44]
	v_add_f64 v[37:38], v[33:34], v[7:8]
	s_delay_alu instid0(VALU_DEP_3) | instskip(NEXT) | instid1(VALU_DEP_1)
	v_add_f64 v[31:32], v[31:32], -v[45:46]
	v_add_f64 v[31:32], v[35:36], v[31:32]
	s_delay_alu instid0(VALU_DEP_3) | instskip(NEXT) | instid1(VALU_DEP_2)
	v_add_f64 v[35:36], v[37:38], -v[33:34]
	v_add_f64 v[31:32], v[37:38], v[31:32]
	s_delay_alu instid0(VALU_DEP_2) | instskip(SKIP_1) | instid1(VALU_DEP_3)
	v_add_f64 v[37:38], v[37:38], -v[35:36]
	v_add_f64 v[7:8], v[7:8], -v[35:36]
	v_add_f64 v[41:42], v[39:40], v[31:32]
	s_delay_alu instid0(VALU_DEP_3) | instskip(NEXT) | instid1(VALU_DEP_2)
	v_add_f64 v[33:34], v[33:34], -v[37:38]
	v_add_f64 v[35:36], v[41:42], -v[39:40]
	s_delay_alu instid0(VALU_DEP_2) | instskip(NEXT) | instid1(VALU_DEP_2)
	v_add_f64 v[7:8], v[7:8], v[33:34]
	v_add_f64 v[31:32], v[31:32], -v[35:36]
	s_delay_alu instid0(VALU_DEP_1) | instskip(NEXT) | instid1(VALU_DEP_1)
	v_add_f64 v[7:8], v[7:8], v[31:32]
	v_add_f64 v[7:8], v[41:42], v[7:8]
	s_delay_alu instid0(VALU_DEP_1) | instskip(NEXT) | instid1(VALU_DEP_2)
	v_cndmask_b32_e64 v7, v7, v5, s1
	v_cndmask_b32_e64 v8, v8, v6, s1
	v_cmp_ngt_f64_e64 s1, -1.0, v[5:6]
	s_delay_alu instid0(VALU_DEP_1) | instskip(SKIP_1) | instid1(VALU_DEP_1)
	v_cndmask_b32_e64 v8, 0x7ff80000, v8, s1
	v_cmp_nge_f64_e64 s1, -1.0, v[5:6]
	v_cndmask_b32_e64 v7, 0, v7, s1
	v_cmp_neq_f64_e64 s1, -1.0, v[5:6]
	s_delay_alu instid0(VALU_DEP_1) | instskip(SKIP_1) | instid1(VALU_DEP_1)
	v_cndmask_b32_e64 v8, 0xfff00000, v8, s1
	v_add_co_u32 v5, s1, v29, s10
	v_add_co_ci_u32_e64 v6, s1, s11, v30, s1
	global_store_b64 v[5:6], v[7:8], off
	s_or_b32 exec_lo, exec_lo, s2
	s_and_saveexec_b32 s1, s0
	s_cbranch_execz .LBB202_19
.LBB202_23:                             ;   in Loop: Header=BB202_9 Depth=1
	s_waitcnt vmcnt(0)
	v_add_f64 v[5:6], v[3:4], 1.0
	s_mov_b32 s31, s7
	s_delay_alu instid0(VALU_DEP_1) | instskip(SKIP_2) | instid1(VALU_DEP_3)
	v_frexp_mant_f64_e32 v[7:8], v[5:6]
	v_frexp_exp_i32_f64_e32 v33, v[5:6]
	v_add_f64 v[31:32], v[5:6], -1.0
	v_cmp_gt_f64_e64 s0, s[6:7], v[7:8]
	s_delay_alu instid0(VALU_DEP_2) | instskip(SKIP_1) | instid1(VALU_DEP_3)
	v_add_f64 v[7:8], v[31:32], -v[5:6]
	v_add_f64 v[31:32], v[3:4], -v[31:32]
	v_subrev_co_ci_u32_e64 v49, s0, 0, v33, s0
	s_delay_alu instid0(VALU_DEP_3) | instskip(SKIP_1) | instid1(VALU_DEP_3)
	v_add_f64 v[7:8], v[7:8], 1.0
	v_cmp_eq_f64_e64 s0, 0x7ff00000, v[3:4]
	v_sub_nc_u32_e32 v35, 0, v49
	s_delay_alu instid0(VALU_DEP_1) | instskip(NEXT) | instid1(VALU_DEP_4)
	v_ldexp_f64 v[5:6], v[5:6], v35
	v_add_f64 v[7:8], v[31:32], v[7:8]
	s_delay_alu instid0(VALU_DEP_2) | instskip(SKIP_1) | instid1(VALU_DEP_3)
	v_add_f64 v[33:34], v[5:6], 1.0
	v_add_f64 v[39:40], v[5:6], -1.0
	v_ldexp_f64 v[7:8], v[7:8], v35
	s_delay_alu instid0(VALU_DEP_3) | instskip(NEXT) | instid1(VALU_DEP_3)
	v_add_f64 v[31:32], v[33:34], -1.0
	v_add_f64 v[41:42], v[39:40], 1.0
	s_delay_alu instid0(VALU_DEP_2) | instskip(NEXT) | instid1(VALU_DEP_2)
	v_add_f64 v[31:32], v[5:6], -v[31:32]
	v_add_f64 v[5:6], v[5:6], -v[41:42]
	s_delay_alu instid0(VALU_DEP_2) | instskip(NEXT) | instid1(VALU_DEP_2)
	v_add_f64 v[31:32], v[7:8], v[31:32]
	v_add_f64 v[5:6], v[7:8], v[5:6]
	s_delay_alu instid0(VALU_DEP_2) | instskip(NEXT) | instid1(VALU_DEP_2)
	v_add_f64 v[35:36], v[33:34], v[31:32]
	v_add_f64 v[41:42], v[39:40], v[5:6]
	s_delay_alu instid0(VALU_DEP_2) | instskip(SKIP_1) | instid1(VALU_DEP_2)
	v_rcp_f64_e32 v[37:38], v[35:36]
	v_add_f64 v[33:34], v[35:36], -v[33:34]
	v_add_f64 v[39:40], v[41:42], -v[39:40]
	s_delay_alu instid0(VALU_DEP_2) | instskip(SKIP_3) | instid1(VALU_DEP_2)
	v_add_f64 v[31:32], v[31:32], -v[33:34]
	s_waitcnt_depctr 0xfff
	v_fma_f64 v[43:44], -v[35:36], v[37:38], 1.0
	v_add_f64 v[5:6], v[5:6], -v[39:40]
	v_fma_f64 v[37:38], v[43:44], v[37:38], v[37:38]
	s_delay_alu instid0(VALU_DEP_1) | instskip(NEXT) | instid1(VALU_DEP_1)
	v_fma_f64 v[7:8], -v[35:36], v[37:38], 1.0
	v_fma_f64 v[7:8], v[7:8], v[37:38], v[37:38]
	s_delay_alu instid0(VALU_DEP_1) | instskip(NEXT) | instid1(VALU_DEP_1)
	v_mul_f64 v[37:38], v[41:42], v[7:8]
	v_mul_f64 v[43:44], v[35:36], v[37:38]
	s_delay_alu instid0(VALU_DEP_1) | instskip(NEXT) | instid1(VALU_DEP_1)
	v_fma_f64 v[33:34], v[37:38], v[35:36], -v[43:44]
	v_fma_f64 v[33:34], v[37:38], v[31:32], v[33:34]
	s_delay_alu instid0(VALU_DEP_1) | instskip(NEXT) | instid1(VALU_DEP_1)
	v_add_f64 v[45:46], v[43:44], v[33:34]
	v_add_f64 v[47:48], v[41:42], -v[45:46]
	v_add_f64 v[39:40], v[45:46], -v[43:44]
	s_delay_alu instid0(VALU_DEP_2) | instskip(NEXT) | instid1(VALU_DEP_2)
	v_add_f64 v[41:42], v[41:42], -v[47:48]
	v_add_f64 v[33:34], v[39:40], -v[33:34]
	s_delay_alu instid0(VALU_DEP_2) | instskip(NEXT) | instid1(VALU_DEP_1)
	v_add_f64 v[41:42], v[41:42], -v[45:46]
	v_add_f64 v[5:6], v[5:6], v[41:42]
	s_delay_alu instid0(VALU_DEP_1) | instskip(NEXT) | instid1(VALU_DEP_1)
	v_add_f64 v[5:6], v[33:34], v[5:6]
	v_add_f64 v[33:34], v[47:48], v[5:6]
	s_delay_alu instid0(VALU_DEP_1) | instskip(SKIP_1) | instid1(VALU_DEP_2)
	v_mul_f64 v[39:40], v[7:8], v[33:34]
	v_add_f64 v[45:46], v[47:48], -v[33:34]
	v_mul_f64 v[41:42], v[35:36], v[39:40]
	s_delay_alu instid0(VALU_DEP_2) | instskip(NEXT) | instid1(VALU_DEP_2)
	v_add_f64 v[5:6], v[5:6], v[45:46]
	v_fma_f64 v[35:36], v[39:40], v[35:36], -v[41:42]
	s_delay_alu instid0(VALU_DEP_1) | instskip(NEXT) | instid1(VALU_DEP_1)
	v_fma_f64 v[31:32], v[39:40], v[31:32], v[35:36]
	v_add_f64 v[35:36], v[41:42], v[31:32]
	s_delay_alu instid0(VALU_DEP_1) | instskip(SKIP_1) | instid1(VALU_DEP_2)
	v_add_f64 v[43:44], v[33:34], -v[35:36]
	v_add_f64 v[41:42], v[35:36], -v[41:42]
	;; [unrolled: 1-line block ×3, first 2 shown]
	s_delay_alu instid0(VALU_DEP_2) | instskip(NEXT) | instid1(VALU_DEP_2)
	v_add_f64 v[31:32], v[41:42], -v[31:32]
	v_add_f64 v[33:34], v[33:34], -v[35:36]
	s_delay_alu instid0(VALU_DEP_1) | instskip(SKIP_1) | instid1(VALU_DEP_2)
	v_add_f64 v[5:6], v[5:6], v[33:34]
	v_add_f64 v[33:34], v[37:38], v[39:40]
	;; [unrolled: 1-line block ×3, first 2 shown]
	s_delay_alu instid0(VALU_DEP_2) | instskip(NEXT) | instid1(VALU_DEP_2)
	v_add_f64 v[31:32], v[33:34], -v[37:38]
	v_add_f64 v[5:6], v[43:44], v[5:6]
	s_delay_alu instid0(VALU_DEP_2) | instskip(NEXT) | instid1(VALU_DEP_2)
	v_add_f64 v[31:32], v[39:40], -v[31:32]
	v_mul_f64 v[5:6], v[7:8], v[5:6]
	s_delay_alu instid0(VALU_DEP_1) | instskip(NEXT) | instid1(VALU_DEP_1)
	v_add_f64 v[5:6], v[31:32], v[5:6]
	v_add_f64 v[7:8], v[33:34], v[5:6]
	s_delay_alu instid0(VALU_DEP_1) | instskip(NEXT) | instid1(VALU_DEP_1)
	v_mul_f64 v[31:32], v[7:8], v[7:8]
	v_fma_f64 v[35:36], v[31:32], s[20:21], s[18:19]
	v_mul_f64 v[37:38], v[7:8], v[31:32]
	s_delay_alu instid0(VALU_DEP_2) | instskip(NEXT) | instid1(VALU_DEP_1)
	v_fma_f64 v[35:36], v[31:32], v[35:36], s[22:23]
	v_fma_f64 v[35:36], v[31:32], v[35:36], s[24:25]
	s_delay_alu instid0(VALU_DEP_1) | instskip(NEXT) | instid1(VALU_DEP_1)
	v_fma_f64 v[35:36], v[31:32], v[35:36], s[26:27]
	v_fma_f64 v[35:36], v[31:32], v[35:36], s[28:29]
	s_delay_alu instid0(VALU_DEP_1) | instskip(SKIP_2) | instid1(VALU_DEP_3)
	v_fma_f64 v[31:32], v[31:32], v[35:36], s[30:31]
	v_ldexp_f64 v[35:36], v[7:8], 1
	v_add_f64 v[7:8], v[7:8], -v[33:34]
	v_mul_f64 v[31:32], v[37:38], v[31:32]
	v_cvt_f64_i32_e32 v[37:38], v49
	s_delay_alu instid0(VALU_DEP_3) | instskip(NEXT) | instid1(VALU_DEP_3)
	v_add_f64 v[5:6], v[5:6], -v[7:8]
	v_add_f64 v[33:34], v[35:36], v[31:32]
	s_delay_alu instid0(VALU_DEP_3) | instskip(NEXT) | instid1(VALU_DEP_3)
	v_mul_f64 v[39:40], v[37:38], s[8:9]
	v_ldexp_f64 v[5:6], v[5:6], 1
	s_delay_alu instid0(VALU_DEP_3) | instskip(NEXT) | instid1(VALU_DEP_3)
	v_add_f64 v[7:8], v[33:34], -v[35:36]
	v_fma_f64 v[35:36], v[37:38], s[8:9], -v[39:40]
	s_delay_alu instid0(VALU_DEP_2) | instskip(NEXT) | instid1(VALU_DEP_2)
	v_add_f64 v[7:8], v[31:32], -v[7:8]
	v_fma_f64 v[31:32], v[37:38], s[16:17], v[35:36]
	s_delay_alu instid0(VALU_DEP_2) | instskip(NEXT) | instid1(VALU_DEP_2)
	v_add_f64 v[5:6], v[5:6], v[7:8]
	v_add_f64 v[7:8], v[39:40], v[31:32]
	s_delay_alu instid0(VALU_DEP_2) | instskip(NEXT) | instid1(VALU_DEP_2)
	v_add_f64 v[35:36], v[33:34], v[5:6]
	v_add_f64 v[39:40], v[7:8], -v[39:40]
	s_delay_alu instid0(VALU_DEP_2) | instskip(SKIP_1) | instid1(VALU_DEP_3)
	v_add_f64 v[37:38], v[7:8], v[35:36]
	v_add_f64 v[33:34], v[35:36], -v[33:34]
	v_add_f64 v[31:32], v[31:32], -v[39:40]
	s_delay_alu instid0(VALU_DEP_3) | instskip(NEXT) | instid1(VALU_DEP_3)
	v_add_f64 v[41:42], v[37:38], -v[7:8]
	v_add_f64 v[5:6], v[5:6], -v[33:34]
	s_delay_alu instid0(VALU_DEP_2) | instskip(SKIP_1) | instid1(VALU_DEP_3)
	v_add_f64 v[43:44], v[37:38], -v[41:42]
	v_add_f64 v[33:34], v[35:36], -v[41:42]
	v_add_f64 v[35:36], v[31:32], v[5:6]
	s_delay_alu instid0(VALU_DEP_3) | instskip(NEXT) | instid1(VALU_DEP_1)
	v_add_f64 v[7:8], v[7:8], -v[43:44]
	v_add_f64 v[7:8], v[33:34], v[7:8]
	s_delay_alu instid0(VALU_DEP_3) | instskip(NEXT) | instid1(VALU_DEP_2)
	v_add_f64 v[33:34], v[35:36], -v[31:32]
	v_add_f64 v[7:8], v[35:36], v[7:8]
	s_delay_alu instid0(VALU_DEP_2) | instskip(SKIP_1) | instid1(VALU_DEP_3)
	v_add_f64 v[35:36], v[35:36], -v[33:34]
	v_add_f64 v[5:6], v[5:6], -v[33:34]
	v_add_f64 v[39:40], v[37:38], v[7:8]
	s_delay_alu instid0(VALU_DEP_3) | instskip(NEXT) | instid1(VALU_DEP_2)
	v_add_f64 v[31:32], v[31:32], -v[35:36]
	v_add_f64 v[33:34], v[39:40], -v[37:38]
	s_delay_alu instid0(VALU_DEP_2) | instskip(NEXT) | instid1(VALU_DEP_2)
	v_add_f64 v[5:6], v[5:6], v[31:32]
	v_add_f64 v[7:8], v[7:8], -v[33:34]
	s_delay_alu instid0(VALU_DEP_1) | instskip(NEXT) | instid1(VALU_DEP_1)
	v_add_f64 v[5:6], v[5:6], v[7:8]
	v_add_f64 v[5:6], v[39:40], v[5:6]
	s_delay_alu instid0(VALU_DEP_1) | instskip(NEXT) | instid1(VALU_DEP_2)
	v_cndmask_b32_e64 v5, v5, v3, s0
	v_cndmask_b32_e64 v6, v6, v4, s0
	v_cmp_ngt_f64_e64 s0, -1.0, v[3:4]
	s_delay_alu instid0(VALU_DEP_1) | instskip(SKIP_1) | instid1(VALU_DEP_1)
	v_cndmask_b32_e64 v6, 0x7ff80000, v6, s0
	v_cmp_nge_f64_e64 s0, -1.0, v[3:4]
	v_cndmask_b32_e64 v5, 0, v5, s0
	v_cmp_neq_f64_e64 s0, -1.0, v[3:4]
	s_delay_alu instid0(VALU_DEP_1) | instskip(SKIP_1) | instid1(VALU_DEP_1)
	v_cndmask_b32_e64 v6, 0xfff00000, v6, s0
	v_add_co_u32 v3, s0, v22, s10
	v_add_co_ci_u32_e64 v4, s0, s11, v23, s0
	global_store_b64 v[3:4], v[5:6], off
	s_or_b32 exec_lo, exec_lo, s1
	s_and_saveexec_b32 s0, vcc_lo
	s_cbranch_execz .LBB202_8
.LBB202_24:                             ;   in Loop: Header=BB202_9 Depth=1
	s_waitcnt vmcnt(0)
	v_add_f64 v[3:4], v[1:2], 1.0
	s_mov_b32 s31, s7
	s_delay_alu instid0(VALU_DEP_1) | instskip(SKIP_2) | instid1(VALU_DEP_3)
	v_frexp_mant_f64_e32 v[5:6], v[3:4]
	v_frexp_exp_i32_f64_e32 v31, v[3:4]
	v_add_f64 v[7:8], v[3:4], -1.0
	v_cmp_gt_f64_e32 vcc_lo, s[6:7], v[5:6]
	s_delay_alu instid0(VALU_DEP_2) | instskip(SKIP_2) | instid1(VALU_DEP_3)
	v_add_f64 v[5:6], v[7:8], -v[3:4]
	v_add_f64 v[7:8], v[1:2], -v[7:8]
	v_subrev_co_ci_u32_e32 v47, vcc_lo, 0, v31, vcc_lo
	v_add_f64 v[5:6], v[5:6], 1.0
	v_cmp_eq_f64_e32 vcc_lo, 0x7ff00000, v[1:2]
	s_delay_alu instid0(VALU_DEP_3) | instskip(NEXT) | instid1(VALU_DEP_1)
	v_sub_nc_u32_e32 v33, 0, v47
	v_ldexp_f64 v[3:4], v[3:4], v33
	s_delay_alu instid0(VALU_DEP_4) | instskip(NEXT) | instid1(VALU_DEP_2)
	v_add_f64 v[5:6], v[7:8], v[5:6]
	v_add_f64 v[31:32], v[3:4], 1.0
	v_add_f64 v[37:38], v[3:4], -1.0
	s_delay_alu instid0(VALU_DEP_3) | instskip(NEXT) | instid1(VALU_DEP_3)
	v_ldexp_f64 v[5:6], v[5:6], v33
	v_add_f64 v[7:8], v[31:32], -1.0
	s_delay_alu instid0(VALU_DEP_3) | instskip(NEXT) | instid1(VALU_DEP_2)
	v_add_f64 v[39:40], v[37:38], 1.0
	v_add_f64 v[7:8], v[3:4], -v[7:8]
	s_delay_alu instid0(VALU_DEP_2) | instskip(NEXT) | instid1(VALU_DEP_2)
	v_add_f64 v[3:4], v[3:4], -v[39:40]
	v_add_f64 v[7:8], v[5:6], v[7:8]
	s_delay_alu instid0(VALU_DEP_2) | instskip(NEXT) | instid1(VALU_DEP_2)
	v_add_f64 v[3:4], v[5:6], v[3:4]
	v_add_f64 v[33:34], v[31:32], v[7:8]
	s_delay_alu instid0(VALU_DEP_2) | instskip(NEXT) | instid1(VALU_DEP_2)
	v_add_f64 v[39:40], v[37:38], v[3:4]
	v_rcp_f64_e32 v[35:36], v[33:34]
	v_add_f64 v[31:32], v[33:34], -v[31:32]
	s_delay_alu instid0(VALU_DEP_2) | instskip(NEXT) | instid1(VALU_DEP_2)
	v_add_f64 v[37:38], v[39:40], -v[37:38]
	v_add_f64 v[7:8], v[7:8], -v[31:32]
	s_waitcnt_depctr 0xfff
	v_fma_f64 v[41:42], -v[33:34], v[35:36], 1.0
	v_add_f64 v[3:4], v[3:4], -v[37:38]
	s_delay_alu instid0(VALU_DEP_2) | instskip(NEXT) | instid1(VALU_DEP_1)
	v_fma_f64 v[35:36], v[41:42], v[35:36], v[35:36]
	v_fma_f64 v[5:6], -v[33:34], v[35:36], 1.0
	s_delay_alu instid0(VALU_DEP_1) | instskip(NEXT) | instid1(VALU_DEP_1)
	v_fma_f64 v[5:6], v[5:6], v[35:36], v[35:36]
	v_mul_f64 v[35:36], v[39:40], v[5:6]
	s_delay_alu instid0(VALU_DEP_1) | instskip(NEXT) | instid1(VALU_DEP_1)
	v_mul_f64 v[41:42], v[33:34], v[35:36]
	v_fma_f64 v[31:32], v[35:36], v[33:34], -v[41:42]
	s_delay_alu instid0(VALU_DEP_1) | instskip(NEXT) | instid1(VALU_DEP_1)
	v_fma_f64 v[31:32], v[35:36], v[7:8], v[31:32]
	v_add_f64 v[43:44], v[41:42], v[31:32]
	s_delay_alu instid0(VALU_DEP_1) | instskip(SKIP_1) | instid1(VALU_DEP_2)
	v_add_f64 v[45:46], v[39:40], -v[43:44]
	v_add_f64 v[37:38], v[43:44], -v[41:42]
	;; [unrolled: 1-line block ×3, first 2 shown]
	s_delay_alu instid0(VALU_DEP_2) | instskip(NEXT) | instid1(VALU_DEP_2)
	v_add_f64 v[31:32], v[37:38], -v[31:32]
	v_add_f64 v[39:40], v[39:40], -v[43:44]
	s_delay_alu instid0(VALU_DEP_1) | instskip(NEXT) | instid1(VALU_DEP_1)
	v_add_f64 v[3:4], v[3:4], v[39:40]
	v_add_f64 v[3:4], v[31:32], v[3:4]
	s_delay_alu instid0(VALU_DEP_1) | instskip(NEXT) | instid1(VALU_DEP_1)
	v_add_f64 v[31:32], v[45:46], v[3:4]
	v_mul_f64 v[37:38], v[5:6], v[31:32]
	v_add_f64 v[43:44], v[45:46], -v[31:32]
	s_delay_alu instid0(VALU_DEP_2) | instskip(NEXT) | instid1(VALU_DEP_2)
	v_mul_f64 v[39:40], v[33:34], v[37:38]
	v_add_f64 v[3:4], v[3:4], v[43:44]
	s_delay_alu instid0(VALU_DEP_2) | instskip(NEXT) | instid1(VALU_DEP_1)
	v_fma_f64 v[33:34], v[37:38], v[33:34], -v[39:40]
	v_fma_f64 v[7:8], v[37:38], v[7:8], v[33:34]
	s_delay_alu instid0(VALU_DEP_1) | instskip(NEXT) | instid1(VALU_DEP_1)
	v_add_f64 v[33:34], v[39:40], v[7:8]
	v_add_f64 v[41:42], v[31:32], -v[33:34]
	v_add_f64 v[39:40], v[33:34], -v[39:40]
	s_delay_alu instid0(VALU_DEP_2) | instskip(NEXT) | instid1(VALU_DEP_2)
	v_add_f64 v[31:32], v[31:32], -v[41:42]
	v_add_f64 v[7:8], v[39:40], -v[7:8]
	s_delay_alu instid0(VALU_DEP_2) | instskip(NEXT) | instid1(VALU_DEP_1)
	v_add_f64 v[31:32], v[31:32], -v[33:34]
	v_add_f64 v[3:4], v[3:4], v[31:32]
	v_add_f64 v[31:32], v[35:36], v[37:38]
	s_delay_alu instid0(VALU_DEP_2) | instskip(NEXT) | instid1(VALU_DEP_2)
	v_add_f64 v[3:4], v[7:8], v[3:4]
	v_add_f64 v[7:8], v[31:32], -v[35:36]
	s_delay_alu instid0(VALU_DEP_2) | instskip(NEXT) | instid1(VALU_DEP_2)
	v_add_f64 v[3:4], v[41:42], v[3:4]
	v_add_f64 v[7:8], v[37:38], -v[7:8]
	s_delay_alu instid0(VALU_DEP_2) | instskip(NEXT) | instid1(VALU_DEP_1)
	v_mul_f64 v[3:4], v[5:6], v[3:4]
	v_add_f64 v[3:4], v[7:8], v[3:4]
	s_delay_alu instid0(VALU_DEP_1) | instskip(NEXT) | instid1(VALU_DEP_1)
	v_add_f64 v[5:6], v[31:32], v[3:4]
	v_mul_f64 v[7:8], v[5:6], v[5:6]
	s_delay_alu instid0(VALU_DEP_1) | instskip(SKIP_1) | instid1(VALU_DEP_2)
	v_fma_f64 v[33:34], v[7:8], s[20:21], s[18:19]
	v_mul_f64 v[35:36], v[5:6], v[7:8]
	v_fma_f64 v[33:34], v[7:8], v[33:34], s[22:23]
	s_delay_alu instid0(VALU_DEP_1) | instskip(NEXT) | instid1(VALU_DEP_1)
	v_fma_f64 v[33:34], v[7:8], v[33:34], s[24:25]
	v_fma_f64 v[33:34], v[7:8], v[33:34], s[26:27]
	s_delay_alu instid0(VALU_DEP_1) | instskip(NEXT) | instid1(VALU_DEP_1)
	v_fma_f64 v[33:34], v[7:8], v[33:34], s[28:29]
	v_fma_f64 v[7:8], v[7:8], v[33:34], s[30:31]
	v_ldexp_f64 v[33:34], v[5:6], 1
	v_add_f64 v[5:6], v[5:6], -v[31:32]
	s_delay_alu instid0(VALU_DEP_3) | instskip(SKIP_1) | instid1(VALU_DEP_3)
	v_mul_f64 v[7:8], v[35:36], v[7:8]
	v_cvt_f64_i32_e32 v[35:36], v47
	v_add_f64 v[3:4], v[3:4], -v[5:6]
	s_delay_alu instid0(VALU_DEP_3) | instskip(NEXT) | instid1(VALU_DEP_3)
	v_add_f64 v[31:32], v[33:34], v[7:8]
	v_mul_f64 v[37:38], v[35:36], s[8:9]
	s_delay_alu instid0(VALU_DEP_3) | instskip(NEXT) | instid1(VALU_DEP_3)
	v_ldexp_f64 v[3:4], v[3:4], 1
	v_add_f64 v[5:6], v[31:32], -v[33:34]
	s_delay_alu instid0(VALU_DEP_3) | instskip(NEXT) | instid1(VALU_DEP_2)
	v_fma_f64 v[33:34], v[35:36], s[8:9], -v[37:38]
	v_add_f64 v[5:6], v[7:8], -v[5:6]
	s_delay_alu instid0(VALU_DEP_2) | instskip(NEXT) | instid1(VALU_DEP_2)
	v_fma_f64 v[7:8], v[35:36], s[16:17], v[33:34]
	v_add_f64 v[3:4], v[3:4], v[5:6]
	s_delay_alu instid0(VALU_DEP_2) | instskip(NEXT) | instid1(VALU_DEP_2)
	v_add_f64 v[5:6], v[37:38], v[7:8]
	v_add_f64 v[33:34], v[31:32], v[3:4]
	s_delay_alu instid0(VALU_DEP_2) | instskip(NEXT) | instid1(VALU_DEP_2)
	v_add_f64 v[37:38], v[5:6], -v[37:38]
	v_add_f64 v[35:36], v[5:6], v[33:34]
	v_add_f64 v[31:32], v[33:34], -v[31:32]
	s_delay_alu instid0(VALU_DEP_3) | instskip(NEXT) | instid1(VALU_DEP_3)
	v_add_f64 v[7:8], v[7:8], -v[37:38]
	v_add_f64 v[39:40], v[35:36], -v[5:6]
	s_delay_alu instid0(VALU_DEP_3) | instskip(NEXT) | instid1(VALU_DEP_2)
	v_add_f64 v[3:4], v[3:4], -v[31:32]
	v_add_f64 v[41:42], v[35:36], -v[39:40]
	;; [unrolled: 1-line block ×3, first 2 shown]
	s_delay_alu instid0(VALU_DEP_3) | instskip(NEXT) | instid1(VALU_DEP_3)
	v_add_f64 v[33:34], v[7:8], v[3:4]
	v_add_f64 v[5:6], v[5:6], -v[41:42]
	s_delay_alu instid0(VALU_DEP_1) | instskip(NEXT) | instid1(VALU_DEP_3)
	v_add_f64 v[5:6], v[31:32], v[5:6]
	v_add_f64 v[31:32], v[33:34], -v[7:8]
	s_delay_alu instid0(VALU_DEP_2) | instskip(NEXT) | instid1(VALU_DEP_2)
	v_add_f64 v[5:6], v[33:34], v[5:6]
	v_add_f64 v[33:34], v[33:34], -v[31:32]
	v_add_f64 v[3:4], v[3:4], -v[31:32]
	s_delay_alu instid0(VALU_DEP_3) | instskip(NEXT) | instid1(VALU_DEP_3)
	v_add_f64 v[37:38], v[35:36], v[5:6]
	v_add_f64 v[7:8], v[7:8], -v[33:34]
	s_delay_alu instid0(VALU_DEP_2) | instskip(NEXT) | instid1(VALU_DEP_2)
	v_add_f64 v[31:32], v[37:38], -v[35:36]
	v_add_f64 v[3:4], v[3:4], v[7:8]
	s_delay_alu instid0(VALU_DEP_2) | instskip(NEXT) | instid1(VALU_DEP_1)
	v_add_f64 v[5:6], v[5:6], -v[31:32]
	v_add_f64 v[3:4], v[3:4], v[5:6]
	s_delay_alu instid0(VALU_DEP_1) | instskip(NEXT) | instid1(VALU_DEP_1)
	v_add_f64 v[3:4], v[37:38], v[3:4]
	v_dual_cndmask_b32 v3, v3, v1 :: v_dual_cndmask_b32 v4, v4, v2
	v_cmp_ngt_f64_e32 vcc_lo, -1.0, v[1:2]
	s_delay_alu instid0(VALU_DEP_2) | instskip(SKIP_1) | instid1(VALU_DEP_4)
	v_cndmask_b32_e32 v4, 0x7ff80000, v4, vcc_lo
	v_cmp_nge_f64_e32 vcc_lo, -1.0, v[1:2]
	v_cndmask_b32_e32 v3, 0, v3, vcc_lo
	v_cmp_neq_f64_e32 vcc_lo, -1.0, v[1:2]
	s_delay_alu instid0(VALU_DEP_4)
	v_cndmask_b32_e32 v4, 0xfff00000, v4, vcc_lo
	v_add_co_u32 v1, vcc_lo, v15, s10
	v_add_co_ci_u32_e32 v2, vcc_lo, s11, v16, vcc_lo
	global_store_b64 v[1:2], v[3:4], off
	s_branch .LBB202_8
.LBB202_25:
	s_nop 0
	s_sendmsg sendmsg(MSG_DEALLOC_VGPRS)
	s_endpgm
	.section	.rodata,"a",@progbits
	.p2align	6, 0x0
	.amdhsa_kernel _ZN2at6native12_GLOBAL__N_125multi_tensor_apply_kernelINS1_18TensorListMetadataILi2EEENS1_14UnaryOpFunctorIdLi2ELi1ELi1EEEJNS0_5Log1pIdEEEEEvT_T0_DpT1_
		.amdhsa_group_segment_fixed_size 0
		.amdhsa_private_segment_fixed_size 0
		.amdhsa_kernarg_size 3408
		.amdhsa_user_sgpr_count 15
		.amdhsa_user_sgpr_dispatch_ptr 0
		.amdhsa_user_sgpr_queue_ptr 0
		.amdhsa_user_sgpr_kernarg_segment_ptr 1
		.amdhsa_user_sgpr_dispatch_id 0
		.amdhsa_user_sgpr_private_segment_size 0
		.amdhsa_wavefront_size32 1
		.amdhsa_uses_dynamic_stack 0
		.amdhsa_enable_private_segment 0
		.amdhsa_system_sgpr_workgroup_id_x 1
		.amdhsa_system_sgpr_workgroup_id_y 0
		.amdhsa_system_sgpr_workgroup_id_z 0
		.amdhsa_system_sgpr_workgroup_info 0
		.amdhsa_system_vgpr_workitem_id 0
		.amdhsa_next_free_vgpr 92
		.amdhsa_next_free_sgpr 47
		.amdhsa_reserve_vcc 1
		.amdhsa_float_round_mode_32 0
		.amdhsa_float_round_mode_16_64 0
		.amdhsa_float_denorm_mode_32 3
		.amdhsa_float_denorm_mode_16_64 3
		.amdhsa_dx10_clamp 1
		.amdhsa_ieee_mode 1
		.amdhsa_fp16_overflow 0
		.amdhsa_workgroup_processor_mode 1
		.amdhsa_memory_ordered 1
		.amdhsa_forward_progress 0
		.amdhsa_shared_vgpr_count 0
		.amdhsa_exception_fp_ieee_invalid_op 0
		.amdhsa_exception_fp_denorm_src 0
		.amdhsa_exception_fp_ieee_div_zero 0
		.amdhsa_exception_fp_ieee_overflow 0
		.amdhsa_exception_fp_ieee_underflow 0
		.amdhsa_exception_fp_ieee_inexact 0
		.amdhsa_exception_int_div_zero 0
	.end_amdhsa_kernel
	.section	.text._ZN2at6native12_GLOBAL__N_125multi_tensor_apply_kernelINS1_18TensorListMetadataILi2EEENS1_14UnaryOpFunctorIdLi2ELi1ELi1EEEJNS0_5Log1pIdEEEEEvT_T0_DpT1_,"axG",@progbits,_ZN2at6native12_GLOBAL__N_125multi_tensor_apply_kernelINS1_18TensorListMetadataILi2EEENS1_14UnaryOpFunctorIdLi2ELi1ELi1EEEJNS0_5Log1pIdEEEEEvT_T0_DpT1_,comdat
.Lfunc_end202:
	.size	_ZN2at6native12_GLOBAL__N_125multi_tensor_apply_kernelINS1_18TensorListMetadataILi2EEENS1_14UnaryOpFunctorIdLi2ELi1ELi1EEEJNS0_5Log1pIdEEEEEvT_T0_DpT1_, .Lfunc_end202-_ZN2at6native12_GLOBAL__N_125multi_tensor_apply_kernelINS1_18TensorListMetadataILi2EEENS1_14UnaryOpFunctorIdLi2ELi1ELi1EEEJNS0_5Log1pIdEEEEEvT_T0_DpT1_
                                        ; -- End function
	.section	.AMDGPU.csdata,"",@progbits
; Kernel info:
; codeLenInByte = 10184
; NumSgprs: 49
; NumVgprs: 92
; ScratchSize: 0
; MemoryBound: 0
; FloatMode: 240
; IeeeMode: 1
; LDSByteSize: 0 bytes/workgroup (compile time only)
; SGPRBlocks: 6
; VGPRBlocks: 11
; NumSGPRsForWavesPerEU: 49
; NumVGPRsForWavesPerEU: 92
; Occupancy: 16
; WaveLimiterHint : 0
; COMPUTE_PGM_RSRC2:SCRATCH_EN: 0
; COMPUTE_PGM_RSRC2:USER_SGPR: 15
; COMPUTE_PGM_RSRC2:TRAP_HANDLER: 0
; COMPUTE_PGM_RSRC2:TGID_X_EN: 1
; COMPUTE_PGM_RSRC2:TGID_Y_EN: 0
; COMPUTE_PGM_RSRC2:TGID_Z_EN: 0
; COMPUTE_PGM_RSRC2:TIDIG_COMP_CNT: 0
	.section	.text._ZN2at6native12_GLOBAL__N_125multi_tensor_apply_kernelINS1_18TensorListMetadataILi2EEENS1_14UnaryOpFunctorIfLi2ELi1ELi1EEEJNS0_5Log1pIfEEEEEvT_T0_DpT1_,"axG",@progbits,_ZN2at6native12_GLOBAL__N_125multi_tensor_apply_kernelINS1_18TensorListMetadataILi2EEENS1_14UnaryOpFunctorIfLi2ELi1ELi1EEEJNS0_5Log1pIfEEEEEvT_T0_DpT1_,comdat
	.globl	_ZN2at6native12_GLOBAL__N_125multi_tensor_apply_kernelINS1_18TensorListMetadataILi2EEENS1_14UnaryOpFunctorIfLi2ELi1ELi1EEEJNS0_5Log1pIfEEEEEvT_T0_DpT1_ ; -- Begin function _ZN2at6native12_GLOBAL__N_125multi_tensor_apply_kernelINS1_18TensorListMetadataILi2EEENS1_14UnaryOpFunctorIfLi2ELi1ELi1EEEJNS0_5Log1pIfEEEEEvT_T0_DpT1_
	.p2align	8
	.type	_ZN2at6native12_GLOBAL__N_125multi_tensor_apply_kernelINS1_18TensorListMetadataILi2EEENS1_14UnaryOpFunctorIfLi2ELi1ELi1EEEJNS0_5Log1pIfEEEEEvT_T0_DpT1_,@function
_ZN2at6native12_GLOBAL__N_125multi_tensor_apply_kernelINS1_18TensorListMetadataILi2EEENS1_14UnaryOpFunctorIfLi2ELi1ELi1EEEJNS0_5Log1pIfEEEEEvT_T0_DpT1_: ; @_ZN2at6native12_GLOBAL__N_125multi_tensor_apply_kernelINS1_18TensorListMetadataILi2EEENS1_14UnaryOpFunctorIfLi2ELi1ELi1EEEJNS0_5Log1pIfEEEEEvT_T0_DpT1_
; %bb.0:
	v_mov_b32_e32 v1, s15
	s_add_u32 s2, s0, s15
	s_mul_hi_u32 s3, s15, 3
	s_mul_i32 s15, s15, 3
	s_addc_u32 s4, s1, 0
	global_load_u8 v1, v1, s[0:1] offset:1536
	s_add_u32 s2, s2, s15
	s_addc_u32 s3, s4, s3
	s_mov_b32 s19, 0
	s_load_b32 s2, s[2:3], 0x740
	s_mov_b32 s21, s19
	s_mov_b32 s23, s19
	s_waitcnt vmcnt(0)
	v_readfirstlane_b32 s5, v1
	s_delay_alu instid0(VALU_DEP_1)
	s_lshl_b32 s3, s5, 3
	s_clause 0x2
	s_load_b64 s[10:11], s[0:1], s3 offset:0x0
	s_load_b64 s[12:13], s[0:1], s3 offset:0x200
	;; [unrolled: 1-line block ×3, first 2 shown]
	s_waitcnt lgkmcnt(0)
	s_ashr_i32 s3, s2, 31
	s_delay_alu instid0(SALU_CYCLE_1) | instskip(NEXT) | instid1(SALU_CYCLE_1)
	s_lshl_b64 s[6:7], s[2:3], 18
	s_add_u32 s5, s10, s6
	s_addc_u32 s14, s11, s7
	s_and_b32 s18, s5, 15
	s_add_u32 s15, s12, s6
	s_addc_u32 s16, s13, s7
	s_and_b32 s20, s8, 3
	s_and_b32 s22, s15, 15
	s_or_b64 s[18:19], s[18:19], s[20:21]
	s_lshl_b64 s[2:3], s[2:3], 16
	s_or_b64 s[18:19], s[22:23], s[18:19]
	s_sub_u32 s8, s8, s2
	s_subb_u32 s9, s9, s3
	s_cmp_eq_u64 s[18:19], 0
	s_mov_b32 s2, -1
	s_cbranch_scc0 .LBB203_5
; %bb.1:
	v_dual_mov_b32 v6, 0 :: v_dual_lshlrev_b32 v5, 2, v0
	s_mov_b32 s17, exec_lo
	s_delay_alu instid0(VALU_DEP_1)
	v_cmpx_gt_i64_e64 s[8:9], v[5:6]
	s_cbranch_execz .LBB203_4
; %bb.2:
	s_load_b32 s2, s[0:1], 0xc5c
	v_lshlrev_b32_e32 v7, 4, v0
	s_mov_b32 s18, 0
	s_mov_b32 s21, 0x3e9b6dac
	s_waitcnt lgkmcnt(0)
	s_and_b32 s2, s2, 0xffff
	s_delay_alu instid0(SALU_CYCLE_1)
	v_add_lshl_u32 v5, v0, s2, 2
	s_lshl_b32 s19, s2, 2
	s_lshl_b32 s20, s2, 4
.LBB203_3:                              ; =>This Inner Loop Header: Depth=1
	v_add_co_u32 v1, s2, s5, v7
	s_delay_alu instid0(VALU_DEP_1)
	v_add_co_ci_u32_e64 v2, null, s14, 0, s2
	v_cmp_le_i64_e32 vcc_lo, s[8:9], v[5:6]
	v_cmp_lt_u64_e64 s2, 0xffff, v[5:6]
	v_add_co_u32 v8, s3, s15, v7
	global_load_b128 v[1:4], v[1:2], off
	v_add_co_ci_u32_e64 v9, null, s16, 0, s3
	s_or_b32 s22, vcc_lo, s2
	v_add_co_u32 v5, s3, v5, s19
	s_delay_alu instid0(VALU_DEP_1)
	v_add_co_ci_u32_e64 v6, s3, 0, v6, s3
	s_add_u32 s5, s5, s20
	s_addc_u32 s14, s14, 0
	s_add_u32 s15, s15, s20
	s_addc_u32 s16, s16, 0
	s_waitcnt vmcnt(0)
	v_dual_add_f32 v18, 1.0, v1 :: v_dual_add_f32 v19, 1.0, v2
	v_dual_add_f32 v20, 1.0, v3 :: v_dual_add_f32 v21, 1.0, v4
	s_delay_alu instid0(VALU_DEP_2) | instskip(NEXT) | instid1(VALU_DEP_3)
	v_cvt_f64_f32_e32 v[10:11], v18
	v_cvt_f64_f32_e32 v[12:13], v19
	s_delay_alu instid0(VALU_DEP_3) | instskip(NEXT) | instid1(VALU_DEP_4)
	v_cvt_f64_f32_e32 v[14:15], v20
	v_cvt_f64_f32_e32 v[16:17], v21
	v_frexp_mant_f32_e32 v25, v19
	v_frexp_mant_f32_e32 v23, v18
	;; [unrolled: 1-line block ×4, first 2 shown]
	s_delay_alu instid0(VALU_DEP_4) | instskip(NEXT) | instid1(VALU_DEP_4)
	v_cmp_gt_f32_e32 vcc_lo, 0x3f2aaaab, v25
	v_cmp_gt_f32_e64 s4, 0x3f2aaaab, v23
	s_delay_alu instid0(VALU_DEP_4) | instskip(NEXT) | instid1(VALU_DEP_4)
	v_cmp_gt_f32_e64 s2, 0x3f2aaaab, v27
	v_cmp_gt_f32_e64 s3, 0x3f2aaaab, v29
	v_frexp_exp_i32_f64_e32 v10, v[10:11]
	v_frexp_exp_i32_f64_e32 v11, v[12:13]
	;; [unrolled: 1-line block ×4, first 2 shown]
	s_delay_alu instid0(VALU_DEP_4) | instskip(NEXT) | instid1(VALU_DEP_4)
	v_subrev_co_ci_u32_e64 v10, s4, 0, v10, s4
	v_subrev_co_ci_u32_e32 v11, vcc_lo, 0, v11, vcc_lo
	s_delay_alu instid0(VALU_DEP_4) | instskip(NEXT) | instid1(VALU_DEP_4)
	v_subrev_co_ci_u32_e64 v12, vcc_lo, 0, v12, s2
	v_subrev_co_ci_u32_e64 v13, vcc_lo, 0, v13, s3
	s_delay_alu instid0(VALU_DEP_3)
	v_sub_nc_u32_e32 v15, 0, v11
	v_cvt_f32_i32_e32 v11, v11
	v_add_f32_e32 v28, -1.0, v21
	v_sub_nc_u32_e32 v14, 0, v10
	v_sub_nc_u32_e32 v16, 0, v12
	;; [unrolled: 1-line block ×3, first 2 shown]
	v_mul_f32_e32 v23, 0x3f317218, v11
	v_dual_add_f32 v24, -1.0, v19 :: v_dual_sub_f32 v33, v28, v21
	v_add_f32_e32 v22, -1.0, v18
	v_cvt_f32_i32_e32 v13, v13
	v_ldexp_f32 v21, v21, v17
	s_delay_alu instid0(VALU_DEP_4) | instskip(NEXT) | instid1(VALU_DEP_4)
	v_dual_sub_f32 v31, v24, v19 :: v_dual_add_f32 v26, -1.0, v20
	v_dual_sub_f32 v30, v22, v18 :: v_dual_add_f32 v33, 1.0, v33
	s_delay_alu instid0(VALU_DEP_4) | instskip(NEXT) | instid1(VALU_DEP_4)
	v_dual_sub_f32 v22, v1, v22 :: v_dual_mul_f32 v25, 0x3f317218, v13
	v_dual_sub_f32 v28, v4, v28 :: v_dual_add_f32 v35, -1.0, v21
	s_delay_alu instid0(VALU_DEP_4)
	v_add_f32_e32 v31, 1.0, v31
	v_ldexp_f32 v18, v18, v14
	v_sub_f32_e32 v24, v2, v24
	v_ldexp_f32 v19, v19, v15
	v_sub_f32_e32 v32, v26, v20
	;; [unrolled: 2-line block ×3, first 2 shown]
	v_dual_add_f32 v28, v28, v33 :: v_dual_add_f32 v27, 1.0, v18
	v_add_f32_e32 v29, -1.0, v19
	s_delay_alu instid0(VALU_DEP_4) | instskip(SKIP_4) | instid1(VALU_DEP_3)
	v_dual_add_f32 v33, 1.0, v20 :: v_dual_add_f32 v24, v24, v31
	v_fma_f32 v31, 0x3f317218, v11, -v23
	v_add_f32_e32 v32, 1.0, v32
	v_fma_f32 v37, 0x3f317218, v13, -v25
	v_dual_add_f32 v30, 1.0, v30 :: v_dual_add_f32 v39, -1.0, v27
	v_dual_fmac_f32 v31, 0xb102e308, v11 :: v_dual_add_f32 v26, v26, v32
	s_delay_alu instid0(VALU_DEP_3) | instskip(NEXT) | instid1(VALU_DEP_3)
	v_dual_fmac_f32 v37, 0xb102e308, v13 :: v_dual_add_f32 v32, -1.0, v20
	v_add_f32_e32 v22, v22, v30
	v_cvt_f32_i32_e32 v12, v12
	s_delay_alu instid0(VALU_DEP_4) | instskip(SKIP_4) | instid1(VALU_DEP_3)
	v_ldexp_f32 v16, v26, v16
	v_add_f32_e32 v41, -1.0, v33
	v_dual_add_f32 v11, 1.0, v32 :: v_dual_add_f32 v26, -1.0, v18
	v_ldexp_f32 v14, v22, v14
	v_ldexp_f32 v15, v24, v15
	v_dual_mul_f32 v24, 0x3f317218, v12 :: v_dual_sub_f32 v11, v20, v11
	s_delay_alu instid0(VALU_DEP_4)
	v_add_f32_e32 v38, 1.0, v26
	v_add_f32_e32 v36, 1.0, v21
	v_sub_f32_e32 v20, v20, v41
	v_add_f32_e32 v41, v25, v37
	v_cvt_f32_i32_e32 v10, v10
	v_sub_f32_e32 v13, v18, v38
	v_sub_f32_e32 v18, v18, v39
	v_add_f32_e32 v39, v23, v31
	v_fma_f32 v34, 0x3f317218, v12, -v24
	s_delay_alu instid0(VALU_DEP_4) | instskip(NEXT) | instid1(VALU_DEP_4)
	v_dual_add_f32 v42, -1.0, v36 :: v_dual_add_f32 v13, v14, v13
	v_add_f32_e32 v14, v14, v18
	v_ldexp_f32 v17, v28, v17
	s_delay_alu instid0(VALU_DEP_4)
	v_fmac_f32_e32 v34, 0xb102e308, v12
	v_add_f32_e32 v12, 1.0, v35
	v_add_f32_e32 v30, 1.0, v19
	v_add_f32_e32 v11, v16, v11
	v_cmp_eq_f32_e32 vcc_lo, 0x7f800000, v2
	v_cmp_eq_f32_e64 s2, 0x7f800000, v3
	v_sub_f32_e32 v12, v21, v12
	v_sub_f32_e32 v21, v21, v42
	v_add_f32_e32 v40, -1.0, v30
	v_cmp_eq_f32_e64 s3, 0x7f800000, v4
	v_cmp_eq_f32_e64 s4, 0x7f800000, v1
	v_add_f32_e32 v12, v17, v12
	v_dual_add_f32 v17, v17, v21 :: v_dual_mul_f32 v22, 0x3f317218, v10
	v_sub_f32_e32 v21, v41, v25
	s_delay_alu instid0(VALU_DEP_2) | instskip(NEXT) | instid1(VALU_DEP_1)
	v_fma_f32 v28, 0x3f317218, v10, -v22
	v_dual_sub_f32 v21, v37, v21 :: v_dual_fmac_f32 v28, 0xb102e308, v10
	v_add_f32_e32 v10, 1.0, v29
	s_delay_alu instid0(VALU_DEP_1) | instskip(SKIP_1) | instid1(VALU_DEP_2)
	v_sub_f32_e32 v10, v19, v10
	v_sub_f32_e32 v19, v19, v40
	v_add_f32_e32 v10, v15, v10
	s_delay_alu instid0(VALU_DEP_2) | instskip(SKIP_1) | instid1(VALU_DEP_2)
	v_add_f32_e32 v15, v15, v19
	v_dual_sub_f32 v19, v39, v23 :: v_dual_add_f32 v38, v22, v28
	v_dual_add_f32 v42, v36, v17 :: v_dual_add_f32 v25, v30, v15
	s_delay_alu instid0(VALU_DEP_1) | instskip(NEXT) | instid1(VALU_DEP_3)
	v_dual_sub_f32 v19, v31, v19 :: v_dual_sub_f32 v36, v42, v36
	v_sub_f32_e32 v18, v38, v22
	s_delay_alu instid0(VALU_DEP_3) | instskip(SKIP_1) | instid1(VALU_DEP_2)
	v_sub_f32_e32 v30, v25, v30
	v_rcp_f32_e32 v43, v25
	v_dual_sub_f32 v17, v17, v36 :: v_dual_sub_f32 v18, v28, v18
	v_add_f32_e32 v28, v32, v11
	s_delay_alu instid0(VALU_DEP_3) | instskip(NEXT) | instid1(VALU_DEP_2)
	v_dual_add_f32 v22, v26, v13 :: v_dual_sub_f32 v15, v15, v30
	v_sub_f32_e32 v32, v28, v32
	s_delay_alu instid0(VALU_DEP_1) | instskip(SKIP_1) | instid1(VALU_DEP_2)
	v_dual_sub_f32 v26, v22, v26 :: v_dual_sub_f32 v11, v11, v32
	v_add_f32_e32 v23, v27, v14
	v_sub_f32_e32 v13, v13, v26
	s_delay_alu instid0(VALU_DEP_2) | instskip(SKIP_1) | instid1(VALU_DEP_1)
	v_dual_sub_f32 v27, v23, v27 :: v_dual_add_f32 v16, v16, v20
	v_rcp_f32_e32 v37, v23
	v_dual_sub_f32 v14, v14, v27 :: v_dual_add_f32 v31, v33, v16
	s_delay_alu instid0(VALU_DEP_1) | instskip(NEXT) | instid1(VALU_DEP_1)
	v_dual_add_f32 v40, v24, v34 :: v_dual_sub_f32 v33, v31, v33
	v_sub_f32_e32 v20, v40, v24
	v_rcp_f32_e32 v44, v31
	s_delay_alu instid0(VALU_DEP_2) | instskip(NEXT) | instid1(VALU_DEP_2)
	v_sub_f32_e32 v16, v16, v33
	v_sub_f32_e32 v20, v34, v20
	v_add_f32_e32 v34, v35, v12
	s_delay_alu instid0(VALU_DEP_1) | instskip(NEXT) | instid1(VALU_DEP_1)
	v_dual_sub_f32 v35, v34, v35 :: v_dual_add_f32 v24, v29, v10
	v_mul_f32_e32 v27, v24, v43
	v_sub_f32_e32 v29, v24, v29
	s_delay_alu instid0(VALU_DEP_3) | instskip(NEXT) | instid1(VALU_DEP_2)
	v_sub_f32_e32 v12, v12, v35
	v_dual_mul_f32 v33, v25, v27 :: v_dual_sub_f32 v10, v10, v29
	s_delay_alu instid0(VALU_DEP_1) | instskip(NEXT) | instid1(VALU_DEP_1)
	v_fma_f32 v47, v27, v25, -v33
	v_fmac_f32_e32 v47, v27, v15
	s_delay_alu instid0(VALU_DEP_1) | instskip(NEXT) | instid1(VALU_DEP_1)
	v_add_f32_e32 v51, v33, v47
	v_sub_f32_e32 v33, v51, v33
	s_delay_alu instid0(VALU_DEP_1) | instskip(SKIP_3) | instid1(VALU_DEP_1)
	v_sub_f32_e32 v33, v33, v47
	v_rcp_f32_e32 v45, v42
	s_waitcnt_depctr 0xfff
	v_mul_f32_e32 v30, v34, v45
	v_mul_f32_e32 v36, v42, v30
	s_delay_alu instid0(VALU_DEP_1) | instskip(NEXT) | instid1(VALU_DEP_1)
	v_fma_f32 v49, v30, v42, -v36
	v_fmac_f32_e32 v49, v30, v17
	v_mul_f32_e32 v29, v28, v44
	s_delay_alu instid0(VALU_DEP_1) | instskip(SKIP_1) | instid1(VALU_DEP_2)
	v_mul_f32_e32 v35, v31, v29
	v_sub_f32_e32 v55, v24, v51
	v_fma_f32 v48, v29, v31, -v35
	s_delay_alu instid0(VALU_DEP_2) | instskip(NEXT) | instid1(VALU_DEP_2)
	v_sub_f32_e32 v24, v24, v55
	v_fmac_f32_e32 v48, v29, v16
	s_delay_alu instid0(VALU_DEP_2) | instskip(NEXT) | instid1(VALU_DEP_2)
	v_sub_f32_e32 v24, v24, v51
	v_add_f32_e32 v52, v35, v48
	s_delay_alu instid0(VALU_DEP_1) | instskip(SKIP_1) | instid1(VALU_DEP_4)
	v_sub_f32_e32 v35, v52, v35
	v_sub_f32_e32 v56, v28, v52
	v_add_f32_e32 v10, v10, v24
	s_delay_alu instid0(VALU_DEP_3) | instskip(NEXT) | instid1(VALU_DEP_3)
	v_sub_f32_e32 v35, v35, v48
	v_sub_f32_e32 v28, v28, v56
	s_delay_alu instid0(VALU_DEP_1) | instskip(NEXT) | instid1(VALU_DEP_1)
	v_sub_f32_e32 v28, v28, v52
	v_dual_add_f32 v11, v11, v28 :: v_dual_mul_f32 v26, v22, v37
	s_delay_alu instid0(VALU_DEP_1) | instskip(NEXT) | instid1(VALU_DEP_1)
	v_add_f32_e32 v11, v35, v11
	v_add_f32_e32 v28, v56, v11
	s_delay_alu instid0(VALU_DEP_3) | instskip(NEXT) | instid1(VALU_DEP_2)
	v_mul_f32_e32 v32, v23, v26
	v_dual_add_f32 v10, v33, v10 :: v_dual_sub_f32 v47, v56, v28
	s_delay_alu instid0(VALU_DEP_2) | instskip(NEXT) | instid1(VALU_DEP_2)
	v_fma_f32 v46, v26, v23, -v32
	v_add_f32_e32 v24, v55, v10
	s_delay_alu instid0(VALU_DEP_2) | instskip(NEXT) | instid1(VALU_DEP_1)
	v_dual_add_f32 v11, v11, v47 :: v_dual_fmac_f32 v46, v26, v14
	v_dual_mul_f32 v35, v43, v24 :: v_dual_add_f32 v50, v32, v46
	s_delay_alu instid0(VALU_DEP_1) | instskip(SKIP_1) | instid1(VALU_DEP_2)
	v_dual_mul_f32 v51, v25, v35 :: v_dual_sub_f32 v32, v50, v32
	v_sub_f32_e32 v54, v22, v50
	v_fma_f32 v25, v35, v25, -v51
	s_delay_alu instid0(VALU_DEP_3) | instskip(NEXT) | instid1(VALU_DEP_2)
	v_sub_f32_e32 v32, v32, v46
	v_dual_sub_f32 v22, v22, v54 :: v_dual_fmac_f32 v25, v35, v15
	v_mul_f32_e32 v46, v44, v28
	s_delay_alu instid0(VALU_DEP_2) | instskip(NEXT) | instid1(VALU_DEP_2)
	v_sub_f32_e32 v22, v22, v50
	v_mul_f32_e32 v52, v31, v46
	v_add_f32_e32 v47, v29, v46
	s_delay_alu instid0(VALU_DEP_3) | instskip(NEXT) | instid1(VALU_DEP_3)
	v_add_f32_e32 v13, v13, v22
	v_fma_f32 v31, v46, v31, -v52
	s_delay_alu instid0(VALU_DEP_3) | instskip(NEXT) | instid1(VALU_DEP_3)
	v_sub_f32_e32 v29, v47, v29
	v_add_f32_e32 v13, v32, v13
	v_add_f32_e32 v53, v36, v49
	s_delay_alu instid0(VALU_DEP_4) | instskip(NEXT) | instid1(VALU_DEP_2)
	v_fmac_f32_e32 v31, v46, v16
	v_dual_sub_f32 v57, v34, v53 :: v_dual_sub_f32 v36, v53, v36
	s_delay_alu instid0(VALU_DEP_1) | instskip(NEXT) | instid1(VALU_DEP_2)
	v_sub_f32_e32 v34, v34, v57
	v_sub_f32_e32 v36, v36, v49
	s_delay_alu instid0(VALU_DEP_2) | instskip(NEXT) | instid1(VALU_DEP_1)
	v_sub_f32_e32 v34, v34, v53
	v_add_f32_e32 v12, v12, v34
	s_delay_alu instid0(VALU_DEP_1) | instskip(SKIP_1) | instid1(VALU_DEP_1)
	v_add_f32_e32 v12, v36, v12
	v_sub_f32_e32 v36, v55, v24
	v_add_f32_e32 v10, v10, v36
	v_add_f32_e32 v36, v27, v35
	v_dual_sub_f32 v16, v46, v29 :: v_dual_add_f32 v29, v52, v31
	s_delay_alu instid0(VALU_DEP_2) | instskip(NEXT) | instid1(VALU_DEP_1)
	v_sub_f32_e32 v27, v36, v27
	v_sub_f32_e32 v15, v35, v27
	v_add_f32_e32 v27, v51, v25
	s_delay_alu instid0(VALU_DEP_1) | instskip(NEXT) | instid1(VALU_DEP_1)
	v_sub_f32_e32 v46, v27, v51
	v_dual_sub_f32 v25, v46, v25 :: v_dual_add_f32 v32, v57, v12
	s_delay_alu instid0(VALU_DEP_1) | instskip(NEXT) | instid1(VALU_DEP_1)
	v_dual_add_f32 v22, v54, v13 :: v_dual_sub_f32 v49, v57, v32
	v_mul_f32_e32 v33, v37, v22
	v_sub_f32_e32 v34, v54, v22
	s_delay_alu instid0(VALU_DEP_1) | instskip(SKIP_2) | instid1(VALU_DEP_3)
	v_dual_mul_f32 v50, v23, v33 :: v_dual_add_f32 v13, v13, v34
	v_add_f32_e32 v34, v26, v33
	v_add_f32_e32 v12, v12, v49
	v_fma_f32 v23, v33, v23, -v50
	s_delay_alu instid0(VALU_DEP_3) | instskip(NEXT) | instid1(VALU_DEP_2)
	v_sub_f32_e32 v26, v34, v26
	v_fmac_f32_e32 v23, v33, v14
	s_delay_alu instid0(VALU_DEP_2) | instskip(NEXT) | instid1(VALU_DEP_2)
	v_sub_f32_e32 v14, v33, v26
	v_add_f32_e32 v26, v50, v23
	s_delay_alu instid0(VALU_DEP_1) | instskip(NEXT) | instid1(VALU_DEP_1)
	v_dual_sub_f32 v33, v26, v50 :: v_dual_sub_f32 v50, v29, v52
	v_sub_f32_e32 v23, v33, v23
	s_delay_alu instid0(VALU_DEP_2) | instskip(NEXT) | instid1(VALU_DEP_1)
	v_dual_sub_f32 v31, v50, v31 :: v_dual_mul_f32 v48, v45, v32
	v_mul_f32_e32 v53, v42, v48
	v_add_f32_e32 v49, v30, v48
	s_delay_alu instid0(VALU_DEP_2) | instskip(NEXT) | instid1(VALU_DEP_2)
	v_fma_f32 v42, v48, v42, -v53
	v_sub_f32_e32 v30, v49, v30
	s_delay_alu instid0(VALU_DEP_2) | instskip(NEXT) | instid1(VALU_DEP_2)
	v_fmac_f32_e32 v42, v48, v17
	v_sub_f32_e32 v17, v48, v30
	v_sub_f32_e32 v48, v24, v27
	s_delay_alu instid0(VALU_DEP_3) | instskip(NEXT) | instid1(VALU_DEP_2)
	v_add_f32_e32 v30, v53, v42
	v_sub_f32_e32 v24, v24, v48
	s_delay_alu instid0(VALU_DEP_2) | instskip(NEXT) | instid1(VALU_DEP_2)
	v_sub_f32_e32 v52, v30, v53
	v_sub_f32_e32 v24, v24, v27
	s_delay_alu instid0(VALU_DEP_2) | instskip(SKIP_1) | instid1(VALU_DEP_1)
	v_sub_f32_e32 v33, v52, v42
	v_sub_f32_e32 v53, v32, v30
	v_dual_sub_f32 v35, v22, v26 :: v_dual_sub_f32 v32, v32, v53
	s_delay_alu instid0(VALU_DEP_1) | instskip(NEXT) | instid1(VALU_DEP_1)
	v_sub_f32_e32 v22, v22, v35
	v_sub_f32_e32 v22, v22, v26
	s_delay_alu instid0(VALU_DEP_1) | instskip(SKIP_1) | instid1(VALU_DEP_1)
	v_add_f32_e32 v13, v13, v22
	v_sub_f32_e32 v51, v28, v29
	v_dual_add_f32 v13, v23, v13 :: v_dual_sub_f32 v28, v28, v51
	s_delay_alu instid0(VALU_DEP_1) | instskip(NEXT) | instid1(VALU_DEP_2)
	v_add_f32_e32 v13, v35, v13
	v_sub_f32_e32 v26, v28, v29
	s_delay_alu instid0(VALU_DEP_2) | instskip(NEXT) | instid1(VALU_DEP_2)
	v_dual_add_f32 v10, v10, v24 :: v_dual_mul_f32 v13, v37, v13
	v_add_f32_e32 v11, v11, v26
	s_delay_alu instid0(VALU_DEP_1) | instskip(NEXT) | instid1(VALU_DEP_1)
	v_dual_add_f32 v10, v25, v10 :: v_dual_add_f32 v11, v31, v11
	v_dual_add_f32 v10, v48, v10 :: v_dual_add_f32 v11, v51, v11
	s_delay_alu instid0(VALU_DEP_1) | instskip(NEXT) | instid1(VALU_DEP_1)
	v_dual_mul_f32 v10, v43, v10 :: v_dual_mul_f32 v11, v44, v11
	v_add_f32_e32 v10, v15, v10
	s_delay_alu instid0(VALU_DEP_1) | instskip(NEXT) | instid1(VALU_DEP_3)
	v_add_f32_e32 v15, v36, v10
	v_add_f32_e32 v11, v16, v11
	s_delay_alu instid0(VALU_DEP_2) | instskip(NEXT) | instid1(VALU_DEP_2)
	v_mul_f32_e32 v25, v15, v15
	v_add_f32_e32 v16, v47, v11
	s_delay_alu instid0(VALU_DEP_1) | instskip(SKIP_1) | instid1(VALU_DEP_2)
	v_dual_sub_f32 v26, v15, v36 :: v_dual_sub_f32 v29, v16, v47
	v_add_f32_e32 v13, v14, v13
	v_dual_sub_f32 v10, v10, v26 :: v_dual_sub_f32 v11, v11, v29
	s_delay_alu instid0(VALU_DEP_2) | instskip(NEXT) | instid1(VALU_DEP_2)
	v_add_f32_e32 v14, v34, v13
	v_ldexp_f32 v10, v10, 1
	s_delay_alu instid0(VALU_DEP_3) | instskip(NEXT) | instid1(VALU_DEP_3)
	v_ldexp_f32 v11, v11, 1
	v_sub_f32_e32 v23, v14, v34
	v_mul_f32_e32 v22, v14, v14
	v_ldexp_f32 v24, v14, 1
	s_delay_alu instid0(VALU_DEP_3) | instskip(SKIP_3) | instid1(VALU_DEP_4)
	v_sub_f32_e32 v13, v13, v23
	v_fmaak_f32 v23, s21, v25, 0x3ecc95a3
	v_sub_f32_e32 v27, v32, v30
	v_fmaak_f32 v34, s21, v22, 0x3ecc95a3
	v_ldexp_f32 v13, v13, 1
	s_delay_alu instid0(VALU_DEP_4) | instskip(NEXT) | instid1(VALU_DEP_4)
	v_fmaak_f32 v23, v25, v23, 0x3f2aaada
	v_add_f32_e32 v12, v12, v27
	v_ldexp_f32 v27, v15, 1
	v_mul_f32_e32 v15, v15, v25
	s_delay_alu instid0(VALU_DEP_1) | instskip(NEXT) | instid1(VALU_DEP_1)
	v_mul_f32_e32 v15, v15, v23
	v_add_f32_e32 v23, v27, v15
	s_delay_alu instid0(VALU_DEP_1) | instskip(NEXT) | instid1(VALU_DEP_1)
	v_dual_sub_f32 v27, v23, v27 :: v_dual_add_f32 v12, v33, v12
	v_sub_f32_e32 v15, v15, v27
	s_delay_alu instid0(VALU_DEP_1) | instskip(NEXT) | instid1(VALU_DEP_1)
	v_add_f32_e32 v10, v10, v15
	v_dual_add_f32 v12, v53, v12 :: v_dual_add_f32 v15, v23, v10
	s_delay_alu instid0(VALU_DEP_1) | instskip(NEXT) | instid1(VALU_DEP_1)
	v_dual_mul_f32 v12, v45, v12 :: v_dual_sub_f32 v23, v15, v23
	v_dual_add_f32 v12, v17, v12 :: v_dual_add_f32 v27, v39, v15
	v_mul_f32_e32 v14, v14, v22
	v_fmaak_f32 v22, v22, v34, 0x3f2aaada
	s_delay_alu instid0(VALU_DEP_3) | instskip(NEXT) | instid1(VALU_DEP_2)
	v_dual_sub_f32 v10, v10, v23 :: v_dual_add_f32 v17, v49, v12
	v_dual_sub_f32 v23, v27, v39 :: v_dual_mul_f32 v14, v14, v22
	s_delay_alu instid0(VALU_DEP_2) | instskip(NEXT) | instid1(VALU_DEP_2)
	v_mul_f32_e32 v31, v17, v17
	v_sub_f32_e32 v15, v15, v23
	v_ldexp_f32 v33, v17, 1
	s_delay_alu instid0(VALU_DEP_3) | instskip(NEXT) | instid1(VALU_DEP_1)
	v_dual_add_f32 v22, v24, v14 :: v_dual_fmaak_f32 v29, s21, v31, 0x3ecc95a3
	v_sub_f32_e32 v24, v22, v24
	s_delay_alu instid0(VALU_DEP_1) | instskip(NEXT) | instid1(VALU_DEP_1)
	v_sub_f32_e32 v14, v14, v24
	v_dual_add_f32 v13, v13, v14 :: v_dual_mul_f32 v28, v16, v16
	v_ldexp_f32 v30, v16, 1
	s_delay_alu instid0(VALU_DEP_2) | instskip(NEXT) | instid1(VALU_DEP_3)
	v_add_f32_e32 v14, v22, v13
	v_fmaak_f32 v26, s21, v28, 0x3ecc95a3
	v_mul_f32_e32 v16, v16, v28
	s_delay_alu instid0(VALU_DEP_3) | instskip(NEXT) | instid1(VALU_DEP_3)
	v_sub_f32_e32 v22, v14, v22
	v_fmaak_f32 v25, v28, v26, 0x3f2aaada
	v_add_f32_e32 v24, v38, v14
	s_delay_alu instid0(VALU_DEP_2) | instskip(NEXT) | instid1(VALU_DEP_1)
	v_dual_sub_f32 v13, v13, v22 :: v_dual_mul_f32 v16, v16, v25
	v_dual_sub_f32 v22, v24, v38 :: v_dual_add_f32 v25, v30, v16
	s_delay_alu instid0(VALU_DEP_1) | instskip(NEXT) | instid1(VALU_DEP_2)
	v_sub_f32_e32 v14, v14, v22
	v_sub_f32_e32 v28, v25, v30
	;; [unrolled: 1-line block ×3, first 2 shown]
	v_add_f32_e32 v22, v18, v13
	s_delay_alu instid0(VALU_DEP_3) | instskip(NEXT) | instid1(VALU_DEP_2)
	v_sub_f32_e32 v16, v16, v28
	v_sub_f32_e32 v34, v22, v18
	v_fmaak_f32 v26, v31, v29, 0x3f2aaada
	s_delay_alu instid0(VALU_DEP_3) | instskip(NEXT) | instid1(VALU_DEP_3)
	v_add_f32_e32 v11, v11, v16
	v_sub_f32_e32 v13, v13, v34
	s_delay_alu instid0(VALU_DEP_2) | instskip(NEXT) | instid1(VALU_DEP_1)
	v_add_f32_e32 v16, v25, v11
	v_add_f32_e32 v28, v40, v16
	v_sub_f32_e32 v32, v17, v49
	v_mul_f32_e32 v17, v17, v31
	v_sub_f32_e32 v31, v27, v23
	v_add_f32_e32 v23, v19, v10
	v_sub_f32_e32 v25, v16, v25
	s_delay_alu instid0(VALU_DEP_4) | instskip(NEXT) | instid1(VALU_DEP_4)
	v_mul_f32_e32 v17, v17, v26
	v_sub_f32_e32 v31, v39, v31
	s_delay_alu instid0(VALU_DEP_4) | instskip(NEXT) | instid1(VALU_DEP_4)
	v_sub_f32_e32 v35, v23, v19
	v_sub_f32_e32 v11, v11, v25
	s_delay_alu instid0(VALU_DEP_4) | instskip(NEXT) | instid1(VALU_DEP_4)
	v_dual_sub_f32 v25, v28, v40 :: v_dual_add_f32 v26, v33, v17
	v_dual_sub_f32 v12, v12, v32 :: v_dual_add_f32 v15, v15, v31
	s_delay_alu instid0(VALU_DEP_4) | instskip(NEXT) | instid1(VALU_DEP_3)
	v_sub_f32_e32 v31, v23, v35
	v_sub_f32_e32 v29, v26, v33
	s_delay_alu instid0(VALU_DEP_3) | instskip(NEXT) | instid1(VALU_DEP_4)
	v_ldexp_f32 v12, v12, 1
	v_add_f32_e32 v15, v23, v15
	s_delay_alu instid0(VALU_DEP_4) | instskip(NEXT) | instid1(VALU_DEP_4)
	v_sub_f32_e32 v19, v19, v31
	v_sub_f32_e32 v17, v17, v29
	s_delay_alu instid0(VALU_DEP_1) | instskip(NEXT) | instid1(VALU_DEP_1)
	v_add_f32_e32 v12, v12, v17
	v_add_f32_e32 v17, v26, v12
	s_delay_alu instid0(VALU_DEP_1) | instskip(NEXT) | instid1(VALU_DEP_1)
	v_sub_f32_e32 v26, v17, v26
	v_dual_add_f32 v29, v41, v17 :: v_dual_sub_f32 v12, v12, v26
	s_delay_alu instid0(VALU_DEP_1) | instskip(NEXT) | instid1(VALU_DEP_1)
	v_sub_f32_e32 v26, v29, v41
	v_sub_f32_e32 v33, v29, v26
	;; [unrolled: 1-line block ×3, first 2 shown]
	s_delay_alu instid0(VALU_DEP_4) | instskip(NEXT) | instid1(VALU_DEP_3)
	v_add_f32_e32 v26, v21, v12
	v_sub_f32_e32 v33, v41, v33
	s_delay_alu instid0(VALU_DEP_2) | instskip(NEXT) | instid1(VALU_DEP_2)
	v_sub_f32_e32 v37, v26, v21
	v_add_f32_e32 v17, v17, v33
	s_delay_alu instid0(VALU_DEP_2) | instskip(SKIP_1) | instid1(VALU_DEP_3)
	v_sub_f32_e32 v33, v26, v37
	v_sub_f32_e32 v12, v12, v37
	v_add_f32_e32 v17, v26, v17
	v_sub_f32_e32 v16, v16, v25
	s_delay_alu instid0(VALU_DEP_4) | instskip(NEXT) | instid1(VALU_DEP_1)
	v_sub_f32_e32 v21, v21, v33
	v_add_f32_e32 v12, v12, v21
	s_delay_alu instid0(VALU_DEP_4) | instskip(SKIP_2) | instid1(VALU_DEP_2)
	v_add_f32_e32 v21, v29, v17
	v_sub_f32_e32 v32, v28, v25
	v_add_f32_e32 v25, v20, v11
	v_sub_f32_e32 v32, v40, v32
	s_delay_alu instid0(VALU_DEP_2) | instskip(NEXT) | instid1(VALU_DEP_2)
	v_sub_f32_e32 v36, v25, v20
	v_add_f32_e32 v16, v16, v32
	s_delay_alu instid0(VALU_DEP_2) | instskip(SKIP_1) | instid1(VALU_DEP_3)
	v_sub_f32_e32 v32, v25, v36
	v_sub_f32_e32 v11, v11, v36
	v_add_f32_e32 v16, v25, v16
	v_dual_sub_f32 v25, v21, v29 :: v_dual_sub_f32 v10, v10, v35
	s_delay_alu instid0(VALU_DEP_1) | instskip(SKIP_1) | instid1(VALU_DEP_3)
	v_dual_sub_f32 v20, v20, v32 :: v_dual_sub_f32 v17, v17, v25
	v_sub_f32_e32 v30, v38, v30
	v_add_f32_e32 v10, v10, v19
	v_add_f32_e32 v19, v27, v15
	s_delay_alu instid0(VALU_DEP_4) | instskip(SKIP_2) | instid1(VALU_DEP_4)
	v_add_f32_e32 v11, v11, v20
	v_add_f32_e32 v20, v28, v16
	v_add_f32_e32 v14, v14, v30
	v_dual_sub_f32 v30, v22, v34 :: v_dual_sub_f32 v23, v19, v27
	v_add_f32_e32 v12, v12, v17
	s_delay_alu instid0(VALU_DEP_3) | instskip(NEXT) | instid1(VALU_DEP_3)
	v_add_f32_e32 v14, v22, v14
	v_dual_sub_f32 v18, v18, v30 :: v_dual_sub_f32 v15, v15, v23
	s_delay_alu instid0(VALU_DEP_3) | instskip(NEXT) | instid1(VALU_DEP_2)
	v_add_f32_e32 v12, v21, v12
	v_add_f32_e32 v13, v13, v18
	s_delay_alu instid0(VALU_DEP_4) | instskip(NEXT) | instid1(VALU_DEP_4)
	v_add_f32_e32 v18, v24, v14
	v_add_f32_e32 v10, v10, v15
	s_delay_alu instid0(VALU_DEP_4) | instskip(SKIP_1) | instid1(VALU_DEP_4)
	v_cndmask_b32_e64 v12, v12, v4, s3
	v_cmp_ngt_f32_e64 s3, -1.0, v4
	v_sub_f32_e32 v22, v18, v24
	v_sub_f32_e32 v24, v20, v28
	v_add_f32_e32 v10, v19, v10
	s_delay_alu instid0(VALU_DEP_4)
	v_cndmask_b32_e64 v12, 0x7fc00000, v12, s3
	v_cmp_neq_f32_e64 s3, -1.0, v4
	v_sub_f32_e32 v14, v14, v22
	v_sub_f32_e32 v16, v16, v24
	v_cndmask_b32_e32 v10, v10, v2, vcc_lo
	v_cmp_ngt_f32_e32 vcc_lo, -1.0, v2
	v_cndmask_b32_e64 v12, 0xff800000, v12, s3
	v_add_f32_e32 v13, v13, v14
	v_add_f32_e32 v11, v11, v16
	v_cmp_gt_f32_e64 s3, 0x33800000, |v4|
	v_cndmask_b32_e32 v10, 0x7fc00000, v10, vcc_lo
	v_cmp_neq_f32_e32 vcc_lo, -1.0, v2
	v_add_f32_e32 v13, v18, v13
	v_add_f32_e32 v11, v20, v11
	v_cndmask_b32_e64 v4, v12, v4, s3
	v_cndmask_b32_e32 v10, 0xff800000, v10, vcc_lo
	s_delay_alu instid0(VALU_DEP_4) | instskip(NEXT) | instid1(VALU_DEP_4)
	v_cndmask_b32_e64 v13, v13, v1, s4
	v_cndmask_b32_e64 v11, v11, v3, s2
	v_cmp_ngt_f32_e64 s2, -1.0, v3
	v_cmp_ngt_f32_e64 s4, -1.0, v1
	v_cmp_gt_f32_e64 vcc_lo, 0x33800000, |v2|
	s_delay_alu instid0(VALU_DEP_3) | instskip(NEXT) | instid1(VALU_DEP_3)
	v_cndmask_b32_e64 v11, 0x7fc00000, v11, s2
	v_cndmask_b32_e64 v13, 0x7fc00000, v13, s4
	v_cmp_neq_f32_e64 s2, -1.0, v3
	v_cmp_neq_f32_e64 s4, -1.0, v1
	v_cndmask_b32_e32 v2, v10, v2, vcc_lo
	s_delay_alu instid0(VALU_DEP_3) | instskip(NEXT) | instid1(VALU_DEP_3)
	v_cndmask_b32_e64 v11, 0xff800000, v11, s2
	v_cndmask_b32_e64 v13, 0xff800000, v13, s4
	v_cmp_gt_f32_e64 s2, 0x33800000, |v3|
	v_cmp_gt_f32_e64 s4, 0x33800000, |v1|
	s_delay_alu instid0(VALU_DEP_2) | instskip(NEXT) | instid1(VALU_DEP_2)
	v_cndmask_b32_e64 v3, v11, v3, s2
	v_cndmask_b32_e64 v1, v13, v1, s4
	s_and_b32 s2, exec_lo, s22
	s_delay_alu instid0(SALU_CYCLE_1)
	s_or_b32 s18, s2, s18
	global_store_b128 v[8:9], v[1:4], off
	s_and_not1_b32 exec_lo, exec_lo, s18
	s_cbranch_execnz .LBB203_3
.LBB203_4:
	s_or_b32 exec_lo, exec_lo, s17
	s_mov_b32 s2, 0
.LBB203_5:
	s_delay_alu instid0(SALU_CYCLE_1)
	s_and_not1_b32 vcc_lo, exec_lo, s2
	s_cbranch_vccnz .LBB203_25
; %bb.6:
	v_cmp_lt_i64_e64 s2, s[8:9], 1
	s_delay_alu instid0(VALU_DEP_1)
	s_and_b32 vcc_lo, exec_lo, s2
	s_cbranch_vccnz .LBB203_25
; %bb.7:
	s_load_b32 s0, s[0:1], 0xc5c
	v_dual_mov_b32 v10, 0 :: v_dual_lshlrev_b32 v9, 2, v0
	v_cmp_gt_u64_e64 s1, 0x10000, s[8:9]
	s_delay_alu instid0(VALU_DEP_2) | instskip(NEXT) | instid1(VALU_DEP_1)
	v_add_co_u32 v1, s2, s10, v9
	v_add_co_ci_u32_e64 v2, null, s11, 0, s2
	v_add_co_u32 v3, s2, s12, v9
	s_delay_alu instid0(VALU_DEP_1)
	v_add_co_ci_u32_e64 v4, null, s13, 0, s2
	s_waitcnt lgkmcnt(0)
	s_and_b32 s0, s0, 0xffff
	s_and_b32 s1, s1, exec_lo
	v_mad_u64_u32 v[7:8], null, s0, 12, v[9:10]
	s_cselect_b32 s5, s9, 0
	s_cselect_b32 s4, s8, 0x10000
	s_mul_i32 s2, s0, 3
	s_lshl_b32 s3, s0, 3
	s_lshl_b32 s1, s0, 1
	v_add_co_u32 v14, s3, s3, v9
	v_add_co_u32 v9, s2, s2, v0
	s_delay_alu instid0(VALU_DEP_1) | instskip(SKIP_3) | instid1(VALU_DEP_3)
	v_add_co_ci_u32_e64 v10, null, 0, 0, s2
	v_add_co_u32 v13, s2, v0, s0
	v_add_co_u32 v5, vcc_lo, s10, v7
	v_add_co_ci_u32_e32 v6, vcc_lo, s11, v8, vcc_lo
	v_lshlrev_b32_e32 v21, 2, v13
	v_add_co_u32 v7, vcc_lo, s12, v7
	v_add_co_ci_u32_e64 v15, null, 0, 0, s3
	v_add_co_ci_u32_e32 v8, vcc_lo, s13, v8, vcc_lo
	v_add_co_u32 v17, s1, s1, v0
	v_add_co_u32 v11, vcc_lo, s10, v14
	v_add_co_ci_u32_e64 v18, null, 0, 0, s1
	v_add_co_u32 v19, s1, s10, v21
	v_add_co_ci_u32_e32 v12, vcc_lo, s11, v15, vcc_lo
	v_add_co_u32 v14, vcc_lo, s12, v14
	v_add_co_ci_u32_e64 v20, null, s11, 0, s1
	v_add_co_u32 v21, s1, s12, v21
	v_add_co_ci_u32_e32 v15, vcc_lo, s13, v15, vcc_lo
	v_add_co_ci_u32_e64 v16, null, 0, 0, s2
	v_add_co_ci_u32_e64 v22, null, s13, 0, s1
	s_lshl_b32 s14, s0, 2
	s_lshl_b32 s12, s0, 4
	s_mov_b64 s[10:11], 0
	s_mov_b32 s13, 0x3e9b6dac
	s_branch .LBB203_9
.LBB203_8:                              ;   in Loop: Header=BB203_9 Depth=1
	s_or_b32 exec_lo, exec_lo, s0
	v_add_co_u32 v1, vcc_lo, v1, s12
	v_add_co_ci_u32_e32 v2, vcc_lo, 0, v2, vcc_lo
	v_add_co_u32 v3, vcc_lo, v3, s12
	v_add_co_ci_u32_e32 v4, vcc_lo, 0, v4, vcc_lo
	;; [unrolled: 2-line block ×5, first 2 shown]
	s_add_u32 s10, s10, s14
	v_add_co_u32 v14, vcc_lo, v14, s12
	s_addc_u32 s11, s11, 0
	v_add_co_ci_u32_e32 v15, vcc_lo, 0, v15, vcc_lo
	v_cmp_ge_i64_e64 s0, s[10:11], s[8:9]
	v_cmp_lt_u64_e64 s1, 0xffff, s[10:11]
	v_add_co_u32 v19, vcc_lo, v19, s12
	v_add_co_ci_u32_e32 v20, vcc_lo, 0, v20, vcc_lo
	v_add_co_u32 v21, vcc_lo, v21, s12
	v_add_co_ci_u32_e32 v22, vcc_lo, 0, v22, vcc_lo
	s_or_b32 s0, s0, s1
	s_delay_alu instid0(SALU_CYCLE_1)
	s_and_b32 vcc_lo, exec_lo, s0
	s_cbranch_vccnz .LBB203_25
.LBB203_9:                              ; =>This Inner Loop Header: Depth=1
	s_waitcnt vmcnt(0)
	v_add_co_u32 v23, s0, v0, s10
	s_delay_alu instid0(VALU_DEP_1) | instskip(SKIP_1) | instid1(VALU_DEP_2)
	v_add_co_ci_u32_e64 v24, null, 0, s11, s0
	v_mov_b32_e32 v26, 0
	v_cmp_gt_u64_e64 s2, s[4:5], v[23:24]
	s_delay_alu instid0(VALU_DEP_1)
	s_and_saveexec_b32 s0, s2
	s_cbranch_execz .LBB203_11
; %bb.10:                               ;   in Loop: Header=BB203_9 Depth=1
	v_add_co_u32 v23, vcc_lo, v1, s6
	v_add_co_ci_u32_e32 v24, vcc_lo, s7, v2, vcc_lo
	global_load_b32 v26, v[23:24], off
.LBB203_11:                             ;   in Loop: Header=BB203_9 Depth=1
	s_or_b32 exec_lo, exec_lo, s0
	v_add_co_u32 v23, vcc_lo, v13, s10
	v_add_co_ci_u32_e32 v24, vcc_lo, s11, v16, vcc_lo
	v_mov_b32_e32 v25, 0
	s_delay_alu instid0(VALU_DEP_2) | instskip(NEXT) | instid1(VALU_DEP_1)
	v_cmp_gt_u64_e64 s1, s[4:5], v[23:24]
	s_and_saveexec_b32 s0, s1
	s_cbranch_execz .LBB203_13
; %bb.12:                               ;   in Loop: Header=BB203_9 Depth=1
	v_add_co_u32 v23, vcc_lo, v19, s6
	v_add_co_ci_u32_e32 v24, vcc_lo, s7, v20, vcc_lo
	global_load_b32 v25, v[23:24], off
.LBB203_13:                             ;   in Loop: Header=BB203_9 Depth=1
	s_or_b32 exec_lo, exec_lo, s0
	v_add_co_u32 v23, vcc_lo, v17, s10
	v_add_co_ci_u32_e32 v24, vcc_lo, s11, v18, vcc_lo
	s_delay_alu instid0(VALU_DEP_1) | instskip(SKIP_1) | instid1(VALU_DEP_2)
	v_cmp_gt_u64_e64 s0, s[4:5], v[23:24]
	v_dual_mov_b32 v23, 0 :: v_dual_mov_b32 v24, 0
	s_and_saveexec_b32 s3, s0
	s_cbranch_execz .LBB203_15
; %bb.14:                               ;   in Loop: Header=BB203_9 Depth=1
	v_add_co_u32 v27, vcc_lo, v11, s6
	v_add_co_ci_u32_e32 v28, vcc_lo, s7, v12, vcc_lo
	global_load_b32 v24, v[27:28], off
.LBB203_15:                             ;   in Loop: Header=BB203_9 Depth=1
	s_or_b32 exec_lo, exec_lo, s3
	v_add_co_u32 v27, vcc_lo, v9, s10
	v_add_co_ci_u32_e32 v28, vcc_lo, s11, v10, vcc_lo
	s_delay_alu instid0(VALU_DEP_1)
	v_cmp_gt_u64_e32 vcc_lo, s[4:5], v[27:28]
	s_and_saveexec_b32 s15, vcc_lo
	s_cbranch_execnz .LBB203_20
; %bb.16:                               ;   in Loop: Header=BB203_9 Depth=1
	s_or_b32 exec_lo, exec_lo, s15
	s_and_saveexec_b32 s3, s2
	s_cbranch_execnz .LBB203_21
.LBB203_17:                             ;   in Loop: Header=BB203_9 Depth=1
	s_or_b32 exec_lo, exec_lo, s3
	s_and_saveexec_b32 s2, s1
	s_cbranch_execnz .LBB203_22
.LBB203_18:                             ;   in Loop: Header=BB203_9 Depth=1
	s_or_b32 exec_lo, exec_lo, s2
	s_and_saveexec_b32 s1, s0
	s_cbranch_execnz .LBB203_23
.LBB203_19:                             ;   in Loop: Header=BB203_9 Depth=1
	s_or_b32 exec_lo, exec_lo, s1
	s_and_saveexec_b32 s0, vcc_lo
	s_cbranch_execz .LBB203_8
	s_branch .LBB203_24
.LBB203_20:                             ;   in Loop: Header=BB203_9 Depth=1
	v_add_co_u32 v27, s3, v5, s6
	s_delay_alu instid0(VALU_DEP_1)
	v_add_co_ci_u32_e64 v28, s3, s7, v6, s3
	global_load_b32 v23, v[27:28], off
	s_or_b32 exec_lo, exec_lo, s15
	s_and_saveexec_b32 s3, s2
	s_cbranch_execz .LBB203_17
.LBB203_21:                             ;   in Loop: Header=BB203_9 Depth=1
	s_waitcnt vmcnt(0)
	v_add_f32_e32 v29, 1.0, v26
	s_delay_alu instid0(VALU_DEP_1) | instskip(NEXT) | instid1(VALU_DEP_1)
	v_cvt_f64_f32_e32 v[27:28], v29
	v_frexp_exp_i32_f64_e32 v27, v[27:28]
	v_frexp_mant_f32_e32 v28, v29
	s_delay_alu instid0(VALU_DEP_1) | instskip(SKIP_1) | instid1(VALU_DEP_1)
	v_cmp_gt_f32_e64 s2, 0x3f2aaaab, v28
	v_add_f32_e32 v28, -1.0, v29
	v_sub_f32_e32 v31, v28, v29
	s_delay_alu instid0(VALU_DEP_1) | instskip(NEXT) | instid1(VALU_DEP_4)
	v_dual_add_f32 v31, 1.0, v31 :: v_dual_sub_f32 v28, v26, v28
	v_subrev_co_ci_u32_e64 v27, s2, 0, v27, s2
	v_cmp_eq_f32_e64 s2, 0x7f800000, v26
	s_delay_alu instid0(VALU_DEP_2) | instskip(SKIP_1) | instid1(VALU_DEP_2)
	v_sub_nc_u32_e32 v30, 0, v27
	v_cvt_f32_i32_e32 v27, v27
	v_ldexp_f32 v29, v29, v30
	s_delay_alu instid0(VALU_DEP_1) | instskip(NEXT) | instid1(VALU_DEP_1)
	v_add_f32_e32 v32, 1.0, v29
	v_dual_add_f32 v28, v28, v31 :: v_dual_add_f32 v31, -1.0, v32
	s_delay_alu instid0(VALU_DEP_1) | instskip(NEXT) | instid1(VALU_DEP_2)
	v_ldexp_f32 v28, v28, v30
	v_dual_sub_f32 v31, v29, v31 :: v_dual_add_f32 v30, -1.0, v29
	s_delay_alu instid0(VALU_DEP_1) | instskip(NEXT) | instid1(VALU_DEP_2)
	v_add_f32_e32 v31, v28, v31
	v_add_f32_e32 v33, 1.0, v30
	s_delay_alu instid0(VALU_DEP_1) | instskip(NEXT) | instid1(VALU_DEP_1)
	v_sub_f32_e32 v29, v29, v33
	v_add_f32_e32 v28, v28, v29
	s_delay_alu instid0(VALU_DEP_1) | instskip(NEXT) | instid1(VALU_DEP_1)
	v_dual_add_f32 v34, v30, v28 :: v_dual_add_f32 v33, v32, v31
	v_sub_f32_e32 v30, v34, v30
	s_delay_alu instid0(VALU_DEP_2) | instskip(SKIP_1) | instid1(VALU_DEP_1)
	v_rcp_f32_e32 v29, v33
	v_sub_f32_e32 v32, v33, v32
	v_dual_sub_f32 v28, v28, v30 :: v_dual_sub_f32 v31, v31, v32
	s_waitcnt_depctr 0xfff
	v_mul_f32_e32 v35, v34, v29
	s_delay_alu instid0(VALU_DEP_1) | instskip(NEXT) | instid1(VALU_DEP_1)
	v_mul_f32_e32 v36, v33, v35
	v_fma_f32 v32, v35, v33, -v36
	s_delay_alu instid0(VALU_DEP_1) | instskip(NEXT) | instid1(VALU_DEP_1)
	v_fmac_f32_e32 v32, v35, v31
	v_add_f32_e32 v37, v36, v32
	s_delay_alu instid0(VALU_DEP_1) | instskip(SKIP_1) | instid1(VALU_DEP_2)
	v_sub_f32_e32 v38, v34, v37
	v_sub_f32_e32 v30, v37, v36
	;; [unrolled: 1-line block ×3, first 2 shown]
	s_delay_alu instid0(VALU_DEP_2) | instskip(NEXT) | instid1(VALU_DEP_2)
	v_sub_f32_e32 v30, v30, v32
	v_sub_f32_e32 v34, v34, v37
	s_delay_alu instid0(VALU_DEP_1) | instskip(NEXT) | instid1(VALU_DEP_1)
	v_add_f32_e32 v28, v28, v34
	v_add_f32_e32 v28, v30, v28
	s_delay_alu instid0(VALU_DEP_1) | instskip(NEXT) | instid1(VALU_DEP_1)
	v_add_f32_e32 v30, v38, v28
	v_mul_f32_e32 v32, v29, v30
	s_delay_alu instid0(VALU_DEP_1) | instskip(NEXT) | instid1(VALU_DEP_1)
	v_dual_sub_f32 v37, v38, v30 :: v_dual_mul_f32 v34, v33, v32
	v_add_f32_e32 v28, v28, v37
	s_delay_alu instid0(VALU_DEP_2) | instskip(NEXT) | instid1(VALU_DEP_1)
	v_fma_f32 v33, v32, v33, -v34
	v_fmac_f32_e32 v33, v32, v31
	s_delay_alu instid0(VALU_DEP_1) | instskip(NEXT) | instid1(VALU_DEP_1)
	v_add_f32_e32 v31, v34, v33
	v_sub_f32_e32 v36, v30, v31
	v_sub_f32_e32 v34, v31, v34
	s_delay_alu instid0(VALU_DEP_2) | instskip(NEXT) | instid1(VALU_DEP_1)
	v_sub_f32_e32 v30, v30, v36
	v_sub_f32_e32 v30, v30, v31
	s_delay_alu instid0(VALU_DEP_1) | instskip(SKIP_1) | instid1(VALU_DEP_1)
	v_dual_sub_f32 v31, v34, v33 :: v_dual_add_f32 v28, v28, v30
	v_add_f32_e32 v30, v35, v32
	v_dual_add_f32 v28, v31, v28 :: v_dual_sub_f32 v31, v30, v35
	s_delay_alu instid0(VALU_DEP_1) | instskip(NEXT) | instid1(VALU_DEP_1)
	v_add_f32_e32 v28, v36, v28
	v_dual_sub_f32 v31, v32, v31 :: v_dual_mul_f32 v28, v29, v28
	s_delay_alu instid0(VALU_DEP_1) | instskip(NEXT) | instid1(VALU_DEP_1)
	v_add_f32_e32 v28, v31, v28
	v_add_f32_e32 v29, v30, v28
	s_delay_alu instid0(VALU_DEP_1) | instskip(NEXT) | instid1(VALU_DEP_1)
	v_mul_f32_e32 v31, v29, v29
	v_fmaak_f32 v32, s13, v31, 0x3ecc95a3
	v_mul_f32_e32 v33, v29, v31
	s_delay_alu instid0(VALU_DEP_2) | instskip(SKIP_2) | instid1(VALU_DEP_3)
	v_fmaak_f32 v31, v31, v32, 0x3f2aaada
	v_ldexp_f32 v32, v29, 1
	v_sub_f32_e32 v29, v29, v30
	v_mul_f32_e32 v31, v33, v31
	s_delay_alu instid0(VALU_DEP_2) | instskip(NEXT) | instid1(VALU_DEP_2)
	v_dual_mul_f32 v33, 0x3f317218, v27 :: v_dual_sub_f32 v28, v28, v29
	v_add_f32_e32 v30, v32, v31
	s_delay_alu instid0(VALU_DEP_2) | instskip(NEXT) | instid1(VALU_DEP_2)
	v_ldexp_f32 v28, v28, 1
	v_sub_f32_e32 v29, v30, v32
	s_delay_alu instid0(VALU_DEP_4) | instskip(NEXT) | instid1(VALU_DEP_1)
	v_fma_f32 v32, 0x3f317218, v27, -v33
	v_dual_sub_f32 v29, v31, v29 :: v_dual_fmac_f32 v32, 0xb102e308, v27
	s_delay_alu instid0(VALU_DEP_1) | instskip(NEXT) | instid1(VALU_DEP_1)
	v_add_f32_e32 v27, v28, v29
	v_add_f32_e32 v29, v30, v27
	s_delay_alu instid0(VALU_DEP_1) | instskip(NEXT) | instid1(VALU_DEP_1)
	v_sub_f32_e32 v30, v29, v30
	v_dual_sub_f32 v27, v27, v30 :: v_dual_add_f32 v28, v33, v32
	s_delay_alu instid0(VALU_DEP_1) | instskip(NEXT) | instid1(VALU_DEP_1)
	v_add_f32_e32 v31, v28, v29
	v_dual_sub_f32 v33, v28, v33 :: v_dual_sub_f32 v34, v31, v28
	s_delay_alu instid0(VALU_DEP_1) | instskip(NEXT) | instid1(VALU_DEP_1)
	v_dual_sub_f32 v32, v32, v33 :: v_dual_sub_f32 v35, v31, v34
	v_dual_sub_f32 v29, v29, v34 :: v_dual_add_f32 v30, v32, v27
	s_delay_alu instid0(VALU_DEP_2) | instskip(NEXT) | instid1(VALU_DEP_1)
	v_sub_f32_e32 v28, v28, v35
	v_add_f32_e32 v28, v29, v28
	s_delay_alu instid0(VALU_DEP_3) | instskip(NEXT) | instid1(VALU_DEP_2)
	v_sub_f32_e32 v29, v30, v32
	v_add_f32_e32 v28, v30, v28
	s_delay_alu instid0(VALU_DEP_2) | instskip(SKIP_1) | instid1(VALU_DEP_3)
	v_sub_f32_e32 v30, v30, v29
	v_sub_f32_e32 v27, v27, v29
	v_add_f32_e32 v33, v31, v28
	s_delay_alu instid0(VALU_DEP_1) | instskip(NEXT) | instid1(VALU_DEP_1)
	v_dual_sub_f32 v29, v32, v30 :: v_dual_sub_f32 v30, v33, v31
	v_dual_add_f32 v27, v27, v29 :: v_dual_sub_f32 v28, v28, v30
	s_delay_alu instid0(VALU_DEP_1) | instskip(NEXT) | instid1(VALU_DEP_1)
	v_add_f32_e32 v27, v27, v28
	v_add_f32_e32 v27, v33, v27
	s_delay_alu instid0(VALU_DEP_1) | instskip(SKIP_1) | instid1(VALU_DEP_1)
	v_cndmask_b32_e64 v27, v27, v26, s2
	v_cmp_ngt_f32_e64 s2, -1.0, v26
	v_cndmask_b32_e64 v27, 0x7fc00000, v27, s2
	v_cmp_neq_f32_e64 s2, -1.0, v26
	s_delay_alu instid0(VALU_DEP_1) | instskip(SKIP_1) | instid1(VALU_DEP_1)
	v_cndmask_b32_e64 v27, 0xff800000, v27, s2
	v_cmp_gt_f32_e64 s2, 0x33800000, |v26|
	v_cndmask_b32_e64 v28, v27, v26, s2
	v_add_co_u32 v26, s2, v3, s6
	s_delay_alu instid0(VALU_DEP_1)
	v_add_co_ci_u32_e64 v27, s2, s7, v4, s2
	global_store_b32 v[26:27], v28, off
	s_or_b32 exec_lo, exec_lo, s3
	s_and_saveexec_b32 s2, s1
	s_cbranch_execz .LBB203_18
.LBB203_22:                             ;   in Loop: Header=BB203_9 Depth=1
	s_waitcnt vmcnt(0)
	v_add_f32_e32 v28, 1.0, v25
	s_delay_alu instid0(VALU_DEP_1) | instskip(NEXT) | instid1(VALU_DEP_1)
	v_cvt_f64_f32_e32 v[26:27], v28
	v_frexp_exp_i32_f64_e32 v26, v[26:27]
	v_frexp_mant_f32_e32 v27, v28
	s_delay_alu instid0(VALU_DEP_1) | instskip(SKIP_1) | instid1(VALU_DEP_1)
	v_cmp_gt_f32_e64 s1, 0x3f2aaaab, v27
	v_add_f32_e32 v27, -1.0, v28
	v_sub_f32_e32 v30, v27, v28
	s_delay_alu instid0(VALU_DEP_1) | instskip(NEXT) | instid1(VALU_DEP_4)
	v_dual_add_f32 v30, 1.0, v30 :: v_dual_sub_f32 v27, v25, v27
	v_subrev_co_ci_u32_e64 v26, s1, 0, v26, s1
	v_cmp_eq_f32_e64 s1, 0x7f800000, v25
	s_delay_alu instid0(VALU_DEP_2) | instskip(SKIP_1) | instid1(VALU_DEP_2)
	v_sub_nc_u32_e32 v29, 0, v26
	v_cvt_f32_i32_e32 v26, v26
	v_ldexp_f32 v28, v28, v29
	s_delay_alu instid0(VALU_DEP_1) | instskip(NEXT) | instid1(VALU_DEP_1)
	v_add_f32_e32 v31, 1.0, v28
	v_dual_add_f32 v27, v27, v30 :: v_dual_add_f32 v30, -1.0, v31
	s_delay_alu instid0(VALU_DEP_1) | instskip(NEXT) | instid1(VALU_DEP_2)
	v_ldexp_f32 v27, v27, v29
	v_dual_sub_f32 v30, v28, v30 :: v_dual_add_f32 v29, -1.0, v28
	s_delay_alu instid0(VALU_DEP_1) | instskip(NEXT) | instid1(VALU_DEP_2)
	v_add_f32_e32 v30, v27, v30
	v_add_f32_e32 v32, 1.0, v29
	s_delay_alu instid0(VALU_DEP_1) | instskip(NEXT) | instid1(VALU_DEP_1)
	v_sub_f32_e32 v28, v28, v32
	v_add_f32_e32 v27, v27, v28
	s_delay_alu instid0(VALU_DEP_1) | instskip(NEXT) | instid1(VALU_DEP_1)
	v_dual_add_f32 v33, v29, v27 :: v_dual_add_f32 v32, v31, v30
	v_sub_f32_e32 v29, v33, v29
	s_delay_alu instid0(VALU_DEP_2) | instskip(SKIP_1) | instid1(VALU_DEP_1)
	v_rcp_f32_e32 v28, v32
	v_sub_f32_e32 v31, v32, v31
	v_dual_sub_f32 v27, v27, v29 :: v_dual_sub_f32 v30, v30, v31
	s_waitcnt_depctr 0xfff
	v_mul_f32_e32 v34, v33, v28
	s_delay_alu instid0(VALU_DEP_1) | instskip(NEXT) | instid1(VALU_DEP_1)
	v_mul_f32_e32 v35, v32, v34
	v_fma_f32 v31, v34, v32, -v35
	s_delay_alu instid0(VALU_DEP_1) | instskip(NEXT) | instid1(VALU_DEP_1)
	v_fmac_f32_e32 v31, v34, v30
	v_add_f32_e32 v36, v35, v31
	s_delay_alu instid0(VALU_DEP_1) | instskip(SKIP_1) | instid1(VALU_DEP_2)
	v_sub_f32_e32 v37, v33, v36
	v_sub_f32_e32 v29, v36, v35
	;; [unrolled: 1-line block ×3, first 2 shown]
	s_delay_alu instid0(VALU_DEP_2) | instskip(NEXT) | instid1(VALU_DEP_2)
	v_sub_f32_e32 v29, v29, v31
	v_sub_f32_e32 v33, v33, v36
	s_delay_alu instid0(VALU_DEP_1) | instskip(NEXT) | instid1(VALU_DEP_1)
	v_add_f32_e32 v27, v27, v33
	v_add_f32_e32 v27, v29, v27
	s_delay_alu instid0(VALU_DEP_1) | instskip(NEXT) | instid1(VALU_DEP_1)
	v_add_f32_e32 v29, v37, v27
	v_mul_f32_e32 v31, v28, v29
	s_delay_alu instid0(VALU_DEP_1) | instskip(NEXT) | instid1(VALU_DEP_1)
	v_dual_sub_f32 v36, v37, v29 :: v_dual_mul_f32 v33, v32, v31
	v_add_f32_e32 v27, v27, v36
	s_delay_alu instid0(VALU_DEP_2) | instskip(NEXT) | instid1(VALU_DEP_1)
	v_fma_f32 v32, v31, v32, -v33
	v_fmac_f32_e32 v32, v31, v30
	s_delay_alu instid0(VALU_DEP_1) | instskip(NEXT) | instid1(VALU_DEP_1)
	v_add_f32_e32 v30, v33, v32
	v_sub_f32_e32 v35, v29, v30
	v_sub_f32_e32 v33, v30, v33
	s_delay_alu instid0(VALU_DEP_2) | instskip(NEXT) | instid1(VALU_DEP_1)
	v_sub_f32_e32 v29, v29, v35
	v_sub_f32_e32 v29, v29, v30
	s_delay_alu instid0(VALU_DEP_1) | instskip(SKIP_1) | instid1(VALU_DEP_1)
	v_dual_sub_f32 v30, v33, v32 :: v_dual_add_f32 v27, v27, v29
	v_add_f32_e32 v29, v34, v31
	v_dual_add_f32 v27, v30, v27 :: v_dual_sub_f32 v30, v29, v34
	s_delay_alu instid0(VALU_DEP_1) | instskip(NEXT) | instid1(VALU_DEP_1)
	v_add_f32_e32 v27, v35, v27
	v_dual_sub_f32 v30, v31, v30 :: v_dual_mul_f32 v27, v28, v27
	s_delay_alu instid0(VALU_DEP_1) | instskip(NEXT) | instid1(VALU_DEP_1)
	v_add_f32_e32 v27, v30, v27
	v_add_f32_e32 v28, v29, v27
	s_delay_alu instid0(VALU_DEP_1) | instskip(NEXT) | instid1(VALU_DEP_1)
	v_mul_f32_e32 v30, v28, v28
	v_fmaak_f32 v31, s13, v30, 0x3ecc95a3
	v_mul_f32_e32 v32, v28, v30
	s_delay_alu instid0(VALU_DEP_2) | instskip(SKIP_2) | instid1(VALU_DEP_3)
	v_fmaak_f32 v30, v30, v31, 0x3f2aaada
	v_ldexp_f32 v31, v28, 1
	v_sub_f32_e32 v28, v28, v29
	v_mul_f32_e32 v30, v32, v30
	s_delay_alu instid0(VALU_DEP_2) | instskip(NEXT) | instid1(VALU_DEP_2)
	v_dual_mul_f32 v32, 0x3f317218, v26 :: v_dual_sub_f32 v27, v27, v28
	v_add_f32_e32 v29, v31, v30
	s_delay_alu instid0(VALU_DEP_2) | instskip(NEXT) | instid1(VALU_DEP_2)
	v_ldexp_f32 v27, v27, 1
	v_sub_f32_e32 v28, v29, v31
	s_delay_alu instid0(VALU_DEP_4) | instskip(NEXT) | instid1(VALU_DEP_1)
	v_fma_f32 v31, 0x3f317218, v26, -v32
	v_dual_sub_f32 v28, v30, v28 :: v_dual_fmac_f32 v31, 0xb102e308, v26
	s_delay_alu instid0(VALU_DEP_1) | instskip(NEXT) | instid1(VALU_DEP_1)
	v_add_f32_e32 v26, v27, v28
	v_add_f32_e32 v28, v29, v26
	s_delay_alu instid0(VALU_DEP_1) | instskip(NEXT) | instid1(VALU_DEP_1)
	v_sub_f32_e32 v29, v28, v29
	v_dual_sub_f32 v26, v26, v29 :: v_dual_add_f32 v27, v32, v31
	s_delay_alu instid0(VALU_DEP_1) | instskip(NEXT) | instid1(VALU_DEP_1)
	v_add_f32_e32 v30, v27, v28
	v_dual_sub_f32 v32, v27, v32 :: v_dual_sub_f32 v33, v30, v27
	s_delay_alu instid0(VALU_DEP_1) | instskip(NEXT) | instid1(VALU_DEP_1)
	v_dual_sub_f32 v31, v31, v32 :: v_dual_sub_f32 v34, v30, v33
	v_dual_sub_f32 v28, v28, v33 :: v_dual_add_f32 v29, v31, v26
	s_delay_alu instid0(VALU_DEP_2) | instskip(NEXT) | instid1(VALU_DEP_1)
	v_sub_f32_e32 v27, v27, v34
	v_add_f32_e32 v27, v28, v27
	s_delay_alu instid0(VALU_DEP_3) | instskip(NEXT) | instid1(VALU_DEP_2)
	v_sub_f32_e32 v28, v29, v31
	v_add_f32_e32 v27, v29, v27
	s_delay_alu instid0(VALU_DEP_2) | instskip(SKIP_1) | instid1(VALU_DEP_3)
	v_sub_f32_e32 v29, v29, v28
	v_sub_f32_e32 v26, v26, v28
	v_add_f32_e32 v32, v30, v27
	s_delay_alu instid0(VALU_DEP_1) | instskip(NEXT) | instid1(VALU_DEP_1)
	v_dual_sub_f32 v28, v31, v29 :: v_dual_sub_f32 v29, v32, v30
	v_dual_add_f32 v26, v26, v28 :: v_dual_sub_f32 v27, v27, v29
	s_delay_alu instid0(VALU_DEP_1) | instskip(NEXT) | instid1(VALU_DEP_1)
	v_add_f32_e32 v26, v26, v27
	v_add_f32_e32 v26, v32, v26
	s_delay_alu instid0(VALU_DEP_1) | instskip(SKIP_1) | instid1(VALU_DEP_1)
	v_cndmask_b32_e64 v26, v26, v25, s1
	v_cmp_ngt_f32_e64 s1, -1.0, v25
	v_cndmask_b32_e64 v26, 0x7fc00000, v26, s1
	v_cmp_neq_f32_e64 s1, -1.0, v25
	s_delay_alu instid0(VALU_DEP_1) | instskip(SKIP_1) | instid1(VALU_DEP_1)
	v_cndmask_b32_e64 v26, 0xff800000, v26, s1
	v_cmp_gt_f32_e64 s1, 0x33800000, |v25|
	v_cndmask_b32_e64 v27, v26, v25, s1
	v_add_co_u32 v25, s1, v21, s6
	s_delay_alu instid0(VALU_DEP_1)
	v_add_co_ci_u32_e64 v26, s1, s7, v22, s1
	global_store_b32 v[25:26], v27, off
	s_or_b32 exec_lo, exec_lo, s2
	s_and_saveexec_b32 s1, s0
	s_cbranch_execz .LBB203_19
.LBB203_23:                             ;   in Loop: Header=BB203_9 Depth=1
	s_waitcnt vmcnt(0)
	v_add_f32_e32 v27, 1.0, v24
	s_delay_alu instid0(VALU_DEP_1) | instskip(NEXT) | instid1(VALU_DEP_1)
	v_cvt_f64_f32_e32 v[25:26], v27
	v_frexp_exp_i32_f64_e32 v25, v[25:26]
	v_frexp_mant_f32_e32 v26, v27
	s_delay_alu instid0(VALU_DEP_1) | instskip(SKIP_1) | instid1(VALU_DEP_1)
	v_cmp_gt_f32_e64 s0, 0x3f2aaaab, v26
	v_add_f32_e32 v26, -1.0, v27
	v_sub_f32_e32 v29, v26, v27
	s_delay_alu instid0(VALU_DEP_1) | instskip(NEXT) | instid1(VALU_DEP_4)
	v_dual_add_f32 v29, 1.0, v29 :: v_dual_sub_f32 v26, v24, v26
	v_subrev_co_ci_u32_e64 v25, s0, 0, v25, s0
	v_cmp_eq_f32_e64 s0, 0x7f800000, v24
	s_delay_alu instid0(VALU_DEP_2) | instskip(SKIP_1) | instid1(VALU_DEP_2)
	v_sub_nc_u32_e32 v28, 0, v25
	v_cvt_f32_i32_e32 v25, v25
	v_ldexp_f32 v27, v27, v28
	s_delay_alu instid0(VALU_DEP_1) | instskip(NEXT) | instid1(VALU_DEP_1)
	v_add_f32_e32 v30, 1.0, v27
	v_dual_add_f32 v26, v26, v29 :: v_dual_add_f32 v29, -1.0, v30
	s_delay_alu instid0(VALU_DEP_1) | instskip(NEXT) | instid1(VALU_DEP_2)
	v_ldexp_f32 v26, v26, v28
	v_dual_sub_f32 v29, v27, v29 :: v_dual_add_f32 v28, -1.0, v27
	s_delay_alu instid0(VALU_DEP_1) | instskip(NEXT) | instid1(VALU_DEP_2)
	v_add_f32_e32 v29, v26, v29
	v_add_f32_e32 v31, 1.0, v28
	s_delay_alu instid0(VALU_DEP_1) | instskip(NEXT) | instid1(VALU_DEP_1)
	v_sub_f32_e32 v27, v27, v31
	v_add_f32_e32 v26, v26, v27
	s_delay_alu instid0(VALU_DEP_1) | instskip(NEXT) | instid1(VALU_DEP_1)
	v_dual_add_f32 v32, v28, v26 :: v_dual_add_f32 v31, v30, v29
	v_sub_f32_e32 v28, v32, v28
	s_delay_alu instid0(VALU_DEP_2) | instskip(SKIP_1) | instid1(VALU_DEP_1)
	v_rcp_f32_e32 v27, v31
	v_sub_f32_e32 v30, v31, v30
	v_dual_sub_f32 v26, v26, v28 :: v_dual_sub_f32 v29, v29, v30
	s_waitcnt_depctr 0xfff
	v_mul_f32_e32 v33, v32, v27
	s_delay_alu instid0(VALU_DEP_1) | instskip(NEXT) | instid1(VALU_DEP_1)
	v_mul_f32_e32 v34, v31, v33
	v_fma_f32 v30, v33, v31, -v34
	s_delay_alu instid0(VALU_DEP_1) | instskip(NEXT) | instid1(VALU_DEP_1)
	v_fmac_f32_e32 v30, v33, v29
	v_add_f32_e32 v35, v34, v30
	s_delay_alu instid0(VALU_DEP_1) | instskip(SKIP_1) | instid1(VALU_DEP_2)
	v_sub_f32_e32 v36, v32, v35
	v_sub_f32_e32 v28, v35, v34
	;; [unrolled: 1-line block ×3, first 2 shown]
	s_delay_alu instid0(VALU_DEP_2) | instskip(NEXT) | instid1(VALU_DEP_2)
	v_sub_f32_e32 v28, v28, v30
	v_sub_f32_e32 v32, v32, v35
	s_delay_alu instid0(VALU_DEP_1) | instskip(NEXT) | instid1(VALU_DEP_1)
	v_add_f32_e32 v26, v26, v32
	v_add_f32_e32 v26, v28, v26
	s_delay_alu instid0(VALU_DEP_1) | instskip(NEXT) | instid1(VALU_DEP_1)
	v_add_f32_e32 v28, v36, v26
	v_mul_f32_e32 v30, v27, v28
	s_delay_alu instid0(VALU_DEP_1) | instskip(NEXT) | instid1(VALU_DEP_1)
	v_dual_sub_f32 v35, v36, v28 :: v_dual_mul_f32 v32, v31, v30
	v_add_f32_e32 v26, v26, v35
	s_delay_alu instid0(VALU_DEP_2) | instskip(NEXT) | instid1(VALU_DEP_1)
	v_fma_f32 v31, v30, v31, -v32
	v_fmac_f32_e32 v31, v30, v29
	s_delay_alu instid0(VALU_DEP_1) | instskip(NEXT) | instid1(VALU_DEP_1)
	v_add_f32_e32 v29, v32, v31
	v_sub_f32_e32 v34, v28, v29
	v_sub_f32_e32 v32, v29, v32
	s_delay_alu instid0(VALU_DEP_2) | instskip(NEXT) | instid1(VALU_DEP_1)
	v_sub_f32_e32 v28, v28, v34
	v_sub_f32_e32 v28, v28, v29
	s_delay_alu instid0(VALU_DEP_1) | instskip(SKIP_1) | instid1(VALU_DEP_1)
	v_dual_sub_f32 v29, v32, v31 :: v_dual_add_f32 v26, v26, v28
	v_add_f32_e32 v28, v33, v30
	v_dual_add_f32 v26, v29, v26 :: v_dual_sub_f32 v29, v28, v33
	s_delay_alu instid0(VALU_DEP_1) | instskip(NEXT) | instid1(VALU_DEP_1)
	v_add_f32_e32 v26, v34, v26
	v_dual_sub_f32 v29, v30, v29 :: v_dual_mul_f32 v26, v27, v26
	s_delay_alu instid0(VALU_DEP_1) | instskip(NEXT) | instid1(VALU_DEP_1)
	v_add_f32_e32 v26, v29, v26
	v_add_f32_e32 v27, v28, v26
	s_delay_alu instid0(VALU_DEP_1) | instskip(NEXT) | instid1(VALU_DEP_1)
	v_mul_f32_e32 v29, v27, v27
	v_fmaak_f32 v30, s13, v29, 0x3ecc95a3
	v_mul_f32_e32 v31, v27, v29
	s_delay_alu instid0(VALU_DEP_2) | instskip(SKIP_2) | instid1(VALU_DEP_3)
	v_fmaak_f32 v29, v29, v30, 0x3f2aaada
	v_ldexp_f32 v30, v27, 1
	v_sub_f32_e32 v27, v27, v28
	v_mul_f32_e32 v29, v31, v29
	s_delay_alu instid0(VALU_DEP_2) | instskip(NEXT) | instid1(VALU_DEP_2)
	v_dual_mul_f32 v31, 0x3f317218, v25 :: v_dual_sub_f32 v26, v26, v27
	v_add_f32_e32 v28, v30, v29
	s_delay_alu instid0(VALU_DEP_2) | instskip(NEXT) | instid1(VALU_DEP_2)
	v_ldexp_f32 v26, v26, 1
	v_sub_f32_e32 v27, v28, v30
	s_delay_alu instid0(VALU_DEP_4) | instskip(NEXT) | instid1(VALU_DEP_1)
	v_fma_f32 v30, 0x3f317218, v25, -v31
	v_dual_sub_f32 v27, v29, v27 :: v_dual_fmac_f32 v30, 0xb102e308, v25
	s_delay_alu instid0(VALU_DEP_1) | instskip(NEXT) | instid1(VALU_DEP_1)
	v_add_f32_e32 v25, v26, v27
	v_add_f32_e32 v27, v28, v25
	s_delay_alu instid0(VALU_DEP_1) | instskip(NEXT) | instid1(VALU_DEP_1)
	v_sub_f32_e32 v28, v27, v28
	v_dual_sub_f32 v25, v25, v28 :: v_dual_add_f32 v26, v31, v30
	s_delay_alu instid0(VALU_DEP_1) | instskip(NEXT) | instid1(VALU_DEP_1)
	v_add_f32_e32 v29, v26, v27
	v_dual_sub_f32 v31, v26, v31 :: v_dual_sub_f32 v32, v29, v26
	s_delay_alu instid0(VALU_DEP_1) | instskip(NEXT) | instid1(VALU_DEP_1)
	v_dual_sub_f32 v30, v30, v31 :: v_dual_sub_f32 v33, v29, v32
	v_dual_sub_f32 v27, v27, v32 :: v_dual_add_f32 v28, v30, v25
	s_delay_alu instid0(VALU_DEP_2) | instskip(NEXT) | instid1(VALU_DEP_1)
	v_sub_f32_e32 v26, v26, v33
	v_add_f32_e32 v26, v27, v26
	s_delay_alu instid0(VALU_DEP_3) | instskip(NEXT) | instid1(VALU_DEP_2)
	v_sub_f32_e32 v27, v28, v30
	v_add_f32_e32 v26, v28, v26
	s_delay_alu instid0(VALU_DEP_2) | instskip(SKIP_1) | instid1(VALU_DEP_3)
	v_sub_f32_e32 v28, v28, v27
	v_sub_f32_e32 v25, v25, v27
	v_add_f32_e32 v31, v29, v26
	s_delay_alu instid0(VALU_DEP_1) | instskip(NEXT) | instid1(VALU_DEP_1)
	v_dual_sub_f32 v27, v30, v28 :: v_dual_sub_f32 v28, v31, v29
	v_dual_add_f32 v25, v25, v27 :: v_dual_sub_f32 v26, v26, v28
	s_delay_alu instid0(VALU_DEP_1) | instskip(NEXT) | instid1(VALU_DEP_1)
	v_add_f32_e32 v25, v25, v26
	v_add_f32_e32 v25, v31, v25
	s_delay_alu instid0(VALU_DEP_1) | instskip(SKIP_1) | instid1(VALU_DEP_1)
	v_cndmask_b32_e64 v25, v25, v24, s0
	v_cmp_ngt_f32_e64 s0, -1.0, v24
	v_cndmask_b32_e64 v25, 0x7fc00000, v25, s0
	v_cmp_neq_f32_e64 s0, -1.0, v24
	s_delay_alu instid0(VALU_DEP_1) | instskip(SKIP_1) | instid1(VALU_DEP_1)
	v_cndmask_b32_e64 v25, 0xff800000, v25, s0
	v_cmp_gt_f32_e64 s0, 0x33800000, |v24|
	v_cndmask_b32_e64 v26, v25, v24, s0
	v_add_co_u32 v24, s0, v14, s6
	s_delay_alu instid0(VALU_DEP_1)
	v_add_co_ci_u32_e64 v25, s0, s7, v15, s0
	global_store_b32 v[24:25], v26, off
	s_or_b32 exec_lo, exec_lo, s1
	s_and_saveexec_b32 s0, vcc_lo
	s_cbranch_execz .LBB203_8
.LBB203_24:                             ;   in Loop: Header=BB203_9 Depth=1
	s_waitcnt vmcnt(0)
	v_add_f32_e32 v26, 1.0, v23
	s_delay_alu instid0(VALU_DEP_1) | instskip(NEXT) | instid1(VALU_DEP_1)
	v_cvt_f64_f32_e32 v[24:25], v26
	v_frexp_exp_i32_f64_e32 v24, v[24:25]
	v_frexp_mant_f32_e32 v25, v26
	s_delay_alu instid0(VALU_DEP_1) | instskip(SKIP_1) | instid1(VALU_DEP_1)
	v_cmp_gt_f32_e32 vcc_lo, 0x3f2aaaab, v25
	v_add_f32_e32 v25, -1.0, v26
	v_sub_f32_e32 v28, v25, v26
	s_delay_alu instid0(VALU_DEP_1) | instskip(SKIP_2) | instid1(VALU_DEP_2)
	v_dual_add_f32 v28, 1.0, v28 :: v_dual_sub_f32 v25, v23, v25
	v_subrev_co_ci_u32_e32 v24, vcc_lo, 0, v24, vcc_lo
	v_cmp_eq_f32_e32 vcc_lo, 0x7f800000, v23
	v_sub_nc_u32_e32 v27, 0, v24
	v_cvt_f32_i32_e32 v24, v24
	s_delay_alu instid0(VALU_DEP_2) | instskip(NEXT) | instid1(VALU_DEP_1)
	v_ldexp_f32 v26, v26, v27
	v_add_f32_e32 v29, 1.0, v26
	s_delay_alu instid0(VALU_DEP_1) | instskip(NEXT) | instid1(VALU_DEP_1)
	v_dual_add_f32 v25, v25, v28 :: v_dual_add_f32 v28, -1.0, v29
	v_ldexp_f32 v25, v25, v27
	s_delay_alu instid0(VALU_DEP_2) | instskip(NEXT) | instid1(VALU_DEP_1)
	v_dual_sub_f32 v28, v26, v28 :: v_dual_add_f32 v27, -1.0, v26
	v_add_f32_e32 v28, v25, v28
	s_delay_alu instid0(VALU_DEP_2) | instskip(NEXT) | instid1(VALU_DEP_1)
	v_add_f32_e32 v30, 1.0, v27
	v_sub_f32_e32 v26, v26, v30
	s_delay_alu instid0(VALU_DEP_1) | instskip(NEXT) | instid1(VALU_DEP_1)
	v_add_f32_e32 v25, v25, v26
	v_dual_add_f32 v31, v27, v25 :: v_dual_add_f32 v30, v29, v28
	s_delay_alu instid0(VALU_DEP_1) | instskip(NEXT) | instid1(VALU_DEP_2)
	v_sub_f32_e32 v27, v31, v27
	v_rcp_f32_e32 v26, v30
	v_sub_f32_e32 v29, v30, v29
	s_delay_alu instid0(VALU_DEP_1) | instskip(SKIP_2) | instid1(VALU_DEP_1)
	v_dual_sub_f32 v25, v25, v27 :: v_dual_sub_f32 v28, v28, v29
	s_waitcnt_depctr 0xfff
	v_mul_f32_e32 v32, v31, v26
	v_mul_f32_e32 v33, v30, v32
	s_delay_alu instid0(VALU_DEP_1) | instskip(NEXT) | instid1(VALU_DEP_1)
	v_fma_f32 v29, v32, v30, -v33
	v_fmac_f32_e32 v29, v32, v28
	s_delay_alu instid0(VALU_DEP_1) | instskip(NEXT) | instid1(VALU_DEP_1)
	v_add_f32_e32 v34, v33, v29
	v_sub_f32_e32 v35, v31, v34
	v_sub_f32_e32 v27, v34, v33
	s_delay_alu instid0(VALU_DEP_2) | instskip(NEXT) | instid1(VALU_DEP_2)
	v_sub_f32_e32 v31, v31, v35
	v_sub_f32_e32 v27, v27, v29
	s_delay_alu instid0(VALU_DEP_2) | instskip(NEXT) | instid1(VALU_DEP_1)
	v_sub_f32_e32 v31, v31, v34
	v_add_f32_e32 v25, v25, v31
	s_delay_alu instid0(VALU_DEP_1) | instskip(NEXT) | instid1(VALU_DEP_1)
	v_add_f32_e32 v25, v27, v25
	v_add_f32_e32 v27, v35, v25
	s_delay_alu instid0(VALU_DEP_1) | instskip(NEXT) | instid1(VALU_DEP_1)
	v_mul_f32_e32 v29, v26, v27
	v_dual_sub_f32 v34, v35, v27 :: v_dual_mul_f32 v31, v30, v29
	s_delay_alu instid0(VALU_DEP_1) | instskip(NEXT) | instid1(VALU_DEP_2)
	v_add_f32_e32 v25, v25, v34
	v_fma_f32 v30, v29, v30, -v31
	s_delay_alu instid0(VALU_DEP_1) | instskip(NEXT) | instid1(VALU_DEP_1)
	v_fmac_f32_e32 v30, v29, v28
	v_add_f32_e32 v28, v31, v30
	s_delay_alu instid0(VALU_DEP_1) | instskip(SKIP_1) | instid1(VALU_DEP_2)
	v_sub_f32_e32 v33, v27, v28
	v_sub_f32_e32 v31, v28, v31
	;; [unrolled: 1-line block ×3, first 2 shown]
	s_delay_alu instid0(VALU_DEP_1) | instskip(NEXT) | instid1(VALU_DEP_1)
	v_sub_f32_e32 v27, v27, v28
	v_dual_sub_f32 v28, v31, v30 :: v_dual_add_f32 v25, v25, v27
	v_add_f32_e32 v27, v32, v29
	s_delay_alu instid0(VALU_DEP_1) | instskip(NEXT) | instid1(VALU_DEP_1)
	v_dual_add_f32 v25, v28, v25 :: v_dual_sub_f32 v28, v27, v32
	v_add_f32_e32 v25, v33, v25
	s_delay_alu instid0(VALU_DEP_1) | instskip(NEXT) | instid1(VALU_DEP_1)
	v_dual_sub_f32 v28, v29, v28 :: v_dual_mul_f32 v25, v26, v25
	v_add_f32_e32 v25, v28, v25
	s_delay_alu instid0(VALU_DEP_1) | instskip(NEXT) | instid1(VALU_DEP_1)
	v_add_f32_e32 v26, v27, v25
	v_mul_f32_e32 v28, v26, v26
	s_delay_alu instid0(VALU_DEP_1) | instskip(SKIP_1) | instid1(VALU_DEP_2)
	v_fmaak_f32 v29, s13, v28, 0x3ecc95a3
	v_mul_f32_e32 v30, v26, v28
	v_fmaak_f32 v28, v28, v29, 0x3f2aaada
	v_ldexp_f32 v29, v26, 1
	v_sub_f32_e32 v26, v26, v27
	s_delay_alu instid0(VALU_DEP_3) | instskip(NEXT) | instid1(VALU_DEP_2)
	v_mul_f32_e32 v28, v30, v28
	v_dual_mul_f32 v30, 0x3f317218, v24 :: v_dual_sub_f32 v25, v25, v26
	s_delay_alu instid0(VALU_DEP_2) | instskip(NEXT) | instid1(VALU_DEP_2)
	v_add_f32_e32 v27, v29, v28
	v_ldexp_f32 v25, v25, 1
	s_delay_alu instid0(VALU_DEP_2) | instskip(NEXT) | instid1(VALU_DEP_4)
	v_sub_f32_e32 v26, v27, v29
	v_fma_f32 v29, 0x3f317218, v24, -v30
	s_delay_alu instid0(VALU_DEP_1) | instskip(NEXT) | instid1(VALU_DEP_1)
	v_dual_sub_f32 v26, v28, v26 :: v_dual_fmac_f32 v29, 0xb102e308, v24
	v_add_f32_e32 v24, v25, v26
	s_delay_alu instid0(VALU_DEP_1) | instskip(NEXT) | instid1(VALU_DEP_1)
	v_add_f32_e32 v26, v27, v24
	v_sub_f32_e32 v27, v26, v27
	s_delay_alu instid0(VALU_DEP_1) | instskip(NEXT) | instid1(VALU_DEP_1)
	v_dual_sub_f32 v24, v24, v27 :: v_dual_add_f32 v25, v30, v29
	v_add_f32_e32 v28, v25, v26
	s_delay_alu instid0(VALU_DEP_1) | instskip(NEXT) | instid1(VALU_DEP_1)
	v_dual_sub_f32 v30, v25, v30 :: v_dual_sub_f32 v31, v28, v25
	v_dual_sub_f32 v29, v29, v30 :: v_dual_sub_f32 v32, v28, v31
	s_delay_alu instid0(VALU_DEP_1) | instskip(NEXT) | instid1(VALU_DEP_2)
	v_dual_sub_f32 v26, v26, v31 :: v_dual_add_f32 v27, v29, v24
	v_sub_f32_e32 v25, v25, v32
	s_delay_alu instid0(VALU_DEP_1) | instskip(NEXT) | instid1(VALU_DEP_3)
	v_add_f32_e32 v25, v26, v25
	v_sub_f32_e32 v26, v27, v29
	s_delay_alu instid0(VALU_DEP_2) | instskip(NEXT) | instid1(VALU_DEP_2)
	v_add_f32_e32 v25, v27, v25
	v_sub_f32_e32 v27, v27, v26
	v_sub_f32_e32 v24, v24, v26
	s_delay_alu instid0(VALU_DEP_3) | instskip(NEXT) | instid1(VALU_DEP_1)
	v_add_f32_e32 v30, v28, v25
	v_dual_sub_f32 v26, v29, v27 :: v_dual_sub_f32 v27, v30, v28
	s_delay_alu instid0(VALU_DEP_1) | instskip(NEXT) | instid1(VALU_DEP_1)
	v_dual_add_f32 v24, v24, v26 :: v_dual_sub_f32 v25, v25, v27
	v_add_f32_e32 v24, v24, v25
	s_delay_alu instid0(VALU_DEP_1) | instskip(NEXT) | instid1(VALU_DEP_1)
	v_add_f32_e32 v24, v30, v24
	v_cndmask_b32_e32 v24, v24, v23, vcc_lo
	v_cmp_ngt_f32_e32 vcc_lo, -1.0, v23
	s_delay_alu instid0(VALU_DEP_2) | instskip(SKIP_1) | instid1(VALU_DEP_2)
	v_cndmask_b32_e32 v24, 0x7fc00000, v24, vcc_lo
	v_cmp_neq_f32_e32 vcc_lo, -1.0, v23
	v_cndmask_b32_e32 v24, 0xff800000, v24, vcc_lo
	v_cmp_gt_f32_e64 vcc_lo, 0x33800000, |v23|
	s_delay_alu instid0(VALU_DEP_2)
	v_cndmask_b32_e32 v25, v24, v23, vcc_lo
	v_add_co_u32 v23, vcc_lo, v7, s6
	v_add_co_ci_u32_e32 v24, vcc_lo, s7, v8, vcc_lo
	global_store_b32 v[23:24], v25, off
	s_branch .LBB203_8
.LBB203_25:
	s_nop 0
	s_sendmsg sendmsg(MSG_DEALLOC_VGPRS)
	s_endpgm
	.section	.rodata,"a",@progbits
	.p2align	6, 0x0
	.amdhsa_kernel _ZN2at6native12_GLOBAL__N_125multi_tensor_apply_kernelINS1_18TensorListMetadataILi2EEENS1_14UnaryOpFunctorIfLi2ELi1ELi1EEEJNS0_5Log1pIfEEEEEvT_T0_DpT1_
		.amdhsa_group_segment_fixed_size 0
		.amdhsa_private_segment_fixed_size 0
		.amdhsa_kernarg_size 3408
		.amdhsa_user_sgpr_count 15
		.amdhsa_user_sgpr_dispatch_ptr 0
		.amdhsa_user_sgpr_queue_ptr 0
		.amdhsa_user_sgpr_kernarg_segment_ptr 1
		.amdhsa_user_sgpr_dispatch_id 0
		.amdhsa_user_sgpr_private_segment_size 0
		.amdhsa_wavefront_size32 1
		.amdhsa_uses_dynamic_stack 0
		.amdhsa_enable_private_segment 0
		.amdhsa_system_sgpr_workgroup_id_x 1
		.amdhsa_system_sgpr_workgroup_id_y 0
		.amdhsa_system_sgpr_workgroup_id_z 0
		.amdhsa_system_sgpr_workgroup_info 0
		.amdhsa_system_vgpr_workitem_id 0
		.amdhsa_next_free_vgpr 58
		.amdhsa_next_free_sgpr 24
		.amdhsa_reserve_vcc 1
		.amdhsa_float_round_mode_32 0
		.amdhsa_float_round_mode_16_64 0
		.amdhsa_float_denorm_mode_32 3
		.amdhsa_float_denorm_mode_16_64 3
		.amdhsa_dx10_clamp 1
		.amdhsa_ieee_mode 1
		.amdhsa_fp16_overflow 0
		.amdhsa_workgroup_processor_mode 1
		.amdhsa_memory_ordered 1
		.amdhsa_forward_progress 0
		.amdhsa_shared_vgpr_count 0
		.amdhsa_exception_fp_ieee_invalid_op 0
		.amdhsa_exception_fp_denorm_src 0
		.amdhsa_exception_fp_ieee_div_zero 0
		.amdhsa_exception_fp_ieee_overflow 0
		.amdhsa_exception_fp_ieee_underflow 0
		.amdhsa_exception_fp_ieee_inexact 0
		.amdhsa_exception_int_div_zero 0
	.end_amdhsa_kernel
	.section	.text._ZN2at6native12_GLOBAL__N_125multi_tensor_apply_kernelINS1_18TensorListMetadataILi2EEENS1_14UnaryOpFunctorIfLi2ELi1ELi1EEEJNS0_5Log1pIfEEEEEvT_T0_DpT1_,"axG",@progbits,_ZN2at6native12_GLOBAL__N_125multi_tensor_apply_kernelINS1_18TensorListMetadataILi2EEENS1_14UnaryOpFunctorIfLi2ELi1ELi1EEEJNS0_5Log1pIfEEEEEvT_T0_DpT1_,comdat
.Lfunc_end203:
	.size	_ZN2at6native12_GLOBAL__N_125multi_tensor_apply_kernelINS1_18TensorListMetadataILi2EEENS1_14UnaryOpFunctorIfLi2ELi1ELi1EEEJNS0_5Log1pIfEEEEEvT_T0_DpT1_, .Lfunc_end203-_ZN2at6native12_GLOBAL__N_125multi_tensor_apply_kernelINS1_18TensorListMetadataILi2EEENS1_14UnaryOpFunctorIfLi2ELi1ELi1EEEJNS0_5Log1pIfEEEEEvT_T0_DpT1_
                                        ; -- End function
	.section	.AMDGPU.csdata,"",@progbits
; Kernel info:
; codeLenInByte = 6852
; NumSgprs: 26
; NumVgprs: 58
; ScratchSize: 0
; MemoryBound: 0
; FloatMode: 240
; IeeeMode: 1
; LDSByteSize: 0 bytes/workgroup (compile time only)
; SGPRBlocks: 3
; VGPRBlocks: 7
; NumSGPRsForWavesPerEU: 26
; NumVGPRsForWavesPerEU: 58
; Occupancy: 16
; WaveLimiterHint : 0
; COMPUTE_PGM_RSRC2:SCRATCH_EN: 0
; COMPUTE_PGM_RSRC2:USER_SGPR: 15
; COMPUTE_PGM_RSRC2:TRAP_HANDLER: 0
; COMPUTE_PGM_RSRC2:TGID_X_EN: 1
; COMPUTE_PGM_RSRC2:TGID_Y_EN: 0
; COMPUTE_PGM_RSRC2:TGID_Z_EN: 0
; COMPUTE_PGM_RSRC2:TIDIG_COMP_CNT: 0
	.section	.text._ZN2at6native12_GLOBAL__N_125multi_tensor_apply_kernelINS1_18TensorListMetadataILi2EEENS1_14UnaryOpFunctorIN3c107complexIdEELi2ELi1ELi1EEEJNS0_5Log1pIS8_EEEEEvT_T0_DpT1_,"axG",@progbits,_ZN2at6native12_GLOBAL__N_125multi_tensor_apply_kernelINS1_18TensorListMetadataILi2EEENS1_14UnaryOpFunctorIN3c107complexIdEELi2ELi1ELi1EEEJNS0_5Log1pIS8_EEEEEvT_T0_DpT1_,comdat
	.globl	_ZN2at6native12_GLOBAL__N_125multi_tensor_apply_kernelINS1_18TensorListMetadataILi2EEENS1_14UnaryOpFunctorIN3c107complexIdEELi2ELi1ELi1EEEJNS0_5Log1pIS8_EEEEEvT_T0_DpT1_ ; -- Begin function _ZN2at6native12_GLOBAL__N_125multi_tensor_apply_kernelINS1_18TensorListMetadataILi2EEENS1_14UnaryOpFunctorIN3c107complexIdEELi2ELi1ELi1EEEJNS0_5Log1pIS8_EEEEEvT_T0_DpT1_
	.p2align	8
	.type	_ZN2at6native12_GLOBAL__N_125multi_tensor_apply_kernelINS1_18TensorListMetadataILi2EEENS1_14UnaryOpFunctorIN3c107complexIdEELi2ELi1ELi1EEEJNS0_5Log1pIS8_EEEEEvT_T0_DpT1_,@function
_ZN2at6native12_GLOBAL__N_125multi_tensor_apply_kernelINS1_18TensorListMetadataILi2EEENS1_14UnaryOpFunctorIN3c107complexIdEELi2ELi1ELi1EEEJNS0_5Log1pIS8_EEEEEvT_T0_DpT1_: ; @_ZN2at6native12_GLOBAL__N_125multi_tensor_apply_kernelINS1_18TensorListMetadataILi2EEENS1_14UnaryOpFunctorIN3c107complexIdEELi2ELi1ELi1EEEJNS0_5Log1pIS8_EEEEEvT_T0_DpT1_
; %bb.0:
	v_mov_b32_e32 v1, s15
	s_add_u32 s2, s0, s15
	s_mul_hi_u32 s3, s15, 3
	s_mul_i32 s15, s15, 3
	s_addc_u32 s4, s1, 0
	global_load_u8 v1, v1, s[0:1] offset:1536
	s_add_u32 s2, s2, s15
	s_addc_u32 s3, s4, s3
	s_mov_b32 s7, 0
	s_load_b32 s2, s[2:3], 0x740
	s_mov_b32 s9, s7
	s_mov_b32 s11, s7
	s_waitcnt vmcnt(0)
	v_readfirstlane_b32 s5, v1
	s_delay_alu instid0(VALU_DEP_1)
	s_lshl_b32 s3, s5, 3
	s_clause 0x2
	s_load_b64 s[20:21], s[0:1], s3 offset:0x0
	s_load_b64 s[22:23], s[0:1], s3 offset:0x200
	;; [unrolled: 1-line block ×3, first 2 shown]
	s_waitcnt lgkmcnt(0)
	s_ashr_i32 s3, s2, 31
	s_delay_alu instid0(SALU_CYCLE_1) | instskip(NEXT) | instid1(SALU_CYCLE_1)
	s_lshl_b64 s[16:17], s[2:3], 20
	s_add_u32 s33, s20, s16
	s_addc_u32 s90, s21, s17
	s_add_u32 s91, s22, s16
	s_addc_u32 s92, s23, s17
	s_and_b32 s8, s33, 63
	s_and_b32 s10, s4, 3
	;; [unrolled: 1-line block ×3, first 2 shown]
	s_or_b64 s[8:9], s[8:9], s[10:11]
	s_lshl_b64 s[2:3], s[2:3], 16
	s_or_b64 s[6:7], s[6:7], s[8:9]
	s_sub_u32 s18, s4, s2
	s_subb_u32 s19, s5, s3
	s_cmp_eq_u64 s[6:7], 0
	s_mov_b32 s2, -1
	s_cbranch_scc0 .LBB204_29
; %bb.1:
	v_mov_b32_e32 v17, 0
	v_lshlrev_b32_e32 v1, 2, v0
	s_mov_b32 s93, exec_lo
	s_delay_alu instid0(VALU_DEP_2) | instskip(NEXT) | instid1(VALU_DEP_1)
	v_mov_b32_e32 v2, v17
	v_cmpx_gt_i64_e64 s[18:19], v[1:2]
	s_cbranch_execz .LBB204_28
; %bb.2:
	s_load_b32 s2, s[0:1], 0xc5c
	v_dual_mov_b32 v20, v17 :: v_dual_lshlrev_b32 v47, 6, v0
	v_mov_b32_e32 v48, 0x7f3321d2
	v_mov_b32_e32 v49, 0x4002d97c
	s_mov_b32 s24, 0x55555555
	s_mov_b32 s26, 0x6b47b09a
	;; [unrolled: 1-line block ×15, first 2 shown]
	s_waitcnt lgkmcnt(0)
	s_and_b32 s2, s2, 0xffff
	s_mov_b32 s56, 0xa57d9582
	v_add_lshl_u32 v19, v0, s2, 2
	s_mov_b32 s58, 0x5f08b19f
	s_mov_b32 s60, 0xfc27006a
	;; [unrolled: 1-line block ×23, first 2 shown]
	s_lshl_b32 s95, s2, 6
	s_mov_b32 s43, 0x3c7abc9e
	s_mov_b32 s45, 0x3ff921fb
	;; [unrolled: 1-line block ×22, first 2 shown]
	s_lshl_b32 s96, s2, 2
	s_mov_b32 s86, 0x55555780
	s_mov_b32 s89, 0x400921fb
	s_branch .LBB204_5
.LBB204_3:                              ;   in Loop: Header=BB204_5 Depth=1
	s_or_b32 exec_lo, exec_lo, s7
.LBB204_4:                              ;   in Loop: Header=BB204_5 Depth=1
	s_delay_alu instid0(SALU_CYCLE_1)
	s_or_b32 exec_lo, exec_lo, s6
	v_max_f64 v[45:46], |v[33:34]|, |v[33:34]|
	v_max_f64 v[50:51], |v[27:28]|, |v[27:28]|
	;; [unrolled: 1-line block ×4, first 2 shown]
	s_mov_b32 s88, s44
	v_cmp_eq_f64_e64 s12, 0, v[7:8]
	v_cmp_eq_f64_e64 s9, 0, v[15:16]
	;; [unrolled: 1-line block ×3, first 2 shown]
	v_cmp_gt_i32_e64 s10, 0, v40
	v_cmp_lt_u64_e64 s14, 0xffff, v[19:20]
	v_min_f64 v[37:38], v[45:46], v[37:38]
	v_min_f64 v[31:32], v[50:51], v[31:32]
	;; [unrolled: 1-line block ×4, first 2 shown]
	s_delay_alu instid0(VALU_DEP_4) | instskip(NEXT) | instid1(VALU_DEP_4)
	v_div_scale_f64 v[45:46], null, v[35:36], v[35:36], v[37:38]
	v_div_scale_f64 v[50:51], null, v[29:30], v[29:30], v[31:32]
	s_delay_alu instid0(VALU_DEP_4) | instskip(NEXT) | instid1(VALU_DEP_4)
	v_div_scale_f64 v[52:53], null, v[23:24], v[23:24], v[25:26]
	v_div_scale_f64 v[54:55], null, v[41:42], v[41:42], v[43:44]
	v_div_scale_f64 v[72:73], vcc_lo, v[37:38], v[35:36], v[37:38]
	v_rcp_f64_e32 v[56:57], v[45:46]
	s_delay_alu instid0(VALU_DEP_4) | instskip(NEXT) | instid1(VALU_DEP_3)
	v_rcp_f64_e32 v[58:59], v[50:51]
	v_rcp_f64_e32 v[60:61], v[52:53]
	s_delay_alu instid0(VALU_DEP_2) | instskip(SKIP_1) | instid1(TRANS32_DEP_3)
	v_rcp_f64_e32 v[62:63], v[54:55]
	v_fma_f64 v[64:65], -v[45:46], v[56:57], 1.0
	v_fma_f64 v[66:67], -v[50:51], v[58:59], 1.0
	s_waitcnt_depctr 0xfff
	v_fma_f64 v[68:69], -v[52:53], v[60:61], 1.0
	v_fma_f64 v[70:71], -v[54:55], v[62:63], 1.0
	v_fma_f64 v[56:57], v[56:57], v[64:65], v[56:57]
	v_fma_f64 v[58:59], v[58:59], v[66:67], v[58:59]
	s_delay_alu instid0(VALU_DEP_4) | instskip(NEXT) | instid1(VALU_DEP_4)
	v_fma_f64 v[60:61], v[60:61], v[68:69], v[60:61]
	v_fma_f64 v[62:63], v[62:63], v[70:71], v[62:63]
	s_delay_alu instid0(VALU_DEP_4) | instskip(NEXT) | instid1(VALU_DEP_4)
	v_fma_f64 v[64:65], -v[45:46], v[56:57], 1.0
	v_fma_f64 v[66:67], -v[50:51], v[58:59], 1.0
	s_delay_alu instid0(VALU_DEP_4) | instskip(NEXT) | instid1(VALU_DEP_4)
	v_fma_f64 v[68:69], -v[52:53], v[60:61], 1.0
	v_fma_f64 v[70:71], -v[54:55], v[62:63], 1.0
	s_delay_alu instid0(VALU_DEP_4)
	v_fma_f64 v[56:57], v[56:57], v[64:65], v[56:57]
	v_div_scale_f64 v[64:65], s6, v[31:32], v[29:30], v[31:32]
	v_fma_f64 v[58:59], v[58:59], v[66:67], v[58:59]
	v_div_scale_f64 v[66:67], s7, v[25:26], v[23:24], v[25:26]
	;; [unrolled: 2-line block ×3, first 2 shown]
	v_fma_f64 v[62:63], v[62:63], v[70:71], v[62:63]
	v_mul_f64 v[70:71], v[72:73], v[56:57]
	v_mul_f64 v[74:75], v[64:65], v[58:59]
	;; [unrolled: 1-line block ×3, first 2 shown]
	s_delay_alu instid0(VALU_DEP_4) | instskip(NEXT) | instid1(VALU_DEP_4)
	v_mul_f64 v[78:79], v[68:69], v[62:63]
	v_fma_f64 v[45:46], -v[45:46], v[70:71], v[72:73]
	s_delay_alu instid0(VALU_DEP_4) | instskip(NEXT) | instid1(VALU_DEP_4)
	v_fma_f64 v[50:51], -v[50:51], v[74:75], v[64:65]
	v_fma_f64 v[52:53], -v[52:53], v[76:77], v[66:67]
	s_delay_alu instid0(VALU_DEP_4) | instskip(NEXT) | instid1(VALU_DEP_4)
	v_fma_f64 v[54:55], -v[54:55], v[78:79], v[68:69]
	v_div_fmas_f64 v[45:46], v[45:46], v[56:57], v[70:71]
	s_mov_b32 vcc_lo, s6
	v_cmp_lt_f64_e64 s6, |v[27:28]|, |v[15:16]|
	v_div_fmas_f64 v[50:51], v[50:51], v[58:59], v[74:75]
	s_mov_b32 vcc_lo, s7
	v_cmp_lt_f64_e64 s7, |v[21:22]|, |v[3:4]|
	;; [unrolled: 3-line block ×3, first 2 shown]
	v_div_fmas_f64 v[54:55], v[54:55], v[62:63], v[78:79]
	v_cmp_lt_f64_e64 vcc_lo, |v[33:34]|, |v[11:12]|
	v_ashrrev_i32_e32 v27, 31, v34
	v_cndmask_b32_e64 v3, 0x54442d18, v48, s10
	v_add_co_u32 v21, s13, s91, v47
	v_div_fixup_f64 v[35:36], v[45:46], v[35:36], v[37:38]
	v_div_fixup_f64 v[29:30], v[50:51], v[29:30], v[31:32]
	;; [unrolled: 1-line block ×4, first 2 shown]
	s_delay_alu instid0(VALU_DEP_4) | instskip(NEXT) | instid1(VALU_DEP_4)
	v_mul_f64 v[31:32], v[35:36], v[35:36]
	v_mul_f64 v[37:38], v[29:30], v[29:30]
	s_delay_alu instid0(VALU_DEP_4) | instskip(NEXT) | instid1(VALU_DEP_4)
	v_mul_f64 v[41:42], v[23:24], v[23:24]
	v_mul_f64 v[43:44], v[25:26], v[25:26]
	s_delay_alu instid0(VALU_DEP_4) | instskip(NEXT) | instid1(VALU_DEP_4)
	v_fma_f64 v[45:46], v[31:32], s[48:49], s[46:47]
	v_fma_f64 v[50:51], v[37:38], s[48:49], s[46:47]
	s_delay_alu instid0(VALU_DEP_4) | instskip(NEXT) | instid1(VALU_DEP_4)
	v_fma_f64 v[52:53], v[41:42], s[48:49], s[46:47]
	v_fma_f64 v[54:55], v[43:44], s[48:49], s[46:47]
	;; [unrolled: 3-line block ×38, first 2 shown]
	s_delay_alu instid0(VALU_DEP_4) | instskip(SKIP_4) | instid1(VALU_DEP_4)
	v_mul_f64 v[31:32], v[31:32], v[45:46]
	v_ashrrev_i32_e32 v45, 31, v40
	v_and_b32_e32 v46, 0x54442d18, v27
	v_mul_f64 v[37:38], v[37:38], v[50:51]
	v_mul_f64 v[41:42], v[41:42], v[52:53]
	v_and_b32_e32 v40, 0x400921fb, v45
	v_mul_f64 v[43:44], v[43:44], v[54:55]
	v_fma_f64 v[31:32], v[35:36], v[31:32], v[35:36]
	v_fma_f64 v[29:30], v[29:30], v[37:38], v[29:30]
	;; [unrolled: 1-line block ×3, first 2 shown]
	s_delay_alu instid0(VALU_DEP_4) | instskip(NEXT) | instid1(VALU_DEP_4)
	v_fma_f64 v[25:26], v[25:26], v[43:44], v[25:26]
	v_add_f64 v[35:36], -v[31:32], s[44:45]
	s_delay_alu instid0(VALU_DEP_4) | instskip(NEXT) | instid1(VALU_DEP_4)
	v_add_f64 v[37:38], -v[29:30], s[44:45]
	v_add_f64 v[41:42], -v[23:24], s[44:45]
	s_delay_alu instid0(VALU_DEP_4) | instskip(NEXT) | instid1(VALU_DEP_4)
	v_add_f64 v[43:44], -v[25:26], s[44:45]
	v_dual_cndmask_b32 v32, v32, v36 :: v_dual_cndmask_b32 v31, v31, v35
	v_cmp_gt_i32_e32 vcc_lo, 0, v34
	v_cndmask_b32_e64 v30, v30, v38, s6
	v_cndmask_b32_e64 v29, v29, v37, s6
	v_cmp_gt_i32_e64 s6, 0, v28
	v_cndmask_b32_e64 v24, v24, v42, s7
	v_cndmask_b32_e64 v23, v23, v41, s7
	v_add_f64 v[35:36], -v[31:32], s[88:89]
	v_cndmask_b32_e64 v26, v26, v44, s8
	v_cndmask_b32_e64 v25, v25, v43, s8
	v_cmp_eq_f64_e64 s8, 0, v[11:12]
	v_add_f64 v[41:42], -v[23:24], s[88:89]
	v_add_f64 v[37:38], -v[29:30], s[88:89]
	v_ashrrev_i32_e32 v28, 31, v28
	v_add_f64 v[43:44], -v[25:26], s[88:89]
	v_ashrrev_i32_e32 v34, 31, v22
	v_cmp_gt_i32_e64 s7, 0, v22
	v_cndmask_b32_e32 v18, 0x54442d18, v48, vcc_lo
	v_and_b32_e32 v50, 0x54442d18, v28
	v_cndmask_b32_e32 v7, 0x3fe921fb, v49, vcc_lo
	v_and_b32_e32 v51, 0x54442d18, v34
	v_cndmask_b32_e64 v33, 0x54442d18, v48, s6
	v_cndmask_b32_e64 v39, 0x54442d18, v48, s7
	v_add_co_ci_u32_e64 v22, null, s92, 0, s13
	v_bfi_b32 v7, 0x7fffffff, v7, v12
	v_cmp_le_i64_e64 s13, s[18:19], v[19:20]
	v_add_co_u32 v19, s15, v19, s96
	s_delay_alu instid0(VALU_DEP_1) | instskip(NEXT) | instid1(VALU_DEP_3)
	v_add_co_ci_u32_e64 v20, s15, 0, v20, s15
	s_or_b32 s13, s13, s14
	v_dual_cndmask_b32 v31, v31, v35 :: v_dual_cndmask_b32 v32, v32, v36
	s_and_b32 vcc_lo, s101, s102
	v_cndmask_b32_e64 v35, 0x3fe921fb, v49, s7
	v_cndmask_b32_e64 v15, v23, v41, s7
	v_and_b32_e32 v23, 0x54442d18, v45
	v_cndmask_b32_e64 v31, v31, v46, s8
	v_and_b32_e32 v27, 0x400921fb, v27
	v_cndmask_b32_e64 v25, v25, v43, s10
	v_cndmask_b32_e64 v11, v29, v37, s6
	;; [unrolled: 1-line block ×3, first 2 shown]
	v_cndmask_b32_e32 v18, v31, v18, vcc_lo
	v_cndmask_b32_e64 v27, v32, v27, s8
	v_and_b32_e32 v28, 0x400921fb, v28
	v_cndmask_b32_e64 v30, v30, v38, s6
	v_cndmask_b32_e64 v24, v24, v42, s7
	;; [unrolled: 1-line block ×3, first 2 shown]
	v_cndmask_b32_e32 v7, v27, v7, vcc_lo
	s_and_b32 vcc_lo, s103, s104
	v_and_b32_e32 v34, 0x400921fb, v34
	v_cndmask_b32_e64 v37, 0x3fe921fb, v49, s10
	v_cndmask_b32_e32 v23, v23, v3, vcc_lo
	v_cndmask_b32_e64 v26, v26, v44, s10
	v_bfi_b32 v29, 0x7fffffff, v29, v16
	v_cndmask_b32_e64 v11, v11, v50, s9
	v_cndmask_b32_e64 v25, v30, v28, s9
	v_bfi_b32 v35, 0x7fffffff, v35, v4
	v_cndmask_b32_e64 v24, v24, v34, s11
	v_bfi_b32 v37, 0x7fffffff, v37, v8
	v_cndmask_b32_e64 v26, v26, v40, s12
	s_and_b32 s6, s99, s100
	v_cndmask_b32_e64 v15, v15, v51, s11
	v_cndmask_b32_e64 v25, v25, v29, s6
	;; [unrolled: 1-line block ×3, first 2 shown]
	s_and_b32 s6, s97, s98
	v_cndmask_b32_e64 v11, 0, v18, s4
	v_cndmask_b32_e64 v24, v24, v35, s6
	v_cndmask_b32_e32 v18, v26, v37, vcc_lo
	v_cndmask_b32_e64 v28, v15, v39, s6
	v_cndmask_b32_e64 v7, 0x7ff80000, v7, s4
	;; [unrolled: 1-line block ×5, first 2 shown]
	s_add_u32 s33, s33, s95
	s_addc_u32 s90, s90, 0
	s_add_u32 s91, s91, s95
	s_addc_u32 s92, s92, 0
	v_cndmask_b32_e64 v3, 0, v28, s2
	v_bfi_b32 v4, 0x7fffffff, v24, v4
	v_bfi_b32 v12, 0x7fffffff, v7, v12
	s_and_b32 s4, exec_lo, s13
	v_cndmask_b32_e64 v15, 0, v27, s3
	v_bfi_b32 v16, 0x7fffffff, v25, v16
	v_cndmask_b32_e64 v7, 0, v23, s5
	v_bfi_b32 v8, 0x7fffffff, v18, v8
	s_or_b32 s94, s4, s94
	s_clause 0x3
	global_store_b128 v[21:22], v[1:4], off
	global_store_b128 v[21:22], v[13:16], off offset:16
	global_store_b128 v[21:22], v[9:12], off offset:32
	;; [unrolled: 1-line block ×3, first 2 shown]
	s_and_not1_b32 exec_lo, exec_lo, s94
	s_cbranch_execz .LBB204_28
.LBB204_5:                              ; =>This Inner Loop Header: Depth=1
	v_add_co_u32 v9, s2, s33, v47
	s_delay_alu instid0(VALU_DEP_1)
	v_add_co_ci_u32_e64 v10, null, s90, 0, s2
	global_load_b128 v[1:4], v[9:10], off
	s_waitcnt vmcnt(0)
	v_max_f64 v[5:6], |v[1:2]|, |v[1:2]|
	v_max_f64 v[25:26], |v[3:4]|, |v[3:4]|
	v_cmp_class_f64_e64 s4, v[1:2], 0x204
	v_cmp_class_f64_e64 s97, v[3:4], 0x204
	s_delay_alu instid0(VALU_DEP_3) | instskip(NEXT) | instid1(VALU_DEP_2)
	v_max_f64 v[5:6], v[5:6], v[25:26]
	s_or_b32 s4, s4, s97
	s_delay_alu instid0(VALU_DEP_1) | instskip(NEXT) | instid1(VALU_DEP_1)
	v_frexp_exp_i32_f64_e32 v18, v[5:6]
	v_sub_nc_u32_e32 v7, 0, v18
	s_delay_alu instid0(VALU_DEP_1) | instskip(SKIP_1) | instid1(VALU_DEP_2)
	v_ldexp_f64 v[5:6], |v[3:4]|, v7
	v_ldexp_f64 v[7:8], |v[1:2]|, v7
	v_mul_f64 v[5:6], v[5:6], v[5:6]
	s_delay_alu instid0(VALU_DEP_1)
	v_fma_f64 v[21:22], v[7:8], v[7:8], v[5:6]
	s_clause 0x2
	global_load_b128 v[13:16], v[9:10], off offset:16
	global_load_b128 v[5:8], v[9:10], off offset:48
	;; [unrolled: 1-line block ×3, first 2 shown]
	v_rsq_f64_e32 v[23:24], v[21:22]
	v_cmp_eq_f64_e32 vcc_lo, 0, v[21:22]
	s_waitcnt_depctr 0xfff
	v_mul_f64 v[27:28], v[21:22], v[23:24]
	v_mul_f64 v[23:24], v[23:24], 0.5
	s_delay_alu instid0(VALU_DEP_1) | instskip(NEXT) | instid1(VALU_DEP_1)
	v_fma_f64 v[29:30], -v[23:24], v[27:28], 0.5
	v_fma_f64 v[27:28], v[27:28], v[29:30], v[27:28]
	v_fma_f64 v[23:24], v[23:24], v[29:30], v[23:24]
	s_delay_alu instid0(VALU_DEP_2) | instskip(NEXT) | instid1(VALU_DEP_1)
	v_fma_f64 v[29:30], -v[27:28], v[27:28], v[21:22]
	v_fma_f64 v[23:24], v[29:30], v[23:24], v[27:28]
	s_delay_alu instid0(VALU_DEP_1) | instskip(SKIP_1) | instid1(VALU_DEP_2)
	v_dual_cndmask_b32 v22, v24, v22 :: v_dual_cndmask_b32 v21, v23, v21
	v_cmp_u_f64_e32 vcc_lo, v[1:2], v[3:4]
	v_ldexp_f64 v[23:24], v[21:22], v18
	v_add_f64 v[21:22], v[1:2], 1.0
	s_or_b32 s4, s4, vcc_lo
	s_delay_alu instid0(VALU_DEP_2) | instskip(NEXT) | instid1(VALU_DEP_2)
	v_cmp_ngt_f64_e64 s3, 0.5, v[23:24]
	v_max_f64 v[23:24], |v[21:22]|, v[25:26]
	v_cmp_o_f64_e64 s2, v[21:22], v[3:4]
	v_cmp_class_f64_e64 s98, v[21:22], 0x204
	s_delay_alu instid0(VALU_DEP_4) | instskip(NEXT) | instid1(SALU_CYCLE_1)
	s_or_b32 s3, s4, s3
	s_and_saveexec_b32 s4, s3
	s_delay_alu instid0(SALU_CYCLE_1)
	s_xor_b32 s3, exec_lo, s4
	s_cbranch_execz .LBB204_7
; %bb.6:                                ;   in Loop: Header=BB204_5 Depth=1
	s_delay_alu instid0(VALU_DEP_3) | instskip(NEXT) | instid1(VALU_DEP_2)
	v_frexp_exp_i32_f64_e32 v18, v[23:24]
	s_or_b32 s4, s98, s97
	s_mov_b32 s87, s25
	s_delay_alu instid0(VALU_DEP_1) | instskip(NEXT) | instid1(VALU_DEP_1)
	v_sub_nc_u32_e32 v27, 0, v18
	v_ldexp_f64 v[1:2], |v[3:4]|, v27
	v_ldexp_f64 v[27:28], |v[21:22]|, v27
	s_delay_alu instid0(VALU_DEP_2) | instskip(NEXT) | instid1(VALU_DEP_1)
	v_mul_f64 v[1:2], v[1:2], v[1:2]
	v_fma_f64 v[1:2], v[27:28], v[27:28], v[1:2]
	s_delay_alu instid0(VALU_DEP_1) | instskip(SKIP_4) | instid1(VALU_DEP_1)
	v_rsq_f64_e32 v[27:28], v[1:2]
	v_cmp_eq_f64_e32 vcc_lo, 0, v[1:2]
	s_waitcnt_depctr 0xfff
	v_mul_f64 v[29:30], v[1:2], v[27:28]
	v_mul_f64 v[27:28], v[27:28], 0.5
	v_fma_f64 v[31:32], -v[27:28], v[29:30], 0.5
	s_delay_alu instid0(VALU_DEP_1) | instskip(SKIP_1) | instid1(VALU_DEP_2)
	v_fma_f64 v[29:30], v[29:30], v[31:32], v[29:30]
	v_fma_f64 v[27:28], v[27:28], v[31:32], v[27:28]
	v_fma_f64 v[31:32], -v[29:30], v[29:30], v[1:2]
	s_delay_alu instid0(VALU_DEP_1) | instskip(NEXT) | instid1(VALU_DEP_1)
	v_fma_f64 v[27:28], v[31:32], v[27:28], v[29:30]
	v_dual_cndmask_b32 v2, v28, v2 :: v_dual_cndmask_b32 v1, v27, v1
	s_delay_alu instid0(VALU_DEP_1) | instskip(NEXT) | instid1(VALU_DEP_1)
	v_ldexp_f64 v[1:2], v[1:2], v18
	v_cndmask_b32_e64 v50, 0x7ff80000, v2, s2
	s_delay_alu instid0(VALU_DEP_2) | instskip(SKIP_1) | instid1(VALU_DEP_3)
	v_cndmask_b32_e64 v51, 0, v1, s2
	v_and_b32_e32 v2, 0x7fffffff, v2
	v_cndmask_b32_e64 v28, v50, 0x7ff00000, s4
	s_delay_alu instid0(VALU_DEP_3) | instskip(NEXT) | instid1(VALU_DEP_1)
	v_cndmask_b32_e64 v27, v51, 0, s4
	v_frexp_mant_f64_e32 v[29:30], v[27:28]
	s_delay_alu instid0(VALU_DEP_1) | instskip(SKIP_1) | instid1(VALU_DEP_1)
	v_cmp_gt_f64_e32 vcc_lo, s[24:25], v[29:30]
	v_cndmask_b32_e64 v18, 0x3ff00000, 2.0, vcc_lo
	v_mul_f64 v[29:30], v[29:30], v[17:18]
	v_frexp_exp_i32_f64_e32 v18, v[27:28]
	s_delay_alu instid0(VALU_DEP_2) | instskip(SKIP_1) | instid1(VALU_DEP_3)
	v_add_f64 v[31:32], v[29:30], 1.0
	v_add_f64 v[37:38], v[29:30], -1.0
	v_subrev_co_ci_u32_e32 v18, vcc_lo, 0, v18, vcc_lo
	v_cmp_eq_f64_e32 vcc_lo, 0x7ff00000, v[1:2]
	s_delay_alu instid0(VALU_DEP_4) | instskip(SKIP_2) | instid1(VALU_DEP_1)
	v_rcp_f64_e32 v[33:34], v[31:32]
	v_add_f64 v[39:40], v[31:32], -1.0
	s_and_b32 vcc_lo, s2, vcc_lo
	v_add_f64 v[29:30], v[29:30], -v[39:40]
	s_waitcnt_depctr 0xfff
	v_fma_f64 v[35:36], -v[31:32], v[33:34], 1.0
	s_delay_alu instid0(VALU_DEP_1) | instskip(NEXT) | instid1(VALU_DEP_1)
	v_fma_f64 v[33:34], v[35:36], v[33:34], v[33:34]
	v_fma_f64 v[35:36], -v[31:32], v[33:34], 1.0
	s_delay_alu instid0(VALU_DEP_1) | instskip(NEXT) | instid1(VALU_DEP_1)
	v_fma_f64 v[33:34], v[35:36], v[33:34], v[33:34]
	v_mul_f64 v[35:36], v[37:38], v[33:34]
	s_delay_alu instid0(VALU_DEP_1) | instskip(NEXT) | instid1(VALU_DEP_1)
	v_mul_f64 v[41:42], v[31:32], v[35:36]
	v_fma_f64 v[31:32], v[35:36], v[31:32], -v[41:42]
	s_delay_alu instid0(VALU_DEP_1) | instskip(NEXT) | instid1(VALU_DEP_1)
	v_fma_f64 v[29:30], v[35:36], v[29:30], v[31:32]
	v_add_f64 v[31:32], v[41:42], v[29:30]
	s_delay_alu instid0(VALU_DEP_1) | instskip(SKIP_1) | instid1(VALU_DEP_2)
	v_add_f64 v[39:40], v[37:38], -v[31:32]
	v_add_f64 v[41:42], v[31:32], -v[41:42]
	;; [unrolled: 1-line block ×3, first 2 shown]
	s_delay_alu instid0(VALU_DEP_2) | instskip(NEXT) | instid1(VALU_DEP_2)
	v_add_f64 v[29:30], v[41:42], -v[29:30]
	v_add_f64 v[31:32], v[37:38], -v[31:32]
	s_delay_alu instid0(VALU_DEP_1) | instskip(NEXT) | instid1(VALU_DEP_1)
	v_add_f64 v[29:30], v[29:30], v[31:32]
	v_add_f64 v[29:30], v[39:40], v[29:30]
	s_delay_alu instid0(VALU_DEP_1) | instskip(NEXT) | instid1(VALU_DEP_1)
	v_mul_f64 v[29:30], v[33:34], v[29:30]
	v_add_f64 v[31:32], v[35:36], v[29:30]
	s_delay_alu instid0(VALU_DEP_1) | instskip(NEXT) | instid1(VALU_DEP_1)
	v_mul_f64 v[33:34], v[31:32], v[31:32]
	v_fma_f64 v[37:38], v[33:34], s[28:29], s[26:27]
	v_mul_f64 v[39:40], v[31:32], v[33:34]
	s_delay_alu instid0(VALU_DEP_2) | instskip(NEXT) | instid1(VALU_DEP_1)
	v_fma_f64 v[37:38], v[33:34], v[37:38], s[30:31]
	v_fma_f64 v[37:38], v[33:34], v[37:38], s[34:35]
	s_delay_alu instid0(VALU_DEP_1) | instskip(NEXT) | instid1(VALU_DEP_1)
	v_fma_f64 v[37:38], v[33:34], v[37:38], s[36:37]
	v_fma_f64 v[37:38], v[33:34], v[37:38], s[38:39]
	s_delay_alu instid0(VALU_DEP_1) | instskip(SKIP_2) | instid1(VALU_DEP_3)
	v_fma_f64 v[33:34], v[33:34], v[37:38], s[86:87]
	v_ldexp_f64 v[37:38], v[31:32], 1
	v_add_f64 v[31:32], v[31:32], -v[35:36]
	v_mul_f64 v[33:34], v[39:40], v[33:34]
	v_cvt_f64_i32_e32 v[39:40], v18
	s_delay_alu instid0(VALU_DEP_3) | instskip(NEXT) | instid1(VALU_DEP_3)
	v_add_f64 v[29:30], v[29:30], -v[31:32]
	v_add_f64 v[35:36], v[37:38], v[33:34]
	s_delay_alu instid0(VALU_DEP_3) | instskip(NEXT) | instid1(VALU_DEP_3)
	v_mul_f64 v[41:42], v[39:40], s[40:41]
	v_ldexp_f64 v[29:30], v[29:30], 1
	s_delay_alu instid0(VALU_DEP_3) | instskip(NEXT) | instid1(VALU_DEP_3)
	v_add_f64 v[31:32], v[35:36], -v[37:38]
	v_fma_f64 v[37:38], v[39:40], s[40:41], -v[41:42]
	s_delay_alu instid0(VALU_DEP_2) | instskip(NEXT) | instid1(VALU_DEP_2)
	v_add_f64 v[31:32], v[33:34], -v[31:32]
	v_fma_f64 v[33:34], v[39:40], s[42:43], v[37:38]
	s_delay_alu instid0(VALU_DEP_2) | instskip(NEXT) | instid1(VALU_DEP_2)
	v_add_f64 v[29:30], v[29:30], v[31:32]
	v_add_f64 v[31:32], v[41:42], v[33:34]
	s_delay_alu instid0(VALU_DEP_2) | instskip(NEXT) | instid1(VALU_DEP_2)
	v_add_f64 v[37:38], v[35:36], v[29:30]
	v_add_f64 v[41:42], v[31:32], -v[41:42]
	s_delay_alu instid0(VALU_DEP_2) | instskip(SKIP_1) | instid1(VALU_DEP_3)
	v_add_f64 v[39:40], v[31:32], v[37:38]
	v_add_f64 v[35:36], v[37:38], -v[35:36]
	v_add_f64 v[33:34], v[33:34], -v[41:42]
	s_delay_alu instid0(VALU_DEP_3) | instskip(NEXT) | instid1(VALU_DEP_3)
	v_add_f64 v[43:44], v[39:40], -v[31:32]
	v_add_f64 v[29:30], v[29:30], -v[35:36]
	s_delay_alu instid0(VALU_DEP_2) | instskip(SKIP_1) | instid1(VALU_DEP_3)
	v_add_f64 v[45:46], v[39:40], -v[43:44]
	v_add_f64 v[35:36], v[37:38], -v[43:44]
	v_add_f64 v[37:38], v[33:34], v[29:30]
	s_delay_alu instid0(VALU_DEP_3) | instskip(NEXT) | instid1(VALU_DEP_1)
	v_add_f64 v[31:32], v[31:32], -v[45:46]
	v_add_f64 v[31:32], v[35:36], v[31:32]
	s_delay_alu instid0(VALU_DEP_3) | instskip(NEXT) | instid1(VALU_DEP_2)
	v_add_f64 v[35:36], v[37:38], -v[33:34]
	v_add_f64 v[31:32], v[37:38], v[31:32]
	s_delay_alu instid0(VALU_DEP_2) | instskip(SKIP_1) | instid1(VALU_DEP_3)
	v_add_f64 v[37:38], v[37:38], -v[35:36]
	v_add_f64 v[29:30], v[29:30], -v[35:36]
	v_add_f64 v[41:42], v[39:40], v[31:32]
	s_delay_alu instid0(VALU_DEP_3) | instskip(NEXT) | instid1(VALU_DEP_2)
	v_add_f64 v[33:34], v[33:34], -v[37:38]
	v_add_f64 v[35:36], v[41:42], -v[39:40]
	s_delay_alu instid0(VALU_DEP_2) | instskip(NEXT) | instid1(VALU_DEP_2)
	v_add_f64 v[29:30], v[29:30], v[33:34]
	v_add_f64 v[31:32], v[31:32], -v[35:36]
	s_delay_alu instid0(VALU_DEP_1) | instskip(NEXT) | instid1(VALU_DEP_1)
	v_add_f64 v[29:30], v[29:30], v[31:32]
	v_add_f64 v[1:2], v[41:42], v[29:30]
	s_delay_alu instid0(VALU_DEP_1) | instskip(NEXT) | instid1(VALU_DEP_1)
	v_cndmask_b32_e32 v1, v1, v51, vcc_lo
	v_cndmask_b32_e64 v1, v1, 0, s4
	s_delay_alu instid0(VALU_DEP_3) | instskip(SKIP_1) | instid1(VALU_DEP_2)
	v_cndmask_b32_e32 v2, v2, v50, vcc_lo
	v_cmp_ngt_f64_e32 vcc_lo, 0, v[27:28]
	v_cndmask_b32_e64 v2, v2, 0x7ff00000, s4
	s_delay_alu instid0(VALU_DEP_1) | instskip(SKIP_3) | instid1(VALU_DEP_4)
	v_cndmask_b32_e32 v2, 0x7ff80000, v2, vcc_lo
	v_cmp_nge_f64_e32 vcc_lo, 0, v[27:28]
	v_cndmask_b32_e32 v1, 0, v1, vcc_lo
	v_cmp_neq_f64_e32 vcc_lo, 0, v[27:28]
	v_cndmask_b32_e32 v2, 0xfff00000, v2, vcc_lo
.LBB204_7:                              ;   in Loop: Header=BB204_5 Depth=1
	s_and_not1_saveexec_b32 s3, s3
	s_cbranch_execz .LBB204_11
; %bb.8:                                ;   in Loop: Header=BB204_5 Depth=1
	s_delay_alu instid0(VALU_DEP_1) | instskip(SKIP_2) | instid1(VALU_DEP_1)
	v_add_f64 v[27:28], v[1:2], 2.0
	v_mul_f64 v[29:30], v[3:4], v[3:4]
	s_mov_b32 s4, exec_lo
	v_fma_f64 v[27:28], v[1:2], v[27:28], v[29:30]
	s_delay_alu instid0(VALU_DEP_1)
	v_cmpx_neq_f64_e32 0, v[27:28]
	s_cbranch_execz .LBB204_10
; %bb.9:                                ;   in Loop: Header=BB204_5 Depth=1
	v_add_f64 v[1:2], v[27:28], 1.0
	s_mov_b32 s87, s25
	s_delay_alu instid0(VALU_DEP_1) | instskip(SKIP_2) | instid1(VALU_DEP_3)
	v_frexp_mant_f64_e32 v[29:30], v[1:2]
	v_frexp_exp_i32_f64_e32 v18, v[1:2]
	v_add_f64 v[31:32], v[1:2], -1.0
	v_cmp_gt_f64_e32 vcc_lo, s[24:25], v[29:30]
	s_delay_alu instid0(VALU_DEP_2) | instskip(SKIP_2) | instid1(VALU_DEP_3)
	v_add_f64 v[29:30], v[31:32], -v[1:2]
	v_add_f64 v[31:32], v[27:28], -v[31:32]
	v_subrev_co_ci_u32_e32 v18, vcc_lo, 0, v18, vcc_lo
	v_add_f64 v[29:30], v[29:30], 1.0
	v_cmp_eq_f64_e32 vcc_lo, 0x7ff00000, v[27:28]
	s_delay_alu instid0(VALU_DEP_3) | instskip(NEXT) | instid1(VALU_DEP_1)
	v_sub_nc_u32_e32 v35, 0, v18
	v_ldexp_f64 v[1:2], v[1:2], v35
	s_delay_alu instid0(VALU_DEP_4) | instskip(NEXT) | instid1(VALU_DEP_2)
	v_add_f64 v[29:30], v[31:32], v[29:30]
	v_add_f64 v[33:34], v[1:2], 1.0
	v_add_f64 v[39:40], v[1:2], -1.0
	s_delay_alu instid0(VALU_DEP_3) | instskip(NEXT) | instid1(VALU_DEP_3)
	v_ldexp_f64 v[29:30], v[29:30], v35
	v_add_f64 v[31:32], v[33:34], -1.0
	s_delay_alu instid0(VALU_DEP_3) | instskip(NEXT) | instid1(VALU_DEP_2)
	v_add_f64 v[41:42], v[39:40], 1.0
	v_add_f64 v[31:32], v[1:2], -v[31:32]
	s_delay_alu instid0(VALU_DEP_2) | instskip(NEXT) | instid1(VALU_DEP_2)
	v_add_f64 v[1:2], v[1:2], -v[41:42]
	v_add_f64 v[31:32], v[29:30], v[31:32]
	s_delay_alu instid0(VALU_DEP_2) | instskip(NEXT) | instid1(VALU_DEP_2)
	v_add_f64 v[1:2], v[29:30], v[1:2]
	v_add_f64 v[35:36], v[33:34], v[31:32]
	s_delay_alu instid0(VALU_DEP_2) | instskip(NEXT) | instid1(VALU_DEP_2)
	v_add_f64 v[41:42], v[39:40], v[1:2]
	v_rcp_f64_e32 v[37:38], v[35:36]
	v_add_f64 v[33:34], v[35:36], -v[33:34]
	s_delay_alu instid0(VALU_DEP_2) | instskip(NEXT) | instid1(VALU_DEP_2)
	v_add_f64 v[39:40], v[41:42], -v[39:40]
	v_add_f64 v[31:32], v[31:32], -v[33:34]
	s_waitcnt_depctr 0xfff
	v_fma_f64 v[43:44], -v[35:36], v[37:38], 1.0
	v_add_f64 v[1:2], v[1:2], -v[39:40]
	s_delay_alu instid0(VALU_DEP_2) | instskip(NEXT) | instid1(VALU_DEP_1)
	v_fma_f64 v[37:38], v[43:44], v[37:38], v[37:38]
	v_fma_f64 v[29:30], -v[35:36], v[37:38], 1.0
	s_delay_alu instid0(VALU_DEP_1) | instskip(NEXT) | instid1(VALU_DEP_1)
	v_fma_f64 v[29:30], v[29:30], v[37:38], v[37:38]
	v_mul_f64 v[37:38], v[41:42], v[29:30]
	s_delay_alu instid0(VALU_DEP_1) | instskip(NEXT) | instid1(VALU_DEP_1)
	v_mul_f64 v[43:44], v[35:36], v[37:38]
	v_fma_f64 v[33:34], v[37:38], v[35:36], -v[43:44]
	s_delay_alu instid0(VALU_DEP_1) | instskip(NEXT) | instid1(VALU_DEP_1)
	v_fma_f64 v[33:34], v[37:38], v[31:32], v[33:34]
	v_add_f64 v[45:46], v[43:44], v[33:34]
	s_delay_alu instid0(VALU_DEP_1) | instskip(SKIP_1) | instid1(VALU_DEP_2)
	v_add_f64 v[50:51], v[41:42], -v[45:46]
	v_add_f64 v[39:40], v[45:46], -v[43:44]
	;; [unrolled: 1-line block ×3, first 2 shown]
	s_delay_alu instid0(VALU_DEP_2) | instskip(NEXT) | instid1(VALU_DEP_2)
	v_add_f64 v[33:34], v[39:40], -v[33:34]
	v_add_f64 v[41:42], v[41:42], -v[45:46]
	s_delay_alu instid0(VALU_DEP_1) | instskip(NEXT) | instid1(VALU_DEP_1)
	v_add_f64 v[1:2], v[1:2], v[41:42]
	v_add_f64 v[1:2], v[33:34], v[1:2]
	s_delay_alu instid0(VALU_DEP_1) | instskip(NEXT) | instid1(VALU_DEP_1)
	v_add_f64 v[33:34], v[50:51], v[1:2]
	v_mul_f64 v[39:40], v[29:30], v[33:34]
	v_add_f64 v[45:46], v[50:51], -v[33:34]
	s_delay_alu instid0(VALU_DEP_2) | instskip(NEXT) | instid1(VALU_DEP_2)
	v_mul_f64 v[41:42], v[35:36], v[39:40]
	v_add_f64 v[1:2], v[1:2], v[45:46]
	s_delay_alu instid0(VALU_DEP_2) | instskip(NEXT) | instid1(VALU_DEP_1)
	v_fma_f64 v[35:36], v[39:40], v[35:36], -v[41:42]
	v_fma_f64 v[31:32], v[39:40], v[31:32], v[35:36]
	s_delay_alu instid0(VALU_DEP_1) | instskip(NEXT) | instid1(VALU_DEP_1)
	v_add_f64 v[35:36], v[41:42], v[31:32]
	v_add_f64 v[43:44], v[33:34], -v[35:36]
	v_add_f64 v[41:42], v[35:36], -v[41:42]
	s_delay_alu instid0(VALU_DEP_2) | instskip(NEXT) | instid1(VALU_DEP_2)
	v_add_f64 v[33:34], v[33:34], -v[43:44]
	v_add_f64 v[31:32], v[41:42], -v[31:32]
	s_delay_alu instid0(VALU_DEP_2) | instskip(NEXT) | instid1(VALU_DEP_1)
	v_add_f64 v[33:34], v[33:34], -v[35:36]
	v_add_f64 v[1:2], v[1:2], v[33:34]
	v_add_f64 v[33:34], v[37:38], v[39:40]
	s_delay_alu instid0(VALU_DEP_2) | instskip(NEXT) | instid1(VALU_DEP_2)
	v_add_f64 v[1:2], v[31:32], v[1:2]
	v_add_f64 v[31:32], v[33:34], -v[37:38]
	s_delay_alu instid0(VALU_DEP_2) | instskip(NEXT) | instid1(VALU_DEP_2)
	v_add_f64 v[1:2], v[43:44], v[1:2]
	v_add_f64 v[31:32], v[39:40], -v[31:32]
	s_delay_alu instid0(VALU_DEP_2) | instskip(NEXT) | instid1(VALU_DEP_1)
	v_mul_f64 v[1:2], v[29:30], v[1:2]
	v_add_f64 v[1:2], v[31:32], v[1:2]
	s_delay_alu instid0(VALU_DEP_1) | instskip(NEXT) | instid1(VALU_DEP_1)
	v_add_f64 v[29:30], v[33:34], v[1:2]
	v_mul_f64 v[31:32], v[29:30], v[29:30]
	s_delay_alu instid0(VALU_DEP_1) | instskip(SKIP_1) | instid1(VALU_DEP_2)
	v_fma_f64 v[35:36], v[31:32], s[28:29], s[26:27]
	v_mul_f64 v[37:38], v[29:30], v[31:32]
	v_fma_f64 v[35:36], v[31:32], v[35:36], s[30:31]
	s_delay_alu instid0(VALU_DEP_1) | instskip(NEXT) | instid1(VALU_DEP_1)
	v_fma_f64 v[35:36], v[31:32], v[35:36], s[34:35]
	v_fma_f64 v[35:36], v[31:32], v[35:36], s[36:37]
	s_delay_alu instid0(VALU_DEP_1) | instskip(NEXT) | instid1(VALU_DEP_1)
	v_fma_f64 v[35:36], v[31:32], v[35:36], s[38:39]
	v_fma_f64 v[31:32], v[31:32], v[35:36], s[86:87]
	v_ldexp_f64 v[35:36], v[29:30], 1
	v_add_f64 v[29:30], v[29:30], -v[33:34]
	s_delay_alu instid0(VALU_DEP_3) | instskip(SKIP_1) | instid1(VALU_DEP_3)
	v_mul_f64 v[31:32], v[37:38], v[31:32]
	v_cvt_f64_i32_e32 v[37:38], v18
	v_add_f64 v[1:2], v[1:2], -v[29:30]
	s_delay_alu instid0(VALU_DEP_3) | instskip(NEXT) | instid1(VALU_DEP_3)
	v_add_f64 v[33:34], v[35:36], v[31:32]
	v_mul_f64 v[39:40], v[37:38], s[40:41]
	s_delay_alu instid0(VALU_DEP_3) | instskip(NEXT) | instid1(VALU_DEP_3)
	v_ldexp_f64 v[1:2], v[1:2], 1
	v_add_f64 v[29:30], v[33:34], -v[35:36]
	s_delay_alu instid0(VALU_DEP_3) | instskip(NEXT) | instid1(VALU_DEP_2)
	v_fma_f64 v[35:36], v[37:38], s[40:41], -v[39:40]
	v_add_f64 v[29:30], v[31:32], -v[29:30]
	s_delay_alu instid0(VALU_DEP_2) | instskip(NEXT) | instid1(VALU_DEP_2)
	v_fma_f64 v[31:32], v[37:38], s[42:43], v[35:36]
	v_add_f64 v[1:2], v[1:2], v[29:30]
	s_delay_alu instid0(VALU_DEP_2) | instskip(NEXT) | instid1(VALU_DEP_2)
	v_add_f64 v[29:30], v[39:40], v[31:32]
	v_add_f64 v[35:36], v[33:34], v[1:2]
	s_delay_alu instid0(VALU_DEP_2) | instskip(NEXT) | instid1(VALU_DEP_2)
	v_add_f64 v[39:40], v[29:30], -v[39:40]
	v_add_f64 v[37:38], v[29:30], v[35:36]
	v_add_f64 v[33:34], v[35:36], -v[33:34]
	s_delay_alu instid0(VALU_DEP_3) | instskip(NEXT) | instid1(VALU_DEP_3)
	v_add_f64 v[31:32], v[31:32], -v[39:40]
	v_add_f64 v[41:42], v[37:38], -v[29:30]
	s_delay_alu instid0(VALU_DEP_3) | instskip(NEXT) | instid1(VALU_DEP_2)
	v_add_f64 v[1:2], v[1:2], -v[33:34]
	v_add_f64 v[43:44], v[37:38], -v[41:42]
	;; [unrolled: 1-line block ×3, first 2 shown]
	s_delay_alu instid0(VALU_DEP_3) | instskip(NEXT) | instid1(VALU_DEP_3)
	v_add_f64 v[35:36], v[31:32], v[1:2]
	v_add_f64 v[29:30], v[29:30], -v[43:44]
	s_delay_alu instid0(VALU_DEP_1) | instskip(NEXT) | instid1(VALU_DEP_3)
	v_add_f64 v[29:30], v[33:34], v[29:30]
	v_add_f64 v[33:34], v[35:36], -v[31:32]
	s_delay_alu instid0(VALU_DEP_2) | instskip(NEXT) | instid1(VALU_DEP_2)
	v_add_f64 v[29:30], v[35:36], v[29:30]
	v_add_f64 v[35:36], v[35:36], -v[33:34]
	v_add_f64 v[1:2], v[1:2], -v[33:34]
	s_delay_alu instid0(VALU_DEP_3) | instskip(NEXT) | instid1(VALU_DEP_3)
	v_add_f64 v[39:40], v[37:38], v[29:30]
	v_add_f64 v[31:32], v[31:32], -v[35:36]
	s_delay_alu instid0(VALU_DEP_2) | instskip(NEXT) | instid1(VALU_DEP_2)
	v_add_f64 v[33:34], v[39:40], -v[37:38]
	v_add_f64 v[1:2], v[1:2], v[31:32]
	s_delay_alu instid0(VALU_DEP_2) | instskip(NEXT) | instid1(VALU_DEP_1)
	v_add_f64 v[29:30], v[29:30], -v[33:34]
	v_add_f64 v[1:2], v[1:2], v[29:30]
	s_delay_alu instid0(VALU_DEP_1) | instskip(NEXT) | instid1(VALU_DEP_1)
	v_add_f64 v[1:2], v[39:40], v[1:2]
	v_dual_cndmask_b32 v2, v2, v28 :: v_dual_cndmask_b32 v1, v1, v27
	v_cmp_ngt_f64_e32 vcc_lo, -1.0, v[27:28]
	s_delay_alu instid0(VALU_DEP_2) | instskip(NEXT) | instid1(VALU_DEP_1)
	v_mul_f64 v[1:2], v[1:2], 0.5
	v_cndmask_b32_e32 v2, 0x7ff80000, v2, vcc_lo
	v_cmp_nge_f64_e32 vcc_lo, -1.0, v[27:28]
	s_delay_alu instid0(VALU_DEP_3) | instskip(SKIP_1) | instid1(VALU_DEP_4)
	v_cndmask_b32_e32 v1, 0, v1, vcc_lo
	v_cmp_neq_f64_e32 vcc_lo, -1.0, v[27:28]
	v_cndmask_b32_e32 v2, 0xfff00000, v2, vcc_lo
.LBB204_10:                             ;   in Loop: Header=BB204_5 Depth=1
	s_or_b32 exec_lo, exec_lo, s4
.LBB204_11:                             ;   in Loop: Header=BB204_5 Depth=1
	s_delay_alu instid0(SALU_CYCLE_1)
	s_or_b32 exec_lo, exec_lo, s3
	s_waitcnt vmcnt(2)
	v_max_f64 v[27:28], |v[13:14]|, |v[13:14]|
	v_max_f64 v[31:32], |v[15:16]|, |v[15:16]|
	v_cmp_class_f64_e64 s5, v[13:14], 0x204
	v_cmp_class_f64_e64 s99, v[15:16], 0x204
	s_delay_alu instid0(VALU_DEP_3) | instskip(NEXT) | instid1(VALU_DEP_2)
	v_max_f64 v[27:28], v[27:28], v[31:32]
	s_or_b32 s5, s5, s99
	s_delay_alu instid0(VALU_DEP_1) | instskip(NEXT) | instid1(VALU_DEP_1)
	v_frexp_exp_i32_f64_e32 v18, v[27:28]
	v_sub_nc_u32_e32 v29, 0, v18
	s_delay_alu instid0(VALU_DEP_1) | instskip(SKIP_1) | instid1(VALU_DEP_2)
	v_ldexp_f64 v[27:28], |v[15:16]|, v29
	v_ldexp_f64 v[29:30], |v[13:14]|, v29
	v_mul_f64 v[27:28], v[27:28], v[27:28]
	s_delay_alu instid0(VALU_DEP_1) | instskip(NEXT) | instid1(VALU_DEP_1)
	v_fma_f64 v[27:28], v[29:30], v[29:30], v[27:28]
	v_rsq_f64_e32 v[29:30], v[27:28]
	v_cmp_eq_f64_e32 vcc_lo, 0, v[27:28]
	s_waitcnt_depctr 0xfff
	v_mul_f64 v[33:34], v[27:28], v[29:30]
	v_mul_f64 v[29:30], v[29:30], 0.5
	s_delay_alu instid0(VALU_DEP_1) | instskip(NEXT) | instid1(VALU_DEP_1)
	v_fma_f64 v[35:36], -v[29:30], v[33:34], 0.5
	v_fma_f64 v[33:34], v[33:34], v[35:36], v[33:34]
	v_fma_f64 v[29:30], v[29:30], v[35:36], v[29:30]
	s_delay_alu instid0(VALU_DEP_2) | instskip(NEXT) | instid1(VALU_DEP_1)
	v_fma_f64 v[35:36], -v[33:34], v[33:34], v[27:28]
	v_fma_f64 v[29:30], v[35:36], v[29:30], v[33:34]
	s_delay_alu instid0(VALU_DEP_1) | instskip(SKIP_1) | instid1(VALU_DEP_2)
	v_dual_cndmask_b32 v28, v30, v28 :: v_dual_cndmask_b32 v27, v29, v27
	v_cmp_u_f64_e32 vcc_lo, v[13:14], v[15:16]
	v_ldexp_f64 v[29:30], v[27:28], v18
	v_add_f64 v[27:28], v[13:14], 1.0
	s_or_b32 s5, s5, vcc_lo
	s_delay_alu instid0(VALU_DEP_2) | instskip(NEXT) | instid1(VALU_DEP_2)
	v_cmp_ngt_f64_e64 s4, 0.5, v[29:30]
	v_max_f64 v[29:30], |v[27:28]|, v[31:32]
	v_cmp_o_f64_e64 s3, v[27:28], v[15:16]
	v_cmp_class_f64_e64 s100, v[27:28], 0x204
	s_delay_alu instid0(VALU_DEP_4) | instskip(NEXT) | instid1(SALU_CYCLE_1)
	s_or_b32 s4, s5, s4
	s_and_saveexec_b32 s5, s4
	s_delay_alu instid0(SALU_CYCLE_1)
	s_xor_b32 s4, exec_lo, s5
	s_cbranch_execz .LBB204_13
; %bb.12:                               ;   in Loop: Header=BB204_5 Depth=1
	s_delay_alu instid0(VALU_DEP_3) | instskip(NEXT) | instid1(VALU_DEP_2)
	v_frexp_exp_i32_f64_e32 v18, v[29:30]
	s_or_b32 s5, s100, s99
	s_mov_b32 s87, s25
	s_delay_alu instid0(VALU_DEP_1) | instskip(NEXT) | instid1(VALU_DEP_1)
	v_sub_nc_u32_e32 v33, 0, v18
	v_ldexp_f64 v[13:14], |v[15:16]|, v33
	v_ldexp_f64 v[33:34], |v[27:28]|, v33
	s_delay_alu instid0(VALU_DEP_2) | instskip(NEXT) | instid1(VALU_DEP_1)
	v_mul_f64 v[13:14], v[13:14], v[13:14]
	v_fma_f64 v[13:14], v[33:34], v[33:34], v[13:14]
	s_delay_alu instid0(VALU_DEP_1) | instskip(SKIP_4) | instid1(VALU_DEP_1)
	v_rsq_f64_e32 v[33:34], v[13:14]
	v_cmp_eq_f64_e32 vcc_lo, 0, v[13:14]
	s_waitcnt_depctr 0xfff
	v_mul_f64 v[35:36], v[13:14], v[33:34]
	v_mul_f64 v[33:34], v[33:34], 0.5
	v_fma_f64 v[37:38], -v[33:34], v[35:36], 0.5
	s_delay_alu instid0(VALU_DEP_1) | instskip(SKIP_1) | instid1(VALU_DEP_2)
	v_fma_f64 v[35:36], v[35:36], v[37:38], v[35:36]
	v_fma_f64 v[33:34], v[33:34], v[37:38], v[33:34]
	v_fma_f64 v[37:38], -v[35:36], v[35:36], v[13:14]
	s_delay_alu instid0(VALU_DEP_1) | instskip(NEXT) | instid1(VALU_DEP_1)
	v_fma_f64 v[33:34], v[37:38], v[33:34], v[35:36]
	v_dual_cndmask_b32 v14, v34, v14 :: v_dual_cndmask_b32 v13, v33, v13
	s_delay_alu instid0(VALU_DEP_1) | instskip(NEXT) | instid1(VALU_DEP_1)
	v_ldexp_f64 v[13:14], v[13:14], v18
	v_cndmask_b32_e64 v56, 0x7ff80000, v14, s3
	s_delay_alu instid0(VALU_DEP_2) | instskip(SKIP_1) | instid1(VALU_DEP_3)
	v_cndmask_b32_e64 v57, 0, v13, s3
	v_and_b32_e32 v14, 0x7fffffff, v14
	v_cndmask_b32_e64 v34, v56, 0x7ff00000, s5
	s_delay_alu instid0(VALU_DEP_3) | instskip(NEXT) | instid1(VALU_DEP_1)
	v_cndmask_b32_e64 v33, v57, 0, s5
	v_frexp_mant_f64_e32 v[35:36], v[33:34]
	s_delay_alu instid0(VALU_DEP_1) | instskip(SKIP_1) | instid1(VALU_DEP_1)
	v_cmp_gt_f64_e32 vcc_lo, s[24:25], v[35:36]
	v_cndmask_b32_e64 v18, 0x3ff00000, 2.0, vcc_lo
	v_mul_f64 v[35:36], v[35:36], v[17:18]
	v_frexp_exp_i32_f64_e32 v18, v[33:34]
	s_delay_alu instid0(VALU_DEP_2) | instskip(SKIP_1) | instid1(VALU_DEP_3)
	v_add_f64 v[37:38], v[35:36], 1.0
	v_add_f64 v[43:44], v[35:36], -1.0
	v_subrev_co_ci_u32_e32 v18, vcc_lo, 0, v18, vcc_lo
	v_cmp_eq_f64_e32 vcc_lo, 0x7ff00000, v[13:14]
	s_delay_alu instid0(VALU_DEP_4) | instskip(SKIP_2) | instid1(VALU_DEP_1)
	v_rcp_f64_e32 v[39:40], v[37:38]
	v_add_f64 v[45:46], v[37:38], -1.0
	s_and_b32 vcc_lo, s3, vcc_lo
	v_add_f64 v[35:36], v[35:36], -v[45:46]
	s_waitcnt_depctr 0xfff
	v_fma_f64 v[41:42], -v[37:38], v[39:40], 1.0
	s_delay_alu instid0(VALU_DEP_1) | instskip(NEXT) | instid1(VALU_DEP_1)
	v_fma_f64 v[39:40], v[41:42], v[39:40], v[39:40]
	v_fma_f64 v[41:42], -v[37:38], v[39:40], 1.0
	s_delay_alu instid0(VALU_DEP_1) | instskip(NEXT) | instid1(VALU_DEP_1)
	v_fma_f64 v[39:40], v[41:42], v[39:40], v[39:40]
	v_mul_f64 v[41:42], v[43:44], v[39:40]
	s_delay_alu instid0(VALU_DEP_1) | instskip(NEXT) | instid1(VALU_DEP_1)
	v_mul_f64 v[50:51], v[37:38], v[41:42]
	v_fma_f64 v[37:38], v[41:42], v[37:38], -v[50:51]
	s_delay_alu instid0(VALU_DEP_1) | instskip(NEXT) | instid1(VALU_DEP_1)
	v_fma_f64 v[35:36], v[41:42], v[35:36], v[37:38]
	v_add_f64 v[37:38], v[50:51], v[35:36]
	s_delay_alu instid0(VALU_DEP_1) | instskip(SKIP_1) | instid1(VALU_DEP_2)
	v_add_f64 v[45:46], v[43:44], -v[37:38]
	v_add_f64 v[50:51], v[37:38], -v[50:51]
	;; [unrolled: 1-line block ×3, first 2 shown]
	s_delay_alu instid0(VALU_DEP_2) | instskip(NEXT) | instid1(VALU_DEP_2)
	v_add_f64 v[35:36], v[50:51], -v[35:36]
	v_add_f64 v[37:38], v[43:44], -v[37:38]
	s_delay_alu instid0(VALU_DEP_1) | instskip(NEXT) | instid1(VALU_DEP_1)
	v_add_f64 v[35:36], v[35:36], v[37:38]
	v_add_f64 v[35:36], v[45:46], v[35:36]
	s_delay_alu instid0(VALU_DEP_1) | instskip(NEXT) | instid1(VALU_DEP_1)
	v_mul_f64 v[35:36], v[39:40], v[35:36]
	v_add_f64 v[37:38], v[41:42], v[35:36]
	s_delay_alu instid0(VALU_DEP_1) | instskip(NEXT) | instid1(VALU_DEP_1)
	v_mul_f64 v[39:40], v[37:38], v[37:38]
	v_fma_f64 v[43:44], v[39:40], s[28:29], s[26:27]
	v_mul_f64 v[45:46], v[37:38], v[39:40]
	s_delay_alu instid0(VALU_DEP_2) | instskip(NEXT) | instid1(VALU_DEP_1)
	v_fma_f64 v[43:44], v[39:40], v[43:44], s[30:31]
	v_fma_f64 v[43:44], v[39:40], v[43:44], s[34:35]
	s_delay_alu instid0(VALU_DEP_1) | instskip(NEXT) | instid1(VALU_DEP_1)
	v_fma_f64 v[43:44], v[39:40], v[43:44], s[36:37]
	v_fma_f64 v[43:44], v[39:40], v[43:44], s[38:39]
	s_delay_alu instid0(VALU_DEP_1) | instskip(SKIP_2) | instid1(VALU_DEP_3)
	v_fma_f64 v[39:40], v[39:40], v[43:44], s[86:87]
	v_ldexp_f64 v[43:44], v[37:38], 1
	v_add_f64 v[37:38], v[37:38], -v[41:42]
	v_mul_f64 v[39:40], v[45:46], v[39:40]
	v_cvt_f64_i32_e32 v[45:46], v18
	s_delay_alu instid0(VALU_DEP_3) | instskip(NEXT) | instid1(VALU_DEP_3)
	v_add_f64 v[35:36], v[35:36], -v[37:38]
	v_add_f64 v[41:42], v[43:44], v[39:40]
	s_delay_alu instid0(VALU_DEP_3) | instskip(NEXT) | instid1(VALU_DEP_3)
	v_mul_f64 v[50:51], v[45:46], s[40:41]
	v_ldexp_f64 v[35:36], v[35:36], 1
	s_delay_alu instid0(VALU_DEP_3) | instskip(NEXT) | instid1(VALU_DEP_3)
	v_add_f64 v[37:38], v[41:42], -v[43:44]
	v_fma_f64 v[43:44], v[45:46], s[40:41], -v[50:51]
	s_delay_alu instid0(VALU_DEP_2) | instskip(NEXT) | instid1(VALU_DEP_2)
	v_add_f64 v[37:38], v[39:40], -v[37:38]
	v_fma_f64 v[39:40], v[45:46], s[42:43], v[43:44]
	s_delay_alu instid0(VALU_DEP_2) | instskip(NEXT) | instid1(VALU_DEP_2)
	v_add_f64 v[35:36], v[35:36], v[37:38]
	v_add_f64 v[37:38], v[50:51], v[39:40]
	s_delay_alu instid0(VALU_DEP_2) | instskip(NEXT) | instid1(VALU_DEP_2)
	v_add_f64 v[43:44], v[41:42], v[35:36]
	v_add_f64 v[50:51], v[37:38], -v[50:51]
	s_delay_alu instid0(VALU_DEP_2) | instskip(SKIP_1) | instid1(VALU_DEP_3)
	v_add_f64 v[45:46], v[37:38], v[43:44]
	v_add_f64 v[41:42], v[43:44], -v[41:42]
	v_add_f64 v[39:40], v[39:40], -v[50:51]
	s_delay_alu instid0(VALU_DEP_3) | instskip(NEXT) | instid1(VALU_DEP_3)
	v_add_f64 v[52:53], v[45:46], -v[37:38]
	v_add_f64 v[35:36], v[35:36], -v[41:42]
	s_delay_alu instid0(VALU_DEP_2) | instskip(SKIP_1) | instid1(VALU_DEP_3)
	v_add_f64 v[54:55], v[45:46], -v[52:53]
	v_add_f64 v[41:42], v[43:44], -v[52:53]
	v_add_f64 v[43:44], v[39:40], v[35:36]
	s_delay_alu instid0(VALU_DEP_3) | instskip(NEXT) | instid1(VALU_DEP_1)
	v_add_f64 v[37:38], v[37:38], -v[54:55]
	v_add_f64 v[37:38], v[41:42], v[37:38]
	s_delay_alu instid0(VALU_DEP_3) | instskip(NEXT) | instid1(VALU_DEP_2)
	v_add_f64 v[41:42], v[43:44], -v[39:40]
	v_add_f64 v[37:38], v[43:44], v[37:38]
	s_delay_alu instid0(VALU_DEP_2) | instskip(SKIP_1) | instid1(VALU_DEP_3)
	v_add_f64 v[43:44], v[43:44], -v[41:42]
	v_add_f64 v[35:36], v[35:36], -v[41:42]
	v_add_f64 v[50:51], v[45:46], v[37:38]
	s_delay_alu instid0(VALU_DEP_3) | instskip(NEXT) | instid1(VALU_DEP_2)
	v_add_f64 v[39:40], v[39:40], -v[43:44]
	v_add_f64 v[41:42], v[50:51], -v[45:46]
	s_delay_alu instid0(VALU_DEP_2) | instskip(NEXT) | instid1(VALU_DEP_2)
	v_add_f64 v[35:36], v[35:36], v[39:40]
	v_add_f64 v[37:38], v[37:38], -v[41:42]
	s_delay_alu instid0(VALU_DEP_1) | instskip(NEXT) | instid1(VALU_DEP_1)
	v_add_f64 v[35:36], v[35:36], v[37:38]
	v_add_f64 v[13:14], v[50:51], v[35:36]
	s_delay_alu instid0(VALU_DEP_1) | instskip(NEXT) | instid1(VALU_DEP_1)
	v_cndmask_b32_e32 v13, v13, v57, vcc_lo
	v_cndmask_b32_e64 v13, v13, 0, s5
	s_delay_alu instid0(VALU_DEP_3) | instskip(SKIP_1) | instid1(VALU_DEP_2)
	v_cndmask_b32_e32 v14, v14, v56, vcc_lo
	v_cmp_ngt_f64_e32 vcc_lo, 0, v[33:34]
	v_cndmask_b32_e64 v14, v14, 0x7ff00000, s5
	s_delay_alu instid0(VALU_DEP_1) | instskip(SKIP_3) | instid1(VALU_DEP_4)
	v_cndmask_b32_e32 v14, 0x7ff80000, v14, vcc_lo
	v_cmp_nge_f64_e32 vcc_lo, 0, v[33:34]
	v_cndmask_b32_e32 v13, 0, v13, vcc_lo
	v_cmp_neq_f64_e32 vcc_lo, 0, v[33:34]
	v_cndmask_b32_e32 v14, 0xfff00000, v14, vcc_lo
.LBB204_13:                             ;   in Loop: Header=BB204_5 Depth=1
	s_and_not1_saveexec_b32 s4, s4
	s_cbranch_execz .LBB204_17
; %bb.14:                               ;   in Loop: Header=BB204_5 Depth=1
	s_delay_alu instid0(VALU_DEP_1) | instskip(SKIP_2) | instid1(VALU_DEP_1)
	v_add_f64 v[33:34], v[13:14], 2.0
	v_mul_f64 v[35:36], v[15:16], v[15:16]
	s_mov_b32 s5, exec_lo
	v_fma_f64 v[33:34], v[13:14], v[33:34], v[35:36]
	s_delay_alu instid0(VALU_DEP_1)
	v_cmpx_neq_f64_e32 0, v[33:34]
	s_cbranch_execz .LBB204_16
; %bb.15:                               ;   in Loop: Header=BB204_5 Depth=1
	v_add_f64 v[13:14], v[33:34], 1.0
	s_mov_b32 s87, s25
	s_delay_alu instid0(VALU_DEP_1) | instskip(SKIP_2) | instid1(VALU_DEP_3)
	v_frexp_mant_f64_e32 v[35:36], v[13:14]
	v_frexp_exp_i32_f64_e32 v18, v[13:14]
	v_add_f64 v[37:38], v[13:14], -1.0
	v_cmp_gt_f64_e32 vcc_lo, s[24:25], v[35:36]
	s_delay_alu instid0(VALU_DEP_2) | instskip(SKIP_2) | instid1(VALU_DEP_3)
	v_add_f64 v[35:36], v[37:38], -v[13:14]
	v_add_f64 v[37:38], v[33:34], -v[37:38]
	v_subrev_co_ci_u32_e32 v18, vcc_lo, 0, v18, vcc_lo
	v_add_f64 v[35:36], v[35:36], 1.0
	v_cmp_eq_f64_e32 vcc_lo, 0x7ff00000, v[33:34]
	s_delay_alu instid0(VALU_DEP_3) | instskip(NEXT) | instid1(VALU_DEP_1)
	v_sub_nc_u32_e32 v41, 0, v18
	v_ldexp_f64 v[13:14], v[13:14], v41
	s_delay_alu instid0(VALU_DEP_4) | instskip(NEXT) | instid1(VALU_DEP_2)
	v_add_f64 v[35:36], v[37:38], v[35:36]
	v_add_f64 v[39:40], v[13:14], 1.0
	v_add_f64 v[45:46], v[13:14], -1.0
	s_delay_alu instid0(VALU_DEP_3) | instskip(NEXT) | instid1(VALU_DEP_3)
	v_ldexp_f64 v[35:36], v[35:36], v41
	v_add_f64 v[37:38], v[39:40], -1.0
	s_delay_alu instid0(VALU_DEP_3) | instskip(NEXT) | instid1(VALU_DEP_2)
	v_add_f64 v[50:51], v[45:46], 1.0
	v_add_f64 v[37:38], v[13:14], -v[37:38]
	s_delay_alu instid0(VALU_DEP_2) | instskip(NEXT) | instid1(VALU_DEP_2)
	v_add_f64 v[13:14], v[13:14], -v[50:51]
	v_add_f64 v[37:38], v[35:36], v[37:38]
	s_delay_alu instid0(VALU_DEP_2) | instskip(NEXT) | instid1(VALU_DEP_2)
	v_add_f64 v[13:14], v[35:36], v[13:14]
	v_add_f64 v[41:42], v[39:40], v[37:38]
	s_delay_alu instid0(VALU_DEP_2) | instskip(NEXT) | instid1(VALU_DEP_2)
	v_add_f64 v[50:51], v[45:46], v[13:14]
	v_rcp_f64_e32 v[43:44], v[41:42]
	v_add_f64 v[39:40], v[41:42], -v[39:40]
	s_delay_alu instid0(VALU_DEP_2) | instskip(NEXT) | instid1(VALU_DEP_2)
	v_add_f64 v[45:46], v[50:51], -v[45:46]
	v_add_f64 v[37:38], v[37:38], -v[39:40]
	s_waitcnt_depctr 0xfff
	v_fma_f64 v[52:53], -v[41:42], v[43:44], 1.0
	v_add_f64 v[13:14], v[13:14], -v[45:46]
	s_delay_alu instid0(VALU_DEP_2) | instskip(NEXT) | instid1(VALU_DEP_1)
	v_fma_f64 v[43:44], v[52:53], v[43:44], v[43:44]
	v_fma_f64 v[35:36], -v[41:42], v[43:44], 1.0
	s_delay_alu instid0(VALU_DEP_1) | instskip(NEXT) | instid1(VALU_DEP_1)
	v_fma_f64 v[35:36], v[35:36], v[43:44], v[43:44]
	v_mul_f64 v[43:44], v[50:51], v[35:36]
	s_delay_alu instid0(VALU_DEP_1) | instskip(NEXT) | instid1(VALU_DEP_1)
	v_mul_f64 v[52:53], v[41:42], v[43:44]
	v_fma_f64 v[39:40], v[43:44], v[41:42], -v[52:53]
	s_delay_alu instid0(VALU_DEP_1) | instskip(NEXT) | instid1(VALU_DEP_1)
	v_fma_f64 v[39:40], v[43:44], v[37:38], v[39:40]
	v_add_f64 v[54:55], v[52:53], v[39:40]
	s_delay_alu instid0(VALU_DEP_1) | instskip(SKIP_1) | instid1(VALU_DEP_2)
	v_add_f64 v[56:57], v[50:51], -v[54:55]
	v_add_f64 v[45:46], v[54:55], -v[52:53]
	;; [unrolled: 1-line block ×3, first 2 shown]
	s_delay_alu instid0(VALU_DEP_2) | instskip(NEXT) | instid1(VALU_DEP_2)
	v_add_f64 v[39:40], v[45:46], -v[39:40]
	v_add_f64 v[50:51], v[50:51], -v[54:55]
	s_delay_alu instid0(VALU_DEP_1) | instskip(NEXT) | instid1(VALU_DEP_1)
	v_add_f64 v[13:14], v[13:14], v[50:51]
	v_add_f64 v[13:14], v[39:40], v[13:14]
	s_delay_alu instid0(VALU_DEP_1) | instskip(NEXT) | instid1(VALU_DEP_1)
	v_add_f64 v[39:40], v[56:57], v[13:14]
	v_mul_f64 v[45:46], v[35:36], v[39:40]
	v_add_f64 v[54:55], v[56:57], -v[39:40]
	s_delay_alu instid0(VALU_DEP_2) | instskip(NEXT) | instid1(VALU_DEP_2)
	v_mul_f64 v[50:51], v[41:42], v[45:46]
	v_add_f64 v[13:14], v[13:14], v[54:55]
	s_delay_alu instid0(VALU_DEP_2) | instskip(NEXT) | instid1(VALU_DEP_1)
	v_fma_f64 v[41:42], v[45:46], v[41:42], -v[50:51]
	v_fma_f64 v[37:38], v[45:46], v[37:38], v[41:42]
	s_delay_alu instid0(VALU_DEP_1) | instskip(NEXT) | instid1(VALU_DEP_1)
	v_add_f64 v[41:42], v[50:51], v[37:38]
	v_add_f64 v[52:53], v[39:40], -v[41:42]
	v_add_f64 v[50:51], v[41:42], -v[50:51]
	s_delay_alu instid0(VALU_DEP_2) | instskip(NEXT) | instid1(VALU_DEP_2)
	v_add_f64 v[39:40], v[39:40], -v[52:53]
	v_add_f64 v[37:38], v[50:51], -v[37:38]
	s_delay_alu instid0(VALU_DEP_2) | instskip(NEXT) | instid1(VALU_DEP_1)
	v_add_f64 v[39:40], v[39:40], -v[41:42]
	v_add_f64 v[13:14], v[13:14], v[39:40]
	v_add_f64 v[39:40], v[43:44], v[45:46]
	s_delay_alu instid0(VALU_DEP_2) | instskip(NEXT) | instid1(VALU_DEP_2)
	v_add_f64 v[13:14], v[37:38], v[13:14]
	v_add_f64 v[37:38], v[39:40], -v[43:44]
	s_delay_alu instid0(VALU_DEP_2) | instskip(NEXT) | instid1(VALU_DEP_2)
	v_add_f64 v[13:14], v[52:53], v[13:14]
	v_add_f64 v[37:38], v[45:46], -v[37:38]
	s_delay_alu instid0(VALU_DEP_2) | instskip(NEXT) | instid1(VALU_DEP_1)
	v_mul_f64 v[13:14], v[35:36], v[13:14]
	v_add_f64 v[13:14], v[37:38], v[13:14]
	s_delay_alu instid0(VALU_DEP_1) | instskip(NEXT) | instid1(VALU_DEP_1)
	v_add_f64 v[35:36], v[39:40], v[13:14]
	v_mul_f64 v[37:38], v[35:36], v[35:36]
	s_delay_alu instid0(VALU_DEP_1) | instskip(SKIP_1) | instid1(VALU_DEP_2)
	v_fma_f64 v[41:42], v[37:38], s[28:29], s[26:27]
	v_mul_f64 v[43:44], v[35:36], v[37:38]
	v_fma_f64 v[41:42], v[37:38], v[41:42], s[30:31]
	s_delay_alu instid0(VALU_DEP_1) | instskip(NEXT) | instid1(VALU_DEP_1)
	v_fma_f64 v[41:42], v[37:38], v[41:42], s[34:35]
	v_fma_f64 v[41:42], v[37:38], v[41:42], s[36:37]
	s_delay_alu instid0(VALU_DEP_1) | instskip(NEXT) | instid1(VALU_DEP_1)
	v_fma_f64 v[41:42], v[37:38], v[41:42], s[38:39]
	v_fma_f64 v[37:38], v[37:38], v[41:42], s[86:87]
	v_ldexp_f64 v[41:42], v[35:36], 1
	v_add_f64 v[35:36], v[35:36], -v[39:40]
	s_delay_alu instid0(VALU_DEP_3) | instskip(SKIP_1) | instid1(VALU_DEP_3)
	v_mul_f64 v[37:38], v[43:44], v[37:38]
	v_cvt_f64_i32_e32 v[43:44], v18
	v_add_f64 v[13:14], v[13:14], -v[35:36]
	s_delay_alu instid0(VALU_DEP_3) | instskip(NEXT) | instid1(VALU_DEP_3)
	v_add_f64 v[39:40], v[41:42], v[37:38]
	v_mul_f64 v[45:46], v[43:44], s[40:41]
	s_delay_alu instid0(VALU_DEP_3) | instskip(NEXT) | instid1(VALU_DEP_3)
	v_ldexp_f64 v[13:14], v[13:14], 1
	v_add_f64 v[35:36], v[39:40], -v[41:42]
	s_delay_alu instid0(VALU_DEP_3) | instskip(NEXT) | instid1(VALU_DEP_2)
	v_fma_f64 v[41:42], v[43:44], s[40:41], -v[45:46]
	v_add_f64 v[35:36], v[37:38], -v[35:36]
	s_delay_alu instid0(VALU_DEP_2) | instskip(NEXT) | instid1(VALU_DEP_2)
	v_fma_f64 v[37:38], v[43:44], s[42:43], v[41:42]
	v_add_f64 v[13:14], v[13:14], v[35:36]
	s_delay_alu instid0(VALU_DEP_2) | instskip(NEXT) | instid1(VALU_DEP_2)
	v_add_f64 v[35:36], v[45:46], v[37:38]
	v_add_f64 v[41:42], v[39:40], v[13:14]
	s_delay_alu instid0(VALU_DEP_2) | instskip(NEXT) | instid1(VALU_DEP_2)
	v_add_f64 v[45:46], v[35:36], -v[45:46]
	v_add_f64 v[43:44], v[35:36], v[41:42]
	v_add_f64 v[39:40], v[41:42], -v[39:40]
	s_delay_alu instid0(VALU_DEP_3) | instskip(NEXT) | instid1(VALU_DEP_3)
	v_add_f64 v[37:38], v[37:38], -v[45:46]
	v_add_f64 v[50:51], v[43:44], -v[35:36]
	s_delay_alu instid0(VALU_DEP_3) | instskip(NEXT) | instid1(VALU_DEP_2)
	v_add_f64 v[13:14], v[13:14], -v[39:40]
	v_add_f64 v[52:53], v[43:44], -v[50:51]
	;; [unrolled: 1-line block ×3, first 2 shown]
	s_delay_alu instid0(VALU_DEP_3) | instskip(NEXT) | instid1(VALU_DEP_3)
	v_add_f64 v[41:42], v[37:38], v[13:14]
	v_add_f64 v[35:36], v[35:36], -v[52:53]
	s_delay_alu instid0(VALU_DEP_1) | instskip(NEXT) | instid1(VALU_DEP_3)
	v_add_f64 v[35:36], v[39:40], v[35:36]
	v_add_f64 v[39:40], v[41:42], -v[37:38]
	s_delay_alu instid0(VALU_DEP_2) | instskip(NEXT) | instid1(VALU_DEP_2)
	v_add_f64 v[35:36], v[41:42], v[35:36]
	v_add_f64 v[41:42], v[41:42], -v[39:40]
	v_add_f64 v[13:14], v[13:14], -v[39:40]
	s_delay_alu instid0(VALU_DEP_3) | instskip(NEXT) | instid1(VALU_DEP_3)
	v_add_f64 v[45:46], v[43:44], v[35:36]
	v_add_f64 v[37:38], v[37:38], -v[41:42]
	s_delay_alu instid0(VALU_DEP_2) | instskip(NEXT) | instid1(VALU_DEP_2)
	v_add_f64 v[39:40], v[45:46], -v[43:44]
	v_add_f64 v[13:14], v[13:14], v[37:38]
	s_delay_alu instid0(VALU_DEP_2) | instskip(NEXT) | instid1(VALU_DEP_1)
	v_add_f64 v[35:36], v[35:36], -v[39:40]
	v_add_f64 v[13:14], v[13:14], v[35:36]
	s_delay_alu instid0(VALU_DEP_1) | instskip(NEXT) | instid1(VALU_DEP_1)
	v_add_f64 v[13:14], v[45:46], v[13:14]
	v_dual_cndmask_b32 v14, v14, v34 :: v_dual_cndmask_b32 v13, v13, v33
	v_cmp_ngt_f64_e32 vcc_lo, -1.0, v[33:34]
	s_delay_alu instid0(VALU_DEP_2) | instskip(NEXT) | instid1(VALU_DEP_1)
	v_mul_f64 v[13:14], v[13:14], 0.5
	v_cndmask_b32_e32 v14, 0x7ff80000, v14, vcc_lo
	v_cmp_nge_f64_e32 vcc_lo, -1.0, v[33:34]
	s_delay_alu instid0(VALU_DEP_3) | instskip(SKIP_1) | instid1(VALU_DEP_4)
	v_cndmask_b32_e32 v13, 0, v13, vcc_lo
	v_cmp_neq_f64_e32 vcc_lo, -1.0, v[33:34]
	v_cndmask_b32_e32 v14, 0xfff00000, v14, vcc_lo
.LBB204_16:                             ;   in Loop: Header=BB204_5 Depth=1
	s_or_b32 exec_lo, exec_lo, s5
.LBB204_17:                             ;   in Loop: Header=BB204_5 Depth=1
	s_delay_alu instid0(SALU_CYCLE_1)
	s_or_b32 exec_lo, exec_lo, s4
	s_waitcnt vmcnt(0)
	v_max_f64 v[33:34], |v[9:10]|, |v[9:10]|
	v_max_f64 v[37:38], |v[11:12]|, |v[11:12]|
	v_cmp_class_f64_e64 s6, v[9:10], 0x204
	v_cmp_class_f64_e64 s101, v[11:12], 0x204
	s_delay_alu instid0(VALU_DEP_3) | instskip(NEXT) | instid1(VALU_DEP_2)
	v_max_f64 v[33:34], v[33:34], v[37:38]
	s_or_b32 s6, s6, s101
	s_delay_alu instid0(VALU_DEP_1) | instskip(NEXT) | instid1(VALU_DEP_1)
	v_frexp_exp_i32_f64_e32 v18, v[33:34]
	v_sub_nc_u32_e32 v35, 0, v18
	s_delay_alu instid0(VALU_DEP_1) | instskip(SKIP_1) | instid1(VALU_DEP_2)
	v_ldexp_f64 v[33:34], |v[11:12]|, v35
	v_ldexp_f64 v[35:36], |v[9:10]|, v35
	v_mul_f64 v[33:34], v[33:34], v[33:34]
	s_delay_alu instid0(VALU_DEP_1) | instskip(NEXT) | instid1(VALU_DEP_1)
	v_fma_f64 v[33:34], v[35:36], v[35:36], v[33:34]
	v_rsq_f64_e32 v[35:36], v[33:34]
	v_cmp_eq_f64_e32 vcc_lo, 0, v[33:34]
	s_waitcnt_depctr 0xfff
	v_mul_f64 v[39:40], v[33:34], v[35:36]
	v_mul_f64 v[35:36], v[35:36], 0.5
	s_delay_alu instid0(VALU_DEP_1) | instskip(NEXT) | instid1(VALU_DEP_1)
	v_fma_f64 v[41:42], -v[35:36], v[39:40], 0.5
	v_fma_f64 v[39:40], v[39:40], v[41:42], v[39:40]
	v_fma_f64 v[35:36], v[35:36], v[41:42], v[35:36]
	s_delay_alu instid0(VALU_DEP_2) | instskip(NEXT) | instid1(VALU_DEP_1)
	v_fma_f64 v[41:42], -v[39:40], v[39:40], v[33:34]
	v_fma_f64 v[35:36], v[41:42], v[35:36], v[39:40]
	s_delay_alu instid0(VALU_DEP_1) | instskip(SKIP_1) | instid1(VALU_DEP_2)
	v_dual_cndmask_b32 v34, v36, v34 :: v_dual_cndmask_b32 v33, v35, v33
	v_cmp_u_f64_e32 vcc_lo, v[9:10], v[11:12]
	v_ldexp_f64 v[35:36], v[33:34], v18
	v_add_f64 v[33:34], v[9:10], 1.0
	s_or_b32 s6, s6, vcc_lo
	s_delay_alu instid0(VALU_DEP_2) | instskip(NEXT) | instid1(VALU_DEP_2)
	v_cmp_ngt_f64_e64 s5, 0.5, v[35:36]
	v_max_f64 v[35:36], |v[33:34]|, v[37:38]
	v_cmp_o_f64_e64 s4, v[33:34], v[11:12]
	v_cmp_class_f64_e64 s102, v[33:34], 0x204
	s_delay_alu instid0(VALU_DEP_4) | instskip(NEXT) | instid1(SALU_CYCLE_1)
	s_or_b32 s5, s6, s5
	s_and_saveexec_b32 s6, s5
	s_delay_alu instid0(SALU_CYCLE_1)
	s_xor_b32 s5, exec_lo, s6
	s_cbranch_execz .LBB204_19
; %bb.18:                               ;   in Loop: Header=BB204_5 Depth=1
	s_delay_alu instid0(VALU_DEP_3) | instskip(NEXT) | instid1(VALU_DEP_2)
	v_frexp_exp_i32_f64_e32 v18, v[35:36]
	s_or_b32 s6, s102, s101
	s_mov_b32 s87, s25
	s_delay_alu instid0(VALU_DEP_1) | instskip(NEXT) | instid1(VALU_DEP_1)
	v_sub_nc_u32_e32 v39, 0, v18
	v_ldexp_f64 v[9:10], |v[11:12]|, v39
	v_ldexp_f64 v[39:40], |v[33:34]|, v39
	s_delay_alu instid0(VALU_DEP_2) | instskip(NEXT) | instid1(VALU_DEP_1)
	v_mul_f64 v[9:10], v[9:10], v[9:10]
	v_fma_f64 v[9:10], v[39:40], v[39:40], v[9:10]
	s_delay_alu instid0(VALU_DEP_1) | instskip(SKIP_4) | instid1(VALU_DEP_1)
	v_rsq_f64_e32 v[39:40], v[9:10]
	v_cmp_eq_f64_e32 vcc_lo, 0, v[9:10]
	s_waitcnt_depctr 0xfff
	v_mul_f64 v[41:42], v[9:10], v[39:40]
	v_mul_f64 v[39:40], v[39:40], 0.5
	v_fma_f64 v[43:44], -v[39:40], v[41:42], 0.5
	s_delay_alu instid0(VALU_DEP_1) | instskip(SKIP_1) | instid1(VALU_DEP_2)
	v_fma_f64 v[41:42], v[41:42], v[43:44], v[41:42]
	v_fma_f64 v[39:40], v[39:40], v[43:44], v[39:40]
	v_fma_f64 v[43:44], -v[41:42], v[41:42], v[9:10]
	s_delay_alu instid0(VALU_DEP_1) | instskip(NEXT) | instid1(VALU_DEP_1)
	v_fma_f64 v[39:40], v[43:44], v[39:40], v[41:42]
	v_dual_cndmask_b32 v10, v40, v10 :: v_dual_cndmask_b32 v9, v39, v9
	s_delay_alu instid0(VALU_DEP_1) | instskip(NEXT) | instid1(VALU_DEP_1)
	v_ldexp_f64 v[9:10], v[9:10], v18
	v_cndmask_b32_e64 v62, 0x7ff80000, v10, s4
	s_delay_alu instid0(VALU_DEP_2) | instskip(SKIP_1) | instid1(VALU_DEP_3)
	v_cndmask_b32_e64 v63, 0, v9, s4
	v_and_b32_e32 v10, 0x7fffffff, v10
	v_cndmask_b32_e64 v40, v62, 0x7ff00000, s6
	s_delay_alu instid0(VALU_DEP_3) | instskip(NEXT) | instid1(VALU_DEP_1)
	v_cndmask_b32_e64 v39, v63, 0, s6
	v_frexp_mant_f64_e32 v[41:42], v[39:40]
	s_delay_alu instid0(VALU_DEP_1) | instskip(SKIP_1) | instid1(VALU_DEP_1)
	v_cmp_gt_f64_e32 vcc_lo, s[24:25], v[41:42]
	v_cndmask_b32_e64 v18, 0x3ff00000, 2.0, vcc_lo
	v_mul_f64 v[41:42], v[41:42], v[17:18]
	v_frexp_exp_i32_f64_e32 v18, v[39:40]
	s_delay_alu instid0(VALU_DEP_2) | instskip(SKIP_1) | instid1(VALU_DEP_3)
	v_add_f64 v[43:44], v[41:42], 1.0
	v_add_f64 v[52:53], v[41:42], -1.0
	v_subrev_co_ci_u32_e32 v18, vcc_lo, 0, v18, vcc_lo
	v_cmp_eq_f64_e32 vcc_lo, 0x7ff00000, v[9:10]
	s_delay_alu instid0(VALU_DEP_4) | instskip(SKIP_2) | instid1(VALU_DEP_1)
	v_rcp_f64_e32 v[45:46], v[43:44]
	v_add_f64 v[54:55], v[43:44], -1.0
	s_and_b32 vcc_lo, s4, vcc_lo
	v_add_f64 v[41:42], v[41:42], -v[54:55]
	s_waitcnt_depctr 0xfff
	v_fma_f64 v[50:51], -v[43:44], v[45:46], 1.0
	s_delay_alu instid0(VALU_DEP_1) | instskip(NEXT) | instid1(VALU_DEP_1)
	v_fma_f64 v[45:46], v[50:51], v[45:46], v[45:46]
	v_fma_f64 v[50:51], -v[43:44], v[45:46], 1.0
	s_delay_alu instid0(VALU_DEP_1) | instskip(NEXT) | instid1(VALU_DEP_1)
	v_fma_f64 v[45:46], v[50:51], v[45:46], v[45:46]
	v_mul_f64 v[50:51], v[52:53], v[45:46]
	s_delay_alu instid0(VALU_DEP_1) | instskip(NEXT) | instid1(VALU_DEP_1)
	v_mul_f64 v[56:57], v[43:44], v[50:51]
	v_fma_f64 v[43:44], v[50:51], v[43:44], -v[56:57]
	s_delay_alu instid0(VALU_DEP_1) | instskip(NEXT) | instid1(VALU_DEP_1)
	v_fma_f64 v[41:42], v[50:51], v[41:42], v[43:44]
	v_add_f64 v[43:44], v[56:57], v[41:42]
	s_delay_alu instid0(VALU_DEP_1) | instskip(SKIP_1) | instid1(VALU_DEP_2)
	v_add_f64 v[54:55], v[52:53], -v[43:44]
	v_add_f64 v[56:57], v[43:44], -v[56:57]
	;; [unrolled: 1-line block ×3, first 2 shown]
	s_delay_alu instid0(VALU_DEP_2) | instskip(NEXT) | instid1(VALU_DEP_2)
	v_add_f64 v[41:42], v[56:57], -v[41:42]
	v_add_f64 v[43:44], v[52:53], -v[43:44]
	s_delay_alu instid0(VALU_DEP_1) | instskip(NEXT) | instid1(VALU_DEP_1)
	v_add_f64 v[41:42], v[41:42], v[43:44]
	v_add_f64 v[41:42], v[54:55], v[41:42]
	s_delay_alu instid0(VALU_DEP_1) | instskip(NEXT) | instid1(VALU_DEP_1)
	v_mul_f64 v[41:42], v[45:46], v[41:42]
	v_add_f64 v[43:44], v[50:51], v[41:42]
	s_delay_alu instid0(VALU_DEP_1) | instskip(NEXT) | instid1(VALU_DEP_1)
	v_mul_f64 v[45:46], v[43:44], v[43:44]
	v_fma_f64 v[52:53], v[45:46], s[28:29], s[26:27]
	v_mul_f64 v[54:55], v[43:44], v[45:46]
	s_delay_alu instid0(VALU_DEP_2) | instskip(NEXT) | instid1(VALU_DEP_1)
	v_fma_f64 v[52:53], v[45:46], v[52:53], s[30:31]
	v_fma_f64 v[52:53], v[45:46], v[52:53], s[34:35]
	s_delay_alu instid0(VALU_DEP_1) | instskip(NEXT) | instid1(VALU_DEP_1)
	v_fma_f64 v[52:53], v[45:46], v[52:53], s[36:37]
	v_fma_f64 v[52:53], v[45:46], v[52:53], s[38:39]
	s_delay_alu instid0(VALU_DEP_1) | instskip(SKIP_2) | instid1(VALU_DEP_3)
	v_fma_f64 v[45:46], v[45:46], v[52:53], s[86:87]
	v_ldexp_f64 v[52:53], v[43:44], 1
	v_add_f64 v[43:44], v[43:44], -v[50:51]
	v_mul_f64 v[45:46], v[54:55], v[45:46]
	v_cvt_f64_i32_e32 v[54:55], v18
	s_delay_alu instid0(VALU_DEP_3) | instskip(NEXT) | instid1(VALU_DEP_3)
	v_add_f64 v[41:42], v[41:42], -v[43:44]
	v_add_f64 v[50:51], v[52:53], v[45:46]
	s_delay_alu instid0(VALU_DEP_3) | instskip(NEXT) | instid1(VALU_DEP_3)
	v_mul_f64 v[56:57], v[54:55], s[40:41]
	v_ldexp_f64 v[41:42], v[41:42], 1
	s_delay_alu instid0(VALU_DEP_3) | instskip(NEXT) | instid1(VALU_DEP_3)
	v_add_f64 v[43:44], v[50:51], -v[52:53]
	v_fma_f64 v[52:53], v[54:55], s[40:41], -v[56:57]
	s_delay_alu instid0(VALU_DEP_2) | instskip(NEXT) | instid1(VALU_DEP_2)
	v_add_f64 v[43:44], v[45:46], -v[43:44]
	v_fma_f64 v[45:46], v[54:55], s[42:43], v[52:53]
	s_delay_alu instid0(VALU_DEP_2) | instskip(NEXT) | instid1(VALU_DEP_2)
	v_add_f64 v[41:42], v[41:42], v[43:44]
	v_add_f64 v[43:44], v[56:57], v[45:46]
	s_delay_alu instid0(VALU_DEP_2) | instskip(NEXT) | instid1(VALU_DEP_2)
	v_add_f64 v[52:53], v[50:51], v[41:42]
	v_add_f64 v[56:57], v[43:44], -v[56:57]
	s_delay_alu instid0(VALU_DEP_2) | instskip(SKIP_1) | instid1(VALU_DEP_3)
	v_add_f64 v[54:55], v[43:44], v[52:53]
	v_add_f64 v[50:51], v[52:53], -v[50:51]
	v_add_f64 v[45:46], v[45:46], -v[56:57]
	s_delay_alu instid0(VALU_DEP_3) | instskip(NEXT) | instid1(VALU_DEP_3)
	v_add_f64 v[58:59], v[54:55], -v[43:44]
	v_add_f64 v[41:42], v[41:42], -v[50:51]
	s_delay_alu instid0(VALU_DEP_2) | instskip(SKIP_1) | instid1(VALU_DEP_3)
	v_add_f64 v[60:61], v[54:55], -v[58:59]
	v_add_f64 v[50:51], v[52:53], -v[58:59]
	v_add_f64 v[52:53], v[45:46], v[41:42]
	s_delay_alu instid0(VALU_DEP_3) | instskip(NEXT) | instid1(VALU_DEP_1)
	v_add_f64 v[43:44], v[43:44], -v[60:61]
	v_add_f64 v[43:44], v[50:51], v[43:44]
	s_delay_alu instid0(VALU_DEP_3) | instskip(NEXT) | instid1(VALU_DEP_2)
	v_add_f64 v[50:51], v[52:53], -v[45:46]
	v_add_f64 v[43:44], v[52:53], v[43:44]
	s_delay_alu instid0(VALU_DEP_2) | instskip(SKIP_1) | instid1(VALU_DEP_3)
	v_add_f64 v[52:53], v[52:53], -v[50:51]
	v_add_f64 v[41:42], v[41:42], -v[50:51]
	v_add_f64 v[56:57], v[54:55], v[43:44]
	s_delay_alu instid0(VALU_DEP_3) | instskip(NEXT) | instid1(VALU_DEP_2)
	v_add_f64 v[45:46], v[45:46], -v[52:53]
	v_add_f64 v[50:51], v[56:57], -v[54:55]
	s_delay_alu instid0(VALU_DEP_2) | instskip(NEXT) | instid1(VALU_DEP_2)
	v_add_f64 v[41:42], v[41:42], v[45:46]
	v_add_f64 v[43:44], v[43:44], -v[50:51]
	s_delay_alu instid0(VALU_DEP_1) | instskip(NEXT) | instid1(VALU_DEP_1)
	v_add_f64 v[41:42], v[41:42], v[43:44]
	v_add_f64 v[9:10], v[56:57], v[41:42]
	s_delay_alu instid0(VALU_DEP_1) | instskip(NEXT) | instid1(VALU_DEP_1)
	v_cndmask_b32_e32 v9, v9, v63, vcc_lo
	v_cndmask_b32_e64 v9, v9, 0, s6
	s_delay_alu instid0(VALU_DEP_3) | instskip(SKIP_1) | instid1(VALU_DEP_2)
	v_cndmask_b32_e32 v10, v10, v62, vcc_lo
	v_cmp_ngt_f64_e32 vcc_lo, 0, v[39:40]
	v_cndmask_b32_e64 v10, v10, 0x7ff00000, s6
	s_delay_alu instid0(VALU_DEP_1) | instskip(SKIP_3) | instid1(VALU_DEP_4)
	v_cndmask_b32_e32 v10, 0x7ff80000, v10, vcc_lo
	v_cmp_nge_f64_e32 vcc_lo, 0, v[39:40]
	v_cndmask_b32_e32 v9, 0, v9, vcc_lo
	v_cmp_neq_f64_e32 vcc_lo, 0, v[39:40]
	v_cndmask_b32_e32 v10, 0xfff00000, v10, vcc_lo
.LBB204_19:                             ;   in Loop: Header=BB204_5 Depth=1
	s_and_not1_saveexec_b32 s5, s5
	s_cbranch_execz .LBB204_23
; %bb.20:                               ;   in Loop: Header=BB204_5 Depth=1
	s_delay_alu instid0(VALU_DEP_1) | instskip(SKIP_2) | instid1(VALU_DEP_1)
	v_add_f64 v[39:40], v[9:10], 2.0
	v_mul_f64 v[41:42], v[11:12], v[11:12]
	s_mov_b32 s6, exec_lo
	v_fma_f64 v[39:40], v[9:10], v[39:40], v[41:42]
	s_delay_alu instid0(VALU_DEP_1)
	v_cmpx_neq_f64_e32 0, v[39:40]
	s_cbranch_execz .LBB204_22
; %bb.21:                               ;   in Loop: Header=BB204_5 Depth=1
	v_add_f64 v[9:10], v[39:40], 1.0
	s_mov_b32 s87, s25
	s_delay_alu instid0(VALU_DEP_1) | instskip(SKIP_2) | instid1(VALU_DEP_3)
	v_frexp_mant_f64_e32 v[41:42], v[9:10]
	v_frexp_exp_i32_f64_e32 v18, v[9:10]
	v_add_f64 v[43:44], v[9:10], -1.0
	v_cmp_gt_f64_e32 vcc_lo, s[24:25], v[41:42]
	s_delay_alu instid0(VALU_DEP_2) | instskip(SKIP_2) | instid1(VALU_DEP_3)
	v_add_f64 v[41:42], v[43:44], -v[9:10]
	v_add_f64 v[43:44], v[39:40], -v[43:44]
	v_subrev_co_ci_u32_e32 v18, vcc_lo, 0, v18, vcc_lo
	v_add_f64 v[41:42], v[41:42], 1.0
	v_cmp_eq_f64_e32 vcc_lo, 0x7ff00000, v[39:40]
	s_delay_alu instid0(VALU_DEP_3) | instskip(NEXT) | instid1(VALU_DEP_1)
	v_sub_nc_u32_e32 v50, 0, v18
	v_ldexp_f64 v[9:10], v[9:10], v50
	s_delay_alu instid0(VALU_DEP_4) | instskip(NEXT) | instid1(VALU_DEP_2)
	v_add_f64 v[41:42], v[43:44], v[41:42]
	v_add_f64 v[45:46], v[9:10], 1.0
	v_add_f64 v[54:55], v[9:10], -1.0
	s_delay_alu instid0(VALU_DEP_3) | instskip(NEXT) | instid1(VALU_DEP_3)
	v_ldexp_f64 v[41:42], v[41:42], v50
	v_add_f64 v[43:44], v[45:46], -1.0
	s_delay_alu instid0(VALU_DEP_3) | instskip(NEXT) | instid1(VALU_DEP_2)
	v_add_f64 v[56:57], v[54:55], 1.0
	v_add_f64 v[43:44], v[9:10], -v[43:44]
	s_delay_alu instid0(VALU_DEP_2) | instskip(NEXT) | instid1(VALU_DEP_2)
	v_add_f64 v[9:10], v[9:10], -v[56:57]
	v_add_f64 v[43:44], v[41:42], v[43:44]
	s_delay_alu instid0(VALU_DEP_2) | instskip(NEXT) | instid1(VALU_DEP_2)
	v_add_f64 v[9:10], v[41:42], v[9:10]
	v_add_f64 v[50:51], v[45:46], v[43:44]
	s_delay_alu instid0(VALU_DEP_2) | instskip(NEXT) | instid1(VALU_DEP_2)
	v_add_f64 v[56:57], v[54:55], v[9:10]
	v_rcp_f64_e32 v[52:53], v[50:51]
	v_add_f64 v[45:46], v[50:51], -v[45:46]
	s_delay_alu instid0(VALU_DEP_2) | instskip(NEXT) | instid1(VALU_DEP_2)
	v_add_f64 v[54:55], v[56:57], -v[54:55]
	v_add_f64 v[43:44], v[43:44], -v[45:46]
	s_waitcnt_depctr 0xfff
	v_fma_f64 v[58:59], -v[50:51], v[52:53], 1.0
	v_add_f64 v[9:10], v[9:10], -v[54:55]
	s_delay_alu instid0(VALU_DEP_2) | instskip(NEXT) | instid1(VALU_DEP_1)
	v_fma_f64 v[52:53], v[58:59], v[52:53], v[52:53]
	v_fma_f64 v[41:42], -v[50:51], v[52:53], 1.0
	s_delay_alu instid0(VALU_DEP_1) | instskip(NEXT) | instid1(VALU_DEP_1)
	v_fma_f64 v[41:42], v[41:42], v[52:53], v[52:53]
	v_mul_f64 v[52:53], v[56:57], v[41:42]
	s_delay_alu instid0(VALU_DEP_1) | instskip(NEXT) | instid1(VALU_DEP_1)
	v_mul_f64 v[58:59], v[50:51], v[52:53]
	v_fma_f64 v[45:46], v[52:53], v[50:51], -v[58:59]
	s_delay_alu instid0(VALU_DEP_1) | instskip(NEXT) | instid1(VALU_DEP_1)
	v_fma_f64 v[45:46], v[52:53], v[43:44], v[45:46]
	v_add_f64 v[60:61], v[58:59], v[45:46]
	s_delay_alu instid0(VALU_DEP_1) | instskip(SKIP_1) | instid1(VALU_DEP_2)
	v_add_f64 v[62:63], v[56:57], -v[60:61]
	v_add_f64 v[54:55], v[60:61], -v[58:59]
	;; [unrolled: 1-line block ×3, first 2 shown]
	s_delay_alu instid0(VALU_DEP_2) | instskip(NEXT) | instid1(VALU_DEP_2)
	v_add_f64 v[45:46], v[54:55], -v[45:46]
	v_add_f64 v[56:57], v[56:57], -v[60:61]
	s_delay_alu instid0(VALU_DEP_1) | instskip(NEXT) | instid1(VALU_DEP_1)
	v_add_f64 v[9:10], v[9:10], v[56:57]
	v_add_f64 v[9:10], v[45:46], v[9:10]
	s_delay_alu instid0(VALU_DEP_1) | instskip(NEXT) | instid1(VALU_DEP_1)
	v_add_f64 v[45:46], v[62:63], v[9:10]
	v_mul_f64 v[54:55], v[41:42], v[45:46]
	v_add_f64 v[60:61], v[62:63], -v[45:46]
	s_delay_alu instid0(VALU_DEP_2) | instskip(NEXT) | instid1(VALU_DEP_2)
	v_mul_f64 v[56:57], v[50:51], v[54:55]
	v_add_f64 v[9:10], v[9:10], v[60:61]
	s_delay_alu instid0(VALU_DEP_2) | instskip(NEXT) | instid1(VALU_DEP_1)
	v_fma_f64 v[50:51], v[54:55], v[50:51], -v[56:57]
	v_fma_f64 v[43:44], v[54:55], v[43:44], v[50:51]
	s_delay_alu instid0(VALU_DEP_1) | instskip(NEXT) | instid1(VALU_DEP_1)
	v_add_f64 v[50:51], v[56:57], v[43:44]
	v_add_f64 v[58:59], v[45:46], -v[50:51]
	v_add_f64 v[56:57], v[50:51], -v[56:57]
	s_delay_alu instid0(VALU_DEP_2) | instskip(NEXT) | instid1(VALU_DEP_2)
	v_add_f64 v[45:46], v[45:46], -v[58:59]
	v_add_f64 v[43:44], v[56:57], -v[43:44]
	s_delay_alu instid0(VALU_DEP_2) | instskip(NEXT) | instid1(VALU_DEP_1)
	v_add_f64 v[45:46], v[45:46], -v[50:51]
	v_add_f64 v[9:10], v[9:10], v[45:46]
	v_add_f64 v[45:46], v[52:53], v[54:55]
	s_delay_alu instid0(VALU_DEP_2) | instskip(NEXT) | instid1(VALU_DEP_2)
	v_add_f64 v[9:10], v[43:44], v[9:10]
	v_add_f64 v[43:44], v[45:46], -v[52:53]
	s_delay_alu instid0(VALU_DEP_2) | instskip(NEXT) | instid1(VALU_DEP_2)
	v_add_f64 v[9:10], v[58:59], v[9:10]
	v_add_f64 v[43:44], v[54:55], -v[43:44]
	s_delay_alu instid0(VALU_DEP_2) | instskip(NEXT) | instid1(VALU_DEP_1)
	v_mul_f64 v[9:10], v[41:42], v[9:10]
	v_add_f64 v[9:10], v[43:44], v[9:10]
	s_delay_alu instid0(VALU_DEP_1) | instskip(NEXT) | instid1(VALU_DEP_1)
	v_add_f64 v[41:42], v[45:46], v[9:10]
	v_mul_f64 v[43:44], v[41:42], v[41:42]
	s_delay_alu instid0(VALU_DEP_1) | instskip(SKIP_1) | instid1(VALU_DEP_2)
	v_fma_f64 v[50:51], v[43:44], s[28:29], s[26:27]
	v_mul_f64 v[52:53], v[41:42], v[43:44]
	v_fma_f64 v[50:51], v[43:44], v[50:51], s[30:31]
	s_delay_alu instid0(VALU_DEP_1) | instskip(NEXT) | instid1(VALU_DEP_1)
	v_fma_f64 v[50:51], v[43:44], v[50:51], s[34:35]
	v_fma_f64 v[50:51], v[43:44], v[50:51], s[36:37]
	s_delay_alu instid0(VALU_DEP_1) | instskip(NEXT) | instid1(VALU_DEP_1)
	v_fma_f64 v[50:51], v[43:44], v[50:51], s[38:39]
	v_fma_f64 v[43:44], v[43:44], v[50:51], s[86:87]
	v_ldexp_f64 v[50:51], v[41:42], 1
	v_add_f64 v[41:42], v[41:42], -v[45:46]
	s_delay_alu instid0(VALU_DEP_3) | instskip(SKIP_1) | instid1(VALU_DEP_3)
	v_mul_f64 v[43:44], v[52:53], v[43:44]
	v_cvt_f64_i32_e32 v[52:53], v18
	v_add_f64 v[9:10], v[9:10], -v[41:42]
	s_delay_alu instid0(VALU_DEP_3) | instskip(NEXT) | instid1(VALU_DEP_3)
	v_add_f64 v[45:46], v[50:51], v[43:44]
	v_mul_f64 v[54:55], v[52:53], s[40:41]
	s_delay_alu instid0(VALU_DEP_3) | instskip(NEXT) | instid1(VALU_DEP_3)
	v_ldexp_f64 v[9:10], v[9:10], 1
	v_add_f64 v[41:42], v[45:46], -v[50:51]
	s_delay_alu instid0(VALU_DEP_3) | instskip(NEXT) | instid1(VALU_DEP_2)
	v_fma_f64 v[50:51], v[52:53], s[40:41], -v[54:55]
	v_add_f64 v[41:42], v[43:44], -v[41:42]
	s_delay_alu instid0(VALU_DEP_2) | instskip(NEXT) | instid1(VALU_DEP_2)
	v_fma_f64 v[43:44], v[52:53], s[42:43], v[50:51]
	v_add_f64 v[9:10], v[9:10], v[41:42]
	s_delay_alu instid0(VALU_DEP_2) | instskip(NEXT) | instid1(VALU_DEP_2)
	v_add_f64 v[41:42], v[54:55], v[43:44]
	v_add_f64 v[50:51], v[45:46], v[9:10]
	s_delay_alu instid0(VALU_DEP_2) | instskip(NEXT) | instid1(VALU_DEP_2)
	v_add_f64 v[54:55], v[41:42], -v[54:55]
	v_add_f64 v[52:53], v[41:42], v[50:51]
	v_add_f64 v[45:46], v[50:51], -v[45:46]
	s_delay_alu instid0(VALU_DEP_3) | instskip(NEXT) | instid1(VALU_DEP_3)
	v_add_f64 v[43:44], v[43:44], -v[54:55]
	v_add_f64 v[56:57], v[52:53], -v[41:42]
	s_delay_alu instid0(VALU_DEP_3) | instskip(NEXT) | instid1(VALU_DEP_2)
	v_add_f64 v[9:10], v[9:10], -v[45:46]
	v_add_f64 v[58:59], v[52:53], -v[56:57]
	;; [unrolled: 1-line block ×3, first 2 shown]
	s_delay_alu instid0(VALU_DEP_3) | instskip(NEXT) | instid1(VALU_DEP_3)
	v_add_f64 v[50:51], v[43:44], v[9:10]
	v_add_f64 v[41:42], v[41:42], -v[58:59]
	s_delay_alu instid0(VALU_DEP_1) | instskip(NEXT) | instid1(VALU_DEP_3)
	v_add_f64 v[41:42], v[45:46], v[41:42]
	v_add_f64 v[45:46], v[50:51], -v[43:44]
	s_delay_alu instid0(VALU_DEP_2) | instskip(NEXT) | instid1(VALU_DEP_2)
	v_add_f64 v[41:42], v[50:51], v[41:42]
	v_add_f64 v[50:51], v[50:51], -v[45:46]
	v_add_f64 v[9:10], v[9:10], -v[45:46]
	s_delay_alu instid0(VALU_DEP_3) | instskip(NEXT) | instid1(VALU_DEP_3)
	v_add_f64 v[54:55], v[52:53], v[41:42]
	v_add_f64 v[43:44], v[43:44], -v[50:51]
	s_delay_alu instid0(VALU_DEP_2) | instskip(NEXT) | instid1(VALU_DEP_2)
	v_add_f64 v[45:46], v[54:55], -v[52:53]
	v_add_f64 v[9:10], v[9:10], v[43:44]
	s_delay_alu instid0(VALU_DEP_2) | instskip(NEXT) | instid1(VALU_DEP_1)
	v_add_f64 v[41:42], v[41:42], -v[45:46]
	v_add_f64 v[9:10], v[9:10], v[41:42]
	s_delay_alu instid0(VALU_DEP_1) | instskip(NEXT) | instid1(VALU_DEP_1)
	v_add_f64 v[9:10], v[54:55], v[9:10]
	v_dual_cndmask_b32 v10, v10, v40 :: v_dual_cndmask_b32 v9, v9, v39
	v_cmp_ngt_f64_e32 vcc_lo, -1.0, v[39:40]
	s_delay_alu instid0(VALU_DEP_2) | instskip(NEXT) | instid1(VALU_DEP_1)
	v_mul_f64 v[9:10], v[9:10], 0.5
	v_cndmask_b32_e32 v10, 0x7ff80000, v10, vcc_lo
	v_cmp_nge_f64_e32 vcc_lo, -1.0, v[39:40]
	s_delay_alu instid0(VALU_DEP_3) | instskip(SKIP_1) | instid1(VALU_DEP_4)
	v_cndmask_b32_e32 v9, 0, v9, vcc_lo
	v_cmp_neq_f64_e32 vcc_lo, -1.0, v[39:40]
	v_cndmask_b32_e32 v10, 0xfff00000, v10, vcc_lo
.LBB204_22:                             ;   in Loop: Header=BB204_5 Depth=1
	s_or_b32 exec_lo, exec_lo, s6
.LBB204_23:                             ;   in Loop: Header=BB204_5 Depth=1
	s_delay_alu instid0(SALU_CYCLE_1) | instskip(SKIP_4) | instid1(VALU_DEP_3)
	s_or_b32 exec_lo, exec_lo, s5
	v_max_f64 v[39:40], |v[5:6]|, |v[5:6]|
	v_max_f64 v[43:44], |v[7:8]|, |v[7:8]|
	v_cmp_class_f64_e64 s7, v[5:6], 0x204
	v_cmp_class_f64_e64 s103, v[7:8], 0x204
	v_max_f64 v[39:40], v[39:40], v[43:44]
	s_delay_alu instid0(VALU_DEP_2) | instskip(NEXT) | instid1(VALU_DEP_1)
	s_or_b32 s7, s7, s103
	v_frexp_exp_i32_f64_e32 v18, v[39:40]
	s_delay_alu instid0(VALU_DEP_1) | instskip(NEXT) | instid1(VALU_DEP_1)
	v_sub_nc_u32_e32 v41, 0, v18
	v_ldexp_f64 v[39:40], |v[7:8]|, v41
	v_ldexp_f64 v[41:42], |v[5:6]|, v41
	s_delay_alu instid0(VALU_DEP_2) | instskip(NEXT) | instid1(VALU_DEP_1)
	v_mul_f64 v[39:40], v[39:40], v[39:40]
	v_fma_f64 v[39:40], v[41:42], v[41:42], v[39:40]
	s_delay_alu instid0(VALU_DEP_1) | instskip(SKIP_4) | instid1(VALU_DEP_1)
	v_rsq_f64_e32 v[41:42], v[39:40]
	v_cmp_eq_f64_e32 vcc_lo, 0, v[39:40]
	s_waitcnt_depctr 0xfff
	v_mul_f64 v[45:46], v[39:40], v[41:42]
	v_mul_f64 v[41:42], v[41:42], 0.5
	v_fma_f64 v[50:51], -v[41:42], v[45:46], 0.5
	s_delay_alu instid0(VALU_DEP_1) | instskip(SKIP_1) | instid1(VALU_DEP_2)
	v_fma_f64 v[45:46], v[45:46], v[50:51], v[45:46]
	v_fma_f64 v[41:42], v[41:42], v[50:51], v[41:42]
	v_fma_f64 v[50:51], -v[45:46], v[45:46], v[39:40]
	s_delay_alu instid0(VALU_DEP_1) | instskip(NEXT) | instid1(VALU_DEP_1)
	v_fma_f64 v[41:42], v[50:51], v[41:42], v[45:46]
	v_dual_cndmask_b32 v40, v42, v40 :: v_dual_cndmask_b32 v39, v41, v39
	v_cmp_u_f64_e32 vcc_lo, v[5:6], v[7:8]
	s_delay_alu instid0(VALU_DEP_2) | instskip(SKIP_2) | instid1(VALU_DEP_2)
	v_ldexp_f64 v[41:42], v[39:40], v18
	v_add_f64 v[39:40], v[5:6], 1.0
	s_or_b32 s7, s7, vcc_lo
	v_cmp_ngt_f64_e64 s6, 0.5, v[41:42]
	s_delay_alu instid0(VALU_DEP_2) | instskip(SKIP_2) | instid1(VALU_DEP_4)
	v_max_f64 v[41:42], |v[39:40]|, v[43:44]
	v_cmp_o_f64_e64 s5, v[39:40], v[7:8]
	v_cmp_class_f64_e64 s104, v[39:40], 0x204
	s_or_b32 s6, s7, s6
	s_delay_alu instid0(SALU_CYCLE_1) | instskip(NEXT) | instid1(SALU_CYCLE_1)
	s_and_saveexec_b32 s7, s6
	s_xor_b32 s6, exec_lo, s7
	s_cbranch_execz .LBB204_25
; %bb.24:                               ;   in Loop: Header=BB204_5 Depth=1
	s_delay_alu instid0(VALU_DEP_3) | instskip(NEXT) | instid1(VALU_DEP_2)
	v_frexp_exp_i32_f64_e32 v18, v[41:42]
	s_or_b32 s7, s104, s103
	s_mov_b32 s87, s25
	s_delay_alu instid0(VALU_DEP_1) | instskip(NEXT) | instid1(VALU_DEP_1)
	v_sub_nc_u32_e32 v45, 0, v18
	v_ldexp_f64 v[5:6], |v[7:8]|, v45
	v_ldexp_f64 v[45:46], |v[39:40]|, v45
	s_delay_alu instid0(VALU_DEP_2) | instskip(NEXT) | instid1(VALU_DEP_1)
	v_mul_f64 v[5:6], v[5:6], v[5:6]
	v_fma_f64 v[5:6], v[45:46], v[45:46], v[5:6]
	s_delay_alu instid0(VALU_DEP_1) | instskip(SKIP_4) | instid1(VALU_DEP_1)
	v_rsq_f64_e32 v[45:46], v[5:6]
	v_cmp_eq_f64_e32 vcc_lo, 0, v[5:6]
	s_waitcnt_depctr 0xfff
	v_mul_f64 v[50:51], v[5:6], v[45:46]
	v_mul_f64 v[45:46], v[45:46], 0.5
	v_fma_f64 v[52:53], -v[45:46], v[50:51], 0.5
	s_delay_alu instid0(VALU_DEP_1) | instskip(SKIP_1) | instid1(VALU_DEP_2)
	v_fma_f64 v[50:51], v[50:51], v[52:53], v[50:51]
	v_fma_f64 v[45:46], v[45:46], v[52:53], v[45:46]
	v_fma_f64 v[52:53], -v[50:51], v[50:51], v[5:6]
	s_delay_alu instid0(VALU_DEP_1) | instskip(NEXT) | instid1(VALU_DEP_1)
	v_fma_f64 v[45:46], v[52:53], v[45:46], v[50:51]
	v_dual_cndmask_b32 v6, v46, v6 :: v_dual_cndmask_b32 v5, v45, v5
	s_delay_alu instid0(VALU_DEP_1) | instskip(NEXT) | instid1(VALU_DEP_1)
	v_ldexp_f64 v[5:6], v[5:6], v18
	v_cndmask_b32_e64 v68, 0x7ff80000, v6, s5
	s_delay_alu instid0(VALU_DEP_2) | instskip(SKIP_1) | instid1(VALU_DEP_3)
	v_cndmask_b32_e64 v69, 0, v5, s5
	v_and_b32_e32 v6, 0x7fffffff, v6
	v_cndmask_b32_e64 v46, v68, 0x7ff00000, s7
	s_delay_alu instid0(VALU_DEP_3) | instskip(NEXT) | instid1(VALU_DEP_1)
	v_cndmask_b32_e64 v45, v69, 0, s7
	v_frexp_mant_f64_e32 v[50:51], v[45:46]
	s_delay_alu instid0(VALU_DEP_1) | instskip(SKIP_1) | instid1(VALU_DEP_1)
	v_cmp_gt_f64_e32 vcc_lo, s[24:25], v[50:51]
	v_cndmask_b32_e64 v18, 0x3ff00000, 2.0, vcc_lo
	v_mul_f64 v[50:51], v[50:51], v[17:18]
	v_frexp_exp_i32_f64_e32 v18, v[45:46]
	s_delay_alu instid0(VALU_DEP_2) | instskip(SKIP_1) | instid1(VALU_DEP_3)
	v_add_f64 v[52:53], v[50:51], 1.0
	v_add_f64 v[58:59], v[50:51], -1.0
	v_subrev_co_ci_u32_e32 v18, vcc_lo, 0, v18, vcc_lo
	v_cmp_eq_f64_e32 vcc_lo, 0x7ff00000, v[5:6]
	s_delay_alu instid0(VALU_DEP_4) | instskip(SKIP_2) | instid1(VALU_DEP_1)
	v_rcp_f64_e32 v[54:55], v[52:53]
	v_add_f64 v[60:61], v[52:53], -1.0
	s_and_b32 vcc_lo, s5, vcc_lo
	v_add_f64 v[50:51], v[50:51], -v[60:61]
	s_waitcnt_depctr 0xfff
	v_fma_f64 v[56:57], -v[52:53], v[54:55], 1.0
	s_delay_alu instid0(VALU_DEP_1) | instskip(NEXT) | instid1(VALU_DEP_1)
	v_fma_f64 v[54:55], v[56:57], v[54:55], v[54:55]
	v_fma_f64 v[56:57], -v[52:53], v[54:55], 1.0
	s_delay_alu instid0(VALU_DEP_1) | instskip(NEXT) | instid1(VALU_DEP_1)
	v_fma_f64 v[54:55], v[56:57], v[54:55], v[54:55]
	v_mul_f64 v[56:57], v[58:59], v[54:55]
	s_delay_alu instid0(VALU_DEP_1) | instskip(NEXT) | instid1(VALU_DEP_1)
	v_mul_f64 v[62:63], v[52:53], v[56:57]
	v_fma_f64 v[52:53], v[56:57], v[52:53], -v[62:63]
	s_delay_alu instid0(VALU_DEP_1) | instskip(NEXT) | instid1(VALU_DEP_1)
	v_fma_f64 v[50:51], v[56:57], v[50:51], v[52:53]
	v_add_f64 v[52:53], v[62:63], v[50:51]
	s_delay_alu instid0(VALU_DEP_1) | instskip(SKIP_1) | instid1(VALU_DEP_2)
	v_add_f64 v[60:61], v[58:59], -v[52:53]
	v_add_f64 v[62:63], v[52:53], -v[62:63]
	;; [unrolled: 1-line block ×3, first 2 shown]
	s_delay_alu instid0(VALU_DEP_2) | instskip(NEXT) | instid1(VALU_DEP_2)
	v_add_f64 v[50:51], v[62:63], -v[50:51]
	v_add_f64 v[52:53], v[58:59], -v[52:53]
	s_delay_alu instid0(VALU_DEP_1) | instskip(NEXT) | instid1(VALU_DEP_1)
	v_add_f64 v[50:51], v[50:51], v[52:53]
	v_add_f64 v[50:51], v[60:61], v[50:51]
	s_delay_alu instid0(VALU_DEP_1) | instskip(NEXT) | instid1(VALU_DEP_1)
	v_mul_f64 v[50:51], v[54:55], v[50:51]
	v_add_f64 v[52:53], v[56:57], v[50:51]
	s_delay_alu instid0(VALU_DEP_1) | instskip(NEXT) | instid1(VALU_DEP_1)
	v_mul_f64 v[54:55], v[52:53], v[52:53]
	v_fma_f64 v[58:59], v[54:55], s[28:29], s[26:27]
	v_mul_f64 v[60:61], v[52:53], v[54:55]
	s_delay_alu instid0(VALU_DEP_2) | instskip(NEXT) | instid1(VALU_DEP_1)
	v_fma_f64 v[58:59], v[54:55], v[58:59], s[30:31]
	v_fma_f64 v[58:59], v[54:55], v[58:59], s[34:35]
	s_delay_alu instid0(VALU_DEP_1) | instskip(NEXT) | instid1(VALU_DEP_1)
	v_fma_f64 v[58:59], v[54:55], v[58:59], s[36:37]
	v_fma_f64 v[58:59], v[54:55], v[58:59], s[38:39]
	s_delay_alu instid0(VALU_DEP_1) | instskip(SKIP_2) | instid1(VALU_DEP_3)
	v_fma_f64 v[54:55], v[54:55], v[58:59], s[86:87]
	v_ldexp_f64 v[58:59], v[52:53], 1
	v_add_f64 v[52:53], v[52:53], -v[56:57]
	v_mul_f64 v[54:55], v[60:61], v[54:55]
	v_cvt_f64_i32_e32 v[60:61], v18
	s_delay_alu instid0(VALU_DEP_3) | instskip(NEXT) | instid1(VALU_DEP_3)
	v_add_f64 v[50:51], v[50:51], -v[52:53]
	v_add_f64 v[56:57], v[58:59], v[54:55]
	s_delay_alu instid0(VALU_DEP_3) | instskip(NEXT) | instid1(VALU_DEP_3)
	v_mul_f64 v[62:63], v[60:61], s[40:41]
	v_ldexp_f64 v[50:51], v[50:51], 1
	s_delay_alu instid0(VALU_DEP_3) | instskip(NEXT) | instid1(VALU_DEP_3)
	v_add_f64 v[52:53], v[56:57], -v[58:59]
	v_fma_f64 v[58:59], v[60:61], s[40:41], -v[62:63]
	s_delay_alu instid0(VALU_DEP_2) | instskip(NEXT) | instid1(VALU_DEP_2)
	v_add_f64 v[52:53], v[54:55], -v[52:53]
	v_fma_f64 v[54:55], v[60:61], s[42:43], v[58:59]
	s_delay_alu instid0(VALU_DEP_2) | instskip(NEXT) | instid1(VALU_DEP_2)
	v_add_f64 v[50:51], v[50:51], v[52:53]
	v_add_f64 v[52:53], v[62:63], v[54:55]
	s_delay_alu instid0(VALU_DEP_2) | instskip(NEXT) | instid1(VALU_DEP_2)
	v_add_f64 v[58:59], v[56:57], v[50:51]
	v_add_f64 v[62:63], v[52:53], -v[62:63]
	s_delay_alu instid0(VALU_DEP_2) | instskip(SKIP_1) | instid1(VALU_DEP_3)
	v_add_f64 v[60:61], v[52:53], v[58:59]
	v_add_f64 v[56:57], v[58:59], -v[56:57]
	v_add_f64 v[54:55], v[54:55], -v[62:63]
	s_delay_alu instid0(VALU_DEP_3) | instskip(NEXT) | instid1(VALU_DEP_3)
	v_add_f64 v[64:65], v[60:61], -v[52:53]
	v_add_f64 v[50:51], v[50:51], -v[56:57]
	s_delay_alu instid0(VALU_DEP_2) | instskip(SKIP_1) | instid1(VALU_DEP_3)
	v_add_f64 v[66:67], v[60:61], -v[64:65]
	v_add_f64 v[56:57], v[58:59], -v[64:65]
	v_add_f64 v[58:59], v[54:55], v[50:51]
	s_delay_alu instid0(VALU_DEP_3) | instskip(NEXT) | instid1(VALU_DEP_1)
	v_add_f64 v[52:53], v[52:53], -v[66:67]
	v_add_f64 v[52:53], v[56:57], v[52:53]
	s_delay_alu instid0(VALU_DEP_3) | instskip(NEXT) | instid1(VALU_DEP_2)
	v_add_f64 v[56:57], v[58:59], -v[54:55]
	v_add_f64 v[52:53], v[58:59], v[52:53]
	s_delay_alu instid0(VALU_DEP_2) | instskip(SKIP_1) | instid1(VALU_DEP_3)
	v_add_f64 v[58:59], v[58:59], -v[56:57]
	v_add_f64 v[50:51], v[50:51], -v[56:57]
	v_add_f64 v[62:63], v[60:61], v[52:53]
	s_delay_alu instid0(VALU_DEP_3) | instskip(NEXT) | instid1(VALU_DEP_2)
	v_add_f64 v[54:55], v[54:55], -v[58:59]
	v_add_f64 v[56:57], v[62:63], -v[60:61]
	s_delay_alu instid0(VALU_DEP_2) | instskip(NEXT) | instid1(VALU_DEP_2)
	v_add_f64 v[50:51], v[50:51], v[54:55]
	v_add_f64 v[52:53], v[52:53], -v[56:57]
	s_delay_alu instid0(VALU_DEP_1) | instskip(NEXT) | instid1(VALU_DEP_1)
	v_add_f64 v[50:51], v[50:51], v[52:53]
	v_add_f64 v[5:6], v[62:63], v[50:51]
	s_delay_alu instid0(VALU_DEP_1) | instskip(NEXT) | instid1(VALU_DEP_1)
	v_cndmask_b32_e32 v5, v5, v69, vcc_lo
	v_cndmask_b32_e64 v5, v5, 0, s7
	s_delay_alu instid0(VALU_DEP_3) | instskip(SKIP_1) | instid1(VALU_DEP_2)
	v_cndmask_b32_e32 v6, v6, v68, vcc_lo
	v_cmp_ngt_f64_e32 vcc_lo, 0, v[45:46]
	v_cndmask_b32_e64 v6, v6, 0x7ff00000, s7
	s_delay_alu instid0(VALU_DEP_1) | instskip(SKIP_3) | instid1(VALU_DEP_4)
	v_cndmask_b32_e32 v6, 0x7ff80000, v6, vcc_lo
	v_cmp_nge_f64_e32 vcc_lo, 0, v[45:46]
	v_cndmask_b32_e32 v5, 0, v5, vcc_lo
	v_cmp_neq_f64_e32 vcc_lo, 0, v[45:46]
	v_cndmask_b32_e32 v6, 0xfff00000, v6, vcc_lo
.LBB204_25:                             ;   in Loop: Header=BB204_5 Depth=1
	s_and_not1_saveexec_b32 s6, s6
	s_cbranch_execz .LBB204_4
; %bb.26:                               ;   in Loop: Header=BB204_5 Depth=1
	s_delay_alu instid0(VALU_DEP_1) | instskip(SKIP_2) | instid1(VALU_DEP_1)
	v_add_f64 v[45:46], v[5:6], 2.0
	v_mul_f64 v[50:51], v[7:8], v[7:8]
	s_mov_b32 s7, exec_lo
	v_fma_f64 v[45:46], v[5:6], v[45:46], v[50:51]
	s_delay_alu instid0(VALU_DEP_1)
	v_cmpx_neq_f64_e32 0, v[45:46]
	s_cbranch_execz .LBB204_3
; %bb.27:                               ;   in Loop: Header=BB204_5 Depth=1
	v_add_f64 v[5:6], v[45:46], 1.0
	s_mov_b32 s87, s25
	s_delay_alu instid0(VALU_DEP_1) | instskip(SKIP_2) | instid1(VALU_DEP_3)
	v_frexp_mant_f64_e32 v[50:51], v[5:6]
	v_frexp_exp_i32_f64_e32 v18, v[5:6]
	v_add_f64 v[52:53], v[5:6], -1.0
	v_cmp_gt_f64_e32 vcc_lo, s[24:25], v[50:51]
	s_delay_alu instid0(VALU_DEP_2) | instskip(SKIP_2) | instid1(VALU_DEP_3)
	v_add_f64 v[50:51], v[52:53], -v[5:6]
	v_add_f64 v[52:53], v[45:46], -v[52:53]
	v_subrev_co_ci_u32_e32 v18, vcc_lo, 0, v18, vcc_lo
	v_add_f64 v[50:51], v[50:51], 1.0
	v_cmp_eq_f64_e32 vcc_lo, 0x7ff00000, v[45:46]
	s_delay_alu instid0(VALU_DEP_3) | instskip(NEXT) | instid1(VALU_DEP_1)
	v_sub_nc_u32_e32 v56, 0, v18
	v_ldexp_f64 v[5:6], v[5:6], v56
	s_delay_alu instid0(VALU_DEP_4) | instskip(NEXT) | instid1(VALU_DEP_2)
	v_add_f64 v[50:51], v[52:53], v[50:51]
	v_add_f64 v[54:55], v[5:6], 1.0
	v_add_f64 v[60:61], v[5:6], -1.0
	s_delay_alu instid0(VALU_DEP_3) | instskip(NEXT) | instid1(VALU_DEP_3)
	v_ldexp_f64 v[50:51], v[50:51], v56
	v_add_f64 v[52:53], v[54:55], -1.0
	s_delay_alu instid0(VALU_DEP_3) | instskip(NEXT) | instid1(VALU_DEP_2)
	v_add_f64 v[62:63], v[60:61], 1.0
	v_add_f64 v[52:53], v[5:6], -v[52:53]
	s_delay_alu instid0(VALU_DEP_2) | instskip(NEXT) | instid1(VALU_DEP_2)
	v_add_f64 v[5:6], v[5:6], -v[62:63]
	v_add_f64 v[52:53], v[50:51], v[52:53]
	s_delay_alu instid0(VALU_DEP_2) | instskip(NEXT) | instid1(VALU_DEP_2)
	v_add_f64 v[5:6], v[50:51], v[5:6]
	v_add_f64 v[56:57], v[54:55], v[52:53]
	s_delay_alu instid0(VALU_DEP_2) | instskip(NEXT) | instid1(VALU_DEP_2)
	v_add_f64 v[62:63], v[60:61], v[5:6]
	v_rcp_f64_e32 v[58:59], v[56:57]
	v_add_f64 v[54:55], v[56:57], -v[54:55]
	s_delay_alu instid0(VALU_DEP_2) | instskip(NEXT) | instid1(VALU_DEP_2)
	v_add_f64 v[60:61], v[62:63], -v[60:61]
	v_add_f64 v[52:53], v[52:53], -v[54:55]
	s_waitcnt_depctr 0xfff
	v_fma_f64 v[64:65], -v[56:57], v[58:59], 1.0
	v_add_f64 v[5:6], v[5:6], -v[60:61]
	s_delay_alu instid0(VALU_DEP_2) | instskip(NEXT) | instid1(VALU_DEP_1)
	v_fma_f64 v[58:59], v[64:65], v[58:59], v[58:59]
	v_fma_f64 v[50:51], -v[56:57], v[58:59], 1.0
	s_delay_alu instid0(VALU_DEP_1) | instskip(NEXT) | instid1(VALU_DEP_1)
	v_fma_f64 v[50:51], v[50:51], v[58:59], v[58:59]
	v_mul_f64 v[58:59], v[62:63], v[50:51]
	s_delay_alu instid0(VALU_DEP_1) | instskip(NEXT) | instid1(VALU_DEP_1)
	v_mul_f64 v[64:65], v[56:57], v[58:59]
	v_fma_f64 v[54:55], v[58:59], v[56:57], -v[64:65]
	s_delay_alu instid0(VALU_DEP_1) | instskip(NEXT) | instid1(VALU_DEP_1)
	v_fma_f64 v[54:55], v[58:59], v[52:53], v[54:55]
	v_add_f64 v[66:67], v[64:65], v[54:55]
	s_delay_alu instid0(VALU_DEP_1) | instskip(SKIP_1) | instid1(VALU_DEP_2)
	v_add_f64 v[68:69], v[62:63], -v[66:67]
	v_add_f64 v[60:61], v[66:67], -v[64:65]
	;; [unrolled: 1-line block ×3, first 2 shown]
	s_delay_alu instid0(VALU_DEP_2) | instskip(NEXT) | instid1(VALU_DEP_2)
	v_add_f64 v[54:55], v[60:61], -v[54:55]
	v_add_f64 v[62:63], v[62:63], -v[66:67]
	s_delay_alu instid0(VALU_DEP_1) | instskip(NEXT) | instid1(VALU_DEP_1)
	v_add_f64 v[5:6], v[5:6], v[62:63]
	v_add_f64 v[5:6], v[54:55], v[5:6]
	s_delay_alu instid0(VALU_DEP_1) | instskip(NEXT) | instid1(VALU_DEP_1)
	v_add_f64 v[54:55], v[68:69], v[5:6]
	v_mul_f64 v[60:61], v[50:51], v[54:55]
	v_add_f64 v[66:67], v[68:69], -v[54:55]
	s_delay_alu instid0(VALU_DEP_2) | instskip(NEXT) | instid1(VALU_DEP_2)
	v_mul_f64 v[62:63], v[56:57], v[60:61]
	v_add_f64 v[5:6], v[5:6], v[66:67]
	s_delay_alu instid0(VALU_DEP_2) | instskip(NEXT) | instid1(VALU_DEP_1)
	v_fma_f64 v[56:57], v[60:61], v[56:57], -v[62:63]
	v_fma_f64 v[52:53], v[60:61], v[52:53], v[56:57]
	s_delay_alu instid0(VALU_DEP_1) | instskip(NEXT) | instid1(VALU_DEP_1)
	v_add_f64 v[56:57], v[62:63], v[52:53]
	v_add_f64 v[64:65], v[54:55], -v[56:57]
	v_add_f64 v[62:63], v[56:57], -v[62:63]
	s_delay_alu instid0(VALU_DEP_2) | instskip(NEXT) | instid1(VALU_DEP_2)
	v_add_f64 v[54:55], v[54:55], -v[64:65]
	v_add_f64 v[52:53], v[62:63], -v[52:53]
	s_delay_alu instid0(VALU_DEP_2) | instskip(NEXT) | instid1(VALU_DEP_1)
	v_add_f64 v[54:55], v[54:55], -v[56:57]
	v_add_f64 v[5:6], v[5:6], v[54:55]
	v_add_f64 v[54:55], v[58:59], v[60:61]
	s_delay_alu instid0(VALU_DEP_2) | instskip(NEXT) | instid1(VALU_DEP_2)
	v_add_f64 v[5:6], v[52:53], v[5:6]
	v_add_f64 v[52:53], v[54:55], -v[58:59]
	s_delay_alu instid0(VALU_DEP_2) | instskip(NEXT) | instid1(VALU_DEP_2)
	v_add_f64 v[5:6], v[64:65], v[5:6]
	v_add_f64 v[52:53], v[60:61], -v[52:53]
	s_delay_alu instid0(VALU_DEP_2) | instskip(NEXT) | instid1(VALU_DEP_1)
	v_mul_f64 v[5:6], v[50:51], v[5:6]
	v_add_f64 v[5:6], v[52:53], v[5:6]
	s_delay_alu instid0(VALU_DEP_1) | instskip(NEXT) | instid1(VALU_DEP_1)
	v_add_f64 v[50:51], v[54:55], v[5:6]
	v_mul_f64 v[52:53], v[50:51], v[50:51]
	s_delay_alu instid0(VALU_DEP_1) | instskip(SKIP_1) | instid1(VALU_DEP_2)
	v_fma_f64 v[56:57], v[52:53], s[28:29], s[26:27]
	v_mul_f64 v[58:59], v[50:51], v[52:53]
	v_fma_f64 v[56:57], v[52:53], v[56:57], s[30:31]
	s_delay_alu instid0(VALU_DEP_1) | instskip(NEXT) | instid1(VALU_DEP_1)
	v_fma_f64 v[56:57], v[52:53], v[56:57], s[34:35]
	v_fma_f64 v[56:57], v[52:53], v[56:57], s[36:37]
	s_delay_alu instid0(VALU_DEP_1) | instskip(NEXT) | instid1(VALU_DEP_1)
	v_fma_f64 v[56:57], v[52:53], v[56:57], s[38:39]
	v_fma_f64 v[52:53], v[52:53], v[56:57], s[86:87]
	v_ldexp_f64 v[56:57], v[50:51], 1
	v_add_f64 v[50:51], v[50:51], -v[54:55]
	s_delay_alu instid0(VALU_DEP_3) | instskip(SKIP_1) | instid1(VALU_DEP_3)
	v_mul_f64 v[52:53], v[58:59], v[52:53]
	v_cvt_f64_i32_e32 v[58:59], v18
	v_add_f64 v[5:6], v[5:6], -v[50:51]
	s_delay_alu instid0(VALU_DEP_3) | instskip(NEXT) | instid1(VALU_DEP_3)
	v_add_f64 v[54:55], v[56:57], v[52:53]
	v_mul_f64 v[60:61], v[58:59], s[40:41]
	s_delay_alu instid0(VALU_DEP_3) | instskip(NEXT) | instid1(VALU_DEP_3)
	v_ldexp_f64 v[5:6], v[5:6], 1
	v_add_f64 v[50:51], v[54:55], -v[56:57]
	s_delay_alu instid0(VALU_DEP_3) | instskip(NEXT) | instid1(VALU_DEP_2)
	v_fma_f64 v[56:57], v[58:59], s[40:41], -v[60:61]
	v_add_f64 v[50:51], v[52:53], -v[50:51]
	s_delay_alu instid0(VALU_DEP_2) | instskip(NEXT) | instid1(VALU_DEP_2)
	v_fma_f64 v[52:53], v[58:59], s[42:43], v[56:57]
	v_add_f64 v[5:6], v[5:6], v[50:51]
	s_delay_alu instid0(VALU_DEP_2) | instskip(NEXT) | instid1(VALU_DEP_2)
	v_add_f64 v[50:51], v[60:61], v[52:53]
	v_add_f64 v[56:57], v[54:55], v[5:6]
	s_delay_alu instid0(VALU_DEP_2) | instskip(NEXT) | instid1(VALU_DEP_2)
	v_add_f64 v[60:61], v[50:51], -v[60:61]
	v_add_f64 v[58:59], v[50:51], v[56:57]
	v_add_f64 v[54:55], v[56:57], -v[54:55]
	s_delay_alu instid0(VALU_DEP_3) | instskip(NEXT) | instid1(VALU_DEP_3)
	v_add_f64 v[52:53], v[52:53], -v[60:61]
	v_add_f64 v[62:63], v[58:59], -v[50:51]
	s_delay_alu instid0(VALU_DEP_3) | instskip(NEXT) | instid1(VALU_DEP_2)
	v_add_f64 v[5:6], v[5:6], -v[54:55]
	v_add_f64 v[64:65], v[58:59], -v[62:63]
	;; [unrolled: 1-line block ×3, first 2 shown]
	s_delay_alu instid0(VALU_DEP_3) | instskip(NEXT) | instid1(VALU_DEP_3)
	v_add_f64 v[56:57], v[52:53], v[5:6]
	v_add_f64 v[50:51], v[50:51], -v[64:65]
	s_delay_alu instid0(VALU_DEP_1) | instskip(NEXT) | instid1(VALU_DEP_3)
	v_add_f64 v[50:51], v[54:55], v[50:51]
	v_add_f64 v[54:55], v[56:57], -v[52:53]
	s_delay_alu instid0(VALU_DEP_2) | instskip(NEXT) | instid1(VALU_DEP_2)
	v_add_f64 v[50:51], v[56:57], v[50:51]
	v_add_f64 v[56:57], v[56:57], -v[54:55]
	v_add_f64 v[5:6], v[5:6], -v[54:55]
	s_delay_alu instid0(VALU_DEP_3) | instskip(NEXT) | instid1(VALU_DEP_3)
	v_add_f64 v[60:61], v[58:59], v[50:51]
	v_add_f64 v[52:53], v[52:53], -v[56:57]
	s_delay_alu instid0(VALU_DEP_2) | instskip(NEXT) | instid1(VALU_DEP_2)
	v_add_f64 v[54:55], v[60:61], -v[58:59]
	v_add_f64 v[5:6], v[5:6], v[52:53]
	s_delay_alu instid0(VALU_DEP_2) | instskip(NEXT) | instid1(VALU_DEP_1)
	v_add_f64 v[50:51], v[50:51], -v[54:55]
	v_add_f64 v[5:6], v[5:6], v[50:51]
	s_delay_alu instid0(VALU_DEP_1) | instskip(NEXT) | instid1(VALU_DEP_1)
	v_add_f64 v[5:6], v[60:61], v[5:6]
	v_dual_cndmask_b32 v6, v6, v46 :: v_dual_cndmask_b32 v5, v5, v45
	v_cmp_ngt_f64_e32 vcc_lo, -1.0, v[45:46]
	s_delay_alu instid0(VALU_DEP_2) | instskip(NEXT) | instid1(VALU_DEP_1)
	v_mul_f64 v[5:6], v[5:6], 0.5
	v_cndmask_b32_e32 v6, 0x7ff80000, v6, vcc_lo
	v_cmp_nge_f64_e32 vcc_lo, -1.0, v[45:46]
	s_delay_alu instid0(VALU_DEP_3) | instskip(SKIP_1) | instid1(VALU_DEP_4)
	v_cndmask_b32_e32 v5, 0, v5, vcc_lo
	v_cmp_neq_f64_e32 vcc_lo, -1.0, v[45:46]
	v_cndmask_b32_e32 v6, 0xfff00000, v6, vcc_lo
	s_branch .LBB204_3
.LBB204_28:
	s_or_b32 exec_lo, exec_lo, s93
	s_mov_b32 s2, 0
.LBB204_29:
	s_delay_alu instid0(SALU_CYCLE_1)
	s_and_not1_b32 vcc_lo, exec_lo, s2
	s_cbranch_vccnz .LBB204_73
; %bb.30:
	v_cmp_lt_i64_e64 s2, s[18:19], 1
	s_delay_alu instid0(VALU_DEP_1)
	s_and_b32 vcc_lo, exec_lo, s2
	s_cbranch_vccnz .LBB204_73
; %bb.31:
	s_load_b32 s0, s[0:1], 0xc5c
	v_dual_mov_b32 v18, 0 :: v_dual_mov_b32 v63, 0x4002d97c
	v_lshl_or_b32 v2, v0, 4, 8
	v_cmp_gt_u64_e64 s1, 0x10000, s[18:19]
	s_delay_alu instid0(VALU_DEP_3) | instskip(SKIP_1) | instid1(VALU_DEP_4)
	v_dual_mov_b32 v62, 0x7f3321d2 :: v_dual_mov_b32 v3, v18
	v_mov_b32_e32 v1, v18
	v_add_co_u32 v46, s2, s20, v2
	s_delay_alu instid0(VALU_DEP_1) | instskip(SKIP_1) | instid1(VALU_DEP_1)
	v_add_co_ci_u32_e64 v47, null, s21, 0, s2
	v_add_co_u32 v48, s2, s22, v2
	v_add_co_ci_u32_e64 v49, null, s23, 0, s2
	s_mov_b32 s11, 0
	s_mov_b32 s14, 0x55555555
	;; [unrolled: 1-line block ×4, first 2 shown]
	s_waitcnt lgkmcnt(0)
	s_and_b32 s33, s0, 0xffff
	s_and_b32 s0, s1, exec_lo
	v_add_lshl_u32 v6, v0, s33, 4
	v_mad_u64_u32 v[4:5], null, s33, 48, v[2:3]
	s_cselect_b32 s13, s19, 0
	s_cselect_b32 s12, s18, 0x10000
	s_delay_alu instid0(VALU_DEP_2) | instskip(NEXT) | instid1(VALU_DEP_1)
	v_add_co_u32 v50, s0, s22, v6
	v_add_co_ci_u32_e64 v51, null, s23, 0, s0
	v_add_co_u32 v54, s0, s20, v6
	s_delay_alu instid0(VALU_DEP_1)
	v_add_co_ci_u32_e64 v55, null, s21, 0, s0
	s_lshl_b32 s0, s33, 5
	v_add_co_u32 v52, vcc_lo, s20, v4
	v_add_co_u32 v2, s0, v2, s0
	v_add_co_ci_u32_e32 v53, vcc_lo, s21, v5, vcc_lo
	v_add_co_ci_u32_e64 v3, null, 0, 0, s0
	v_add_co_u32 v56, vcc_lo, s22, v4
	v_add_co_ci_u32_e32 v57, vcc_lo, s23, v5, vcc_lo
	v_add_co_u32 v58, vcc_lo, s20, v2
	s_delay_alu instid0(VALU_DEP_4)
	v_add_co_ci_u32_e32 v59, vcc_lo, s21, v3, vcc_lo
	v_add_co_u32 v60, vcc_lo, s22, v2
	v_add_co_ci_u32_e32 v61, vcc_lo, s23, v3, vcc_lo
	s_lshl_b32 s10, s33, 2
	s_mov_b32 s20, 0x6b47b09a
	s_mov_b32 s22, 0xbf559e2b
	;; [unrolled: 1-line block ×27, first 2 shown]
	s_lshl_b32 s84, s33, 1
	s_mul_i32 s85, s33, 3
	s_lshl_b32 s86, s33, 6
	s_mov_b32 s15, 0x3fe55555
	s_mov_b32 s21, 0x3fc38538
	;; [unrolled: 1-line block ×32, first 2 shown]
	s_mov_b64 s[82:83], s[10:11]
	s_branch .LBB204_33
.LBB204_32:                             ;   in Loop: Header=BB204_33 Depth=1
	s_or_b32 exec_lo, exec_lo, s1
	v_add_co_u32 v0, vcc_lo, v0, s10
	v_add_co_ci_u32_e32 v1, vcc_lo, 0, v1, vcc_lo
	v_add_co_u32 v46, vcc_lo, v46, s86
	v_add_co_ci_u32_e32 v47, vcc_lo, 0, v47, vcc_lo
	;; [unrolled: 2-line block ×7, first 2 shown]
	v_cmp_ge_i64_e64 s0, s[82:83], s[18:19]
	v_cmp_lt_u64_e64 s1, 0xffff, s[82:83]
	v_add_co_u32 v58, vcc_lo, v58, s86
	v_add_co_ci_u32_e32 v59, vcc_lo, 0, v59, vcc_lo
	v_add_co_u32 v60, vcc_lo, v60, s86
	v_add_co_ci_u32_e32 v61, vcc_lo, 0, v61, vcc_lo
	s_or_b32 s0, s0, s1
	s_add_u32 s82, s82, s10
	s_addc_u32 s83, s83, 0
	s_and_b32 vcc_lo, exec_lo, s0
	s_cbranch_vccnz .LBB204_73
.LBB204_33:                             ; =>This Inner Loop Header: Depth=1
	v_mov_b32_e32 v12, 0
	v_mov_b32_e32 v13, 0
	v_cmp_gt_u64_e32 vcc_lo, s[12:13], v[0:1]
	s_delay_alu instid0(VALU_DEP_2)
	v_dual_mov_b32 v17, v13 :: v_dual_mov_b32 v16, v12
	v_dual_mov_b32 v15, v13 :: v_dual_mov_b32 v14, v12
	s_and_saveexec_b32 s1, vcc_lo
	s_cbranch_execz .LBB204_35
; %bb.34:                               ;   in Loop: Header=BB204_33 Depth=1
	v_add_co_u32 v2, s0, v46, s16
	s_delay_alu instid0(VALU_DEP_1)
	v_add_co_ci_u32_e64 v3, s0, s17, v47, s0
	global_load_b128 v[14:17], v[2:3], off offset:-8
.LBB204_35:                             ;   in Loop: Header=BB204_33 Depth=1
	s_or_b32 exec_lo, exec_lo, s1
	v_add_co_u32 v2, s0, s33, v0
	s_delay_alu instid0(VALU_DEP_1) | instskip(SKIP_1) | instid1(VALU_DEP_2)
	v_add_co_ci_u32_e64 v3, s0, 0, v1, s0
	v_dual_mov_b32 v10, v12 :: v_dual_mov_b32 v11, v13
	v_cmp_gt_u64_e64 s2, s[12:13], v[2:3]
	s_delay_alu instid0(VALU_DEP_1)
	s_and_saveexec_b32 s1, s2
	s_cbranch_execz .LBB204_37
; %bb.36:                               ;   in Loop: Header=BB204_33 Depth=1
	v_add_co_u32 v2, s0, v54, s16
	s_delay_alu instid0(VALU_DEP_1)
	v_add_co_ci_u32_e64 v3, s0, s17, v55, s0
	global_load_b128 v[10:13], v[2:3], off
.LBB204_37:                             ;   in Loop: Header=BB204_33 Depth=1
	s_or_b32 exec_lo, exec_lo, s1
	v_add_co_u32 v2, s0, s84, v0
	s_delay_alu instid0(VALU_DEP_1) | instskip(SKIP_2) | instid1(VALU_DEP_3)
	v_add_co_ci_u32_e64 v3, s0, 0, v1, s0
	v_mov_b32_e32 v4, 0
	v_mov_b32_e32 v5, 0
	v_cmp_gt_u64_e64 s1, s[12:13], v[2:3]
	s_delay_alu instid0(VALU_DEP_2) | instskip(SKIP_1) | instid1(VALU_DEP_3)
	v_dual_mov_b32 v9, v5 :: v_dual_mov_b32 v8, v4
	v_dual_mov_b32 v7, v5 :: v_dual_mov_b32 v6, v4
	s_and_saveexec_b32 s3, s1
	s_cbranch_execz .LBB204_39
; %bb.38:                               ;   in Loop: Header=BB204_33 Depth=1
	v_add_co_u32 v2, s0, v58, s16
	s_delay_alu instid0(VALU_DEP_1)
	v_add_co_ci_u32_e64 v3, s0, s17, v59, s0
	global_load_b128 v[6:9], v[2:3], off offset:-8
.LBB204_39:                             ;   in Loop: Header=BB204_33 Depth=1
	s_or_b32 exec_lo, exec_lo, s3
	v_add_co_u32 v2, s0, s85, v0
	s_delay_alu instid0(VALU_DEP_1) | instskip(NEXT) | instid1(VALU_DEP_1)
	v_add_co_ci_u32_e64 v3, s0, 0, v1, s0
	v_cmp_gt_u64_e64 s0, s[12:13], v[2:3]
	v_dual_mov_b32 v2, v4 :: v_dual_mov_b32 v3, v5
	s_delay_alu instid0(VALU_DEP_2)
	s_and_saveexec_b32 s4, s0
	s_cbranch_execz .LBB204_41
; %bb.40:                               ;   in Loop: Header=BB204_33 Depth=1
	v_add_co_u32 v2, s3, v52, s16
	s_delay_alu instid0(VALU_DEP_1)
	v_add_co_ci_u32_e64 v3, s3, s17, v53, s3
	global_load_b128 v[2:5], v[2:3], off offset:-8
.LBB204_41:                             ;   in Loop: Header=BB204_33 Depth=1
	s_or_b32 exec_lo, exec_lo, s4
	s_waitcnt vmcnt(0)
	v_max_f64 v[19:20], |v[14:15]|, |v[14:15]|
	v_max_f64 v[22:23], |v[16:17]|, |v[16:17]|
	v_cmp_class_f64_e64 s6, v[14:15], 0x204
	v_cmp_class_f64_e64 s11, v[16:17], 0x204
	v_cmp_u_f64_e64 s4, v[14:15], v[16:17]
	s_delay_alu instid0(VALU_DEP_4) | instskip(NEXT) | instid1(VALU_DEP_3)
	v_max_f64 v[19:20], v[19:20], v[22:23]
	s_or_b32 s6, s11, s6
	s_delay_alu instid0(VALU_DEP_2) | instid1(SALU_CYCLE_1)
	s_or_b32 s4, s6, s4
	s_delay_alu instid0(VALU_DEP_1) | instskip(NEXT) | instid1(VALU_DEP_1)
	v_frexp_exp_i32_f64_e32 v21, v[19:20]
	v_sub_nc_u32_e32 v24, 0, v21
	s_delay_alu instid0(VALU_DEP_1) | instskip(SKIP_1) | instid1(VALU_DEP_2)
	v_ldexp_f64 v[19:20], |v[16:17]|, v24
	v_ldexp_f64 v[24:25], |v[14:15]|, v24
	v_mul_f64 v[19:20], v[19:20], v[19:20]
	s_delay_alu instid0(VALU_DEP_1) | instskip(NEXT) | instid1(VALU_DEP_1)
	v_fma_f64 v[19:20], v[24:25], v[24:25], v[19:20]
	v_rsq_f64_e32 v[24:25], v[19:20]
	v_cmp_eq_f64_e64 s3, 0, v[19:20]
	s_waitcnt_depctr 0xfff
	v_mul_f64 v[26:27], v[19:20], v[24:25]
	v_mul_f64 v[24:25], v[24:25], 0.5
	s_delay_alu instid0(VALU_DEP_1) | instskip(NEXT) | instid1(VALU_DEP_1)
	v_fma_f64 v[28:29], -v[24:25], v[26:27], 0.5
	v_fma_f64 v[26:27], v[26:27], v[28:29], v[26:27]
	v_fma_f64 v[24:25], v[24:25], v[28:29], v[24:25]
	s_delay_alu instid0(VALU_DEP_2) | instskip(NEXT) | instid1(VALU_DEP_1)
	v_fma_f64 v[28:29], -v[26:27], v[26:27], v[19:20]
	v_fma_f64 v[24:25], v[28:29], v[24:25], v[26:27]
	s_delay_alu instid0(VALU_DEP_1) | instskip(NEXT) | instid1(VALU_DEP_2)
	v_cndmask_b32_e64 v20, v25, v20, s3
	v_cndmask_b32_e64 v19, v24, v19, s3
	s_delay_alu instid0(VALU_DEP_1) | instskip(SKIP_1) | instid1(VALU_DEP_2)
	v_ldexp_f64 v[24:25], v[19:20], v21
	v_add_f64 v[20:21], v[14:15], 1.0
	v_cmp_ngt_f64_e64 s5, 0.5, v[24:25]
	s_delay_alu instid0(VALU_DEP_2) | instskip(SKIP_2) | instid1(VALU_DEP_4)
	v_max_f64 v[24:25], |v[20:21]|, v[22:23]
	v_cmp_o_f64_e64 s3, v[20:21], v[16:17]
	v_cmp_class_f64_e64 s87, v[20:21], 0x204
	s_or_b32 s4, s4, s5
	s_delay_alu instid0(SALU_CYCLE_1) | instskip(NEXT) | instid1(SALU_CYCLE_1)
	s_and_saveexec_b32 s5, s4
	s_xor_b32 s5, exec_lo, s5
	s_cbranch_execz .LBB204_43
; %bb.42:                               ;   in Loop: Header=BB204_33 Depth=1
	s_delay_alu instid0(VALU_DEP_3) | instskip(NEXT) | instid1(VALU_DEP_2)
	v_frexp_exp_i32_f64_e32 v19, v[24:25]
	s_or_b32 s6, s11, s87
	s_mov_b32 s81, s15
	s_delay_alu instid0(VALU_DEP_1) | instskip(NEXT) | instid1(VALU_DEP_1)
	v_sub_nc_u32_e32 v26, 0, v19
	v_ldexp_f64 v[14:15], |v[16:17]|, v26
	v_ldexp_f64 v[26:27], |v[20:21]|, v26
	s_delay_alu instid0(VALU_DEP_2) | instskip(NEXT) | instid1(VALU_DEP_1)
	v_mul_f64 v[14:15], v[14:15], v[14:15]
	v_fma_f64 v[14:15], v[26:27], v[26:27], v[14:15]
	s_delay_alu instid0(VALU_DEP_1) | instskip(SKIP_4) | instid1(VALU_DEP_1)
	v_rsq_f64_e32 v[26:27], v[14:15]
	v_cmp_eq_f64_e64 s4, 0, v[14:15]
	s_waitcnt_depctr 0xfff
	v_mul_f64 v[28:29], v[14:15], v[26:27]
	v_mul_f64 v[26:27], v[26:27], 0.5
	v_fma_f64 v[30:31], -v[26:27], v[28:29], 0.5
	s_delay_alu instid0(VALU_DEP_1) | instskip(SKIP_1) | instid1(VALU_DEP_2)
	v_fma_f64 v[28:29], v[28:29], v[30:31], v[28:29]
	v_fma_f64 v[26:27], v[26:27], v[30:31], v[26:27]
	v_fma_f64 v[30:31], -v[28:29], v[28:29], v[14:15]
	s_delay_alu instid0(VALU_DEP_1) | instskip(NEXT) | instid1(VALU_DEP_1)
	v_fma_f64 v[26:27], v[30:31], v[26:27], v[28:29]
	v_cndmask_b32_e64 v15, v27, v15, s4
	s_delay_alu instid0(VALU_DEP_2) | instskip(NEXT) | instid1(VALU_DEP_1)
	v_cndmask_b32_e64 v14, v26, v14, s4
	v_ldexp_f64 v[14:15], v[14:15], v19
	s_delay_alu instid0(VALU_DEP_1) | instskip(NEXT) | instid1(VALU_DEP_2)
	v_cndmask_b32_e64 v64, 0x7ff80000, v15, s3
	v_cndmask_b32_e64 v65, 0, v14, s3
	v_and_b32_e32 v15, 0x7fffffff, v15
	s_delay_alu instid0(VALU_DEP_3) | instskip(NEXT) | instid1(VALU_DEP_3)
	v_cndmask_b32_e64 v27, v64, 0x7ff00000, s6
	v_cndmask_b32_e64 v26, v65, 0, s6
	s_delay_alu instid0(VALU_DEP_1) | instskip(NEXT) | instid1(VALU_DEP_1)
	v_frexp_mant_f64_e32 v[28:29], v[26:27]
	v_cmp_gt_f64_e64 s4, s[14:15], v[28:29]
	s_delay_alu instid0(VALU_DEP_1) | instskip(NEXT) | instid1(VALU_DEP_1)
	v_cndmask_b32_e64 v19, 0x3ff00000, 2.0, s4
	v_mul_f64 v[28:29], v[28:29], v[18:19]
	v_frexp_exp_i32_f64_e32 v19, v[26:27]
	s_delay_alu instid0(VALU_DEP_2) | instskip(SKIP_1) | instid1(VALU_DEP_3)
	v_add_f64 v[30:31], v[28:29], 1.0
	v_add_f64 v[36:37], v[28:29], -1.0
	v_subrev_co_ci_u32_e64 v19, s4, 0, v19, s4
	v_cmp_eq_f64_e64 s4, 0x7ff00000, v[14:15]
	s_delay_alu instid0(VALU_DEP_4) | instskip(SKIP_1) | instid1(VALU_DEP_2)
	v_rcp_f64_e32 v[32:33], v[30:31]
	v_add_f64 v[38:39], v[30:31], -1.0
	s_and_b32 s4, s3, s4
	s_delay_alu instid0(VALU_DEP_1) | instskip(SKIP_2) | instid1(VALU_DEP_1)
	v_add_f64 v[28:29], v[28:29], -v[38:39]
	s_waitcnt_depctr 0xfff
	v_fma_f64 v[34:35], -v[30:31], v[32:33], 1.0
	v_fma_f64 v[32:33], v[34:35], v[32:33], v[32:33]
	s_delay_alu instid0(VALU_DEP_1) | instskip(NEXT) | instid1(VALU_DEP_1)
	v_fma_f64 v[34:35], -v[30:31], v[32:33], 1.0
	v_fma_f64 v[32:33], v[34:35], v[32:33], v[32:33]
	s_delay_alu instid0(VALU_DEP_1) | instskip(NEXT) | instid1(VALU_DEP_1)
	v_mul_f64 v[34:35], v[36:37], v[32:33]
	v_mul_f64 v[40:41], v[30:31], v[34:35]
	s_delay_alu instid0(VALU_DEP_1) | instskip(NEXT) | instid1(VALU_DEP_1)
	v_fma_f64 v[30:31], v[34:35], v[30:31], -v[40:41]
	v_fma_f64 v[28:29], v[34:35], v[28:29], v[30:31]
	s_delay_alu instid0(VALU_DEP_1) | instskip(NEXT) | instid1(VALU_DEP_1)
	v_add_f64 v[30:31], v[40:41], v[28:29]
	v_add_f64 v[38:39], v[36:37], -v[30:31]
	v_add_f64 v[40:41], v[30:31], -v[40:41]
	s_delay_alu instid0(VALU_DEP_2) | instskip(NEXT) | instid1(VALU_DEP_2)
	v_add_f64 v[36:37], v[36:37], -v[38:39]
	v_add_f64 v[28:29], v[40:41], -v[28:29]
	s_delay_alu instid0(VALU_DEP_2) | instskip(NEXT) | instid1(VALU_DEP_1)
	v_add_f64 v[30:31], v[36:37], -v[30:31]
	v_add_f64 v[28:29], v[28:29], v[30:31]
	s_delay_alu instid0(VALU_DEP_1) | instskip(NEXT) | instid1(VALU_DEP_1)
	v_add_f64 v[28:29], v[38:39], v[28:29]
	v_mul_f64 v[28:29], v[32:33], v[28:29]
	s_delay_alu instid0(VALU_DEP_1) | instskip(NEXT) | instid1(VALU_DEP_1)
	v_add_f64 v[30:31], v[34:35], v[28:29]
	v_mul_f64 v[32:33], v[30:31], v[30:31]
	s_delay_alu instid0(VALU_DEP_1) | instskip(SKIP_1) | instid1(VALU_DEP_2)
	v_fma_f64 v[36:37], v[32:33], s[22:23], s[20:21]
	v_mul_f64 v[38:39], v[30:31], v[32:33]
	v_fma_f64 v[36:37], v[32:33], v[36:37], s[24:25]
	s_delay_alu instid0(VALU_DEP_1) | instskip(NEXT) | instid1(VALU_DEP_1)
	v_fma_f64 v[36:37], v[32:33], v[36:37], s[26:27]
	v_fma_f64 v[36:37], v[32:33], v[36:37], s[28:29]
	s_delay_alu instid0(VALU_DEP_1) | instskip(NEXT) | instid1(VALU_DEP_1)
	v_fma_f64 v[36:37], v[32:33], v[36:37], s[30:31]
	v_fma_f64 v[32:33], v[32:33], v[36:37], s[80:81]
	v_ldexp_f64 v[36:37], v[30:31], 1
	v_add_f64 v[30:31], v[30:31], -v[34:35]
	s_delay_alu instid0(VALU_DEP_3) | instskip(SKIP_1) | instid1(VALU_DEP_3)
	v_mul_f64 v[32:33], v[38:39], v[32:33]
	v_cvt_f64_i32_e32 v[38:39], v19
	v_add_f64 v[28:29], v[28:29], -v[30:31]
	s_delay_alu instid0(VALU_DEP_3) | instskip(NEXT) | instid1(VALU_DEP_3)
	v_add_f64 v[34:35], v[36:37], v[32:33]
	v_mul_f64 v[40:41], v[38:39], s[34:35]
	s_delay_alu instid0(VALU_DEP_3) | instskip(NEXT) | instid1(VALU_DEP_3)
	v_ldexp_f64 v[28:29], v[28:29], 1
	v_add_f64 v[30:31], v[34:35], -v[36:37]
	s_delay_alu instid0(VALU_DEP_3) | instskip(NEXT) | instid1(VALU_DEP_2)
	v_fma_f64 v[36:37], v[38:39], s[34:35], -v[40:41]
	v_add_f64 v[30:31], v[32:33], -v[30:31]
	s_delay_alu instid0(VALU_DEP_2) | instskip(NEXT) | instid1(VALU_DEP_2)
	v_fma_f64 v[32:33], v[38:39], s[36:37], v[36:37]
	v_add_f64 v[28:29], v[28:29], v[30:31]
	s_delay_alu instid0(VALU_DEP_2) | instskip(NEXT) | instid1(VALU_DEP_2)
	v_add_f64 v[30:31], v[40:41], v[32:33]
	v_add_f64 v[36:37], v[34:35], v[28:29]
	s_delay_alu instid0(VALU_DEP_2) | instskip(NEXT) | instid1(VALU_DEP_2)
	v_add_f64 v[40:41], v[30:31], -v[40:41]
	v_add_f64 v[38:39], v[30:31], v[36:37]
	v_add_f64 v[34:35], v[36:37], -v[34:35]
	s_delay_alu instid0(VALU_DEP_3) | instskip(NEXT) | instid1(VALU_DEP_3)
	v_add_f64 v[32:33], v[32:33], -v[40:41]
	v_add_f64 v[42:43], v[38:39], -v[30:31]
	s_delay_alu instid0(VALU_DEP_3) | instskip(NEXT) | instid1(VALU_DEP_2)
	v_add_f64 v[28:29], v[28:29], -v[34:35]
	v_add_f64 v[44:45], v[38:39], -v[42:43]
	;; [unrolled: 1-line block ×3, first 2 shown]
	s_delay_alu instid0(VALU_DEP_3) | instskip(NEXT) | instid1(VALU_DEP_3)
	v_add_f64 v[36:37], v[32:33], v[28:29]
	v_add_f64 v[30:31], v[30:31], -v[44:45]
	s_delay_alu instid0(VALU_DEP_1) | instskip(NEXT) | instid1(VALU_DEP_3)
	v_add_f64 v[30:31], v[34:35], v[30:31]
	v_add_f64 v[34:35], v[36:37], -v[32:33]
	s_delay_alu instid0(VALU_DEP_2) | instskip(NEXT) | instid1(VALU_DEP_2)
	v_add_f64 v[30:31], v[36:37], v[30:31]
	v_add_f64 v[36:37], v[36:37], -v[34:35]
	v_add_f64 v[28:29], v[28:29], -v[34:35]
	s_delay_alu instid0(VALU_DEP_3) | instskip(NEXT) | instid1(VALU_DEP_3)
	v_add_f64 v[40:41], v[38:39], v[30:31]
	v_add_f64 v[32:33], v[32:33], -v[36:37]
	s_delay_alu instid0(VALU_DEP_2) | instskip(NEXT) | instid1(VALU_DEP_2)
	v_add_f64 v[34:35], v[40:41], -v[38:39]
	v_add_f64 v[28:29], v[28:29], v[32:33]
	s_delay_alu instid0(VALU_DEP_2) | instskip(NEXT) | instid1(VALU_DEP_1)
	v_add_f64 v[30:31], v[30:31], -v[34:35]
	v_add_f64 v[28:29], v[28:29], v[30:31]
	s_delay_alu instid0(VALU_DEP_1) | instskip(NEXT) | instid1(VALU_DEP_1)
	v_add_f64 v[14:15], v[40:41], v[28:29]
	v_cndmask_b32_e64 v15, v15, v64, s4
	s_delay_alu instid0(VALU_DEP_2) | instskip(SKIP_1) | instid1(VALU_DEP_3)
	v_cndmask_b32_e64 v14, v14, v65, s4
	v_cmp_ngt_f64_e64 s4, 0, v[26:27]
	v_cndmask_b32_e64 v15, v15, 0x7ff00000, s6
	s_delay_alu instid0(VALU_DEP_3) | instskip(NEXT) | instid1(VALU_DEP_2)
	v_cndmask_b32_e64 v14, v14, 0, s6
	v_cndmask_b32_e64 v15, 0x7ff80000, v15, s4
	v_cmp_nge_f64_e64 s4, 0, v[26:27]
	s_delay_alu instid0(VALU_DEP_1) | instskip(SKIP_1) | instid1(VALU_DEP_1)
	v_cndmask_b32_e64 v14, 0, v14, s4
	v_cmp_neq_f64_e64 s4, 0, v[26:27]
	v_cndmask_b32_e64 v15, 0xfff00000, v15, s4
.LBB204_43:                             ;   in Loop: Header=BB204_33 Depth=1
	s_and_not1_saveexec_b32 s5, s5
	s_cbranch_execz .LBB204_47
; %bb.44:                               ;   in Loop: Header=BB204_33 Depth=1
	s_delay_alu instid0(VALU_DEP_1) | instskip(SKIP_1) | instid1(VALU_DEP_1)
	v_add_f64 v[26:27], v[14:15], 2.0
	s_mov_b32 s6, exec_lo
	v_mul_f64 v[26:27], v[14:15], v[26:27]
	s_delay_alu instid0(VALU_DEP_1) | instskip(NEXT) | instid1(VALU_DEP_1)
	v_fma_f64 v[26:27], v[16:17], v[16:17], v[26:27]
	v_cmpx_neq_f64_e32 0, v[26:27]
	s_cbranch_execz .LBB204_46
; %bb.45:                               ;   in Loop: Header=BB204_33 Depth=1
	v_add_f64 v[14:15], v[26:27], 1.0
	s_mov_b32 s81, s15
	s_delay_alu instid0(VALU_DEP_1) | instskip(SKIP_2) | instid1(VALU_DEP_3)
	v_frexp_mant_f64_e32 v[28:29], v[14:15]
	v_frexp_exp_i32_f64_e32 v19, v[14:15]
	v_add_f64 v[30:31], v[14:15], -1.0
	v_cmp_gt_f64_e64 s4, s[14:15], v[28:29]
	s_delay_alu instid0(VALU_DEP_2) | instskip(SKIP_1) | instid1(VALU_DEP_3)
	v_add_f64 v[28:29], v[30:31], -v[14:15]
	v_add_f64 v[30:31], v[26:27], -v[30:31]
	v_subrev_co_ci_u32_e64 v19, s4, 0, v19, s4
	s_delay_alu instid0(VALU_DEP_3) | instskip(SKIP_1) | instid1(VALU_DEP_3)
	v_add_f64 v[28:29], v[28:29], 1.0
	v_cmp_eq_f64_e64 s4, 0x7ff00000, v[26:27]
	v_sub_nc_u32_e32 v34, 0, v19
	s_delay_alu instid0(VALU_DEP_1) | instskip(NEXT) | instid1(VALU_DEP_4)
	v_ldexp_f64 v[14:15], v[14:15], v34
	v_add_f64 v[28:29], v[30:31], v[28:29]
	s_delay_alu instid0(VALU_DEP_2) | instskip(SKIP_1) | instid1(VALU_DEP_3)
	v_add_f64 v[32:33], v[14:15], 1.0
	v_add_f64 v[38:39], v[14:15], -1.0
	v_ldexp_f64 v[28:29], v[28:29], v34
	s_delay_alu instid0(VALU_DEP_3) | instskip(NEXT) | instid1(VALU_DEP_3)
	v_add_f64 v[30:31], v[32:33], -1.0
	v_add_f64 v[40:41], v[38:39], 1.0
	s_delay_alu instid0(VALU_DEP_2) | instskip(NEXT) | instid1(VALU_DEP_2)
	v_add_f64 v[30:31], v[14:15], -v[30:31]
	v_add_f64 v[14:15], v[14:15], -v[40:41]
	s_delay_alu instid0(VALU_DEP_2) | instskip(NEXT) | instid1(VALU_DEP_2)
	v_add_f64 v[30:31], v[28:29], v[30:31]
	v_add_f64 v[14:15], v[28:29], v[14:15]
	s_delay_alu instid0(VALU_DEP_2) | instskip(NEXT) | instid1(VALU_DEP_2)
	v_add_f64 v[34:35], v[32:33], v[30:31]
	v_add_f64 v[40:41], v[38:39], v[14:15]
	s_delay_alu instid0(VALU_DEP_2) | instskip(SKIP_1) | instid1(VALU_DEP_2)
	v_rcp_f64_e32 v[36:37], v[34:35]
	v_add_f64 v[32:33], v[34:35], -v[32:33]
	v_add_f64 v[38:39], v[40:41], -v[38:39]
	s_delay_alu instid0(VALU_DEP_2) | instskip(SKIP_3) | instid1(VALU_DEP_2)
	v_add_f64 v[30:31], v[30:31], -v[32:33]
	s_waitcnt_depctr 0xfff
	v_fma_f64 v[42:43], -v[34:35], v[36:37], 1.0
	v_add_f64 v[14:15], v[14:15], -v[38:39]
	v_fma_f64 v[36:37], v[42:43], v[36:37], v[36:37]
	s_delay_alu instid0(VALU_DEP_1) | instskip(NEXT) | instid1(VALU_DEP_1)
	v_fma_f64 v[28:29], -v[34:35], v[36:37], 1.0
	v_fma_f64 v[28:29], v[28:29], v[36:37], v[36:37]
	s_delay_alu instid0(VALU_DEP_1) | instskip(NEXT) | instid1(VALU_DEP_1)
	v_mul_f64 v[36:37], v[40:41], v[28:29]
	v_mul_f64 v[42:43], v[34:35], v[36:37]
	s_delay_alu instid0(VALU_DEP_1) | instskip(NEXT) | instid1(VALU_DEP_1)
	v_fma_f64 v[32:33], v[36:37], v[34:35], -v[42:43]
	v_fma_f64 v[32:33], v[36:37], v[30:31], v[32:33]
	s_delay_alu instid0(VALU_DEP_1) | instskip(NEXT) | instid1(VALU_DEP_1)
	v_add_f64 v[44:45], v[42:43], v[32:33]
	v_add_f64 v[64:65], v[40:41], -v[44:45]
	v_add_f64 v[38:39], v[44:45], -v[42:43]
	s_delay_alu instid0(VALU_DEP_2) | instskip(NEXT) | instid1(VALU_DEP_2)
	v_add_f64 v[40:41], v[40:41], -v[64:65]
	v_add_f64 v[32:33], v[38:39], -v[32:33]
	s_delay_alu instid0(VALU_DEP_2) | instskip(NEXT) | instid1(VALU_DEP_1)
	v_add_f64 v[40:41], v[40:41], -v[44:45]
	v_add_f64 v[14:15], v[14:15], v[40:41]
	s_delay_alu instid0(VALU_DEP_1) | instskip(NEXT) | instid1(VALU_DEP_1)
	v_add_f64 v[14:15], v[32:33], v[14:15]
	v_add_f64 v[32:33], v[64:65], v[14:15]
	s_delay_alu instid0(VALU_DEP_1) | instskip(SKIP_1) | instid1(VALU_DEP_2)
	v_mul_f64 v[38:39], v[28:29], v[32:33]
	v_add_f64 v[44:45], v[64:65], -v[32:33]
	v_mul_f64 v[40:41], v[34:35], v[38:39]
	s_delay_alu instid0(VALU_DEP_2) | instskip(NEXT) | instid1(VALU_DEP_2)
	v_add_f64 v[14:15], v[14:15], v[44:45]
	v_fma_f64 v[34:35], v[38:39], v[34:35], -v[40:41]
	s_delay_alu instid0(VALU_DEP_1) | instskip(NEXT) | instid1(VALU_DEP_1)
	v_fma_f64 v[30:31], v[38:39], v[30:31], v[34:35]
	v_add_f64 v[34:35], v[40:41], v[30:31]
	s_delay_alu instid0(VALU_DEP_1) | instskip(SKIP_1) | instid1(VALU_DEP_2)
	v_add_f64 v[42:43], v[32:33], -v[34:35]
	v_add_f64 v[40:41], v[34:35], -v[40:41]
	;; [unrolled: 1-line block ×3, first 2 shown]
	s_delay_alu instid0(VALU_DEP_2) | instskip(NEXT) | instid1(VALU_DEP_2)
	v_add_f64 v[30:31], v[40:41], -v[30:31]
	v_add_f64 v[32:33], v[32:33], -v[34:35]
	s_delay_alu instid0(VALU_DEP_1) | instskip(SKIP_1) | instid1(VALU_DEP_2)
	v_add_f64 v[14:15], v[14:15], v[32:33]
	v_add_f64 v[32:33], v[36:37], v[38:39]
	;; [unrolled: 1-line block ×3, first 2 shown]
	s_delay_alu instid0(VALU_DEP_2) | instskip(NEXT) | instid1(VALU_DEP_2)
	v_add_f64 v[30:31], v[32:33], -v[36:37]
	v_add_f64 v[14:15], v[42:43], v[14:15]
	s_delay_alu instid0(VALU_DEP_2) | instskip(NEXT) | instid1(VALU_DEP_2)
	v_add_f64 v[30:31], v[38:39], -v[30:31]
	v_mul_f64 v[14:15], v[28:29], v[14:15]
	s_delay_alu instid0(VALU_DEP_1) | instskip(NEXT) | instid1(VALU_DEP_1)
	v_add_f64 v[14:15], v[30:31], v[14:15]
	v_add_f64 v[28:29], v[32:33], v[14:15]
	s_delay_alu instid0(VALU_DEP_1) | instskip(NEXT) | instid1(VALU_DEP_1)
	v_mul_f64 v[30:31], v[28:29], v[28:29]
	v_fma_f64 v[34:35], v[30:31], s[22:23], s[20:21]
	v_mul_f64 v[36:37], v[28:29], v[30:31]
	s_delay_alu instid0(VALU_DEP_2) | instskip(NEXT) | instid1(VALU_DEP_1)
	v_fma_f64 v[34:35], v[30:31], v[34:35], s[24:25]
	v_fma_f64 v[34:35], v[30:31], v[34:35], s[26:27]
	s_delay_alu instid0(VALU_DEP_1) | instskip(NEXT) | instid1(VALU_DEP_1)
	v_fma_f64 v[34:35], v[30:31], v[34:35], s[28:29]
	v_fma_f64 v[34:35], v[30:31], v[34:35], s[30:31]
	s_delay_alu instid0(VALU_DEP_1) | instskip(SKIP_2) | instid1(VALU_DEP_3)
	v_fma_f64 v[30:31], v[30:31], v[34:35], s[80:81]
	v_ldexp_f64 v[34:35], v[28:29], 1
	v_add_f64 v[28:29], v[28:29], -v[32:33]
	v_mul_f64 v[30:31], v[36:37], v[30:31]
	v_cvt_f64_i32_e32 v[36:37], v19
	s_delay_alu instid0(VALU_DEP_3) | instskip(NEXT) | instid1(VALU_DEP_3)
	v_add_f64 v[14:15], v[14:15], -v[28:29]
	v_add_f64 v[32:33], v[34:35], v[30:31]
	s_delay_alu instid0(VALU_DEP_3) | instskip(NEXT) | instid1(VALU_DEP_3)
	v_mul_f64 v[38:39], v[36:37], s[34:35]
	v_ldexp_f64 v[14:15], v[14:15], 1
	s_delay_alu instid0(VALU_DEP_3) | instskip(NEXT) | instid1(VALU_DEP_3)
	v_add_f64 v[28:29], v[32:33], -v[34:35]
	v_fma_f64 v[34:35], v[36:37], s[34:35], -v[38:39]
	s_delay_alu instid0(VALU_DEP_2) | instskip(NEXT) | instid1(VALU_DEP_2)
	v_add_f64 v[28:29], v[30:31], -v[28:29]
	v_fma_f64 v[30:31], v[36:37], s[36:37], v[34:35]
	s_delay_alu instid0(VALU_DEP_2) | instskip(NEXT) | instid1(VALU_DEP_2)
	v_add_f64 v[14:15], v[14:15], v[28:29]
	v_add_f64 v[28:29], v[38:39], v[30:31]
	s_delay_alu instid0(VALU_DEP_2) | instskip(NEXT) | instid1(VALU_DEP_2)
	v_add_f64 v[34:35], v[32:33], v[14:15]
	v_add_f64 v[38:39], v[28:29], -v[38:39]
	s_delay_alu instid0(VALU_DEP_2) | instskip(SKIP_1) | instid1(VALU_DEP_3)
	v_add_f64 v[36:37], v[28:29], v[34:35]
	v_add_f64 v[32:33], v[34:35], -v[32:33]
	v_add_f64 v[30:31], v[30:31], -v[38:39]
	s_delay_alu instid0(VALU_DEP_3) | instskip(NEXT) | instid1(VALU_DEP_3)
	v_add_f64 v[40:41], v[36:37], -v[28:29]
	v_add_f64 v[14:15], v[14:15], -v[32:33]
	s_delay_alu instid0(VALU_DEP_2) | instskip(SKIP_1) | instid1(VALU_DEP_3)
	v_add_f64 v[42:43], v[36:37], -v[40:41]
	v_add_f64 v[32:33], v[34:35], -v[40:41]
	v_add_f64 v[34:35], v[30:31], v[14:15]
	s_delay_alu instid0(VALU_DEP_3) | instskip(NEXT) | instid1(VALU_DEP_1)
	v_add_f64 v[28:29], v[28:29], -v[42:43]
	v_add_f64 v[28:29], v[32:33], v[28:29]
	s_delay_alu instid0(VALU_DEP_3) | instskip(NEXT) | instid1(VALU_DEP_2)
	v_add_f64 v[32:33], v[34:35], -v[30:31]
	v_add_f64 v[28:29], v[34:35], v[28:29]
	s_delay_alu instid0(VALU_DEP_2) | instskip(SKIP_1) | instid1(VALU_DEP_3)
	v_add_f64 v[34:35], v[34:35], -v[32:33]
	v_add_f64 v[14:15], v[14:15], -v[32:33]
	v_add_f64 v[38:39], v[36:37], v[28:29]
	s_delay_alu instid0(VALU_DEP_3) | instskip(NEXT) | instid1(VALU_DEP_2)
	v_add_f64 v[30:31], v[30:31], -v[34:35]
	v_add_f64 v[32:33], v[38:39], -v[36:37]
	s_delay_alu instid0(VALU_DEP_2) | instskip(NEXT) | instid1(VALU_DEP_2)
	v_add_f64 v[14:15], v[14:15], v[30:31]
	v_add_f64 v[28:29], v[28:29], -v[32:33]
	s_delay_alu instid0(VALU_DEP_1) | instskip(NEXT) | instid1(VALU_DEP_1)
	v_add_f64 v[14:15], v[14:15], v[28:29]
	v_add_f64 v[14:15], v[38:39], v[14:15]
	s_delay_alu instid0(VALU_DEP_1) | instskip(NEXT) | instid1(VALU_DEP_2)
	v_cndmask_b32_e64 v15, v15, v27, s4
	v_cndmask_b32_e64 v14, v14, v26, s4
	v_cmp_ngt_f64_e64 s4, -1.0, v[26:27]
	s_delay_alu instid0(VALU_DEP_2) | instskip(NEXT) | instid1(VALU_DEP_1)
	v_mul_f64 v[14:15], v[14:15], 0.5
	v_cndmask_b32_e64 v15, 0x7ff80000, v15, s4
	v_cmp_nge_f64_e64 s4, -1.0, v[26:27]
	s_delay_alu instid0(VALU_DEP_1) | instskip(SKIP_1) | instid1(VALU_DEP_1)
	v_cndmask_b32_e64 v14, 0, v14, s4
	v_cmp_neq_f64_e64 s4, -1.0, v[26:27]
	v_cndmask_b32_e64 v15, 0xfff00000, v15, s4
.LBB204_46:                             ;   in Loop: Header=BB204_33 Depth=1
	s_or_b32 exec_lo, exec_lo, s6
.LBB204_47:                             ;   in Loop: Header=BB204_33 Depth=1
	s_delay_alu instid0(SALU_CYCLE_1)
	s_or_b32 exec_lo, exec_lo, s5
	v_max_f64 v[26:27], |v[10:11]|, |v[10:11]|
	v_max_f64 v[28:29], |v[12:13]|, |v[12:13]|
	v_cmp_class_f64_e64 s7, v[10:11], 0x204
	v_cmp_class_f64_e64 s88, v[12:13], 0x204
	v_cmp_u_f64_e64 s5, v[10:11], v[12:13]
	s_delay_alu instid0(VALU_DEP_4) | instskip(NEXT) | instid1(VALU_DEP_3)
	v_max_f64 v[26:27], v[26:27], v[28:29]
	s_or_b32 s7, s88, s7
	s_delay_alu instid0(VALU_DEP_2) | instid1(SALU_CYCLE_1)
	s_or_b32 s5, s7, s5
	s_delay_alu instid0(VALU_DEP_1) | instskip(NEXT) | instid1(VALU_DEP_1)
	v_frexp_exp_i32_f64_e32 v19, v[26:27]
	v_sub_nc_u32_e32 v30, 0, v19
	s_delay_alu instid0(VALU_DEP_1) | instskip(SKIP_1) | instid1(VALU_DEP_2)
	v_ldexp_f64 v[26:27], |v[12:13]|, v30
	v_ldexp_f64 v[30:31], |v[10:11]|, v30
	v_mul_f64 v[26:27], v[26:27], v[26:27]
	s_delay_alu instid0(VALU_DEP_1) | instskip(NEXT) | instid1(VALU_DEP_1)
	v_fma_f64 v[26:27], v[30:31], v[30:31], v[26:27]
	v_rsq_f64_e32 v[30:31], v[26:27]
	v_cmp_eq_f64_e64 s4, 0, v[26:27]
	s_waitcnt_depctr 0xfff
	v_mul_f64 v[32:33], v[26:27], v[30:31]
	v_mul_f64 v[30:31], v[30:31], 0.5
	s_delay_alu instid0(VALU_DEP_1) | instskip(NEXT) | instid1(VALU_DEP_1)
	v_fma_f64 v[34:35], -v[30:31], v[32:33], 0.5
	v_fma_f64 v[32:33], v[32:33], v[34:35], v[32:33]
	v_fma_f64 v[30:31], v[30:31], v[34:35], v[30:31]
	s_delay_alu instid0(VALU_DEP_2) | instskip(NEXT) | instid1(VALU_DEP_1)
	v_fma_f64 v[34:35], -v[32:33], v[32:33], v[26:27]
	v_fma_f64 v[30:31], v[34:35], v[30:31], v[32:33]
	s_delay_alu instid0(VALU_DEP_1) | instskip(NEXT) | instid1(VALU_DEP_2)
	v_cndmask_b32_e64 v27, v31, v27, s4
	v_cndmask_b32_e64 v26, v30, v26, s4
	s_delay_alu instid0(VALU_DEP_1) | instskip(SKIP_1) | instid1(VALU_DEP_2)
	v_ldexp_f64 v[30:31], v[26:27], v19
	v_add_f64 v[26:27], v[10:11], 1.0
	v_cmp_ngt_f64_e64 s6, 0.5, v[30:31]
	s_delay_alu instid0(VALU_DEP_2) | instskip(SKIP_2) | instid1(VALU_DEP_4)
	v_max_f64 v[30:31], |v[26:27]|, v[28:29]
	v_cmp_o_f64_e64 s4, v[26:27], v[12:13]
	v_cmp_class_f64_e64 s89, v[26:27], 0x204
	s_or_b32 s5, s5, s6
	s_delay_alu instid0(SALU_CYCLE_1) | instskip(NEXT) | instid1(SALU_CYCLE_1)
	s_and_saveexec_b32 s6, s5
	s_xor_b32 s6, exec_lo, s6
	s_cbranch_execz .LBB204_49
; %bb.48:                               ;   in Loop: Header=BB204_33 Depth=1
	s_delay_alu instid0(VALU_DEP_3) | instskip(NEXT) | instid1(VALU_DEP_2)
	v_frexp_exp_i32_f64_e32 v19, v[30:31]
	s_or_b32 s7, s88, s89
	s_mov_b32 s81, s15
	s_delay_alu instid0(VALU_DEP_1) | instskip(NEXT) | instid1(VALU_DEP_1)
	v_sub_nc_u32_e32 v32, 0, v19
	v_ldexp_f64 v[10:11], |v[12:13]|, v32
	v_ldexp_f64 v[32:33], |v[26:27]|, v32
	s_delay_alu instid0(VALU_DEP_2) | instskip(NEXT) | instid1(VALU_DEP_1)
	v_mul_f64 v[10:11], v[10:11], v[10:11]
	v_fma_f64 v[10:11], v[32:33], v[32:33], v[10:11]
	s_delay_alu instid0(VALU_DEP_1) | instskip(SKIP_4) | instid1(VALU_DEP_1)
	v_rsq_f64_e32 v[32:33], v[10:11]
	v_cmp_eq_f64_e64 s5, 0, v[10:11]
	s_waitcnt_depctr 0xfff
	v_mul_f64 v[34:35], v[10:11], v[32:33]
	v_mul_f64 v[32:33], v[32:33], 0.5
	v_fma_f64 v[36:37], -v[32:33], v[34:35], 0.5
	s_delay_alu instid0(VALU_DEP_1) | instskip(SKIP_1) | instid1(VALU_DEP_2)
	v_fma_f64 v[34:35], v[34:35], v[36:37], v[34:35]
	v_fma_f64 v[32:33], v[32:33], v[36:37], v[32:33]
	v_fma_f64 v[36:37], -v[34:35], v[34:35], v[10:11]
	s_delay_alu instid0(VALU_DEP_1) | instskip(NEXT) | instid1(VALU_DEP_1)
	v_fma_f64 v[32:33], v[36:37], v[32:33], v[34:35]
	v_cndmask_b32_e64 v11, v33, v11, s5
	s_delay_alu instid0(VALU_DEP_2) | instskip(NEXT) | instid1(VALU_DEP_1)
	v_cndmask_b32_e64 v10, v32, v10, s5
	v_ldexp_f64 v[10:11], v[10:11], v19
	s_delay_alu instid0(VALU_DEP_1) | instskip(NEXT) | instid1(VALU_DEP_2)
	v_cndmask_b32_e64 v70, 0x7ff80000, v11, s4
	v_cndmask_b32_e64 v71, 0, v10, s4
	v_and_b32_e32 v11, 0x7fffffff, v11
	s_delay_alu instid0(VALU_DEP_3) | instskip(NEXT) | instid1(VALU_DEP_3)
	v_cndmask_b32_e64 v33, v70, 0x7ff00000, s7
	v_cndmask_b32_e64 v32, v71, 0, s7
	s_delay_alu instid0(VALU_DEP_1) | instskip(NEXT) | instid1(VALU_DEP_1)
	v_frexp_mant_f64_e32 v[34:35], v[32:33]
	v_cmp_gt_f64_e64 s5, s[14:15], v[34:35]
	s_delay_alu instid0(VALU_DEP_1) | instskip(NEXT) | instid1(VALU_DEP_1)
	v_cndmask_b32_e64 v19, 0x3ff00000, 2.0, s5
	v_mul_f64 v[34:35], v[34:35], v[18:19]
	v_frexp_exp_i32_f64_e32 v19, v[32:33]
	s_delay_alu instid0(VALU_DEP_2) | instskip(SKIP_1) | instid1(VALU_DEP_3)
	v_add_f64 v[36:37], v[34:35], 1.0
	v_add_f64 v[42:43], v[34:35], -1.0
	v_subrev_co_ci_u32_e64 v19, s5, 0, v19, s5
	v_cmp_eq_f64_e64 s5, 0x7ff00000, v[10:11]
	s_delay_alu instid0(VALU_DEP_4) | instskip(SKIP_1) | instid1(VALU_DEP_2)
	v_rcp_f64_e32 v[38:39], v[36:37]
	v_add_f64 v[44:45], v[36:37], -1.0
	s_and_b32 s5, s4, s5
	s_delay_alu instid0(VALU_DEP_1) | instskip(SKIP_2) | instid1(VALU_DEP_1)
	v_add_f64 v[34:35], v[34:35], -v[44:45]
	s_waitcnt_depctr 0xfff
	v_fma_f64 v[40:41], -v[36:37], v[38:39], 1.0
	v_fma_f64 v[38:39], v[40:41], v[38:39], v[38:39]
	s_delay_alu instid0(VALU_DEP_1) | instskip(NEXT) | instid1(VALU_DEP_1)
	v_fma_f64 v[40:41], -v[36:37], v[38:39], 1.0
	v_fma_f64 v[38:39], v[40:41], v[38:39], v[38:39]
	s_delay_alu instid0(VALU_DEP_1) | instskip(NEXT) | instid1(VALU_DEP_1)
	v_mul_f64 v[40:41], v[42:43], v[38:39]
	v_mul_f64 v[64:65], v[36:37], v[40:41]
	s_delay_alu instid0(VALU_DEP_1) | instskip(NEXT) | instid1(VALU_DEP_1)
	v_fma_f64 v[36:37], v[40:41], v[36:37], -v[64:65]
	v_fma_f64 v[34:35], v[40:41], v[34:35], v[36:37]
	s_delay_alu instid0(VALU_DEP_1) | instskip(NEXT) | instid1(VALU_DEP_1)
	v_add_f64 v[36:37], v[64:65], v[34:35]
	v_add_f64 v[44:45], v[42:43], -v[36:37]
	v_add_f64 v[64:65], v[36:37], -v[64:65]
	s_delay_alu instid0(VALU_DEP_2) | instskip(NEXT) | instid1(VALU_DEP_2)
	v_add_f64 v[42:43], v[42:43], -v[44:45]
	v_add_f64 v[34:35], v[64:65], -v[34:35]
	s_delay_alu instid0(VALU_DEP_2) | instskip(NEXT) | instid1(VALU_DEP_1)
	v_add_f64 v[36:37], v[42:43], -v[36:37]
	v_add_f64 v[34:35], v[34:35], v[36:37]
	s_delay_alu instid0(VALU_DEP_1) | instskip(NEXT) | instid1(VALU_DEP_1)
	v_add_f64 v[34:35], v[44:45], v[34:35]
	v_mul_f64 v[34:35], v[38:39], v[34:35]
	s_delay_alu instid0(VALU_DEP_1) | instskip(NEXT) | instid1(VALU_DEP_1)
	v_add_f64 v[36:37], v[40:41], v[34:35]
	v_mul_f64 v[38:39], v[36:37], v[36:37]
	s_delay_alu instid0(VALU_DEP_1) | instskip(SKIP_1) | instid1(VALU_DEP_2)
	v_fma_f64 v[42:43], v[38:39], s[22:23], s[20:21]
	v_mul_f64 v[44:45], v[36:37], v[38:39]
	v_fma_f64 v[42:43], v[38:39], v[42:43], s[24:25]
	s_delay_alu instid0(VALU_DEP_1) | instskip(NEXT) | instid1(VALU_DEP_1)
	v_fma_f64 v[42:43], v[38:39], v[42:43], s[26:27]
	v_fma_f64 v[42:43], v[38:39], v[42:43], s[28:29]
	s_delay_alu instid0(VALU_DEP_1) | instskip(NEXT) | instid1(VALU_DEP_1)
	v_fma_f64 v[42:43], v[38:39], v[42:43], s[30:31]
	v_fma_f64 v[38:39], v[38:39], v[42:43], s[80:81]
	v_ldexp_f64 v[42:43], v[36:37], 1
	v_add_f64 v[36:37], v[36:37], -v[40:41]
	s_delay_alu instid0(VALU_DEP_3) | instskip(SKIP_1) | instid1(VALU_DEP_3)
	v_mul_f64 v[38:39], v[44:45], v[38:39]
	v_cvt_f64_i32_e32 v[44:45], v19
	v_add_f64 v[34:35], v[34:35], -v[36:37]
	s_delay_alu instid0(VALU_DEP_3) | instskip(NEXT) | instid1(VALU_DEP_3)
	v_add_f64 v[40:41], v[42:43], v[38:39]
	v_mul_f64 v[64:65], v[44:45], s[34:35]
	s_delay_alu instid0(VALU_DEP_3) | instskip(NEXT) | instid1(VALU_DEP_3)
	v_ldexp_f64 v[34:35], v[34:35], 1
	v_add_f64 v[36:37], v[40:41], -v[42:43]
	s_delay_alu instid0(VALU_DEP_3) | instskip(NEXT) | instid1(VALU_DEP_2)
	v_fma_f64 v[42:43], v[44:45], s[34:35], -v[64:65]
	v_add_f64 v[36:37], v[38:39], -v[36:37]
	s_delay_alu instid0(VALU_DEP_2) | instskip(NEXT) | instid1(VALU_DEP_2)
	v_fma_f64 v[38:39], v[44:45], s[36:37], v[42:43]
	v_add_f64 v[34:35], v[34:35], v[36:37]
	s_delay_alu instid0(VALU_DEP_2) | instskip(NEXT) | instid1(VALU_DEP_2)
	v_add_f64 v[36:37], v[64:65], v[38:39]
	v_add_f64 v[42:43], v[40:41], v[34:35]
	s_delay_alu instid0(VALU_DEP_2) | instskip(NEXT) | instid1(VALU_DEP_2)
	v_add_f64 v[64:65], v[36:37], -v[64:65]
	v_add_f64 v[44:45], v[36:37], v[42:43]
	v_add_f64 v[40:41], v[42:43], -v[40:41]
	s_delay_alu instid0(VALU_DEP_3) | instskip(NEXT) | instid1(VALU_DEP_3)
	v_add_f64 v[38:39], v[38:39], -v[64:65]
	v_add_f64 v[66:67], v[44:45], -v[36:37]
	s_delay_alu instid0(VALU_DEP_3) | instskip(NEXT) | instid1(VALU_DEP_2)
	v_add_f64 v[34:35], v[34:35], -v[40:41]
	v_add_f64 v[68:69], v[44:45], -v[66:67]
	;; [unrolled: 1-line block ×3, first 2 shown]
	s_delay_alu instid0(VALU_DEP_3) | instskip(NEXT) | instid1(VALU_DEP_3)
	v_add_f64 v[42:43], v[38:39], v[34:35]
	v_add_f64 v[36:37], v[36:37], -v[68:69]
	s_delay_alu instid0(VALU_DEP_1) | instskip(NEXT) | instid1(VALU_DEP_3)
	v_add_f64 v[36:37], v[40:41], v[36:37]
	v_add_f64 v[40:41], v[42:43], -v[38:39]
	s_delay_alu instid0(VALU_DEP_2) | instskip(NEXT) | instid1(VALU_DEP_2)
	v_add_f64 v[36:37], v[42:43], v[36:37]
	v_add_f64 v[42:43], v[42:43], -v[40:41]
	v_add_f64 v[34:35], v[34:35], -v[40:41]
	s_delay_alu instid0(VALU_DEP_3) | instskip(NEXT) | instid1(VALU_DEP_3)
	v_add_f64 v[64:65], v[44:45], v[36:37]
	v_add_f64 v[38:39], v[38:39], -v[42:43]
	s_delay_alu instid0(VALU_DEP_2) | instskip(NEXT) | instid1(VALU_DEP_2)
	v_add_f64 v[40:41], v[64:65], -v[44:45]
	v_add_f64 v[34:35], v[34:35], v[38:39]
	s_delay_alu instid0(VALU_DEP_2) | instskip(NEXT) | instid1(VALU_DEP_1)
	v_add_f64 v[36:37], v[36:37], -v[40:41]
	v_add_f64 v[34:35], v[34:35], v[36:37]
	s_delay_alu instid0(VALU_DEP_1) | instskip(NEXT) | instid1(VALU_DEP_1)
	v_add_f64 v[10:11], v[64:65], v[34:35]
	v_cndmask_b32_e64 v11, v11, v70, s5
	s_delay_alu instid0(VALU_DEP_2) | instskip(SKIP_1) | instid1(VALU_DEP_3)
	v_cndmask_b32_e64 v10, v10, v71, s5
	v_cmp_ngt_f64_e64 s5, 0, v[32:33]
	v_cndmask_b32_e64 v11, v11, 0x7ff00000, s7
	s_delay_alu instid0(VALU_DEP_3) | instskip(NEXT) | instid1(VALU_DEP_2)
	v_cndmask_b32_e64 v10, v10, 0, s7
	v_cndmask_b32_e64 v11, 0x7ff80000, v11, s5
	v_cmp_nge_f64_e64 s5, 0, v[32:33]
	s_delay_alu instid0(VALU_DEP_1) | instskip(SKIP_1) | instid1(VALU_DEP_1)
	v_cndmask_b32_e64 v10, 0, v10, s5
	v_cmp_neq_f64_e64 s5, 0, v[32:33]
	v_cndmask_b32_e64 v11, 0xfff00000, v11, s5
.LBB204_49:                             ;   in Loop: Header=BB204_33 Depth=1
	s_and_not1_saveexec_b32 s6, s6
	s_cbranch_execz .LBB204_53
; %bb.50:                               ;   in Loop: Header=BB204_33 Depth=1
	s_delay_alu instid0(VALU_DEP_1) | instskip(SKIP_1) | instid1(VALU_DEP_1)
	v_add_f64 v[32:33], v[10:11], 2.0
	s_mov_b32 s7, exec_lo
	v_mul_f64 v[32:33], v[10:11], v[32:33]
	s_delay_alu instid0(VALU_DEP_1) | instskip(NEXT) | instid1(VALU_DEP_1)
	v_fma_f64 v[32:33], v[12:13], v[12:13], v[32:33]
	v_cmpx_neq_f64_e32 0, v[32:33]
	s_cbranch_execz .LBB204_52
; %bb.51:                               ;   in Loop: Header=BB204_33 Depth=1
	v_add_f64 v[10:11], v[32:33], 1.0
	s_mov_b32 s81, s15
	s_delay_alu instid0(VALU_DEP_1) | instskip(SKIP_2) | instid1(VALU_DEP_3)
	v_frexp_mant_f64_e32 v[34:35], v[10:11]
	v_frexp_exp_i32_f64_e32 v19, v[10:11]
	v_add_f64 v[36:37], v[10:11], -1.0
	v_cmp_gt_f64_e64 s5, s[14:15], v[34:35]
	s_delay_alu instid0(VALU_DEP_2) | instskip(SKIP_1) | instid1(VALU_DEP_3)
	v_add_f64 v[34:35], v[36:37], -v[10:11]
	v_add_f64 v[36:37], v[32:33], -v[36:37]
	v_subrev_co_ci_u32_e64 v19, s5, 0, v19, s5
	s_delay_alu instid0(VALU_DEP_3) | instskip(SKIP_1) | instid1(VALU_DEP_3)
	v_add_f64 v[34:35], v[34:35], 1.0
	v_cmp_eq_f64_e64 s5, 0x7ff00000, v[32:33]
	v_sub_nc_u32_e32 v40, 0, v19
	s_delay_alu instid0(VALU_DEP_1) | instskip(NEXT) | instid1(VALU_DEP_4)
	v_ldexp_f64 v[10:11], v[10:11], v40
	v_add_f64 v[34:35], v[36:37], v[34:35]
	s_delay_alu instid0(VALU_DEP_2) | instskip(SKIP_1) | instid1(VALU_DEP_3)
	v_add_f64 v[38:39], v[10:11], 1.0
	v_add_f64 v[44:45], v[10:11], -1.0
	v_ldexp_f64 v[34:35], v[34:35], v40
	s_delay_alu instid0(VALU_DEP_3) | instskip(NEXT) | instid1(VALU_DEP_3)
	v_add_f64 v[36:37], v[38:39], -1.0
	v_add_f64 v[64:65], v[44:45], 1.0
	s_delay_alu instid0(VALU_DEP_2) | instskip(NEXT) | instid1(VALU_DEP_2)
	v_add_f64 v[36:37], v[10:11], -v[36:37]
	v_add_f64 v[10:11], v[10:11], -v[64:65]
	s_delay_alu instid0(VALU_DEP_2) | instskip(NEXT) | instid1(VALU_DEP_2)
	v_add_f64 v[36:37], v[34:35], v[36:37]
	v_add_f64 v[10:11], v[34:35], v[10:11]
	s_delay_alu instid0(VALU_DEP_2) | instskip(NEXT) | instid1(VALU_DEP_2)
	v_add_f64 v[40:41], v[38:39], v[36:37]
	v_add_f64 v[64:65], v[44:45], v[10:11]
	s_delay_alu instid0(VALU_DEP_2) | instskip(SKIP_1) | instid1(VALU_DEP_2)
	v_rcp_f64_e32 v[42:43], v[40:41]
	v_add_f64 v[38:39], v[40:41], -v[38:39]
	v_add_f64 v[44:45], v[64:65], -v[44:45]
	s_delay_alu instid0(VALU_DEP_2) | instskip(SKIP_3) | instid1(VALU_DEP_2)
	v_add_f64 v[36:37], v[36:37], -v[38:39]
	s_waitcnt_depctr 0xfff
	v_fma_f64 v[66:67], -v[40:41], v[42:43], 1.0
	v_add_f64 v[10:11], v[10:11], -v[44:45]
	v_fma_f64 v[42:43], v[66:67], v[42:43], v[42:43]
	s_delay_alu instid0(VALU_DEP_1) | instskip(NEXT) | instid1(VALU_DEP_1)
	v_fma_f64 v[34:35], -v[40:41], v[42:43], 1.0
	v_fma_f64 v[34:35], v[34:35], v[42:43], v[42:43]
	s_delay_alu instid0(VALU_DEP_1) | instskip(NEXT) | instid1(VALU_DEP_1)
	v_mul_f64 v[42:43], v[64:65], v[34:35]
	v_mul_f64 v[66:67], v[40:41], v[42:43]
	s_delay_alu instid0(VALU_DEP_1) | instskip(NEXT) | instid1(VALU_DEP_1)
	v_fma_f64 v[38:39], v[42:43], v[40:41], -v[66:67]
	v_fma_f64 v[38:39], v[42:43], v[36:37], v[38:39]
	s_delay_alu instid0(VALU_DEP_1) | instskip(NEXT) | instid1(VALU_DEP_1)
	v_add_f64 v[68:69], v[66:67], v[38:39]
	v_add_f64 v[70:71], v[64:65], -v[68:69]
	v_add_f64 v[44:45], v[68:69], -v[66:67]
	s_delay_alu instid0(VALU_DEP_2) | instskip(NEXT) | instid1(VALU_DEP_2)
	v_add_f64 v[64:65], v[64:65], -v[70:71]
	v_add_f64 v[38:39], v[44:45], -v[38:39]
	s_delay_alu instid0(VALU_DEP_2) | instskip(NEXT) | instid1(VALU_DEP_1)
	v_add_f64 v[64:65], v[64:65], -v[68:69]
	v_add_f64 v[10:11], v[10:11], v[64:65]
	s_delay_alu instid0(VALU_DEP_1) | instskip(NEXT) | instid1(VALU_DEP_1)
	v_add_f64 v[10:11], v[38:39], v[10:11]
	v_add_f64 v[38:39], v[70:71], v[10:11]
	s_delay_alu instid0(VALU_DEP_1) | instskip(SKIP_1) | instid1(VALU_DEP_2)
	v_mul_f64 v[44:45], v[34:35], v[38:39]
	v_add_f64 v[68:69], v[70:71], -v[38:39]
	v_mul_f64 v[64:65], v[40:41], v[44:45]
	s_delay_alu instid0(VALU_DEP_2) | instskip(NEXT) | instid1(VALU_DEP_2)
	v_add_f64 v[10:11], v[10:11], v[68:69]
	v_fma_f64 v[40:41], v[44:45], v[40:41], -v[64:65]
	s_delay_alu instid0(VALU_DEP_1) | instskip(NEXT) | instid1(VALU_DEP_1)
	v_fma_f64 v[36:37], v[44:45], v[36:37], v[40:41]
	v_add_f64 v[40:41], v[64:65], v[36:37]
	s_delay_alu instid0(VALU_DEP_1) | instskip(SKIP_1) | instid1(VALU_DEP_2)
	v_add_f64 v[66:67], v[38:39], -v[40:41]
	v_add_f64 v[64:65], v[40:41], -v[64:65]
	;; [unrolled: 1-line block ×3, first 2 shown]
	s_delay_alu instid0(VALU_DEP_2) | instskip(NEXT) | instid1(VALU_DEP_2)
	v_add_f64 v[36:37], v[64:65], -v[36:37]
	v_add_f64 v[38:39], v[38:39], -v[40:41]
	s_delay_alu instid0(VALU_DEP_1) | instskip(SKIP_1) | instid1(VALU_DEP_2)
	v_add_f64 v[10:11], v[10:11], v[38:39]
	v_add_f64 v[38:39], v[42:43], v[44:45]
	v_add_f64 v[10:11], v[36:37], v[10:11]
	s_delay_alu instid0(VALU_DEP_2) | instskip(NEXT) | instid1(VALU_DEP_2)
	v_add_f64 v[36:37], v[38:39], -v[42:43]
	v_add_f64 v[10:11], v[66:67], v[10:11]
	s_delay_alu instid0(VALU_DEP_2) | instskip(NEXT) | instid1(VALU_DEP_2)
	v_add_f64 v[36:37], v[44:45], -v[36:37]
	v_mul_f64 v[10:11], v[34:35], v[10:11]
	s_delay_alu instid0(VALU_DEP_1) | instskip(NEXT) | instid1(VALU_DEP_1)
	v_add_f64 v[10:11], v[36:37], v[10:11]
	v_add_f64 v[34:35], v[38:39], v[10:11]
	s_delay_alu instid0(VALU_DEP_1) | instskip(NEXT) | instid1(VALU_DEP_1)
	v_mul_f64 v[36:37], v[34:35], v[34:35]
	v_fma_f64 v[40:41], v[36:37], s[22:23], s[20:21]
	v_mul_f64 v[42:43], v[34:35], v[36:37]
	s_delay_alu instid0(VALU_DEP_2) | instskip(NEXT) | instid1(VALU_DEP_1)
	v_fma_f64 v[40:41], v[36:37], v[40:41], s[24:25]
	v_fma_f64 v[40:41], v[36:37], v[40:41], s[26:27]
	s_delay_alu instid0(VALU_DEP_1) | instskip(NEXT) | instid1(VALU_DEP_1)
	v_fma_f64 v[40:41], v[36:37], v[40:41], s[28:29]
	v_fma_f64 v[40:41], v[36:37], v[40:41], s[30:31]
	s_delay_alu instid0(VALU_DEP_1) | instskip(SKIP_2) | instid1(VALU_DEP_3)
	v_fma_f64 v[36:37], v[36:37], v[40:41], s[80:81]
	v_ldexp_f64 v[40:41], v[34:35], 1
	v_add_f64 v[34:35], v[34:35], -v[38:39]
	v_mul_f64 v[36:37], v[42:43], v[36:37]
	v_cvt_f64_i32_e32 v[42:43], v19
	s_delay_alu instid0(VALU_DEP_3) | instskip(NEXT) | instid1(VALU_DEP_3)
	v_add_f64 v[10:11], v[10:11], -v[34:35]
	v_add_f64 v[38:39], v[40:41], v[36:37]
	s_delay_alu instid0(VALU_DEP_3) | instskip(NEXT) | instid1(VALU_DEP_3)
	v_mul_f64 v[44:45], v[42:43], s[34:35]
	v_ldexp_f64 v[10:11], v[10:11], 1
	s_delay_alu instid0(VALU_DEP_3) | instskip(NEXT) | instid1(VALU_DEP_3)
	v_add_f64 v[34:35], v[38:39], -v[40:41]
	v_fma_f64 v[40:41], v[42:43], s[34:35], -v[44:45]
	s_delay_alu instid0(VALU_DEP_2) | instskip(NEXT) | instid1(VALU_DEP_2)
	v_add_f64 v[34:35], v[36:37], -v[34:35]
	v_fma_f64 v[36:37], v[42:43], s[36:37], v[40:41]
	s_delay_alu instid0(VALU_DEP_2) | instskip(NEXT) | instid1(VALU_DEP_2)
	v_add_f64 v[10:11], v[10:11], v[34:35]
	v_add_f64 v[34:35], v[44:45], v[36:37]
	s_delay_alu instid0(VALU_DEP_2) | instskip(NEXT) | instid1(VALU_DEP_2)
	v_add_f64 v[40:41], v[38:39], v[10:11]
	v_add_f64 v[44:45], v[34:35], -v[44:45]
	s_delay_alu instid0(VALU_DEP_2) | instskip(SKIP_1) | instid1(VALU_DEP_3)
	v_add_f64 v[42:43], v[34:35], v[40:41]
	v_add_f64 v[38:39], v[40:41], -v[38:39]
	v_add_f64 v[36:37], v[36:37], -v[44:45]
	s_delay_alu instid0(VALU_DEP_3) | instskip(NEXT) | instid1(VALU_DEP_3)
	v_add_f64 v[64:65], v[42:43], -v[34:35]
	v_add_f64 v[10:11], v[10:11], -v[38:39]
	s_delay_alu instid0(VALU_DEP_2) | instskip(SKIP_1) | instid1(VALU_DEP_3)
	v_add_f64 v[66:67], v[42:43], -v[64:65]
	v_add_f64 v[38:39], v[40:41], -v[64:65]
	v_add_f64 v[40:41], v[36:37], v[10:11]
	s_delay_alu instid0(VALU_DEP_3) | instskip(NEXT) | instid1(VALU_DEP_1)
	v_add_f64 v[34:35], v[34:35], -v[66:67]
	v_add_f64 v[34:35], v[38:39], v[34:35]
	s_delay_alu instid0(VALU_DEP_3) | instskip(NEXT) | instid1(VALU_DEP_2)
	v_add_f64 v[38:39], v[40:41], -v[36:37]
	v_add_f64 v[34:35], v[40:41], v[34:35]
	s_delay_alu instid0(VALU_DEP_2) | instskip(SKIP_1) | instid1(VALU_DEP_3)
	v_add_f64 v[40:41], v[40:41], -v[38:39]
	v_add_f64 v[10:11], v[10:11], -v[38:39]
	v_add_f64 v[44:45], v[42:43], v[34:35]
	s_delay_alu instid0(VALU_DEP_3) | instskip(NEXT) | instid1(VALU_DEP_2)
	v_add_f64 v[36:37], v[36:37], -v[40:41]
	v_add_f64 v[38:39], v[44:45], -v[42:43]
	s_delay_alu instid0(VALU_DEP_2) | instskip(NEXT) | instid1(VALU_DEP_2)
	v_add_f64 v[10:11], v[10:11], v[36:37]
	v_add_f64 v[34:35], v[34:35], -v[38:39]
	s_delay_alu instid0(VALU_DEP_1) | instskip(NEXT) | instid1(VALU_DEP_1)
	v_add_f64 v[10:11], v[10:11], v[34:35]
	v_add_f64 v[10:11], v[44:45], v[10:11]
	s_delay_alu instid0(VALU_DEP_1) | instskip(NEXT) | instid1(VALU_DEP_2)
	v_cndmask_b32_e64 v11, v11, v33, s5
	v_cndmask_b32_e64 v10, v10, v32, s5
	v_cmp_ngt_f64_e64 s5, -1.0, v[32:33]
	s_delay_alu instid0(VALU_DEP_2) | instskip(NEXT) | instid1(VALU_DEP_1)
	v_mul_f64 v[10:11], v[10:11], 0.5
	v_cndmask_b32_e64 v11, 0x7ff80000, v11, s5
	v_cmp_nge_f64_e64 s5, -1.0, v[32:33]
	s_delay_alu instid0(VALU_DEP_1) | instskip(SKIP_1) | instid1(VALU_DEP_1)
	v_cndmask_b32_e64 v10, 0, v10, s5
	v_cmp_neq_f64_e64 s5, -1.0, v[32:33]
	v_cndmask_b32_e64 v11, 0xfff00000, v11, s5
.LBB204_52:                             ;   in Loop: Header=BB204_33 Depth=1
	s_or_b32 exec_lo, exec_lo, s7
.LBB204_53:                             ;   in Loop: Header=BB204_33 Depth=1
	s_delay_alu instid0(SALU_CYCLE_1)
	s_or_b32 exec_lo, exec_lo, s6
	v_max_f64 v[32:33], |v[6:7]|, |v[6:7]|
	v_max_f64 v[34:35], |v[8:9]|, |v[8:9]|
	v_cmp_class_f64_e64 s8, v[6:7], 0x204
	v_cmp_class_f64_e64 s90, v[8:9], 0x204
	v_cmp_u_f64_e64 s6, v[6:7], v[8:9]
	s_delay_alu instid0(VALU_DEP_4) | instskip(NEXT) | instid1(VALU_DEP_3)
	v_max_f64 v[32:33], v[32:33], v[34:35]
	s_or_b32 s8, s90, s8
	s_delay_alu instid0(VALU_DEP_2) | instid1(SALU_CYCLE_1)
	s_or_b32 s6, s8, s6
	s_delay_alu instid0(VALU_DEP_1) | instskip(NEXT) | instid1(VALU_DEP_1)
	v_frexp_exp_i32_f64_e32 v19, v[32:33]
	v_sub_nc_u32_e32 v36, 0, v19
	s_delay_alu instid0(VALU_DEP_1) | instskip(SKIP_1) | instid1(VALU_DEP_2)
	v_ldexp_f64 v[32:33], |v[8:9]|, v36
	v_ldexp_f64 v[36:37], |v[6:7]|, v36
	v_mul_f64 v[32:33], v[32:33], v[32:33]
	s_delay_alu instid0(VALU_DEP_1) | instskip(NEXT) | instid1(VALU_DEP_1)
	v_fma_f64 v[32:33], v[36:37], v[36:37], v[32:33]
	v_rsq_f64_e32 v[36:37], v[32:33]
	v_cmp_eq_f64_e64 s5, 0, v[32:33]
	s_waitcnt_depctr 0xfff
	v_mul_f64 v[38:39], v[32:33], v[36:37]
	v_mul_f64 v[36:37], v[36:37], 0.5
	s_delay_alu instid0(VALU_DEP_1) | instskip(NEXT) | instid1(VALU_DEP_1)
	v_fma_f64 v[40:41], -v[36:37], v[38:39], 0.5
	v_fma_f64 v[38:39], v[38:39], v[40:41], v[38:39]
	v_fma_f64 v[36:37], v[36:37], v[40:41], v[36:37]
	s_delay_alu instid0(VALU_DEP_2) | instskip(NEXT) | instid1(VALU_DEP_1)
	v_fma_f64 v[40:41], -v[38:39], v[38:39], v[32:33]
	v_fma_f64 v[36:37], v[40:41], v[36:37], v[38:39]
	s_delay_alu instid0(VALU_DEP_1) | instskip(NEXT) | instid1(VALU_DEP_2)
	v_cndmask_b32_e64 v33, v37, v33, s5
	v_cndmask_b32_e64 v32, v36, v32, s5
	s_delay_alu instid0(VALU_DEP_1) | instskip(SKIP_1) | instid1(VALU_DEP_2)
	v_ldexp_f64 v[36:37], v[32:33], v19
	v_add_f64 v[32:33], v[6:7], 1.0
	v_cmp_ngt_f64_e64 s7, 0.5, v[36:37]
	s_delay_alu instid0(VALU_DEP_2) | instskip(SKIP_2) | instid1(VALU_DEP_4)
	v_max_f64 v[36:37], |v[32:33]|, v[34:35]
	v_cmp_o_f64_e64 s5, v[32:33], v[8:9]
	v_cmp_class_f64_e64 s91, v[32:33], 0x204
	s_or_b32 s6, s6, s7
	s_delay_alu instid0(SALU_CYCLE_1) | instskip(NEXT) | instid1(SALU_CYCLE_1)
	s_and_saveexec_b32 s7, s6
	s_xor_b32 s7, exec_lo, s7
	s_cbranch_execz .LBB204_55
; %bb.54:                               ;   in Loop: Header=BB204_33 Depth=1
	s_delay_alu instid0(VALU_DEP_3) | instskip(NEXT) | instid1(VALU_DEP_2)
	v_frexp_exp_i32_f64_e32 v19, v[36:37]
	s_or_b32 s8, s90, s91
	s_mov_b32 s81, s15
	s_delay_alu instid0(VALU_DEP_1) | instskip(NEXT) | instid1(VALU_DEP_1)
	v_sub_nc_u32_e32 v38, 0, v19
	v_ldexp_f64 v[6:7], |v[8:9]|, v38
	v_ldexp_f64 v[38:39], |v[32:33]|, v38
	s_delay_alu instid0(VALU_DEP_2) | instskip(NEXT) | instid1(VALU_DEP_1)
	v_mul_f64 v[6:7], v[6:7], v[6:7]
	v_fma_f64 v[6:7], v[38:39], v[38:39], v[6:7]
	s_delay_alu instid0(VALU_DEP_1) | instskip(SKIP_4) | instid1(VALU_DEP_1)
	v_rsq_f64_e32 v[38:39], v[6:7]
	v_cmp_eq_f64_e64 s6, 0, v[6:7]
	s_waitcnt_depctr 0xfff
	v_mul_f64 v[40:41], v[6:7], v[38:39]
	v_mul_f64 v[38:39], v[38:39], 0.5
	v_fma_f64 v[42:43], -v[38:39], v[40:41], 0.5
	s_delay_alu instid0(VALU_DEP_1) | instskip(SKIP_1) | instid1(VALU_DEP_2)
	v_fma_f64 v[40:41], v[40:41], v[42:43], v[40:41]
	v_fma_f64 v[38:39], v[38:39], v[42:43], v[38:39]
	v_fma_f64 v[42:43], -v[40:41], v[40:41], v[6:7]
	s_delay_alu instid0(VALU_DEP_1) | instskip(NEXT) | instid1(VALU_DEP_1)
	v_fma_f64 v[38:39], v[42:43], v[38:39], v[40:41]
	v_cndmask_b32_e64 v7, v39, v7, s6
	s_delay_alu instid0(VALU_DEP_2) | instskip(NEXT) | instid1(VALU_DEP_1)
	v_cndmask_b32_e64 v6, v38, v6, s6
	v_ldexp_f64 v[6:7], v[6:7], v19
	s_delay_alu instid0(VALU_DEP_1) | instskip(NEXT) | instid1(VALU_DEP_2)
	v_cndmask_b32_e64 v76, 0x7ff80000, v7, s5
	v_cndmask_b32_e64 v77, 0, v6, s5
	v_and_b32_e32 v7, 0x7fffffff, v7
	s_delay_alu instid0(VALU_DEP_3) | instskip(NEXT) | instid1(VALU_DEP_3)
	v_cndmask_b32_e64 v39, v76, 0x7ff00000, s8
	v_cndmask_b32_e64 v38, v77, 0, s8
	s_delay_alu instid0(VALU_DEP_1) | instskip(NEXT) | instid1(VALU_DEP_1)
	v_frexp_mant_f64_e32 v[40:41], v[38:39]
	v_cmp_gt_f64_e64 s6, s[14:15], v[40:41]
	s_delay_alu instid0(VALU_DEP_1) | instskip(NEXT) | instid1(VALU_DEP_1)
	v_cndmask_b32_e64 v19, 0x3ff00000, 2.0, s6
	v_mul_f64 v[40:41], v[40:41], v[18:19]
	v_frexp_exp_i32_f64_e32 v19, v[38:39]
	s_delay_alu instid0(VALU_DEP_2) | instskip(SKIP_1) | instid1(VALU_DEP_3)
	v_add_f64 v[42:43], v[40:41], 1.0
	v_add_f64 v[66:67], v[40:41], -1.0
	v_subrev_co_ci_u32_e64 v19, s6, 0, v19, s6
	v_cmp_eq_f64_e64 s6, 0x7ff00000, v[6:7]
	s_delay_alu instid0(VALU_DEP_4) | instskip(SKIP_1) | instid1(VALU_DEP_2)
	v_rcp_f64_e32 v[44:45], v[42:43]
	v_add_f64 v[68:69], v[42:43], -1.0
	s_and_b32 s6, s5, s6
	s_delay_alu instid0(VALU_DEP_1) | instskip(SKIP_2) | instid1(VALU_DEP_1)
	v_add_f64 v[40:41], v[40:41], -v[68:69]
	s_waitcnt_depctr 0xfff
	v_fma_f64 v[64:65], -v[42:43], v[44:45], 1.0
	v_fma_f64 v[44:45], v[64:65], v[44:45], v[44:45]
	s_delay_alu instid0(VALU_DEP_1) | instskip(NEXT) | instid1(VALU_DEP_1)
	v_fma_f64 v[64:65], -v[42:43], v[44:45], 1.0
	v_fma_f64 v[44:45], v[64:65], v[44:45], v[44:45]
	s_delay_alu instid0(VALU_DEP_1) | instskip(NEXT) | instid1(VALU_DEP_1)
	v_mul_f64 v[64:65], v[66:67], v[44:45]
	v_mul_f64 v[70:71], v[42:43], v[64:65]
	s_delay_alu instid0(VALU_DEP_1) | instskip(NEXT) | instid1(VALU_DEP_1)
	v_fma_f64 v[42:43], v[64:65], v[42:43], -v[70:71]
	v_fma_f64 v[40:41], v[64:65], v[40:41], v[42:43]
	s_delay_alu instid0(VALU_DEP_1) | instskip(NEXT) | instid1(VALU_DEP_1)
	v_add_f64 v[42:43], v[70:71], v[40:41]
	v_add_f64 v[68:69], v[66:67], -v[42:43]
	v_add_f64 v[70:71], v[42:43], -v[70:71]
	s_delay_alu instid0(VALU_DEP_2) | instskip(NEXT) | instid1(VALU_DEP_2)
	v_add_f64 v[66:67], v[66:67], -v[68:69]
	v_add_f64 v[40:41], v[70:71], -v[40:41]
	s_delay_alu instid0(VALU_DEP_2) | instskip(NEXT) | instid1(VALU_DEP_1)
	v_add_f64 v[42:43], v[66:67], -v[42:43]
	v_add_f64 v[40:41], v[40:41], v[42:43]
	s_delay_alu instid0(VALU_DEP_1) | instskip(NEXT) | instid1(VALU_DEP_1)
	v_add_f64 v[40:41], v[68:69], v[40:41]
	v_mul_f64 v[40:41], v[44:45], v[40:41]
	s_delay_alu instid0(VALU_DEP_1) | instskip(NEXT) | instid1(VALU_DEP_1)
	v_add_f64 v[42:43], v[64:65], v[40:41]
	v_mul_f64 v[44:45], v[42:43], v[42:43]
	s_delay_alu instid0(VALU_DEP_1) | instskip(SKIP_1) | instid1(VALU_DEP_2)
	v_fma_f64 v[66:67], v[44:45], s[22:23], s[20:21]
	v_mul_f64 v[68:69], v[42:43], v[44:45]
	v_fma_f64 v[66:67], v[44:45], v[66:67], s[24:25]
	s_delay_alu instid0(VALU_DEP_1) | instskip(NEXT) | instid1(VALU_DEP_1)
	v_fma_f64 v[66:67], v[44:45], v[66:67], s[26:27]
	v_fma_f64 v[66:67], v[44:45], v[66:67], s[28:29]
	s_delay_alu instid0(VALU_DEP_1) | instskip(NEXT) | instid1(VALU_DEP_1)
	v_fma_f64 v[66:67], v[44:45], v[66:67], s[30:31]
	v_fma_f64 v[44:45], v[44:45], v[66:67], s[80:81]
	v_ldexp_f64 v[66:67], v[42:43], 1
	v_add_f64 v[42:43], v[42:43], -v[64:65]
	s_delay_alu instid0(VALU_DEP_3) | instskip(SKIP_1) | instid1(VALU_DEP_3)
	v_mul_f64 v[44:45], v[68:69], v[44:45]
	v_cvt_f64_i32_e32 v[68:69], v19
	v_add_f64 v[40:41], v[40:41], -v[42:43]
	s_delay_alu instid0(VALU_DEP_3) | instskip(NEXT) | instid1(VALU_DEP_3)
	v_add_f64 v[64:65], v[66:67], v[44:45]
	v_mul_f64 v[70:71], v[68:69], s[34:35]
	s_delay_alu instid0(VALU_DEP_3) | instskip(NEXT) | instid1(VALU_DEP_3)
	v_ldexp_f64 v[40:41], v[40:41], 1
	v_add_f64 v[42:43], v[64:65], -v[66:67]
	s_delay_alu instid0(VALU_DEP_3) | instskip(NEXT) | instid1(VALU_DEP_2)
	v_fma_f64 v[66:67], v[68:69], s[34:35], -v[70:71]
	v_add_f64 v[42:43], v[44:45], -v[42:43]
	s_delay_alu instid0(VALU_DEP_2) | instskip(NEXT) | instid1(VALU_DEP_2)
	v_fma_f64 v[44:45], v[68:69], s[36:37], v[66:67]
	v_add_f64 v[40:41], v[40:41], v[42:43]
	s_delay_alu instid0(VALU_DEP_2) | instskip(NEXT) | instid1(VALU_DEP_2)
	v_add_f64 v[42:43], v[70:71], v[44:45]
	v_add_f64 v[66:67], v[64:65], v[40:41]
	s_delay_alu instid0(VALU_DEP_2) | instskip(NEXT) | instid1(VALU_DEP_2)
	v_add_f64 v[70:71], v[42:43], -v[70:71]
	v_add_f64 v[68:69], v[42:43], v[66:67]
	v_add_f64 v[64:65], v[66:67], -v[64:65]
	s_delay_alu instid0(VALU_DEP_3) | instskip(NEXT) | instid1(VALU_DEP_3)
	v_add_f64 v[44:45], v[44:45], -v[70:71]
	v_add_f64 v[72:73], v[68:69], -v[42:43]
	s_delay_alu instid0(VALU_DEP_3) | instskip(NEXT) | instid1(VALU_DEP_2)
	v_add_f64 v[40:41], v[40:41], -v[64:65]
	v_add_f64 v[74:75], v[68:69], -v[72:73]
	;; [unrolled: 1-line block ×3, first 2 shown]
	s_delay_alu instid0(VALU_DEP_3) | instskip(NEXT) | instid1(VALU_DEP_3)
	v_add_f64 v[66:67], v[44:45], v[40:41]
	v_add_f64 v[42:43], v[42:43], -v[74:75]
	s_delay_alu instid0(VALU_DEP_1) | instskip(NEXT) | instid1(VALU_DEP_3)
	v_add_f64 v[42:43], v[64:65], v[42:43]
	v_add_f64 v[64:65], v[66:67], -v[44:45]
	s_delay_alu instid0(VALU_DEP_2) | instskip(NEXT) | instid1(VALU_DEP_2)
	v_add_f64 v[42:43], v[66:67], v[42:43]
	v_add_f64 v[66:67], v[66:67], -v[64:65]
	v_add_f64 v[40:41], v[40:41], -v[64:65]
	s_delay_alu instid0(VALU_DEP_3) | instskip(NEXT) | instid1(VALU_DEP_3)
	v_add_f64 v[70:71], v[68:69], v[42:43]
	v_add_f64 v[44:45], v[44:45], -v[66:67]
	s_delay_alu instid0(VALU_DEP_2) | instskip(NEXT) | instid1(VALU_DEP_2)
	v_add_f64 v[64:65], v[70:71], -v[68:69]
	v_add_f64 v[40:41], v[40:41], v[44:45]
	s_delay_alu instid0(VALU_DEP_2) | instskip(NEXT) | instid1(VALU_DEP_1)
	v_add_f64 v[42:43], v[42:43], -v[64:65]
	v_add_f64 v[40:41], v[40:41], v[42:43]
	s_delay_alu instid0(VALU_DEP_1) | instskip(NEXT) | instid1(VALU_DEP_1)
	v_add_f64 v[6:7], v[70:71], v[40:41]
	v_cndmask_b32_e64 v7, v7, v76, s6
	s_delay_alu instid0(VALU_DEP_2) | instskip(SKIP_1) | instid1(VALU_DEP_3)
	v_cndmask_b32_e64 v6, v6, v77, s6
	v_cmp_ngt_f64_e64 s6, 0, v[38:39]
	v_cndmask_b32_e64 v7, v7, 0x7ff00000, s8
	s_delay_alu instid0(VALU_DEP_3) | instskip(NEXT) | instid1(VALU_DEP_2)
	v_cndmask_b32_e64 v6, v6, 0, s8
	v_cndmask_b32_e64 v7, 0x7ff80000, v7, s6
	v_cmp_nge_f64_e64 s6, 0, v[38:39]
	s_delay_alu instid0(VALU_DEP_1) | instskip(SKIP_1) | instid1(VALU_DEP_1)
	v_cndmask_b32_e64 v6, 0, v6, s6
	v_cmp_neq_f64_e64 s6, 0, v[38:39]
	v_cndmask_b32_e64 v7, 0xfff00000, v7, s6
.LBB204_55:                             ;   in Loop: Header=BB204_33 Depth=1
	s_and_not1_saveexec_b32 s7, s7
	s_cbranch_execz .LBB204_59
; %bb.56:                               ;   in Loop: Header=BB204_33 Depth=1
	s_delay_alu instid0(VALU_DEP_1) | instskip(SKIP_1) | instid1(VALU_DEP_1)
	v_add_f64 v[38:39], v[6:7], 2.0
	s_mov_b32 s8, exec_lo
	v_mul_f64 v[38:39], v[6:7], v[38:39]
	s_delay_alu instid0(VALU_DEP_1) | instskip(NEXT) | instid1(VALU_DEP_1)
	v_fma_f64 v[38:39], v[8:9], v[8:9], v[38:39]
	v_cmpx_neq_f64_e32 0, v[38:39]
	s_cbranch_execz .LBB204_58
; %bb.57:                               ;   in Loop: Header=BB204_33 Depth=1
	v_add_f64 v[6:7], v[38:39], 1.0
	s_mov_b32 s81, s15
	s_delay_alu instid0(VALU_DEP_1) | instskip(SKIP_2) | instid1(VALU_DEP_3)
	v_frexp_mant_f64_e32 v[40:41], v[6:7]
	v_frexp_exp_i32_f64_e32 v19, v[6:7]
	v_add_f64 v[42:43], v[6:7], -1.0
	v_cmp_gt_f64_e64 s6, s[14:15], v[40:41]
	s_delay_alu instid0(VALU_DEP_2) | instskip(SKIP_1) | instid1(VALU_DEP_3)
	v_add_f64 v[40:41], v[42:43], -v[6:7]
	v_add_f64 v[42:43], v[38:39], -v[42:43]
	v_subrev_co_ci_u32_e64 v19, s6, 0, v19, s6
	s_delay_alu instid0(VALU_DEP_3) | instskip(SKIP_1) | instid1(VALU_DEP_3)
	v_add_f64 v[40:41], v[40:41], 1.0
	v_cmp_eq_f64_e64 s6, 0x7ff00000, v[38:39]
	v_sub_nc_u32_e32 v64, 0, v19
	s_delay_alu instid0(VALU_DEP_1) | instskip(NEXT) | instid1(VALU_DEP_4)
	v_ldexp_f64 v[6:7], v[6:7], v64
	v_add_f64 v[40:41], v[42:43], v[40:41]
	s_delay_alu instid0(VALU_DEP_2) | instskip(SKIP_1) | instid1(VALU_DEP_3)
	v_add_f64 v[44:45], v[6:7], 1.0
	v_add_f64 v[68:69], v[6:7], -1.0
	v_ldexp_f64 v[40:41], v[40:41], v64
	s_delay_alu instid0(VALU_DEP_3) | instskip(NEXT) | instid1(VALU_DEP_3)
	v_add_f64 v[42:43], v[44:45], -1.0
	v_add_f64 v[70:71], v[68:69], 1.0
	s_delay_alu instid0(VALU_DEP_2) | instskip(NEXT) | instid1(VALU_DEP_2)
	v_add_f64 v[42:43], v[6:7], -v[42:43]
	v_add_f64 v[6:7], v[6:7], -v[70:71]
	s_delay_alu instid0(VALU_DEP_2) | instskip(NEXT) | instid1(VALU_DEP_2)
	v_add_f64 v[42:43], v[40:41], v[42:43]
	v_add_f64 v[6:7], v[40:41], v[6:7]
	s_delay_alu instid0(VALU_DEP_2) | instskip(NEXT) | instid1(VALU_DEP_2)
	v_add_f64 v[64:65], v[44:45], v[42:43]
	v_add_f64 v[70:71], v[68:69], v[6:7]
	s_delay_alu instid0(VALU_DEP_2) | instskip(SKIP_1) | instid1(VALU_DEP_2)
	v_rcp_f64_e32 v[66:67], v[64:65]
	v_add_f64 v[44:45], v[64:65], -v[44:45]
	v_add_f64 v[68:69], v[70:71], -v[68:69]
	s_delay_alu instid0(VALU_DEP_2) | instskip(SKIP_3) | instid1(VALU_DEP_2)
	v_add_f64 v[42:43], v[42:43], -v[44:45]
	s_waitcnt_depctr 0xfff
	v_fma_f64 v[72:73], -v[64:65], v[66:67], 1.0
	v_add_f64 v[6:7], v[6:7], -v[68:69]
	v_fma_f64 v[66:67], v[72:73], v[66:67], v[66:67]
	s_delay_alu instid0(VALU_DEP_1) | instskip(NEXT) | instid1(VALU_DEP_1)
	v_fma_f64 v[40:41], -v[64:65], v[66:67], 1.0
	v_fma_f64 v[40:41], v[40:41], v[66:67], v[66:67]
	s_delay_alu instid0(VALU_DEP_1) | instskip(NEXT) | instid1(VALU_DEP_1)
	v_mul_f64 v[66:67], v[70:71], v[40:41]
	v_mul_f64 v[72:73], v[64:65], v[66:67]
	s_delay_alu instid0(VALU_DEP_1) | instskip(NEXT) | instid1(VALU_DEP_1)
	v_fma_f64 v[44:45], v[66:67], v[64:65], -v[72:73]
	v_fma_f64 v[44:45], v[66:67], v[42:43], v[44:45]
	s_delay_alu instid0(VALU_DEP_1) | instskip(NEXT) | instid1(VALU_DEP_1)
	v_add_f64 v[74:75], v[72:73], v[44:45]
	v_add_f64 v[76:77], v[70:71], -v[74:75]
	v_add_f64 v[68:69], v[74:75], -v[72:73]
	s_delay_alu instid0(VALU_DEP_2) | instskip(NEXT) | instid1(VALU_DEP_2)
	v_add_f64 v[70:71], v[70:71], -v[76:77]
	v_add_f64 v[44:45], v[68:69], -v[44:45]
	s_delay_alu instid0(VALU_DEP_2) | instskip(NEXT) | instid1(VALU_DEP_1)
	v_add_f64 v[70:71], v[70:71], -v[74:75]
	v_add_f64 v[6:7], v[6:7], v[70:71]
	s_delay_alu instid0(VALU_DEP_1) | instskip(NEXT) | instid1(VALU_DEP_1)
	v_add_f64 v[6:7], v[44:45], v[6:7]
	v_add_f64 v[44:45], v[76:77], v[6:7]
	s_delay_alu instid0(VALU_DEP_1) | instskip(SKIP_1) | instid1(VALU_DEP_2)
	v_mul_f64 v[68:69], v[40:41], v[44:45]
	v_add_f64 v[74:75], v[76:77], -v[44:45]
	v_mul_f64 v[70:71], v[64:65], v[68:69]
	s_delay_alu instid0(VALU_DEP_2) | instskip(NEXT) | instid1(VALU_DEP_2)
	v_add_f64 v[6:7], v[6:7], v[74:75]
	v_fma_f64 v[64:65], v[68:69], v[64:65], -v[70:71]
	s_delay_alu instid0(VALU_DEP_1) | instskip(NEXT) | instid1(VALU_DEP_1)
	v_fma_f64 v[42:43], v[68:69], v[42:43], v[64:65]
	v_add_f64 v[64:65], v[70:71], v[42:43]
	s_delay_alu instid0(VALU_DEP_1) | instskip(SKIP_1) | instid1(VALU_DEP_2)
	v_add_f64 v[72:73], v[44:45], -v[64:65]
	v_add_f64 v[70:71], v[64:65], -v[70:71]
	;; [unrolled: 1-line block ×3, first 2 shown]
	s_delay_alu instid0(VALU_DEP_2) | instskip(NEXT) | instid1(VALU_DEP_2)
	v_add_f64 v[42:43], v[70:71], -v[42:43]
	v_add_f64 v[44:45], v[44:45], -v[64:65]
	s_delay_alu instid0(VALU_DEP_1) | instskip(SKIP_1) | instid1(VALU_DEP_2)
	v_add_f64 v[6:7], v[6:7], v[44:45]
	v_add_f64 v[44:45], v[66:67], v[68:69]
	;; [unrolled: 1-line block ×3, first 2 shown]
	s_delay_alu instid0(VALU_DEP_2) | instskip(NEXT) | instid1(VALU_DEP_2)
	v_add_f64 v[42:43], v[44:45], -v[66:67]
	v_add_f64 v[6:7], v[72:73], v[6:7]
	s_delay_alu instid0(VALU_DEP_2) | instskip(NEXT) | instid1(VALU_DEP_2)
	v_add_f64 v[42:43], v[68:69], -v[42:43]
	v_mul_f64 v[6:7], v[40:41], v[6:7]
	s_delay_alu instid0(VALU_DEP_1) | instskip(NEXT) | instid1(VALU_DEP_1)
	v_add_f64 v[6:7], v[42:43], v[6:7]
	v_add_f64 v[40:41], v[44:45], v[6:7]
	s_delay_alu instid0(VALU_DEP_1) | instskip(NEXT) | instid1(VALU_DEP_1)
	v_mul_f64 v[42:43], v[40:41], v[40:41]
	v_fma_f64 v[64:65], v[42:43], s[22:23], s[20:21]
	v_mul_f64 v[66:67], v[40:41], v[42:43]
	s_delay_alu instid0(VALU_DEP_2) | instskip(NEXT) | instid1(VALU_DEP_1)
	v_fma_f64 v[64:65], v[42:43], v[64:65], s[24:25]
	v_fma_f64 v[64:65], v[42:43], v[64:65], s[26:27]
	s_delay_alu instid0(VALU_DEP_1) | instskip(NEXT) | instid1(VALU_DEP_1)
	v_fma_f64 v[64:65], v[42:43], v[64:65], s[28:29]
	v_fma_f64 v[64:65], v[42:43], v[64:65], s[30:31]
	s_delay_alu instid0(VALU_DEP_1) | instskip(SKIP_2) | instid1(VALU_DEP_3)
	v_fma_f64 v[42:43], v[42:43], v[64:65], s[80:81]
	v_ldexp_f64 v[64:65], v[40:41], 1
	v_add_f64 v[40:41], v[40:41], -v[44:45]
	v_mul_f64 v[42:43], v[66:67], v[42:43]
	v_cvt_f64_i32_e32 v[66:67], v19
	s_delay_alu instid0(VALU_DEP_3) | instskip(NEXT) | instid1(VALU_DEP_3)
	v_add_f64 v[6:7], v[6:7], -v[40:41]
	v_add_f64 v[44:45], v[64:65], v[42:43]
	s_delay_alu instid0(VALU_DEP_3) | instskip(NEXT) | instid1(VALU_DEP_3)
	v_mul_f64 v[68:69], v[66:67], s[34:35]
	v_ldexp_f64 v[6:7], v[6:7], 1
	s_delay_alu instid0(VALU_DEP_3) | instskip(NEXT) | instid1(VALU_DEP_3)
	v_add_f64 v[40:41], v[44:45], -v[64:65]
	v_fma_f64 v[64:65], v[66:67], s[34:35], -v[68:69]
	s_delay_alu instid0(VALU_DEP_2) | instskip(NEXT) | instid1(VALU_DEP_2)
	v_add_f64 v[40:41], v[42:43], -v[40:41]
	v_fma_f64 v[42:43], v[66:67], s[36:37], v[64:65]
	s_delay_alu instid0(VALU_DEP_2) | instskip(NEXT) | instid1(VALU_DEP_2)
	v_add_f64 v[6:7], v[6:7], v[40:41]
	v_add_f64 v[40:41], v[68:69], v[42:43]
	s_delay_alu instid0(VALU_DEP_2) | instskip(NEXT) | instid1(VALU_DEP_2)
	v_add_f64 v[64:65], v[44:45], v[6:7]
	v_add_f64 v[68:69], v[40:41], -v[68:69]
	s_delay_alu instid0(VALU_DEP_2) | instskip(SKIP_1) | instid1(VALU_DEP_3)
	v_add_f64 v[66:67], v[40:41], v[64:65]
	v_add_f64 v[44:45], v[64:65], -v[44:45]
	v_add_f64 v[42:43], v[42:43], -v[68:69]
	s_delay_alu instid0(VALU_DEP_3) | instskip(NEXT) | instid1(VALU_DEP_3)
	v_add_f64 v[70:71], v[66:67], -v[40:41]
	v_add_f64 v[6:7], v[6:7], -v[44:45]
	s_delay_alu instid0(VALU_DEP_2) | instskip(SKIP_1) | instid1(VALU_DEP_3)
	v_add_f64 v[72:73], v[66:67], -v[70:71]
	v_add_f64 v[44:45], v[64:65], -v[70:71]
	v_add_f64 v[64:65], v[42:43], v[6:7]
	s_delay_alu instid0(VALU_DEP_3) | instskip(NEXT) | instid1(VALU_DEP_1)
	v_add_f64 v[40:41], v[40:41], -v[72:73]
	v_add_f64 v[40:41], v[44:45], v[40:41]
	s_delay_alu instid0(VALU_DEP_3) | instskip(NEXT) | instid1(VALU_DEP_2)
	v_add_f64 v[44:45], v[64:65], -v[42:43]
	v_add_f64 v[40:41], v[64:65], v[40:41]
	s_delay_alu instid0(VALU_DEP_2) | instskip(SKIP_1) | instid1(VALU_DEP_3)
	v_add_f64 v[64:65], v[64:65], -v[44:45]
	v_add_f64 v[6:7], v[6:7], -v[44:45]
	v_add_f64 v[68:69], v[66:67], v[40:41]
	s_delay_alu instid0(VALU_DEP_3) | instskip(NEXT) | instid1(VALU_DEP_2)
	v_add_f64 v[42:43], v[42:43], -v[64:65]
	v_add_f64 v[44:45], v[68:69], -v[66:67]
	s_delay_alu instid0(VALU_DEP_2) | instskip(NEXT) | instid1(VALU_DEP_2)
	v_add_f64 v[6:7], v[6:7], v[42:43]
	v_add_f64 v[40:41], v[40:41], -v[44:45]
	s_delay_alu instid0(VALU_DEP_1) | instskip(NEXT) | instid1(VALU_DEP_1)
	v_add_f64 v[6:7], v[6:7], v[40:41]
	v_add_f64 v[6:7], v[68:69], v[6:7]
	s_delay_alu instid0(VALU_DEP_1) | instskip(NEXT) | instid1(VALU_DEP_2)
	v_cndmask_b32_e64 v7, v7, v39, s6
	v_cndmask_b32_e64 v6, v6, v38, s6
	v_cmp_ngt_f64_e64 s6, -1.0, v[38:39]
	s_delay_alu instid0(VALU_DEP_2) | instskip(NEXT) | instid1(VALU_DEP_1)
	v_mul_f64 v[6:7], v[6:7], 0.5
	v_cndmask_b32_e64 v7, 0x7ff80000, v7, s6
	v_cmp_nge_f64_e64 s6, -1.0, v[38:39]
	s_delay_alu instid0(VALU_DEP_1) | instskip(SKIP_1) | instid1(VALU_DEP_1)
	v_cndmask_b32_e64 v6, 0, v6, s6
	v_cmp_neq_f64_e64 s6, -1.0, v[38:39]
	v_cndmask_b32_e64 v7, 0xfff00000, v7, s6
.LBB204_58:                             ;   in Loop: Header=BB204_33 Depth=1
	s_or_b32 exec_lo, exec_lo, s8
.LBB204_59:                             ;   in Loop: Header=BB204_33 Depth=1
	s_delay_alu instid0(SALU_CYCLE_1)
	s_or_b32 exec_lo, exec_lo, s7
	v_max_f64 v[38:39], |v[2:3]|, |v[2:3]|
	v_max_f64 v[40:41], |v[4:5]|, |v[4:5]|
	v_cmp_class_f64_e64 s81, v[2:3], 0x204
	v_cmp_class_f64_e64 s92, v[4:5], 0x204
	v_cmp_u_f64_e64 s7, v[2:3], v[4:5]
	s_delay_alu instid0(VALU_DEP_4) | instskip(NEXT) | instid1(VALU_DEP_3)
	v_max_f64 v[38:39], v[38:39], v[40:41]
	s_or_b32 s81, s92, s81
	s_delay_alu instid0(VALU_DEP_2) | instid1(SALU_CYCLE_1)
	s_or_b32 s7, s81, s7
	s_delay_alu instid0(VALU_DEP_1) | instskip(NEXT) | instid1(VALU_DEP_1)
	v_frexp_exp_i32_f64_e32 v19, v[38:39]
	v_sub_nc_u32_e32 v42, 0, v19
	s_delay_alu instid0(VALU_DEP_1) | instskip(SKIP_1) | instid1(VALU_DEP_2)
	v_ldexp_f64 v[38:39], |v[4:5]|, v42
	v_ldexp_f64 v[42:43], |v[2:3]|, v42
	v_mul_f64 v[38:39], v[38:39], v[38:39]
	s_delay_alu instid0(VALU_DEP_1) | instskip(NEXT) | instid1(VALU_DEP_1)
	v_fma_f64 v[38:39], v[42:43], v[42:43], v[38:39]
	v_rsq_f64_e32 v[42:43], v[38:39]
	v_cmp_eq_f64_e64 s6, 0, v[38:39]
	s_waitcnt_depctr 0xfff
	v_mul_f64 v[44:45], v[38:39], v[42:43]
	v_mul_f64 v[42:43], v[42:43], 0.5
	s_delay_alu instid0(VALU_DEP_1) | instskip(NEXT) | instid1(VALU_DEP_1)
	v_fma_f64 v[64:65], -v[42:43], v[44:45], 0.5
	v_fma_f64 v[44:45], v[44:45], v[64:65], v[44:45]
	v_fma_f64 v[42:43], v[42:43], v[64:65], v[42:43]
	s_delay_alu instid0(VALU_DEP_2) | instskip(NEXT) | instid1(VALU_DEP_1)
	v_fma_f64 v[64:65], -v[44:45], v[44:45], v[38:39]
	v_fma_f64 v[42:43], v[64:65], v[42:43], v[44:45]
	s_delay_alu instid0(VALU_DEP_1) | instskip(NEXT) | instid1(VALU_DEP_2)
	v_cndmask_b32_e64 v39, v43, v39, s6
	v_cndmask_b32_e64 v38, v42, v38, s6
	s_delay_alu instid0(VALU_DEP_1) | instskip(SKIP_1) | instid1(VALU_DEP_2)
	v_ldexp_f64 v[42:43], v[38:39], v19
	v_add_f64 v[38:39], v[2:3], 1.0
	v_cmp_ngt_f64_e64 s8, 0.5, v[42:43]
	s_delay_alu instid0(VALU_DEP_2) | instskip(SKIP_2) | instid1(VALU_DEP_4)
	v_max_f64 v[42:43], |v[38:39]|, v[40:41]
	v_cmp_o_f64_e64 s6, v[38:39], v[4:5]
	v_cmp_class_f64_e64 s93, v[38:39], 0x204
	s_or_b32 s7, s7, s8
	s_delay_alu instid0(SALU_CYCLE_1) | instskip(NEXT) | instid1(SALU_CYCLE_1)
	s_and_saveexec_b32 s8, s7
	s_xor_b32 s8, exec_lo, s8
	s_cbranch_execnz .LBB204_65
; %bb.60:                               ;   in Loop: Header=BB204_33 Depth=1
	s_and_not1_saveexec_b32 s8, s8
	s_cbranch_execnz .LBB204_66
.LBB204_61:                             ;   in Loop: Header=BB204_33 Depth=1
	s_or_b32 exec_lo, exec_lo, s8
	s_and_saveexec_b32 s7, vcc_lo
	s_delay_alu instid0(SALU_CYCLE_1)
	s_xor_b32 s81, exec_lo, s7
	s_cbranch_execnz .LBB204_69
.LBB204_62:                             ;   in Loop: Header=BB204_33 Depth=1
	s_or_b32 exec_lo, exec_lo, s81
	s_and_saveexec_b32 s3, s2
	s_cbranch_execnz .LBB204_70
.LBB204_63:                             ;   in Loop: Header=BB204_33 Depth=1
	s_or_b32 exec_lo, exec_lo, s3
	s_and_saveexec_b32 s2, s1
	s_cbranch_execnz .LBB204_71
.LBB204_64:                             ;   in Loop: Header=BB204_33 Depth=1
	s_or_b32 exec_lo, exec_lo, s2
	s_and_saveexec_b32 s1, s0
	s_cbranch_execz .LBB204_32
	s_branch .LBB204_72
.LBB204_65:                             ;   in Loop: Header=BB204_33 Depth=1
	s_delay_alu instid0(VALU_DEP_3) | instskip(NEXT) | instid1(VALU_DEP_2)
	v_frexp_exp_i32_f64_e32 v19, v[42:43]
	s_or_b32 s94, s92, s93
	s_mov_b32 s81, s15
	s_delay_alu instid0(VALU_DEP_1) | instskip(NEXT) | instid1(VALU_DEP_1)
	v_sub_nc_u32_e32 v44, 0, v19
	v_ldexp_f64 v[2:3], |v[4:5]|, v44
	v_ldexp_f64 v[44:45], |v[38:39]|, v44
	s_delay_alu instid0(VALU_DEP_2) | instskip(NEXT) | instid1(VALU_DEP_1)
	v_mul_f64 v[2:3], v[2:3], v[2:3]
	v_fma_f64 v[2:3], v[44:45], v[44:45], v[2:3]
	s_delay_alu instid0(VALU_DEP_1) | instskip(SKIP_4) | instid1(VALU_DEP_1)
	v_rsq_f64_e32 v[44:45], v[2:3]
	v_cmp_eq_f64_e64 s7, 0, v[2:3]
	s_waitcnt_depctr 0xfff
	v_mul_f64 v[64:65], v[2:3], v[44:45]
	v_mul_f64 v[44:45], v[44:45], 0.5
	v_fma_f64 v[66:67], -v[44:45], v[64:65], 0.5
	s_delay_alu instid0(VALU_DEP_1) | instskip(SKIP_1) | instid1(VALU_DEP_2)
	v_fma_f64 v[64:65], v[64:65], v[66:67], v[64:65]
	v_fma_f64 v[44:45], v[44:45], v[66:67], v[44:45]
	v_fma_f64 v[66:67], -v[64:65], v[64:65], v[2:3]
	s_delay_alu instid0(VALU_DEP_1) | instskip(NEXT) | instid1(VALU_DEP_1)
	v_fma_f64 v[44:45], v[66:67], v[44:45], v[64:65]
	v_cndmask_b32_e64 v3, v45, v3, s7
	s_delay_alu instid0(VALU_DEP_2) | instskip(NEXT) | instid1(VALU_DEP_1)
	v_cndmask_b32_e64 v2, v44, v2, s7
	v_ldexp_f64 v[2:3], v[2:3], v19
	s_delay_alu instid0(VALU_DEP_1) | instskip(NEXT) | instid1(VALU_DEP_2)
	v_cndmask_b32_e64 v82, 0x7ff80000, v3, s6
	v_cndmask_b32_e64 v83, 0, v2, s6
	v_and_b32_e32 v3, 0x7fffffff, v3
	s_delay_alu instid0(VALU_DEP_3) | instskip(NEXT) | instid1(VALU_DEP_3)
	v_cndmask_b32_e64 v45, v82, 0x7ff00000, s94
	v_cndmask_b32_e64 v44, v83, 0, s94
	s_delay_alu instid0(VALU_DEP_1) | instskip(NEXT) | instid1(VALU_DEP_1)
	v_frexp_mant_f64_e32 v[64:65], v[44:45]
	v_cmp_gt_f64_e64 s7, s[14:15], v[64:65]
	s_delay_alu instid0(VALU_DEP_1) | instskip(NEXT) | instid1(VALU_DEP_1)
	v_cndmask_b32_e64 v19, 0x3ff00000, 2.0, s7
	v_mul_f64 v[64:65], v[64:65], v[18:19]
	v_frexp_exp_i32_f64_e32 v19, v[44:45]
	s_delay_alu instid0(VALU_DEP_2) | instskip(SKIP_1) | instid1(VALU_DEP_3)
	v_add_f64 v[66:67], v[64:65], 1.0
	v_add_f64 v[72:73], v[64:65], -1.0
	v_subrev_co_ci_u32_e64 v19, s7, 0, v19, s7
	v_cmp_eq_f64_e64 s7, 0x7ff00000, v[2:3]
	s_delay_alu instid0(VALU_DEP_4) | instskip(SKIP_1) | instid1(VALU_DEP_2)
	v_rcp_f64_e32 v[68:69], v[66:67]
	v_add_f64 v[74:75], v[66:67], -1.0
	s_and_b32 s7, s6, s7
	s_delay_alu instid0(VALU_DEP_1) | instskip(SKIP_2) | instid1(VALU_DEP_1)
	v_add_f64 v[64:65], v[64:65], -v[74:75]
	s_waitcnt_depctr 0xfff
	v_fma_f64 v[70:71], -v[66:67], v[68:69], 1.0
	v_fma_f64 v[68:69], v[70:71], v[68:69], v[68:69]
	s_delay_alu instid0(VALU_DEP_1) | instskip(NEXT) | instid1(VALU_DEP_1)
	v_fma_f64 v[70:71], -v[66:67], v[68:69], 1.0
	v_fma_f64 v[68:69], v[70:71], v[68:69], v[68:69]
	s_delay_alu instid0(VALU_DEP_1) | instskip(NEXT) | instid1(VALU_DEP_1)
	v_mul_f64 v[70:71], v[72:73], v[68:69]
	v_mul_f64 v[76:77], v[66:67], v[70:71]
	s_delay_alu instid0(VALU_DEP_1) | instskip(NEXT) | instid1(VALU_DEP_1)
	v_fma_f64 v[66:67], v[70:71], v[66:67], -v[76:77]
	v_fma_f64 v[64:65], v[70:71], v[64:65], v[66:67]
	s_delay_alu instid0(VALU_DEP_1) | instskip(NEXT) | instid1(VALU_DEP_1)
	v_add_f64 v[66:67], v[76:77], v[64:65]
	v_add_f64 v[74:75], v[72:73], -v[66:67]
	v_add_f64 v[76:77], v[66:67], -v[76:77]
	s_delay_alu instid0(VALU_DEP_2) | instskip(NEXT) | instid1(VALU_DEP_2)
	v_add_f64 v[72:73], v[72:73], -v[74:75]
	v_add_f64 v[64:65], v[76:77], -v[64:65]
	s_delay_alu instid0(VALU_DEP_2) | instskip(NEXT) | instid1(VALU_DEP_1)
	v_add_f64 v[66:67], v[72:73], -v[66:67]
	v_add_f64 v[64:65], v[64:65], v[66:67]
	s_delay_alu instid0(VALU_DEP_1) | instskip(NEXT) | instid1(VALU_DEP_1)
	v_add_f64 v[64:65], v[74:75], v[64:65]
	v_mul_f64 v[64:65], v[68:69], v[64:65]
	s_delay_alu instid0(VALU_DEP_1) | instskip(NEXT) | instid1(VALU_DEP_1)
	v_add_f64 v[66:67], v[70:71], v[64:65]
	v_mul_f64 v[68:69], v[66:67], v[66:67]
	s_delay_alu instid0(VALU_DEP_1) | instskip(SKIP_1) | instid1(VALU_DEP_2)
	v_fma_f64 v[72:73], v[68:69], s[22:23], s[20:21]
	v_mul_f64 v[74:75], v[66:67], v[68:69]
	v_fma_f64 v[72:73], v[68:69], v[72:73], s[24:25]
	s_delay_alu instid0(VALU_DEP_1) | instskip(NEXT) | instid1(VALU_DEP_1)
	v_fma_f64 v[72:73], v[68:69], v[72:73], s[26:27]
	v_fma_f64 v[72:73], v[68:69], v[72:73], s[28:29]
	s_delay_alu instid0(VALU_DEP_1) | instskip(NEXT) | instid1(VALU_DEP_1)
	v_fma_f64 v[72:73], v[68:69], v[72:73], s[30:31]
	v_fma_f64 v[68:69], v[68:69], v[72:73], s[80:81]
	v_ldexp_f64 v[72:73], v[66:67], 1
	v_add_f64 v[66:67], v[66:67], -v[70:71]
	s_delay_alu instid0(VALU_DEP_3) | instskip(SKIP_1) | instid1(VALU_DEP_3)
	v_mul_f64 v[68:69], v[74:75], v[68:69]
	v_cvt_f64_i32_e32 v[74:75], v19
	v_add_f64 v[64:65], v[64:65], -v[66:67]
	s_delay_alu instid0(VALU_DEP_3) | instskip(NEXT) | instid1(VALU_DEP_3)
	v_add_f64 v[70:71], v[72:73], v[68:69]
	v_mul_f64 v[76:77], v[74:75], s[34:35]
	s_delay_alu instid0(VALU_DEP_3) | instskip(NEXT) | instid1(VALU_DEP_3)
	v_ldexp_f64 v[64:65], v[64:65], 1
	v_add_f64 v[66:67], v[70:71], -v[72:73]
	s_delay_alu instid0(VALU_DEP_3) | instskip(NEXT) | instid1(VALU_DEP_2)
	v_fma_f64 v[72:73], v[74:75], s[34:35], -v[76:77]
	v_add_f64 v[66:67], v[68:69], -v[66:67]
	s_delay_alu instid0(VALU_DEP_2) | instskip(NEXT) | instid1(VALU_DEP_2)
	v_fma_f64 v[68:69], v[74:75], s[36:37], v[72:73]
	v_add_f64 v[64:65], v[64:65], v[66:67]
	s_delay_alu instid0(VALU_DEP_2) | instskip(NEXT) | instid1(VALU_DEP_2)
	v_add_f64 v[66:67], v[76:77], v[68:69]
	v_add_f64 v[72:73], v[70:71], v[64:65]
	s_delay_alu instid0(VALU_DEP_2) | instskip(NEXT) | instid1(VALU_DEP_2)
	v_add_f64 v[76:77], v[66:67], -v[76:77]
	v_add_f64 v[74:75], v[66:67], v[72:73]
	v_add_f64 v[70:71], v[72:73], -v[70:71]
	s_delay_alu instid0(VALU_DEP_3) | instskip(NEXT) | instid1(VALU_DEP_3)
	v_add_f64 v[68:69], v[68:69], -v[76:77]
	v_add_f64 v[78:79], v[74:75], -v[66:67]
	s_delay_alu instid0(VALU_DEP_3) | instskip(NEXT) | instid1(VALU_DEP_2)
	v_add_f64 v[64:65], v[64:65], -v[70:71]
	v_add_f64 v[80:81], v[74:75], -v[78:79]
	;; [unrolled: 1-line block ×3, first 2 shown]
	s_delay_alu instid0(VALU_DEP_3) | instskip(NEXT) | instid1(VALU_DEP_3)
	v_add_f64 v[72:73], v[68:69], v[64:65]
	v_add_f64 v[66:67], v[66:67], -v[80:81]
	s_delay_alu instid0(VALU_DEP_1) | instskip(NEXT) | instid1(VALU_DEP_3)
	v_add_f64 v[66:67], v[70:71], v[66:67]
	v_add_f64 v[70:71], v[72:73], -v[68:69]
	s_delay_alu instid0(VALU_DEP_2) | instskip(NEXT) | instid1(VALU_DEP_2)
	v_add_f64 v[66:67], v[72:73], v[66:67]
	v_add_f64 v[72:73], v[72:73], -v[70:71]
	v_add_f64 v[64:65], v[64:65], -v[70:71]
	s_delay_alu instid0(VALU_DEP_3) | instskip(NEXT) | instid1(VALU_DEP_3)
	v_add_f64 v[76:77], v[74:75], v[66:67]
	v_add_f64 v[68:69], v[68:69], -v[72:73]
	s_delay_alu instid0(VALU_DEP_2) | instskip(NEXT) | instid1(VALU_DEP_2)
	v_add_f64 v[70:71], v[76:77], -v[74:75]
	v_add_f64 v[64:65], v[64:65], v[68:69]
	s_delay_alu instid0(VALU_DEP_2) | instskip(NEXT) | instid1(VALU_DEP_1)
	v_add_f64 v[66:67], v[66:67], -v[70:71]
	v_add_f64 v[64:65], v[64:65], v[66:67]
	s_delay_alu instid0(VALU_DEP_1) | instskip(NEXT) | instid1(VALU_DEP_1)
	v_add_f64 v[2:3], v[76:77], v[64:65]
	v_cndmask_b32_e64 v3, v3, v82, s7
	s_delay_alu instid0(VALU_DEP_2) | instskip(SKIP_1) | instid1(VALU_DEP_3)
	v_cndmask_b32_e64 v2, v2, v83, s7
	v_cmp_ngt_f64_e64 s7, 0, v[44:45]
	v_cndmask_b32_e64 v3, v3, 0x7ff00000, s94
	s_delay_alu instid0(VALU_DEP_3) | instskip(NEXT) | instid1(VALU_DEP_2)
	v_cndmask_b32_e64 v2, v2, 0, s94
	v_cndmask_b32_e64 v3, 0x7ff80000, v3, s7
	v_cmp_nge_f64_e64 s7, 0, v[44:45]
	s_delay_alu instid0(VALU_DEP_1) | instskip(SKIP_1) | instid1(VALU_DEP_1)
	v_cndmask_b32_e64 v2, 0, v2, s7
	v_cmp_neq_f64_e64 s7, 0, v[44:45]
	v_cndmask_b32_e64 v3, 0xfff00000, v3, s7
	s_and_not1_saveexec_b32 s8, s8
	s_cbranch_execz .LBB204_61
.LBB204_66:                             ;   in Loop: Header=BB204_33 Depth=1
	s_delay_alu instid0(VALU_DEP_1) | instskip(SKIP_1) | instid1(VALU_DEP_1)
	v_add_f64 v[44:45], v[2:3], 2.0
	s_mov_b32 s94, exec_lo
	v_mul_f64 v[44:45], v[2:3], v[44:45]
	s_delay_alu instid0(VALU_DEP_1) | instskip(NEXT) | instid1(VALU_DEP_1)
	v_fma_f64 v[44:45], v[4:5], v[4:5], v[44:45]
	v_cmpx_neq_f64_e32 0, v[44:45]
	s_cbranch_execz .LBB204_68
; %bb.67:                               ;   in Loop: Header=BB204_33 Depth=1
	v_add_f64 v[2:3], v[44:45], 1.0
	s_mov_b32 s81, s15
	s_delay_alu instid0(VALU_DEP_1) | instskip(SKIP_2) | instid1(VALU_DEP_3)
	v_frexp_mant_f64_e32 v[64:65], v[2:3]
	v_frexp_exp_i32_f64_e32 v19, v[2:3]
	v_add_f64 v[66:67], v[2:3], -1.0
	v_cmp_gt_f64_e64 s7, s[14:15], v[64:65]
	s_delay_alu instid0(VALU_DEP_2) | instskip(SKIP_1) | instid1(VALU_DEP_3)
	v_add_f64 v[64:65], v[66:67], -v[2:3]
	v_add_f64 v[66:67], v[44:45], -v[66:67]
	v_subrev_co_ci_u32_e64 v19, s7, 0, v19, s7
	s_delay_alu instid0(VALU_DEP_3) | instskip(SKIP_1) | instid1(VALU_DEP_3)
	v_add_f64 v[64:65], v[64:65], 1.0
	v_cmp_eq_f64_e64 s7, 0x7ff00000, v[44:45]
	v_sub_nc_u32_e32 v70, 0, v19
	s_delay_alu instid0(VALU_DEP_1) | instskip(NEXT) | instid1(VALU_DEP_4)
	v_ldexp_f64 v[2:3], v[2:3], v70
	v_add_f64 v[64:65], v[66:67], v[64:65]
	s_delay_alu instid0(VALU_DEP_2) | instskip(SKIP_1) | instid1(VALU_DEP_3)
	v_add_f64 v[68:69], v[2:3], 1.0
	v_add_f64 v[74:75], v[2:3], -1.0
	v_ldexp_f64 v[64:65], v[64:65], v70
	s_delay_alu instid0(VALU_DEP_3) | instskip(NEXT) | instid1(VALU_DEP_3)
	v_add_f64 v[66:67], v[68:69], -1.0
	v_add_f64 v[76:77], v[74:75], 1.0
	s_delay_alu instid0(VALU_DEP_2) | instskip(NEXT) | instid1(VALU_DEP_2)
	v_add_f64 v[66:67], v[2:3], -v[66:67]
	v_add_f64 v[2:3], v[2:3], -v[76:77]
	s_delay_alu instid0(VALU_DEP_2) | instskip(NEXT) | instid1(VALU_DEP_2)
	v_add_f64 v[66:67], v[64:65], v[66:67]
	v_add_f64 v[2:3], v[64:65], v[2:3]
	s_delay_alu instid0(VALU_DEP_2) | instskip(NEXT) | instid1(VALU_DEP_2)
	v_add_f64 v[70:71], v[68:69], v[66:67]
	v_add_f64 v[76:77], v[74:75], v[2:3]
	s_delay_alu instid0(VALU_DEP_2) | instskip(SKIP_1) | instid1(VALU_DEP_2)
	v_rcp_f64_e32 v[72:73], v[70:71]
	v_add_f64 v[68:69], v[70:71], -v[68:69]
	v_add_f64 v[74:75], v[76:77], -v[74:75]
	s_delay_alu instid0(VALU_DEP_2) | instskip(SKIP_3) | instid1(VALU_DEP_2)
	v_add_f64 v[66:67], v[66:67], -v[68:69]
	s_waitcnt_depctr 0xfff
	v_fma_f64 v[78:79], -v[70:71], v[72:73], 1.0
	v_add_f64 v[2:3], v[2:3], -v[74:75]
	v_fma_f64 v[72:73], v[78:79], v[72:73], v[72:73]
	s_delay_alu instid0(VALU_DEP_1) | instskip(NEXT) | instid1(VALU_DEP_1)
	v_fma_f64 v[64:65], -v[70:71], v[72:73], 1.0
	v_fma_f64 v[64:65], v[64:65], v[72:73], v[72:73]
	s_delay_alu instid0(VALU_DEP_1) | instskip(NEXT) | instid1(VALU_DEP_1)
	v_mul_f64 v[72:73], v[76:77], v[64:65]
	v_mul_f64 v[78:79], v[70:71], v[72:73]
	s_delay_alu instid0(VALU_DEP_1) | instskip(NEXT) | instid1(VALU_DEP_1)
	v_fma_f64 v[68:69], v[72:73], v[70:71], -v[78:79]
	v_fma_f64 v[68:69], v[72:73], v[66:67], v[68:69]
	s_delay_alu instid0(VALU_DEP_1) | instskip(NEXT) | instid1(VALU_DEP_1)
	v_add_f64 v[80:81], v[78:79], v[68:69]
	v_add_f64 v[82:83], v[76:77], -v[80:81]
	v_add_f64 v[74:75], v[80:81], -v[78:79]
	s_delay_alu instid0(VALU_DEP_2) | instskip(NEXT) | instid1(VALU_DEP_2)
	v_add_f64 v[76:77], v[76:77], -v[82:83]
	v_add_f64 v[68:69], v[74:75], -v[68:69]
	s_delay_alu instid0(VALU_DEP_2) | instskip(NEXT) | instid1(VALU_DEP_1)
	v_add_f64 v[76:77], v[76:77], -v[80:81]
	v_add_f64 v[2:3], v[2:3], v[76:77]
	s_delay_alu instid0(VALU_DEP_1) | instskip(NEXT) | instid1(VALU_DEP_1)
	v_add_f64 v[2:3], v[68:69], v[2:3]
	v_add_f64 v[68:69], v[82:83], v[2:3]
	s_delay_alu instid0(VALU_DEP_1) | instskip(SKIP_1) | instid1(VALU_DEP_2)
	v_mul_f64 v[74:75], v[64:65], v[68:69]
	v_add_f64 v[80:81], v[82:83], -v[68:69]
	v_mul_f64 v[76:77], v[70:71], v[74:75]
	s_delay_alu instid0(VALU_DEP_2) | instskip(NEXT) | instid1(VALU_DEP_2)
	v_add_f64 v[2:3], v[2:3], v[80:81]
	v_fma_f64 v[70:71], v[74:75], v[70:71], -v[76:77]
	s_delay_alu instid0(VALU_DEP_1) | instskip(NEXT) | instid1(VALU_DEP_1)
	v_fma_f64 v[66:67], v[74:75], v[66:67], v[70:71]
	v_add_f64 v[70:71], v[76:77], v[66:67]
	s_delay_alu instid0(VALU_DEP_1) | instskip(SKIP_1) | instid1(VALU_DEP_2)
	v_add_f64 v[78:79], v[68:69], -v[70:71]
	v_add_f64 v[76:77], v[70:71], -v[76:77]
	;; [unrolled: 1-line block ×3, first 2 shown]
	s_delay_alu instid0(VALU_DEP_2) | instskip(NEXT) | instid1(VALU_DEP_2)
	v_add_f64 v[66:67], v[76:77], -v[66:67]
	v_add_f64 v[68:69], v[68:69], -v[70:71]
	s_delay_alu instid0(VALU_DEP_1) | instskip(SKIP_1) | instid1(VALU_DEP_2)
	v_add_f64 v[2:3], v[2:3], v[68:69]
	v_add_f64 v[68:69], v[72:73], v[74:75]
	;; [unrolled: 1-line block ×3, first 2 shown]
	s_delay_alu instid0(VALU_DEP_2) | instskip(NEXT) | instid1(VALU_DEP_2)
	v_add_f64 v[66:67], v[68:69], -v[72:73]
	v_add_f64 v[2:3], v[78:79], v[2:3]
	s_delay_alu instid0(VALU_DEP_2) | instskip(NEXT) | instid1(VALU_DEP_2)
	v_add_f64 v[66:67], v[74:75], -v[66:67]
	v_mul_f64 v[2:3], v[64:65], v[2:3]
	s_delay_alu instid0(VALU_DEP_1) | instskip(NEXT) | instid1(VALU_DEP_1)
	v_add_f64 v[2:3], v[66:67], v[2:3]
	v_add_f64 v[64:65], v[68:69], v[2:3]
	s_delay_alu instid0(VALU_DEP_1) | instskip(NEXT) | instid1(VALU_DEP_1)
	v_mul_f64 v[66:67], v[64:65], v[64:65]
	v_fma_f64 v[70:71], v[66:67], s[22:23], s[20:21]
	v_mul_f64 v[72:73], v[64:65], v[66:67]
	s_delay_alu instid0(VALU_DEP_2) | instskip(NEXT) | instid1(VALU_DEP_1)
	v_fma_f64 v[70:71], v[66:67], v[70:71], s[24:25]
	v_fma_f64 v[70:71], v[66:67], v[70:71], s[26:27]
	s_delay_alu instid0(VALU_DEP_1) | instskip(NEXT) | instid1(VALU_DEP_1)
	v_fma_f64 v[70:71], v[66:67], v[70:71], s[28:29]
	v_fma_f64 v[70:71], v[66:67], v[70:71], s[30:31]
	s_delay_alu instid0(VALU_DEP_1) | instskip(SKIP_2) | instid1(VALU_DEP_3)
	v_fma_f64 v[66:67], v[66:67], v[70:71], s[80:81]
	v_ldexp_f64 v[70:71], v[64:65], 1
	v_add_f64 v[64:65], v[64:65], -v[68:69]
	v_mul_f64 v[66:67], v[72:73], v[66:67]
	v_cvt_f64_i32_e32 v[72:73], v19
	s_delay_alu instid0(VALU_DEP_3) | instskip(NEXT) | instid1(VALU_DEP_3)
	v_add_f64 v[2:3], v[2:3], -v[64:65]
	v_add_f64 v[68:69], v[70:71], v[66:67]
	s_delay_alu instid0(VALU_DEP_3) | instskip(NEXT) | instid1(VALU_DEP_3)
	v_mul_f64 v[74:75], v[72:73], s[34:35]
	v_ldexp_f64 v[2:3], v[2:3], 1
	s_delay_alu instid0(VALU_DEP_3) | instskip(NEXT) | instid1(VALU_DEP_3)
	v_add_f64 v[64:65], v[68:69], -v[70:71]
	v_fma_f64 v[70:71], v[72:73], s[34:35], -v[74:75]
	s_delay_alu instid0(VALU_DEP_2) | instskip(NEXT) | instid1(VALU_DEP_2)
	v_add_f64 v[64:65], v[66:67], -v[64:65]
	v_fma_f64 v[66:67], v[72:73], s[36:37], v[70:71]
	s_delay_alu instid0(VALU_DEP_2) | instskip(NEXT) | instid1(VALU_DEP_2)
	v_add_f64 v[2:3], v[2:3], v[64:65]
	v_add_f64 v[64:65], v[74:75], v[66:67]
	s_delay_alu instid0(VALU_DEP_2) | instskip(NEXT) | instid1(VALU_DEP_2)
	v_add_f64 v[70:71], v[68:69], v[2:3]
	v_add_f64 v[74:75], v[64:65], -v[74:75]
	s_delay_alu instid0(VALU_DEP_2) | instskip(SKIP_1) | instid1(VALU_DEP_3)
	v_add_f64 v[72:73], v[64:65], v[70:71]
	v_add_f64 v[68:69], v[70:71], -v[68:69]
	v_add_f64 v[66:67], v[66:67], -v[74:75]
	s_delay_alu instid0(VALU_DEP_3) | instskip(NEXT) | instid1(VALU_DEP_3)
	v_add_f64 v[76:77], v[72:73], -v[64:65]
	v_add_f64 v[2:3], v[2:3], -v[68:69]
	s_delay_alu instid0(VALU_DEP_2) | instskip(SKIP_1) | instid1(VALU_DEP_3)
	v_add_f64 v[78:79], v[72:73], -v[76:77]
	v_add_f64 v[68:69], v[70:71], -v[76:77]
	v_add_f64 v[70:71], v[66:67], v[2:3]
	s_delay_alu instid0(VALU_DEP_3) | instskip(NEXT) | instid1(VALU_DEP_1)
	v_add_f64 v[64:65], v[64:65], -v[78:79]
	v_add_f64 v[64:65], v[68:69], v[64:65]
	s_delay_alu instid0(VALU_DEP_3) | instskip(NEXT) | instid1(VALU_DEP_2)
	v_add_f64 v[68:69], v[70:71], -v[66:67]
	v_add_f64 v[64:65], v[70:71], v[64:65]
	s_delay_alu instid0(VALU_DEP_2) | instskip(SKIP_1) | instid1(VALU_DEP_3)
	v_add_f64 v[70:71], v[70:71], -v[68:69]
	v_add_f64 v[2:3], v[2:3], -v[68:69]
	v_add_f64 v[74:75], v[72:73], v[64:65]
	s_delay_alu instid0(VALU_DEP_3) | instskip(NEXT) | instid1(VALU_DEP_2)
	v_add_f64 v[66:67], v[66:67], -v[70:71]
	v_add_f64 v[68:69], v[74:75], -v[72:73]
	s_delay_alu instid0(VALU_DEP_2) | instskip(NEXT) | instid1(VALU_DEP_2)
	v_add_f64 v[2:3], v[2:3], v[66:67]
	v_add_f64 v[64:65], v[64:65], -v[68:69]
	s_delay_alu instid0(VALU_DEP_1) | instskip(NEXT) | instid1(VALU_DEP_1)
	v_add_f64 v[2:3], v[2:3], v[64:65]
	v_add_f64 v[2:3], v[74:75], v[2:3]
	s_delay_alu instid0(VALU_DEP_1) | instskip(NEXT) | instid1(VALU_DEP_2)
	v_cndmask_b32_e64 v3, v3, v45, s7
	v_cndmask_b32_e64 v2, v2, v44, s7
	v_cmp_ngt_f64_e64 s7, -1.0, v[44:45]
	s_delay_alu instid0(VALU_DEP_2) | instskip(NEXT) | instid1(VALU_DEP_1)
	v_mul_f64 v[2:3], v[2:3], 0.5
	v_cndmask_b32_e64 v3, 0x7ff80000, v3, s7
	v_cmp_nge_f64_e64 s7, -1.0, v[44:45]
	s_delay_alu instid0(VALU_DEP_1) | instskip(SKIP_1) | instid1(VALU_DEP_1)
	v_cndmask_b32_e64 v2, 0, v2, s7
	v_cmp_neq_f64_e64 s7, -1.0, v[44:45]
	v_cndmask_b32_e64 v3, 0xfff00000, v3, s7
.LBB204_68:                             ;   in Loop: Header=BB204_33 Depth=1
	s_or_b32 exec_lo, exec_lo, s94
	s_delay_alu instid0(SALU_CYCLE_1) | instskip(SKIP_1) | instid1(SALU_CYCLE_1)
	s_or_b32 exec_lo, exec_lo, s8
	s_and_saveexec_b32 s7, vcc_lo
	s_xor_b32 s81, exec_lo, s7
	s_cbranch_execz .LBB204_62
.LBB204_69:                             ;   in Loop: Header=BB204_33 Depth=1
	v_max_f64 v[44:45], |v[20:21]|, |v[20:21]|
	s_mov_b32 s8, s38
	v_cmp_eq_f64_e64 s7, 0, v[16:17]
	s_delay_alu instid0(VALU_DEP_2) | instskip(NEXT) | instid1(VALU_DEP_1)
	v_min_f64 v[22:23], v[44:45], v[22:23]
	v_div_scale_f64 v[44:45], null, v[24:25], v[24:25], v[22:23]
	v_div_scale_f64 v[68:69], vcc_lo, v[22:23], v[24:25], v[22:23]
	s_delay_alu instid0(VALU_DEP_2) | instskip(SKIP_2) | instid1(VALU_DEP_1)
	v_rcp_f64_e32 v[64:65], v[44:45]
	s_waitcnt_depctr 0xfff
	v_fma_f64 v[66:67], -v[44:45], v[64:65], 1.0
	v_fma_f64 v[64:65], v[64:65], v[66:67], v[64:65]
	s_delay_alu instid0(VALU_DEP_1) | instskip(NEXT) | instid1(VALU_DEP_1)
	v_fma_f64 v[66:67], -v[44:45], v[64:65], 1.0
	v_fma_f64 v[64:65], v[64:65], v[66:67], v[64:65]
	s_delay_alu instid0(VALU_DEP_1) | instskip(NEXT) | instid1(VALU_DEP_1)
	v_mul_f64 v[66:67], v[68:69], v[64:65]
	v_fma_f64 v[44:45], -v[44:45], v[66:67], v[68:69]
	s_delay_alu instid0(VALU_DEP_1) | instskip(SKIP_1) | instid1(VALU_DEP_2)
	v_div_fmas_f64 v[44:45], v[44:45], v[64:65], v[66:67]
	v_cmp_lt_f64_e64 vcc_lo, |v[20:21]|, |v[16:17]|
	v_div_fixup_f64 v[22:23], v[44:45], v[24:25], v[22:23]
	s_delay_alu instid0(VALU_DEP_1) | instskip(NEXT) | instid1(VALU_DEP_1)
	v_mul_f64 v[24:25], v[22:23], v[22:23]
	v_fma_f64 v[44:45], v[24:25], s[42:43], s[40:41]
	s_delay_alu instid0(VALU_DEP_1) | instskip(NEXT) | instid1(VALU_DEP_1)
	v_fma_f64 v[44:45], v[24:25], v[44:45], s[44:45]
	v_fma_f64 v[44:45], v[24:25], v[44:45], s[46:47]
	s_delay_alu instid0(VALU_DEP_1) | instskip(NEXT) | instid1(VALU_DEP_1)
	v_fma_f64 v[44:45], v[24:25], v[44:45], s[48:49]
	;; [unrolled: 3-line block ×9, first 2 shown]
	v_fma_f64 v[44:45], v[24:25], v[44:45], s[78:79]
	s_delay_alu instid0(VALU_DEP_1) | instskip(NEXT) | instid1(VALU_DEP_1)
	v_mul_f64 v[24:25], v[24:25], v[44:45]
	v_fma_f64 v[22:23], v[22:23], v[24:25], v[22:23]
	s_delay_alu instid0(VALU_DEP_1) | instskip(NEXT) | instid1(VALU_DEP_1)
	v_add_f64 v[24:25], -v[22:23], s[38:39]
	v_dual_cndmask_b32 v20, v23, v25 :: v_dual_cndmask_b32 v19, v22, v24
	v_ashrrev_i32_e32 v24, 31, v21
	v_cmp_gt_i32_e32 vcc_lo, 0, v21
	s_delay_alu instid0(VALU_DEP_3) | instskip(NEXT) | instid1(VALU_DEP_3)
	v_add_f64 v[22:23], -v[19:20], s[8:9]
	v_and_b32_e32 v25, 0x54442d18, v24
	v_cndmask_b32_e32 v16, 0x3fe921fb, v63, vcc_lo
	v_cndmask_b32_e32 v21, 0x54442d18, v62, vcc_lo
	s_delay_alu instid0(VALU_DEP_2) | instskip(SKIP_3) | instid1(VALU_DEP_2)
	v_bfi_b32 v16, 0x7fffffff, v16, v17
	v_dual_cndmask_b32 v20, v20, v23 :: v_dual_cndmask_b32 v19, v19, v22
	v_and_b32_e32 v22, 0x400921fb, v24
	s_and_b32 vcc_lo, s11, s87
	v_cndmask_b32_e64 v19, v19, v25, s7
	s_delay_alu instid0(VALU_DEP_2) | instskip(NEXT) | instid1(VALU_DEP_1)
	v_cndmask_b32_e64 v20, v20, v22, s7
	v_dual_cndmask_b32 v19, v19, v21 :: v_dual_cndmask_b32 v16, v20, v16
	s_delay_alu instid0(VALU_DEP_1) | instskip(NEXT) | instid1(VALU_DEP_2)
	v_cndmask_b32_e64 v20, 0x7ff80000, v16, s3
	v_cndmask_b32_e64 v16, 0, v19, s3
	v_add_co_u32 v19, vcc_lo, v48, s16
	s_delay_alu instid0(VALU_DEP_3)
	v_bfi_b32 v17, 0x7fffffff, v20, v17
	v_add_co_ci_u32_e32 v20, vcc_lo, s17, v49, vcc_lo
	global_store_b128 v[19:20], v[14:17], off offset:-8
	s_or_b32 exec_lo, exec_lo, s81
	s_and_saveexec_b32 s3, s2
	s_cbranch_execz .LBB204_63
.LBB204_70:                             ;   in Loop: Header=BB204_33 Depth=1
	v_max_f64 v[14:15], |v[26:27]|, |v[26:27]|
	s_mov_b32 s8, s38
	v_cmp_eq_f64_e64 s2, 0, v[12:13]
	s_delay_alu instid0(VALU_DEP_2) | instskip(NEXT) | instid1(VALU_DEP_1)
	v_min_f64 v[14:15], v[14:15], v[28:29]
	v_div_scale_f64 v[16:17], null, v[30:31], v[30:31], v[14:15]
	v_div_scale_f64 v[23:24], vcc_lo, v[14:15], v[30:31], v[14:15]
	s_delay_alu instid0(VALU_DEP_2) | instskip(SKIP_2) | instid1(VALU_DEP_1)
	v_rcp_f64_e32 v[19:20], v[16:17]
	s_waitcnt_depctr 0xfff
	v_fma_f64 v[21:22], -v[16:17], v[19:20], 1.0
	v_fma_f64 v[19:20], v[19:20], v[21:22], v[19:20]
	s_delay_alu instid0(VALU_DEP_1) | instskip(NEXT) | instid1(VALU_DEP_1)
	v_fma_f64 v[21:22], -v[16:17], v[19:20], 1.0
	v_fma_f64 v[19:20], v[19:20], v[21:22], v[19:20]
	s_delay_alu instid0(VALU_DEP_1) | instskip(NEXT) | instid1(VALU_DEP_1)
	v_mul_f64 v[21:22], v[23:24], v[19:20]
	v_fma_f64 v[16:17], -v[16:17], v[21:22], v[23:24]
	s_delay_alu instid0(VALU_DEP_1) | instskip(SKIP_1) | instid1(VALU_DEP_2)
	v_div_fmas_f64 v[16:17], v[16:17], v[19:20], v[21:22]
	v_cmp_lt_f64_e64 vcc_lo, |v[26:27]|, |v[12:13]|
	v_div_fixup_f64 v[14:15], v[16:17], v[30:31], v[14:15]
	s_delay_alu instid0(VALU_DEP_1) | instskip(NEXT) | instid1(VALU_DEP_1)
	v_mul_f64 v[16:17], v[14:15], v[14:15]
	v_fma_f64 v[19:20], v[16:17], s[42:43], s[40:41]
	s_delay_alu instid0(VALU_DEP_1) | instskip(NEXT) | instid1(VALU_DEP_1)
	v_fma_f64 v[19:20], v[16:17], v[19:20], s[44:45]
	v_fma_f64 v[19:20], v[16:17], v[19:20], s[46:47]
	s_delay_alu instid0(VALU_DEP_1) | instskip(NEXT) | instid1(VALU_DEP_1)
	v_fma_f64 v[19:20], v[16:17], v[19:20], s[48:49]
	;; [unrolled: 3-line block ×9, first 2 shown]
	v_fma_f64 v[19:20], v[16:17], v[19:20], s[78:79]
	s_delay_alu instid0(VALU_DEP_1) | instskip(SKIP_1) | instid1(VALU_DEP_1)
	v_mul_f64 v[16:17], v[16:17], v[19:20]
	v_ashrrev_i32_e32 v19, 31, v27
	v_and_b32_e32 v21, 0x54442d18, v19
	s_delay_alu instid0(VALU_DEP_3) | instskip(NEXT) | instid1(VALU_DEP_1)
	v_fma_f64 v[14:15], v[14:15], v[16:17], v[14:15]
	v_add_f64 v[16:17], -v[14:15], s[38:39]
	s_delay_alu instid0(VALU_DEP_1) | instskip(SKIP_1) | instid1(VALU_DEP_2)
	v_dual_cndmask_b32 v15, v15, v17 :: v_dual_cndmask_b32 v14, v14, v16
	v_cmp_gt_i32_e32 vcc_lo, 0, v27
	v_add_f64 v[16:17], -v[14:15], s[8:9]
	v_cndmask_b32_e32 v12, 0x3fe921fb, v63, vcc_lo
	v_cndmask_b32_e32 v20, 0x54442d18, v62, vcc_lo
	s_delay_alu instid0(VALU_DEP_2) | instskip(NEXT) | instid1(VALU_DEP_4)
	v_bfi_b32 v12, 0x7fffffff, v12, v13
	v_dual_cndmask_b32 v14, v14, v16 :: v_dual_cndmask_b32 v15, v15, v17
	v_and_b32_e32 v16, 0x400921fb, v19
	s_and_b32 vcc_lo, s88, s89
	s_delay_alu instid0(VALU_DEP_2) | instskip(NEXT) | instid1(VALU_DEP_2)
	v_cndmask_b32_e64 v14, v14, v21, s2
	v_cndmask_b32_e64 v15, v15, v16, s2
	s_delay_alu instid0(VALU_DEP_2) | instskip(NEXT) | instid1(VALU_DEP_2)
	v_cndmask_b32_e32 v14, v14, v20, vcc_lo
	v_cndmask_b32_e32 v12, v15, v12, vcc_lo
	s_delay_alu instid0(VALU_DEP_1) | instskip(NEXT) | instid1(VALU_DEP_3)
	v_cndmask_b32_e64 v15, 0x7ff80000, v12, s4
	v_cndmask_b32_e64 v12, 0, v14, s4
	v_add_co_u32 v14, vcc_lo, v50, s16
	s_delay_alu instid0(VALU_DEP_3)
	v_bfi_b32 v13, 0x7fffffff, v15, v13
	v_add_co_ci_u32_e32 v15, vcc_lo, s17, v51, vcc_lo
	global_store_b128 v[14:15], v[10:13], off
	s_or_b32 exec_lo, exec_lo, s3
	s_and_saveexec_b32 s2, s1
	s_cbranch_execz .LBB204_64
.LBB204_71:                             ;   in Loop: Header=BB204_33 Depth=1
	v_max_f64 v[10:11], |v[32:33]|, |v[32:33]|
	s_mov_b32 s8, s38
	v_cmp_eq_f64_e64 s1, 0, v[8:9]
	s_delay_alu instid0(VALU_DEP_2) | instskip(NEXT) | instid1(VALU_DEP_1)
	v_min_f64 v[10:11], v[10:11], v[34:35]
	v_div_scale_f64 v[12:13], null, v[36:37], v[36:37], v[10:11]
	v_div_scale_f64 v[19:20], vcc_lo, v[10:11], v[36:37], v[10:11]
	s_delay_alu instid0(VALU_DEP_2) | instskip(SKIP_2) | instid1(VALU_DEP_1)
	v_rcp_f64_e32 v[14:15], v[12:13]
	s_waitcnt_depctr 0xfff
	v_fma_f64 v[16:17], -v[12:13], v[14:15], 1.0
	v_fma_f64 v[14:15], v[14:15], v[16:17], v[14:15]
	s_delay_alu instid0(VALU_DEP_1) | instskip(NEXT) | instid1(VALU_DEP_1)
	v_fma_f64 v[16:17], -v[12:13], v[14:15], 1.0
	v_fma_f64 v[14:15], v[14:15], v[16:17], v[14:15]
	s_delay_alu instid0(VALU_DEP_1) | instskip(NEXT) | instid1(VALU_DEP_1)
	v_mul_f64 v[16:17], v[19:20], v[14:15]
	v_fma_f64 v[12:13], -v[12:13], v[16:17], v[19:20]
	s_delay_alu instid0(VALU_DEP_1) | instskip(SKIP_1) | instid1(VALU_DEP_2)
	v_div_fmas_f64 v[12:13], v[12:13], v[14:15], v[16:17]
	v_cmp_lt_f64_e64 vcc_lo, |v[32:33]|, |v[8:9]|
	v_div_fixup_f64 v[10:11], v[12:13], v[36:37], v[10:11]
	s_delay_alu instid0(VALU_DEP_1) | instskip(NEXT) | instid1(VALU_DEP_1)
	v_mul_f64 v[12:13], v[10:11], v[10:11]
	v_fma_f64 v[14:15], v[12:13], s[42:43], s[40:41]
	s_delay_alu instid0(VALU_DEP_1) | instskip(NEXT) | instid1(VALU_DEP_1)
	v_fma_f64 v[14:15], v[12:13], v[14:15], s[44:45]
	v_fma_f64 v[14:15], v[12:13], v[14:15], s[46:47]
	s_delay_alu instid0(VALU_DEP_1) | instskip(NEXT) | instid1(VALU_DEP_1)
	v_fma_f64 v[14:15], v[12:13], v[14:15], s[48:49]
	;; [unrolled: 3-line block ×9, first 2 shown]
	v_fma_f64 v[14:15], v[12:13], v[14:15], s[78:79]
	s_delay_alu instid0(VALU_DEP_1) | instskip(SKIP_1) | instid1(VALU_DEP_2)
	v_mul_f64 v[12:13], v[12:13], v[14:15]
	v_ashrrev_i32_e32 v14, 31, v33
	v_fma_f64 v[10:11], v[10:11], v[12:13], v[10:11]
	s_delay_alu instid0(VALU_DEP_1) | instskip(NEXT) | instid1(VALU_DEP_1)
	v_add_f64 v[12:13], -v[10:11], s[38:39]
	v_dual_cndmask_b32 v11, v11, v13 :: v_dual_cndmask_b32 v10, v10, v12
	v_cmp_gt_i32_e32 vcc_lo, 0, v33
	s_delay_alu instid0(VALU_DEP_2) | instskip(SKIP_3) | instid1(VALU_DEP_2)
	v_add_f64 v[12:13], -v[10:11], s[8:9]
	v_and_b32_e32 v16, 0x54442d18, v14
	v_cndmask_b32_e32 v8, 0x3fe921fb, v63, vcc_lo
	v_cndmask_b32_e32 v15, 0x54442d18, v62, vcc_lo
	v_bfi_b32 v8, 0x7fffffff, v8, v9
	v_dual_cndmask_b32 v11, v11, v13 :: v_dual_cndmask_b32 v10, v10, v12
	v_and_b32_e32 v12, 0x400921fb, v14
	s_and_b32 vcc_lo, s90, s91
	s_delay_alu instid0(VALU_DEP_2) | instskip(NEXT) | instid1(VALU_DEP_2)
	v_cndmask_b32_e64 v10, v10, v16, s1
	v_cndmask_b32_e64 v11, v11, v12, s1
	s_delay_alu instid0(VALU_DEP_2) | instskip(NEXT) | instid1(VALU_DEP_2)
	v_cndmask_b32_e32 v10, v10, v15, vcc_lo
	v_cndmask_b32_e32 v8, v11, v8, vcc_lo
	s_delay_alu instid0(VALU_DEP_1) | instskip(NEXT) | instid1(VALU_DEP_3)
	v_cndmask_b32_e64 v11, 0x7ff80000, v8, s5
	v_cndmask_b32_e64 v8, 0, v10, s5
	v_add_co_u32 v10, vcc_lo, v60, s16
	s_delay_alu instid0(VALU_DEP_3)
	v_bfi_b32 v9, 0x7fffffff, v11, v9
	v_add_co_ci_u32_e32 v11, vcc_lo, s17, v61, vcc_lo
	global_store_b128 v[10:11], v[6:9], off offset:-8
	s_or_b32 exec_lo, exec_lo, s2
	s_and_saveexec_b32 s1, s0
	s_cbranch_execz .LBB204_32
.LBB204_72:                             ;   in Loop: Header=BB204_33 Depth=1
	v_max_f64 v[6:7], |v[38:39]|, |v[38:39]|
	s_mov_b32 s8, s38
	v_cmp_eq_f64_e64 s0, 0, v[4:5]
	s_delay_alu instid0(VALU_DEP_2) | instskip(NEXT) | instid1(VALU_DEP_1)
	v_min_f64 v[6:7], v[6:7], v[40:41]
	v_div_scale_f64 v[8:9], null, v[42:43], v[42:43], v[6:7]
	v_div_scale_f64 v[14:15], vcc_lo, v[6:7], v[42:43], v[6:7]
	s_delay_alu instid0(VALU_DEP_2) | instskip(SKIP_2) | instid1(VALU_DEP_1)
	v_rcp_f64_e32 v[10:11], v[8:9]
	s_waitcnt_depctr 0xfff
	v_fma_f64 v[12:13], -v[8:9], v[10:11], 1.0
	v_fma_f64 v[10:11], v[10:11], v[12:13], v[10:11]
	s_delay_alu instid0(VALU_DEP_1) | instskip(NEXT) | instid1(VALU_DEP_1)
	v_fma_f64 v[12:13], -v[8:9], v[10:11], 1.0
	v_fma_f64 v[10:11], v[10:11], v[12:13], v[10:11]
	s_delay_alu instid0(VALU_DEP_1) | instskip(NEXT) | instid1(VALU_DEP_1)
	v_mul_f64 v[12:13], v[14:15], v[10:11]
	v_fma_f64 v[8:9], -v[8:9], v[12:13], v[14:15]
	s_delay_alu instid0(VALU_DEP_1) | instskip(SKIP_1) | instid1(VALU_DEP_2)
	v_div_fmas_f64 v[8:9], v[8:9], v[10:11], v[12:13]
	v_cmp_lt_f64_e64 vcc_lo, |v[38:39]|, |v[4:5]|
	v_div_fixup_f64 v[6:7], v[8:9], v[42:43], v[6:7]
	s_delay_alu instid0(VALU_DEP_1) | instskip(NEXT) | instid1(VALU_DEP_1)
	v_mul_f64 v[8:9], v[6:7], v[6:7]
	v_fma_f64 v[10:11], v[8:9], s[42:43], s[40:41]
	s_delay_alu instid0(VALU_DEP_1) | instskip(NEXT) | instid1(VALU_DEP_1)
	v_fma_f64 v[10:11], v[8:9], v[10:11], s[44:45]
	v_fma_f64 v[10:11], v[8:9], v[10:11], s[46:47]
	s_delay_alu instid0(VALU_DEP_1) | instskip(NEXT) | instid1(VALU_DEP_1)
	v_fma_f64 v[10:11], v[8:9], v[10:11], s[48:49]
	;; [unrolled: 3-line block ×9, first 2 shown]
	v_fma_f64 v[10:11], v[8:9], v[10:11], s[78:79]
	s_delay_alu instid0(VALU_DEP_1) | instskip(SKIP_1) | instid1(VALU_DEP_2)
	v_mul_f64 v[8:9], v[8:9], v[10:11]
	v_ashrrev_i32_e32 v10, 31, v39
	v_fma_f64 v[6:7], v[6:7], v[8:9], v[6:7]
	s_delay_alu instid0(VALU_DEP_1) | instskip(NEXT) | instid1(VALU_DEP_1)
	v_add_f64 v[8:9], -v[6:7], s[38:39]
	v_dual_cndmask_b32 v7, v7, v9 :: v_dual_cndmask_b32 v6, v6, v8
	v_cmp_gt_i32_e32 vcc_lo, 0, v39
	s_delay_alu instid0(VALU_DEP_2) | instskip(SKIP_3) | instid1(VALU_DEP_2)
	v_add_f64 v[8:9], -v[6:7], s[8:9]
	v_and_b32_e32 v12, 0x54442d18, v10
	v_cndmask_b32_e32 v4, 0x3fe921fb, v63, vcc_lo
	v_cndmask_b32_e32 v11, 0x54442d18, v62, vcc_lo
	v_bfi_b32 v4, 0x7fffffff, v4, v5
	v_dual_cndmask_b32 v7, v7, v9 :: v_dual_cndmask_b32 v6, v6, v8
	v_and_b32_e32 v8, 0x400921fb, v10
	s_and_b32 vcc_lo, s92, s93
	s_delay_alu instid0(VALU_DEP_2) | instskip(NEXT) | instid1(VALU_DEP_2)
	v_cndmask_b32_e64 v6, v6, v12, s0
	v_cndmask_b32_e64 v7, v7, v8, s0
	s_delay_alu instid0(VALU_DEP_2) | instskip(NEXT) | instid1(VALU_DEP_2)
	v_cndmask_b32_e32 v6, v6, v11, vcc_lo
	v_cndmask_b32_e32 v4, v7, v4, vcc_lo
	s_delay_alu instid0(VALU_DEP_1) | instskip(NEXT) | instid1(VALU_DEP_3)
	v_cndmask_b32_e64 v7, 0x7ff80000, v4, s6
	v_cndmask_b32_e64 v4, 0, v6, s6
	v_add_co_u32 v6, vcc_lo, v56, s16
	s_delay_alu instid0(VALU_DEP_3)
	v_bfi_b32 v5, 0x7fffffff, v7, v5
	v_add_co_ci_u32_e32 v7, vcc_lo, s17, v57, vcc_lo
	global_store_b128 v[6:7], v[2:5], off offset:-8
	s_branch .LBB204_32
.LBB204_73:
	s_nop 0
	s_sendmsg sendmsg(MSG_DEALLOC_VGPRS)
	s_endpgm
	.section	.rodata,"a",@progbits
	.p2align	6, 0x0
	.amdhsa_kernel _ZN2at6native12_GLOBAL__N_125multi_tensor_apply_kernelINS1_18TensorListMetadataILi2EEENS1_14UnaryOpFunctorIN3c107complexIdEELi2ELi1ELi1EEEJNS0_5Log1pIS8_EEEEEvT_T0_DpT1_
		.amdhsa_group_segment_fixed_size 0
		.amdhsa_private_segment_fixed_size 0
		.amdhsa_kernarg_size 3408
		.amdhsa_user_sgpr_count 15
		.amdhsa_user_sgpr_dispatch_ptr 0
		.amdhsa_user_sgpr_queue_ptr 0
		.amdhsa_user_sgpr_kernarg_segment_ptr 1
		.amdhsa_user_sgpr_dispatch_id 0
		.amdhsa_user_sgpr_private_segment_size 0
		.amdhsa_wavefront_size32 1
		.amdhsa_uses_dynamic_stack 0
		.amdhsa_enable_private_segment 0
		.amdhsa_system_sgpr_workgroup_id_x 1
		.amdhsa_system_sgpr_workgroup_id_y 0
		.amdhsa_system_sgpr_workgroup_id_z 0
		.amdhsa_system_sgpr_workgroup_info 0
		.amdhsa_system_vgpr_workitem_id 0
		.amdhsa_next_free_vgpr 84
		.amdhsa_next_free_sgpr 105
		.amdhsa_reserve_vcc 1
		.amdhsa_float_round_mode_32 0
		.amdhsa_float_round_mode_16_64 0
		.amdhsa_float_denorm_mode_32 3
		.amdhsa_float_denorm_mode_16_64 3
		.amdhsa_dx10_clamp 1
		.amdhsa_ieee_mode 1
		.amdhsa_fp16_overflow 0
		.amdhsa_workgroup_processor_mode 1
		.amdhsa_memory_ordered 1
		.amdhsa_forward_progress 0
		.amdhsa_shared_vgpr_count 0
		.amdhsa_exception_fp_ieee_invalid_op 0
		.amdhsa_exception_fp_denorm_src 0
		.amdhsa_exception_fp_ieee_div_zero 0
		.amdhsa_exception_fp_ieee_overflow 0
		.amdhsa_exception_fp_ieee_underflow 0
		.amdhsa_exception_fp_ieee_inexact 0
		.amdhsa_exception_int_div_zero 0
	.end_amdhsa_kernel
	.section	.text._ZN2at6native12_GLOBAL__N_125multi_tensor_apply_kernelINS1_18TensorListMetadataILi2EEENS1_14UnaryOpFunctorIN3c107complexIdEELi2ELi1ELi1EEEJNS0_5Log1pIS8_EEEEEvT_T0_DpT1_,"axG",@progbits,_ZN2at6native12_GLOBAL__N_125multi_tensor_apply_kernelINS1_18TensorListMetadataILi2EEENS1_14UnaryOpFunctorIN3c107complexIdEELi2ELi1ELi1EEEJNS0_5Log1pIS8_EEEEEvT_T0_DpT1_,comdat
.Lfunc_end204:
	.size	_ZN2at6native12_GLOBAL__N_125multi_tensor_apply_kernelINS1_18TensorListMetadataILi2EEENS1_14UnaryOpFunctorIN3c107complexIdEELi2ELi1ELi1EEEJNS0_5Log1pIS8_EEEEEvT_T0_DpT1_, .Lfunc_end204-_ZN2at6native12_GLOBAL__N_125multi_tensor_apply_kernelINS1_18TensorListMetadataILi2EEENS1_14UnaryOpFunctorIN3c107complexIdEELi2ELi1ELi1EEEJNS0_5Log1pIS8_EEEEEvT_T0_DpT1_
                                        ; -- End function
	.section	.AMDGPU.csdata,"",@progbits
; Kernel info:
; codeLenInByte = 26904
; NumSgprs: 107
; NumVgprs: 84
; ScratchSize: 0
; MemoryBound: 1
; FloatMode: 240
; IeeeMode: 1
; LDSByteSize: 0 bytes/workgroup (compile time only)
; SGPRBlocks: 13
; VGPRBlocks: 10
; NumSGPRsForWavesPerEU: 107
; NumVGPRsForWavesPerEU: 84
; Occupancy: 16
; WaveLimiterHint : 0
; COMPUTE_PGM_RSRC2:SCRATCH_EN: 0
; COMPUTE_PGM_RSRC2:USER_SGPR: 15
; COMPUTE_PGM_RSRC2:TRAP_HANDLER: 0
; COMPUTE_PGM_RSRC2:TGID_X_EN: 1
; COMPUTE_PGM_RSRC2:TGID_Y_EN: 0
; COMPUTE_PGM_RSRC2:TGID_Z_EN: 0
; COMPUTE_PGM_RSRC2:TIDIG_COMP_CNT: 0
	.section	.text._ZN2at6native12_GLOBAL__N_125multi_tensor_apply_kernelINS1_18TensorListMetadataILi2EEENS1_14UnaryOpFunctorIN3c107complexIfEELi2ELi1ELi1EEEJNS0_5Log1pIS8_EEEEEvT_T0_DpT1_,"axG",@progbits,_ZN2at6native12_GLOBAL__N_125multi_tensor_apply_kernelINS1_18TensorListMetadataILi2EEENS1_14UnaryOpFunctorIN3c107complexIfEELi2ELi1ELi1EEEJNS0_5Log1pIS8_EEEEEvT_T0_DpT1_,comdat
	.globl	_ZN2at6native12_GLOBAL__N_125multi_tensor_apply_kernelINS1_18TensorListMetadataILi2EEENS1_14UnaryOpFunctorIN3c107complexIfEELi2ELi1ELi1EEEJNS0_5Log1pIS8_EEEEEvT_T0_DpT1_ ; -- Begin function _ZN2at6native12_GLOBAL__N_125multi_tensor_apply_kernelINS1_18TensorListMetadataILi2EEENS1_14UnaryOpFunctorIN3c107complexIfEELi2ELi1ELi1EEEJNS0_5Log1pIS8_EEEEEvT_T0_DpT1_
	.p2align	8
	.type	_ZN2at6native12_GLOBAL__N_125multi_tensor_apply_kernelINS1_18TensorListMetadataILi2EEENS1_14UnaryOpFunctorIN3c107complexIfEELi2ELi1ELi1EEEJNS0_5Log1pIS8_EEEEEvT_T0_DpT1_,@function
_ZN2at6native12_GLOBAL__N_125multi_tensor_apply_kernelINS1_18TensorListMetadataILi2EEENS1_14UnaryOpFunctorIN3c107complexIfEELi2ELi1ELi1EEEJNS0_5Log1pIS8_EEEEEvT_T0_DpT1_: ; @_ZN2at6native12_GLOBAL__N_125multi_tensor_apply_kernelINS1_18TensorListMetadataILi2EEENS1_14UnaryOpFunctorIN3c107complexIfEELi2ELi1ELi1EEEJNS0_5Log1pIS8_EEEEEvT_T0_DpT1_
; %bb.0:
	v_mov_b32_e32 v1, s15
	s_add_u32 s2, s0, s15
	s_mul_hi_u32 s3, s15, 3
	s_mul_i32 s15, s15, 3
	s_addc_u32 s4, s1, 0
	global_load_u8 v1, v1, s[0:1] offset:1536
	s_add_u32 s2, s2, s15
	s_addc_u32 s3, s4, s3
	s_mov_b32 s17, 0
	s_load_b32 s2, s[2:3], 0x740
	s_mov_b32 s19, s17
	s_mov_b32 s21, s17
	s_waitcnt vmcnt(0)
	v_readfirstlane_b32 s5, v1
	s_delay_alu instid0(VALU_DEP_1)
	s_lshl_b32 s3, s5, 3
	s_clause 0x2
	s_load_b64 s[4:5], s[0:1], s3 offset:0x0
	s_load_b64 s[12:13], s[0:1], s3 offset:0x200
	;; [unrolled: 1-line block ×3, first 2 shown]
	s_waitcnt lgkmcnt(0)
	s_ashr_i32 s3, s2, 31
	s_delay_alu instid0(SALU_CYCLE_1) | instskip(NEXT) | instid1(SALU_CYCLE_1)
	s_lshl_b64 s[6:7], s[2:3], 19
	s_add_u32 s10, s4, s6
	s_addc_u32 s11, s5, s7
	s_add_u32 s14, s12, s6
	s_addc_u32 s15, s13, s7
	s_and_b32 s18, s10, 31
	s_and_b32 s20, s8, 3
	;; [unrolled: 1-line block ×3, first 2 shown]
	s_or_b64 s[18:19], s[18:19], s[20:21]
	s_lshl_b64 s[2:3], s[2:3], 16
	s_or_b64 s[16:17], s[16:17], s[18:19]
	s_sub_u32 s8, s8, s2
	s_subb_u32 s9, s9, s3
	s_cmp_eq_u64 s[16:17], 0
	s_mov_b32 s2, -1
	s_cbranch_scc0 .LBB205_29
; %bb.1:
	v_dual_mov_b32 v18, 0 :: v_dual_lshlrev_b32 v17, 2, v0
	s_mov_b32 s16, exec_lo
	s_delay_alu instid0(VALU_DEP_1)
	v_cmpx_gt_i64_e64 s[8:9], v[17:18]
	s_cbranch_execz .LBB205_28
; %bb.2:
	s_load_b32 s2, s[0:1], 0xc5c
	v_dual_mov_b32 v20, 0x4016cbe4 :: v_dual_lshlrev_b32 v19, 5, v0
	s_mov_b32 s17, 0
	s_mov_b32 s20, 0x3e9b6dac
	s_mov_b32 s21, 0x3b2d2a58
	s_waitcnt lgkmcnt(0)
	s_and_b32 s2, s2, 0xffff
	s_delay_alu instid0(SALU_CYCLE_1)
	v_add_lshl_u32 v17, v0, s2, 2
	s_lshl_b32 s18, s2, 2
	s_lshl_b32 s19, s2, 5
	s_branch .LBB205_5
.LBB205_3:                              ;   in Loop: Header=BB205_5 Depth=1
	s_or_b32 exec_lo, exec_lo, s3
	s_delay_alu instid0(VALU_DEP_1)
	v_mov_b32_e32 v15, v3
.LBB205_4:                              ;   in Loop: Header=BB205_5 Depth=1
	s_or_b32 exec_lo, exec_lo, s2
	v_max_f32_e64 v3, |v7|, |v7|
	v_frexp_mant_f32_e32 v26, v23
	v_max_f32_e64 v27, |v5|, |v5|
	v_frexp_mant_f32_e32 v28, v21
	v_frexp_exp_i32_f32_e32 v23, v23
	v_min_f32_e32 v3, v3, v22
	v_rcp_f32_e32 v22, v26
	v_min_f32_e32 v16, v27, v16
	v_rcp_f32_e32 v26, v28
	v_max_f32_e64 v28, |v10|, |v10|
	v_frexp_exp_i32_f32_e32 v21, v21
	v_cmp_gt_f32_e32 vcc_lo, 0, v7
	v_frexp_mant_f32_e32 v29, v16
	v_frexp_exp_i32_f32_e32 v16, v16
	v_min_f32_e32 v12, v28, v12
	v_frexp_mant_f32_e32 v27, v3
	v_frexp_exp_i32_f32_e32 v3, v3
	v_cmp_gt_i32_e64 s2, 0, v7
	v_sub_nc_u32_e32 v16, v16, v21
	v_max_f32_e64 v21, |v1|, |v1|
	v_mul_f32_e32 v22, v27, v22
	v_sub_nc_u32_e32 v3, v3, v23
	v_frexp_exp_i32_f32_e32 v23, v14
	v_frexp_mant_f32_e32 v14, v14
	v_min_f32_e32 v21, v21, v24
	v_frexp_exp_i32_f32_e32 v28, v12
	v_ldexp_f32 v3, v22, v3
	v_frexp_exp_i32_f32_e32 v22, v25
	v_frexp_mant_f32_e32 v25, v25
	v_mul_f32_e32 v26, v29, v26
	v_frexp_exp_i32_f32_e32 v30, v21
	v_mul_f32_e32 v27, v3, v3
	v_frexp_mant_f32_e32 v21, v21
	v_rcp_f32_e32 v25, v25
	v_rcp_f32_e32 v14, v14
	v_sub_nc_u32_e32 v22, v30, v22
	v_fmaak_f32 v24, s21, v27, 0xbc7a590c
	v_frexp_mant_f32_e32 v12, v12
	v_sub_nc_u32_e32 v23, v28, v23
	v_ldexp_f32 v16, v26, v16
	v_cmp_class_f32_e64 s22, v2, 0x204
	v_cmp_class_f32_e64 s23, v7, 0x204
	v_cmp_gt_f32_e64 s3, |v8|, |v5|
	s_delay_alu instid0(TRANS32_DEP_1) | instskip(SKIP_1) | instid1(VALU_DEP_2)
	v_dual_mul_f32 v21, v21, v25 :: v_dual_mul_f32 v12, v12, v14
	v_cmp_class_f32_e64 s24, v8, 0x204
	v_ldexp_f32 v21, v21, v22
	v_fmaak_f32 v24, v27, v24, 0x3d29fb3f
	s_delay_alu instid0(VALU_DEP_4) | instskip(NEXT) | instid1(VALU_DEP_2)
	v_ldexp_f32 v12, v12, v23
	v_fmaak_f32 v14, v27, v24, 0xbd97d4d7
	s_delay_alu instid0(VALU_DEP_2) | instskip(SKIP_1) | instid1(VALU_DEP_3)
	v_mul_f32_e32 v23, v12, v12
	v_mul_f32_e32 v26, v16, v16
	v_fmaak_f32 v14, v27, v14, 0x3dd931b2
	s_delay_alu instid0(VALU_DEP_3) | instskip(NEXT) | instid1(VALU_DEP_3)
	v_fmaak_f32 v25, s21, v23, 0xbc7a590c
	v_fmaak_f32 v29, s21, v26, 0xbc7a590c
	s_delay_alu instid0(VALU_DEP_3) | instskip(NEXT) | instid1(VALU_DEP_3)
	v_fmaak_f32 v14, v27, v14, 0xbe1160e6
	v_fmaak_f32 v25, v23, v25, 0x3d29fb3f
	s_delay_alu instid0(VALU_DEP_2) | instskip(NEXT) | instid1(VALU_DEP_1)
	v_fmaak_f32 v14, v27, v14, 0x3e4cb8bf
	v_fmaak_f32 v14, v27, v14, 0xbeaaaa62
	s_delay_alu instid0(VALU_DEP_1) | instskip(SKIP_2) | instid1(VALU_DEP_2)
	v_mul_f32_e32 v14, v27, v14
	v_fmaak_f32 v24, v26, v29, 0x3d29fb3f
	v_cndmask_b32_e32 v29, 0x3f490fdb, v20, vcc_lo
	v_dual_fmac_f32 v3, v3, v14 :: v_dual_fmaak_f32 v24, v26, v24, 0xbd97d4d7
	v_fmaak_f32 v14, v23, v25, 0xbd97d4d7
	s_delay_alu instid0(VALU_DEP_2) | instskip(SKIP_1) | instid1(VALU_DEP_1)
	v_fmaak_f32 v22, v26, v24, 0x3dd931b2
	v_mul_f32_e32 v24, v21, v21
	v_fmaak_f32 v28, s21, v24, 0xbc7a590c
	s_delay_alu instid0(VALU_DEP_1) | instskip(SKIP_2) | instid1(VALU_DEP_3)
	v_fmaak_f32 v27, v24, v28, 0x3d29fb3f
	v_cndmask_b32_e64 v28, 0, 0x40490fdb, s2
	v_cmp_gt_f32_e64 s2, |v2|, |v7|
	v_fmaak_f32 v25, v24, v27, 0xbd97d4d7
	s_delay_alu instid0(VALU_DEP_1) | instskip(SKIP_1) | instid1(VALU_DEP_1)
	v_fmaak_f32 v25, v24, v25, 0x3dd931b2
	v_fmaak_f32 v22, v26, v22, 0xbe1160e6
	;; [unrolled: 1-line block ×3, first 2 shown]
	s_delay_alu instid0(VALU_DEP_1) | instskip(NEXT) | instid1(VALU_DEP_1)
	v_fmaak_f32 v22, v26, v22, 0xbeaaaa62
	v_mul_f32_e32 v22, v26, v22
	v_sub_f32_e32 v26, 0x3fc90fdb, v3
	s_delay_alu instid0(VALU_DEP_1) | instskip(SKIP_1) | instid1(VALU_DEP_2)
	v_cndmask_b32_e64 v3, v3, v26, s2
	v_cmp_gt_f32_e64 s2, 0, v5
	v_sub_f32_e32 v27, 0x40490fdb, v3
	v_fmaak_f32 v25, v24, v25, 0xbe1160e6
	s_delay_alu instid0(VALU_DEP_2) | instskip(SKIP_1) | instid1(VALU_DEP_3)
	v_cndmask_b32_e32 v3, v3, v27, vcc_lo
	v_cmp_eq_f32_e32 vcc_lo, 0, v2
	v_fmaak_f32 v25, v24, v25, 0x3e4cb8bf
	s_delay_alu instid0(VALU_DEP_3) | instskip(SKIP_1) | instid1(VALU_DEP_2)
	v_cndmask_b32_e32 v3, v3, v28, vcc_lo
	s_and_b32 vcc_lo, s22, s23
	v_fmaak_f32 v25, v24, v25, 0xbeaaaa62
	v_cmp_class_f32_e64 s22, v10, 0x204
	v_cmp_class_f32_e64 s23, v1, 0x204
	v_dual_cndmask_b32 v3, v3, v29 :: v_dual_fmac_f32 v16, v16, v22
	v_cmp_eq_f32_e32 vcc_lo, 0, v8
	v_cndmask_b32_e64 v22, 0x3f490fdb, v20, s2
	s_delay_alu instid0(VALU_DEP_3) | instskip(NEXT) | instid1(VALU_DEP_1)
	v_sub_f32_e32 v26, 0x3fc90fdb, v16
	v_cndmask_b32_e64 v16, v16, v26, s3
	v_cmp_gt_i32_e64 s3, 0, v5
	s_delay_alu instid0(VALU_DEP_2) | instskip(NEXT) | instid1(VALU_DEP_2)
	v_sub_f32_e32 v27, 0x40490fdb, v16
	v_cndmask_b32_e64 v26, 0, 0x40490fdb, s3
	v_cmp_class_f32_e64 s3, v6, 0x204
	s_delay_alu instid0(VALU_DEP_3) | instskip(SKIP_1) | instid1(VALU_DEP_2)
	v_cndmask_b32_e64 v16, v16, v27, s2
	v_cmp_class_f32_e64 s2, v5, 0x204
	v_cndmask_b32_e32 v16, v16, v26, vcc_lo
	v_cmp_o_f32_e32 vcc_lo, v7, v2
	v_cndmask_b32_e32 v3, 0x7fc00000, v3, vcc_lo
	s_delay_alu instid0(VALU_DEP_4) | instskip(SKIP_4) | instid1(VALU_DEP_4)
	s_and_b32 vcc_lo, s24, s2
	v_cmp_gt_i32_e64 s2, 0, v10
	v_cndmask_b32_e32 v7, v16, v22, vcc_lo
	v_fmaak_f32 v14, v23, v14, 0x3dd931b2
	v_cmp_gt_f32_e64 vcc_lo, |v6|, |v10|
	v_cndmask_b32_e64 v22, 0, 0x40490fdb, s2
	v_cmp_gt_f32_e64 s2, 0, v1
	s_delay_alu instid0(VALU_DEP_4) | instskip(NEXT) | instid1(VALU_DEP_1)
	v_fmaak_f32 v14, v23, v14, 0xbe1160e6
	v_fmaak_f32 v14, v23, v14, 0x3e4cb8bf
	s_delay_alu instid0(VALU_DEP_1) | instskip(NEXT) | instid1(VALU_DEP_1)
	v_fmaak_f32 v14, v23, v14, 0xbeaaaa62
	v_dual_mul_f32 v14, v23, v14 :: v_dual_mul_f32 v23, v24, v25
	s_delay_alu instid0(VALU_DEP_1) | instskip(NEXT) | instid1(VALU_DEP_1)
	v_dual_fmac_f32 v12, v12, v14 :: v_dual_fmac_f32 v21, v21, v23
	v_sub_f32_e32 v14, 0x3fc90fdb, v12
	s_delay_alu instid0(VALU_DEP_2) | instskip(NEXT) | instid1(VALU_DEP_2)
	v_sub_f32_e32 v16, 0x3fc90fdb, v21
	v_cndmask_b32_e32 v12, v12, v14, vcc_lo
	v_cmp_gt_f32_e64 vcc_lo, |v4|, |v1|
	s_delay_alu instid0(VALU_DEP_3) | instskip(SKIP_1) | instid1(VALU_DEP_4)
	v_cndmask_b32_e32 v14, v21, v16, vcc_lo
	v_cmp_gt_f32_e32 vcc_lo, 0, v10
	v_sub_f32_e32 v21, 0x40490fdb, v12
	s_delay_alu instid0(VALU_DEP_3) | instskip(SKIP_1) | instid1(VALU_DEP_3)
	v_sub_f32_e32 v23, 0x40490fdb, v14
	v_cndmask_b32_e32 v16, 0x3f490fdb, v20, vcc_lo
	v_cndmask_b32_e32 v12, v12, v21, vcc_lo
	v_cmp_gt_i32_e32 vcc_lo, 0, v1
	v_cndmask_b32_e64 v21, 0x3f490fdb, v20, s2
	v_cndmask_b32_e64 v14, v14, v23, s2
	v_cmp_class_f32_e64 s2, v4, 0x204
	v_cndmask_b32_e64 v24, 0, 0x40490fdb, vcc_lo
	v_cmp_eq_f32_e32 vcc_lo, 0, v6
	v_cndmask_b32_e32 v12, v12, v22, vcc_lo
	v_cmp_eq_f32_e32 vcc_lo, 0, v4
	s_delay_alu instid0(VALU_DEP_4) | instskip(SKIP_1) | instid1(VALU_DEP_3)
	v_cndmask_b32_e32 v14, v14, v24, vcc_lo
	s_and_b32 vcc_lo, s3, s22
	v_cndmask_b32_e32 v12, v12, v16, vcc_lo
	v_cmp_o_f32_e32 vcc_lo, v5, v8
	v_cndmask_b32_e32 v5, 0x7fc00000, v7, vcc_lo
	s_and_b32 vcc_lo, s2, s23
	v_cmp_lt_u64_e64 s2, 0xffff, v[17:18]
	v_cndmask_b32_e32 v7, v14, v21, vcc_lo
	v_cmp_o_f32_e32 vcc_lo, v10, v6
	v_bfi_b32 v14, 0x7fffffff, v3, v2
	v_cndmask_b32_e32 v10, 0x7fc00000, v12, vcc_lo
	v_cmp_o_f32_e32 vcc_lo, v1, v4
	v_bfi_b32 v12, 0x7fffffff, v5, v8
	s_delay_alu instid0(VALU_DEP_3) | instskip(SKIP_2) | instid1(VALU_DEP_2)
	v_bfi_b32 v10, 0x7fffffff, v10, v6
	v_cndmask_b32_e32 v1, 0x7fc00000, v7, vcc_lo
	v_cmp_le_i64_e32 vcc_lo, s[8:9], v[17:18]
	v_bfi_b32 v16, 0x7fffffff, v1, v4
	v_add_co_u32 v1, s3, s14, v19
	s_or_b32 s2, vcc_lo, s2
	s_add_u32 s10, s10, s19
	v_add_co_u32 v17, vcc_lo, v17, s18
	s_addc_u32 s11, s11, 0
	s_add_u32 s14, s14, s19
	v_add_co_ci_u32_e64 v2, null, s15, 0, s3
	v_add_co_ci_u32_e32 v18, vcc_lo, 0, v18, vcc_lo
	s_addc_u32 s15, s15, 0
	s_and_b32 s2, exec_lo, s2
	s_clause 0x1
	global_store_b128 v[1:2], v[9:12], off
	global_store_b128 v[1:2], v[13:16], off offset:16
	s_or_b32 s17, s2, s17
	s_delay_alu instid0(SALU_CYCLE_1)
	s_and_not1_b32 exec_lo, exec_lo, s17
	s_cbranch_execz .LBB205_28
.LBB205_5:                              ; =>This Inner Loop Header: Depth=1
	v_add_co_u32 v1, s2, s10, v19
	s_delay_alu instid0(VALU_DEP_1)
	v_add_co_ci_u32_e64 v2, null, s11, 0, s2
	s_clause 0x1
	global_load_b128 v[5:8], v[1:2], off
	global_load_b128 v[1:4], v[1:2], off offset:16
	s_waitcnt vmcnt(1)
	v_max_f32_e64 v9, |v5|, |v5|
	v_max_f32_e64 v12, |v6|, |v6|
	s_delay_alu instid0(VALU_DEP_1) | instskip(NEXT) | instid1(VALU_DEP_1)
	v_max_f32_e32 v11, v9, v12
	v_cvt_f64_f32_e32 v[9:10], v11
	s_delay_alu instid0(VALU_DEP_1) | instskip(NEXT) | instid1(VALU_DEP_1)
	v_frexp_exp_i32_f64_e32 v9, v[9:10]
	v_sub_nc_u32_e32 v10, 0, v9
	s_delay_alu instid0(VALU_DEP_1) | instskip(SKIP_1) | instid1(VALU_DEP_2)
	v_ldexp_f32 v13, |v6|, v10
	v_ldexp_f32 v10, |v5|, v10
	v_mul_f32_e32 v13, v13, v13
	s_delay_alu instid0(VALU_DEP_1) | instskip(NEXT) | instid1(VALU_DEP_1)
	v_fmac_f32_e32 v13, v10, v10
	v_sqrt_f32_e32 v10, v13
	s_waitcnt_depctr 0xfff
	v_ldexp_f32 v9, v10, v9
	v_add_f32_e32 v10, 1.0, v5
	v_cmp_eq_f32_e32 vcc_lo, 0x7f800000, v11
	s_delay_alu instid0(VALU_DEP_3) | instskip(NEXT) | instid1(VALU_DEP_3)
	v_cmp_ngt_f32_e64 s2, 0.5, v9
	v_max_f32_e64 v14, |v10|, v12
                                        ; implicit-def: $vgpr9
	s_delay_alu instid0(VALU_DEP_2) | instskip(NEXT) | instid1(SALU_CYCLE_1)
	s_or_b32 s2, vcc_lo, s2
	s_and_saveexec_b32 s3, s2
	s_delay_alu instid0(SALU_CYCLE_1)
	s_xor_b32 s3, exec_lo, s3
	s_cbranch_execz .LBB205_7
; %bb.6:                                ;   in Loop: Header=BB205_5 Depth=1
	v_cvt_f64_f32_e32 v[15:16], v14
	v_cmp_neq_f32_e32 vcc_lo, 0x7f800000, v14
	s_delay_alu instid0(VALU_DEP_2) | instskip(NEXT) | instid1(VALU_DEP_1)
	v_frexp_exp_i32_f64_e32 v9, v[15:16]
	v_sub_nc_u32_e32 v11, 0, v9
	s_delay_alu instid0(VALU_DEP_1) | instskip(SKIP_1) | instid1(VALU_DEP_2)
	v_ldexp_f32 v13, |v6|, v11
	v_ldexp_f32 v11, |v10|, v11
	v_mul_f32_e32 v13, v13, v13
	s_delay_alu instid0(VALU_DEP_1) | instskip(NEXT) | instid1(VALU_DEP_1)
	v_fmac_f32_e32 v13, v11, v11
	v_sqrt_f32_e32 v11, v13
	s_waitcnt_depctr 0xfff
	v_ldexp_f32 v9, v11, v9
	s_delay_alu instid0(VALU_DEP_1) | instskip(NEXT) | instid1(VALU_DEP_1)
	v_cndmask_b32_e32 v9, 0x7f800000, v9, vcc_lo
	v_cmp_gt_f32_e32 vcc_lo, 0x800000, v9
	v_cndmask_b32_e64 v11, 1.0, 0x4f800000, vcc_lo
	s_delay_alu instid0(VALU_DEP_1) | instskip(NEXT) | instid1(VALU_DEP_1)
	v_mul_f32_e32 v9, v9, v11
	v_log_f32_e32 v9, v9
	s_waitcnt_depctr 0xfff
	v_mul_f32_e32 v11, 0x3f317217, v9
	v_cmp_gt_f32_e64 s2, 0x7f800000, |v9|
	s_delay_alu instid0(VALU_DEP_2) | instskip(NEXT) | instid1(VALU_DEP_1)
	v_fma_f32 v13, 0x3f317217, v9, -v11
	v_fmac_f32_e32 v13, 0x3377d1cf, v9
	s_delay_alu instid0(VALU_DEP_1) | instskip(NEXT) | instid1(VALU_DEP_1)
	v_add_f32_e32 v11, v11, v13
	v_cndmask_b32_e64 v9, v9, v11, s2
	v_cndmask_b32_e64 v11, 0, 0x41b17218, vcc_lo
	s_delay_alu instid0(VALU_DEP_1)
	v_sub_f32_e32 v9, v9, v11
.LBB205_7:                              ;   in Loop: Header=BB205_5 Depth=1
	s_and_not1_saveexec_b32 s2, s3
	s_cbranch_execz .LBB205_11
; %bb.8:                                ;   in Loop: Header=BB205_5 Depth=1
	v_add_f32_e32 v9, 2.0, v5
	s_mov_b32 s3, exec_lo
	s_delay_alu instid0(VALU_DEP_1) | instskip(NEXT) | instid1(VALU_DEP_1)
	v_mul_f32_e32 v9, v5, v9
	v_fmac_f32_e32 v9, v6, v6
	s_delay_alu instid0(VALU_DEP_1)
	v_cmpx_neq_f32_e32 0, v9
	s_cbranch_execz .LBB205_10
; %bb.9:                                ;   in Loop: Header=BB205_5 Depth=1
	v_add_f32_e32 v5, 1.0, v9
	s_delay_alu instid0(VALU_DEP_1) | instskip(SKIP_1) | instid1(VALU_DEP_1)
	v_cvt_f64_f32_e32 v[15:16], v5
	v_frexp_mant_f32_e32 v13, v5
	v_cmp_gt_f32_e32 vcc_lo, 0x3f2aaaab, v13
	v_add_f32_e32 v13, -1.0, v5
	s_delay_alu instid0(VALU_DEP_4) | instskip(NEXT) | instid1(VALU_DEP_2)
	v_frexp_exp_i32_f64_e32 v11, v[15:16]
	v_sub_f32_e32 v16, v13, v5
	s_delay_alu instid0(VALU_DEP_1) | instskip(NEXT) | instid1(VALU_DEP_1)
	v_dual_sub_f32 v13, v9, v13 :: v_dual_add_f32 v16, 1.0, v16
	v_add_f32_e32 v13, v13, v16
	s_delay_alu instid0(VALU_DEP_4) | instskip(SKIP_1) | instid1(VALU_DEP_2)
	v_subrev_co_ci_u32_e32 v11, vcc_lo, 0, v11, vcc_lo
	v_cmp_eq_f32_e32 vcc_lo, 0x7f800000, v9
	v_sub_nc_u32_e32 v15, 0, v11
	v_cvt_f32_i32_e32 v11, v11
	s_delay_alu instid0(VALU_DEP_2) | instskip(SKIP_1) | instid1(VALU_DEP_2)
	v_ldexp_f32 v5, v5, v15
	v_ldexp_f32 v13, v13, v15
	v_add_f32_e32 v21, 1.0, v5
	s_delay_alu instid0(VALU_DEP_1) | instskip(NEXT) | instid1(VALU_DEP_1)
	v_add_f32_e32 v16, -1.0, v21
	v_sub_f32_e32 v16, v5, v16
	s_delay_alu instid0(VALU_DEP_1) | instskip(NEXT) | instid1(VALU_DEP_1)
	v_dual_add_f32 v16, v13, v16 :: v_dual_add_f32 v15, -1.0, v5
	v_add_f32_e32 v22, 1.0, v15
	s_delay_alu instid0(VALU_DEP_1) | instskip(NEXT) | instid1(VALU_DEP_3)
	v_sub_f32_e32 v5, v5, v22
	v_add_f32_e32 v22, v21, v16
	s_delay_alu instid0(VALU_DEP_2) | instskip(NEXT) | instid1(VALU_DEP_2)
	v_add_f32_e32 v5, v13, v5
	v_rcp_f32_e32 v13, v22
	v_sub_f32_e32 v21, v22, v21
	s_delay_alu instid0(VALU_DEP_1) | instskip(NEXT) | instid1(VALU_DEP_3)
	v_sub_f32_e32 v16, v16, v21
	v_add_f32_e32 v23, v15, v5
	s_waitcnt_depctr 0xfff
	v_mul_f32_e32 v24, v23, v13
	v_sub_f32_e32 v15, v23, v15
	s_delay_alu instid0(VALU_DEP_2) | instskip(NEXT) | instid1(VALU_DEP_2)
	v_mul_f32_e32 v25, v22, v24
	v_sub_f32_e32 v5, v5, v15
	s_delay_alu instid0(VALU_DEP_2) | instskip(NEXT) | instid1(VALU_DEP_1)
	v_fma_f32 v21, v24, v22, -v25
	v_fmac_f32_e32 v21, v24, v16
	s_delay_alu instid0(VALU_DEP_1) | instskip(NEXT) | instid1(VALU_DEP_1)
	v_add_f32_e32 v26, v25, v21
	v_sub_f32_e32 v27, v23, v26
	v_sub_f32_e32 v15, v26, v25
	s_delay_alu instid0(VALU_DEP_2) | instskip(NEXT) | instid1(VALU_DEP_2)
	v_sub_f32_e32 v23, v23, v27
	v_sub_f32_e32 v15, v15, v21
	s_delay_alu instid0(VALU_DEP_2) | instskip(NEXT) | instid1(VALU_DEP_1)
	v_sub_f32_e32 v23, v23, v26
	v_add_f32_e32 v5, v5, v23
	s_delay_alu instid0(VALU_DEP_1) | instskip(NEXT) | instid1(VALU_DEP_1)
	v_add_f32_e32 v5, v15, v5
	v_add_f32_e32 v15, v27, v5
	s_delay_alu instid0(VALU_DEP_1) | instskip(NEXT) | instid1(VALU_DEP_1)
	v_mul_f32_e32 v21, v13, v15
	v_dual_sub_f32 v26, v27, v15 :: v_dual_mul_f32 v23, v22, v21
	s_delay_alu instid0(VALU_DEP_1) | instskip(NEXT) | instid1(VALU_DEP_2)
	v_add_f32_e32 v5, v5, v26
	v_fma_f32 v22, v21, v22, -v23
	s_delay_alu instid0(VALU_DEP_1) | instskip(NEXT) | instid1(VALU_DEP_1)
	v_fmac_f32_e32 v22, v21, v16
	v_add_f32_e32 v16, v23, v22
	s_delay_alu instid0(VALU_DEP_1) | instskip(SKIP_1) | instid1(VALU_DEP_2)
	v_sub_f32_e32 v25, v15, v16
	v_sub_f32_e32 v23, v16, v23
	;; [unrolled: 1-line block ×3, first 2 shown]
	s_delay_alu instid0(VALU_DEP_1) | instskip(NEXT) | instid1(VALU_DEP_1)
	v_sub_f32_e32 v15, v15, v16
	v_dual_sub_f32 v16, v23, v22 :: v_dual_add_f32 v5, v5, v15
	v_add_f32_e32 v15, v24, v21
	s_delay_alu instid0(VALU_DEP_1) | instskip(NEXT) | instid1(VALU_DEP_1)
	v_dual_add_f32 v5, v16, v5 :: v_dual_sub_f32 v16, v15, v24
	v_add_f32_e32 v5, v25, v5
	s_delay_alu instid0(VALU_DEP_2) | instskip(NEXT) | instid1(VALU_DEP_2)
	v_sub_f32_e32 v16, v21, v16
	v_mul_f32_e32 v5, v13, v5
	s_delay_alu instid0(VALU_DEP_1) | instskip(NEXT) | instid1(VALU_DEP_1)
	v_add_f32_e32 v5, v16, v5
	v_add_f32_e32 v13, v15, v5
	s_delay_alu instid0(VALU_DEP_1) | instskip(NEXT) | instid1(VALU_DEP_1)
	v_mul_f32_e32 v16, v13, v13
	v_fmaak_f32 v21, s20, v16, 0x3ecc95a3
	v_mul_f32_e32 v22, v13, v16
	s_delay_alu instid0(VALU_DEP_2) | instskip(SKIP_1) | instid1(VALU_DEP_2)
	v_fmaak_f32 v16, v16, v21, 0x3f2aaada
	v_ldexp_f32 v21, v13, 1
	v_dual_sub_f32 v13, v13, v15 :: v_dual_mul_f32 v16, v22, v16
	s_delay_alu instid0(VALU_DEP_1) | instskip(NEXT) | instid1(VALU_DEP_2)
	v_dual_mul_f32 v22, 0x3f317218, v11 :: v_dual_sub_f32 v5, v5, v13
	v_add_f32_e32 v15, v21, v16
	s_delay_alu instid0(VALU_DEP_2) | instskip(NEXT) | instid1(VALU_DEP_2)
	v_ldexp_f32 v5, v5, 1
	v_sub_f32_e32 v13, v15, v21
	s_delay_alu instid0(VALU_DEP_4) | instskip(NEXT) | instid1(VALU_DEP_2)
	v_fma_f32 v21, 0x3f317218, v11, -v22
	v_sub_f32_e32 v13, v16, v13
	s_delay_alu instid0(VALU_DEP_2) | instskip(NEXT) | instid1(VALU_DEP_2)
	v_fmac_f32_e32 v21, 0xb102e308, v11
	v_add_f32_e32 v5, v5, v13
	s_delay_alu instid0(VALU_DEP_2) | instskip(NEXT) | instid1(VALU_DEP_2)
	v_add_f32_e32 v11, v22, v21
	v_add_f32_e32 v13, v15, v5
	s_delay_alu instid0(VALU_DEP_2) | instskip(NEXT) | instid1(VALU_DEP_2)
	v_sub_f32_e32 v22, v11, v22
	v_dual_add_f32 v16, v11, v13 :: v_dual_sub_f32 v15, v13, v15
	s_delay_alu instid0(VALU_DEP_2) | instskip(NEXT) | instid1(VALU_DEP_2)
	v_sub_f32_e32 v21, v21, v22
	v_sub_f32_e32 v23, v16, v11
	s_delay_alu instid0(VALU_DEP_3) | instskip(NEXT) | instid1(VALU_DEP_2)
	v_sub_f32_e32 v5, v5, v15
	v_sub_f32_e32 v24, v16, v23
	;; [unrolled: 1-line block ×3, first 2 shown]
	s_delay_alu instid0(VALU_DEP_3) | instskip(NEXT) | instid1(VALU_DEP_3)
	v_add_f32_e32 v15, v21, v5
	v_sub_f32_e32 v11, v11, v24
	s_delay_alu instid0(VALU_DEP_1) | instskip(NEXT) | instid1(VALU_DEP_3)
	v_add_f32_e32 v11, v13, v11
	v_sub_f32_e32 v13, v15, v21
	s_delay_alu instid0(VALU_DEP_2) | instskip(NEXT) | instid1(VALU_DEP_2)
	v_add_f32_e32 v11, v15, v11
	v_sub_f32_e32 v15, v15, v13
	s_delay_alu instid0(VALU_DEP_2) | instskip(NEXT) | instid1(VALU_DEP_2)
	v_dual_sub_f32 v5, v5, v13 :: v_dual_add_f32 v22, v16, v11
	v_sub_f32_e32 v15, v21, v15
	s_delay_alu instid0(VALU_DEP_2) | instskip(NEXT) | instid1(VALU_DEP_2)
	v_sub_f32_e32 v13, v22, v16
	v_add_f32_e32 v5, v5, v15
	s_delay_alu instid0(VALU_DEP_2) | instskip(NEXT) | instid1(VALU_DEP_1)
	v_sub_f32_e32 v11, v11, v13
	v_add_f32_e32 v5, v5, v11
	s_delay_alu instid0(VALU_DEP_1) | instskip(NEXT) | instid1(VALU_DEP_1)
	v_add_f32_e32 v5, v22, v5
	v_cndmask_b32_e32 v5, v5, v9, vcc_lo
	v_cmp_ngt_f32_e32 vcc_lo, -1.0, v9
	s_delay_alu instid0(VALU_DEP_2) | instskip(SKIP_1) | instid1(VALU_DEP_2)
	v_cndmask_b32_e32 v5, 0x7fc00000, v5, vcc_lo
	v_cmp_neq_f32_e32 vcc_lo, -1.0, v9
	v_cndmask_b32_e32 v5, 0xff800000, v5, vcc_lo
	v_cmp_gt_f32_e64 vcc_lo, 0x33800000, |v9|
	s_delay_alu instid0(VALU_DEP_2) | instskip(NEXT) | instid1(VALU_DEP_1)
	v_cndmask_b32_e32 v5, v5, v9, vcc_lo
	v_mul_f32_e32 v5, 0.5, v5
.LBB205_10:                             ;   in Loop: Header=BB205_5 Depth=1
	s_or_b32 exec_lo, exec_lo, s3
	s_delay_alu instid0(VALU_DEP_1)
	v_mov_b32_e32 v9, v5
.LBB205_11:                             ;   in Loop: Header=BB205_5 Depth=1
	s_or_b32 exec_lo, exec_lo, s2
	v_max_f32_e64 v5, |v7|, |v7|
	v_max_f32_e64 v16, |v8|, |v8|
	s_delay_alu instid0(VALU_DEP_1) | instskip(NEXT) | instid1(VALU_DEP_1)
	v_max_f32_e32 v11, v5, v16
	v_cvt_f64_f32_e32 v[21:22], v11
	v_cmp_eq_f32_e32 vcc_lo, 0x7f800000, v11
	s_delay_alu instid0(VALU_DEP_2) | instskip(NEXT) | instid1(VALU_DEP_1)
	v_frexp_exp_i32_f64_e32 v5, v[21:22]
	v_sub_nc_u32_e32 v13, 0, v5
	s_delay_alu instid0(VALU_DEP_1) | instskip(SKIP_1) | instid1(VALU_DEP_2)
	v_ldexp_f32 v15, |v8|, v13
	v_ldexp_f32 v13, |v7|, v13
	v_mul_f32_e32 v15, v15, v15
	s_delay_alu instid0(VALU_DEP_1) | instskip(NEXT) | instid1(VALU_DEP_1)
	v_fmac_f32_e32 v15, v13, v13
	v_sqrt_f32_e32 v13, v15
	s_waitcnt_depctr 0xfff
	v_ldexp_f32 v13, v13, v5
	v_add_f32_e32 v5, 1.0, v7
	s_delay_alu instid0(VALU_DEP_2) | instskip(NEXT) | instid1(VALU_DEP_2)
	v_cmp_ngt_f32_e64 s2, 0.5, v13
	v_max_f32_e64 v21, |v5|, v16
	s_delay_alu instid0(VALU_DEP_2) | instskip(NEXT) | instid1(SALU_CYCLE_1)
	s_or_b32 s2, vcc_lo, s2
	s_and_saveexec_b32 s3, s2
	s_delay_alu instid0(SALU_CYCLE_1)
	s_xor_b32 s3, exec_lo, s3
	s_cbranch_execz .LBB205_13
; %bb.12:                               ;   in Loop: Header=BB205_5 Depth=1
	v_cvt_f64_f32_e32 v[22:23], v21
	v_cmp_neq_f32_e32 vcc_lo, 0x7f800000, v21
	s_delay_alu instid0(VALU_DEP_2) | instskip(NEXT) | instid1(VALU_DEP_1)
	v_frexp_exp_i32_f64_e32 v11, v[22:23]
	v_sub_nc_u32_e32 v13, 0, v11
	s_delay_alu instid0(VALU_DEP_1) | instskip(SKIP_1) | instid1(VALU_DEP_2)
	v_ldexp_f32 v15, |v8|, v13
	v_ldexp_f32 v13, |v5|, v13
	v_mul_f32_e32 v15, v15, v15
	s_delay_alu instid0(VALU_DEP_1) | instskip(NEXT) | instid1(VALU_DEP_1)
	v_fmac_f32_e32 v15, v13, v13
	v_sqrt_f32_e32 v13, v15
	s_waitcnt_depctr 0xfff
	v_ldexp_f32 v11, v13, v11
	s_delay_alu instid0(VALU_DEP_1) | instskip(NEXT) | instid1(VALU_DEP_1)
	v_cndmask_b32_e32 v11, 0x7f800000, v11, vcc_lo
	v_cmp_gt_f32_e32 vcc_lo, 0x800000, v11
	v_cndmask_b32_e64 v13, 1.0, 0x4f800000, vcc_lo
	s_delay_alu instid0(VALU_DEP_1) | instskip(NEXT) | instid1(VALU_DEP_1)
	v_mul_f32_e32 v11, v11, v13
	v_log_f32_e32 v11, v11
	s_waitcnt_depctr 0xfff
	v_mul_f32_e32 v13, 0x3f317217, v11
	v_cmp_gt_f32_e64 s2, 0x7f800000, |v11|
	s_delay_alu instid0(VALU_DEP_2) | instskip(NEXT) | instid1(VALU_DEP_1)
	v_fma_f32 v15, 0x3f317217, v11, -v13
	v_fmac_f32_e32 v15, 0x3377d1cf, v11
	s_delay_alu instid0(VALU_DEP_1) | instskip(NEXT) | instid1(VALU_DEP_1)
	v_add_f32_e32 v13, v13, v15
	v_cndmask_b32_e64 v11, v11, v13, s2
	v_cndmask_b32_e64 v13, 0, 0x41b17218, vcc_lo
	s_delay_alu instid0(VALU_DEP_1)
	v_sub_f32_e32 v11, v11, v13
.LBB205_13:                             ;   in Loop: Header=BB205_5 Depth=1
	s_and_not1_saveexec_b32 s2, s3
	s_cbranch_execz .LBB205_17
; %bb.14:                               ;   in Loop: Header=BB205_5 Depth=1
	v_add_f32_e32 v11, 2.0, v7
	s_mov_b32 s3, exec_lo
	s_delay_alu instid0(VALU_DEP_1) | instskip(NEXT) | instid1(VALU_DEP_1)
	v_mul_f32_e32 v11, v7, v11
	v_fmac_f32_e32 v11, v8, v8
	s_delay_alu instid0(VALU_DEP_1)
	v_cmpx_neq_f32_e32 0, v11
	s_cbranch_execz .LBB205_16
; %bb.15:                               ;   in Loop: Header=BB205_5 Depth=1
	v_add_f32_e32 v7, 1.0, v11
	s_delay_alu instid0(VALU_DEP_1) | instskip(SKIP_1) | instid1(VALU_DEP_1)
	v_cvt_f64_f32_e32 v[22:23], v7
	v_frexp_mant_f32_e32 v15, v7
	v_cmp_gt_f32_e32 vcc_lo, 0x3f2aaaab, v15
	v_add_f32_e32 v15, -1.0, v7
	s_delay_alu instid0(VALU_DEP_4) | instskip(NEXT) | instid1(VALU_DEP_2)
	v_frexp_exp_i32_f64_e32 v13, v[22:23]
	v_sub_f32_e32 v23, v15, v7
	v_sub_f32_e32 v15, v11, v15
	s_delay_alu instid0(VALU_DEP_2) | instskip(NEXT) | instid1(VALU_DEP_1)
	v_add_f32_e32 v23, 1.0, v23
	v_add_f32_e32 v15, v15, v23
	v_subrev_co_ci_u32_e32 v13, vcc_lo, 0, v13, vcc_lo
	v_cmp_eq_f32_e32 vcc_lo, 0x7f800000, v11
	s_delay_alu instid0(VALU_DEP_2) | instskip(SKIP_1) | instid1(VALU_DEP_2)
	v_sub_nc_u32_e32 v22, 0, v13
	v_cvt_f32_i32_e32 v13, v13
	v_ldexp_f32 v7, v7, v22
	v_ldexp_f32 v15, v15, v22
	s_delay_alu instid0(VALU_DEP_2) | instskip(NEXT) | instid1(VALU_DEP_1)
	v_add_f32_e32 v22, -1.0, v7
	v_dual_add_f32 v24, 1.0, v7 :: v_dual_add_f32 v25, 1.0, v22
	s_delay_alu instid0(VALU_DEP_1) | instskip(NEXT) | instid1(VALU_DEP_1)
	v_add_f32_e32 v23, -1.0, v24
	v_sub_f32_e32 v23, v7, v23
	s_delay_alu instid0(VALU_DEP_3) | instskip(NEXT) | instid1(VALU_DEP_2)
	v_sub_f32_e32 v7, v7, v25
	v_add_f32_e32 v23, v15, v23
	s_delay_alu instid0(VALU_DEP_2) | instskip(NEXT) | instid1(VALU_DEP_2)
	v_add_f32_e32 v7, v15, v7
	v_add_f32_e32 v25, v24, v23
	s_delay_alu instid0(VALU_DEP_2) | instskip(NEXT) | instid1(VALU_DEP_2)
	v_add_f32_e32 v26, v22, v7
	v_rcp_f32_e32 v15, v25
	v_sub_f32_e32 v24, v25, v24
	s_delay_alu instid0(VALU_DEP_1) | instskip(NEXT) | instid1(VALU_DEP_1)
	v_dual_sub_f32 v22, v26, v22 :: v_dual_sub_f32 v23, v23, v24
	v_sub_f32_e32 v7, v7, v22
	s_waitcnt_depctr 0xfff
	v_mul_f32_e32 v27, v26, v15
	s_delay_alu instid0(VALU_DEP_1) | instskip(NEXT) | instid1(VALU_DEP_1)
	v_mul_f32_e32 v28, v25, v27
	v_fma_f32 v24, v27, v25, -v28
	s_delay_alu instid0(VALU_DEP_1) | instskip(NEXT) | instid1(VALU_DEP_1)
	v_fmac_f32_e32 v24, v27, v23
	v_add_f32_e32 v29, v28, v24
	s_delay_alu instid0(VALU_DEP_1) | instskip(SKIP_1) | instid1(VALU_DEP_2)
	v_sub_f32_e32 v30, v26, v29
	v_sub_f32_e32 v22, v29, v28
	;; [unrolled: 1-line block ×3, first 2 shown]
	s_delay_alu instid0(VALU_DEP_2) | instskip(NEXT) | instid1(VALU_DEP_2)
	v_sub_f32_e32 v22, v22, v24
	v_sub_f32_e32 v26, v26, v29
	s_delay_alu instid0(VALU_DEP_1) | instskip(NEXT) | instid1(VALU_DEP_1)
	v_add_f32_e32 v7, v7, v26
	v_add_f32_e32 v7, v22, v7
	s_delay_alu instid0(VALU_DEP_1) | instskip(NEXT) | instid1(VALU_DEP_1)
	v_add_f32_e32 v22, v30, v7
	v_mul_f32_e32 v24, v15, v22
	s_delay_alu instid0(VALU_DEP_1) | instskip(NEXT) | instid1(VALU_DEP_1)
	v_dual_sub_f32 v29, v30, v22 :: v_dual_mul_f32 v26, v25, v24
	v_add_f32_e32 v7, v7, v29
	s_delay_alu instid0(VALU_DEP_2) | instskip(NEXT) | instid1(VALU_DEP_1)
	v_fma_f32 v25, v24, v25, -v26
	v_fmac_f32_e32 v25, v24, v23
	s_delay_alu instid0(VALU_DEP_1) | instskip(NEXT) | instid1(VALU_DEP_1)
	v_add_f32_e32 v23, v26, v25
	v_sub_f32_e32 v28, v22, v23
	v_sub_f32_e32 v26, v23, v26
	s_delay_alu instid0(VALU_DEP_2) | instskip(NEXT) | instid1(VALU_DEP_1)
	v_sub_f32_e32 v22, v22, v28
	v_sub_f32_e32 v22, v22, v23
	s_delay_alu instid0(VALU_DEP_3) | instskip(NEXT) | instid1(VALU_DEP_2)
	v_sub_f32_e32 v23, v26, v25
	v_add_f32_e32 v7, v7, v22
	v_add_f32_e32 v22, v27, v24
	s_delay_alu instid0(VALU_DEP_2) | instskip(NEXT) | instid1(VALU_DEP_2)
	v_add_f32_e32 v7, v23, v7
	v_sub_f32_e32 v23, v22, v27
	s_delay_alu instid0(VALU_DEP_2) | instskip(NEXT) | instid1(VALU_DEP_2)
	v_add_f32_e32 v7, v28, v7
	v_sub_f32_e32 v23, v24, v23
	s_delay_alu instid0(VALU_DEP_2) | instskip(NEXT) | instid1(VALU_DEP_1)
	v_mul_f32_e32 v7, v15, v7
	v_add_f32_e32 v7, v23, v7
	s_delay_alu instid0(VALU_DEP_1) | instskip(NEXT) | instid1(VALU_DEP_1)
	v_add_f32_e32 v15, v22, v7
	v_mul_f32_e32 v23, v15, v15
	s_delay_alu instid0(VALU_DEP_1) | instskip(SKIP_1) | instid1(VALU_DEP_2)
	v_fmaak_f32 v24, s20, v23, 0x3ecc95a3
	v_mul_f32_e32 v25, v15, v23
	v_fmaak_f32 v23, v23, v24, 0x3f2aaada
	v_ldexp_f32 v24, v15, 1
	v_sub_f32_e32 v15, v15, v22
	s_delay_alu instid0(VALU_DEP_3) | instskip(SKIP_1) | instid1(VALU_DEP_3)
	v_mul_f32_e32 v23, v25, v23
	v_mul_f32_e32 v25, 0x3f317218, v13
	v_sub_f32_e32 v7, v7, v15
	s_delay_alu instid0(VALU_DEP_3) | instskip(NEXT) | instid1(VALU_DEP_2)
	v_add_f32_e32 v22, v24, v23
	v_ldexp_f32 v7, v7, 1
	s_delay_alu instid0(VALU_DEP_2) | instskip(SKIP_1) | instid1(VALU_DEP_1)
	v_sub_f32_e32 v15, v22, v24
	v_fma_f32 v24, 0x3f317218, v13, -v25
	v_dual_sub_f32 v15, v23, v15 :: v_dual_fmac_f32 v24, 0xb102e308, v13
	s_delay_alu instid0(VALU_DEP_1) | instskip(NEXT) | instid1(VALU_DEP_2)
	v_add_f32_e32 v7, v7, v15
	v_add_f32_e32 v13, v25, v24
	s_delay_alu instid0(VALU_DEP_2) | instskip(NEXT) | instid1(VALU_DEP_2)
	v_add_f32_e32 v15, v22, v7
	v_sub_f32_e32 v25, v13, v25
	s_delay_alu instid0(VALU_DEP_2) | instskip(NEXT) | instid1(VALU_DEP_2)
	v_dual_add_f32 v23, v13, v15 :: v_dual_sub_f32 v22, v15, v22
	v_sub_f32_e32 v24, v24, v25
	s_delay_alu instid0(VALU_DEP_2) | instskip(NEXT) | instid1(VALU_DEP_3)
	v_sub_f32_e32 v26, v23, v13
	v_sub_f32_e32 v7, v7, v22
	s_delay_alu instid0(VALU_DEP_2) | instskip(NEXT) | instid1(VALU_DEP_2)
	v_sub_f32_e32 v27, v23, v26
	v_dual_sub_f32 v15, v15, v26 :: v_dual_add_f32 v22, v24, v7
	s_delay_alu instid0(VALU_DEP_2) | instskip(NEXT) | instid1(VALU_DEP_1)
	v_sub_f32_e32 v13, v13, v27
	v_add_f32_e32 v13, v15, v13
	s_delay_alu instid0(VALU_DEP_3) | instskip(NEXT) | instid1(VALU_DEP_2)
	v_sub_f32_e32 v15, v22, v24
	v_add_f32_e32 v13, v22, v13
	s_delay_alu instid0(VALU_DEP_2) | instskip(SKIP_1) | instid1(VALU_DEP_2)
	v_sub_f32_e32 v22, v22, v15
	v_sub_f32_e32 v7, v7, v15
	v_dual_add_f32 v25, v23, v13 :: v_dual_sub_f32 v22, v24, v22
	s_delay_alu instid0(VALU_DEP_1) | instskip(NEXT) | instid1(VALU_DEP_2)
	v_sub_f32_e32 v15, v25, v23
	v_add_f32_e32 v7, v7, v22
	s_delay_alu instid0(VALU_DEP_2) | instskip(NEXT) | instid1(VALU_DEP_1)
	v_sub_f32_e32 v13, v13, v15
	v_add_f32_e32 v7, v7, v13
	s_delay_alu instid0(VALU_DEP_1) | instskip(NEXT) | instid1(VALU_DEP_1)
	v_add_f32_e32 v7, v25, v7
	v_cndmask_b32_e32 v7, v7, v11, vcc_lo
	v_cmp_ngt_f32_e32 vcc_lo, -1.0, v11
	s_delay_alu instid0(VALU_DEP_2) | instskip(SKIP_1) | instid1(VALU_DEP_2)
	v_cndmask_b32_e32 v7, 0x7fc00000, v7, vcc_lo
	v_cmp_neq_f32_e32 vcc_lo, -1.0, v11
	v_cndmask_b32_e32 v7, 0xff800000, v7, vcc_lo
	v_cmp_gt_f32_e64 vcc_lo, 0x33800000, |v11|
	s_delay_alu instid0(VALU_DEP_2) | instskip(NEXT) | instid1(VALU_DEP_1)
	v_cndmask_b32_e32 v7, v7, v11, vcc_lo
	v_mul_f32_e32 v7, 0.5, v7
.LBB205_16:                             ;   in Loop: Header=BB205_5 Depth=1
	s_or_b32 exec_lo, exec_lo, s3
	s_delay_alu instid0(VALU_DEP_1)
	v_mov_b32_e32 v11, v7
.LBB205_17:                             ;   in Loop: Header=BB205_5 Depth=1
	s_or_b32 exec_lo, exec_lo, s2
	s_waitcnt vmcnt(0)
	v_max_f32_e64 v7, |v1|, |v1|
	v_max_f32_e64 v22, |v2|, |v2|
	s_delay_alu instid0(VALU_DEP_1) | instskip(NEXT) | instid1(VALU_DEP_1)
	v_max_f32_e32 v13, v7, v22
	v_cvt_f64_f32_e32 v[23:24], v13
	v_cmp_eq_f32_e32 vcc_lo, 0x7f800000, v13
                                        ; implicit-def: $vgpr13
	s_delay_alu instid0(VALU_DEP_2) | instskip(NEXT) | instid1(VALU_DEP_1)
	v_frexp_exp_i32_f64_e32 v7, v[23:24]
	v_sub_nc_u32_e32 v15, 0, v7
	s_delay_alu instid0(VALU_DEP_1) | instskip(SKIP_1) | instid1(VALU_DEP_2)
	v_ldexp_f32 v23, |v2|, v15
	v_ldexp_f32 v15, |v1|, v15
	v_mul_f32_e32 v23, v23, v23
	s_delay_alu instid0(VALU_DEP_1) | instskip(NEXT) | instid1(VALU_DEP_1)
	v_fmac_f32_e32 v23, v15, v15
	v_sqrt_f32_e32 v15, v23
	s_waitcnt_depctr 0xfff
	v_ldexp_f32 v15, v15, v7
	v_add_f32_e32 v7, 1.0, v1
	s_delay_alu instid0(VALU_DEP_2) | instskip(NEXT) | instid1(VALU_DEP_2)
	v_cmp_ngt_f32_e64 s2, 0.5, v15
	v_max_f32_e64 v23, |v7|, v22
	s_delay_alu instid0(VALU_DEP_2) | instskip(NEXT) | instid1(SALU_CYCLE_1)
	s_or_b32 s2, vcc_lo, s2
	s_and_saveexec_b32 s3, s2
	s_delay_alu instid0(SALU_CYCLE_1)
	s_xor_b32 s3, exec_lo, s3
	s_cbranch_execz .LBB205_19
; %bb.18:                               ;   in Loop: Header=BB205_5 Depth=1
	v_cvt_f64_f32_e32 v[24:25], v23
	v_cmp_neq_f32_e32 vcc_lo, 0x7f800000, v23
	s_delay_alu instid0(VALU_DEP_2) | instskip(NEXT) | instid1(VALU_DEP_1)
	v_frexp_exp_i32_f64_e32 v13, v[24:25]
	v_sub_nc_u32_e32 v15, 0, v13
	s_delay_alu instid0(VALU_DEP_1) | instskip(SKIP_1) | instid1(VALU_DEP_2)
	v_ldexp_f32 v24, |v2|, v15
	v_ldexp_f32 v15, |v7|, v15
	v_mul_f32_e32 v24, v24, v24
	s_delay_alu instid0(VALU_DEP_1) | instskip(NEXT) | instid1(VALU_DEP_1)
	v_fmac_f32_e32 v24, v15, v15
	v_sqrt_f32_e32 v15, v24
	s_waitcnt_depctr 0xfff
	v_ldexp_f32 v13, v15, v13
	s_delay_alu instid0(VALU_DEP_1) | instskip(NEXT) | instid1(VALU_DEP_1)
	v_cndmask_b32_e32 v13, 0x7f800000, v13, vcc_lo
	v_cmp_gt_f32_e32 vcc_lo, 0x800000, v13
	v_cndmask_b32_e64 v15, 1.0, 0x4f800000, vcc_lo
	s_delay_alu instid0(VALU_DEP_1) | instskip(NEXT) | instid1(VALU_DEP_1)
	v_mul_f32_e32 v13, v13, v15
	v_log_f32_e32 v13, v13
	s_waitcnt_depctr 0xfff
	v_mul_f32_e32 v15, 0x3f317217, v13
	v_cmp_gt_f32_e64 s2, 0x7f800000, |v13|
	s_delay_alu instid0(VALU_DEP_2) | instskip(NEXT) | instid1(VALU_DEP_1)
	v_fma_f32 v24, 0x3f317217, v13, -v15
	v_fmac_f32_e32 v24, 0x3377d1cf, v13
	s_delay_alu instid0(VALU_DEP_1) | instskip(NEXT) | instid1(VALU_DEP_1)
	v_add_f32_e32 v15, v15, v24
	v_cndmask_b32_e64 v13, v13, v15, s2
	v_cndmask_b32_e64 v15, 0, 0x41b17218, vcc_lo
	s_delay_alu instid0(VALU_DEP_1)
	v_sub_f32_e32 v13, v13, v15
.LBB205_19:                             ;   in Loop: Header=BB205_5 Depth=1
	s_and_not1_saveexec_b32 s2, s3
	s_cbranch_execz .LBB205_23
; %bb.20:                               ;   in Loop: Header=BB205_5 Depth=1
	v_add_f32_e32 v13, 2.0, v1
	s_mov_b32 s3, exec_lo
	s_delay_alu instid0(VALU_DEP_1) | instskip(NEXT) | instid1(VALU_DEP_1)
	v_mul_f32_e32 v13, v1, v13
	v_fmac_f32_e32 v13, v2, v2
	s_delay_alu instid0(VALU_DEP_1)
	v_cmpx_neq_f32_e32 0, v13
	s_cbranch_execz .LBB205_22
; %bb.21:                               ;   in Loop: Header=BB205_5 Depth=1
	v_add_f32_e32 v1, 1.0, v13
	s_delay_alu instid0(VALU_DEP_1) | instskip(NEXT) | instid1(VALU_DEP_1)
	v_cvt_f64_f32_e32 v[24:25], v1
	v_frexp_exp_i32_f64_e32 v15, v[24:25]
	v_frexp_mant_f32_e32 v24, v1
	s_delay_alu instid0(VALU_DEP_1) | instskip(SKIP_1) | instid1(VALU_DEP_1)
	v_cmp_gt_f32_e32 vcc_lo, 0x3f2aaaab, v24
	v_add_f32_e32 v24, -1.0, v1
	v_sub_f32_e32 v26, v24, v1
	v_sub_f32_e32 v24, v13, v24
	v_subrev_co_ci_u32_e32 v15, vcc_lo, 0, v15, vcc_lo
	v_cmp_eq_f32_e32 vcc_lo, 0x7f800000, v13
	s_delay_alu instid0(VALU_DEP_2) | instskip(SKIP_1) | instid1(VALU_DEP_2)
	v_sub_nc_u32_e32 v25, 0, v15
	v_cvt_f32_i32_e32 v15, v15
	v_ldexp_f32 v1, v1, v25
	s_delay_alu instid0(VALU_DEP_1) | instskip(NEXT) | instid1(VALU_DEP_1)
	v_dual_add_f32 v26, 1.0, v26 :: v_dual_add_f32 v27, 1.0, v1
	v_add_f32_e32 v24, v24, v26
	s_delay_alu instid0(VALU_DEP_1) | instskip(NEXT) | instid1(VALU_DEP_3)
	v_ldexp_f32 v24, v24, v25
	v_dual_add_f32 v25, -1.0, v1 :: v_dual_add_f32 v26, -1.0, v27
	s_delay_alu instid0(VALU_DEP_1) | instskip(NEXT) | instid1(VALU_DEP_2)
	v_add_f32_e32 v28, 1.0, v25
	v_sub_f32_e32 v26, v1, v26
	s_delay_alu instid0(VALU_DEP_2) | instskip(NEXT) | instid1(VALU_DEP_1)
	v_sub_f32_e32 v1, v1, v28
	v_add_f32_e32 v1, v24, v1
	s_delay_alu instid0(VALU_DEP_1) | instskip(NEXT) | instid1(VALU_DEP_1)
	v_dual_add_f32 v26, v24, v26 :: v_dual_add_f32 v29, v25, v1
	v_dual_add_f32 v28, v27, v26 :: v_dual_sub_f32 v25, v29, v25
	s_delay_alu instid0(VALU_DEP_1) | instskip(SKIP_1) | instid1(VALU_DEP_1)
	v_rcp_f32_e32 v24, v28
	v_sub_f32_e32 v27, v28, v27
	v_dual_sub_f32 v26, v26, v27 :: v_dual_sub_f32 v1, v1, v25
	s_waitcnt_depctr 0xfff
	v_mul_f32_e32 v30, v29, v24
	s_delay_alu instid0(VALU_DEP_1) | instskip(NEXT) | instid1(VALU_DEP_1)
	v_mul_f32_e32 v31, v28, v30
	v_fma_f32 v27, v30, v28, -v31
	s_delay_alu instid0(VALU_DEP_1) | instskip(NEXT) | instid1(VALU_DEP_1)
	v_fmac_f32_e32 v27, v30, v26
	v_add_f32_e32 v32, v31, v27
	s_delay_alu instid0(VALU_DEP_1) | instskip(NEXT) | instid1(VALU_DEP_1)
	v_sub_f32_e32 v33, v29, v32
	v_sub_f32_e32 v29, v29, v33
	v_sub_f32_e32 v25, v32, v31
	s_delay_alu instid0(VALU_DEP_2) | instskip(NEXT) | instid1(VALU_DEP_2)
	v_sub_f32_e32 v29, v29, v32
	v_sub_f32_e32 v25, v25, v27
	s_delay_alu instid0(VALU_DEP_2) | instskip(NEXT) | instid1(VALU_DEP_1)
	v_add_f32_e32 v1, v1, v29
	v_add_f32_e32 v1, v25, v1
	s_delay_alu instid0(VALU_DEP_1) | instskip(NEXT) | instid1(VALU_DEP_1)
	v_add_f32_e32 v25, v33, v1
	v_mul_f32_e32 v27, v24, v25
	s_delay_alu instid0(VALU_DEP_1) | instskip(NEXT) | instid1(VALU_DEP_1)
	v_dual_sub_f32 v32, v33, v25 :: v_dual_mul_f32 v29, v28, v27
	v_add_f32_e32 v1, v1, v32
	s_delay_alu instid0(VALU_DEP_2) | instskip(NEXT) | instid1(VALU_DEP_1)
	v_fma_f32 v28, v27, v28, -v29
	v_fmac_f32_e32 v28, v27, v26
	s_delay_alu instid0(VALU_DEP_1) | instskip(NEXT) | instid1(VALU_DEP_1)
	v_add_f32_e32 v26, v29, v28
	v_sub_f32_e32 v31, v25, v26
	s_delay_alu instid0(VALU_DEP_1) | instskip(NEXT) | instid1(VALU_DEP_1)
	v_sub_f32_e32 v25, v25, v31
	v_sub_f32_e32 v25, v25, v26
	s_delay_alu instid0(VALU_DEP_1) | instskip(SKIP_2) | instid1(VALU_DEP_1)
	v_add_f32_e32 v1, v1, v25
	v_add_f32_e32 v25, v30, v27
	v_sub_f32_e32 v29, v26, v29
	v_sub_f32_e32 v26, v29, v28
	s_delay_alu instid0(VALU_DEP_1) | instskip(NEXT) | instid1(VALU_DEP_1)
	v_dual_add_f32 v1, v26, v1 :: v_dual_sub_f32 v26, v25, v30
	v_add_f32_e32 v1, v31, v1
	s_delay_alu instid0(VALU_DEP_1) | instskip(NEXT) | instid1(VALU_DEP_1)
	v_dual_sub_f32 v26, v27, v26 :: v_dual_mul_f32 v1, v24, v1
	v_add_f32_e32 v1, v26, v1
	s_delay_alu instid0(VALU_DEP_1) | instskip(NEXT) | instid1(VALU_DEP_1)
	v_add_f32_e32 v24, v25, v1
	v_mul_f32_e32 v26, v24, v24
	s_delay_alu instid0(VALU_DEP_1) | instskip(SKIP_1) | instid1(VALU_DEP_2)
	v_fmaak_f32 v27, s20, v26, 0x3ecc95a3
	v_mul_f32_e32 v28, v24, v26
	v_fmaak_f32 v26, v26, v27, 0x3f2aaada
	v_ldexp_f32 v27, v24, 1
	v_sub_f32_e32 v24, v24, v25
	s_delay_alu instid0(VALU_DEP_3) | instskip(NEXT) | instid1(VALU_DEP_2)
	v_mul_f32_e32 v26, v28, v26
	v_dual_mul_f32 v28, 0x3f317218, v15 :: v_dual_sub_f32 v1, v1, v24
	s_delay_alu instid0(VALU_DEP_2) | instskip(NEXT) | instid1(VALU_DEP_2)
	v_add_f32_e32 v25, v27, v26
	v_ldexp_f32 v1, v1, 1
	s_delay_alu instid0(VALU_DEP_2) | instskip(NEXT) | instid1(VALU_DEP_4)
	v_sub_f32_e32 v24, v25, v27
	v_fma_f32 v27, 0x3f317218, v15, -v28
	s_delay_alu instid0(VALU_DEP_2) | instskip(NEXT) | instid1(VALU_DEP_1)
	v_sub_f32_e32 v24, v26, v24
	v_add_f32_e32 v1, v1, v24
	s_delay_alu instid0(VALU_DEP_1) | instskip(NEXT) | instid1(VALU_DEP_1)
	v_dual_fmac_f32 v27, 0xb102e308, v15 :: v_dual_add_f32 v24, v25, v1
	v_add_f32_e32 v15, v28, v27
	s_delay_alu instid0(VALU_DEP_1) | instskip(NEXT) | instid1(VALU_DEP_1)
	v_add_f32_e32 v26, v15, v24
	v_dual_sub_f32 v28, v15, v28 :: v_dual_sub_f32 v29, v26, v15
	s_delay_alu instid0(VALU_DEP_1) | instskip(SKIP_1) | instid1(VALU_DEP_2)
	v_dual_sub_f32 v27, v27, v28 :: v_dual_sub_f32 v30, v26, v29
	v_sub_f32_e32 v25, v24, v25
	v_dual_sub_f32 v24, v24, v29 :: v_dual_sub_f32 v15, v15, v30
	s_delay_alu instid0(VALU_DEP_2) | instskip(NEXT) | instid1(VALU_DEP_2)
	v_sub_f32_e32 v1, v1, v25
	v_add_f32_e32 v15, v24, v15
	s_delay_alu instid0(VALU_DEP_2) | instskip(NEXT) | instid1(VALU_DEP_1)
	v_add_f32_e32 v25, v27, v1
	v_sub_f32_e32 v24, v25, v27
	s_delay_alu instid0(VALU_DEP_3) | instskip(NEXT) | instid1(VALU_DEP_1)
	v_add_f32_e32 v15, v25, v15
	v_dual_sub_f32 v25, v25, v24 :: v_dual_add_f32 v28, v26, v15
	v_sub_f32_e32 v1, v1, v24
	s_delay_alu instid0(VALU_DEP_2) | instskip(NEXT) | instid1(VALU_DEP_1)
	v_dual_sub_f32 v25, v27, v25 :: v_dual_sub_f32 v24, v28, v26
	v_add_f32_e32 v1, v1, v25
	s_delay_alu instid0(VALU_DEP_2) | instskip(NEXT) | instid1(VALU_DEP_1)
	v_sub_f32_e32 v15, v15, v24
	v_add_f32_e32 v1, v1, v15
	s_delay_alu instid0(VALU_DEP_1) | instskip(NEXT) | instid1(VALU_DEP_1)
	v_add_f32_e32 v1, v28, v1
	v_cndmask_b32_e32 v1, v1, v13, vcc_lo
	v_cmp_ngt_f32_e32 vcc_lo, -1.0, v13
	s_delay_alu instid0(VALU_DEP_2) | instskip(SKIP_1) | instid1(VALU_DEP_2)
	v_cndmask_b32_e32 v1, 0x7fc00000, v1, vcc_lo
	v_cmp_neq_f32_e32 vcc_lo, -1.0, v13
	v_cndmask_b32_e32 v1, 0xff800000, v1, vcc_lo
	v_cmp_gt_f32_e64 vcc_lo, 0x33800000, |v13|
	s_delay_alu instid0(VALU_DEP_2) | instskip(NEXT) | instid1(VALU_DEP_1)
	v_cndmask_b32_e32 v1, v1, v13, vcc_lo
	v_mul_f32_e32 v1, 0.5, v1
.LBB205_22:                             ;   in Loop: Header=BB205_5 Depth=1
	s_or_b32 exec_lo, exec_lo, s3
	s_delay_alu instid0(VALU_DEP_1)
	v_mov_b32_e32 v13, v1
.LBB205_23:                             ;   in Loop: Header=BB205_5 Depth=1
	s_or_b32 exec_lo, exec_lo, s2
	v_max_f32_e64 v1, |v3|, |v3|
	v_max_f32_e64 v24, |v4|, |v4|
	s_delay_alu instid0(VALU_DEP_1) | instskip(NEXT) | instid1(VALU_DEP_1)
	v_max_f32_e32 v15, v1, v24
	v_cvt_f64_f32_e32 v[25:26], v15
	s_delay_alu instid0(VALU_DEP_1) | instskip(NEXT) | instid1(VALU_DEP_1)
	v_frexp_exp_i32_f64_e32 v1, v[25:26]
	v_sub_nc_u32_e32 v25, 0, v1
	s_delay_alu instid0(VALU_DEP_1) | instskip(SKIP_1) | instid1(VALU_DEP_2)
	v_ldexp_f32 v26, |v4|, v25
	v_ldexp_f32 v25, |v3|, v25
	v_mul_f32_e32 v26, v26, v26
	v_cmp_eq_f32_e32 vcc_lo, 0x7f800000, v15
	s_delay_alu instid0(VALU_DEP_2) | instskip(NEXT) | instid1(VALU_DEP_1)
	v_fmac_f32_e32 v26, v25, v25
	v_sqrt_f32_e32 v25, v26
	s_waitcnt_depctr 0xfff
	v_ldexp_f32 v25, v25, v1
	v_add_f32_e32 v1, 1.0, v3
	s_delay_alu instid0(VALU_DEP_2) | instskip(NEXT) | instid1(VALU_DEP_2)
	v_cmp_ngt_f32_e64 s2, 0.5, v25
	v_max_f32_e64 v25, |v1|, v24
	s_delay_alu instid0(VALU_DEP_2) | instskip(NEXT) | instid1(SALU_CYCLE_1)
	s_or_b32 s2, vcc_lo, s2
	s_and_saveexec_b32 s3, s2
	s_delay_alu instid0(SALU_CYCLE_1)
	s_xor_b32 s3, exec_lo, s3
	s_cbranch_execz .LBB205_25
; %bb.24:                               ;   in Loop: Header=BB205_5 Depth=1
	v_cvt_f64_f32_e32 v[26:27], v25
	v_cmp_neq_f32_e32 vcc_lo, 0x7f800000, v25
	s_delay_alu instid0(VALU_DEP_2) | instskip(NEXT) | instid1(VALU_DEP_1)
	v_frexp_exp_i32_f64_e32 v15, v[26:27]
	v_sub_nc_u32_e32 v26, 0, v15
	s_delay_alu instid0(VALU_DEP_1) | instskip(SKIP_1) | instid1(VALU_DEP_2)
	v_ldexp_f32 v27, |v4|, v26
	v_ldexp_f32 v26, |v1|, v26
	v_mul_f32_e32 v27, v27, v27
	s_delay_alu instid0(VALU_DEP_1) | instskip(NEXT) | instid1(VALU_DEP_1)
	v_fmac_f32_e32 v27, v26, v26
	v_sqrt_f32_e32 v26, v27
	s_waitcnt_depctr 0xfff
	v_ldexp_f32 v15, v26, v15
	s_delay_alu instid0(VALU_DEP_1) | instskip(NEXT) | instid1(VALU_DEP_1)
	v_cndmask_b32_e32 v15, 0x7f800000, v15, vcc_lo
	v_cmp_gt_f32_e32 vcc_lo, 0x800000, v15
	v_cndmask_b32_e64 v26, 1.0, 0x4f800000, vcc_lo
	s_delay_alu instid0(VALU_DEP_1) | instskip(NEXT) | instid1(VALU_DEP_1)
	v_mul_f32_e32 v15, v15, v26
	v_log_f32_e32 v15, v15
	s_waitcnt_depctr 0xfff
	v_mul_f32_e32 v26, 0x3f317217, v15
	v_cmp_gt_f32_e64 s2, 0x7f800000, |v15|
	s_delay_alu instid0(VALU_DEP_2) | instskip(NEXT) | instid1(VALU_DEP_1)
	v_fma_f32 v27, 0x3f317217, v15, -v26
	v_fmac_f32_e32 v27, 0x3377d1cf, v15
	s_delay_alu instid0(VALU_DEP_1) | instskip(NEXT) | instid1(VALU_DEP_1)
	v_add_f32_e32 v26, v26, v27
	v_cndmask_b32_e64 v15, v15, v26, s2
	v_cndmask_b32_e64 v26, 0, 0x41b17218, vcc_lo
	s_delay_alu instid0(VALU_DEP_1)
	v_sub_f32_e32 v15, v15, v26
.LBB205_25:                             ;   in Loop: Header=BB205_5 Depth=1
	s_and_not1_saveexec_b32 s2, s3
	s_cbranch_execz .LBB205_4
; %bb.26:                               ;   in Loop: Header=BB205_5 Depth=1
	v_add_f32_e32 v15, 2.0, v3
	s_mov_b32 s3, exec_lo
	s_delay_alu instid0(VALU_DEP_1) | instskip(NEXT) | instid1(VALU_DEP_1)
	v_mul_f32_e32 v15, v3, v15
	v_fmac_f32_e32 v15, v4, v4
	s_delay_alu instid0(VALU_DEP_1)
	v_cmpx_neq_f32_e32 0, v15
	s_cbranch_execz .LBB205_3
; %bb.27:                               ;   in Loop: Header=BB205_5 Depth=1
	v_add_f32_e32 v3, 1.0, v15
	s_delay_alu instid0(VALU_DEP_1) | instskip(NEXT) | instid1(VALU_DEP_1)
	v_cvt_f64_f32_e32 v[26:27], v3
	v_frexp_exp_i32_f64_e32 v26, v[26:27]
	v_frexp_mant_f32_e32 v27, v3
	s_delay_alu instid0(VALU_DEP_1) | instskip(SKIP_1) | instid1(VALU_DEP_1)
	v_cmp_gt_f32_e32 vcc_lo, 0x3f2aaaab, v27
	v_add_f32_e32 v27, -1.0, v3
	v_sub_f32_e32 v29, v27, v3
	v_sub_f32_e32 v27, v15, v27
	v_subrev_co_ci_u32_e32 v26, vcc_lo, 0, v26, vcc_lo
	v_cmp_eq_f32_e32 vcc_lo, 0x7f800000, v15
	s_delay_alu instid0(VALU_DEP_2) | instskip(SKIP_1) | instid1(VALU_DEP_2)
	v_sub_nc_u32_e32 v28, 0, v26
	v_cvt_f32_i32_e32 v26, v26
	v_ldexp_f32 v3, v3, v28
	s_delay_alu instid0(VALU_DEP_1) | instskip(NEXT) | instid1(VALU_DEP_1)
	v_dual_add_f32 v29, 1.0, v29 :: v_dual_add_f32 v30, 1.0, v3
	v_add_f32_e32 v27, v27, v29
	s_delay_alu instid0(VALU_DEP_1) | instskip(NEXT) | instid1(VALU_DEP_3)
	v_ldexp_f32 v27, v27, v28
	v_dual_add_f32 v28, -1.0, v3 :: v_dual_add_f32 v29, -1.0, v30
	s_delay_alu instid0(VALU_DEP_1) | instskip(NEXT) | instid1(VALU_DEP_2)
	v_add_f32_e32 v31, 1.0, v28
	v_sub_f32_e32 v29, v3, v29
	s_delay_alu instid0(VALU_DEP_2) | instskip(NEXT) | instid1(VALU_DEP_1)
	v_sub_f32_e32 v3, v3, v31
	v_add_f32_e32 v3, v27, v3
	s_delay_alu instid0(VALU_DEP_1) | instskip(NEXT) | instid1(VALU_DEP_1)
	v_dual_add_f32 v32, v28, v3 :: v_dual_add_f32 v29, v27, v29
	v_dual_sub_f32 v28, v32, v28 :: v_dual_add_f32 v31, v30, v29
	s_delay_alu instid0(VALU_DEP_1) | instskip(NEXT) | instid1(VALU_DEP_2)
	v_sub_f32_e32 v3, v3, v28
	v_rcp_f32_e32 v27, v31
	v_sub_f32_e32 v30, v31, v30
	s_delay_alu instid0(VALU_DEP_1) | instskip(SKIP_2) | instid1(VALU_DEP_1)
	v_sub_f32_e32 v29, v29, v30
	s_waitcnt_depctr 0xfff
	v_mul_f32_e32 v33, v32, v27
	v_mul_f32_e32 v34, v31, v33
	s_delay_alu instid0(VALU_DEP_1) | instskip(NEXT) | instid1(VALU_DEP_1)
	v_fma_f32 v30, v33, v31, -v34
	v_fmac_f32_e32 v30, v33, v29
	s_delay_alu instid0(VALU_DEP_1) | instskip(NEXT) | instid1(VALU_DEP_1)
	v_add_f32_e32 v35, v34, v30
	v_sub_f32_e32 v36, v32, v35
	v_sub_f32_e32 v28, v35, v34
	s_delay_alu instid0(VALU_DEP_2) | instskip(NEXT) | instid1(VALU_DEP_2)
	v_sub_f32_e32 v32, v32, v36
	v_sub_f32_e32 v28, v28, v30
	s_delay_alu instid0(VALU_DEP_2) | instskip(NEXT) | instid1(VALU_DEP_1)
	v_sub_f32_e32 v32, v32, v35
	v_add_f32_e32 v3, v3, v32
	s_delay_alu instid0(VALU_DEP_1) | instskip(NEXT) | instid1(VALU_DEP_1)
	v_add_f32_e32 v3, v28, v3
	v_add_f32_e32 v28, v36, v3
	s_delay_alu instid0(VALU_DEP_1) | instskip(NEXT) | instid1(VALU_DEP_1)
	v_mul_f32_e32 v30, v27, v28
	v_dual_sub_f32 v35, v36, v28 :: v_dual_mul_f32 v32, v31, v30
	s_delay_alu instid0(VALU_DEP_1) | instskip(NEXT) | instid1(VALU_DEP_2)
	v_add_f32_e32 v3, v3, v35
	v_fma_f32 v31, v30, v31, -v32
	s_delay_alu instid0(VALU_DEP_1) | instskip(NEXT) | instid1(VALU_DEP_1)
	v_fmac_f32_e32 v31, v30, v29
	v_add_f32_e32 v29, v32, v31
	s_delay_alu instid0(VALU_DEP_1) | instskip(SKIP_1) | instid1(VALU_DEP_2)
	v_sub_f32_e32 v34, v28, v29
	v_sub_f32_e32 v32, v29, v32
	;; [unrolled: 1-line block ×3, first 2 shown]
	s_delay_alu instid0(VALU_DEP_1) | instskip(NEXT) | instid1(VALU_DEP_1)
	v_sub_f32_e32 v28, v28, v29
	v_dual_add_f32 v3, v3, v28 :: v_dual_add_f32 v28, v33, v30
	s_delay_alu instid0(VALU_DEP_4) | instskip(NEXT) | instid1(VALU_DEP_1)
	v_sub_f32_e32 v29, v32, v31
	v_add_f32_e32 v3, v29, v3
	s_delay_alu instid0(VALU_DEP_3) | instskip(NEXT) | instid1(VALU_DEP_2)
	v_sub_f32_e32 v29, v28, v33
	v_add_f32_e32 v3, v34, v3
	s_delay_alu instid0(VALU_DEP_2) | instskip(NEXT) | instid1(VALU_DEP_2)
	v_sub_f32_e32 v29, v30, v29
	v_mul_f32_e32 v3, v27, v3
	s_delay_alu instid0(VALU_DEP_1) | instskip(NEXT) | instid1(VALU_DEP_1)
	v_add_f32_e32 v3, v29, v3
	v_add_f32_e32 v27, v28, v3
	s_delay_alu instid0(VALU_DEP_1) | instskip(NEXT) | instid1(VALU_DEP_1)
	v_mul_f32_e32 v29, v27, v27
	v_fmaak_f32 v30, s20, v29, 0x3ecc95a3
	v_mul_f32_e32 v31, v27, v29
	s_delay_alu instid0(VALU_DEP_2) | instskip(SKIP_2) | instid1(VALU_DEP_3)
	v_fmaak_f32 v29, v29, v30, 0x3f2aaada
	v_ldexp_f32 v30, v27, 1
	v_sub_f32_e32 v27, v27, v28
	v_mul_f32_e32 v29, v31, v29
	v_mul_f32_e32 v31, 0x3f317218, v26
	s_delay_alu instid0(VALU_DEP_2) | instskip(NEXT) | instid1(VALU_DEP_1)
	v_dual_sub_f32 v3, v3, v27 :: v_dual_add_f32 v28, v30, v29
	v_ldexp_f32 v3, v3, 1
	s_delay_alu instid0(VALU_DEP_2) | instskip(NEXT) | instid1(VALU_DEP_4)
	v_sub_f32_e32 v27, v28, v30
	v_fma_f32 v30, 0x3f317218, v26, -v31
	s_delay_alu instid0(VALU_DEP_1) | instskip(NEXT) | instid1(VALU_DEP_1)
	v_dual_sub_f32 v27, v29, v27 :: v_dual_fmac_f32 v30, 0xb102e308, v26
	v_add_f32_e32 v3, v3, v27
	s_delay_alu instid0(VALU_DEP_1) | instskip(NEXT) | instid1(VALU_DEP_1)
	v_dual_add_f32 v26, v31, v30 :: v_dual_add_f32 v27, v28, v3
	v_sub_f32_e32 v31, v26, v31
	s_delay_alu instid0(VALU_DEP_2) | instskip(NEXT) | instid1(VALU_DEP_2)
	v_dual_add_f32 v29, v26, v27 :: v_dual_sub_f32 v28, v27, v28
	v_sub_f32_e32 v30, v30, v31
	s_delay_alu instid0(VALU_DEP_2) | instskip(NEXT) | instid1(VALU_DEP_1)
	v_dual_sub_f32 v32, v29, v26 :: v_dual_sub_f32 v3, v3, v28
	v_sub_f32_e32 v33, v29, v32
	s_delay_alu instid0(VALU_DEP_2) | instskip(NEXT) | instid1(VALU_DEP_2)
	v_dual_sub_f32 v27, v27, v32 :: v_dual_add_f32 v28, v30, v3
	v_sub_f32_e32 v26, v26, v33
	s_delay_alu instid0(VALU_DEP_1) | instskip(NEXT) | instid1(VALU_DEP_3)
	v_add_f32_e32 v26, v27, v26
	v_sub_f32_e32 v27, v28, v30
	s_delay_alu instid0(VALU_DEP_2) | instskip(NEXT) | instid1(VALU_DEP_2)
	v_add_f32_e32 v26, v28, v26
	v_sub_f32_e32 v28, v28, v27
	v_sub_f32_e32 v3, v3, v27
	s_delay_alu instid0(VALU_DEP_2) | instskip(NEXT) | instid1(VALU_DEP_1)
	v_dual_add_f32 v31, v29, v26 :: v_dual_sub_f32 v28, v30, v28
	v_sub_f32_e32 v27, v31, v29
	s_delay_alu instid0(VALU_DEP_1) | instskip(NEXT) | instid1(VALU_DEP_1)
	v_dual_add_f32 v3, v3, v28 :: v_dual_sub_f32 v26, v26, v27
	v_add_f32_e32 v3, v3, v26
	s_delay_alu instid0(VALU_DEP_1) | instskip(NEXT) | instid1(VALU_DEP_1)
	v_add_f32_e32 v3, v31, v3
	v_cndmask_b32_e32 v3, v3, v15, vcc_lo
	v_cmp_ngt_f32_e32 vcc_lo, -1.0, v15
	s_delay_alu instid0(VALU_DEP_2) | instskip(SKIP_1) | instid1(VALU_DEP_2)
	v_cndmask_b32_e32 v3, 0x7fc00000, v3, vcc_lo
	v_cmp_neq_f32_e32 vcc_lo, -1.0, v15
	v_cndmask_b32_e32 v3, 0xff800000, v3, vcc_lo
	v_cmp_gt_f32_e64 vcc_lo, 0x33800000, |v15|
	s_delay_alu instid0(VALU_DEP_2) | instskip(NEXT) | instid1(VALU_DEP_1)
	v_cndmask_b32_e32 v3, v3, v15, vcc_lo
	v_mul_f32_e32 v3, 0.5, v3
	s_branch .LBB205_3
.LBB205_28:
	s_or_b32 exec_lo, exec_lo, s16
	s_mov_b32 s2, 0
.LBB205_29:
	s_delay_alu instid0(SALU_CYCLE_1)
	s_and_not1_b32 vcc_lo, exec_lo, s2
	s_cbranch_vccnz .LBB205_73
; %bb.30:
	v_cmp_lt_i64_e64 s2, s[8:9], 1
	s_delay_alu instid0(VALU_DEP_1)
	s_and_b32 vcc_lo, exec_lo, s2
	s_cbranch_vccnz .LBB205_73
; %bb.31:
	s_load_b32 s0, s[0:1], 0xc5c
	v_dual_mov_b32 v1, 0 :: v_dual_mov_b32 v26, 0x4016cbe4
	v_lshl_or_b32 v2, v0, 3, 4
	v_cmp_gt_u64_e64 s1, 0x10000, s[8:9]
	s_mov_b32 s11, 0
	s_delay_alu instid0(VALU_DEP_3) | instskip(SKIP_2) | instid1(VALU_DEP_1)
	v_mov_b32_e32 v3, v1
	s_mov_b32 s20, 0x3b2d2a58
	v_add_co_u32 v10, s2, s4, v2
	v_add_co_ci_u32_e64 v11, null, s5, 0, s2
	v_add_co_u32 v12, s2, s12, v2
	s_delay_alu instid0(VALU_DEP_1)
	v_add_co_ci_u32_e64 v13, null, s13, 0, s2
	s_waitcnt lgkmcnt(0)
	s_and_b32 s16, s0, 0xffff
	s_and_b32 s0, s1, exec_lo
	v_add_lshl_u32 v6, v0, s16, 3
	v_mad_u64_u32 v[4:5], null, s16, 24, v[2:3]
	s_cselect_b32 s15, s9, 0
	s_cselect_b32 s14, s8, 0x10000
	s_delay_alu instid0(VALU_DEP_2) | instskip(NEXT) | instid1(VALU_DEP_1)
	v_add_co_u32 v14, s0, s12, v6
	v_add_co_ci_u32_e64 v15, null, s13, 0, s0
	v_add_co_u32 v18, s0, s4, v6
	s_delay_alu instid0(VALU_DEP_1)
	v_add_co_ci_u32_e64 v19, null, s5, 0, s0
	s_lshl_b32 s0, s16, 4
	v_add_co_u32 v16, vcc_lo, s4, v4
	v_add_co_u32 v2, s0, v2, s0
	v_add_co_ci_u32_e32 v17, vcc_lo, s5, v5, vcc_lo
	v_add_co_ci_u32_e64 v3, null, 0, 0, s0
	v_add_co_u32 v20, vcc_lo, s12, v4
	v_add_co_ci_u32_e32 v21, vcc_lo, s13, v5, vcc_lo
	v_add_co_u32 v22, vcc_lo, s4, v2
	s_delay_alu instid0(VALU_DEP_4)
	v_add_co_ci_u32_e32 v23, vcc_lo, s5, v3, vcc_lo
	v_add_co_u32 v24, vcc_lo, s12, v2
	v_add_co_ci_u32_e32 v25, vcc_lo, s13, v3, vcc_lo
	s_lshl_b32 s10, s16, 2
	s_lshl_b32 s17, s16, 1
	s_mul_i32 s18, s16, 3
	s_lshl_b32 s19, s16, 5
	s_mov_b32 s5, 0x3e9b6dac
	s_mov_b64 s[12:13], s[10:11]
	s_branch .LBB205_33
.LBB205_32:                             ;   in Loop: Header=BB205_33 Depth=1
	s_or_b32 exec_lo, exec_lo, s1
	v_add_co_u32 v0, vcc_lo, v0, s10
	v_add_co_ci_u32_e32 v1, vcc_lo, 0, v1, vcc_lo
	v_add_co_u32 v10, vcc_lo, v10, s19
	v_add_co_ci_u32_e32 v11, vcc_lo, 0, v11, vcc_lo
	;; [unrolled: 2-line block ×7, first 2 shown]
	v_cmp_ge_i64_e64 s0, s[12:13], s[8:9]
	v_cmp_lt_u64_e64 s1, 0xffff, s[12:13]
	v_add_co_u32 v22, vcc_lo, v22, s19
	v_add_co_ci_u32_e32 v23, vcc_lo, 0, v23, vcc_lo
	v_add_co_u32 v24, vcc_lo, v24, s19
	v_add_co_ci_u32_e32 v25, vcc_lo, 0, v25, vcc_lo
	s_or_b32 s0, s0, s1
	s_add_u32 s12, s12, s10
	s_addc_u32 s13, s13, 0
	s_and_b32 vcc_lo, exec_lo, s0
	s_cbranch_vccnz .LBB205_73
.LBB205_33:                             ; =>This Inner Loop Header: Depth=1
	v_cmp_gt_u64_e64 s2, s[14:15], v[0:1]
	v_dual_mov_b32 v9, 0 :: v_dual_mov_b32 v8, 0
	s_delay_alu instid0(VALU_DEP_2)
	s_and_saveexec_b32 s0, s2
	s_cbranch_execz .LBB205_35
; %bb.34:                               ;   in Loop: Header=BB205_33 Depth=1
	v_add_co_u32 v2, vcc_lo, v10, s6
	v_add_co_ci_u32_e32 v3, vcc_lo, s7, v11, vcc_lo
	global_load_b64 v[8:9], v[2:3], off offset:-4
.LBB205_35:                             ;   in Loop: Header=BB205_33 Depth=1
	s_or_b32 exec_lo, exec_lo, s0
	v_add_co_u32 v2, vcc_lo, s16, v0
	v_add_co_ci_u32_e32 v3, vcc_lo, 0, v1, vcc_lo
	v_dual_mov_b32 v5, 0 :: v_dual_mov_b32 v6, 0
	v_mov_b32_e32 v7, 0
	s_delay_alu instid0(VALU_DEP_3) | instskip(NEXT) | instid1(VALU_DEP_1)
	v_cmp_gt_u64_e64 s1, s[14:15], v[2:3]
	s_and_saveexec_b32 s0, s1
	s_cbranch_execz .LBB205_37
; %bb.36:                               ;   in Loop: Header=BB205_33 Depth=1
	v_add_co_u32 v2, vcc_lo, v18, s6
	v_add_co_ci_u32_e32 v3, vcc_lo, s7, v19, vcc_lo
	global_load_b64 v[6:7], v[2:3], off
.LBB205_37:                             ;   in Loop: Header=BB205_33 Depth=1
	s_or_b32 exec_lo, exec_lo, s0
	v_add_co_u32 v2, vcc_lo, s17, v0
	v_add_co_ci_u32_e32 v3, vcc_lo, 0, v1, vcc_lo
	v_mov_b32_e32 v4, 0
	s_delay_alu instid0(VALU_DEP_2) | instskip(NEXT) | instid1(VALU_DEP_1)
	v_cmp_gt_u64_e64 s0, s[14:15], v[2:3]
	s_and_saveexec_b32 s3, s0
	s_cbranch_execz .LBB205_39
; %bb.38:                               ;   in Loop: Header=BB205_33 Depth=1
	v_add_co_u32 v2, vcc_lo, v22, s6
	v_add_co_ci_u32_e32 v3, vcc_lo, s7, v23, vcc_lo
	global_load_b64 v[4:5], v[2:3], off offset:-4
.LBB205_39:                             ;   in Loop: Header=BB205_33 Depth=1
	s_or_b32 exec_lo, exec_lo, s3
	v_add_co_u32 v2, vcc_lo, s18, v0
	v_add_co_ci_u32_e32 v3, vcc_lo, 0, v1, vcc_lo
	s_delay_alu instid0(VALU_DEP_1)
	v_cmp_gt_u64_e32 vcc_lo, s[14:15], v[2:3]
	v_dual_mov_b32 v3, 0 :: v_dual_mov_b32 v2, 0
	s_and_saveexec_b32 s4, vcc_lo
	s_cbranch_execz .LBB205_41
; %bb.40:                               ;   in Loop: Header=BB205_33 Depth=1
	v_add_co_u32 v2, s3, v16, s6
	s_delay_alu instid0(VALU_DEP_1)
	v_add_co_ci_u32_e64 v3, s3, s7, v17, s3
	global_load_b64 v[2:3], v[2:3], off offset:-4
.LBB205_41:                             ;   in Loop: Header=BB205_33 Depth=1
	s_or_b32 exec_lo, exec_lo, s4
	s_waitcnt vmcnt(0)
	v_max_f32_e64 v27, |v8|, |v8|
	v_max_f32_e64 v28, |v9|, |v9|
	s_delay_alu instid0(VALU_DEP_1) | instskip(NEXT) | instid1(VALU_DEP_1)
	v_max_f32_e32 v31, v27, v28
	v_cvt_f64_f32_e32 v[29:30], v31
	s_delay_alu instid0(VALU_DEP_1) | instskip(NEXT) | instid1(VALU_DEP_1)
	v_frexp_exp_i32_f64_e32 v27, v[29:30]
	v_sub_nc_u32_e32 v29, 0, v27
	s_delay_alu instid0(VALU_DEP_1) | instskip(SKIP_1) | instid1(VALU_DEP_2)
	v_ldexp_f32 v30, |v9|, v29
	v_ldexp_f32 v29, |v8|, v29
	v_mul_f32_e32 v30, v30, v30
	v_cmp_eq_f32_e64 s3, 0x7f800000, v31
	s_delay_alu instid0(VALU_DEP_2) | instskip(NEXT) | instid1(VALU_DEP_1)
	v_fmac_f32_e32 v30, v29, v29
	v_sqrt_f32_e32 v29, v30
	s_waitcnt_depctr 0xfff
	v_ldexp_f32 v29, v29, v27
	v_add_f32_e32 v27, 1.0, v8
	s_delay_alu instid0(VALU_DEP_2) | instskip(NEXT) | instid1(VALU_DEP_2)
	v_cmp_ngt_f32_e64 s4, 0.5, v29
	v_max_f32_e64 v29, |v27|, v28
	s_delay_alu instid0(VALU_DEP_2) | instskip(NEXT) | instid1(SALU_CYCLE_1)
	s_or_b32 s3, s3, s4
	s_and_saveexec_b32 s4, s3
	s_delay_alu instid0(SALU_CYCLE_1)
	s_xor_b32 s11, exec_lo, s4
	s_cbranch_execz .LBB205_43
; %bb.42:                               ;   in Loop: Header=BB205_33 Depth=1
	v_cvt_f64_f32_e32 v[30:31], v29
	v_cmp_neq_f32_e64 s3, 0x7f800000, v29
	s_delay_alu instid0(VALU_DEP_2) | instskip(NEXT) | instid1(VALU_DEP_1)
	v_frexp_exp_i32_f64_e32 v8, v[30:31]
	v_sub_nc_u32_e32 v30, 0, v8
	s_delay_alu instid0(VALU_DEP_1) | instskip(SKIP_1) | instid1(VALU_DEP_2)
	v_ldexp_f32 v31, |v9|, v30
	v_ldexp_f32 v30, |v27|, v30
	v_mul_f32_e32 v31, v31, v31
	s_delay_alu instid0(VALU_DEP_1) | instskip(NEXT) | instid1(VALU_DEP_1)
	v_fmac_f32_e32 v31, v30, v30
	v_sqrt_f32_e32 v30, v31
	s_waitcnt_depctr 0xfff
	v_ldexp_f32 v8, v30, v8
	s_delay_alu instid0(VALU_DEP_1) | instskip(NEXT) | instid1(VALU_DEP_1)
	v_cndmask_b32_e64 v8, 0x7f800000, v8, s3
	v_cmp_gt_f32_e64 s3, 0x800000, v8
	s_delay_alu instid0(VALU_DEP_1) | instskip(NEXT) | instid1(VALU_DEP_1)
	v_cndmask_b32_e64 v30, 1.0, 0x4f800000, s3
	v_mul_f32_e32 v8, v8, v30
	s_delay_alu instid0(VALU_DEP_1) | instskip(SKIP_3) | instid1(VALU_DEP_2)
	v_log_f32_e32 v8, v8
	s_waitcnt_depctr 0xfff
	v_mul_f32_e32 v30, 0x3f317217, v8
	v_cmp_gt_f32_e64 s4, 0x7f800000, |v8|
	v_fma_f32 v31, 0x3f317217, v8, -v30
	s_delay_alu instid0(VALU_DEP_1) | instskip(NEXT) | instid1(VALU_DEP_1)
	v_fmac_f32_e32 v31, 0x3377d1cf, v8
	v_add_f32_e32 v30, v30, v31
	s_delay_alu instid0(VALU_DEP_1) | instskip(SKIP_1) | instid1(VALU_DEP_1)
	v_cndmask_b32_e64 v8, v8, v30, s4
	v_cndmask_b32_e64 v30, 0, 0x41b17218, s3
	v_sub_f32_e32 v8, v8, v30
.LBB205_43:                             ;   in Loop: Header=BB205_33 Depth=1
	s_and_not1_saveexec_b32 s4, s11
	s_cbranch_execz .LBB205_47
; %bb.44:                               ;   in Loop: Header=BB205_33 Depth=1
	s_delay_alu instid0(VALU_DEP_1) | instskip(SKIP_1) | instid1(VALU_DEP_1)
	v_add_f32_e32 v30, 2.0, v8
	s_mov_b32 s11, exec_lo
	v_mul_f32_e32 v30, v8, v30
	s_delay_alu instid0(VALU_DEP_1) | instskip(NEXT) | instid1(VALU_DEP_1)
	v_fmac_f32_e32 v30, v9, v9
	v_cmpx_neq_f32_e32 0, v30
	s_cbranch_execz .LBB205_46
; %bb.45:                               ;   in Loop: Header=BB205_33 Depth=1
	v_add_f32_e32 v8, 1.0, v30
	s_delay_alu instid0(VALU_DEP_1) | instskip(NEXT) | instid1(VALU_DEP_1)
	v_cvt_f64_f32_e32 v[31:32], v8
	v_frexp_exp_i32_f64_e32 v31, v[31:32]
	v_frexp_mant_f32_e32 v32, v8
	s_delay_alu instid0(VALU_DEP_1) | instskip(SKIP_1) | instid1(VALU_DEP_1)
	v_cmp_gt_f32_e64 s3, 0x3f2aaaab, v32
	v_add_f32_e32 v32, -1.0, v8
	v_sub_f32_e32 v34, v32, v8
	v_sub_f32_e32 v32, v30, v32
	s_delay_alu instid0(VALU_DEP_4) | instskip(SKIP_1) | instid1(VALU_DEP_2)
	v_subrev_co_ci_u32_e64 v31, s3, 0, v31, s3
	v_cmp_eq_f32_e64 s3, 0x7f800000, v30
	v_sub_nc_u32_e32 v33, 0, v31
	v_cvt_f32_i32_e32 v31, v31
	s_delay_alu instid0(VALU_DEP_2) | instskip(NEXT) | instid1(VALU_DEP_1)
	v_ldexp_f32 v8, v8, v33
	v_dual_add_f32 v34, 1.0, v34 :: v_dual_add_f32 v35, 1.0, v8
	s_delay_alu instid0(VALU_DEP_1) | instskip(NEXT) | instid1(VALU_DEP_1)
	v_add_f32_e32 v32, v32, v34
	v_ldexp_f32 v32, v32, v33
	s_delay_alu instid0(VALU_DEP_3) | instskip(NEXT) | instid1(VALU_DEP_1)
	v_dual_add_f32 v33, -1.0, v8 :: v_dual_add_f32 v34, -1.0, v35
	v_add_f32_e32 v36, 1.0, v33
	s_delay_alu instid0(VALU_DEP_2) | instskip(NEXT) | instid1(VALU_DEP_2)
	v_sub_f32_e32 v34, v8, v34
	v_sub_f32_e32 v8, v8, v36
	s_delay_alu instid0(VALU_DEP_2) | instskip(NEXT) | instid1(VALU_DEP_2)
	v_add_f32_e32 v34, v32, v34
	v_add_f32_e32 v8, v32, v8
	s_delay_alu instid0(VALU_DEP_1) | instskip(NEXT) | instid1(VALU_DEP_1)
	v_dual_add_f32 v36, v35, v34 :: v_dual_add_f32 v37, v33, v8
	v_rcp_f32_e32 v32, v36
	v_sub_f32_e32 v35, v36, v35
	s_delay_alu instid0(VALU_DEP_1) | instskip(NEXT) | instid1(VALU_DEP_1)
	v_dual_sub_f32 v33, v37, v33 :: v_dual_sub_f32 v34, v34, v35
	v_sub_f32_e32 v8, v8, v33
	s_waitcnt_depctr 0xfff
	v_mul_f32_e32 v38, v37, v32
	s_delay_alu instid0(VALU_DEP_1) | instskip(NEXT) | instid1(VALU_DEP_1)
	v_mul_f32_e32 v39, v36, v38
	v_fma_f32 v35, v38, v36, -v39
	s_delay_alu instid0(VALU_DEP_1) | instskip(NEXT) | instid1(VALU_DEP_1)
	v_fmac_f32_e32 v35, v38, v34
	v_add_f32_e32 v40, v39, v35
	s_delay_alu instid0(VALU_DEP_1) | instskip(SKIP_1) | instid1(VALU_DEP_2)
	v_sub_f32_e32 v41, v37, v40
	v_sub_f32_e32 v33, v40, v39
	;; [unrolled: 1-line block ×3, first 2 shown]
	s_delay_alu instid0(VALU_DEP_2) | instskip(NEXT) | instid1(VALU_DEP_2)
	v_sub_f32_e32 v33, v33, v35
	v_sub_f32_e32 v37, v37, v40
	s_delay_alu instid0(VALU_DEP_1) | instskip(NEXT) | instid1(VALU_DEP_1)
	v_add_f32_e32 v8, v8, v37
	v_add_f32_e32 v8, v33, v8
	s_delay_alu instid0(VALU_DEP_1) | instskip(NEXT) | instid1(VALU_DEP_1)
	v_add_f32_e32 v33, v41, v8
	v_mul_f32_e32 v35, v32, v33
	s_delay_alu instid0(VALU_DEP_1) | instskip(NEXT) | instid1(VALU_DEP_1)
	v_dual_sub_f32 v40, v41, v33 :: v_dual_mul_f32 v37, v36, v35
	v_add_f32_e32 v8, v8, v40
	s_delay_alu instid0(VALU_DEP_2) | instskip(NEXT) | instid1(VALU_DEP_1)
	v_fma_f32 v36, v35, v36, -v37
	v_fmac_f32_e32 v36, v35, v34
	s_delay_alu instid0(VALU_DEP_1) | instskip(NEXT) | instid1(VALU_DEP_1)
	v_add_f32_e32 v34, v37, v36
	v_sub_f32_e32 v39, v33, v34
	v_sub_f32_e32 v37, v34, v37
	s_delay_alu instid0(VALU_DEP_2) | instskip(NEXT) | instid1(VALU_DEP_1)
	v_sub_f32_e32 v33, v33, v39
	v_sub_f32_e32 v33, v33, v34
	s_delay_alu instid0(VALU_DEP_1) | instskip(NEXT) | instid1(VALU_DEP_4)
	v_dual_add_f32 v8, v8, v33 :: v_dual_add_f32 v33, v38, v35
	v_sub_f32_e32 v34, v37, v36
	s_delay_alu instid0(VALU_DEP_1) | instskip(NEXT) | instid1(VALU_DEP_3)
	v_add_f32_e32 v8, v34, v8
	v_sub_f32_e32 v34, v33, v38
	s_delay_alu instid0(VALU_DEP_2) | instskip(NEXT) | instid1(VALU_DEP_2)
	v_add_f32_e32 v8, v39, v8
	v_sub_f32_e32 v34, v35, v34
	s_delay_alu instid0(VALU_DEP_2) | instskip(NEXT) | instid1(VALU_DEP_1)
	v_mul_f32_e32 v8, v32, v8
	v_add_f32_e32 v8, v34, v8
	s_delay_alu instid0(VALU_DEP_1) | instskip(NEXT) | instid1(VALU_DEP_1)
	v_add_f32_e32 v32, v33, v8
	v_mul_f32_e32 v34, v32, v32
	s_delay_alu instid0(VALU_DEP_1) | instskip(SKIP_1) | instid1(VALU_DEP_2)
	v_fmaak_f32 v35, s5, v34, 0x3ecc95a3
	v_mul_f32_e32 v36, v32, v34
	v_fmaak_f32 v34, v34, v35, 0x3f2aaada
	v_ldexp_f32 v35, v32, 1
	v_sub_f32_e32 v32, v32, v33
	s_delay_alu instid0(VALU_DEP_3) | instskip(SKIP_1) | instid1(VALU_DEP_2)
	v_mul_f32_e32 v34, v36, v34
	v_mul_f32_e32 v36, 0x3f317218, v31
	v_dual_sub_f32 v8, v8, v32 :: v_dual_add_f32 v33, v35, v34
	s_delay_alu instid0(VALU_DEP_1) | instskip(NEXT) | instid1(VALU_DEP_2)
	v_ldexp_f32 v8, v8, 1
	v_sub_f32_e32 v32, v33, v35
	s_delay_alu instid0(VALU_DEP_4) | instskip(NEXT) | instid1(VALU_DEP_1)
	v_fma_f32 v35, 0x3f317218, v31, -v36
	v_dual_sub_f32 v32, v34, v32 :: v_dual_fmac_f32 v35, 0xb102e308, v31
	s_delay_alu instid0(VALU_DEP_1) | instskip(NEXT) | instid1(VALU_DEP_1)
	v_add_f32_e32 v8, v8, v32
	v_dual_add_f32 v31, v36, v35 :: v_dual_add_f32 v32, v33, v8
	s_delay_alu instid0(VALU_DEP_1) | instskip(NEXT) | instid1(VALU_DEP_2)
	v_sub_f32_e32 v36, v31, v36
	v_dual_add_f32 v34, v31, v32 :: v_dual_sub_f32 v33, v32, v33
	s_delay_alu instid0(VALU_DEP_2) | instskip(NEXT) | instid1(VALU_DEP_2)
	v_sub_f32_e32 v35, v35, v36
	v_dual_sub_f32 v37, v34, v31 :: v_dual_sub_f32 v8, v8, v33
	s_delay_alu instid0(VALU_DEP_1) | instskip(NEXT) | instid1(VALU_DEP_2)
	v_sub_f32_e32 v38, v34, v37
	v_dual_sub_f32 v32, v32, v37 :: v_dual_add_f32 v33, v35, v8
	s_delay_alu instid0(VALU_DEP_2) | instskip(NEXT) | instid1(VALU_DEP_1)
	v_sub_f32_e32 v31, v31, v38
	v_add_f32_e32 v31, v32, v31
	s_delay_alu instid0(VALU_DEP_3) | instskip(NEXT) | instid1(VALU_DEP_2)
	v_sub_f32_e32 v32, v33, v35
	v_add_f32_e32 v31, v33, v31
	s_delay_alu instid0(VALU_DEP_2) | instskip(SKIP_1) | instid1(VALU_DEP_2)
	v_sub_f32_e32 v33, v33, v32
	v_sub_f32_e32 v8, v8, v32
	v_dual_add_f32 v36, v34, v31 :: v_dual_sub_f32 v33, v35, v33
	s_delay_alu instid0(VALU_DEP_1) | instskip(NEXT) | instid1(VALU_DEP_1)
	v_sub_f32_e32 v32, v36, v34
	v_dual_add_f32 v8, v8, v33 :: v_dual_sub_f32 v31, v31, v32
	s_delay_alu instid0(VALU_DEP_1) | instskip(NEXT) | instid1(VALU_DEP_1)
	v_add_f32_e32 v8, v8, v31
	v_add_f32_e32 v8, v36, v8
	s_delay_alu instid0(VALU_DEP_1) | instskip(SKIP_1) | instid1(VALU_DEP_1)
	v_cndmask_b32_e64 v8, v8, v30, s3
	v_cmp_ngt_f32_e64 s3, -1.0, v30
	v_cndmask_b32_e64 v8, 0x7fc00000, v8, s3
	v_cmp_neq_f32_e64 s3, -1.0, v30
	s_delay_alu instid0(VALU_DEP_1) | instskip(SKIP_1) | instid1(VALU_DEP_1)
	v_cndmask_b32_e64 v8, 0xff800000, v8, s3
	v_cmp_gt_f32_e64 s3, 0x33800000, |v30|
	v_cndmask_b32_e64 v8, v8, v30, s3
	s_delay_alu instid0(VALU_DEP_1)
	v_mul_f32_e32 v8, 0.5, v8
.LBB205_46:                             ;   in Loop: Header=BB205_33 Depth=1
	s_or_b32 exec_lo, exec_lo, s11
.LBB205_47:                             ;   in Loop: Header=BB205_33 Depth=1
	s_delay_alu instid0(SALU_CYCLE_1) | instskip(SKIP_2) | instid1(VALU_DEP_1)
	s_or_b32 exec_lo, exec_lo, s4
	v_max_f32_e64 v30, |v6|, |v6|
	v_max_f32_e64 v31, |v7|, |v7|
	v_max_f32_e32 v34, v30, v31
	s_delay_alu instid0(VALU_DEP_1) | instskip(NEXT) | instid1(VALU_DEP_1)
	v_cvt_f64_f32_e32 v[32:33], v34
	v_frexp_exp_i32_f64_e32 v30, v[32:33]
	s_delay_alu instid0(VALU_DEP_1) | instskip(NEXT) | instid1(VALU_DEP_1)
	v_sub_nc_u32_e32 v32, 0, v30
	v_ldexp_f32 v33, |v7|, v32
	v_ldexp_f32 v32, |v6|, v32
	s_delay_alu instid0(VALU_DEP_2) | instskip(SKIP_1) | instid1(VALU_DEP_2)
	v_mul_f32_e32 v33, v33, v33
	v_cmp_eq_f32_e64 s3, 0x7f800000, v34
	v_fmac_f32_e32 v33, v32, v32
	s_delay_alu instid0(VALU_DEP_1) | instskip(SKIP_3) | instid1(VALU_DEP_2)
	v_sqrt_f32_e32 v32, v33
	s_waitcnt_depctr 0xfff
	v_ldexp_f32 v32, v32, v30
	v_add_f32_e32 v30, 1.0, v6
	v_cmp_ngt_f32_e64 s4, 0.5, v32
	s_delay_alu instid0(VALU_DEP_2) | instskip(NEXT) | instid1(VALU_DEP_2)
	v_max_f32_e64 v32, |v30|, v31
	s_or_b32 s3, s3, s4
	s_delay_alu instid0(SALU_CYCLE_1) | instskip(NEXT) | instid1(SALU_CYCLE_1)
	s_and_saveexec_b32 s4, s3
	s_xor_b32 s11, exec_lo, s4
	s_cbranch_execz .LBB205_49
; %bb.48:                               ;   in Loop: Header=BB205_33 Depth=1
	v_cvt_f64_f32_e32 v[33:34], v32
	v_cmp_neq_f32_e64 s3, 0x7f800000, v32
	s_delay_alu instid0(VALU_DEP_2) | instskip(NEXT) | instid1(VALU_DEP_1)
	v_frexp_exp_i32_f64_e32 v6, v[33:34]
	v_sub_nc_u32_e32 v33, 0, v6
	s_delay_alu instid0(VALU_DEP_1) | instskip(SKIP_1) | instid1(VALU_DEP_2)
	v_ldexp_f32 v34, |v7|, v33
	v_ldexp_f32 v33, |v30|, v33
	v_mul_f32_e32 v34, v34, v34
	s_delay_alu instid0(VALU_DEP_1) | instskip(NEXT) | instid1(VALU_DEP_1)
	v_fmac_f32_e32 v34, v33, v33
	v_sqrt_f32_e32 v33, v34
	s_waitcnt_depctr 0xfff
	v_ldexp_f32 v6, v33, v6
	s_delay_alu instid0(VALU_DEP_1) | instskip(NEXT) | instid1(VALU_DEP_1)
	v_cndmask_b32_e64 v6, 0x7f800000, v6, s3
	v_cmp_gt_f32_e64 s3, 0x800000, v6
	s_delay_alu instid0(VALU_DEP_1) | instskip(NEXT) | instid1(VALU_DEP_1)
	v_cndmask_b32_e64 v33, 1.0, 0x4f800000, s3
	v_mul_f32_e32 v6, v6, v33
	s_delay_alu instid0(VALU_DEP_1) | instskip(SKIP_3) | instid1(VALU_DEP_2)
	v_log_f32_e32 v6, v6
	s_waitcnt_depctr 0xfff
	v_mul_f32_e32 v33, 0x3f317217, v6
	v_cmp_gt_f32_e64 s4, 0x7f800000, |v6|
	v_fma_f32 v34, 0x3f317217, v6, -v33
	s_delay_alu instid0(VALU_DEP_1) | instskip(NEXT) | instid1(VALU_DEP_1)
	v_fmac_f32_e32 v34, 0x3377d1cf, v6
	v_add_f32_e32 v33, v33, v34
	s_delay_alu instid0(VALU_DEP_1) | instskip(SKIP_1) | instid1(VALU_DEP_1)
	v_cndmask_b32_e64 v6, v6, v33, s4
	v_cndmask_b32_e64 v33, 0, 0x41b17218, s3
	v_sub_f32_e32 v6, v6, v33
.LBB205_49:                             ;   in Loop: Header=BB205_33 Depth=1
	s_and_not1_saveexec_b32 s4, s11
	s_cbranch_execz .LBB205_53
; %bb.50:                               ;   in Loop: Header=BB205_33 Depth=1
	s_delay_alu instid0(VALU_DEP_1) | instskip(SKIP_1) | instid1(VALU_DEP_1)
	v_add_f32_e32 v33, 2.0, v6
	s_mov_b32 s11, exec_lo
	v_mul_f32_e32 v33, v6, v33
	s_delay_alu instid0(VALU_DEP_1) | instskip(NEXT) | instid1(VALU_DEP_1)
	v_fmac_f32_e32 v33, v7, v7
	v_cmpx_neq_f32_e32 0, v33
	s_cbranch_execz .LBB205_52
; %bb.51:                               ;   in Loop: Header=BB205_33 Depth=1
	v_add_f32_e32 v6, 1.0, v33
	s_delay_alu instid0(VALU_DEP_1) | instskip(NEXT) | instid1(VALU_DEP_1)
	v_cvt_f64_f32_e32 v[34:35], v6
	v_frexp_exp_i32_f64_e32 v34, v[34:35]
	v_frexp_mant_f32_e32 v35, v6
	s_delay_alu instid0(VALU_DEP_1) | instskip(SKIP_1) | instid1(VALU_DEP_1)
	v_cmp_gt_f32_e64 s3, 0x3f2aaaab, v35
	v_add_f32_e32 v35, -1.0, v6
	v_sub_f32_e32 v37, v35, v6
	v_sub_f32_e32 v35, v33, v35
	s_delay_alu instid0(VALU_DEP_4) | instskip(SKIP_1) | instid1(VALU_DEP_2)
	v_subrev_co_ci_u32_e64 v34, s3, 0, v34, s3
	v_cmp_eq_f32_e64 s3, 0x7f800000, v33
	v_sub_nc_u32_e32 v36, 0, v34
	v_cvt_f32_i32_e32 v34, v34
	s_delay_alu instid0(VALU_DEP_2) | instskip(NEXT) | instid1(VALU_DEP_1)
	v_ldexp_f32 v6, v6, v36
	v_dual_add_f32 v37, 1.0, v37 :: v_dual_add_f32 v38, 1.0, v6
	s_delay_alu instid0(VALU_DEP_1) | instskip(NEXT) | instid1(VALU_DEP_2)
	v_add_f32_e32 v35, v35, v37
	v_add_f32_e32 v37, -1.0, v38
	s_delay_alu instid0(VALU_DEP_2) | instskip(NEXT) | instid1(VALU_DEP_2)
	v_ldexp_f32 v35, v35, v36
	v_dual_add_f32 v36, -1.0, v6 :: v_dual_sub_f32 v37, v6, v37
	s_delay_alu instid0(VALU_DEP_1) | instskip(NEXT) | instid1(VALU_DEP_1)
	v_add_f32_e32 v39, 1.0, v36
	v_sub_f32_e32 v6, v6, v39
	s_delay_alu instid0(VALU_DEP_1) | instskip(NEXT) | instid1(VALU_DEP_1)
	v_add_f32_e32 v6, v35, v6
	v_dual_add_f32 v40, v36, v6 :: v_dual_add_f32 v37, v35, v37
	s_delay_alu instid0(VALU_DEP_1) | instskip(NEXT) | instid1(VALU_DEP_1)
	v_dual_sub_f32 v36, v40, v36 :: v_dual_add_f32 v39, v38, v37
	v_sub_f32_e32 v6, v6, v36
	s_delay_alu instid0(VALU_DEP_2) | instskip(SKIP_1) | instid1(VALU_DEP_1)
	v_rcp_f32_e32 v35, v39
	v_sub_f32_e32 v38, v39, v38
	v_sub_f32_e32 v37, v37, v38
	s_waitcnt_depctr 0xfff
	v_mul_f32_e32 v41, v40, v35
	s_delay_alu instid0(VALU_DEP_1) | instskip(NEXT) | instid1(VALU_DEP_1)
	v_mul_f32_e32 v42, v39, v41
	v_fma_f32 v38, v41, v39, -v42
	s_delay_alu instid0(VALU_DEP_1) | instskip(NEXT) | instid1(VALU_DEP_1)
	v_fmac_f32_e32 v38, v41, v37
	v_add_f32_e32 v43, v42, v38
	s_delay_alu instid0(VALU_DEP_1) | instskip(SKIP_1) | instid1(VALU_DEP_2)
	v_sub_f32_e32 v44, v40, v43
	v_sub_f32_e32 v36, v43, v42
	;; [unrolled: 1-line block ×3, first 2 shown]
	s_delay_alu instid0(VALU_DEP_2) | instskip(NEXT) | instid1(VALU_DEP_2)
	v_sub_f32_e32 v36, v36, v38
	v_sub_f32_e32 v40, v40, v43
	s_delay_alu instid0(VALU_DEP_1) | instskip(NEXT) | instid1(VALU_DEP_1)
	v_add_f32_e32 v6, v6, v40
	v_add_f32_e32 v6, v36, v6
	s_delay_alu instid0(VALU_DEP_1) | instskip(NEXT) | instid1(VALU_DEP_1)
	v_add_f32_e32 v36, v44, v6
	v_mul_f32_e32 v38, v35, v36
	s_delay_alu instid0(VALU_DEP_1) | instskip(NEXT) | instid1(VALU_DEP_1)
	v_dual_sub_f32 v43, v44, v36 :: v_dual_mul_f32 v40, v39, v38
	v_add_f32_e32 v6, v6, v43
	s_delay_alu instid0(VALU_DEP_2) | instskip(NEXT) | instid1(VALU_DEP_1)
	v_fma_f32 v39, v38, v39, -v40
	v_fmac_f32_e32 v39, v38, v37
	s_delay_alu instid0(VALU_DEP_1) | instskip(NEXT) | instid1(VALU_DEP_1)
	v_add_f32_e32 v37, v40, v39
	v_sub_f32_e32 v42, v36, v37
	s_delay_alu instid0(VALU_DEP_1) | instskip(NEXT) | instid1(VALU_DEP_1)
	v_sub_f32_e32 v36, v36, v42
	v_sub_f32_e32 v36, v36, v37
	s_delay_alu instid0(VALU_DEP_1) | instskip(SKIP_2) | instid1(VALU_DEP_1)
	v_add_f32_e32 v6, v6, v36
	v_add_f32_e32 v36, v41, v38
	v_sub_f32_e32 v40, v37, v40
	v_sub_f32_e32 v37, v40, v39
	s_delay_alu instid0(VALU_DEP_1) | instskip(NEXT) | instid1(VALU_DEP_1)
	v_dual_add_f32 v6, v37, v6 :: v_dual_sub_f32 v37, v36, v41
	v_add_f32_e32 v6, v42, v6
	s_delay_alu instid0(VALU_DEP_1) | instskip(NEXT) | instid1(VALU_DEP_1)
	v_dual_sub_f32 v37, v38, v37 :: v_dual_mul_f32 v6, v35, v6
	v_add_f32_e32 v6, v37, v6
	s_delay_alu instid0(VALU_DEP_1) | instskip(NEXT) | instid1(VALU_DEP_1)
	v_add_f32_e32 v35, v36, v6
	v_mul_f32_e32 v37, v35, v35
	s_delay_alu instid0(VALU_DEP_1) | instskip(SKIP_1) | instid1(VALU_DEP_2)
	v_fmaak_f32 v38, s5, v37, 0x3ecc95a3
	v_mul_f32_e32 v39, v35, v37
	v_fmaak_f32 v37, v37, v38, 0x3f2aaada
	v_ldexp_f32 v38, v35, 1
	v_sub_f32_e32 v35, v35, v36
	s_delay_alu instid0(VALU_DEP_3) | instskip(NEXT) | instid1(VALU_DEP_2)
	v_mul_f32_e32 v37, v39, v37
	v_dual_mul_f32 v39, 0x3f317218, v34 :: v_dual_sub_f32 v6, v6, v35
	s_delay_alu instid0(VALU_DEP_2) | instskip(NEXT) | instid1(VALU_DEP_2)
	v_add_f32_e32 v36, v38, v37
	v_ldexp_f32 v6, v6, 1
	s_delay_alu instid0(VALU_DEP_2) | instskip(NEXT) | instid1(VALU_DEP_4)
	v_sub_f32_e32 v35, v36, v38
	v_fma_f32 v38, 0x3f317218, v34, -v39
	s_delay_alu instid0(VALU_DEP_1) | instskip(NEXT) | instid1(VALU_DEP_1)
	v_dual_sub_f32 v35, v37, v35 :: v_dual_fmac_f32 v38, 0xb102e308, v34
	v_add_f32_e32 v6, v6, v35
	s_delay_alu instid0(VALU_DEP_2) | instskip(NEXT) | instid1(VALU_DEP_2)
	v_add_f32_e32 v34, v39, v38
	v_add_f32_e32 v35, v36, v6
	s_delay_alu instid0(VALU_DEP_2) | instskip(NEXT) | instid1(VALU_DEP_2)
	v_sub_f32_e32 v39, v34, v39
	v_dual_add_f32 v37, v34, v35 :: v_dual_sub_f32 v36, v35, v36
	s_delay_alu instid0(VALU_DEP_2) | instskip(NEXT) | instid1(VALU_DEP_2)
	v_sub_f32_e32 v38, v38, v39
	v_sub_f32_e32 v40, v37, v34
	s_delay_alu instid0(VALU_DEP_3) | instskip(NEXT) | instid1(VALU_DEP_2)
	v_sub_f32_e32 v6, v6, v36
	v_sub_f32_e32 v41, v37, v40
	s_delay_alu instid0(VALU_DEP_2) | instskip(NEXT) | instid1(VALU_DEP_2)
	v_dual_sub_f32 v35, v35, v40 :: v_dual_add_f32 v36, v38, v6
	v_sub_f32_e32 v34, v34, v41
	s_delay_alu instid0(VALU_DEP_1) | instskip(NEXT) | instid1(VALU_DEP_3)
	v_add_f32_e32 v34, v35, v34
	v_sub_f32_e32 v35, v36, v38
	s_delay_alu instid0(VALU_DEP_2) | instskip(NEXT) | instid1(VALU_DEP_2)
	v_add_f32_e32 v34, v36, v34
	v_sub_f32_e32 v36, v36, v35
	s_delay_alu instid0(VALU_DEP_2) | instskip(NEXT) | instid1(VALU_DEP_1)
	v_dual_sub_f32 v6, v6, v35 :: v_dual_add_f32 v39, v37, v34
	v_dual_sub_f32 v36, v38, v36 :: v_dual_sub_f32 v35, v39, v37
	s_delay_alu instid0(VALU_DEP_1) | instskip(NEXT) | instid1(VALU_DEP_2)
	v_add_f32_e32 v6, v6, v36
	v_sub_f32_e32 v34, v34, v35
	s_delay_alu instid0(VALU_DEP_1) | instskip(NEXT) | instid1(VALU_DEP_1)
	v_add_f32_e32 v6, v6, v34
	v_add_f32_e32 v6, v39, v6
	s_delay_alu instid0(VALU_DEP_1) | instskip(SKIP_1) | instid1(VALU_DEP_1)
	v_cndmask_b32_e64 v6, v6, v33, s3
	v_cmp_ngt_f32_e64 s3, -1.0, v33
	v_cndmask_b32_e64 v6, 0x7fc00000, v6, s3
	v_cmp_neq_f32_e64 s3, -1.0, v33
	s_delay_alu instid0(VALU_DEP_1) | instskip(SKIP_1) | instid1(VALU_DEP_1)
	v_cndmask_b32_e64 v6, 0xff800000, v6, s3
	v_cmp_gt_f32_e64 s3, 0x33800000, |v33|
	v_cndmask_b32_e64 v6, v6, v33, s3
	s_delay_alu instid0(VALU_DEP_1)
	v_mul_f32_e32 v6, 0.5, v6
.LBB205_52:                             ;   in Loop: Header=BB205_33 Depth=1
	s_or_b32 exec_lo, exec_lo, s11
.LBB205_53:                             ;   in Loop: Header=BB205_33 Depth=1
	s_delay_alu instid0(SALU_CYCLE_1) | instskip(SKIP_2) | instid1(VALU_DEP_1)
	s_or_b32 exec_lo, exec_lo, s4
	v_max_f32_e64 v33, |v4|, |v4|
	v_max_f32_e64 v34, |v5|, |v5|
	v_max_f32_e32 v37, v33, v34
	s_delay_alu instid0(VALU_DEP_1) | instskip(NEXT) | instid1(VALU_DEP_1)
	v_cvt_f64_f32_e32 v[35:36], v37
	v_frexp_exp_i32_f64_e32 v33, v[35:36]
	s_delay_alu instid0(VALU_DEP_1) | instskip(NEXT) | instid1(VALU_DEP_1)
	v_sub_nc_u32_e32 v35, 0, v33
	v_ldexp_f32 v36, |v5|, v35
	v_ldexp_f32 v35, |v4|, v35
	s_delay_alu instid0(VALU_DEP_2) | instskip(SKIP_1) | instid1(VALU_DEP_2)
	v_mul_f32_e32 v36, v36, v36
	v_cmp_eq_f32_e64 s3, 0x7f800000, v37
	v_fmac_f32_e32 v36, v35, v35
	s_delay_alu instid0(VALU_DEP_1) | instskip(SKIP_3) | instid1(VALU_DEP_2)
	v_sqrt_f32_e32 v35, v36
	s_waitcnt_depctr 0xfff
	v_ldexp_f32 v35, v35, v33
	v_add_f32_e32 v33, 1.0, v4
	v_cmp_ngt_f32_e64 s4, 0.5, v35
	s_delay_alu instid0(VALU_DEP_2) | instskip(NEXT) | instid1(VALU_DEP_2)
	v_max_f32_e64 v35, |v33|, v34
	s_or_b32 s3, s3, s4
	s_delay_alu instid0(SALU_CYCLE_1) | instskip(NEXT) | instid1(SALU_CYCLE_1)
	s_and_saveexec_b32 s4, s3
	s_xor_b32 s11, exec_lo, s4
	s_cbranch_execz .LBB205_55
; %bb.54:                               ;   in Loop: Header=BB205_33 Depth=1
	v_cvt_f64_f32_e32 v[36:37], v35
	v_cmp_neq_f32_e64 s3, 0x7f800000, v35
	s_delay_alu instid0(VALU_DEP_2) | instskip(NEXT) | instid1(VALU_DEP_1)
	v_frexp_exp_i32_f64_e32 v4, v[36:37]
	v_sub_nc_u32_e32 v36, 0, v4
	s_delay_alu instid0(VALU_DEP_1) | instskip(SKIP_1) | instid1(VALU_DEP_2)
	v_ldexp_f32 v37, |v5|, v36
	v_ldexp_f32 v36, |v33|, v36
	v_mul_f32_e32 v37, v37, v37
	s_delay_alu instid0(VALU_DEP_1) | instskip(NEXT) | instid1(VALU_DEP_1)
	v_fmac_f32_e32 v37, v36, v36
	v_sqrt_f32_e32 v36, v37
	s_waitcnt_depctr 0xfff
	v_ldexp_f32 v4, v36, v4
	s_delay_alu instid0(VALU_DEP_1) | instskip(NEXT) | instid1(VALU_DEP_1)
	v_cndmask_b32_e64 v4, 0x7f800000, v4, s3
	v_cmp_gt_f32_e64 s3, 0x800000, v4
	s_delay_alu instid0(VALU_DEP_1) | instskip(NEXT) | instid1(VALU_DEP_1)
	v_cndmask_b32_e64 v36, 1.0, 0x4f800000, s3
	v_mul_f32_e32 v4, v4, v36
	s_delay_alu instid0(VALU_DEP_1) | instskip(SKIP_3) | instid1(VALU_DEP_2)
	v_log_f32_e32 v4, v4
	s_waitcnt_depctr 0xfff
	v_mul_f32_e32 v36, 0x3f317217, v4
	v_cmp_gt_f32_e64 s4, 0x7f800000, |v4|
	v_fma_f32 v37, 0x3f317217, v4, -v36
	s_delay_alu instid0(VALU_DEP_1) | instskip(NEXT) | instid1(VALU_DEP_1)
	v_fmac_f32_e32 v37, 0x3377d1cf, v4
	v_add_f32_e32 v36, v36, v37
	s_delay_alu instid0(VALU_DEP_1) | instskip(SKIP_1) | instid1(VALU_DEP_1)
	v_cndmask_b32_e64 v4, v4, v36, s4
	v_cndmask_b32_e64 v36, 0, 0x41b17218, s3
	v_sub_f32_e32 v4, v4, v36
.LBB205_55:                             ;   in Loop: Header=BB205_33 Depth=1
	s_and_not1_saveexec_b32 s4, s11
	s_cbranch_execz .LBB205_59
; %bb.56:                               ;   in Loop: Header=BB205_33 Depth=1
	s_delay_alu instid0(VALU_DEP_1) | instskip(SKIP_1) | instid1(VALU_DEP_1)
	v_add_f32_e32 v36, 2.0, v4
	s_mov_b32 s11, exec_lo
	v_mul_f32_e32 v36, v4, v36
	s_delay_alu instid0(VALU_DEP_1) | instskip(NEXT) | instid1(VALU_DEP_1)
	v_fmac_f32_e32 v36, v5, v5
	v_cmpx_neq_f32_e32 0, v36
	s_cbranch_execz .LBB205_58
; %bb.57:                               ;   in Loop: Header=BB205_33 Depth=1
	v_add_f32_e32 v4, 1.0, v36
	s_delay_alu instid0(VALU_DEP_1) | instskip(NEXT) | instid1(VALU_DEP_1)
	v_cvt_f64_f32_e32 v[37:38], v4
	v_frexp_exp_i32_f64_e32 v37, v[37:38]
	v_frexp_mant_f32_e32 v38, v4
	s_delay_alu instid0(VALU_DEP_1) | instskip(SKIP_1) | instid1(VALU_DEP_1)
	v_cmp_gt_f32_e64 s3, 0x3f2aaaab, v38
	v_add_f32_e32 v38, -1.0, v4
	v_sub_f32_e32 v40, v38, v4
	s_delay_alu instid0(VALU_DEP_1) | instskip(NEXT) | instid1(VALU_DEP_4)
	v_add_f32_e32 v40, 1.0, v40
	v_subrev_co_ci_u32_e64 v37, s3, 0, v37, s3
	v_cmp_eq_f32_e64 s3, 0x7f800000, v36
	s_delay_alu instid0(VALU_DEP_2) | instskip(SKIP_1) | instid1(VALU_DEP_2)
	v_sub_nc_u32_e32 v39, 0, v37
	v_cvt_f32_i32_e32 v37, v37
	v_ldexp_f32 v4, v4, v39
	s_delay_alu instid0(VALU_DEP_1) | instskip(NEXT) | instid1(VALU_DEP_1)
	v_dual_sub_f32 v38, v36, v38 :: v_dual_add_f32 v41, 1.0, v4
	v_add_f32_e32 v38, v38, v40
	s_delay_alu instid0(VALU_DEP_2) | instskip(NEXT) | instid1(VALU_DEP_2)
	v_add_f32_e32 v40, -1.0, v41
	v_ldexp_f32 v38, v38, v39
	v_add_f32_e32 v39, -1.0, v4
	s_delay_alu instid0(VALU_DEP_3) | instskip(NEXT) | instid1(VALU_DEP_2)
	v_sub_f32_e32 v40, v4, v40
	v_add_f32_e32 v42, 1.0, v39
	s_delay_alu instid0(VALU_DEP_2) | instskip(NEXT) | instid1(VALU_DEP_2)
	v_add_f32_e32 v40, v38, v40
	v_sub_f32_e32 v4, v4, v42
	s_delay_alu instid0(VALU_DEP_2) | instskip(NEXT) | instid1(VALU_DEP_2)
	v_add_f32_e32 v42, v41, v40
	v_add_f32_e32 v4, v38, v4
	s_delay_alu instid0(VALU_DEP_2) | instskip(SKIP_1) | instid1(VALU_DEP_1)
	v_rcp_f32_e32 v38, v42
	v_sub_f32_e32 v41, v42, v41
	v_dual_add_f32 v43, v39, v4 :: v_dual_sub_f32 v40, v40, v41
	s_delay_alu instid0(VALU_DEP_1) | instskip(SKIP_2) | instid1(VALU_DEP_1)
	v_sub_f32_e32 v39, v43, v39
	s_waitcnt_depctr 0xfff
	v_mul_f32_e32 v44, v43, v38
	v_dual_sub_f32 v4, v4, v39 :: v_dual_mul_f32 v45, v42, v44
	s_delay_alu instid0(VALU_DEP_1) | instskip(NEXT) | instid1(VALU_DEP_1)
	v_fma_f32 v41, v44, v42, -v45
	v_fmac_f32_e32 v41, v44, v40
	s_delay_alu instid0(VALU_DEP_1) | instskip(NEXT) | instid1(VALU_DEP_1)
	v_add_f32_e32 v46, v45, v41
	v_sub_f32_e32 v47, v43, v46
	v_sub_f32_e32 v39, v46, v45
	s_delay_alu instid0(VALU_DEP_2) | instskip(NEXT) | instid1(VALU_DEP_2)
	v_sub_f32_e32 v43, v43, v47
	v_sub_f32_e32 v39, v39, v41
	s_delay_alu instid0(VALU_DEP_2) | instskip(NEXT) | instid1(VALU_DEP_1)
	v_sub_f32_e32 v43, v43, v46
	v_add_f32_e32 v4, v4, v43
	s_delay_alu instid0(VALU_DEP_1) | instskip(NEXT) | instid1(VALU_DEP_1)
	v_add_f32_e32 v4, v39, v4
	v_add_f32_e32 v39, v47, v4
	s_delay_alu instid0(VALU_DEP_1) | instskip(NEXT) | instid1(VALU_DEP_1)
	v_mul_f32_e32 v41, v38, v39
	v_dual_sub_f32 v46, v47, v39 :: v_dual_mul_f32 v43, v42, v41
	s_delay_alu instid0(VALU_DEP_1) | instskip(NEXT) | instid1(VALU_DEP_1)
	v_fma_f32 v42, v41, v42, -v43
	v_fmac_f32_e32 v42, v41, v40
	s_delay_alu instid0(VALU_DEP_1) | instskip(NEXT) | instid1(VALU_DEP_1)
	v_add_f32_e32 v40, v43, v42
	v_sub_f32_e32 v45, v39, v40
	v_sub_f32_e32 v43, v40, v43
	s_delay_alu instid0(VALU_DEP_2) | instskip(NEXT) | instid1(VALU_DEP_1)
	v_dual_add_f32 v4, v4, v46 :: v_dual_sub_f32 v39, v39, v45
	v_sub_f32_e32 v39, v39, v40
	s_delay_alu instid0(VALU_DEP_1) | instskip(NEXT) | instid1(VALU_DEP_4)
	v_add_f32_e32 v4, v4, v39
	v_dual_add_f32 v39, v44, v41 :: v_dual_sub_f32 v40, v43, v42
	s_delay_alu instid0(VALU_DEP_1) | instskip(NEXT) | instid1(VALU_DEP_2)
	v_add_f32_e32 v4, v40, v4
	v_sub_f32_e32 v40, v39, v44
	s_delay_alu instid0(VALU_DEP_2) | instskip(NEXT) | instid1(VALU_DEP_2)
	v_add_f32_e32 v4, v45, v4
	v_sub_f32_e32 v40, v41, v40
	s_delay_alu instid0(VALU_DEP_2) | instskip(NEXT) | instid1(VALU_DEP_1)
	v_mul_f32_e32 v4, v38, v4
	v_add_f32_e32 v4, v40, v4
	s_delay_alu instid0(VALU_DEP_1) | instskip(NEXT) | instid1(VALU_DEP_1)
	v_add_f32_e32 v38, v39, v4
	v_mul_f32_e32 v40, v38, v38
	s_delay_alu instid0(VALU_DEP_1) | instskip(SKIP_1) | instid1(VALU_DEP_2)
	v_fmaak_f32 v41, s5, v40, 0x3ecc95a3
	v_mul_f32_e32 v42, v38, v40
	v_fmaak_f32 v40, v40, v41, 0x3f2aaada
	v_ldexp_f32 v41, v38, 1
	v_sub_f32_e32 v38, v38, v39
	s_delay_alu instid0(VALU_DEP_3) | instskip(SKIP_1) | instid1(VALU_DEP_2)
	v_mul_f32_e32 v40, v42, v40
	v_mul_f32_e32 v42, 0x3f317218, v37
	v_dual_sub_f32 v4, v4, v38 :: v_dual_add_f32 v39, v41, v40
	s_delay_alu instid0(VALU_DEP_1) | instskip(NEXT) | instid1(VALU_DEP_2)
	v_ldexp_f32 v4, v4, 1
	v_sub_f32_e32 v38, v39, v41
	s_delay_alu instid0(VALU_DEP_4) | instskip(NEXT) | instid1(VALU_DEP_1)
	v_fma_f32 v41, 0x3f317218, v37, -v42
	v_dual_sub_f32 v38, v40, v38 :: v_dual_fmac_f32 v41, 0xb102e308, v37
	s_delay_alu instid0(VALU_DEP_1) | instskip(NEXT) | instid1(VALU_DEP_1)
	v_dual_add_f32 v4, v4, v38 :: v_dual_add_f32 v37, v42, v41
	v_add_f32_e32 v38, v39, v4
	s_delay_alu instid0(VALU_DEP_2) | instskip(NEXT) | instid1(VALU_DEP_2)
	v_sub_f32_e32 v42, v37, v42
	v_dual_add_f32 v40, v37, v38 :: v_dual_sub_f32 v39, v38, v39
	s_delay_alu instid0(VALU_DEP_2) | instskip(NEXT) | instid1(VALU_DEP_2)
	v_sub_f32_e32 v41, v41, v42
	v_sub_f32_e32 v43, v40, v37
	s_delay_alu instid0(VALU_DEP_3) | instskip(NEXT) | instid1(VALU_DEP_1)
	v_sub_f32_e32 v4, v4, v39
	v_dual_sub_f32 v44, v40, v43 :: v_dual_add_f32 v39, v41, v4
	s_delay_alu instid0(VALU_DEP_1) | instskip(NEXT) | instid1(VALU_DEP_1)
	v_dual_sub_f32 v38, v38, v43 :: v_dual_sub_f32 v37, v37, v44
	v_add_f32_e32 v37, v38, v37
	s_delay_alu instid0(VALU_DEP_3) | instskip(NEXT) | instid1(VALU_DEP_2)
	v_sub_f32_e32 v38, v39, v41
	v_add_f32_e32 v37, v39, v37
	s_delay_alu instid0(VALU_DEP_2) | instskip(SKIP_1) | instid1(VALU_DEP_2)
	v_sub_f32_e32 v39, v39, v38
	v_sub_f32_e32 v4, v4, v38
	v_dual_add_f32 v42, v40, v37 :: v_dual_sub_f32 v39, v41, v39
	s_delay_alu instid0(VALU_DEP_1) | instskip(NEXT) | instid1(VALU_DEP_1)
	v_sub_f32_e32 v38, v42, v40
	v_dual_add_f32 v4, v4, v39 :: v_dual_sub_f32 v37, v37, v38
	s_delay_alu instid0(VALU_DEP_1) | instskip(NEXT) | instid1(VALU_DEP_1)
	v_add_f32_e32 v4, v4, v37
	v_add_f32_e32 v4, v42, v4
	s_delay_alu instid0(VALU_DEP_1) | instskip(SKIP_1) | instid1(VALU_DEP_1)
	v_cndmask_b32_e64 v4, v4, v36, s3
	v_cmp_ngt_f32_e64 s3, -1.0, v36
	v_cndmask_b32_e64 v4, 0x7fc00000, v4, s3
	v_cmp_neq_f32_e64 s3, -1.0, v36
	s_delay_alu instid0(VALU_DEP_1) | instskip(SKIP_1) | instid1(VALU_DEP_1)
	v_cndmask_b32_e64 v4, 0xff800000, v4, s3
	v_cmp_gt_f32_e64 s3, 0x33800000, |v36|
	v_cndmask_b32_e64 v4, v4, v36, s3
	s_delay_alu instid0(VALU_DEP_1)
	v_mul_f32_e32 v4, 0.5, v4
.LBB205_58:                             ;   in Loop: Header=BB205_33 Depth=1
	s_or_b32 exec_lo, exec_lo, s11
.LBB205_59:                             ;   in Loop: Header=BB205_33 Depth=1
	s_delay_alu instid0(SALU_CYCLE_1) | instskip(SKIP_2) | instid1(VALU_DEP_1)
	s_or_b32 exec_lo, exec_lo, s4
	v_max_f32_e64 v36, |v2|, |v2|
	v_max_f32_e64 v37, |v3|, |v3|
	v_max_f32_e32 v40, v36, v37
	s_delay_alu instid0(VALU_DEP_1) | instskip(NEXT) | instid1(VALU_DEP_1)
	v_cvt_f64_f32_e32 v[38:39], v40
	v_frexp_exp_i32_f64_e32 v36, v[38:39]
	s_delay_alu instid0(VALU_DEP_1) | instskip(NEXT) | instid1(VALU_DEP_1)
	v_sub_nc_u32_e32 v38, 0, v36
	v_ldexp_f32 v39, |v3|, v38
	v_ldexp_f32 v38, |v2|, v38
	s_delay_alu instid0(VALU_DEP_2) | instskip(SKIP_1) | instid1(VALU_DEP_2)
	v_mul_f32_e32 v39, v39, v39
	v_cmp_eq_f32_e64 s3, 0x7f800000, v40
	v_fmac_f32_e32 v39, v38, v38
	s_delay_alu instid0(VALU_DEP_1) | instskip(SKIP_3) | instid1(VALU_DEP_2)
	v_sqrt_f32_e32 v38, v39
	s_waitcnt_depctr 0xfff
	v_ldexp_f32 v38, v38, v36
	v_add_f32_e32 v36, 1.0, v2
	v_cmp_ngt_f32_e64 s4, 0.5, v38
	s_delay_alu instid0(VALU_DEP_2) | instskip(NEXT) | instid1(VALU_DEP_2)
	v_max_f32_e64 v38, |v36|, v37
	s_or_b32 s3, s3, s4
	s_delay_alu instid0(SALU_CYCLE_1) | instskip(NEXT) | instid1(SALU_CYCLE_1)
	s_and_saveexec_b32 s4, s3
	s_xor_b32 s11, exec_lo, s4
	s_cbranch_execnz .LBB205_65
; %bb.60:                               ;   in Loop: Header=BB205_33 Depth=1
	s_and_not1_saveexec_b32 s4, s11
	s_cbranch_execnz .LBB205_66
.LBB205_61:                             ;   in Loop: Header=BB205_33 Depth=1
	s_or_b32 exec_lo, exec_lo, s4
	s_and_saveexec_b32 s3, s2
	s_delay_alu instid0(SALU_CYCLE_1)
	s_xor_b32 s4, exec_lo, s3
	s_cbranch_execnz .LBB205_69
.LBB205_62:                             ;   in Loop: Header=BB205_33 Depth=1
	s_or_b32 exec_lo, exec_lo, s4
	s_and_saveexec_b32 s3, s1
	s_cbranch_execnz .LBB205_70
.LBB205_63:                             ;   in Loop: Header=BB205_33 Depth=1
	s_or_b32 exec_lo, exec_lo, s3
	s_and_saveexec_b32 s2, s0
	s_cbranch_execnz .LBB205_71
.LBB205_64:                             ;   in Loop: Header=BB205_33 Depth=1
	s_or_b32 exec_lo, exec_lo, s2
	s_and_saveexec_b32 s1, vcc_lo
	s_cbranch_execz .LBB205_32
	s_branch .LBB205_72
.LBB205_65:                             ;   in Loop: Header=BB205_33 Depth=1
	v_cvt_f64_f32_e32 v[39:40], v38
	v_cmp_neq_f32_e64 s3, 0x7f800000, v38
	s_delay_alu instid0(VALU_DEP_2) | instskip(NEXT) | instid1(VALU_DEP_1)
	v_frexp_exp_i32_f64_e32 v2, v[39:40]
	v_sub_nc_u32_e32 v39, 0, v2
	s_delay_alu instid0(VALU_DEP_1) | instskip(SKIP_1) | instid1(VALU_DEP_2)
	v_ldexp_f32 v40, |v3|, v39
	v_ldexp_f32 v39, |v36|, v39
	v_mul_f32_e32 v40, v40, v40
	s_delay_alu instid0(VALU_DEP_1) | instskip(NEXT) | instid1(VALU_DEP_1)
	v_fmac_f32_e32 v40, v39, v39
	v_sqrt_f32_e32 v39, v40
	s_waitcnt_depctr 0xfff
	v_ldexp_f32 v2, v39, v2
	s_delay_alu instid0(VALU_DEP_1) | instskip(NEXT) | instid1(VALU_DEP_1)
	v_cndmask_b32_e64 v2, 0x7f800000, v2, s3
	v_cmp_gt_f32_e64 s3, 0x800000, v2
	s_delay_alu instid0(VALU_DEP_1) | instskip(NEXT) | instid1(VALU_DEP_1)
	v_cndmask_b32_e64 v39, 1.0, 0x4f800000, s3
	v_mul_f32_e32 v2, v2, v39
	s_delay_alu instid0(VALU_DEP_1) | instskip(SKIP_3) | instid1(VALU_DEP_2)
	v_log_f32_e32 v2, v2
	s_waitcnt_depctr 0xfff
	v_mul_f32_e32 v39, 0x3f317217, v2
	v_cmp_gt_f32_e64 s4, 0x7f800000, |v2|
	v_fma_f32 v40, 0x3f317217, v2, -v39
	s_delay_alu instid0(VALU_DEP_1) | instskip(NEXT) | instid1(VALU_DEP_1)
	v_fmac_f32_e32 v40, 0x3377d1cf, v2
	v_add_f32_e32 v39, v39, v40
	s_delay_alu instid0(VALU_DEP_1) | instskip(SKIP_1) | instid1(VALU_DEP_1)
	v_cndmask_b32_e64 v2, v2, v39, s4
	v_cndmask_b32_e64 v39, 0, 0x41b17218, s3
	v_sub_f32_e32 v2, v2, v39
	s_and_not1_saveexec_b32 s4, s11
	s_cbranch_execz .LBB205_61
.LBB205_66:                             ;   in Loop: Header=BB205_33 Depth=1
	s_delay_alu instid0(VALU_DEP_1) | instskip(SKIP_1) | instid1(VALU_DEP_1)
	v_add_f32_e32 v39, 2.0, v2
	s_mov_b32 s11, exec_lo
	v_mul_f32_e32 v39, v2, v39
	s_delay_alu instid0(VALU_DEP_1) | instskip(NEXT) | instid1(VALU_DEP_1)
	v_fmac_f32_e32 v39, v3, v3
	v_cmpx_neq_f32_e32 0, v39
	s_cbranch_execz .LBB205_68
; %bb.67:                               ;   in Loop: Header=BB205_33 Depth=1
	v_add_f32_e32 v2, 1.0, v39
	s_delay_alu instid0(VALU_DEP_1) | instskip(NEXT) | instid1(VALU_DEP_1)
	v_cvt_f64_f32_e32 v[40:41], v2
	v_frexp_exp_i32_f64_e32 v40, v[40:41]
	v_frexp_mant_f32_e32 v41, v2
	s_delay_alu instid0(VALU_DEP_1) | instskip(SKIP_1) | instid1(VALU_DEP_1)
	v_cmp_gt_f32_e64 s3, 0x3f2aaaab, v41
	v_add_f32_e32 v41, -1.0, v2
	v_sub_f32_e32 v43, v41, v2
	v_sub_f32_e32 v41, v39, v41
	s_delay_alu instid0(VALU_DEP_4) | instskip(SKIP_1) | instid1(VALU_DEP_2)
	v_subrev_co_ci_u32_e64 v40, s3, 0, v40, s3
	v_cmp_eq_f32_e64 s3, 0x7f800000, v39
	v_sub_nc_u32_e32 v42, 0, v40
	v_cvt_f32_i32_e32 v40, v40
	s_delay_alu instid0(VALU_DEP_2) | instskip(NEXT) | instid1(VALU_DEP_1)
	v_ldexp_f32 v2, v2, v42
	v_dual_add_f32 v43, 1.0, v43 :: v_dual_add_f32 v44, 1.0, v2
	s_delay_alu instid0(VALU_DEP_1) | instskip(NEXT) | instid1(VALU_DEP_1)
	v_add_f32_e32 v41, v41, v43
	v_ldexp_f32 v41, v41, v42
	s_delay_alu instid0(VALU_DEP_3) | instskip(NEXT) | instid1(VALU_DEP_1)
	v_dual_add_f32 v42, -1.0, v2 :: v_dual_add_f32 v43, -1.0, v44
	v_add_f32_e32 v45, 1.0, v42
	s_delay_alu instid0(VALU_DEP_2) | instskip(NEXT) | instid1(VALU_DEP_2)
	v_sub_f32_e32 v43, v2, v43
	v_sub_f32_e32 v2, v2, v45
	s_delay_alu instid0(VALU_DEP_1) | instskip(NEXT) | instid1(VALU_DEP_1)
	v_add_f32_e32 v2, v41, v2
	v_dual_add_f32 v43, v41, v43 :: v_dual_add_f32 v46, v42, v2
	s_delay_alu instid0(VALU_DEP_1) | instskip(NEXT) | instid1(VALU_DEP_1)
	v_dual_add_f32 v45, v44, v43 :: v_dual_sub_f32 v42, v46, v42
	v_rcp_f32_e32 v41, v45
	v_sub_f32_e32 v44, v45, v44
	s_delay_alu instid0(VALU_DEP_1) | instskip(SKIP_2) | instid1(VALU_DEP_1)
	v_dual_sub_f32 v43, v43, v44 :: v_dual_sub_f32 v2, v2, v42
	s_waitcnt_depctr 0xfff
	v_mul_f32_e32 v47, v46, v41
	v_mul_f32_e32 v48, v45, v47
	s_delay_alu instid0(VALU_DEP_1) | instskip(NEXT) | instid1(VALU_DEP_1)
	v_fma_f32 v44, v47, v45, -v48
	v_fmac_f32_e32 v44, v47, v43
	s_delay_alu instid0(VALU_DEP_1) | instskip(NEXT) | instid1(VALU_DEP_1)
	v_add_f32_e32 v49, v48, v44
	v_sub_f32_e32 v50, v46, v49
	s_delay_alu instid0(VALU_DEP_1) | instskip(SKIP_1) | instid1(VALU_DEP_2)
	v_sub_f32_e32 v46, v46, v50
	v_sub_f32_e32 v42, v49, v48
	;; [unrolled: 1-line block ×3, first 2 shown]
	s_delay_alu instid0(VALU_DEP_2) | instskip(NEXT) | instid1(VALU_DEP_2)
	v_sub_f32_e32 v42, v42, v44
	v_add_f32_e32 v2, v2, v46
	s_delay_alu instid0(VALU_DEP_1) | instskip(NEXT) | instid1(VALU_DEP_1)
	v_add_f32_e32 v2, v42, v2
	v_add_f32_e32 v42, v50, v2
	s_delay_alu instid0(VALU_DEP_1) | instskip(NEXT) | instid1(VALU_DEP_1)
	v_mul_f32_e32 v44, v41, v42
	v_dual_sub_f32 v49, v50, v42 :: v_dual_mul_f32 v46, v45, v44
	s_delay_alu instid0(VALU_DEP_1) | instskip(NEXT) | instid1(VALU_DEP_2)
	v_add_f32_e32 v2, v2, v49
	v_fma_f32 v45, v44, v45, -v46
	s_delay_alu instid0(VALU_DEP_1) | instskip(NEXT) | instid1(VALU_DEP_1)
	v_fmac_f32_e32 v45, v44, v43
	v_add_f32_e32 v43, v46, v45
	s_delay_alu instid0(VALU_DEP_1) | instskip(NEXT) | instid1(VALU_DEP_1)
	v_sub_f32_e32 v48, v42, v43
	v_sub_f32_e32 v42, v42, v48
	s_delay_alu instid0(VALU_DEP_1) | instskip(NEXT) | instid1(VALU_DEP_1)
	v_sub_f32_e32 v42, v42, v43
	v_add_f32_e32 v2, v2, v42
	v_add_f32_e32 v42, v47, v44
	v_sub_f32_e32 v46, v43, v46
	s_delay_alu instid0(VALU_DEP_1) | instskip(NEXT) | instid1(VALU_DEP_1)
	v_sub_f32_e32 v43, v46, v45
	v_dual_add_f32 v2, v43, v2 :: v_dual_sub_f32 v43, v42, v47
	s_delay_alu instid0(VALU_DEP_1) | instskip(NEXT) | instid1(VALU_DEP_1)
	v_add_f32_e32 v2, v48, v2
	v_dual_sub_f32 v43, v44, v43 :: v_dual_mul_f32 v2, v41, v2
	s_delay_alu instid0(VALU_DEP_1) | instskip(NEXT) | instid1(VALU_DEP_1)
	v_add_f32_e32 v2, v43, v2
	v_add_f32_e32 v41, v42, v2
	s_delay_alu instid0(VALU_DEP_1) | instskip(NEXT) | instid1(VALU_DEP_1)
	v_mul_f32_e32 v43, v41, v41
	v_fmaak_f32 v44, s5, v43, 0x3ecc95a3
	v_mul_f32_e32 v45, v41, v43
	s_delay_alu instid0(VALU_DEP_2) | instskip(SKIP_2) | instid1(VALU_DEP_3)
	v_fmaak_f32 v43, v43, v44, 0x3f2aaada
	v_ldexp_f32 v44, v41, 1
	v_sub_f32_e32 v41, v41, v42
	v_mul_f32_e32 v43, v45, v43
	s_delay_alu instid0(VALU_DEP_2) | instskip(NEXT) | instid1(VALU_DEP_2)
	v_dual_mul_f32 v45, 0x3f317218, v40 :: v_dual_sub_f32 v2, v2, v41
	v_add_f32_e32 v42, v44, v43
	s_delay_alu instid0(VALU_DEP_2) | instskip(NEXT) | instid1(VALU_DEP_2)
	v_ldexp_f32 v2, v2, 1
	v_sub_f32_e32 v41, v42, v44
	s_delay_alu instid0(VALU_DEP_4) | instskip(NEXT) | instid1(VALU_DEP_2)
	v_fma_f32 v44, 0x3f317218, v40, -v45
	v_sub_f32_e32 v41, v43, v41
	s_delay_alu instid0(VALU_DEP_1) | instskip(NEXT) | instid1(VALU_DEP_1)
	v_add_f32_e32 v2, v2, v41
	v_dual_fmac_f32 v44, 0xb102e308, v40 :: v_dual_add_f32 v41, v42, v2
	s_delay_alu instid0(VALU_DEP_1) | instskip(NEXT) | instid1(VALU_DEP_1)
	v_add_f32_e32 v40, v45, v44
	v_add_f32_e32 v43, v40, v41
	s_delay_alu instid0(VALU_DEP_1) | instskip(NEXT) | instid1(VALU_DEP_1)
	v_dual_sub_f32 v45, v40, v45 :: v_dual_sub_f32 v46, v43, v40
	v_dual_sub_f32 v44, v44, v45 :: v_dual_sub_f32 v47, v43, v46
	v_sub_f32_e32 v42, v41, v42
	s_delay_alu instid0(VALU_DEP_2) | instskip(NEXT) | instid1(VALU_DEP_2)
	v_dual_sub_f32 v41, v41, v46 :: v_dual_sub_f32 v40, v40, v47
	v_sub_f32_e32 v2, v2, v42
	s_delay_alu instid0(VALU_DEP_2) | instskip(NEXT) | instid1(VALU_DEP_2)
	v_add_f32_e32 v40, v41, v40
	v_add_f32_e32 v42, v44, v2
	s_delay_alu instid0(VALU_DEP_1) | instskip(NEXT) | instid1(VALU_DEP_3)
	v_sub_f32_e32 v41, v42, v44
	v_add_f32_e32 v40, v42, v40
	s_delay_alu instid0(VALU_DEP_1) | instskip(SKIP_1) | instid1(VALU_DEP_2)
	v_dual_sub_f32 v42, v42, v41 :: v_dual_add_f32 v45, v43, v40
	v_sub_f32_e32 v2, v2, v41
	v_dual_sub_f32 v42, v44, v42 :: v_dual_sub_f32 v41, v45, v43
	s_delay_alu instid0(VALU_DEP_1) | instskip(NEXT) | instid1(VALU_DEP_2)
	v_add_f32_e32 v2, v2, v42
	v_sub_f32_e32 v40, v40, v41
	s_delay_alu instid0(VALU_DEP_1) | instskip(NEXT) | instid1(VALU_DEP_1)
	v_add_f32_e32 v2, v2, v40
	v_add_f32_e32 v2, v45, v2
	s_delay_alu instid0(VALU_DEP_1) | instskip(SKIP_1) | instid1(VALU_DEP_1)
	v_cndmask_b32_e64 v2, v2, v39, s3
	v_cmp_ngt_f32_e64 s3, -1.0, v39
	v_cndmask_b32_e64 v2, 0x7fc00000, v2, s3
	v_cmp_neq_f32_e64 s3, -1.0, v39
	s_delay_alu instid0(VALU_DEP_1) | instskip(SKIP_1) | instid1(VALU_DEP_1)
	v_cndmask_b32_e64 v2, 0xff800000, v2, s3
	v_cmp_gt_f32_e64 s3, 0x33800000, |v39|
	v_cndmask_b32_e64 v2, v2, v39, s3
	s_delay_alu instid0(VALU_DEP_1)
	v_mul_f32_e32 v2, 0.5, v2
.LBB205_68:                             ;   in Loop: Header=BB205_33 Depth=1
	s_or_b32 exec_lo, exec_lo, s11
	s_delay_alu instid0(SALU_CYCLE_1) | instskip(SKIP_1) | instid1(SALU_CYCLE_1)
	s_or_b32 exec_lo, exec_lo, s4
	s_and_saveexec_b32 s3, s2
	s_xor_b32 s4, exec_lo, s3
	s_cbranch_execz .LBB205_62
.LBB205_69:                             ;   in Loop: Header=BB205_33 Depth=1
	v_max_f32_e64 v39, |v27|, |v27|
	v_frexp_mant_f32_e32 v40, v29
	v_frexp_exp_i32_f32_e32 v29, v29
	v_cmp_gt_f32_e64 s2, |v9|, |v27|
	v_cmp_gt_i32_e64 s3, 0, v27
	v_min_f32_e32 v28, v39, v28
	v_rcp_f32_e32 v39, v40
	v_cmp_class_f32_e64 s11, v27, 0x204
	s_delay_alu instid0(VALU_DEP_2)
	v_frexp_mant_f32_e32 v40, v28
	s_waitcnt_depctr 0xfff
	v_mul_f32_e32 v39, v40, v39
	v_frexp_exp_i32_f32_e32 v28, v28
	v_cndmask_b32_e64 v40, 0, 0x40490fdb, s3
	v_cmp_class_f32_e64 s3, v9, 0x204
	s_delay_alu instid0(VALU_DEP_3) | instskip(NEXT) | instid1(VALU_DEP_1)
	v_sub_nc_u32_e32 v28, v28, v29
	v_ldexp_f32 v28, v39, v28
	s_delay_alu instid0(VALU_DEP_1) | instskip(NEXT) | instid1(VALU_DEP_1)
	v_mul_f32_e32 v29, v28, v28
	v_fmaak_f32 v39, s20, v29, 0xbc7a590c
	s_delay_alu instid0(VALU_DEP_1) | instskip(NEXT) | instid1(VALU_DEP_1)
	v_fmaak_f32 v39, v29, v39, 0x3d29fb3f
	v_fmaak_f32 v39, v29, v39, 0xbd97d4d7
	s_delay_alu instid0(VALU_DEP_1) | instskip(NEXT) | instid1(VALU_DEP_1)
	v_fmaak_f32 v39, v29, v39, 0x3dd931b2
	;; [unrolled: 3-line block ×3, first 2 shown]
	v_fmaak_f32 v39, v29, v39, 0xbeaaaa62
	s_delay_alu instid0(VALU_DEP_1) | instskip(NEXT) | instid1(VALU_DEP_1)
	v_mul_f32_e32 v29, v29, v39
	v_fmac_f32_e32 v28, v28, v29
	s_delay_alu instid0(VALU_DEP_1) | instskip(NEXT) | instid1(VALU_DEP_1)
	v_sub_f32_e32 v29, 0x3fc90fdb, v28
	v_cndmask_b32_e64 v28, v28, v29, s2
	v_cmp_gt_f32_e64 s2, 0, v27
	s_delay_alu instid0(VALU_DEP_2) | instskip(NEXT) | instid1(VALU_DEP_2)
	v_sub_f32_e32 v29, 0x40490fdb, v28
	v_cndmask_b32_e64 v39, 0x3f490fdb, v26, s2
	s_delay_alu instid0(VALU_DEP_2) | instskip(SKIP_1) | instid1(VALU_DEP_1)
	v_cndmask_b32_e64 v28, v28, v29, s2
	v_cmp_eq_f32_e64 s2, 0, v9
	v_cndmask_b32_e64 v28, v28, v40, s2
	s_and_b32 s2, s3, s11
	s_delay_alu instid0(VALU_DEP_1) | instid1(SALU_CYCLE_1)
	v_cndmask_b32_e64 v28, v28, v39, s2
	v_cmp_o_f32_e64 s2, v27, v9
	s_delay_alu instid0(VALU_DEP_1) | instskip(NEXT) | instid1(VALU_DEP_1)
	v_cndmask_b32_e64 v27, 0x7fc00000, v28, s2
	v_bfi_b32 v9, 0x7fffffff, v27, v9
	v_add_co_u32 v27, s2, v12, s6
	s_delay_alu instid0(VALU_DEP_1)
	v_add_co_ci_u32_e64 v28, s2, s7, v13, s2
	global_store_b64 v[27:28], v[8:9], off offset:-4
	s_or_b32 exec_lo, exec_lo, s4
	s_and_saveexec_b32 s3, s1
	s_cbranch_execz .LBB205_63
.LBB205_70:                             ;   in Loop: Header=BB205_33 Depth=1
	v_max_f32_e64 v8, |v30|, |v30|
	v_frexp_mant_f32_e32 v9, v32
	v_frexp_exp_i32_f32_e32 v27, v32
	v_cmp_gt_f32_e64 s1, |v7|, |v30|
	v_cmp_gt_i32_e64 s2, 0, v30
	v_min_f32_e32 v8, v8, v31
	v_rcp_f32_e32 v9, v9
	v_cmp_class_f32_e64 s4, v30, 0x204
	s_delay_alu instid0(VALU_DEP_2)
	v_frexp_mant_f32_e32 v28, v8
	v_frexp_exp_i32_f32_e32 v8, v8
	s_waitcnt_depctr 0xfff
	v_mul_f32_e32 v9, v28, v9
	v_sub_nc_u32_e32 v8, v8, v27
	v_cndmask_b32_e64 v28, 0, 0x40490fdb, s2
	v_cmp_class_f32_e64 s2, v7, 0x204
	s_delay_alu instid0(VALU_DEP_3) | instskip(NEXT) | instid1(VALU_DEP_1)
	v_ldexp_f32 v8, v9, v8
	v_mul_f32_e32 v9, v8, v8
	s_delay_alu instid0(VALU_DEP_1) | instskip(NEXT) | instid1(VALU_DEP_1)
	v_fmaak_f32 v27, s20, v9, 0xbc7a590c
	v_fmaak_f32 v27, v9, v27, 0x3d29fb3f
	s_delay_alu instid0(VALU_DEP_1) | instskip(NEXT) | instid1(VALU_DEP_1)
	v_fmaak_f32 v27, v9, v27, 0xbd97d4d7
	v_fmaak_f32 v27, v9, v27, 0x3dd931b2
	;; [unrolled: 3-line block ×3, first 2 shown]
	s_delay_alu instid0(VALU_DEP_1) | instskip(NEXT) | instid1(VALU_DEP_1)
	v_fmaak_f32 v27, v9, v27, 0xbeaaaa62
	v_mul_f32_e32 v9, v9, v27
	s_delay_alu instid0(VALU_DEP_1) | instskip(NEXT) | instid1(VALU_DEP_1)
	v_fmac_f32_e32 v8, v8, v9
	v_sub_f32_e32 v9, 0x3fc90fdb, v8
	s_delay_alu instid0(VALU_DEP_1) | instskip(SKIP_1) | instid1(VALU_DEP_2)
	v_cndmask_b32_e64 v8, v8, v9, s1
	v_cmp_gt_f32_e64 s1, 0, v30
	v_sub_f32_e32 v9, 0x40490fdb, v8
	s_delay_alu instid0(VALU_DEP_2) | instskip(NEXT) | instid1(VALU_DEP_2)
	v_cndmask_b32_e64 v27, 0x3f490fdb, v26, s1
	v_cndmask_b32_e64 v8, v8, v9, s1
	v_cmp_eq_f32_e64 s1, 0, v7
	s_delay_alu instid0(VALU_DEP_1)
	v_cndmask_b32_e64 v8, v8, v28, s1
	s_and_b32 s1, s2, s4
	s_delay_alu instid0(VALU_DEP_1) | instid1(SALU_CYCLE_1)
	v_cndmask_b32_e64 v8, v8, v27, s1
	v_cmp_o_f32_e64 s1, v30, v7
	s_delay_alu instid0(VALU_DEP_1) | instskip(NEXT) | instid1(VALU_DEP_1)
	v_cndmask_b32_e64 v8, 0x7fc00000, v8, s1
	v_bfi_b32 v7, 0x7fffffff, v8, v7
	v_add_co_u32 v8, s1, v14, s6
	s_delay_alu instid0(VALU_DEP_1)
	v_add_co_ci_u32_e64 v9, s1, s7, v15, s1
	global_store_b64 v[8:9], v[6:7], off
	s_or_b32 exec_lo, exec_lo, s3
	s_and_saveexec_b32 s2, s0
	s_cbranch_execz .LBB205_64
.LBB205_71:                             ;   in Loop: Header=BB205_33 Depth=1
	v_max_f32_e64 v6, |v33|, |v33|
	v_frexp_mant_f32_e32 v7, v35
	v_frexp_exp_i32_f32_e32 v8, v35
	v_cmp_gt_f32_e64 s0, |v5|, |v33|
	v_cmp_gt_i32_e64 s1, 0, v33
	v_cmp_class_f32_e64 s3, v33, 0x204
	v_rcp_f32_e32 v7, v7
	v_min_f32_e32 v6, v6, v34
	s_delay_alu instid0(VALU_DEP_1)
	v_frexp_mant_f32_e32 v9, v6
	s_waitcnt_depctr 0xfff
	v_mul_f32_e32 v7, v9, v7
	v_frexp_exp_i32_f32_e32 v6, v6
	v_cndmask_b32_e64 v9, 0, 0x40490fdb, s1
	v_cmp_class_f32_e64 s1, v5, 0x204
	s_delay_alu instid0(VALU_DEP_3) | instskip(NEXT) | instid1(VALU_DEP_1)
	v_sub_nc_u32_e32 v6, v6, v8
	v_ldexp_f32 v6, v7, v6
	s_delay_alu instid0(VALU_DEP_1) | instskip(NEXT) | instid1(VALU_DEP_1)
	v_mul_f32_e32 v7, v6, v6
	v_fmaak_f32 v8, s20, v7, 0xbc7a590c
	s_delay_alu instid0(VALU_DEP_1) | instskip(NEXT) | instid1(VALU_DEP_1)
	v_fmaak_f32 v8, v7, v8, 0x3d29fb3f
	v_fmaak_f32 v8, v7, v8, 0xbd97d4d7
	s_delay_alu instid0(VALU_DEP_1) | instskip(NEXT) | instid1(VALU_DEP_1)
	v_fmaak_f32 v8, v7, v8, 0x3dd931b2
	v_fmaak_f32 v8, v7, v8, 0xbe1160e6
	s_delay_alu instid0(VALU_DEP_1) | instskip(NEXT) | instid1(VALU_DEP_1)
	v_fmaak_f32 v8, v7, v8, 0x3e4cb8bf
	v_fmaak_f32 v8, v7, v8, 0xbeaaaa62
	s_delay_alu instid0(VALU_DEP_1) | instskip(NEXT) | instid1(VALU_DEP_1)
	v_mul_f32_e32 v7, v7, v8
	v_fmac_f32_e32 v6, v6, v7
	s_delay_alu instid0(VALU_DEP_1) | instskip(NEXT) | instid1(VALU_DEP_1)
	v_sub_f32_e32 v7, 0x3fc90fdb, v6
	v_cndmask_b32_e64 v6, v6, v7, s0
	v_cmp_gt_f32_e64 s0, 0, v33
	s_delay_alu instid0(VALU_DEP_2) | instskip(NEXT) | instid1(VALU_DEP_2)
	v_sub_f32_e32 v7, 0x40490fdb, v6
	v_cndmask_b32_e64 v8, 0x3f490fdb, v26, s0
	s_delay_alu instid0(VALU_DEP_2) | instskip(SKIP_1) | instid1(VALU_DEP_1)
	v_cndmask_b32_e64 v6, v6, v7, s0
	v_cmp_eq_f32_e64 s0, 0, v5
	v_cndmask_b32_e64 v6, v6, v9, s0
	s_and_b32 s0, s1, s3
	s_delay_alu instid0(VALU_DEP_1) | instid1(SALU_CYCLE_1)
	v_cndmask_b32_e64 v6, v6, v8, s0
	v_cmp_o_f32_e64 s0, v33, v5
	s_delay_alu instid0(VALU_DEP_1) | instskip(NEXT) | instid1(VALU_DEP_1)
	v_cndmask_b32_e64 v6, 0x7fc00000, v6, s0
	v_bfi_b32 v5, 0x7fffffff, v6, v5
	v_add_co_u32 v6, s0, v24, s6
	s_delay_alu instid0(VALU_DEP_1)
	v_add_co_ci_u32_e64 v7, s0, s7, v25, s0
	global_store_b64 v[6:7], v[4:5], off offset:-4
	s_or_b32 exec_lo, exec_lo, s2
	s_and_saveexec_b32 s1, vcc_lo
	s_cbranch_execz .LBB205_32
.LBB205_72:                             ;   in Loop: Header=BB205_33 Depth=1
	v_max_f32_e64 v4, |v36|, |v36|
	v_frexp_mant_f32_e32 v5, v38
	v_frexp_exp_i32_f32_e32 v6, v38
	v_cmp_gt_i32_e64 s0, 0, v36
	v_cmp_gt_f32_e64 vcc_lo, |v3|, |v36|
	v_min_f32_e32 v4, v4, v37
	v_rcp_f32_e32 v5, v5
	v_cmp_class_f32_e64 s2, v36, 0x204
	s_delay_alu instid0(VALU_DEP_2)
	v_frexp_mant_f32_e32 v7, v4
	v_frexp_exp_i32_f32_e32 v4, v4
	s_waitcnt_depctr 0xfff
	v_mul_f32_e32 v5, v7, v5
	v_sub_nc_u32_e32 v4, v4, v6
	v_cndmask_b32_e64 v7, 0, 0x40490fdb, s0
	v_cmp_class_f32_e64 s0, v3, 0x204
	s_delay_alu instid0(VALU_DEP_3) | instskip(NEXT) | instid1(VALU_DEP_1)
	v_ldexp_f32 v4, v5, v4
	v_mul_f32_e32 v5, v4, v4
	s_delay_alu instid0(VALU_DEP_1) | instskip(NEXT) | instid1(VALU_DEP_1)
	v_fmaak_f32 v6, s20, v5, 0xbc7a590c
	v_fmaak_f32 v6, v5, v6, 0x3d29fb3f
	s_delay_alu instid0(VALU_DEP_1) | instskip(NEXT) | instid1(VALU_DEP_1)
	v_fmaak_f32 v6, v5, v6, 0xbd97d4d7
	v_fmaak_f32 v6, v5, v6, 0x3dd931b2
	;; [unrolled: 3-line block ×3, first 2 shown]
	s_delay_alu instid0(VALU_DEP_1) | instskip(NEXT) | instid1(VALU_DEP_1)
	v_fmaak_f32 v6, v5, v6, 0xbeaaaa62
	v_mul_f32_e32 v5, v5, v6
	s_delay_alu instid0(VALU_DEP_1) | instskip(NEXT) | instid1(VALU_DEP_1)
	v_fmac_f32_e32 v4, v4, v5
	v_sub_f32_e32 v5, 0x3fc90fdb, v4
	s_delay_alu instid0(VALU_DEP_1) | instskip(SKIP_2) | instid1(VALU_DEP_3)
	v_cndmask_b32_e32 v4, v4, v5, vcc_lo
	v_cmp_gt_f32_e32 vcc_lo, 0, v36
	v_cndmask_b32_e32 v6, 0x3f490fdb, v26, vcc_lo
	v_sub_f32_e32 v5, 0x40490fdb, v4
	s_delay_alu instid0(VALU_DEP_1) | instskip(SKIP_1) | instid1(VALU_DEP_2)
	v_cndmask_b32_e32 v4, v4, v5, vcc_lo
	v_cmp_eq_f32_e32 vcc_lo, 0, v3
	v_cndmask_b32_e32 v4, v4, v7, vcc_lo
	s_and_b32 vcc_lo, s0, s2
	s_delay_alu instid0(VALU_DEP_1) | instskip(SKIP_1) | instid1(VALU_DEP_2)
	v_cndmask_b32_e32 v4, v4, v6, vcc_lo
	v_cmp_o_f32_e32 vcc_lo, v36, v3
	v_cndmask_b32_e32 v4, 0x7fc00000, v4, vcc_lo
	s_delay_alu instid0(VALU_DEP_1)
	v_bfi_b32 v3, 0x7fffffff, v4, v3
	v_add_co_u32 v4, vcc_lo, v20, s6
	v_add_co_ci_u32_e32 v5, vcc_lo, s7, v21, vcc_lo
	global_store_b64 v[4:5], v[2:3], off offset:-4
	s_branch .LBB205_32
.LBB205_73:
	s_nop 0
	s_sendmsg sendmsg(MSG_DEALLOC_VGPRS)
	s_endpgm
	.section	.rodata,"a",@progbits
	.p2align	6, 0x0
	.amdhsa_kernel _ZN2at6native12_GLOBAL__N_125multi_tensor_apply_kernelINS1_18TensorListMetadataILi2EEENS1_14UnaryOpFunctorIN3c107complexIfEELi2ELi1ELi1EEEJNS0_5Log1pIS8_EEEEEvT_T0_DpT1_
		.amdhsa_group_segment_fixed_size 0
		.amdhsa_private_segment_fixed_size 0
		.amdhsa_kernarg_size 3408
		.amdhsa_user_sgpr_count 15
		.amdhsa_user_sgpr_dispatch_ptr 0
		.amdhsa_user_sgpr_queue_ptr 0
		.amdhsa_user_sgpr_kernarg_segment_ptr 1
		.amdhsa_user_sgpr_dispatch_id 0
		.amdhsa_user_sgpr_private_segment_size 0
		.amdhsa_wavefront_size32 1
		.amdhsa_uses_dynamic_stack 0
		.amdhsa_enable_private_segment 0
		.amdhsa_system_sgpr_workgroup_id_x 1
		.amdhsa_system_sgpr_workgroup_id_y 0
		.amdhsa_system_sgpr_workgroup_id_z 0
		.amdhsa_system_sgpr_workgroup_info 0
		.amdhsa_system_vgpr_workitem_id 0
		.amdhsa_next_free_vgpr 51
		.amdhsa_next_free_sgpr 25
		.amdhsa_reserve_vcc 1
		.amdhsa_float_round_mode_32 0
		.amdhsa_float_round_mode_16_64 0
		.amdhsa_float_denorm_mode_32 3
		.amdhsa_float_denorm_mode_16_64 3
		.amdhsa_dx10_clamp 1
		.amdhsa_ieee_mode 1
		.amdhsa_fp16_overflow 0
		.amdhsa_workgroup_processor_mode 1
		.amdhsa_memory_ordered 1
		.amdhsa_forward_progress 0
		.amdhsa_shared_vgpr_count 0
		.amdhsa_exception_fp_ieee_invalid_op 0
		.amdhsa_exception_fp_denorm_src 0
		.amdhsa_exception_fp_ieee_div_zero 0
		.amdhsa_exception_fp_ieee_overflow 0
		.amdhsa_exception_fp_ieee_underflow 0
		.amdhsa_exception_fp_ieee_inexact 0
		.amdhsa_exception_int_div_zero 0
	.end_amdhsa_kernel
	.section	.text._ZN2at6native12_GLOBAL__N_125multi_tensor_apply_kernelINS1_18TensorListMetadataILi2EEENS1_14UnaryOpFunctorIN3c107complexIfEELi2ELi1ELi1EEEJNS0_5Log1pIS8_EEEEEvT_T0_DpT1_,"axG",@progbits,_ZN2at6native12_GLOBAL__N_125multi_tensor_apply_kernelINS1_18TensorListMetadataILi2EEENS1_14UnaryOpFunctorIN3c107complexIfEELi2ELi1ELi1EEEJNS0_5Log1pIS8_EEEEEvT_T0_DpT1_,comdat
.Lfunc_end205:
	.size	_ZN2at6native12_GLOBAL__N_125multi_tensor_apply_kernelINS1_18TensorListMetadataILi2EEENS1_14UnaryOpFunctorIN3c107complexIfEELi2ELi1ELi1EEEJNS0_5Log1pIS8_EEEEEvT_T0_DpT1_, .Lfunc_end205-_ZN2at6native12_GLOBAL__N_125multi_tensor_apply_kernelINS1_18TensorListMetadataILi2EEENS1_14UnaryOpFunctorIN3c107complexIfEELi2ELi1ELi1EEEJNS0_5Log1pIS8_EEEEEvT_T0_DpT1_
                                        ; -- End function
	.section	.AMDGPU.csdata,"",@progbits
; Kernel info:
; codeLenInByte = 12712
; NumSgprs: 27
; NumVgprs: 51
; ScratchSize: 0
; MemoryBound: 0
; FloatMode: 240
; IeeeMode: 1
; LDSByteSize: 0 bytes/workgroup (compile time only)
; SGPRBlocks: 3
; VGPRBlocks: 6
; NumSGPRsForWavesPerEU: 27
; NumVGPRsForWavesPerEU: 51
; Occupancy: 16
; WaveLimiterHint : 0
; COMPUTE_PGM_RSRC2:SCRATCH_EN: 0
; COMPUTE_PGM_RSRC2:USER_SGPR: 15
; COMPUTE_PGM_RSRC2:TRAP_HANDLER: 0
; COMPUTE_PGM_RSRC2:TGID_X_EN: 1
; COMPUTE_PGM_RSRC2:TGID_Y_EN: 0
; COMPUTE_PGM_RSRC2:TGID_Z_EN: 0
; COMPUTE_PGM_RSRC2:TIDIG_COMP_CNT: 0
	.section	.text._ZN2at6native12_GLOBAL__N_125multi_tensor_apply_kernelINS1_18TensorListMetadataILi2EEENS1_14UnaryOpFunctorIN3c104HalfELi2ELi1ELi1EEEJNS0_5Log1pIfEEEEEvT_T0_DpT1_,"axG",@progbits,_ZN2at6native12_GLOBAL__N_125multi_tensor_apply_kernelINS1_18TensorListMetadataILi2EEENS1_14UnaryOpFunctorIN3c104HalfELi2ELi1ELi1EEEJNS0_5Log1pIfEEEEEvT_T0_DpT1_,comdat
	.globl	_ZN2at6native12_GLOBAL__N_125multi_tensor_apply_kernelINS1_18TensorListMetadataILi2EEENS1_14UnaryOpFunctorIN3c104HalfELi2ELi1ELi1EEEJNS0_5Log1pIfEEEEEvT_T0_DpT1_ ; -- Begin function _ZN2at6native12_GLOBAL__N_125multi_tensor_apply_kernelINS1_18TensorListMetadataILi2EEENS1_14UnaryOpFunctorIN3c104HalfELi2ELi1ELi1EEEJNS0_5Log1pIfEEEEEvT_T0_DpT1_
	.p2align	8
	.type	_ZN2at6native12_GLOBAL__N_125multi_tensor_apply_kernelINS1_18TensorListMetadataILi2EEENS1_14UnaryOpFunctorIN3c104HalfELi2ELi1ELi1EEEJNS0_5Log1pIfEEEEEvT_T0_DpT1_,@function
_ZN2at6native12_GLOBAL__N_125multi_tensor_apply_kernelINS1_18TensorListMetadataILi2EEENS1_14UnaryOpFunctorIN3c104HalfELi2ELi1ELi1EEEJNS0_5Log1pIfEEEEEvT_T0_DpT1_: ; @_ZN2at6native12_GLOBAL__N_125multi_tensor_apply_kernelINS1_18TensorListMetadataILi2EEENS1_14UnaryOpFunctorIN3c104HalfELi2ELi1ELi1EEEJNS0_5Log1pIfEEEEEvT_T0_DpT1_
; %bb.0:
	v_mov_b32_e32 v1, s15
	s_add_u32 s2, s0, s15
	s_mul_hi_u32 s3, s15, 3
	s_mul_i32 s15, s15, 3
	s_addc_u32 s4, s1, 0
	global_load_u8 v1, v1, s[0:1] offset:1536
	s_add_u32 s2, s2, s15
	s_addc_u32 s3, s4, s3
	s_mov_b32 s19, 0
	s_load_b32 s2, s[2:3], 0x740
	s_mov_b32 s21, s19
	s_mov_b32 s23, s19
	s_waitcnt vmcnt(0)
	v_readfirstlane_b32 s5, v1
	s_delay_alu instid0(VALU_DEP_1)
	s_lshl_b32 s3, s5, 3
	s_clause 0x2
	s_load_b64 s[10:11], s[0:1], s3 offset:0x0
	s_load_b64 s[12:13], s[0:1], s3 offset:0x200
	;; [unrolled: 1-line block ×3, first 2 shown]
	s_waitcnt lgkmcnt(0)
	s_ashr_i32 s3, s2, 31
	s_delay_alu instid0(SALU_CYCLE_1) | instskip(NEXT) | instid1(SALU_CYCLE_1)
	s_lshl_b64 s[6:7], s[2:3], 17
	s_add_u32 s5, s10, s6
	s_addc_u32 s14, s11, s7
	s_and_b32 s18, s5, 7
	s_add_u32 s15, s12, s6
	s_addc_u32 s16, s13, s7
	s_and_b32 s20, s8, 3
	s_and_b32 s22, s15, 7
	s_or_b64 s[18:19], s[18:19], s[20:21]
	s_lshl_b64 s[2:3], s[2:3], 16
	s_or_b64 s[18:19], s[22:23], s[18:19]
	s_sub_u32 s8, s8, s2
	s_subb_u32 s9, s9, s3
	s_cmp_eq_u64 s[18:19], 0
	s_mov_b32 s2, -1
	s_cbranch_scc0 .LBB206_5
; %bb.1:
	v_dual_mov_b32 v2, 0 :: v_dual_lshlrev_b32 v1, 2, v0
	s_mov_b32 s17, exec_lo
	s_delay_alu instid0(VALU_DEP_1)
	v_cmpx_gt_i64_e64 s[8:9], v[1:2]
	s_cbranch_execz .LBB206_4
; %bb.2:
	s_load_b32 s2, s[0:1], 0xc5c
	v_lshlrev_b32_e32 v5, 3, v0
	s_mov_b32 s18, 0
	s_mov_b32 s21, 0x3e9b6dac
	s_waitcnt lgkmcnt(0)
	s_and_b32 s2, s2, 0xffff
	s_delay_alu instid0(SALU_CYCLE_1)
	v_add_lshl_u32 v1, v0, s2, 2
	s_lshl_b32 s19, s2, 2
	s_lshl_b32 s20, s2, 3
.LBB206_3:                              ; =>This Inner Loop Header: Depth=1
	v_add_co_u32 v3, s2, s5, v5
	s_delay_alu instid0(VALU_DEP_1)
	v_add_co_ci_u32_e64 v4, null, s14, 0, s2
	v_cmp_le_i64_e32 vcc_lo, s[8:9], v[1:2]
	v_cmp_lt_u64_e64 s2, 0xffff, v[1:2]
	v_add_co_u32 v6, s3, s15, v5
	global_load_b64 v[3:4], v[3:4], off
	v_add_co_ci_u32_e64 v7, null, s16, 0, s3
	s_or_b32 s22, vcc_lo, s2
	v_add_co_u32 v1, s3, v1, s19
	s_delay_alu instid0(VALU_DEP_1)
	v_add_co_ci_u32_e64 v2, s3, 0, v2, s3
	s_add_u32 s5, s5, s20
	s_addc_u32 s14, s14, 0
	s_add_u32 s15, s15, s20
	s_addc_u32 s16, s16, 0
	s_waitcnt vmcnt(0)
	v_lshrrev_b32_e32 v19, 16, v4
	v_cvt_f32_f16_e32 v16, v3
	v_cvt_f32_f16_e32 v18, v4
	v_lshrrev_b32_e32 v17, 16, v3
	s_delay_alu instid0(VALU_DEP_4) | instskip(NEXT) | instid1(VALU_DEP_3)
	v_cvt_f32_f16_e32 v23, v19
	v_add_f32_e32 v22, 1.0, v18
	s_delay_alu instid0(VALU_DEP_3) | instskip(NEXT) | instid1(VALU_DEP_3)
	v_cvt_f32_f16_e32 v21, v17
	v_dual_add_f32 v29, 1.0, v23 :: v_dual_add_f32 v20, 1.0, v16
	s_delay_alu instid0(VALU_DEP_3) | instskip(SKIP_1) | instid1(VALU_DEP_4)
	v_add_f32_e32 v27, -1.0, v22
	v_cvt_f64_f32_e32 v[10:11], v22
	v_add_f32_e32 v26, 1.0, v21
	s_delay_alu instid0(VALU_DEP_4)
	v_cvt_f64_f32_e32 v[14:15], v29
	v_cvt_f64_f32_e32 v[8:9], v20
	v_sub_f32_e32 v33, v27, v22
	v_frexp_mant_f32_e32 v25, v20
	v_cvt_f64_f32_e32 v[12:13], v26
	v_dual_add_f32 v24, -1.0, v20 :: v_dual_add_f32 v31, -1.0, v26
	v_frexp_mant_f32_e32 v28, v22
	s_delay_alu instid0(VALU_DEP_4) | instskip(SKIP_1) | instid1(VALU_DEP_4)
	v_cmp_gt_f32_e64 s2, 0x3f2aaaab, v25
	v_add_f32_e32 v34, -1.0, v29
	v_dual_sub_f32 v30, v24, v20 :: v_dual_sub_f32 v27, v18, v27
	s_delay_alu instid0(VALU_DEP_4) | instskip(SKIP_2) | instid1(VALU_DEP_4)
	v_cmp_gt_f32_e32 vcc_lo, 0x3f2aaaab, v28
	v_frexp_mant_f32_e32 v32, v26
	v_frexp_mant_f32_e32 v35, v29
	v_dual_add_f32 v30, 1.0, v30 :: v_dual_add_f32 v33, 1.0, v33
	v_dual_sub_f32 v36, v31, v26 :: v_dual_sub_f32 v31, v21, v31
	v_dual_sub_f32 v24, v16, v24 :: v_dual_sub_f32 v37, v34, v29
	v_cmp_gt_f32_e64 s3, 0x3f2aaaab, v32
	v_cmp_gt_f32_e64 s4, 0x3f2aaaab, v35
	v_add_f32_e32 v27, v27, v33
	s_delay_alu instid0(VALU_DEP_4) | instskip(SKIP_4) | instid1(VALU_DEP_4)
	v_dual_add_f32 v37, 1.0, v37 :: v_dual_add_f32 v36, 1.0, v36
	v_frexp_exp_i32_f64_e32 v8, v[8:9]
	v_frexp_exp_i32_f64_e32 v9, v[10:11]
	;; [unrolled: 1-line block ×4, first 2 shown]
	v_subrev_co_ci_u32_e64 v8, s2, 0, v8, s2
	s_delay_alu instid0(VALU_DEP_4) | instskip(NEXT) | instid1(VALU_DEP_3)
	v_subrev_co_ci_u32_e32 v9, vcc_lo, 0, v9, vcc_lo
	v_subrev_co_ci_u32_e64 v10, vcc_lo, 0, v10, s3
	s_delay_alu instid0(VALU_DEP_3)
	v_sub_nc_u32_e32 v12, 0, v8
	v_cvt_f32_i32_e32 v8, v8
	v_sub_f32_e32 v34, v23, v34
	v_sub_nc_u32_e32 v13, 0, v9
	v_cvt_f32_i32_e32 v9, v9
	v_subrev_co_ci_u32_e64 v11, vcc_lo, 0, v11, s4
	v_dual_mul_f32 v15, 0x3f317218, v8 :: v_dual_add_f32 v24, v24, v30
	v_ldexp_f32 v14, v20, v12
	v_dual_add_f32 v30, v31, v36 :: v_dual_add_f32 v31, v34, v37
	v_ldexp_f32 v22, v22, v13
	s_delay_alu instid0(VALU_DEP_4)
	v_ldexp_f32 v12, v24, v12
	v_mul_f32_e32 v24, 0x3f317218, v9
	v_sub_nc_u32_e32 v20, 0, v10
	v_cvt_f32_i32_e32 v10, v10
	v_add_f32_e32 v33, -1.0, v22
	v_ldexp_f32 v13, v27, v13
	v_sub_nc_u32_e32 v25, 0, v11
	v_cvt_f32_i32_e32 v11, v11
	v_add_f32_e32 v27, -1.0, v14
	v_add_f32_e32 v28, 1.0, v14
	v_fma_f32 v35, 0x3f317218, v9, -v24
	v_fma_f32 v32, 0x3f317218, v8, -v15
	v_ldexp_f32 v26, v26, v20
	v_ldexp_f32 v20, v30, v20
	s_delay_alu instid0(VALU_DEP_4)
	v_dual_add_f32 v34, 1.0, v22 :: v_dual_fmac_f32 v35, 0xb102e308, v9
	v_ldexp_f32 v29, v29, v25
	v_ldexp_f32 v25, v31, v25
	v_dual_mul_f32 v31, 0x3f317218, v11 :: v_dual_mul_f32 v30, 0x3f317218, v10
	v_dual_add_f32 v37, -1.0, v28 :: v_dual_add_f32 v36, 1.0, v27
	v_dual_add_f32 v41, -1.0, v34 :: v_dual_fmac_f32 v32, 0xb102e308, v8
	v_dual_add_f32 v9, -1.0, v29 :: v_dual_add_f32 v8, -1.0, v26
	v_add_f32_e32 v38, 1.0, v26
	v_fma_f32 v39, 0x3f317218, v10, -v30
	v_add_f32_e32 v40, 1.0, v33
	v_add_f32_e32 v42, 1.0, v29
	v_fma_f32 v43, 0x3f317218, v11, -v31
	v_sub_f32_e32 v36, v14, v36
	v_dual_sub_f32 v14, v14, v37 :: v_dual_add_f32 v37, v15, v32
	v_fmac_f32_e32 v39, 0xb102e308, v10
	s_delay_alu instid0(VALU_DEP_4) | instskip(NEXT) | instid1(VALU_DEP_4)
	v_fmac_f32_e32 v43, 0xb102e308, v11
	v_add_f32_e32 v11, v12, v36
	s_delay_alu instid0(VALU_DEP_4)
	v_add_f32_e32 v12, v12, v14
	v_add_f32_e32 v46, -1.0, v42
	v_sub_f32_e32 v10, v22, v40
	v_sub_f32_e32 v22, v22, v41
	v_dual_add_f32 v44, 1.0, v8 :: v_dual_add_f32 v41, 1.0, v9
	v_dual_add_f32 v45, -1.0, v38 :: v_dual_sub_f32 v14, v37, v15
	s_delay_alu instid0(VALU_DEP_4) | instskip(NEXT) | instid1(VALU_DEP_4)
	v_add_f32_e32 v10, v13, v10
	v_dual_add_f32 v13, v13, v22 :: v_dual_add_f32 v40, v24, v35
	s_delay_alu instid0(VALU_DEP_4) | instskip(NEXT) | instid1(VALU_DEP_4)
	v_sub_f32_e32 v15, v26, v44
	v_dual_sub_f32 v26, v26, v45 :: v_dual_add_f32 v45, v28, v12
	v_cmp_eq_f16_e32 vcc_lo, 0x7c00, v4
	s_delay_alu instid0(VALU_DEP_4) | instskip(NEXT) | instid1(VALU_DEP_4)
	v_sub_f32_e32 v22, v40, v24
	v_dual_add_f32 v15, v20, v15 :: v_dual_sub_f32 v24, v29, v41
	s_delay_alu instid0(VALU_DEP_4)
	v_add_f32_e32 v20, v20, v26
	v_sub_f32_e32 v29, v29, v46
	v_add_f32_e32 v41, v31, v43
	v_cmp_eq_f16_e64 s2, 0x7c00, v3
	v_add_f32_e32 v24, v25, v24
	v_add_f32_e32 v36, v30, v39
	;; [unrolled: 1-line block ×3, first 2 shown]
	v_dual_add_f32 v44, v27, v11 :: v_dual_add_f32 v25, v25, v29
	s_delay_alu instid0(VALU_DEP_3) | instskip(SKIP_1) | instid1(VALU_DEP_3)
	v_dual_add_f32 v47, v9, v24 :: v_dual_sub_f32 v26, v36, v30
	v_sub_f32_e32 v29, v41, v31
	v_dual_sub_f32 v27, v44, v27 :: v_dual_add_f32 v48, v42, v25
	s_delay_alu instid0(VALU_DEP_3) | instskip(SKIP_1) | instid1(VALU_DEP_3)
	v_sub_f32_e32 v9, v47, v9
	v_dual_sub_f32 v22, v35, v22 :: v_dual_add_f32 v35, v8, v15
	v_sub_f32_e32 v11, v11, v27
	v_sub_f32_e32 v27, v46, v38
	v_add_f32_e32 v30, v33, v10
	v_rcp_f32_e32 v31, v45
	v_sub_f32_e32 v8, v35, v8
	v_sub_f32_e32 v29, v43, v29
	v_cmp_eq_f16_e64 s3, 0x7c00, v19
	v_cmp_ngt_f16_e64 s4, -1.0, v3
	s_delay_alu instid0(VALU_DEP_4) | instskip(SKIP_2) | instid1(VALU_DEP_2)
	v_dual_sub_f32 v8, v15, v8 :: v_dual_sub_f32 v15, v20, v27
	v_dual_sub_f32 v33, v30, v33 :: v_dual_sub_f32 v14, v32, v14
	v_add_f32_e32 v32, v34, v13
	v_dual_sub_f32 v10, v10, v33 :: v_dual_sub_f32 v33, v48, v42
	v_sub_f32_e32 v9, v24, v9
	s_delay_alu instid0(VALU_DEP_2) | instskip(SKIP_1) | instid1(VALU_DEP_1)
	v_sub_f32_e32 v24, v25, v33
	v_mul_f32_e32 v38, v44, v31
	v_mul_f32_e32 v25, v45, v38
	v_sub_f32_e32 v28, v45, v28
	s_delay_alu instid0(VALU_DEP_1) | instskip(SKIP_3) | instid1(VALU_DEP_1)
	v_sub_f32_e32 v12, v12, v28
	v_rcp_f32_e32 v28, v46
	s_waitcnt_depctr 0xfff
	v_dual_sub_f32 v34, v32, v34 :: v_dual_mul_f32 v27, v35, v28
	v_sub_f32_e32 v13, v13, v34
	v_sub_f32_e32 v26, v39, v26
	v_rcp_f32_e32 v39, v32
	s_delay_alu instid0(VALU_DEP_3) | instskip(NEXT) | instid1(VALU_DEP_1)
	v_mul_f32_e32 v49, v46, v27
	v_fma_f32 v52, v27, v46, -v49
	s_waitcnt_depctr 0xfff
	v_mul_f32_e32 v20, v30, v39
	s_delay_alu instid0(VALU_DEP_1) | instskip(NEXT) | instid1(VALU_DEP_1)
	v_mul_f32_e32 v33, v32, v20
	v_fma_f32 v50, v20, v32, -v33
	s_delay_alu instid0(VALU_DEP_1) | instskip(NEXT) | instid1(VALU_DEP_1)
	v_fmac_f32_e32 v50, v20, v13
	v_add_f32_e32 v55, v33, v50
	v_rcp_f32_e32 v34, v48
	s_delay_alu instid0(VALU_DEP_1) | instskip(NEXT) | instid1(VALU_DEP_1)
	v_sub_f32_e32 v33, v55, v33
	v_dual_fmac_f32 v52, v27, v15 :: v_dual_sub_f32 v33, v33, v50
	s_waitcnt_depctr 0xfff
	v_dual_add_f32 v57, v49, v52 :: v_dual_mul_f32 v42, v47, v34
	s_delay_alu instid0(VALU_DEP_1) | instskip(NEXT) | instid1(VALU_DEP_1)
	v_mul_f32_e32 v51, v48, v42
	v_fma_f32 v53, v42, v48, -v51
	s_delay_alu instid0(VALU_DEP_1) | instskip(SKIP_1) | instid1(VALU_DEP_2)
	v_fmac_f32_e32 v53, v42, v24
	v_fma_f32 v43, v38, v45, -v25
	v_add_f32_e32 v59, v51, v53
	s_delay_alu instid0(VALU_DEP_1) | instskip(NEXT) | instid1(VALU_DEP_1)
	v_dual_fmac_f32 v43, v38, v12 :: v_dual_sub_f32 v50, v59, v51
	v_add_f32_e32 v54, v25, v43
	v_sub_f32_e32 v51, v47, v59
	s_delay_alu instid0(VALU_DEP_2) | instskip(NEXT) | instid1(VALU_DEP_2)
	v_dual_sub_f32 v25, v54, v25 :: v_dual_sub_f32 v56, v44, v54
	v_sub_f32_e32 v47, v47, v51
	s_delay_alu instid0(VALU_DEP_2) | instskip(SKIP_3) | instid1(VALU_DEP_3)
	v_sub_f32_e32 v25, v25, v43
	v_sub_f32_e32 v43, v57, v49
	v_dual_sub_f32 v49, v35, v57 :: v_dual_sub_f32 v58, v30, v55
	v_sub_f32_e32 v44, v44, v56
	v_sub_f32_e32 v43, v43, v52
	s_delay_alu instid0(VALU_DEP_3) | instskip(NEXT) | instid1(VALU_DEP_1)
	v_dual_sub_f32 v35, v35, v49 :: v_dual_sub_f32 v30, v30, v58
	v_dual_sub_f32 v44, v44, v54 :: v_dual_sub_f32 v35, v35, v57
	s_delay_alu instid0(VALU_DEP_1) | instskip(NEXT) | instid1(VALU_DEP_1)
	v_dual_sub_f32 v30, v30, v55 :: v_dual_add_f32 v11, v11, v44
	v_add_f32_e32 v10, v10, v30
	v_sub_f32_e32 v30, v47, v59
	s_delay_alu instid0(VALU_DEP_3) | instskip(NEXT) | instid1(VALU_DEP_2)
	v_add_f32_e32 v11, v25, v11
	v_dual_add_f32 v9, v9, v30 :: v_dual_sub_f32 v50, v50, v53
	s_delay_alu instid0(VALU_DEP_2) | instskip(SKIP_1) | instid1(VALU_DEP_3)
	v_add_f32_e32 v25, v56, v11
	v_add_f32_e32 v8, v8, v35
	v_dual_add_f32 v10, v33, v10 :: v_dual_add_f32 v9, v50, v9
	s_delay_alu instid0(VALU_DEP_3) | instskip(NEXT) | instid1(VALU_DEP_2)
	v_sub_f32_e32 v35, v56, v25
	v_dual_mul_f32 v33, v31, v25 :: v_dual_add_f32 v30, v58, v10
	s_delay_alu instid0(VALU_DEP_4) | instskip(NEXT) | instid1(VALU_DEP_2)
	v_add_f32_e32 v8, v43, v8
	v_dual_add_f32 v11, v11, v35 :: v_dual_mul_f32 v52, v45, v33
	s_delay_alu instid0(VALU_DEP_3) | instskip(NEXT) | instid1(VALU_DEP_3)
	v_sub_f32_e32 v47, v58, v30
	v_dual_add_f32 v43, v49, v8 :: v_dual_mul_f32 v44, v39, v30
	v_add_f32_e32 v35, v38, v33
	v_add_f32_e32 v50, v51, v9
	s_delay_alu instid0(VALU_DEP_4) | instskip(NEXT) | instid1(VALU_DEP_4)
	v_add_f32_e32 v10, v10, v47
	v_dual_sub_f32 v49, v49, v43 :: v_dual_mul_f32 v54, v32, v44
	v_mul_f32_e32 v53, v28, v43
	v_add_f32_e32 v47, v20, v44
	s_delay_alu instid0(VALU_DEP_3) | instskip(NEXT) | instid1(VALU_DEP_3)
	v_dual_mul_f32 v55, v34, v50 :: v_dual_add_f32 v8, v8, v49
	v_dual_sub_f32 v51, v51, v50 :: v_dual_mul_f32 v56, v46, v53
	v_fma_f32 v45, v33, v45, -v52
	v_fma_f32 v32, v44, v32, -v54
	s_delay_alu instid0(VALU_DEP_4) | instskip(SKIP_2) | instid1(VALU_DEP_4)
	v_dual_sub_f32 v38, v35, v38 :: v_dual_mul_f32 v57, v48, v55
	v_add_f32_e32 v49, v27, v53
	v_dual_sub_f32 v20, v47, v20 :: v_dual_add_f32 v9, v9, v51
	v_dual_add_f32 v51, v42, v55 :: v_dual_fmac_f32 v32, v44, v13
	v_fmac_f32_e32 v45, v33, v12
	v_sub_f32_e32 v12, v33, v38
	v_fma_f32 v33, v53, v46, -v56
	s_delay_alu instid0(VALU_DEP_4) | instskip(NEXT) | instid1(VALU_DEP_4)
	v_dual_sub_f32 v38, v51, v42 :: v_dual_sub_f32 v27, v49, v27
	v_add_f32_e32 v42, v52, v45
	v_sub_f32_e32 v13, v44, v20
	v_fma_f32 v20, v55, v48, -v57
	v_fmac_f32_e32 v33, v53, v15
	v_sub_f32_e32 v15, v53, v27
	v_dual_add_f32 v27, v54, v32 :: v_dual_sub_f32 v44, v25, v42
	s_delay_alu instid0(VALU_DEP_4)
	v_fmac_f32_e32 v20, v55, v24
	v_sub_f32_e32 v24, v55, v38
	v_sub_f32_e32 v38, v42, v52
	v_add_f32_e32 v46, v56, v33
	v_dual_sub_f32 v48, v27, v54 :: v_dual_sub_f32 v25, v25, v44
	v_dual_sub_f32 v52, v30, v27 :: v_dual_add_f32 v53, v57, v20
	s_delay_alu instid0(VALU_DEP_3) | instskip(NEXT) | instid1(VALU_DEP_3)
	v_sub_f32_e32 v54, v43, v46
	v_dual_sub_f32 v32, v48, v32 :: v_dual_sub_f32 v25, v25, v42
	s_delay_alu instid0(VALU_DEP_3) | instskip(NEXT) | instid1(VALU_DEP_4)
	v_sub_f32_e32 v30, v30, v52
	v_sub_f32_e32 v55, v50, v53
	;; [unrolled: 1-line block ×3, first 2 shown]
	s_delay_alu instid0(VALU_DEP_4) | instskip(NEXT) | instid1(VALU_DEP_4)
	v_add_f32_e32 v11, v11, v25
	v_sub_f32_e32 v27, v30, v27
	s_delay_alu instid0(VALU_DEP_4) | instskip(NEXT) | instid1(VALU_DEP_2)
	v_sub_f32_e32 v30, v50, v55
	v_add_f32_e32 v10, v10, v27
	s_delay_alu instid0(VALU_DEP_2) | instskip(SKIP_2) | instid1(VALU_DEP_3)
	v_sub_f32_e32 v27, v30, v53
	v_sub_f32_e32 v38, v38, v45
	;; [unrolled: 1-line block ×3, first 2 shown]
	v_dual_add_f32 v9, v9, v27 :: v_dual_sub_f32 v42, v43, v54
	s_delay_alu instid0(VALU_DEP_3) | instskip(NEXT) | instid1(VALU_DEP_3)
	v_dual_add_f32 v11, v38, v11 :: v_dual_sub_f32 v20, v48, v20
	v_sub_f32_e32 v33, v45, v33
	s_delay_alu instid0(VALU_DEP_3) | instskip(NEXT) | instid1(VALU_DEP_3)
	v_sub_f32_e32 v25, v42, v46
	v_add_f32_e32 v11, v44, v11
	s_delay_alu instid0(VALU_DEP_4) | instskip(SKIP_1) | instid1(VALU_DEP_3)
	v_add_f32_e32 v9, v20, v9
	v_add_f32_e32 v10, v32, v10
	v_dual_add_f32 v8, v8, v25 :: v_dual_mul_f32 v11, v31, v11
	s_delay_alu instid0(VALU_DEP_2) | instskip(NEXT) | instid1(VALU_DEP_2)
	v_dual_add_f32 v9, v55, v9 :: v_dual_add_f32 v10, v52, v10
	v_dual_add_f32 v8, v33, v8 :: v_dual_add_f32 v11, v12, v11
	s_delay_alu instid0(VALU_DEP_2) | instskip(NEXT) | instid1(VALU_DEP_1)
	v_dual_mul_f32 v9, v34, v9 :: v_dual_mul_f32 v10, v39, v10
	v_dual_add_f32 v8, v54, v8 :: v_dual_add_f32 v9, v24, v9
	s_delay_alu instid0(VALU_DEP_2) | instskip(NEXT) | instid1(VALU_DEP_2)
	v_add_f32_e32 v10, v13, v10
	v_dual_mul_f32 v8, v28, v8 :: v_dual_add_f32 v31, v51, v9
	s_delay_alu instid0(VALU_DEP_2) | instskip(NEXT) | instid1(VALU_DEP_2)
	v_add_f32_e32 v13, v47, v10
	v_add_f32_e32 v8, v15, v8
	s_delay_alu instid0(VALU_DEP_3) | instskip(NEXT) | instid1(VALU_DEP_3)
	v_ldexp_f32 v39, v31, 1
	v_dual_mul_f32 v27, v13, v13 :: v_dual_add_f32 v12, v35, v11
	s_delay_alu instid0(VALU_DEP_3) | instskip(SKIP_2) | instid1(VALU_DEP_4)
	v_add_f32_e32 v25, v49, v8
	v_sub_f32_e32 v28, v13, v47
	v_ldexp_f32 v30, v13, 1
	v_mul_f32_e32 v13, v13, v27
	v_mul_f32_e32 v15, v12, v12
	v_sub_f32_e32 v20, v12, v35
	v_ldexp_f32 v24, v12, 1
	v_sub_f32_e32 v33, v25, v49
	v_fmaak_f32 v35, s21, v27, 0x3ecc95a3
	s_delay_alu instid0(VALU_DEP_4)
	v_dual_fmaak_f32 v32, s21, v15, 0x3ecc95a3 :: v_dual_sub_f32 v11, v11, v20
	v_mul_f32_e32 v12, v12, v15
	v_mul_f32_e32 v20, v25, v25
	v_sub_f32_e32 v10, v10, v28
	v_mul_f32_e32 v28, v31, v31
	v_ldexp_f32 v34, v25, 1
	v_dual_fmaak_f32 v15, v15, v32, 0x3f2aaada :: v_dual_sub_f32 v8, v8, v33
	v_dual_mul_f32 v25, v25, v20 :: v_dual_sub_f32 v38, v31, v51
	s_delay_alu instid0(VALU_DEP_4) | instskip(SKIP_4) | instid1(VALU_DEP_4)
	v_fmaak_f32 v33, s21, v28, 0x3ecc95a3
	v_fmaak_f32 v32, s21, v20, 0x3ecc95a3
	;; [unrolled: 1-line block ×3, first 2 shown]
	v_dual_mul_f32 v31, v31, v28 :: v_dual_mul_f32 v12, v12, v15
	v_sub_f32_e32 v9, v9, v38
	v_fmaak_f32 v15, v20, v32, 0x3f2aaada
	s_delay_alu instid0(VALU_DEP_4) | instskip(SKIP_2) | instid1(VALU_DEP_4)
	v_dual_fmaak_f32 v20, v28, v33, 0x3f2aaada :: v_dual_mul_f32 v13, v13, v27
	v_ldexp_f32 v11, v11, 1
	v_ldexp_f32 v10, v10, 1
	v_mul_f32_e32 v15, v25, v15
	v_add_f32_e32 v27, v24, v12
	v_mul_f32_e32 v20, v31, v20
	v_ldexp_f32 v8, v8, 1
	v_ldexp_f32 v9, v9, 1
	v_add_f32_e32 v28, v34, v15
	v_dual_sub_f32 v24, v27, v24 :: v_dual_add_f32 v25, v30, v13
	v_add_f32_e32 v31, v39, v20
	s_delay_alu instid0(VALU_DEP_2) | instskip(NEXT) | instid1(VALU_DEP_4)
	v_sub_f32_e32 v12, v12, v24
	v_sub_f32_e32 v24, v28, v34
	s_delay_alu instid0(VALU_DEP_4) | instskip(NEXT) | instid1(VALU_DEP_1)
	v_sub_f32_e32 v30, v25, v30
	v_dual_sub_f32 v13, v13, v30 :: v_dual_sub_f32 v30, v31, v39
	s_delay_alu instid0(VALU_DEP_4) | instskip(NEXT) | instid1(VALU_DEP_4)
	v_add_f32_e32 v11, v11, v12
	v_sub_f32_e32 v12, v15, v24
	s_delay_alu instid0(VALU_DEP_3) | instskip(NEXT) | instid1(VALU_DEP_2)
	v_dual_add_f32 v10, v10, v13 :: v_dual_sub_f32 v13, v20, v30
	v_dual_add_f32 v15, v27, v11 :: v_dual_add_f32 v8, v8, v12
	s_delay_alu instid0(VALU_DEP_2) | instskip(NEXT) | instid1(VALU_DEP_3)
	v_add_f32_e32 v12, v25, v10
	v_add_f32_e32 v9, v9, v13
	s_delay_alu instid0(VALU_DEP_3) | instskip(NEXT) | instid1(VALU_DEP_3)
	v_dual_sub_f32 v13, v15, v27 :: v_dual_add_f32 v24, v28, v8
	v_dual_add_f32 v20, v37, v15 :: v_dual_sub_f32 v25, v12, v25
	s_delay_alu instid0(VALU_DEP_3) | instskip(NEXT) | instid1(VALU_DEP_3)
	v_dual_add_f32 v27, v40, v12 :: v_dual_add_f32 v30, v31, v9
	v_dual_sub_f32 v11, v11, v13 :: v_dual_sub_f32 v28, v24, v28
	s_delay_alu instid0(VALU_DEP_3) | instskip(NEXT) | instid1(VALU_DEP_3)
	v_sub_f32_e32 v13, v20, v37
	v_dual_add_f32 v32, v36, v24 :: v_dual_sub_f32 v31, v30, v31
	v_dual_add_f32 v33, v41, v30 :: v_dual_sub_f32 v10, v10, v25
	s_delay_alu instid0(VALU_DEP_3) | instskip(SKIP_1) | instid1(VALU_DEP_4)
	v_dual_sub_f32 v25, v27, v40 :: v_dual_sub_f32 v34, v20, v13
	v_sub_f32_e32 v8, v8, v28
	v_dual_sub_f32 v28, v32, v36 :: v_dual_sub_f32 v9, v9, v31
	s_delay_alu instid0(VALU_DEP_3)
	v_dual_sub_f32 v35, v27, v25 :: v_dual_sub_f32 v34, v37, v34
	v_sub_f32_e32 v13, v15, v13
	v_dual_add_f32 v15, v14, v11 :: v_dual_sub_f32 v12, v12, v25
	v_add_f32_e32 v25, v22, v10
	v_dual_sub_f32 v31, v33, v41 :: v_dual_sub_f32 v38, v32, v28
	v_sub_f32_e32 v24, v24, v28
	s_delay_alu instid0(VALU_DEP_4) | instskip(SKIP_1) | instid1(VALU_DEP_4)
	v_dual_add_f32 v28, v26, v8 :: v_dual_sub_f32 v37, v15, v14
	v_sub_f32_e32 v35, v40, v35
	v_dual_sub_f32 v39, v25, v22 :: v_dual_sub_f32 v30, v30, v31
	v_sub_f32_e32 v40, v33, v31
	v_dual_add_f32 v31, v29, v9 :: v_dual_sub_f32 v36, v36, v38
	v_dual_add_f32 v13, v13, v34 :: v_dual_sub_f32 v34, v15, v37
	;; [unrolled: 1-line block ×3, first 2 shown]
	v_dual_sub_f32 v10, v10, v39 :: v_dual_sub_f32 v37, v28, v26
	v_sub_f32_e32 v38, v41, v40
	s_delay_alu instid0(VALU_DEP_4) | instskip(SKIP_2) | instid1(VALU_DEP_3)
	v_dual_sub_f32 v35, v25, v39 :: v_dual_sub_f32 v14, v14, v34
	v_sub_f32_e32 v39, v31, v29
	v_dual_add_f32 v13, v15, v13 :: v_dual_add_f32 v12, v25, v12
	v_dual_sub_f32 v22, v22, v35 :: v_dual_add_f32 v15, v24, v36
	v_dual_sub_f32 v24, v28, v37 :: v_dual_add_f32 v25, v30, v38
	s_delay_alu instid0(VALU_DEP_4) | instskip(NEXT) | instid1(VALU_DEP_4)
	v_sub_f32_e32 v30, v31, v39
	v_dual_add_f32 v11, v11, v14 :: v_dual_add_f32 v14, v20, v13
	v_dual_sub_f32 v8, v8, v37 :: v_dual_sub_f32 v9, v9, v39
	s_delay_alu instid0(VALU_DEP_4) | instskip(SKIP_3) | instid1(VALU_DEP_2)
	v_dual_sub_f32 v24, v26, v24 :: v_dual_add_f32 v15, v28, v15
	v_dual_add_f32 v10, v10, v22 :: v_dual_add_f32 v25, v31, v25
	v_sub_f32_e32 v26, v29, v30
	v_sub_f32_e32 v20, v14, v20
	v_dual_add_f32 v22, v27, v12 :: v_dual_add_f32 v9, v9, v26
	s_delay_alu instid0(VALU_DEP_4) | instskip(SKIP_1) | instid1(VALU_DEP_4)
	v_add_f32_e32 v26, v33, v25
	v_add_f32_e32 v8, v8, v24
	v_dual_add_f32 v24, v32, v15 :: v_dual_sub_f32 v13, v13, v20
	s_delay_alu instid0(VALU_DEP_4) | instskip(NEXT) | instid1(VALU_DEP_2)
	v_sub_f32_e32 v27, v22, v27
	v_dual_add_f32 v11, v11, v13 :: v_dual_sub_f32 v20, v24, v32
	s_delay_alu instid0(VALU_DEP_1) | instskip(NEXT) | instid1(VALU_DEP_2)
	v_add_f32_e32 v11, v14, v11
	v_dual_sub_f32 v13, v15, v20 :: v_dual_sub_f32 v12, v12, v27
	v_sub_f32_e32 v27, v26, v33
	s_delay_alu instid0(VALU_DEP_3) | instskip(NEXT) | instid1(VALU_DEP_3)
	v_cvt_f16_f32_e32 v11, v11
	v_add_f32_e32 v10, v10, v12
	s_delay_alu instid0(VALU_DEP_3) | instskip(SKIP_1) | instid1(VALU_DEP_4)
	v_sub_f32_e32 v12, v25, v27
	v_add_f32_e32 v8, v8, v13
	v_cndmask_b32_e64 v11, v11, v3, s2
	v_cmp_eq_f16_e64 s2, 0x7c00, v17
	s_delay_alu instid0(VALU_DEP_4) | instskip(NEXT) | instid1(VALU_DEP_4)
	v_dual_add_f32 v10, v22, v10 :: v_dual_add_f32 v9, v9, v12
	v_add_f32_e32 v8, v24, v8
	s_delay_alu instid0(VALU_DEP_4) | instskip(SKIP_1) | instid1(VALU_DEP_4)
	v_cndmask_b32_e64 v11, 0x7e00, v11, s4
	v_cmp_neq_f16_e64 s4, -1.0, v3
	v_cvt_f16_f32_e32 v10, v10
	v_add_f32_e32 v9, v26, v9
	v_cvt_f16_f32_e32 v8, v8
	s_delay_alu instid0(VALU_DEP_4) | instskip(NEXT) | instid1(VALU_DEP_4)
	v_cndmask_b32_e64 v11, 0xfc00, v11, s4
	v_cndmask_b32_e32 v10, v10, v4, vcc_lo
	v_cmp_ngt_f16_e32 vcc_lo, -1.0, v4
	v_cvt_f16_f32_e32 v9, v9
	v_cndmask_b32_e64 v8, v8, v17, s2
	v_cmp_ngt_f16_e64 s2, -1.0, v17
	v_cmp_gt_f32_e64 s4, 0x33800000, |v16|
	v_cndmask_b32_e32 v10, 0x7e00, v10, vcc_lo
	v_cmp_neq_f16_e32 vcc_lo, -1.0, v4
	v_cndmask_b32_e64 v9, v9, v19, s3
	v_cmp_ngt_f16_e64 s3, -1.0, v19
	v_cndmask_b32_e64 v8, 0x7e00, v8, s2
	v_cmp_neq_f16_e64 s2, -1.0, v17
	v_cndmask_b32_e32 v10, 0xfc00, v10, vcc_lo
	v_cmp_gt_f32_e64 vcc_lo, 0x33800000, |v18|
	v_cndmask_b32_e64 v9, 0x7e00, v9, s3
	v_cmp_neq_f16_e64 s3, -1.0, v19
	v_cndmask_b32_e64 v8, 0xfc00, v8, s2
	v_cmp_gt_f32_e64 s2, 0x33800000, |v21|
	v_cndmask_b32_e32 v4, v10, v4, vcc_lo
	v_cmp_gt_f32_e64 vcc_lo, 0x33800000, |v23|
	v_cndmask_b32_e64 v9, 0xfc00, v9, s3
	v_cndmask_b32_e64 v3, v11, v3, s4
	;; [unrolled: 1-line block ×3, first 2 shown]
	s_and_b32 s2, exec_lo, s22
	s_delay_alu instid0(VALU_DEP_3) | instskip(SKIP_1) | instid1(VALU_DEP_2)
	v_cndmask_b32_e32 v9, v9, v19, vcc_lo
	s_or_b32 s18, s2, s18
	v_perm_b32 v3, v8, v3, 0x5040100
	s_delay_alu instid0(VALU_DEP_2)
	v_perm_b32 v4, v9, v4, 0x5040100
	global_store_b64 v[6:7], v[3:4], off
	s_and_not1_b32 exec_lo, exec_lo, s18
	s_cbranch_execnz .LBB206_3
.LBB206_4:
	s_or_b32 exec_lo, exec_lo, s17
	s_mov_b32 s2, 0
.LBB206_5:
	s_delay_alu instid0(SALU_CYCLE_1)
	s_and_not1_b32 vcc_lo, exec_lo, s2
	s_cbranch_vccnz .LBB206_25
; %bb.6:
	v_cmp_lt_i64_e64 s2, s[8:9], 1
	s_delay_alu instid0(VALU_DEP_1)
	s_and_b32 vcc_lo, exec_lo, s2
	s_cbranch_vccnz .LBB206_25
; %bb.7:
	s_load_b32 s0, s[0:1], 0xc5c
	v_dual_mov_b32 v10, 0 :: v_dual_lshlrev_b32 v9, 1, v0
	v_cmp_gt_u64_e64 s1, 0x10000, s[8:9]
	s_delay_alu instid0(VALU_DEP_2) | instskip(NEXT) | instid1(VALU_DEP_1)
	v_add_co_u32 v1, s2, s10, v9
	v_add_co_ci_u32_e64 v2, null, s11, 0, s2
	v_add_co_u32 v3, s2, s12, v9
	s_delay_alu instid0(VALU_DEP_1)
	v_add_co_ci_u32_e64 v4, null, s13, 0, s2
	s_waitcnt lgkmcnt(0)
	s_and_b32 s0, s0, 0xffff
	s_and_b32 s1, s1, exec_lo
	v_mad_u64_u32 v[7:8], null, s0, 6, v[9:10]
	s_cselect_b32 s5, s9, 0
	s_cselect_b32 s4, s8, 0x10000
	s_mul_i32 s2, s0, 3
	s_lshl_b32 s14, s0, 2
	s_lshl_b32 s1, s0, 1
	v_add_co_u32 v14, s3, s14, v9
	v_add_co_u32 v9, s2, s2, v0
	s_delay_alu instid0(VALU_DEP_1) | instskip(SKIP_3) | instid1(VALU_DEP_3)
	v_add_co_ci_u32_e64 v10, null, 0, 0, s2
	v_add_co_u32 v13, s2, v0, s0
	v_add_co_u32 v5, vcc_lo, s10, v7
	v_add_co_ci_u32_e32 v6, vcc_lo, s11, v8, vcc_lo
	v_lshlrev_b32_e32 v21, 1, v13
	v_add_co_u32 v7, vcc_lo, s12, v7
	v_add_co_ci_u32_e64 v15, null, 0, 0, s3
	v_add_co_ci_u32_e32 v8, vcc_lo, s13, v8, vcc_lo
	v_add_co_u32 v17, s1, s1, v0
	v_add_co_u32 v11, vcc_lo, s10, v14
	v_add_co_ci_u32_e64 v18, null, 0, 0, s1
	v_add_co_u32 v19, s1, s10, v21
	v_add_co_ci_u32_e32 v12, vcc_lo, s11, v15, vcc_lo
	v_add_co_u32 v14, vcc_lo, s12, v14
	v_add_co_ci_u32_e64 v20, null, s11, 0, s1
	v_add_co_u32 v21, s1, s12, v21
	v_add_co_ci_u32_e32 v15, vcc_lo, s13, v15, vcc_lo
	v_add_co_ci_u32_e64 v16, null, 0, 0, s2
	v_add_co_ci_u32_e64 v22, null, s13, 0, s1
	s_lshl_b32 s12, s0, 3
	s_mov_b64 s[10:11], 0
	s_mov_b32 s13, 0x3e9b6dac
	s_branch .LBB206_9
.LBB206_8:                              ;   in Loop: Header=BB206_9 Depth=1
	s_or_b32 exec_lo, exec_lo, s0
	v_add_co_u32 v1, vcc_lo, v1, s12
	v_add_co_ci_u32_e32 v2, vcc_lo, 0, v2, vcc_lo
	v_add_co_u32 v3, vcc_lo, v3, s12
	v_add_co_ci_u32_e32 v4, vcc_lo, 0, v4, vcc_lo
	;; [unrolled: 2-line block ×5, first 2 shown]
	s_add_u32 s10, s10, s14
	v_add_co_u32 v14, vcc_lo, v14, s12
	s_addc_u32 s11, s11, 0
	v_add_co_ci_u32_e32 v15, vcc_lo, 0, v15, vcc_lo
	v_cmp_ge_i64_e64 s0, s[10:11], s[8:9]
	v_cmp_lt_u64_e64 s1, 0xffff, s[10:11]
	v_add_co_u32 v19, vcc_lo, v19, s12
	v_add_co_ci_u32_e32 v20, vcc_lo, 0, v20, vcc_lo
	v_add_co_u32 v21, vcc_lo, v21, s12
	v_add_co_ci_u32_e32 v22, vcc_lo, 0, v22, vcc_lo
	s_or_b32 s0, s0, s1
	s_delay_alu instid0(SALU_CYCLE_1)
	s_and_b32 vcc_lo, exec_lo, s0
	s_cbranch_vccnz .LBB206_25
.LBB206_9:                              ; =>This Inner Loop Header: Depth=1
	s_waitcnt vmcnt(0)
	v_add_co_u32 v23, s0, v0, s10
	s_delay_alu instid0(VALU_DEP_1) | instskip(SKIP_1) | instid1(VALU_DEP_2)
	v_add_co_ci_u32_e64 v24, null, 0, s11, s0
	v_mov_b32_e32 v26, 0
	v_cmp_gt_u64_e64 s2, s[4:5], v[23:24]
	s_delay_alu instid0(VALU_DEP_1)
	s_and_saveexec_b32 s0, s2
	s_cbranch_execz .LBB206_11
; %bb.10:                               ;   in Loop: Header=BB206_9 Depth=1
	v_add_co_u32 v23, vcc_lo, v1, s6
	v_add_co_ci_u32_e32 v24, vcc_lo, s7, v2, vcc_lo
	global_load_u16 v26, v[23:24], off
.LBB206_11:                             ;   in Loop: Header=BB206_9 Depth=1
	s_or_b32 exec_lo, exec_lo, s0
	v_add_co_u32 v23, vcc_lo, v13, s10
	v_add_co_ci_u32_e32 v24, vcc_lo, s11, v16, vcc_lo
	v_mov_b32_e32 v25, 0
	s_delay_alu instid0(VALU_DEP_2) | instskip(NEXT) | instid1(VALU_DEP_1)
	v_cmp_gt_u64_e64 s1, s[4:5], v[23:24]
	s_and_saveexec_b32 s0, s1
	s_cbranch_execz .LBB206_13
; %bb.12:                               ;   in Loop: Header=BB206_9 Depth=1
	v_add_co_u32 v23, vcc_lo, v19, s6
	v_add_co_ci_u32_e32 v24, vcc_lo, s7, v20, vcc_lo
	global_load_u16 v25, v[23:24], off
.LBB206_13:                             ;   in Loop: Header=BB206_9 Depth=1
	s_or_b32 exec_lo, exec_lo, s0
	v_add_co_u32 v23, vcc_lo, v17, s10
	v_add_co_ci_u32_e32 v24, vcc_lo, s11, v18, vcc_lo
	s_delay_alu instid0(VALU_DEP_1) | instskip(SKIP_1) | instid1(VALU_DEP_2)
	v_cmp_gt_u64_e64 s0, s[4:5], v[23:24]
	v_dual_mov_b32 v23, 0 :: v_dual_mov_b32 v24, 0
	s_and_saveexec_b32 s3, s0
	s_cbranch_execz .LBB206_15
; %bb.14:                               ;   in Loop: Header=BB206_9 Depth=1
	v_add_co_u32 v27, vcc_lo, v11, s6
	v_add_co_ci_u32_e32 v28, vcc_lo, s7, v12, vcc_lo
	global_load_u16 v24, v[27:28], off
.LBB206_15:                             ;   in Loop: Header=BB206_9 Depth=1
	s_or_b32 exec_lo, exec_lo, s3
	v_add_co_u32 v27, vcc_lo, v9, s10
	v_add_co_ci_u32_e32 v28, vcc_lo, s11, v10, vcc_lo
	s_delay_alu instid0(VALU_DEP_1)
	v_cmp_gt_u64_e32 vcc_lo, s[4:5], v[27:28]
	s_and_saveexec_b32 s15, vcc_lo
	s_cbranch_execnz .LBB206_20
; %bb.16:                               ;   in Loop: Header=BB206_9 Depth=1
	s_or_b32 exec_lo, exec_lo, s15
	s_and_saveexec_b32 s3, s2
	s_cbranch_execnz .LBB206_21
.LBB206_17:                             ;   in Loop: Header=BB206_9 Depth=1
	s_or_b32 exec_lo, exec_lo, s3
	s_and_saveexec_b32 s2, s1
	s_cbranch_execnz .LBB206_22
.LBB206_18:                             ;   in Loop: Header=BB206_9 Depth=1
	s_or_b32 exec_lo, exec_lo, s2
	s_and_saveexec_b32 s1, s0
	s_cbranch_execnz .LBB206_23
.LBB206_19:                             ;   in Loop: Header=BB206_9 Depth=1
	s_or_b32 exec_lo, exec_lo, s1
	s_and_saveexec_b32 s0, vcc_lo
	s_cbranch_execz .LBB206_8
	s_branch .LBB206_24
.LBB206_20:                             ;   in Loop: Header=BB206_9 Depth=1
	v_add_co_u32 v27, s3, v5, s6
	s_delay_alu instid0(VALU_DEP_1)
	v_add_co_ci_u32_e64 v28, s3, s7, v6, s3
	global_load_u16 v23, v[27:28], off
	s_or_b32 exec_lo, exec_lo, s15
	s_and_saveexec_b32 s3, s2
	s_cbranch_execz .LBB206_17
.LBB206_21:                             ;   in Loop: Header=BB206_9 Depth=1
	s_waitcnt vmcnt(0)
	v_cvt_f32_f16_e32 v29, v26
	s_delay_alu instid0(VALU_DEP_1) | instskip(NEXT) | instid1(VALU_DEP_1)
	v_add_f32_e32 v30, 1.0, v29
	v_cvt_f64_f32_e32 v[27:28], v30
	s_delay_alu instid0(VALU_DEP_1) | instskip(SKIP_1) | instid1(VALU_DEP_1)
	v_frexp_exp_i32_f64_e32 v27, v[27:28]
	v_frexp_mant_f32_e32 v28, v30
	v_cmp_gt_f32_e64 s2, 0x3f2aaaab, v28
	v_add_f32_e32 v28, -1.0, v30
	s_delay_alu instid0(VALU_DEP_1) | instskip(NEXT) | instid1(VALU_DEP_3)
	v_sub_f32_e32 v32, v28, v30
	v_subrev_co_ci_u32_e64 v27, s2, 0, v27, s2
	v_cmp_eq_f16_e64 s2, 0x7c00, v26
	s_delay_alu instid0(VALU_DEP_2) | instskip(SKIP_1) | instid1(VALU_DEP_2)
	v_sub_nc_u32_e32 v31, 0, v27
	v_cvt_f32_i32_e32 v27, v27
	v_ldexp_f32 v30, v30, v31
	v_sub_f32_e32 v28, v29, v28
	s_delay_alu instid0(VALU_DEP_2) | instskip(NEXT) | instid1(VALU_DEP_1)
	v_dual_add_f32 v32, 1.0, v32 :: v_dual_add_f32 v33, 1.0, v30
	v_add_f32_e32 v28, v28, v32
	s_delay_alu instid0(VALU_DEP_1) | instskip(NEXT) | instid1(VALU_DEP_3)
	v_ldexp_f32 v28, v28, v31
	v_dual_add_f32 v31, -1.0, v30 :: v_dual_add_f32 v32, -1.0, v33
	s_delay_alu instid0(VALU_DEP_1) | instskip(NEXT) | instid1(VALU_DEP_2)
	v_add_f32_e32 v34, 1.0, v31
	v_sub_f32_e32 v32, v30, v32
	s_delay_alu instid0(VALU_DEP_2) | instskip(NEXT) | instid1(VALU_DEP_2)
	v_sub_f32_e32 v30, v30, v34
	v_add_f32_e32 v32, v28, v32
	s_delay_alu instid0(VALU_DEP_2) | instskip(NEXT) | instid1(VALU_DEP_2)
	v_add_f32_e32 v28, v28, v30
	v_add_f32_e32 v34, v33, v32
	s_delay_alu instid0(VALU_DEP_2) | instskip(NEXT) | instid1(VALU_DEP_2)
	v_add_f32_e32 v35, v31, v28
	v_rcp_f32_e32 v30, v34
	v_sub_f32_e32 v33, v34, v33
	s_delay_alu instid0(VALU_DEP_1) | instskip(NEXT) | instid1(VALU_DEP_1)
	v_dual_sub_f32 v31, v35, v31 :: v_dual_sub_f32 v32, v32, v33
	v_sub_f32_e32 v28, v28, v31
	s_waitcnt_depctr 0xfff
	v_mul_f32_e32 v36, v35, v30
	s_delay_alu instid0(VALU_DEP_1) | instskip(NEXT) | instid1(VALU_DEP_1)
	v_mul_f32_e32 v37, v34, v36
	v_fma_f32 v33, v36, v34, -v37
	s_delay_alu instid0(VALU_DEP_1) | instskip(NEXT) | instid1(VALU_DEP_1)
	v_fmac_f32_e32 v33, v36, v32
	v_add_f32_e32 v38, v37, v33
	s_delay_alu instid0(VALU_DEP_1) | instskip(SKIP_1) | instid1(VALU_DEP_2)
	v_sub_f32_e32 v39, v35, v38
	v_sub_f32_e32 v31, v38, v37
	;; [unrolled: 1-line block ×3, first 2 shown]
	s_delay_alu instid0(VALU_DEP_2) | instskip(NEXT) | instid1(VALU_DEP_2)
	v_sub_f32_e32 v31, v31, v33
	v_sub_f32_e32 v35, v35, v38
	s_delay_alu instid0(VALU_DEP_1) | instskip(NEXT) | instid1(VALU_DEP_1)
	v_add_f32_e32 v28, v28, v35
	v_add_f32_e32 v28, v31, v28
	s_delay_alu instid0(VALU_DEP_1) | instskip(NEXT) | instid1(VALU_DEP_1)
	v_add_f32_e32 v31, v39, v28
	v_mul_f32_e32 v33, v30, v31
	s_delay_alu instid0(VALU_DEP_1) | instskip(NEXT) | instid1(VALU_DEP_1)
	v_dual_sub_f32 v38, v39, v31 :: v_dual_mul_f32 v35, v34, v33
	v_fma_f32 v34, v33, v34, -v35
	s_delay_alu instid0(VALU_DEP_1) | instskip(NEXT) | instid1(VALU_DEP_1)
	v_fmac_f32_e32 v34, v33, v32
	v_add_f32_e32 v32, v35, v34
	s_delay_alu instid0(VALU_DEP_1) | instskip(SKIP_1) | instid1(VALU_DEP_2)
	v_sub_f32_e32 v37, v31, v32
	v_sub_f32_e32 v35, v32, v35
	v_dual_add_f32 v28, v28, v38 :: v_dual_sub_f32 v31, v31, v37
	s_delay_alu instid0(VALU_DEP_1) | instskip(NEXT) | instid1(VALU_DEP_1)
	v_sub_f32_e32 v31, v31, v32
	v_add_f32_e32 v28, v28, v31
	s_delay_alu instid0(VALU_DEP_4) | instskip(NEXT) | instid1(VALU_DEP_1)
	v_dual_add_f32 v31, v36, v33 :: v_dual_sub_f32 v32, v35, v34
	v_add_f32_e32 v28, v32, v28
	s_delay_alu instid0(VALU_DEP_2) | instskip(NEXT) | instid1(VALU_DEP_2)
	v_sub_f32_e32 v32, v31, v36
	v_add_f32_e32 v28, v37, v28
	s_delay_alu instid0(VALU_DEP_2) | instskip(NEXT) | instid1(VALU_DEP_2)
	v_sub_f32_e32 v32, v33, v32
	v_mul_f32_e32 v28, v30, v28
	s_delay_alu instid0(VALU_DEP_1) | instskip(NEXT) | instid1(VALU_DEP_1)
	v_add_f32_e32 v28, v32, v28
	v_add_f32_e32 v30, v31, v28
	s_delay_alu instid0(VALU_DEP_1) | instskip(NEXT) | instid1(VALU_DEP_1)
	v_mul_f32_e32 v32, v30, v30
	v_fmaak_f32 v33, s13, v32, 0x3ecc95a3
	v_mul_f32_e32 v34, v30, v32
	s_delay_alu instid0(VALU_DEP_2) | instskip(SKIP_2) | instid1(VALU_DEP_3)
	v_fmaak_f32 v32, v32, v33, 0x3f2aaada
	v_ldexp_f32 v33, v30, 1
	v_sub_f32_e32 v30, v30, v31
	v_mul_f32_e32 v32, v34, v32
	v_mul_f32_e32 v34, 0x3f317218, v27
	s_delay_alu instid0(VALU_DEP_2) | instskip(NEXT) | instid1(VALU_DEP_1)
	v_dual_sub_f32 v28, v28, v30 :: v_dual_add_f32 v31, v33, v32
	v_ldexp_f32 v28, v28, 1
	s_delay_alu instid0(VALU_DEP_2) | instskip(NEXT) | instid1(VALU_DEP_4)
	v_sub_f32_e32 v30, v31, v33
	v_fma_f32 v33, 0x3f317218, v27, -v34
	s_delay_alu instid0(VALU_DEP_1) | instskip(NEXT) | instid1(VALU_DEP_1)
	v_dual_sub_f32 v30, v32, v30 :: v_dual_fmac_f32 v33, 0xb102e308, v27
	v_dual_add_f32 v27, v28, v30 :: v_dual_add_f32 v28, v34, v33
	s_delay_alu instid0(VALU_DEP_1) | instskip(NEXT) | instid1(VALU_DEP_2)
	v_add_f32_e32 v30, v31, v27
	v_sub_f32_e32 v34, v28, v34
	s_delay_alu instid0(VALU_DEP_2) | instskip(NEXT) | instid1(VALU_DEP_2)
	v_dual_add_f32 v32, v28, v30 :: v_dual_sub_f32 v31, v30, v31
	v_sub_f32_e32 v33, v33, v34
	s_delay_alu instid0(VALU_DEP_2) | instskip(NEXT) | instid1(VALU_DEP_3)
	v_sub_f32_e32 v35, v32, v28
	v_sub_f32_e32 v27, v27, v31
	s_delay_alu instid0(VALU_DEP_2) | instskip(SKIP_1) | instid1(VALU_DEP_2)
	v_sub_f32_e32 v36, v32, v35
	v_sub_f32_e32 v30, v30, v35
	v_dual_add_f32 v31, v33, v27 :: v_dual_sub_f32 v28, v28, v36
	s_delay_alu instid0(VALU_DEP_1) | instskip(NEXT) | instid1(VALU_DEP_2)
	v_add_f32_e32 v28, v30, v28
	v_sub_f32_e32 v30, v31, v33
	s_delay_alu instid0(VALU_DEP_2) | instskip(NEXT) | instid1(VALU_DEP_2)
	v_add_f32_e32 v28, v31, v28
	v_sub_f32_e32 v31, v31, v30
	s_delay_alu instid0(VALU_DEP_2) | instskip(NEXT) | instid1(VALU_DEP_1)
	v_dual_sub_f32 v27, v27, v30 :: v_dual_add_f32 v34, v32, v28
	v_dual_sub_f32 v30, v33, v31 :: v_dual_sub_f32 v31, v34, v32
	s_delay_alu instid0(VALU_DEP_1) | instskip(NEXT) | instid1(VALU_DEP_1)
	v_dual_add_f32 v27, v27, v30 :: v_dual_sub_f32 v28, v28, v31
	v_add_f32_e32 v27, v27, v28
	s_delay_alu instid0(VALU_DEP_1) | instskip(NEXT) | instid1(VALU_DEP_1)
	v_add_f32_e32 v27, v34, v27
	v_cvt_f16_f32_e32 v27, v27
	s_delay_alu instid0(VALU_DEP_1) | instskip(SKIP_1) | instid1(VALU_DEP_1)
	v_cndmask_b32_e64 v27, v27, v26, s2
	v_cmp_ngt_f16_e64 s2, -1.0, v26
	v_cndmask_b32_e64 v27, 0x7e00, v27, s2
	v_cmp_neq_f16_e64 s2, -1.0, v26
	s_delay_alu instid0(VALU_DEP_1) | instskip(SKIP_1) | instid1(VALU_DEP_1)
	v_cndmask_b32_e64 v27, 0xfc00, v27, s2
	v_cmp_gt_f32_e64 s2, 0x33800000, |v29|
	v_cndmask_b32_e64 v28, v27, v26, s2
	v_add_co_u32 v26, s2, v3, s6
	s_delay_alu instid0(VALU_DEP_1)
	v_add_co_ci_u32_e64 v27, s2, s7, v4, s2
	global_store_b16 v[26:27], v28, off
	s_or_b32 exec_lo, exec_lo, s3
	s_and_saveexec_b32 s2, s1
	s_cbranch_execz .LBB206_18
.LBB206_22:                             ;   in Loop: Header=BB206_9 Depth=1
	s_waitcnt vmcnt(0)
	v_cvt_f32_f16_e32 v28, v25
	s_delay_alu instid0(VALU_DEP_1) | instskip(NEXT) | instid1(VALU_DEP_1)
	v_add_f32_e32 v29, 1.0, v28
	v_cvt_f64_f32_e32 v[26:27], v29
	s_delay_alu instid0(VALU_DEP_1) | instskip(SKIP_1) | instid1(VALU_DEP_1)
	v_frexp_exp_i32_f64_e32 v26, v[26:27]
	v_frexp_mant_f32_e32 v27, v29
	v_cmp_gt_f32_e64 s1, 0x3f2aaaab, v27
	v_add_f32_e32 v27, -1.0, v29
	s_delay_alu instid0(VALU_DEP_1) | instskip(NEXT) | instid1(VALU_DEP_3)
	v_sub_f32_e32 v31, v27, v29
	v_subrev_co_ci_u32_e64 v26, s1, 0, v26, s1
	v_cmp_eq_f16_e64 s1, 0x7c00, v25
	s_delay_alu instid0(VALU_DEP_2) | instskip(SKIP_1) | instid1(VALU_DEP_2)
	v_sub_nc_u32_e32 v30, 0, v26
	v_cvt_f32_i32_e32 v26, v26
	v_ldexp_f32 v29, v29, v30
	v_sub_f32_e32 v27, v28, v27
	s_delay_alu instid0(VALU_DEP_2) | instskip(NEXT) | instid1(VALU_DEP_1)
	v_dual_add_f32 v31, 1.0, v31 :: v_dual_add_f32 v32, 1.0, v29
	v_add_f32_e32 v27, v27, v31
	s_delay_alu instid0(VALU_DEP_1) | instskip(NEXT) | instid1(VALU_DEP_3)
	v_ldexp_f32 v27, v27, v30
	v_dual_add_f32 v30, -1.0, v29 :: v_dual_add_f32 v31, -1.0, v32
	s_delay_alu instid0(VALU_DEP_1) | instskip(NEXT) | instid1(VALU_DEP_2)
	v_add_f32_e32 v33, 1.0, v30
	v_sub_f32_e32 v31, v29, v31
	s_delay_alu instid0(VALU_DEP_2) | instskip(NEXT) | instid1(VALU_DEP_2)
	v_sub_f32_e32 v29, v29, v33
	v_add_f32_e32 v31, v27, v31
	s_delay_alu instid0(VALU_DEP_2) | instskip(NEXT) | instid1(VALU_DEP_2)
	v_add_f32_e32 v27, v27, v29
	v_add_f32_e32 v33, v32, v31
	s_delay_alu instid0(VALU_DEP_2) | instskip(NEXT) | instid1(VALU_DEP_2)
	v_add_f32_e32 v34, v30, v27
	v_rcp_f32_e32 v29, v33
	v_sub_f32_e32 v32, v33, v32
	s_delay_alu instid0(VALU_DEP_1) | instskip(NEXT) | instid1(VALU_DEP_1)
	v_dual_sub_f32 v30, v34, v30 :: v_dual_sub_f32 v31, v31, v32
	v_sub_f32_e32 v27, v27, v30
	s_waitcnt_depctr 0xfff
	v_mul_f32_e32 v35, v34, v29
	s_delay_alu instid0(VALU_DEP_1) | instskip(NEXT) | instid1(VALU_DEP_1)
	v_mul_f32_e32 v36, v33, v35
	v_fma_f32 v32, v35, v33, -v36
	s_delay_alu instid0(VALU_DEP_1) | instskip(NEXT) | instid1(VALU_DEP_1)
	v_fmac_f32_e32 v32, v35, v31
	v_add_f32_e32 v37, v36, v32
	s_delay_alu instid0(VALU_DEP_1) | instskip(SKIP_1) | instid1(VALU_DEP_2)
	v_sub_f32_e32 v38, v34, v37
	v_sub_f32_e32 v30, v37, v36
	;; [unrolled: 1-line block ×3, first 2 shown]
	s_delay_alu instid0(VALU_DEP_2) | instskip(NEXT) | instid1(VALU_DEP_2)
	v_sub_f32_e32 v30, v30, v32
	v_sub_f32_e32 v34, v34, v37
	s_delay_alu instid0(VALU_DEP_1) | instskip(NEXT) | instid1(VALU_DEP_1)
	v_add_f32_e32 v27, v27, v34
	v_add_f32_e32 v27, v30, v27
	s_delay_alu instid0(VALU_DEP_1) | instskip(NEXT) | instid1(VALU_DEP_1)
	v_add_f32_e32 v30, v38, v27
	v_mul_f32_e32 v32, v29, v30
	s_delay_alu instid0(VALU_DEP_1) | instskip(NEXT) | instid1(VALU_DEP_1)
	v_dual_sub_f32 v37, v38, v30 :: v_dual_mul_f32 v34, v33, v32
	v_fma_f32 v33, v32, v33, -v34
	s_delay_alu instid0(VALU_DEP_1) | instskip(NEXT) | instid1(VALU_DEP_1)
	v_fmac_f32_e32 v33, v32, v31
	v_add_f32_e32 v31, v34, v33
	s_delay_alu instid0(VALU_DEP_1) | instskip(SKIP_1) | instid1(VALU_DEP_2)
	v_sub_f32_e32 v36, v30, v31
	v_sub_f32_e32 v34, v31, v34
	v_dual_add_f32 v27, v27, v37 :: v_dual_sub_f32 v30, v30, v36
	s_delay_alu instid0(VALU_DEP_1) | instskip(NEXT) | instid1(VALU_DEP_1)
	v_sub_f32_e32 v30, v30, v31
	v_add_f32_e32 v27, v27, v30
	s_delay_alu instid0(VALU_DEP_4) | instskip(NEXT) | instid1(VALU_DEP_1)
	v_dual_add_f32 v30, v35, v32 :: v_dual_sub_f32 v31, v34, v33
	v_add_f32_e32 v27, v31, v27
	s_delay_alu instid0(VALU_DEP_2) | instskip(NEXT) | instid1(VALU_DEP_2)
	v_sub_f32_e32 v31, v30, v35
	v_add_f32_e32 v27, v36, v27
	s_delay_alu instid0(VALU_DEP_2) | instskip(NEXT) | instid1(VALU_DEP_2)
	v_sub_f32_e32 v31, v32, v31
	v_mul_f32_e32 v27, v29, v27
	s_delay_alu instid0(VALU_DEP_1) | instskip(NEXT) | instid1(VALU_DEP_1)
	v_add_f32_e32 v27, v31, v27
	v_add_f32_e32 v29, v30, v27
	s_delay_alu instid0(VALU_DEP_1) | instskip(NEXT) | instid1(VALU_DEP_1)
	v_mul_f32_e32 v31, v29, v29
	v_fmaak_f32 v32, s13, v31, 0x3ecc95a3
	v_mul_f32_e32 v33, v29, v31
	s_delay_alu instid0(VALU_DEP_2) | instskip(SKIP_2) | instid1(VALU_DEP_3)
	v_fmaak_f32 v31, v31, v32, 0x3f2aaada
	v_ldexp_f32 v32, v29, 1
	v_sub_f32_e32 v29, v29, v30
	v_mul_f32_e32 v31, v33, v31
	v_mul_f32_e32 v33, 0x3f317218, v26
	s_delay_alu instid0(VALU_DEP_2) | instskip(NEXT) | instid1(VALU_DEP_1)
	v_dual_sub_f32 v27, v27, v29 :: v_dual_add_f32 v30, v32, v31
	v_ldexp_f32 v27, v27, 1
	s_delay_alu instid0(VALU_DEP_2) | instskip(NEXT) | instid1(VALU_DEP_4)
	v_sub_f32_e32 v29, v30, v32
	v_fma_f32 v32, 0x3f317218, v26, -v33
	s_delay_alu instid0(VALU_DEP_1) | instskip(NEXT) | instid1(VALU_DEP_1)
	v_dual_sub_f32 v29, v31, v29 :: v_dual_fmac_f32 v32, 0xb102e308, v26
	v_dual_add_f32 v26, v27, v29 :: v_dual_add_f32 v27, v33, v32
	s_delay_alu instid0(VALU_DEP_1) | instskip(NEXT) | instid1(VALU_DEP_2)
	v_add_f32_e32 v29, v30, v26
	v_sub_f32_e32 v33, v27, v33
	s_delay_alu instid0(VALU_DEP_2) | instskip(NEXT) | instid1(VALU_DEP_2)
	v_dual_add_f32 v31, v27, v29 :: v_dual_sub_f32 v30, v29, v30
	v_sub_f32_e32 v32, v32, v33
	s_delay_alu instid0(VALU_DEP_2) | instskip(NEXT) | instid1(VALU_DEP_3)
	v_sub_f32_e32 v34, v31, v27
	v_sub_f32_e32 v26, v26, v30
	s_delay_alu instid0(VALU_DEP_2) | instskip(SKIP_1) | instid1(VALU_DEP_2)
	v_sub_f32_e32 v35, v31, v34
	v_sub_f32_e32 v29, v29, v34
	v_dual_add_f32 v30, v32, v26 :: v_dual_sub_f32 v27, v27, v35
	s_delay_alu instid0(VALU_DEP_1) | instskip(NEXT) | instid1(VALU_DEP_2)
	v_add_f32_e32 v27, v29, v27
	v_sub_f32_e32 v29, v30, v32
	s_delay_alu instid0(VALU_DEP_2) | instskip(NEXT) | instid1(VALU_DEP_2)
	v_add_f32_e32 v27, v30, v27
	v_sub_f32_e32 v30, v30, v29
	s_delay_alu instid0(VALU_DEP_2) | instskip(NEXT) | instid1(VALU_DEP_1)
	v_dual_sub_f32 v26, v26, v29 :: v_dual_add_f32 v33, v31, v27
	v_dual_sub_f32 v29, v32, v30 :: v_dual_sub_f32 v30, v33, v31
	s_delay_alu instid0(VALU_DEP_1) | instskip(NEXT) | instid1(VALU_DEP_1)
	v_dual_add_f32 v26, v26, v29 :: v_dual_sub_f32 v27, v27, v30
	v_add_f32_e32 v26, v26, v27
	s_delay_alu instid0(VALU_DEP_1) | instskip(NEXT) | instid1(VALU_DEP_1)
	v_add_f32_e32 v26, v33, v26
	v_cvt_f16_f32_e32 v26, v26
	s_delay_alu instid0(VALU_DEP_1) | instskip(SKIP_1) | instid1(VALU_DEP_1)
	v_cndmask_b32_e64 v26, v26, v25, s1
	v_cmp_ngt_f16_e64 s1, -1.0, v25
	v_cndmask_b32_e64 v26, 0x7e00, v26, s1
	v_cmp_neq_f16_e64 s1, -1.0, v25
	s_delay_alu instid0(VALU_DEP_1) | instskip(SKIP_1) | instid1(VALU_DEP_1)
	v_cndmask_b32_e64 v26, 0xfc00, v26, s1
	v_cmp_gt_f32_e64 s1, 0x33800000, |v28|
	v_cndmask_b32_e64 v27, v26, v25, s1
	v_add_co_u32 v25, s1, v21, s6
	s_delay_alu instid0(VALU_DEP_1)
	v_add_co_ci_u32_e64 v26, s1, s7, v22, s1
	global_store_b16 v[25:26], v27, off
	s_or_b32 exec_lo, exec_lo, s2
	s_and_saveexec_b32 s1, s0
	s_cbranch_execz .LBB206_19
.LBB206_23:                             ;   in Loop: Header=BB206_9 Depth=1
	s_waitcnt vmcnt(0)
	v_cvt_f32_f16_e32 v27, v24
	s_delay_alu instid0(VALU_DEP_1) | instskip(NEXT) | instid1(VALU_DEP_1)
	v_add_f32_e32 v28, 1.0, v27
	v_cvt_f64_f32_e32 v[25:26], v28
	s_delay_alu instid0(VALU_DEP_1) | instskip(SKIP_1) | instid1(VALU_DEP_1)
	v_frexp_exp_i32_f64_e32 v25, v[25:26]
	v_frexp_mant_f32_e32 v26, v28
	v_cmp_gt_f32_e64 s0, 0x3f2aaaab, v26
	v_add_f32_e32 v26, -1.0, v28
	s_delay_alu instid0(VALU_DEP_1) | instskip(NEXT) | instid1(VALU_DEP_3)
	v_sub_f32_e32 v30, v26, v28
	v_subrev_co_ci_u32_e64 v25, s0, 0, v25, s0
	v_cmp_eq_f16_e64 s0, 0x7c00, v24
	s_delay_alu instid0(VALU_DEP_2) | instskip(SKIP_1) | instid1(VALU_DEP_2)
	v_sub_nc_u32_e32 v29, 0, v25
	v_cvt_f32_i32_e32 v25, v25
	v_ldexp_f32 v28, v28, v29
	v_sub_f32_e32 v26, v27, v26
	s_delay_alu instid0(VALU_DEP_2) | instskip(NEXT) | instid1(VALU_DEP_1)
	v_dual_add_f32 v30, 1.0, v30 :: v_dual_add_f32 v31, 1.0, v28
	v_add_f32_e32 v26, v26, v30
	s_delay_alu instid0(VALU_DEP_1) | instskip(NEXT) | instid1(VALU_DEP_3)
	v_ldexp_f32 v26, v26, v29
	v_dual_add_f32 v29, -1.0, v28 :: v_dual_add_f32 v30, -1.0, v31
	s_delay_alu instid0(VALU_DEP_1) | instskip(NEXT) | instid1(VALU_DEP_2)
	v_add_f32_e32 v32, 1.0, v29
	v_sub_f32_e32 v30, v28, v30
	s_delay_alu instid0(VALU_DEP_2) | instskip(NEXT) | instid1(VALU_DEP_2)
	v_sub_f32_e32 v28, v28, v32
	v_add_f32_e32 v30, v26, v30
	s_delay_alu instid0(VALU_DEP_2) | instskip(NEXT) | instid1(VALU_DEP_2)
	v_add_f32_e32 v26, v26, v28
	v_add_f32_e32 v32, v31, v30
	s_delay_alu instid0(VALU_DEP_2) | instskip(NEXT) | instid1(VALU_DEP_2)
	v_add_f32_e32 v33, v29, v26
	v_rcp_f32_e32 v28, v32
	v_sub_f32_e32 v31, v32, v31
	s_delay_alu instid0(VALU_DEP_1) | instskip(NEXT) | instid1(VALU_DEP_1)
	v_dual_sub_f32 v29, v33, v29 :: v_dual_sub_f32 v30, v30, v31
	v_sub_f32_e32 v26, v26, v29
	s_waitcnt_depctr 0xfff
	v_mul_f32_e32 v34, v33, v28
	s_delay_alu instid0(VALU_DEP_1) | instskip(NEXT) | instid1(VALU_DEP_1)
	v_mul_f32_e32 v35, v32, v34
	v_fma_f32 v31, v34, v32, -v35
	s_delay_alu instid0(VALU_DEP_1) | instskip(NEXT) | instid1(VALU_DEP_1)
	v_fmac_f32_e32 v31, v34, v30
	v_add_f32_e32 v36, v35, v31
	s_delay_alu instid0(VALU_DEP_1) | instskip(SKIP_1) | instid1(VALU_DEP_2)
	v_sub_f32_e32 v37, v33, v36
	v_sub_f32_e32 v29, v36, v35
	;; [unrolled: 1-line block ×3, first 2 shown]
	s_delay_alu instid0(VALU_DEP_2) | instskip(NEXT) | instid1(VALU_DEP_2)
	v_sub_f32_e32 v29, v29, v31
	v_sub_f32_e32 v33, v33, v36
	s_delay_alu instid0(VALU_DEP_1) | instskip(NEXT) | instid1(VALU_DEP_1)
	v_add_f32_e32 v26, v26, v33
	v_add_f32_e32 v26, v29, v26
	s_delay_alu instid0(VALU_DEP_1) | instskip(NEXT) | instid1(VALU_DEP_1)
	v_add_f32_e32 v29, v37, v26
	v_mul_f32_e32 v31, v28, v29
	s_delay_alu instid0(VALU_DEP_1) | instskip(NEXT) | instid1(VALU_DEP_1)
	v_dual_sub_f32 v36, v37, v29 :: v_dual_mul_f32 v33, v32, v31
	v_fma_f32 v32, v31, v32, -v33
	s_delay_alu instid0(VALU_DEP_1) | instskip(NEXT) | instid1(VALU_DEP_1)
	v_fmac_f32_e32 v32, v31, v30
	v_add_f32_e32 v30, v33, v32
	s_delay_alu instid0(VALU_DEP_1) | instskip(SKIP_1) | instid1(VALU_DEP_2)
	v_sub_f32_e32 v35, v29, v30
	v_sub_f32_e32 v33, v30, v33
	v_dual_add_f32 v26, v26, v36 :: v_dual_sub_f32 v29, v29, v35
	s_delay_alu instid0(VALU_DEP_1) | instskip(NEXT) | instid1(VALU_DEP_1)
	v_sub_f32_e32 v29, v29, v30
	v_add_f32_e32 v26, v26, v29
	s_delay_alu instid0(VALU_DEP_4) | instskip(NEXT) | instid1(VALU_DEP_1)
	v_dual_add_f32 v29, v34, v31 :: v_dual_sub_f32 v30, v33, v32
	v_add_f32_e32 v26, v30, v26
	s_delay_alu instid0(VALU_DEP_2) | instskip(NEXT) | instid1(VALU_DEP_2)
	v_sub_f32_e32 v30, v29, v34
	v_add_f32_e32 v26, v35, v26
	s_delay_alu instid0(VALU_DEP_2) | instskip(NEXT) | instid1(VALU_DEP_2)
	v_sub_f32_e32 v30, v31, v30
	v_mul_f32_e32 v26, v28, v26
	s_delay_alu instid0(VALU_DEP_1) | instskip(NEXT) | instid1(VALU_DEP_1)
	v_add_f32_e32 v26, v30, v26
	v_add_f32_e32 v28, v29, v26
	s_delay_alu instid0(VALU_DEP_1) | instskip(NEXT) | instid1(VALU_DEP_1)
	v_mul_f32_e32 v30, v28, v28
	v_fmaak_f32 v31, s13, v30, 0x3ecc95a3
	v_mul_f32_e32 v32, v28, v30
	s_delay_alu instid0(VALU_DEP_2) | instskip(SKIP_2) | instid1(VALU_DEP_3)
	v_fmaak_f32 v30, v30, v31, 0x3f2aaada
	v_ldexp_f32 v31, v28, 1
	v_sub_f32_e32 v28, v28, v29
	v_mul_f32_e32 v30, v32, v30
	v_mul_f32_e32 v32, 0x3f317218, v25
	s_delay_alu instid0(VALU_DEP_2) | instskip(NEXT) | instid1(VALU_DEP_1)
	v_dual_sub_f32 v26, v26, v28 :: v_dual_add_f32 v29, v31, v30
	v_ldexp_f32 v26, v26, 1
	s_delay_alu instid0(VALU_DEP_2) | instskip(NEXT) | instid1(VALU_DEP_4)
	v_sub_f32_e32 v28, v29, v31
	v_fma_f32 v31, 0x3f317218, v25, -v32
	s_delay_alu instid0(VALU_DEP_1) | instskip(NEXT) | instid1(VALU_DEP_1)
	v_dual_sub_f32 v28, v30, v28 :: v_dual_fmac_f32 v31, 0xb102e308, v25
	v_dual_add_f32 v25, v26, v28 :: v_dual_add_f32 v26, v32, v31
	s_delay_alu instid0(VALU_DEP_1) | instskip(NEXT) | instid1(VALU_DEP_2)
	v_add_f32_e32 v28, v29, v25
	v_sub_f32_e32 v32, v26, v32
	s_delay_alu instid0(VALU_DEP_2) | instskip(NEXT) | instid1(VALU_DEP_2)
	v_dual_add_f32 v30, v26, v28 :: v_dual_sub_f32 v29, v28, v29
	v_sub_f32_e32 v31, v31, v32
	s_delay_alu instid0(VALU_DEP_2) | instskip(NEXT) | instid1(VALU_DEP_3)
	v_sub_f32_e32 v33, v30, v26
	v_sub_f32_e32 v25, v25, v29
	s_delay_alu instid0(VALU_DEP_2) | instskip(SKIP_1) | instid1(VALU_DEP_2)
	v_sub_f32_e32 v34, v30, v33
	v_sub_f32_e32 v28, v28, v33
	v_dual_add_f32 v29, v31, v25 :: v_dual_sub_f32 v26, v26, v34
	s_delay_alu instid0(VALU_DEP_1) | instskip(NEXT) | instid1(VALU_DEP_2)
	v_add_f32_e32 v26, v28, v26
	v_sub_f32_e32 v28, v29, v31
	s_delay_alu instid0(VALU_DEP_2) | instskip(NEXT) | instid1(VALU_DEP_2)
	v_add_f32_e32 v26, v29, v26
	v_sub_f32_e32 v29, v29, v28
	s_delay_alu instid0(VALU_DEP_2) | instskip(NEXT) | instid1(VALU_DEP_1)
	v_dual_sub_f32 v25, v25, v28 :: v_dual_add_f32 v32, v30, v26
	v_dual_sub_f32 v28, v31, v29 :: v_dual_sub_f32 v29, v32, v30
	s_delay_alu instid0(VALU_DEP_1) | instskip(NEXT) | instid1(VALU_DEP_1)
	v_dual_add_f32 v25, v25, v28 :: v_dual_sub_f32 v26, v26, v29
	v_add_f32_e32 v25, v25, v26
	s_delay_alu instid0(VALU_DEP_1) | instskip(NEXT) | instid1(VALU_DEP_1)
	v_add_f32_e32 v25, v32, v25
	v_cvt_f16_f32_e32 v25, v25
	s_delay_alu instid0(VALU_DEP_1) | instskip(SKIP_1) | instid1(VALU_DEP_1)
	v_cndmask_b32_e64 v25, v25, v24, s0
	v_cmp_ngt_f16_e64 s0, -1.0, v24
	v_cndmask_b32_e64 v25, 0x7e00, v25, s0
	v_cmp_neq_f16_e64 s0, -1.0, v24
	s_delay_alu instid0(VALU_DEP_1) | instskip(SKIP_1) | instid1(VALU_DEP_1)
	v_cndmask_b32_e64 v25, 0xfc00, v25, s0
	v_cmp_gt_f32_e64 s0, 0x33800000, |v27|
	v_cndmask_b32_e64 v26, v25, v24, s0
	v_add_co_u32 v24, s0, v14, s6
	s_delay_alu instid0(VALU_DEP_1)
	v_add_co_ci_u32_e64 v25, s0, s7, v15, s0
	global_store_b16 v[24:25], v26, off
	s_or_b32 exec_lo, exec_lo, s1
	s_and_saveexec_b32 s0, vcc_lo
	s_cbranch_execz .LBB206_8
.LBB206_24:                             ;   in Loop: Header=BB206_9 Depth=1
	s_waitcnt vmcnt(0)
	v_cvt_f32_f16_e32 v26, v23
	s_delay_alu instid0(VALU_DEP_1) | instskip(NEXT) | instid1(VALU_DEP_1)
	v_add_f32_e32 v27, 1.0, v26
	v_cvt_f64_f32_e32 v[24:25], v27
	s_delay_alu instid0(VALU_DEP_1) | instskip(SKIP_1) | instid1(VALU_DEP_1)
	v_frexp_exp_i32_f64_e32 v24, v[24:25]
	v_frexp_mant_f32_e32 v25, v27
	v_cmp_gt_f32_e32 vcc_lo, 0x3f2aaaab, v25
	v_add_f32_e32 v25, -1.0, v27
	s_delay_alu instid0(VALU_DEP_1) | instskip(SKIP_2) | instid1(VALU_DEP_2)
	v_sub_f32_e32 v29, v25, v27
	v_subrev_co_ci_u32_e32 v24, vcc_lo, 0, v24, vcc_lo
	v_cmp_eq_f16_e32 vcc_lo, 0x7c00, v23
	v_sub_nc_u32_e32 v28, 0, v24
	v_cvt_f32_i32_e32 v24, v24
	s_delay_alu instid0(VALU_DEP_2) | instskip(SKIP_1) | instid1(VALU_DEP_2)
	v_ldexp_f32 v27, v27, v28
	v_sub_f32_e32 v25, v26, v25
	v_dual_add_f32 v29, 1.0, v29 :: v_dual_add_f32 v30, 1.0, v27
	s_delay_alu instid0(VALU_DEP_1) | instskip(NEXT) | instid1(VALU_DEP_1)
	v_add_f32_e32 v25, v25, v29
	v_ldexp_f32 v25, v25, v28
	s_delay_alu instid0(VALU_DEP_3) | instskip(NEXT) | instid1(VALU_DEP_1)
	v_dual_add_f32 v28, -1.0, v27 :: v_dual_add_f32 v29, -1.0, v30
	v_add_f32_e32 v31, 1.0, v28
	s_delay_alu instid0(VALU_DEP_2) | instskip(NEXT) | instid1(VALU_DEP_2)
	v_sub_f32_e32 v29, v27, v29
	v_sub_f32_e32 v27, v27, v31
	s_delay_alu instid0(VALU_DEP_2) | instskip(NEXT) | instid1(VALU_DEP_2)
	v_add_f32_e32 v29, v25, v29
	v_add_f32_e32 v25, v25, v27
	s_delay_alu instid0(VALU_DEP_2) | instskip(NEXT) | instid1(VALU_DEP_2)
	v_add_f32_e32 v31, v30, v29
	v_add_f32_e32 v32, v28, v25
	s_delay_alu instid0(VALU_DEP_2) | instskip(SKIP_1) | instid1(VALU_DEP_1)
	v_rcp_f32_e32 v27, v31
	v_sub_f32_e32 v30, v31, v30
	v_dual_sub_f32 v28, v32, v28 :: v_dual_sub_f32 v29, v29, v30
	s_delay_alu instid0(VALU_DEP_1) | instskip(SKIP_2) | instid1(VALU_DEP_1)
	v_sub_f32_e32 v25, v25, v28
	s_waitcnt_depctr 0xfff
	v_mul_f32_e32 v33, v32, v27
	v_mul_f32_e32 v34, v31, v33
	s_delay_alu instid0(VALU_DEP_1) | instskip(NEXT) | instid1(VALU_DEP_1)
	v_fma_f32 v30, v33, v31, -v34
	v_fmac_f32_e32 v30, v33, v29
	s_delay_alu instid0(VALU_DEP_1) | instskip(NEXT) | instid1(VALU_DEP_1)
	v_add_f32_e32 v35, v34, v30
	v_sub_f32_e32 v36, v32, v35
	v_sub_f32_e32 v28, v35, v34
	s_delay_alu instid0(VALU_DEP_2) | instskip(NEXT) | instid1(VALU_DEP_2)
	v_sub_f32_e32 v32, v32, v36
	v_sub_f32_e32 v28, v28, v30
	s_delay_alu instid0(VALU_DEP_2) | instskip(NEXT) | instid1(VALU_DEP_1)
	v_sub_f32_e32 v32, v32, v35
	v_add_f32_e32 v25, v25, v32
	s_delay_alu instid0(VALU_DEP_1) | instskip(NEXT) | instid1(VALU_DEP_1)
	v_add_f32_e32 v25, v28, v25
	v_add_f32_e32 v28, v36, v25
	s_delay_alu instid0(VALU_DEP_1) | instskip(NEXT) | instid1(VALU_DEP_1)
	v_mul_f32_e32 v30, v27, v28
	v_dual_sub_f32 v35, v36, v28 :: v_dual_mul_f32 v32, v31, v30
	s_delay_alu instid0(VALU_DEP_1) | instskip(NEXT) | instid1(VALU_DEP_1)
	v_fma_f32 v31, v30, v31, -v32
	v_fmac_f32_e32 v31, v30, v29
	s_delay_alu instid0(VALU_DEP_1) | instskip(NEXT) | instid1(VALU_DEP_1)
	v_add_f32_e32 v29, v32, v31
	v_sub_f32_e32 v34, v28, v29
	v_sub_f32_e32 v32, v29, v32
	s_delay_alu instid0(VALU_DEP_2) | instskip(NEXT) | instid1(VALU_DEP_1)
	v_dual_add_f32 v25, v25, v35 :: v_dual_sub_f32 v28, v28, v34
	v_sub_f32_e32 v28, v28, v29
	s_delay_alu instid0(VALU_DEP_1) | instskip(NEXT) | instid1(VALU_DEP_4)
	v_add_f32_e32 v25, v25, v28
	v_dual_add_f32 v28, v33, v30 :: v_dual_sub_f32 v29, v32, v31
	s_delay_alu instid0(VALU_DEP_1) | instskip(NEXT) | instid1(VALU_DEP_2)
	v_add_f32_e32 v25, v29, v25
	v_sub_f32_e32 v29, v28, v33
	s_delay_alu instid0(VALU_DEP_2) | instskip(NEXT) | instid1(VALU_DEP_2)
	v_add_f32_e32 v25, v34, v25
	v_sub_f32_e32 v29, v30, v29
	s_delay_alu instid0(VALU_DEP_2) | instskip(NEXT) | instid1(VALU_DEP_1)
	v_mul_f32_e32 v25, v27, v25
	v_add_f32_e32 v25, v29, v25
	s_delay_alu instid0(VALU_DEP_1) | instskip(NEXT) | instid1(VALU_DEP_1)
	v_add_f32_e32 v27, v28, v25
	v_mul_f32_e32 v29, v27, v27
	s_delay_alu instid0(VALU_DEP_1) | instskip(SKIP_1) | instid1(VALU_DEP_2)
	v_fmaak_f32 v30, s13, v29, 0x3ecc95a3
	v_mul_f32_e32 v31, v27, v29
	v_fmaak_f32 v29, v29, v30, 0x3f2aaada
	v_ldexp_f32 v30, v27, 1
	v_sub_f32_e32 v27, v27, v28
	s_delay_alu instid0(VALU_DEP_3) | instskip(SKIP_1) | instid1(VALU_DEP_2)
	v_mul_f32_e32 v29, v31, v29
	v_mul_f32_e32 v31, 0x3f317218, v24
	v_dual_sub_f32 v25, v25, v27 :: v_dual_add_f32 v28, v30, v29
	s_delay_alu instid0(VALU_DEP_1) | instskip(NEXT) | instid1(VALU_DEP_2)
	v_ldexp_f32 v25, v25, 1
	v_sub_f32_e32 v27, v28, v30
	s_delay_alu instid0(VALU_DEP_4) | instskip(NEXT) | instid1(VALU_DEP_1)
	v_fma_f32 v30, 0x3f317218, v24, -v31
	v_dual_sub_f32 v27, v29, v27 :: v_dual_fmac_f32 v30, 0xb102e308, v24
	s_delay_alu instid0(VALU_DEP_1) | instskip(NEXT) | instid1(VALU_DEP_1)
	v_dual_add_f32 v24, v25, v27 :: v_dual_add_f32 v25, v31, v30
	v_add_f32_e32 v27, v28, v24
	s_delay_alu instid0(VALU_DEP_2) | instskip(NEXT) | instid1(VALU_DEP_2)
	v_sub_f32_e32 v31, v25, v31
	v_dual_add_f32 v29, v25, v27 :: v_dual_sub_f32 v28, v27, v28
	s_delay_alu instid0(VALU_DEP_2) | instskip(NEXT) | instid1(VALU_DEP_2)
	v_sub_f32_e32 v30, v30, v31
	v_sub_f32_e32 v32, v29, v25
	s_delay_alu instid0(VALU_DEP_3) | instskip(NEXT) | instid1(VALU_DEP_2)
	v_sub_f32_e32 v24, v24, v28
	v_sub_f32_e32 v33, v29, v32
	;; [unrolled: 1-line block ×3, first 2 shown]
	s_delay_alu instid0(VALU_DEP_2) | instskip(NEXT) | instid1(VALU_DEP_1)
	v_dual_add_f32 v28, v30, v24 :: v_dual_sub_f32 v25, v25, v33
	v_add_f32_e32 v25, v27, v25
	s_delay_alu instid0(VALU_DEP_2) | instskip(NEXT) | instid1(VALU_DEP_2)
	v_sub_f32_e32 v27, v28, v30
	v_add_f32_e32 v25, v28, v25
	s_delay_alu instid0(VALU_DEP_2) | instskip(NEXT) | instid1(VALU_DEP_2)
	v_sub_f32_e32 v28, v28, v27
	v_dual_sub_f32 v24, v24, v27 :: v_dual_add_f32 v31, v29, v25
	s_delay_alu instid0(VALU_DEP_1) | instskip(NEXT) | instid1(VALU_DEP_1)
	v_dual_sub_f32 v27, v30, v28 :: v_dual_sub_f32 v28, v31, v29
	v_dual_add_f32 v24, v24, v27 :: v_dual_sub_f32 v25, v25, v28
	s_delay_alu instid0(VALU_DEP_1) | instskip(NEXT) | instid1(VALU_DEP_1)
	v_add_f32_e32 v24, v24, v25
	v_add_f32_e32 v24, v31, v24
	s_delay_alu instid0(VALU_DEP_1) | instskip(NEXT) | instid1(VALU_DEP_1)
	v_cvt_f16_f32_e32 v24, v24
	v_cndmask_b32_e32 v24, v24, v23, vcc_lo
	v_cmp_ngt_f16_e32 vcc_lo, -1.0, v23
	s_delay_alu instid0(VALU_DEP_2) | instskip(SKIP_1) | instid1(VALU_DEP_2)
	v_cndmask_b32_e32 v24, 0x7e00, v24, vcc_lo
	v_cmp_neq_f16_e32 vcc_lo, -1.0, v23
	v_cndmask_b32_e32 v24, 0xfc00, v24, vcc_lo
	v_cmp_gt_f32_e64 vcc_lo, 0x33800000, |v26|
	s_delay_alu instid0(VALU_DEP_2)
	v_cndmask_b32_e32 v25, v24, v23, vcc_lo
	v_add_co_u32 v23, vcc_lo, v7, s6
	v_add_co_ci_u32_e32 v24, vcc_lo, s7, v8, vcc_lo
	global_store_b16 v[23:24], v25, off
	s_branch .LBB206_8
.LBB206_25:
	s_nop 0
	s_sendmsg sendmsg(MSG_DEALLOC_VGPRS)
	s_endpgm
	.section	.rodata,"a",@progbits
	.p2align	6, 0x0
	.amdhsa_kernel _ZN2at6native12_GLOBAL__N_125multi_tensor_apply_kernelINS1_18TensorListMetadataILi2EEENS1_14UnaryOpFunctorIN3c104HalfELi2ELi1ELi1EEEJNS0_5Log1pIfEEEEEvT_T0_DpT1_
		.amdhsa_group_segment_fixed_size 0
		.amdhsa_private_segment_fixed_size 0
		.amdhsa_kernarg_size 3408
		.amdhsa_user_sgpr_count 15
		.amdhsa_user_sgpr_dispatch_ptr 0
		.amdhsa_user_sgpr_queue_ptr 0
		.amdhsa_user_sgpr_kernarg_segment_ptr 1
		.amdhsa_user_sgpr_dispatch_id 0
		.amdhsa_user_sgpr_private_segment_size 0
		.amdhsa_wavefront_size32 1
		.amdhsa_uses_dynamic_stack 0
		.amdhsa_enable_private_segment 0
		.amdhsa_system_sgpr_workgroup_id_x 1
		.amdhsa_system_sgpr_workgroup_id_y 0
		.amdhsa_system_sgpr_workgroup_id_z 0
		.amdhsa_system_sgpr_workgroup_info 0
		.amdhsa_system_vgpr_workitem_id 0
		.amdhsa_next_free_vgpr 60
		.amdhsa_next_free_sgpr 24
		.amdhsa_reserve_vcc 1
		.amdhsa_float_round_mode_32 0
		.amdhsa_float_round_mode_16_64 0
		.amdhsa_float_denorm_mode_32 3
		.amdhsa_float_denorm_mode_16_64 3
		.amdhsa_dx10_clamp 1
		.amdhsa_ieee_mode 1
		.amdhsa_fp16_overflow 0
		.amdhsa_workgroup_processor_mode 1
		.amdhsa_memory_ordered 1
		.amdhsa_forward_progress 0
		.amdhsa_shared_vgpr_count 0
		.amdhsa_exception_fp_ieee_invalid_op 0
		.amdhsa_exception_fp_denorm_src 0
		.amdhsa_exception_fp_ieee_div_zero 0
		.amdhsa_exception_fp_ieee_overflow 0
		.amdhsa_exception_fp_ieee_underflow 0
		.amdhsa_exception_fp_ieee_inexact 0
		.amdhsa_exception_int_div_zero 0
	.end_amdhsa_kernel
	.section	.text._ZN2at6native12_GLOBAL__N_125multi_tensor_apply_kernelINS1_18TensorListMetadataILi2EEENS1_14UnaryOpFunctorIN3c104HalfELi2ELi1ELi1EEEJNS0_5Log1pIfEEEEEvT_T0_DpT1_,"axG",@progbits,_ZN2at6native12_GLOBAL__N_125multi_tensor_apply_kernelINS1_18TensorListMetadataILi2EEENS1_14UnaryOpFunctorIN3c104HalfELi2ELi1ELi1EEEJNS0_5Log1pIfEEEEEvT_T0_DpT1_,comdat
.Lfunc_end206:
	.size	_ZN2at6native12_GLOBAL__N_125multi_tensor_apply_kernelINS1_18TensorListMetadataILi2EEENS1_14UnaryOpFunctorIN3c104HalfELi2ELi1ELi1EEEJNS0_5Log1pIfEEEEEvT_T0_DpT1_, .Lfunc_end206-_ZN2at6native12_GLOBAL__N_125multi_tensor_apply_kernelINS1_18TensorListMetadataILi2EEENS1_14UnaryOpFunctorIN3c104HalfELi2ELi1ELi1EEEJNS0_5Log1pIfEEEEEvT_T0_DpT1_
                                        ; -- End function
	.section	.AMDGPU.csdata,"",@progbits
; Kernel info:
; codeLenInByte = 6832
; NumSgprs: 26
; NumVgprs: 60
; ScratchSize: 0
; MemoryBound: 0
; FloatMode: 240
; IeeeMode: 1
; LDSByteSize: 0 bytes/workgroup (compile time only)
; SGPRBlocks: 3
; VGPRBlocks: 7
; NumSGPRsForWavesPerEU: 26
; NumVGPRsForWavesPerEU: 60
; Occupancy: 16
; WaveLimiterHint : 0
; COMPUTE_PGM_RSRC2:SCRATCH_EN: 0
; COMPUTE_PGM_RSRC2:USER_SGPR: 15
; COMPUTE_PGM_RSRC2:TRAP_HANDLER: 0
; COMPUTE_PGM_RSRC2:TGID_X_EN: 1
; COMPUTE_PGM_RSRC2:TGID_Y_EN: 0
; COMPUTE_PGM_RSRC2:TGID_Z_EN: 0
; COMPUTE_PGM_RSRC2:TIDIG_COMP_CNT: 0
	.section	.text._ZN2at6native12_GLOBAL__N_125multi_tensor_apply_kernelINS1_18TensorListMetadataILi2EEENS1_14UnaryOpFunctorIN3c108BFloat16ELi2ELi1ELi1EEEJNS0_5Log1pIfEEEEEvT_T0_DpT1_,"axG",@progbits,_ZN2at6native12_GLOBAL__N_125multi_tensor_apply_kernelINS1_18TensorListMetadataILi2EEENS1_14UnaryOpFunctorIN3c108BFloat16ELi2ELi1ELi1EEEJNS0_5Log1pIfEEEEEvT_T0_DpT1_,comdat
	.globl	_ZN2at6native12_GLOBAL__N_125multi_tensor_apply_kernelINS1_18TensorListMetadataILi2EEENS1_14UnaryOpFunctorIN3c108BFloat16ELi2ELi1ELi1EEEJNS0_5Log1pIfEEEEEvT_T0_DpT1_ ; -- Begin function _ZN2at6native12_GLOBAL__N_125multi_tensor_apply_kernelINS1_18TensorListMetadataILi2EEENS1_14UnaryOpFunctorIN3c108BFloat16ELi2ELi1ELi1EEEJNS0_5Log1pIfEEEEEvT_T0_DpT1_
	.p2align	8
	.type	_ZN2at6native12_GLOBAL__N_125multi_tensor_apply_kernelINS1_18TensorListMetadataILi2EEENS1_14UnaryOpFunctorIN3c108BFloat16ELi2ELi1ELi1EEEJNS0_5Log1pIfEEEEEvT_T0_DpT1_,@function
_ZN2at6native12_GLOBAL__N_125multi_tensor_apply_kernelINS1_18TensorListMetadataILi2EEENS1_14UnaryOpFunctorIN3c108BFloat16ELi2ELi1ELi1EEEJNS0_5Log1pIfEEEEEvT_T0_DpT1_: ; @_ZN2at6native12_GLOBAL__N_125multi_tensor_apply_kernelINS1_18TensorListMetadataILi2EEENS1_14UnaryOpFunctorIN3c108BFloat16ELi2ELi1ELi1EEEJNS0_5Log1pIfEEEEEvT_T0_DpT1_
; %bb.0:
	v_mov_b32_e32 v1, s15
	s_add_u32 s2, s0, s15
	s_mul_hi_u32 s3, s15, 3
	s_mul_i32 s15, s15, 3
	s_addc_u32 s4, s1, 0
	global_load_u8 v1, v1, s[0:1] offset:1536
	s_add_u32 s2, s2, s15
	s_addc_u32 s3, s4, s3
	s_mov_b32 s7, 0
	s_load_b32 s2, s[2:3], 0x740
	s_mov_b32 s17, s7
	s_mov_b32 s11, s7
	s_waitcnt vmcnt(0)
	v_readfirstlane_b32 s5, v1
	s_delay_alu instid0(VALU_DEP_1)
	s_lshl_b32 s3, s5, 3
	s_clause 0x2
	s_load_b64 s[12:13], s[0:1], s3 offset:0x0
	s_load_b64 s[14:15], s[0:1], s3 offset:0x200
	;; [unrolled: 1-line block ×3, first 2 shown]
	s_waitcnt lgkmcnt(0)
	s_ashr_i32 s3, s2, 31
	s_delay_alu instid0(SALU_CYCLE_1) | instskip(SKIP_4) | instid1(SALU_CYCLE_1)
	s_lshl_b64 s[8:9], s[2:3], 17
	s_lshl_b64 s[2:3], s[2:3], 16
	s_and_b32 s6, s12, 7
	s_and_b32 s10, s14, 7
	;; [unrolled: 1-line block ×3, first 2 shown]
	s_or_b64 s[6:7], s[6:7], s[16:17]
	s_delay_alu instid0(SALU_CYCLE_1)
	s_or_b64 s[6:7], s[10:11], s[6:7]
	s_sub_u32 s10, s4, s2
	s_subb_u32 s11, s5, s3
	s_cmp_eq_u64 s[6:7], 0
	s_mov_b32 s2, -1
	s_cbranch_scc0 .LBB207_5
; %bb.1:
	v_dual_mov_b32 v2, 0 :: v_dual_lshlrev_b32 v1, 2, v0
	s_mov_b32 s16, exec_lo
	s_delay_alu instid0(VALU_DEP_1)
	v_cmpx_gt_i64_e64 s[10:11], v[1:2]
	s_cbranch_execz .LBB207_4
; %bb.2:
	s_load_b32 s2, s[0:1], 0xc5c
	v_lshlrev_b32_e32 v1, 3, v0
	s_mov_b32 s17, 0
	s_mov_b32 s20, 0x3e9b6dac
	s_delay_alu instid0(VALU_DEP_1) | instskip(NEXT) | instid1(VALU_DEP_1)
	v_add_co_u32 v3, s3, s8, v1
	v_add_co_ci_u32_e64 v4, null, s9, 0, s3
	s_waitcnt lgkmcnt(0)
	s_and_b32 s2, s2, 0xffff
	s_delay_alu instid0(SALU_CYCLE_1)
	v_add_lshl_u32 v1, v0, s2, 2
	s_lshl_b32 s18, s2, 3
	s_lshl_b32 s19, s2, 2
.LBB207_3:                              ; =>This Inner Loop Header: Depth=1
	v_add_co_u32 v5, vcc_lo, s12, v3
	v_add_co_ci_u32_e32 v6, vcc_lo, s13, v4, vcc_lo
	v_add_co_u32 v7, vcc_lo, s14, v3
	v_add_co_ci_u32_e32 v8, vcc_lo, s15, v4, vcc_lo
	global_load_b64 v[5:6], v[5:6], off
	v_cmp_le_i64_e32 vcc_lo, s[10:11], v[1:2]
	v_cmp_lt_u64_e64 s2, 0xffff, v[1:2]
	v_add_co_u32 v3, s3, v3, s18
	s_delay_alu instid0(VALU_DEP_1) | instskip(SKIP_1) | instid1(VALU_DEP_4)
	v_add_co_ci_u32_e64 v4, s3, 0, v4, s3
	v_add_co_u32 v1, s3, v1, s19
	s_or_b32 s2, vcc_lo, s2
	v_add_co_ci_u32_e64 v2, s3, 0, v2, s3
	s_and_b32 s2, exec_lo, s2
	s_delay_alu instid0(SALU_CYCLE_1) | instskip(SKIP_4) | instid1(VALU_DEP_3)
	s_or_b32 s17, s2, s17
	s_waitcnt vmcnt(0)
	v_lshlrev_b32_e32 v15, 16, v5
	v_and_b32_e32 v16, 0xffff0000, v5
	v_alignbit_b32 v5, v6, v5, 16
	v_dual_add_f32 v18, 1.0, v15 :: v_dual_and_b32 v17, 0xffff0000, v6
	s_delay_alu instid0(VALU_DEP_2) | instskip(NEXT) | instid1(VALU_DEP_2)
	v_dual_add_f32 v19, 1.0, v16 :: v_dual_and_b32 v20, 0xffff0000, v5
	v_add_f32_e32 v21, 1.0, v17
	s_delay_alu instid0(VALU_DEP_3) | instskip(NEXT) | instid1(VALU_DEP_3)
	v_cvt_f64_f32_e32 v[5:6], v18
	v_cvt_f64_f32_e32 v[9:10], v19
	s_delay_alu instid0(VALU_DEP_4) | instskip(NEXT) | instid1(VALU_DEP_4)
	v_add_f32_e32 v24, 1.0, v20
	v_cvt_f64_f32_e32 v[11:12], v21
	v_frexp_mant_f32_e32 v26, v19
	v_add_f32_e32 v22, -1.0, v18
	v_frexp_mant_f32_e32 v23, v18
	v_cvt_f64_f32_e32 v[13:14], v24
	v_add_f32_e32 v25, -1.0, v19
	v_cmp_gt_f32_e64 s4, 0x3f2aaaab, v26
	v_sub_f32_e32 v29, v22, v18
	v_cmp_gt_f32_e64 s6, 0x3f2aaaab, v23
	v_dual_add_f32 v27, -1.0, v21 :: v_dual_sub_f32 v22, v15, v22
	v_frexp_mant_f32_e32 v28, v21
	v_dual_sub_f32 v30, v25, v19 :: v_dual_add_f32 v31, -1.0, v24
	v_frexp_mant_f32_e32 v32, v24
	s_delay_alu instid0(VALU_DEP_3) | instskip(NEXT) | instid1(VALU_DEP_3)
	v_cmp_gt_f32_e64 s5, 0x3f2aaaab, v28
	v_dual_add_f32 v30, 1.0, v30 :: v_dual_sub_f32 v25, v16, v25
	s_delay_alu instid0(VALU_DEP_4) | instskip(SKIP_2) | instid1(VALU_DEP_3)
	v_sub_f32_e32 v34, v31, v24
	v_sub_f32_e32 v33, v27, v21
	v_cmp_gt_f32_e64 s7, 0x3f2aaaab, v32
	v_add_f32_e32 v34, 1.0, v34
	v_frexp_exp_i32_f64_e32 v5, v[5:6]
	v_frexp_exp_i32_f64_e32 v6, v[9:10]
	;; [unrolled: 1-line block ×4, first 2 shown]
	s_delay_alu instid0(VALU_DEP_4) | instskip(NEXT) | instid1(VALU_DEP_4)
	v_subrev_co_ci_u32_e64 v5, s6, 0, v5, s6
	v_subrev_co_ci_u32_e64 v6, s4, 0, v6, s4
	s_delay_alu instid0(VALU_DEP_4) | instskip(NEXT) | instid1(VALU_DEP_3)
	v_subrev_co_ci_u32_e64 v9, s4, 0, v9, s5
	v_sub_nc_u32_e32 v11, 0, v5
	s_delay_alu instid0(VALU_DEP_3)
	v_sub_nc_u32_e32 v12, 0, v6
	v_cvt_f32_i32_e32 v6, v6
	v_add_f32_e32 v29, 1.0, v29
	v_sub_f32_e32 v27, v17, v27
	v_cvt_f32_i32_e32 v5, v5
	v_ldexp_f32 v14, v18, v11
	s_delay_alu instid0(VALU_DEP_4) | instskip(SKIP_2) | instid1(VALU_DEP_4)
	v_dual_sub_f32 v31, v20, v31 :: v_dual_add_f32 v22, v22, v29
	v_add_f32_e32 v33, 1.0, v33
	v_subrev_co_ci_u32_e64 v10, s4, 0, v10, s7
	v_add_f32_e32 v26, -1.0, v14
	s_delay_alu instid0(VALU_DEP_4)
	v_ldexp_f32 v11, v22, v11
	v_mul_f32_e32 v22, 0x3f317218, v6
	v_sub_nc_u32_e32 v13, 0, v9
	v_cvt_f32_i32_e32 v9, v9
	v_mul_f32_e32 v18, 0x3f317218, v5
	v_ldexp_f32 v19, v19, v12
	v_add_f32_e32 v25, v25, v30
	v_fma_f32 v32, 0x3f317218, v6, -v22
	v_dual_add_f32 v27, v27, v33 :: v_dual_add_f32 v36, 1.0, v26
	v_sub_nc_u32_e32 v23, 0, v10
	v_cvt_f32_i32_e32 v10, v10
	v_ldexp_f32 v21, v21, v13
	v_add_f32_e32 v29, v31, v34
	v_fma_f32 v28, 0x3f317218, v5, -v18
	v_add_f32_e32 v30, -1.0, v19
	v_ldexp_f32 v12, v25, v12
	v_dual_add_f32 v34, 1.0, v21 :: v_dual_add_f32 v31, 1.0, v19
	v_fmac_f32_e32 v32, 0xb102e308, v6
	v_mul_f32_e32 v25, 0x3f317218, v9
	v_ldexp_f32 v13, v27, v13
	v_dual_add_f32 v27, 1.0, v14 :: v_dual_fmac_f32 v28, 0xb102e308, v5
	v_ldexp_f32 v24, v24, v23
	v_ldexp_f32 v23, v29, v23
	v_mul_f32_e32 v29, 0x3f317218, v10
	v_dual_add_f32 v33, -1.0, v21 :: v_dual_add_f32 v42, -1.0, v34
	v_add_f32_e32 v38, -1.0, v31
	v_fma_f32 v35, 0x3f317218, v9, -v25
	v_dual_add_f32 v37, -1.0, v27 :: v_dual_add_f32 v6, -1.0, v24
	v_fma_f32 v40, 0x3f317218, v10, -v29
	v_add_f32_e32 v41, 1.0, v33
	s_delay_alu instid0(VALU_DEP_4)
	v_fmac_f32_e32 v35, 0xb102e308, v9
	v_sub_f32_e32 v9, v14, v36
	v_dual_add_f32 v36, v18, v28 :: v_dual_add_f32 v5, 1.0, v30
	v_dual_sub_f32 v14, v14, v37 :: v_dual_add_f32 v39, 1.0, v24
	v_fmac_f32_e32 v40, 0xb102e308, v10
	v_sub_f32_e32 v10, v21, v41
	s_delay_alu instid0(VALU_DEP_4) | instskip(SKIP_2) | instid1(VALU_DEP_4)
	v_sub_f32_e32 v5, v19, v5
	v_add_f32_e32 v9, v11, v9
	v_sub_f32_e32 v19, v19, v38
	v_dual_add_f32 v37, v22, v32 :: v_dual_add_f32 v10, v13, v10
	s_delay_alu instid0(VALU_DEP_4) | instskip(SKIP_4) | instid1(VALU_DEP_3)
	v_add_f32_e32 v5, v12, v5
	v_add_f32_e32 v11, v11, v14
	v_sub_f32_e32 v14, v36, v18
	v_dual_add_f32 v38, 1.0, v6 :: v_dual_add_f32 v43, -1.0, v39
	v_sub_f32_e32 v18, v37, v22
	v_dual_add_f32 v41, v25, v35 :: v_dual_sub_f32 v14, v28, v14
	v_dual_add_f32 v28, v30, v5 :: v_dual_sub_f32 v21, v21, v42
	s_delay_alu instid0(VALU_DEP_4) | instskip(SKIP_2) | instid1(VALU_DEP_4)
	v_sub_f32_e32 v22, v24, v43
	v_add_f32_e32 v12, v12, v19
	v_dual_sub_f32 v19, v24, v38 :: v_dual_add_f32 v38, v27, v11
	v_dual_add_f32 v13, v13, v21 :: v_dual_sub_f32 v18, v32, v18
	v_add_f32_e32 v24, v29, v40
	v_dual_sub_f32 v21, v41, v25 :: v_dual_add_f32 v22, v23, v22
	v_dual_add_f32 v25, v26, v9 :: v_dual_sub_f32 v30, v28, v30
	s_delay_alu instid0(VALU_DEP_4) | instskip(SKIP_1) | instid1(VALU_DEP_3)
	v_dual_add_f32 v32, v34, v13 :: v_dual_add_f32 v19, v23, v19
	v_add_f32_e32 v42, v31, v12
	v_dual_sub_f32 v26, v25, v26 :: v_dual_sub_f32 v23, v24, v29
	s_delay_alu instid0(VALU_DEP_3) | instskip(NEXT) | instid1(VALU_DEP_4)
	v_dual_sub_f32 v21, v35, v21 :: v_dual_sub_f32 v34, v32, v34
	v_add_f32_e32 v44, v6, v19
	v_sub_f32_e32 v27, v38, v27
	v_rcp_f32_e32 v35, v38
	v_sub_f32_e32 v5, v5, v30
	v_rcp_f32_e32 v43, v42
	v_dual_sub_f32 v6, v44, v6 :: v_dual_sub_f32 v31, v42, v31
	v_cmp_eq_f32_e64 s6, 0x7f800000, v15
	v_cmp_eq_f32_e64 s4, 0x7f800000, v16
	;; [unrolled: 1-line block ×3, first 2 shown]
	s_delay_alu instid0(VALU_DEP_4) | instskip(SKIP_1) | instid1(TRANS32_DEP_2)
	v_sub_f32_e32 v6, v19, v6
	v_dual_add_f32 v29, v33, v10 :: v_dual_sub_f32 v12, v12, v31
	v_mul_f32_e32 v30, v25, v35
	v_sub_f32_e32 v23, v40, v23
	v_rcp_f32_e32 v40, v32
	s_delay_alu instid0(VALU_DEP_3) | instskip(SKIP_2) | instid1(VALU_DEP_3)
	v_sub_f32_e32 v33, v29, v33
	v_add_f32_e32 v45, v39, v22
	v_cmp_ngt_f32_e64 s7, -1.0, v15
	v_dual_sub_f32 v10, v10, v33 :: v_dual_sub_f32 v11, v11, v27
	s_delay_alu instid0(VALU_DEP_3) | instskip(SKIP_2) | instid1(VALU_DEP_1)
	v_rcp_f32_e32 v27, v45
	v_sub_f32_e32 v9, v9, v26
	v_sub_f32_e32 v26, v45, v39
	;; [unrolled: 1-line block ×3, first 2 shown]
	v_mul_f32_e32 v26, v38, v30
	s_waitcnt_depctr 0xfff
	v_dual_sub_f32 v13, v13, v34 :: v_dual_mul_f32 v34, v44, v27
	v_mul_f32_e32 v22, v29, v40
	v_fma_f32 v46, v30, v38, -v26
	s_delay_alu instid0(VALU_DEP_3) | instskip(NEXT) | instid1(VALU_DEP_2)
	v_mul_f32_e32 v48, v45, v34
	v_dual_mul_f32 v39, v32, v22 :: v_dual_fmac_f32 v46, v30, v11
	s_delay_alu instid0(VALU_DEP_2) | instskip(NEXT) | instid1(VALU_DEP_2)
	v_fma_f32 v50, v34, v45, -v48
	v_fma_f32 v49, v22, v32, -v39
	s_delay_alu instid0(VALU_DEP_3) | instskip(SKIP_1) | instid1(VALU_DEP_4)
	v_add_f32_e32 v51, v26, v46
	v_mul_f32_e32 v31, v28, v43
	v_fmac_f32_e32 v50, v34, v19
	s_delay_alu instid0(VALU_DEP_2) | instskip(NEXT) | instid1(VALU_DEP_2)
	v_dual_sub_f32 v26, v51, v26 :: v_dual_mul_f32 v33, v42, v31
	v_add_f32_e32 v56, v48, v50
	v_sub_f32_e32 v54, v25, v51
	s_delay_alu instid0(VALU_DEP_3) | instskip(NEXT) | instid1(VALU_DEP_4)
	v_sub_f32_e32 v26, v26, v46
	v_fma_f32 v47, v31, v42, -v33
	s_delay_alu instid0(VALU_DEP_4) | instskip(NEXT) | instid1(VALU_DEP_2)
	v_sub_f32_e32 v46, v56, v48
	v_fmac_f32_e32 v47, v31, v12
	v_fmac_f32_e32 v49, v22, v13
	s_delay_alu instid0(VALU_DEP_3) | instskip(NEXT) | instid1(VALU_DEP_2)
	v_sub_f32_e32 v46, v46, v50
	v_dual_add_f32 v52, v33, v47 :: v_dual_add_f32 v53, v39, v49
	s_delay_alu instid0(VALU_DEP_1) | instskip(NEXT) | instid1(VALU_DEP_2)
	v_sub_f32_e32 v33, v52, v33
	v_sub_f32_e32 v39, v53, v39
	;; [unrolled: 1-line block ×3, first 2 shown]
	s_delay_alu instid0(VALU_DEP_3) | instskip(NEXT) | instid1(VALU_DEP_3)
	v_sub_f32_e32 v33, v33, v47
	v_sub_f32_e32 v39, v39, v49
	s_delay_alu instid0(VALU_DEP_3) | instskip(NEXT) | instid1(VALU_DEP_1)
	v_sub_f32_e32 v29, v29, v57
	v_sub_f32_e32 v29, v29, v53
	s_delay_alu instid0(VALU_DEP_1) | instskip(SKIP_1) | instid1(VALU_DEP_2)
	v_dual_sub_f32 v55, v28, v52 :: v_dual_add_f32 v10, v10, v29
	v_sub_f32_e32 v47, v44, v56
	v_sub_f32_e32 v28, v28, v55
	s_delay_alu instid0(VALU_DEP_3) | instskip(NEXT) | instid1(VALU_DEP_3)
	v_add_f32_e32 v10, v39, v10
	v_dual_sub_f32 v25, v25, v54 :: v_dual_sub_f32 v44, v44, v47
	s_delay_alu instid0(VALU_DEP_1) | instskip(NEXT) | instid1(VALU_DEP_1)
	v_dual_sub_f32 v28, v28, v52 :: v_dual_sub_f32 v25, v25, v51
	v_add_f32_e32 v9, v9, v25
	s_delay_alu instid0(VALU_DEP_3) | instskip(NEXT) | instid1(VALU_DEP_1)
	v_sub_f32_e32 v25, v44, v56
	v_add_f32_e32 v6, v6, v25
	s_delay_alu instid0(VALU_DEP_1) | instskip(NEXT) | instid1(VALU_DEP_1)
	v_add_f32_e32 v6, v46, v6
	v_dual_add_f32 v46, v47, v6 :: v_dual_add_f32 v9, v26, v9
	s_delay_alu instid0(VALU_DEP_1) | instskip(NEXT) | instid1(VALU_DEP_1)
	v_dual_mul_f32 v52, v27, v46 :: v_dual_add_f32 v25, v54, v9
	v_mul_f32_e32 v29, v35, v25
	v_add_f32_e32 v5, v5, v28
	v_add_f32_e32 v28, v57, v10
	s_delay_alu instid0(VALU_DEP_3) | instskip(NEXT) | instid1(VALU_DEP_2)
	v_mul_f32_e32 v50, v38, v29
	v_dual_add_f32 v5, v33, v5 :: v_dual_mul_f32 v48, v40, v28
	s_delay_alu instid0(VALU_DEP_1) | instskip(NEXT) | instid1(VALU_DEP_1)
	v_dual_add_f32 v26, v55, v5 :: v_dual_mul_f32 v53, v32, v48
	v_sub_f32_e32 v44, v55, v26
	s_delay_alu instid0(VALU_DEP_2) | instskip(NEXT) | instid1(VALU_DEP_1)
	v_fma_f32 v32, v48, v32, -v53
	v_dual_sub_f32 v47, v47, v46 :: v_dual_fmac_f32 v32, v48, v13
	s_delay_alu instid0(VALU_DEP_1) | instskip(SKIP_2) | instid1(VALU_DEP_3)
	v_dual_sub_f32 v49, v57, v28 :: v_dual_add_f32 v6, v6, v47
	v_mul_f32_e32 v39, v43, v26
	v_add_f32_e32 v47, v34, v52
	v_add_f32_e32 v10, v10, v49
	;; [unrolled: 1-line block ×3, first 2 shown]
	v_sub_f32_e32 v33, v54, v25
	v_dual_mul_f32 v51, v42, v39 :: v_dual_mul_f32 v54, v45, v52
	v_fma_f32 v38, v29, v38, -v50
	s_delay_alu instid0(VALU_DEP_4) | instskip(SKIP_1) | instid1(VALU_DEP_4)
	v_sub_f32_e32 v22, v49, v22
	v_add_f32_e32 v5, v5, v44
	v_fma_f32 v42, v39, v42, -v51
	v_add_f32_e32 v9, v9, v33
	v_dual_add_f32 v33, v30, v29 :: v_dual_fmac_f32 v38, v29, v11
	v_add_f32_e32 v44, v31, v39
	s_delay_alu instid0(VALU_DEP_4) | instskip(NEXT) | instid1(VALU_DEP_3)
	v_fmac_f32_e32 v42, v39, v12
	v_sub_f32_e32 v30, v33, v30
	s_delay_alu instid0(VALU_DEP_1) | instskip(SKIP_1) | instid1(VALU_DEP_1)
	v_sub_f32_e32 v11, v29, v30
	v_fma_f32 v29, v52, v45, -v54
	v_dual_sub_f32 v30, v47, v34 :: v_dual_fmac_f32 v29, v52, v19
	v_sub_f32_e32 v13, v48, v22
	v_dual_add_f32 v22, v50, v38 :: v_dual_sub_f32 v31, v44, v31
	s_delay_alu instid0(VALU_DEP_3) | instskip(NEXT) | instid1(VALU_DEP_2)
	v_dual_sub_f32 v19, v52, v30 :: v_dual_add_f32 v30, v53, v32
	v_sub_f32_e32 v34, v22, v50
	s_delay_alu instid0(VALU_DEP_3) | instskip(SKIP_1) | instid1(VALU_DEP_4)
	v_sub_f32_e32 v12, v39, v31
	v_add_f32_e32 v31, v51, v42
	v_sub_f32_e32 v52, v28, v30
	v_dual_sub_f32 v39, v25, v22 :: v_dual_add_f32 v50, v54, v29
	v_sub_f32_e32 v34, v34, v38
	s_delay_alu instid0(VALU_DEP_4) | instskip(NEXT) | instid1(VALU_DEP_3)
	v_sub_f32_e32 v48, v26, v31
	v_dual_sub_f32 v28, v28, v52 :: v_dual_sub_f32 v25, v25, v39
	s_delay_alu instid0(VALU_DEP_2) | instskip(NEXT) | instid1(VALU_DEP_2)
	v_dual_sub_f32 v26, v26, v48 :: v_dual_sub_f32 v45, v31, v51
	v_sub_f32_e32 v28, v28, v30
	s_delay_alu instid0(VALU_DEP_2) | instskip(SKIP_2) | instid1(VALU_DEP_1)
	v_sub_f32_e32 v38, v45, v42
	v_sub_f32_e32 v42, v50, v54
	v_dual_sub_f32 v51, v30, v53 :: v_dual_sub_f32 v22, v25, v22
	v_dual_sub_f32 v25, v26, v31 :: v_dual_sub_f32 v32, v51, v32
	s_delay_alu instid0(VALU_DEP_2) | instskip(NEXT) | instid1(VALU_DEP_2)
	v_add_f32_e32 v9, v9, v22
	v_add_f32_e32 v5, v5, v25
	s_delay_alu instid0(VALU_DEP_1) | instskip(NEXT) | instid1(VALU_DEP_1)
	v_add_f32_e32 v5, v38, v5
	v_add_f32_e32 v5, v48, v5
	s_delay_alu instid0(VALU_DEP_1) | instskip(NEXT) | instid1(VALU_DEP_1)
	v_mul_f32_e32 v5, v43, v5
	v_add_f32_e32 v5, v12, v5
	s_delay_alu instid0(VALU_DEP_1) | instskip(NEXT) | instid1(VALU_DEP_1)
	v_dual_sub_f32 v45, v46, v50 :: v_dual_add_f32 v12, v44, v5
	v_sub_f32_e32 v26, v46, v45
	s_delay_alu instid0(VALU_DEP_1) | instskip(NEXT) | instid1(VALU_DEP_3)
	v_sub_f32_e32 v22, v26, v50
	v_mul_f32_e32 v26, v12, v12
	s_delay_alu instid0(VALU_DEP_2) | instskip(SKIP_3) | instid1(VALU_DEP_3)
	v_add_f32_e32 v6, v6, v22
	v_add_f32_e32 v9, v34, v9
	;; [unrolled: 1-line block ×3, first 2 shown]
	v_ldexp_f32 v28, v12, 1
	v_add_f32_e32 v9, v39, v9
	s_delay_alu instid0(VALU_DEP_3) | instskip(NEXT) | instid1(VALU_DEP_1)
	v_dual_sub_f32 v29, v42, v29 :: v_dual_add_f32 v10, v32, v10
	v_dual_mul_f32 v9, v35, v9 :: v_dual_add_f32 v6, v29, v6
	s_delay_alu instid0(VALU_DEP_2) | instskip(NEXT) | instid1(VALU_DEP_2)
	v_add_f32_e32 v10, v52, v10
	v_add_f32_e32 v6, v45, v6
	s_delay_alu instid0(VALU_DEP_2) | instskip(NEXT) | instid1(VALU_DEP_2)
	v_dual_mul_f32 v10, v40, v10 :: v_dual_add_f32 v9, v11, v9
	v_mul_f32_e32 v6, v27, v6
	s_delay_alu instid0(VALU_DEP_2) | instskip(NEXT) | instid1(VALU_DEP_2)
	v_add_f32_e32 v10, v13, v10
	v_dual_add_f32 v11, v33, v9 :: v_dual_add_f32 v6, v19, v6
	s_delay_alu instid0(VALU_DEP_1) | instskip(SKIP_3) | instid1(VALU_DEP_4)
	v_dual_add_f32 v13, v49, v10 :: v_dual_sub_f32 v22, v11, v33
	v_mul_f32_e32 v19, v11, v11
	v_sub_f32_e32 v27, v12, v44
	v_ldexp_f32 v25, v11, 1
	v_mul_f32_e32 v30, v13, v13
	v_sub_f32_e32 v31, v13, v49
	v_dual_fmaak_f32 v33, s20, v19, 0x3ecc95a3 :: v_dual_mul_f32 v12, v12, v26
	v_sub_f32_e32 v9, v9, v22
	v_fmaak_f32 v22, s20, v26, 0x3ecc95a3
	s_delay_alu instid0(VALU_DEP_4) | instskip(SKIP_1) | instid1(VALU_DEP_3)
	v_dual_add_f32 v29, v47, v6 :: v_dual_sub_f32 v10, v10, v31
	v_dual_mul_f32 v11, v11, v19 :: v_dual_fmaak_f32 v38, s20, v30, 0x3ecc95a3
	v_dual_sub_f32 v5, v5, v27 :: v_dual_fmaak_f32 v22, v26, v22, 0x3f2aaada
	s_delay_alu instid0(VALU_DEP_3) | instskip(SKIP_3) | instid1(VALU_DEP_4)
	v_dual_sub_f32 v34, v29, v47 :: v_dual_fmaak_f32 v19, v19, v33, 0x3f2aaada
	v_mul_f32_e32 v27, v29, v29
	v_ldexp_f32 v32, v13, 1
	v_ldexp_f32 v35, v29, 1
	v_dual_sub_f32 v6, v6, v34 :: v_dual_mul_f32 v11, v11, v19
	v_mul_f32_e32 v12, v12, v22
	v_dual_mul_f32 v13, v13, v30 :: v_dual_fmaak_f32 v26, s20, v27, 0x3ecc95a3
	v_dual_mul_f32 v29, v29, v27 :: v_dual_fmaak_f32 v30, v30, v38, 0x3f2aaada
	s_delay_alu instid0(VALU_DEP_4) | instskip(NEXT) | instid1(VALU_DEP_3)
	v_ldexp_f32 v6, v6, 1
	v_dual_add_f32 v22, v25, v11 :: v_dual_fmaak_f32 v19, v27, v26, 0x3f2aaada
	s_delay_alu instid0(VALU_DEP_3) | instskip(SKIP_3) | instid1(VALU_DEP_4)
	v_dual_add_f32 v26, v28, v12 :: v_dual_mul_f32 v13, v13, v30
	v_ldexp_f32 v9, v9, 1
	v_ldexp_f32 v10, v10, 1
	;; [unrolled: 1-line block ×3, first 2 shown]
	v_dual_sub_f32 v28, v26, v28 :: v_dual_add_f32 v27, v32, v13
	v_mul_f32_e32 v19, v29, v19
	s_delay_alu instid0(VALU_DEP_2) | instskip(NEXT) | instid1(VALU_DEP_3)
	v_dual_sub_f32 v25, v22, v25 :: v_dual_sub_f32 v12, v12, v28
	v_sub_f32_e32 v30, v27, v32
	s_delay_alu instid0(VALU_DEP_2) | instskip(NEXT) | instid1(VALU_DEP_3)
	v_sub_f32_e32 v11, v11, v25
	v_add_f32_e32 v5, v5, v12
	s_delay_alu instid0(VALU_DEP_3) | instskip(SKIP_1) | instid1(VALU_DEP_2)
	v_sub_f32_e32 v13, v13, v30
	v_add_f32_e32 v29, v35, v19
	v_dual_add_f32 v9, v9, v11 :: v_dual_add_f32 v10, v10, v13
	s_delay_alu instid0(VALU_DEP_1) | instskip(NEXT) | instid1(VALU_DEP_1)
	v_dual_sub_f32 v25, v29, v35 :: v_dual_add_f32 v12, v22, v9
	v_sub_f32_e32 v11, v19, v25
	s_delay_alu instid0(VALU_DEP_2) | instskip(SKIP_1) | instid1(VALU_DEP_3)
	v_sub_f32_e32 v19, v12, v22
	v_add_f32_e32 v22, v36, v12
	v_dual_add_f32 v6, v6, v11 :: v_dual_add_f32 v11, v27, v10
	s_delay_alu instid0(VALU_DEP_1) | instskip(NEXT) | instid1(VALU_DEP_1)
	v_add_f32_e32 v28, v29, v6
	v_dual_add_f32 v30, v41, v11 :: v_dual_sub_f32 v29, v28, v29
	s_delay_alu instid0(VALU_DEP_1) | instskip(NEXT) | instid1(VALU_DEP_1)
	v_dual_add_f32 v31, v24, v28 :: v_dual_sub_f32 v6, v6, v29
	v_sub_f32_e32 v29, v31, v24
	v_sub_f32_e32 v9, v9, v19
	s_delay_alu instid0(VALU_DEP_2) | instskip(NEXT) | instid1(VALU_DEP_1)
	v_dual_sub_f32 v19, v22, v36 :: v_dual_sub_f32 v28, v28, v29
	v_sub_f32_e32 v32, v22, v19
	v_dual_add_f32 v13, v26, v5 :: v_dual_sub_f32 v12, v12, v19
	s_delay_alu instid0(VALU_DEP_2) | instskip(NEXT) | instid1(VALU_DEP_2)
	v_dual_add_f32 v19, v14, v9 :: v_dual_sub_f32 v32, v36, v32
	v_sub_f32_e32 v25, v13, v26
	v_dual_add_f32 v26, v37, v13 :: v_dual_sub_f32 v27, v11, v27
	s_delay_alu instid0(VALU_DEP_2) | instskip(NEXT) | instid1(VALU_DEP_2)
	v_dual_add_f32 v12, v12, v32 :: v_dual_sub_f32 v5, v5, v25
	v_sub_f32_e32 v10, v10, v27
	s_delay_alu instid0(VALU_DEP_2) | instskip(NEXT) | instid1(VALU_DEP_1)
	v_dual_sub_f32 v27, v30, v41 :: v_dual_add_f32 v12, v19, v12
	v_sub_f32_e32 v34, v30, v27
	v_sub_f32_e32 v11, v11, v27
	s_delay_alu instid0(VALU_DEP_4) | instskip(NEXT) | instid1(VALU_DEP_3)
	v_add_f32_e32 v27, v21, v10
	v_dual_sub_f32 v25, v26, v37 :: v_dual_sub_f32 v34, v41, v34
	s_delay_alu instid0(VALU_DEP_2) | instskip(NEXT) | instid1(VALU_DEP_2)
	v_sub_f32_e32 v38, v27, v21
	v_sub_f32_e32 v13, v13, v25
	;; [unrolled: 1-line block ×3, first 2 shown]
	s_delay_alu instid0(VALU_DEP_4) | instskip(NEXT) | instid1(VALU_DEP_4)
	v_add_f32_e32 v11, v11, v34
	v_sub_f32_e32 v34, v27, v38
	v_sub_f32_e32 v35, v19, v14
	s_delay_alu instid0(VALU_DEP_4) | instskip(NEXT) | instid1(VALU_DEP_2)
	v_dual_sub_f32 v10, v10, v38 :: v_dual_sub_f32 v33, v37, v33
	v_dual_sub_f32 v21, v21, v34 :: v_dual_sub_f32 v32, v19, v35
	s_delay_alu instid0(VALU_DEP_1) | instskip(NEXT) | instid1(VALU_DEP_2)
	v_dual_sub_f32 v9, v9, v35 :: v_dual_add_f32 v10, v10, v21
	v_sub_f32_e32 v14, v14, v32
	s_delay_alu instid0(VALU_DEP_1) | instskip(SKIP_2) | instid1(VALU_DEP_3)
	v_dual_add_f32 v9, v9, v14 :: v_dual_add_f32 v14, v22, v12
	v_sub_f32_e32 v37, v31, v29
	v_add_f32_e32 v29, v23, v6
	v_sub_f32_e32 v22, v14, v22
	v_add_f32_e32 v25, v18, v5
	s_delay_alu instid0(VALU_DEP_3) | instskip(NEXT) | instid1(VALU_DEP_3)
	v_dual_sub_f32 v35, v29, v23 :: v_dual_sub_f32 v24, v24, v37
	v_sub_f32_e32 v12, v12, v22
	s_delay_alu instid0(VALU_DEP_3) | instskip(NEXT) | instid1(VALU_DEP_3)
	v_sub_f32_e32 v36, v25, v18
	v_dual_sub_f32 v6, v6, v35 :: v_dual_add_f32 v13, v13, v33
	s_delay_alu instid0(VALU_DEP_4) | instskip(NEXT) | instid1(VALU_DEP_4)
	v_add_f32_e32 v19, v28, v24
	v_add_f32_e32 v9, v9, v12
	s_delay_alu instid0(VALU_DEP_4) | instskip(SKIP_2) | instid1(VALU_DEP_4)
	v_sub_f32_e32 v33, v25, v36
	v_sub_f32_e32 v5, v5, v36
	v_add_f32_e32 v13, v25, v13
	v_add_f32_e32 v9, v14, v9
	s_delay_alu instid0(VALU_DEP_4) | instskip(NEXT) | instid1(VALU_DEP_2)
	v_sub_f32_e32 v18, v18, v33
	v_cndmask_b32_e64 v9, v9, v15, s6
	s_delay_alu instid0(VALU_DEP_2)
	v_dual_add_f32 v5, v5, v18 :: v_dual_add_f32 v18, v26, v13
	v_sub_f32_e32 v24, v29, v35
	v_add_f32_e32 v19, v29, v19
	v_cmp_eq_f32_e64 s6, 0x7f800000, v20
	v_cndmask_b32_e64 v9, 0x7fc00000, v9, s7
	v_cmp_neq_f32_e64 s7, -1.0, v15
	v_dual_sub_f32 v23, v23, v24 :: v_dual_sub_f32 v24, v18, v26
	s_delay_alu instid0(VALU_DEP_2) | instskip(NEXT) | instid1(VALU_DEP_2)
	v_cndmask_b32_e64 v9, 0xff800000, v9, s7
	v_add_f32_e32 v6, v6, v23
	v_add_f32_e32 v23, v31, v19
	v_cmp_gt_f32_e64 s7, 0x33800000, |v15|
	s_delay_alu instid0(VALU_DEP_2) | instskip(NEXT) | instid1(VALU_DEP_2)
	v_sub_f32_e32 v22, v23, v31
	v_cndmask_b32_e64 v9, v9, v15, s7
	s_delay_alu instid0(VALU_DEP_2) | instskip(NEXT) | instid1(VALU_DEP_1)
	v_sub_f32_e32 v12, v19, v22
	v_dual_add_f32 v6, v6, v12 :: v_dual_add_f32 v11, v27, v11
	s_delay_alu instid0(VALU_DEP_1) | instskip(NEXT) | instid1(VALU_DEP_1)
	v_dual_add_f32 v6, v23, v6 :: v_dual_add_f32 v21, v30, v11
	v_cndmask_b32_e64 v6, v6, v20, s6
	s_delay_alu instid0(VALU_DEP_2) | instskip(SKIP_1) | instid1(VALU_DEP_2)
	v_sub_f32_e32 v25, v21, v30
	v_cmp_ngt_f32_e64 s6, -1.0, v20
	v_sub_f32_e32 v11, v11, v25
	s_delay_alu instid0(VALU_DEP_2) | instskip(SKIP_1) | instid1(VALU_DEP_3)
	v_cndmask_b32_e64 v6, 0x7fc00000, v6, s6
	v_cmp_neq_f32_e64 s6, -1.0, v20
	v_dual_add_f32 v10, v10, v11 :: v_dual_sub_f32 v13, v13, v24
	s_delay_alu instid0(VALU_DEP_2) | instskip(SKIP_1) | instid1(VALU_DEP_3)
	v_cndmask_b32_e64 v6, 0xff800000, v6, s6
	v_bfe_u32 v11, v9, 16, 1
	v_add_f32_e32 v10, v21, v10
	s_delay_alu instid0(VALU_DEP_4) | instskip(NEXT) | instid1(VALU_DEP_3)
	v_add_f32_e32 v5, v5, v13
	v_add3_u32 v11, v9, v11, 0x7fff
	s_delay_alu instid0(VALU_DEP_3) | instskip(NEXT) | instid1(VALU_DEP_3)
	v_cndmask_b32_e64 v10, v10, v17, s5
	v_add_f32_e32 v5, v18, v5
	v_cmp_ngt_f32_e64 s5, -1.0, v17
	s_delay_alu instid0(VALU_DEP_4) | instskip(NEXT) | instid1(VALU_DEP_3)
	v_lshrrev_b32_e32 v11, 16, v11
	v_cndmask_b32_e64 v5, v5, v16, s4
	v_cmp_ngt_f32_e64 s4, -1.0, v16
	s_delay_alu instid0(VALU_DEP_4) | instskip(SKIP_1) | instid1(VALU_DEP_3)
	v_cndmask_b32_e64 v10, 0x7fc00000, v10, s5
	v_cmp_neq_f32_e64 s5, -1.0, v17
	v_cndmask_b32_e64 v5, 0x7fc00000, v5, s4
	v_cmp_neq_f32_e64 s4, -1.0, v16
	s_delay_alu instid0(VALU_DEP_3) | instskip(SKIP_1) | instid1(VALU_DEP_3)
	v_cndmask_b32_e64 v10, 0xff800000, v10, s5
	v_cmp_gt_f32_e64 s5, 0x33800000, |v17|
	v_cndmask_b32_e64 v5, 0xff800000, v5, s4
	v_cmp_gt_f32_e64 s4, 0x33800000, |v16|
	s_delay_alu instid0(VALU_DEP_3) | instskip(NEXT) | instid1(VALU_DEP_2)
	v_cndmask_b32_e64 v10, v10, v17, s5
	v_cndmask_b32_e64 v5, v5, v16, s4
	v_cmp_gt_f32_e64 s4, 0x33800000, |v20|
	s_delay_alu instid0(VALU_DEP_3) | instskip(NEXT) | instid1(VALU_DEP_3)
	v_bfe_u32 v13, v10, 16, 1
	v_bfe_u32 v12, v5, 16, 1
	s_delay_alu instid0(VALU_DEP_3) | instskip(NEXT) | instid1(VALU_DEP_3)
	v_cndmask_b32_e64 v6, v6, v20, s4
	v_add3_u32 v13, v10, v13, 0x7fff
	v_cmp_o_f32_e64 s4, v9, v9
	v_cmp_o_f32_e64 s5, v5, v5
	v_add3_u32 v12, v5, v12, 0x7fff
	v_bfe_u32 v14, v6, 16, 1
	v_and_b32_e32 v13, 0xffff0000, v13
	v_cndmask_b32_e64 v11, 0x7fc0, v11, s4
	v_cmp_o_f32_e64 s4, v10, v10
	v_and_b32_e32 v12, 0xffff0000, v12
	v_add3_u32 v14, v6, v14, 0x7fff
	s_delay_alu instid0(VALU_DEP_3) | instskip(NEXT) | instid1(VALU_DEP_3)
	v_cndmask_b32_e64 v10, 0x7fc00000, v13, s4
	v_cndmask_b32_e64 v9, 0x7fc00000, v12, s5
	s_delay_alu instid0(VALU_DEP_3) | instskip(SKIP_1) | instid1(VALU_DEP_3)
	v_lshrrev_b32_e32 v5, 16, v14
	v_cmp_o_f32_e64 s4, v6, v6
	v_or_b32_e32 v9, v11, v9
	s_delay_alu instid0(VALU_DEP_2) | instskip(NEXT) | instid1(VALU_DEP_1)
	v_cndmask_b32_e64 v5, 0x7fc0, v5, s4
	v_or3_b32 v6, 0, v5, v10
	s_delay_alu instid0(VALU_DEP_3)
	v_or3_b32 v5, v9, 0, 0
	global_store_b64 v[7:8], v[5:6], off
	s_and_not1_b32 exec_lo, exec_lo, s17
	s_cbranch_execnz .LBB207_3
.LBB207_4:
	s_or_b32 exec_lo, exec_lo, s16
	s_mov_b32 s2, 0
.LBB207_5:
	s_delay_alu instid0(SALU_CYCLE_1)
	s_and_not1_b32 vcc_lo, exec_lo, s2
	s_cbranch_vccnz .LBB207_25
; %bb.6:
	v_cmp_lt_i64_e64 s2, s[10:11], 1
	s_delay_alu instid0(VALU_DEP_1)
	s_and_b32 vcc_lo, exec_lo, s2
	s_cbranch_vccnz .LBB207_25
; %bb.7:
	s_load_b32 s0, s[0:1], 0xc5c
	v_dual_mov_b32 v10, 0 :: v_dual_lshlrev_b32 v9, 1, v0
	v_cmp_gt_u64_e64 s1, 0x10000, s[10:11]
	s_mov_b64 s[6:7], 0
	s_delay_alu instid0(VALU_DEP_2) | instskip(NEXT) | instid1(VALU_DEP_1)
	v_add_co_u32 v1, s2, s12, v9
	v_add_co_ci_u32_e64 v2, null, s13, 0, s2
	v_add_co_u32 v3, s2, s14, v9
	s_delay_alu instid0(VALU_DEP_1)
	v_add_co_ci_u32_e64 v4, null, s15, 0, s2
	s_waitcnt lgkmcnt(0)
	s_and_b32 s0, s0, 0xffff
	s_and_b32 s1, s1, exec_lo
	v_mad_u64_u32 v[7:8], null, s0, 6, v[9:10]
	s_cselect_b32 s5, s11, 0
	s_cselect_b32 s4, s10, 0x10000
	s_mul_i32 s2, s0, 3
	s_lshl_b32 s16, s0, 2
	s_lshl_b32 s1, s0, 1
	v_add_co_u32 v14, s3, s16, v9
	v_add_co_u32 v9, s2, s2, v0
	s_delay_alu instid0(VALU_DEP_1) | instskip(SKIP_3) | instid1(VALU_DEP_3)
	v_add_co_ci_u32_e64 v10, null, 0, 0, s2
	v_add_co_u32 v13, s2, v0, s0
	v_add_co_u32 v5, vcc_lo, s12, v7
	v_add_co_ci_u32_e32 v6, vcc_lo, s13, v8, vcc_lo
	v_lshlrev_b32_e32 v21, 1, v13
	v_add_co_u32 v7, vcc_lo, s14, v7
	v_add_co_ci_u32_e64 v15, null, 0, 0, s3
	v_add_co_ci_u32_e32 v8, vcc_lo, s15, v8, vcc_lo
	v_add_co_u32 v17, s1, s1, v0
	v_add_co_u32 v11, vcc_lo, s12, v14
	v_add_co_ci_u32_e64 v18, null, 0, 0, s1
	v_add_co_u32 v19, s1, s12, v21
	v_add_co_ci_u32_e32 v12, vcc_lo, s13, v15, vcc_lo
	v_add_co_u32 v14, vcc_lo, s14, v14
	v_add_co_ci_u32_e64 v20, null, s13, 0, s1
	v_add_co_u32 v21, s1, s14, v21
	v_add_co_ci_u32_e32 v15, vcc_lo, s15, v15, vcc_lo
	v_add_co_ci_u32_e64 v16, null, 0, 0, s2
	v_add_co_ci_u32_e64 v22, null, s15, 0, s1
	s_lshl_b32 s12, s0, 3
	s_mov_b32 s13, 0x3e9b6dac
	s_branch .LBB207_9
.LBB207_8:                              ;   in Loop: Header=BB207_9 Depth=1
	s_or_b32 exec_lo, exec_lo, s0
	v_add_co_u32 v1, vcc_lo, v1, s12
	v_add_co_ci_u32_e32 v2, vcc_lo, 0, v2, vcc_lo
	v_add_co_u32 v3, vcc_lo, v3, s12
	v_add_co_ci_u32_e32 v4, vcc_lo, 0, v4, vcc_lo
	;; [unrolled: 2-line block ×5, first 2 shown]
	s_add_u32 s6, s6, s16
	v_add_co_u32 v14, vcc_lo, v14, s12
	s_addc_u32 s7, s7, 0
	v_add_co_ci_u32_e32 v15, vcc_lo, 0, v15, vcc_lo
	v_cmp_ge_i64_e64 s0, s[6:7], s[10:11]
	v_cmp_lt_u64_e64 s1, 0xffff, s[6:7]
	v_add_co_u32 v19, vcc_lo, v19, s12
	v_add_co_ci_u32_e32 v20, vcc_lo, 0, v20, vcc_lo
	v_add_co_u32 v21, vcc_lo, v21, s12
	v_add_co_ci_u32_e32 v22, vcc_lo, 0, v22, vcc_lo
	s_or_b32 s0, s0, s1
	s_delay_alu instid0(SALU_CYCLE_1)
	s_and_b32 vcc_lo, exec_lo, s0
	s_cbranch_vccnz .LBB207_25
.LBB207_9:                              ; =>This Inner Loop Header: Depth=1
	s_waitcnt vmcnt(0)
	v_add_co_u32 v23, s0, v0, s6
	s_delay_alu instid0(VALU_DEP_1) | instskip(SKIP_1) | instid1(VALU_DEP_2)
	v_add_co_ci_u32_e64 v24, null, 0, s7, s0
	v_mov_b32_e32 v26, 0
	v_cmp_gt_u64_e64 s2, s[4:5], v[23:24]
	s_delay_alu instid0(VALU_DEP_1)
	s_and_saveexec_b32 s0, s2
	s_cbranch_execz .LBB207_11
; %bb.10:                               ;   in Loop: Header=BB207_9 Depth=1
	v_add_co_u32 v23, vcc_lo, v1, s8
	v_add_co_ci_u32_e32 v24, vcc_lo, s9, v2, vcc_lo
	global_load_u16 v26, v[23:24], off
.LBB207_11:                             ;   in Loop: Header=BB207_9 Depth=1
	s_or_b32 exec_lo, exec_lo, s0
	v_add_co_u32 v23, vcc_lo, v13, s6
	v_add_co_ci_u32_e32 v24, vcc_lo, s7, v16, vcc_lo
	v_mov_b32_e32 v25, 0
	s_delay_alu instid0(VALU_DEP_2) | instskip(NEXT) | instid1(VALU_DEP_1)
	v_cmp_gt_u64_e64 s1, s[4:5], v[23:24]
	s_and_saveexec_b32 s0, s1
	s_cbranch_execz .LBB207_13
; %bb.12:                               ;   in Loop: Header=BB207_9 Depth=1
	v_add_co_u32 v23, vcc_lo, v19, s8
	v_add_co_ci_u32_e32 v24, vcc_lo, s9, v20, vcc_lo
	global_load_u16 v25, v[23:24], off
.LBB207_13:                             ;   in Loop: Header=BB207_9 Depth=1
	s_or_b32 exec_lo, exec_lo, s0
	v_add_co_u32 v23, vcc_lo, v17, s6
	v_add_co_ci_u32_e32 v24, vcc_lo, s7, v18, vcc_lo
	s_delay_alu instid0(VALU_DEP_1) | instskip(SKIP_1) | instid1(VALU_DEP_2)
	v_cmp_gt_u64_e64 s0, s[4:5], v[23:24]
	v_dual_mov_b32 v23, 0 :: v_dual_mov_b32 v24, 0
	s_and_saveexec_b32 s3, s0
	s_cbranch_execz .LBB207_15
; %bb.14:                               ;   in Loop: Header=BB207_9 Depth=1
	v_add_co_u32 v27, vcc_lo, v11, s8
	v_add_co_ci_u32_e32 v28, vcc_lo, s9, v12, vcc_lo
	global_load_u16 v24, v[27:28], off
.LBB207_15:                             ;   in Loop: Header=BB207_9 Depth=1
	s_or_b32 exec_lo, exec_lo, s3
	v_add_co_u32 v27, vcc_lo, v9, s6
	v_add_co_ci_u32_e32 v28, vcc_lo, s7, v10, vcc_lo
	s_delay_alu instid0(VALU_DEP_1)
	v_cmp_gt_u64_e32 vcc_lo, s[4:5], v[27:28]
	s_and_saveexec_b32 s14, vcc_lo
	s_cbranch_execnz .LBB207_20
; %bb.16:                               ;   in Loop: Header=BB207_9 Depth=1
	s_or_b32 exec_lo, exec_lo, s14
	s_and_saveexec_b32 s3, s2
	s_cbranch_execnz .LBB207_21
.LBB207_17:                             ;   in Loop: Header=BB207_9 Depth=1
	s_or_b32 exec_lo, exec_lo, s3
	s_and_saveexec_b32 s2, s1
	s_cbranch_execnz .LBB207_22
.LBB207_18:                             ;   in Loop: Header=BB207_9 Depth=1
	s_or_b32 exec_lo, exec_lo, s2
	s_and_saveexec_b32 s1, s0
	s_cbranch_execnz .LBB207_23
.LBB207_19:                             ;   in Loop: Header=BB207_9 Depth=1
	s_or_b32 exec_lo, exec_lo, s1
	s_and_saveexec_b32 s0, vcc_lo
	s_cbranch_execz .LBB207_8
	s_branch .LBB207_24
.LBB207_20:                             ;   in Loop: Header=BB207_9 Depth=1
	v_add_co_u32 v27, s3, v5, s8
	s_delay_alu instid0(VALU_DEP_1)
	v_add_co_ci_u32_e64 v28, s3, s9, v6, s3
	global_load_u16 v23, v[27:28], off
	s_or_b32 exec_lo, exec_lo, s14
	s_and_saveexec_b32 s3, s2
	s_cbranch_execz .LBB207_17
.LBB207_21:                             ;   in Loop: Header=BB207_9 Depth=1
	s_waitcnt vmcnt(0)
	v_lshlrev_b32_e32 v28, 16, v26
	s_delay_alu instid0(VALU_DEP_1) | instskip(NEXT) | instid1(VALU_DEP_1)
	v_add_f32_e32 v29, 1.0, v28
	v_cvt_f64_f32_e32 v[26:27], v29
	s_delay_alu instid0(VALU_DEP_1) | instskip(SKIP_1) | instid1(VALU_DEP_1)
	v_frexp_exp_i32_f64_e32 v26, v[26:27]
	v_frexp_mant_f32_e32 v27, v29
	v_cmp_gt_f32_e64 s2, 0x3f2aaaab, v27
	v_add_f32_e32 v27, -1.0, v29
	s_delay_alu instid0(VALU_DEP_1) | instskip(NEXT) | instid1(VALU_DEP_3)
	v_sub_f32_e32 v31, v27, v29
	v_subrev_co_ci_u32_e64 v26, s2, 0, v26, s2
	v_cmp_eq_f32_e64 s2, 0x7f800000, v28
	s_delay_alu instid0(VALU_DEP_2) | instskip(SKIP_1) | instid1(VALU_DEP_2)
	v_sub_nc_u32_e32 v30, 0, v26
	v_cvt_f32_i32_e32 v26, v26
	v_ldexp_f32 v29, v29, v30
	v_sub_f32_e32 v27, v28, v27
	s_delay_alu instid0(VALU_DEP_2) | instskip(NEXT) | instid1(VALU_DEP_1)
	v_dual_add_f32 v31, 1.0, v31 :: v_dual_add_f32 v32, 1.0, v29
	v_add_f32_e32 v27, v27, v31
	s_delay_alu instid0(VALU_DEP_2) | instskip(NEXT) | instid1(VALU_DEP_2)
	v_add_f32_e32 v31, -1.0, v32
	v_ldexp_f32 v27, v27, v30
	s_delay_alu instid0(VALU_DEP_2) | instskip(NEXT) | instid1(VALU_DEP_1)
	v_dual_add_f32 v30, -1.0, v29 :: v_dual_sub_f32 v31, v29, v31
	v_add_f32_e32 v33, 1.0, v30
	s_delay_alu instid0(VALU_DEP_2) | instskip(NEXT) | instid1(VALU_DEP_2)
	v_add_f32_e32 v31, v27, v31
	v_sub_f32_e32 v29, v29, v33
	s_delay_alu instid0(VALU_DEP_2) | instskip(NEXT) | instid1(VALU_DEP_2)
	v_add_f32_e32 v33, v32, v31
	v_add_f32_e32 v27, v27, v29
	s_delay_alu instid0(VALU_DEP_2) | instskip(SKIP_1) | instid1(VALU_DEP_1)
	v_rcp_f32_e32 v29, v33
	v_sub_f32_e32 v32, v33, v32
	v_dual_add_f32 v34, v30, v27 :: v_dual_sub_f32 v31, v31, v32
	s_delay_alu instid0(VALU_DEP_1) | instskip(SKIP_2) | instid1(VALU_DEP_1)
	v_sub_f32_e32 v30, v34, v30
	s_waitcnt_depctr 0xfff
	v_mul_f32_e32 v35, v34, v29
	v_dual_sub_f32 v27, v27, v30 :: v_dual_mul_f32 v36, v33, v35
	s_delay_alu instid0(VALU_DEP_1) | instskip(NEXT) | instid1(VALU_DEP_1)
	v_fma_f32 v32, v35, v33, -v36
	v_fmac_f32_e32 v32, v35, v31
	s_delay_alu instid0(VALU_DEP_1) | instskip(NEXT) | instid1(VALU_DEP_1)
	v_add_f32_e32 v37, v36, v32
	v_sub_f32_e32 v38, v34, v37
	v_sub_f32_e32 v30, v37, v36
	s_delay_alu instid0(VALU_DEP_2) | instskip(NEXT) | instid1(VALU_DEP_2)
	v_sub_f32_e32 v34, v34, v38
	v_sub_f32_e32 v30, v30, v32
	s_delay_alu instid0(VALU_DEP_2) | instskip(NEXT) | instid1(VALU_DEP_1)
	v_sub_f32_e32 v34, v34, v37
	v_add_f32_e32 v27, v27, v34
	s_delay_alu instid0(VALU_DEP_1) | instskip(NEXT) | instid1(VALU_DEP_1)
	v_add_f32_e32 v27, v30, v27
	v_add_f32_e32 v30, v38, v27
	s_delay_alu instid0(VALU_DEP_1) | instskip(NEXT) | instid1(VALU_DEP_1)
	v_mul_f32_e32 v32, v29, v30
	v_dual_sub_f32 v37, v38, v30 :: v_dual_mul_f32 v34, v33, v32
	s_delay_alu instid0(VALU_DEP_1) | instskip(NEXT) | instid1(VALU_DEP_1)
	v_fma_f32 v33, v32, v33, -v34
	v_fmac_f32_e32 v33, v32, v31
	s_delay_alu instid0(VALU_DEP_1) | instskip(NEXT) | instid1(VALU_DEP_1)
	v_add_f32_e32 v31, v34, v33
	v_sub_f32_e32 v36, v30, v31
	v_sub_f32_e32 v34, v31, v34
	s_delay_alu instid0(VALU_DEP_2) | instskip(NEXT) | instid1(VALU_DEP_1)
	v_dual_sub_f32 v30, v30, v36 :: v_dual_add_f32 v27, v27, v37
	v_sub_f32_e32 v30, v30, v31
	s_delay_alu instid0(VALU_DEP_1) | instskip(NEXT) | instid1(VALU_DEP_4)
	v_add_f32_e32 v27, v27, v30
	v_dual_add_f32 v30, v35, v32 :: v_dual_sub_f32 v31, v34, v33
	s_delay_alu instid0(VALU_DEP_1) | instskip(NEXT) | instid1(VALU_DEP_2)
	v_add_f32_e32 v27, v31, v27
	v_sub_f32_e32 v31, v30, v35
	s_delay_alu instid0(VALU_DEP_2) | instskip(NEXT) | instid1(VALU_DEP_2)
	v_add_f32_e32 v27, v36, v27
	v_sub_f32_e32 v31, v32, v31
	s_delay_alu instid0(VALU_DEP_2) | instskip(NEXT) | instid1(VALU_DEP_1)
	v_mul_f32_e32 v27, v29, v27
	v_add_f32_e32 v27, v31, v27
	s_delay_alu instid0(VALU_DEP_1) | instskip(NEXT) | instid1(VALU_DEP_1)
	v_add_f32_e32 v29, v30, v27
	v_mul_f32_e32 v31, v29, v29
	s_delay_alu instid0(VALU_DEP_1) | instskip(SKIP_1) | instid1(VALU_DEP_2)
	v_fmaak_f32 v32, s13, v31, 0x3ecc95a3
	v_mul_f32_e32 v33, v29, v31
	v_fmaak_f32 v31, v31, v32, 0x3f2aaada
	v_ldexp_f32 v32, v29, 1
	v_sub_f32_e32 v29, v29, v30
	s_delay_alu instid0(VALU_DEP_3) | instskip(SKIP_1) | instid1(VALU_DEP_2)
	v_mul_f32_e32 v31, v33, v31
	v_mul_f32_e32 v33, 0x3f317218, v26
	v_dual_sub_f32 v27, v27, v29 :: v_dual_add_f32 v30, v32, v31
	s_delay_alu instid0(VALU_DEP_1) | instskip(NEXT) | instid1(VALU_DEP_2)
	v_ldexp_f32 v27, v27, 1
	v_sub_f32_e32 v29, v30, v32
	s_delay_alu instid0(VALU_DEP_4) | instskip(NEXT) | instid1(VALU_DEP_1)
	v_fma_f32 v32, 0x3f317218, v26, -v33
	v_dual_sub_f32 v29, v31, v29 :: v_dual_fmac_f32 v32, 0xb102e308, v26
	s_delay_alu instid0(VALU_DEP_1) | instskip(NEXT) | instid1(VALU_DEP_1)
	v_dual_add_f32 v26, v27, v29 :: v_dual_add_f32 v27, v33, v32
	v_add_f32_e32 v29, v30, v26
	s_delay_alu instid0(VALU_DEP_2) | instskip(NEXT) | instid1(VALU_DEP_2)
	v_sub_f32_e32 v33, v27, v33
	v_dual_add_f32 v31, v27, v29 :: v_dual_sub_f32 v30, v29, v30
	s_delay_alu instid0(VALU_DEP_2) | instskip(NEXT) | instid1(VALU_DEP_2)
	v_sub_f32_e32 v32, v32, v33
	v_sub_f32_e32 v34, v31, v27
	s_delay_alu instid0(VALU_DEP_3) | instskip(NEXT) | instid1(VALU_DEP_2)
	v_sub_f32_e32 v26, v26, v30
	v_sub_f32_e32 v35, v31, v34
	v_sub_f32_e32 v29, v29, v34
	s_delay_alu instid0(VALU_DEP_2) | instskip(NEXT) | instid1(VALU_DEP_1)
	v_dual_add_f32 v30, v32, v26 :: v_dual_sub_f32 v27, v27, v35
	v_add_f32_e32 v27, v29, v27
	s_delay_alu instid0(VALU_DEP_2) | instskip(NEXT) | instid1(VALU_DEP_2)
	v_sub_f32_e32 v29, v30, v32
	v_add_f32_e32 v27, v30, v27
	s_delay_alu instid0(VALU_DEP_2) | instskip(NEXT) | instid1(VALU_DEP_2)
	v_sub_f32_e32 v30, v30, v29
	v_dual_sub_f32 v26, v26, v29 :: v_dual_add_f32 v33, v31, v27
	s_delay_alu instid0(VALU_DEP_1) | instskip(NEXT) | instid1(VALU_DEP_1)
	v_dual_sub_f32 v29, v32, v30 :: v_dual_sub_f32 v30, v33, v31
	v_dual_add_f32 v26, v26, v29 :: v_dual_sub_f32 v27, v27, v30
	s_delay_alu instid0(VALU_DEP_1) | instskip(NEXT) | instid1(VALU_DEP_1)
	v_add_f32_e32 v26, v26, v27
	v_add_f32_e32 v26, v33, v26
	s_delay_alu instid0(VALU_DEP_1) | instskip(SKIP_1) | instid1(VALU_DEP_1)
	v_cndmask_b32_e64 v26, v26, v28, s2
	v_cmp_ngt_f32_e64 s2, -1.0, v28
	v_cndmask_b32_e64 v26, 0x7fc00000, v26, s2
	v_cmp_neq_f32_e64 s2, -1.0, v28
	s_delay_alu instid0(VALU_DEP_1) | instskip(SKIP_1) | instid1(VALU_DEP_1)
	v_cndmask_b32_e64 v26, 0xff800000, v26, s2
	v_cmp_gt_f32_e64 s2, 0x33800000, |v28|
	v_cndmask_b32_e64 v26, v26, v28, s2
	s_delay_alu instid0(VALU_DEP_1) | instskip(SKIP_1) | instid1(VALU_DEP_2)
	v_bfe_u32 v27, v26, 16, 1
	v_cmp_o_f32_e64 s2, v26, v26
	v_add3_u32 v27, v26, v27, 0x7fff
	s_delay_alu instid0(VALU_DEP_1) | instskip(NEXT) | instid1(VALU_DEP_1)
	v_lshrrev_b32_e32 v27, 16, v27
	v_cndmask_b32_e64 v28, 0x7fc0, v27, s2
	v_add_co_u32 v26, s2, v3, s8
	s_delay_alu instid0(VALU_DEP_1)
	v_add_co_ci_u32_e64 v27, s2, s9, v4, s2
	global_store_b16 v[26:27], v28, off
	s_or_b32 exec_lo, exec_lo, s3
	s_and_saveexec_b32 s2, s1
	s_cbranch_execz .LBB207_18
.LBB207_22:                             ;   in Loop: Header=BB207_9 Depth=1
	s_waitcnt vmcnt(0)
	v_lshlrev_b32_e32 v27, 16, v25
	s_delay_alu instid0(VALU_DEP_1) | instskip(NEXT) | instid1(VALU_DEP_1)
	v_add_f32_e32 v28, 1.0, v27
	v_cvt_f64_f32_e32 v[25:26], v28
	s_delay_alu instid0(VALU_DEP_1) | instskip(SKIP_1) | instid1(VALU_DEP_1)
	v_frexp_exp_i32_f64_e32 v25, v[25:26]
	v_frexp_mant_f32_e32 v26, v28
	v_cmp_gt_f32_e64 s1, 0x3f2aaaab, v26
	v_add_f32_e32 v26, -1.0, v28
	s_delay_alu instid0(VALU_DEP_1) | instskip(NEXT) | instid1(VALU_DEP_3)
	v_sub_f32_e32 v30, v26, v28
	v_subrev_co_ci_u32_e64 v25, s1, 0, v25, s1
	v_cmp_eq_f32_e64 s1, 0x7f800000, v27
	s_delay_alu instid0(VALU_DEP_2) | instskip(SKIP_1) | instid1(VALU_DEP_2)
	v_sub_nc_u32_e32 v29, 0, v25
	v_cvt_f32_i32_e32 v25, v25
	v_ldexp_f32 v28, v28, v29
	v_sub_f32_e32 v26, v27, v26
	s_delay_alu instid0(VALU_DEP_2) | instskip(NEXT) | instid1(VALU_DEP_1)
	v_dual_add_f32 v30, 1.0, v30 :: v_dual_add_f32 v31, 1.0, v28
	v_add_f32_e32 v26, v26, v30
	s_delay_alu instid0(VALU_DEP_2) | instskip(NEXT) | instid1(VALU_DEP_2)
	v_add_f32_e32 v30, -1.0, v31
	v_ldexp_f32 v26, v26, v29
	s_delay_alu instid0(VALU_DEP_2) | instskip(NEXT) | instid1(VALU_DEP_1)
	v_dual_add_f32 v29, -1.0, v28 :: v_dual_sub_f32 v30, v28, v30
	v_add_f32_e32 v32, 1.0, v29
	s_delay_alu instid0(VALU_DEP_2) | instskip(NEXT) | instid1(VALU_DEP_2)
	v_add_f32_e32 v30, v26, v30
	v_sub_f32_e32 v28, v28, v32
	s_delay_alu instid0(VALU_DEP_2) | instskip(NEXT) | instid1(VALU_DEP_2)
	v_add_f32_e32 v32, v31, v30
	v_add_f32_e32 v26, v26, v28
	s_delay_alu instid0(VALU_DEP_2) | instskip(SKIP_1) | instid1(VALU_DEP_1)
	v_rcp_f32_e32 v28, v32
	v_sub_f32_e32 v31, v32, v31
	v_dual_add_f32 v33, v29, v26 :: v_dual_sub_f32 v30, v30, v31
	s_delay_alu instid0(VALU_DEP_1) | instskip(SKIP_2) | instid1(VALU_DEP_1)
	v_sub_f32_e32 v29, v33, v29
	s_waitcnt_depctr 0xfff
	v_mul_f32_e32 v34, v33, v28
	v_dual_sub_f32 v26, v26, v29 :: v_dual_mul_f32 v35, v32, v34
	s_delay_alu instid0(VALU_DEP_1) | instskip(NEXT) | instid1(VALU_DEP_1)
	v_fma_f32 v31, v34, v32, -v35
	v_fmac_f32_e32 v31, v34, v30
	s_delay_alu instid0(VALU_DEP_1) | instskip(NEXT) | instid1(VALU_DEP_1)
	v_add_f32_e32 v36, v35, v31
	v_sub_f32_e32 v37, v33, v36
	v_sub_f32_e32 v29, v36, v35
	s_delay_alu instid0(VALU_DEP_2) | instskip(NEXT) | instid1(VALU_DEP_2)
	v_sub_f32_e32 v33, v33, v37
	v_sub_f32_e32 v29, v29, v31
	s_delay_alu instid0(VALU_DEP_2) | instskip(NEXT) | instid1(VALU_DEP_1)
	v_sub_f32_e32 v33, v33, v36
	v_add_f32_e32 v26, v26, v33
	s_delay_alu instid0(VALU_DEP_1) | instskip(NEXT) | instid1(VALU_DEP_1)
	v_add_f32_e32 v26, v29, v26
	v_add_f32_e32 v29, v37, v26
	s_delay_alu instid0(VALU_DEP_1) | instskip(NEXT) | instid1(VALU_DEP_1)
	v_mul_f32_e32 v31, v28, v29
	v_dual_sub_f32 v36, v37, v29 :: v_dual_mul_f32 v33, v32, v31
	s_delay_alu instid0(VALU_DEP_1) | instskip(NEXT) | instid1(VALU_DEP_1)
	v_fma_f32 v32, v31, v32, -v33
	v_fmac_f32_e32 v32, v31, v30
	s_delay_alu instid0(VALU_DEP_1) | instskip(NEXT) | instid1(VALU_DEP_1)
	v_add_f32_e32 v30, v33, v32
	v_sub_f32_e32 v35, v29, v30
	v_sub_f32_e32 v33, v30, v33
	s_delay_alu instid0(VALU_DEP_2) | instskip(NEXT) | instid1(VALU_DEP_1)
	v_dual_sub_f32 v29, v29, v35 :: v_dual_add_f32 v26, v26, v36
	v_sub_f32_e32 v29, v29, v30
	s_delay_alu instid0(VALU_DEP_1) | instskip(NEXT) | instid1(VALU_DEP_4)
	v_add_f32_e32 v26, v26, v29
	v_dual_add_f32 v29, v34, v31 :: v_dual_sub_f32 v30, v33, v32
	s_delay_alu instid0(VALU_DEP_1) | instskip(NEXT) | instid1(VALU_DEP_2)
	v_add_f32_e32 v26, v30, v26
	v_sub_f32_e32 v30, v29, v34
	s_delay_alu instid0(VALU_DEP_2) | instskip(NEXT) | instid1(VALU_DEP_2)
	v_add_f32_e32 v26, v35, v26
	v_sub_f32_e32 v30, v31, v30
	s_delay_alu instid0(VALU_DEP_2) | instskip(NEXT) | instid1(VALU_DEP_1)
	v_mul_f32_e32 v26, v28, v26
	v_add_f32_e32 v26, v30, v26
	s_delay_alu instid0(VALU_DEP_1) | instskip(NEXT) | instid1(VALU_DEP_1)
	v_add_f32_e32 v28, v29, v26
	v_mul_f32_e32 v30, v28, v28
	s_delay_alu instid0(VALU_DEP_1) | instskip(SKIP_1) | instid1(VALU_DEP_2)
	v_fmaak_f32 v31, s13, v30, 0x3ecc95a3
	v_mul_f32_e32 v32, v28, v30
	v_fmaak_f32 v30, v30, v31, 0x3f2aaada
	v_ldexp_f32 v31, v28, 1
	v_sub_f32_e32 v28, v28, v29
	s_delay_alu instid0(VALU_DEP_3) | instskip(SKIP_1) | instid1(VALU_DEP_2)
	v_mul_f32_e32 v30, v32, v30
	v_mul_f32_e32 v32, 0x3f317218, v25
	v_dual_sub_f32 v26, v26, v28 :: v_dual_add_f32 v29, v31, v30
	s_delay_alu instid0(VALU_DEP_1) | instskip(NEXT) | instid1(VALU_DEP_2)
	v_ldexp_f32 v26, v26, 1
	v_sub_f32_e32 v28, v29, v31
	s_delay_alu instid0(VALU_DEP_4) | instskip(NEXT) | instid1(VALU_DEP_1)
	v_fma_f32 v31, 0x3f317218, v25, -v32
	v_dual_sub_f32 v28, v30, v28 :: v_dual_fmac_f32 v31, 0xb102e308, v25
	s_delay_alu instid0(VALU_DEP_1) | instskip(NEXT) | instid1(VALU_DEP_1)
	v_dual_add_f32 v25, v26, v28 :: v_dual_add_f32 v26, v32, v31
	v_add_f32_e32 v28, v29, v25
	s_delay_alu instid0(VALU_DEP_2) | instskip(NEXT) | instid1(VALU_DEP_2)
	v_sub_f32_e32 v32, v26, v32
	v_dual_add_f32 v30, v26, v28 :: v_dual_sub_f32 v29, v28, v29
	s_delay_alu instid0(VALU_DEP_2) | instskip(NEXT) | instid1(VALU_DEP_2)
	v_sub_f32_e32 v31, v31, v32
	v_sub_f32_e32 v33, v30, v26
	s_delay_alu instid0(VALU_DEP_3) | instskip(NEXT) | instid1(VALU_DEP_2)
	v_sub_f32_e32 v25, v25, v29
	v_sub_f32_e32 v34, v30, v33
	;; [unrolled: 1-line block ×3, first 2 shown]
	s_delay_alu instid0(VALU_DEP_2) | instskip(NEXT) | instid1(VALU_DEP_1)
	v_dual_add_f32 v29, v31, v25 :: v_dual_sub_f32 v26, v26, v34
	v_add_f32_e32 v26, v28, v26
	s_delay_alu instid0(VALU_DEP_2) | instskip(NEXT) | instid1(VALU_DEP_2)
	v_sub_f32_e32 v28, v29, v31
	v_add_f32_e32 v26, v29, v26
	s_delay_alu instid0(VALU_DEP_2) | instskip(NEXT) | instid1(VALU_DEP_2)
	v_sub_f32_e32 v29, v29, v28
	v_dual_sub_f32 v25, v25, v28 :: v_dual_add_f32 v32, v30, v26
	s_delay_alu instid0(VALU_DEP_1) | instskip(NEXT) | instid1(VALU_DEP_1)
	v_dual_sub_f32 v28, v31, v29 :: v_dual_sub_f32 v29, v32, v30
	v_dual_add_f32 v25, v25, v28 :: v_dual_sub_f32 v26, v26, v29
	s_delay_alu instid0(VALU_DEP_1) | instskip(NEXT) | instid1(VALU_DEP_1)
	v_add_f32_e32 v25, v25, v26
	v_add_f32_e32 v25, v32, v25
	s_delay_alu instid0(VALU_DEP_1) | instskip(SKIP_1) | instid1(VALU_DEP_1)
	v_cndmask_b32_e64 v25, v25, v27, s1
	v_cmp_ngt_f32_e64 s1, -1.0, v27
	v_cndmask_b32_e64 v25, 0x7fc00000, v25, s1
	v_cmp_neq_f32_e64 s1, -1.0, v27
	s_delay_alu instid0(VALU_DEP_1) | instskip(SKIP_1) | instid1(VALU_DEP_1)
	v_cndmask_b32_e64 v25, 0xff800000, v25, s1
	v_cmp_gt_f32_e64 s1, 0x33800000, |v27|
	v_cndmask_b32_e64 v25, v25, v27, s1
	s_delay_alu instid0(VALU_DEP_1) | instskip(SKIP_1) | instid1(VALU_DEP_2)
	v_bfe_u32 v26, v25, 16, 1
	v_cmp_o_f32_e64 s1, v25, v25
	v_add3_u32 v26, v25, v26, 0x7fff
	s_delay_alu instid0(VALU_DEP_1) | instskip(NEXT) | instid1(VALU_DEP_1)
	v_lshrrev_b32_e32 v26, 16, v26
	v_cndmask_b32_e64 v27, 0x7fc0, v26, s1
	v_add_co_u32 v25, s1, v21, s8
	s_delay_alu instid0(VALU_DEP_1)
	v_add_co_ci_u32_e64 v26, s1, s9, v22, s1
	global_store_b16 v[25:26], v27, off
	s_or_b32 exec_lo, exec_lo, s2
	s_and_saveexec_b32 s1, s0
	s_cbranch_execz .LBB207_19
.LBB207_23:                             ;   in Loop: Header=BB207_9 Depth=1
	s_waitcnt vmcnt(0)
	v_lshlrev_b32_e32 v26, 16, v24
	s_delay_alu instid0(VALU_DEP_1) | instskip(NEXT) | instid1(VALU_DEP_1)
	v_add_f32_e32 v27, 1.0, v26
	v_cvt_f64_f32_e32 v[24:25], v27
	s_delay_alu instid0(VALU_DEP_1) | instskip(SKIP_1) | instid1(VALU_DEP_1)
	v_frexp_exp_i32_f64_e32 v24, v[24:25]
	v_frexp_mant_f32_e32 v25, v27
	v_cmp_gt_f32_e64 s0, 0x3f2aaaab, v25
	v_add_f32_e32 v25, -1.0, v27
	s_delay_alu instid0(VALU_DEP_1) | instskip(NEXT) | instid1(VALU_DEP_3)
	v_sub_f32_e32 v29, v25, v27
	v_subrev_co_ci_u32_e64 v24, s0, 0, v24, s0
	v_cmp_eq_f32_e64 s0, 0x7f800000, v26
	s_delay_alu instid0(VALU_DEP_2) | instskip(SKIP_1) | instid1(VALU_DEP_2)
	v_sub_nc_u32_e32 v28, 0, v24
	v_cvt_f32_i32_e32 v24, v24
	v_ldexp_f32 v27, v27, v28
	v_sub_f32_e32 v25, v26, v25
	s_delay_alu instid0(VALU_DEP_2) | instskip(NEXT) | instid1(VALU_DEP_1)
	v_dual_add_f32 v29, 1.0, v29 :: v_dual_add_f32 v30, 1.0, v27
	v_add_f32_e32 v25, v25, v29
	s_delay_alu instid0(VALU_DEP_2) | instskip(NEXT) | instid1(VALU_DEP_2)
	v_add_f32_e32 v29, -1.0, v30
	v_ldexp_f32 v25, v25, v28
	s_delay_alu instid0(VALU_DEP_2) | instskip(NEXT) | instid1(VALU_DEP_1)
	v_dual_add_f32 v28, -1.0, v27 :: v_dual_sub_f32 v29, v27, v29
	v_add_f32_e32 v31, 1.0, v28
	s_delay_alu instid0(VALU_DEP_2) | instskip(NEXT) | instid1(VALU_DEP_2)
	v_add_f32_e32 v29, v25, v29
	v_sub_f32_e32 v27, v27, v31
	s_delay_alu instid0(VALU_DEP_2) | instskip(NEXT) | instid1(VALU_DEP_2)
	v_add_f32_e32 v31, v30, v29
	v_add_f32_e32 v25, v25, v27
	s_delay_alu instid0(VALU_DEP_2) | instskip(SKIP_1) | instid1(VALU_DEP_1)
	v_rcp_f32_e32 v27, v31
	v_sub_f32_e32 v30, v31, v30
	v_dual_add_f32 v32, v28, v25 :: v_dual_sub_f32 v29, v29, v30
	s_delay_alu instid0(VALU_DEP_1) | instskip(SKIP_2) | instid1(VALU_DEP_1)
	v_sub_f32_e32 v28, v32, v28
	s_waitcnt_depctr 0xfff
	v_mul_f32_e32 v33, v32, v27
	v_dual_sub_f32 v25, v25, v28 :: v_dual_mul_f32 v34, v31, v33
	s_delay_alu instid0(VALU_DEP_1) | instskip(NEXT) | instid1(VALU_DEP_1)
	v_fma_f32 v30, v33, v31, -v34
	v_fmac_f32_e32 v30, v33, v29
	s_delay_alu instid0(VALU_DEP_1) | instskip(NEXT) | instid1(VALU_DEP_1)
	v_add_f32_e32 v35, v34, v30
	v_sub_f32_e32 v36, v32, v35
	v_sub_f32_e32 v28, v35, v34
	s_delay_alu instid0(VALU_DEP_2) | instskip(NEXT) | instid1(VALU_DEP_2)
	v_sub_f32_e32 v32, v32, v36
	v_sub_f32_e32 v28, v28, v30
	s_delay_alu instid0(VALU_DEP_2) | instskip(NEXT) | instid1(VALU_DEP_1)
	v_sub_f32_e32 v32, v32, v35
	v_add_f32_e32 v25, v25, v32
	s_delay_alu instid0(VALU_DEP_1) | instskip(NEXT) | instid1(VALU_DEP_1)
	v_add_f32_e32 v25, v28, v25
	v_add_f32_e32 v28, v36, v25
	s_delay_alu instid0(VALU_DEP_1) | instskip(NEXT) | instid1(VALU_DEP_1)
	v_mul_f32_e32 v30, v27, v28
	v_dual_sub_f32 v35, v36, v28 :: v_dual_mul_f32 v32, v31, v30
	s_delay_alu instid0(VALU_DEP_1) | instskip(NEXT) | instid1(VALU_DEP_1)
	v_fma_f32 v31, v30, v31, -v32
	v_fmac_f32_e32 v31, v30, v29
	s_delay_alu instid0(VALU_DEP_1) | instskip(NEXT) | instid1(VALU_DEP_1)
	v_add_f32_e32 v29, v32, v31
	v_sub_f32_e32 v34, v28, v29
	v_sub_f32_e32 v32, v29, v32
	s_delay_alu instid0(VALU_DEP_2) | instskip(NEXT) | instid1(VALU_DEP_1)
	v_dual_sub_f32 v28, v28, v34 :: v_dual_add_f32 v25, v25, v35
	v_sub_f32_e32 v28, v28, v29
	s_delay_alu instid0(VALU_DEP_1) | instskip(NEXT) | instid1(VALU_DEP_4)
	v_add_f32_e32 v25, v25, v28
	v_dual_add_f32 v28, v33, v30 :: v_dual_sub_f32 v29, v32, v31
	s_delay_alu instid0(VALU_DEP_1) | instskip(NEXT) | instid1(VALU_DEP_2)
	v_add_f32_e32 v25, v29, v25
	v_sub_f32_e32 v29, v28, v33
	s_delay_alu instid0(VALU_DEP_2) | instskip(NEXT) | instid1(VALU_DEP_2)
	v_add_f32_e32 v25, v34, v25
	v_sub_f32_e32 v29, v30, v29
	s_delay_alu instid0(VALU_DEP_2) | instskip(NEXT) | instid1(VALU_DEP_1)
	v_mul_f32_e32 v25, v27, v25
	v_add_f32_e32 v25, v29, v25
	s_delay_alu instid0(VALU_DEP_1) | instskip(NEXT) | instid1(VALU_DEP_1)
	v_add_f32_e32 v27, v28, v25
	v_mul_f32_e32 v29, v27, v27
	s_delay_alu instid0(VALU_DEP_1) | instskip(SKIP_1) | instid1(VALU_DEP_2)
	v_fmaak_f32 v30, s13, v29, 0x3ecc95a3
	v_mul_f32_e32 v31, v27, v29
	v_fmaak_f32 v29, v29, v30, 0x3f2aaada
	v_ldexp_f32 v30, v27, 1
	v_sub_f32_e32 v27, v27, v28
	s_delay_alu instid0(VALU_DEP_3) | instskip(SKIP_1) | instid1(VALU_DEP_2)
	v_mul_f32_e32 v29, v31, v29
	v_mul_f32_e32 v31, 0x3f317218, v24
	v_dual_sub_f32 v25, v25, v27 :: v_dual_add_f32 v28, v30, v29
	s_delay_alu instid0(VALU_DEP_1) | instskip(NEXT) | instid1(VALU_DEP_2)
	v_ldexp_f32 v25, v25, 1
	v_sub_f32_e32 v27, v28, v30
	s_delay_alu instid0(VALU_DEP_4) | instskip(NEXT) | instid1(VALU_DEP_1)
	v_fma_f32 v30, 0x3f317218, v24, -v31
	v_dual_sub_f32 v27, v29, v27 :: v_dual_fmac_f32 v30, 0xb102e308, v24
	s_delay_alu instid0(VALU_DEP_1) | instskip(NEXT) | instid1(VALU_DEP_1)
	v_dual_add_f32 v24, v25, v27 :: v_dual_add_f32 v25, v31, v30
	v_add_f32_e32 v27, v28, v24
	s_delay_alu instid0(VALU_DEP_2) | instskip(NEXT) | instid1(VALU_DEP_2)
	v_sub_f32_e32 v31, v25, v31
	v_dual_add_f32 v29, v25, v27 :: v_dual_sub_f32 v28, v27, v28
	s_delay_alu instid0(VALU_DEP_2) | instskip(NEXT) | instid1(VALU_DEP_2)
	v_sub_f32_e32 v30, v30, v31
	v_sub_f32_e32 v32, v29, v25
	s_delay_alu instid0(VALU_DEP_3) | instskip(NEXT) | instid1(VALU_DEP_2)
	v_sub_f32_e32 v24, v24, v28
	v_sub_f32_e32 v33, v29, v32
	;; [unrolled: 1-line block ×3, first 2 shown]
	s_delay_alu instid0(VALU_DEP_2) | instskip(NEXT) | instid1(VALU_DEP_1)
	v_dual_add_f32 v28, v30, v24 :: v_dual_sub_f32 v25, v25, v33
	v_add_f32_e32 v25, v27, v25
	s_delay_alu instid0(VALU_DEP_2) | instskip(NEXT) | instid1(VALU_DEP_2)
	v_sub_f32_e32 v27, v28, v30
	v_add_f32_e32 v25, v28, v25
	s_delay_alu instid0(VALU_DEP_2) | instskip(NEXT) | instid1(VALU_DEP_2)
	v_sub_f32_e32 v28, v28, v27
	v_dual_sub_f32 v24, v24, v27 :: v_dual_add_f32 v31, v29, v25
	s_delay_alu instid0(VALU_DEP_1) | instskip(NEXT) | instid1(VALU_DEP_1)
	v_dual_sub_f32 v27, v30, v28 :: v_dual_sub_f32 v28, v31, v29
	v_dual_add_f32 v24, v24, v27 :: v_dual_sub_f32 v25, v25, v28
	s_delay_alu instid0(VALU_DEP_1) | instskip(NEXT) | instid1(VALU_DEP_1)
	v_add_f32_e32 v24, v24, v25
	v_add_f32_e32 v24, v31, v24
	s_delay_alu instid0(VALU_DEP_1) | instskip(SKIP_1) | instid1(VALU_DEP_1)
	v_cndmask_b32_e64 v24, v24, v26, s0
	v_cmp_ngt_f32_e64 s0, -1.0, v26
	v_cndmask_b32_e64 v24, 0x7fc00000, v24, s0
	v_cmp_neq_f32_e64 s0, -1.0, v26
	s_delay_alu instid0(VALU_DEP_1) | instskip(SKIP_1) | instid1(VALU_DEP_1)
	v_cndmask_b32_e64 v24, 0xff800000, v24, s0
	v_cmp_gt_f32_e64 s0, 0x33800000, |v26|
	v_cndmask_b32_e64 v24, v24, v26, s0
	s_delay_alu instid0(VALU_DEP_1) | instskip(SKIP_1) | instid1(VALU_DEP_2)
	v_bfe_u32 v25, v24, 16, 1
	v_cmp_o_f32_e64 s0, v24, v24
	v_add3_u32 v25, v24, v25, 0x7fff
	s_delay_alu instid0(VALU_DEP_1) | instskip(NEXT) | instid1(VALU_DEP_1)
	v_lshrrev_b32_e32 v25, 16, v25
	v_cndmask_b32_e64 v26, 0x7fc0, v25, s0
	v_add_co_u32 v24, s0, v14, s8
	s_delay_alu instid0(VALU_DEP_1)
	v_add_co_ci_u32_e64 v25, s0, s9, v15, s0
	global_store_b16 v[24:25], v26, off
	s_or_b32 exec_lo, exec_lo, s1
	s_and_saveexec_b32 s0, vcc_lo
	s_cbranch_execz .LBB207_8
.LBB207_24:                             ;   in Loop: Header=BB207_9 Depth=1
	s_waitcnt vmcnt(0)
	v_lshlrev_b32_e32 v25, 16, v23
	s_delay_alu instid0(VALU_DEP_1) | instskip(NEXT) | instid1(VALU_DEP_1)
	v_add_f32_e32 v26, 1.0, v25
	v_cvt_f64_f32_e32 v[23:24], v26
	s_delay_alu instid0(VALU_DEP_1) | instskip(SKIP_1) | instid1(VALU_DEP_1)
	v_frexp_exp_i32_f64_e32 v23, v[23:24]
	v_frexp_mant_f32_e32 v24, v26
	v_cmp_gt_f32_e32 vcc_lo, 0x3f2aaaab, v24
	v_add_f32_e32 v24, -1.0, v26
	s_delay_alu instid0(VALU_DEP_1) | instskip(SKIP_2) | instid1(VALU_DEP_2)
	v_sub_f32_e32 v28, v24, v26
	v_subrev_co_ci_u32_e32 v23, vcc_lo, 0, v23, vcc_lo
	v_cmp_eq_f32_e32 vcc_lo, 0x7f800000, v25
	v_sub_nc_u32_e32 v27, 0, v23
	v_cvt_f32_i32_e32 v23, v23
	s_delay_alu instid0(VALU_DEP_2) | instskip(SKIP_1) | instid1(VALU_DEP_2)
	v_ldexp_f32 v26, v26, v27
	v_sub_f32_e32 v24, v25, v24
	v_dual_add_f32 v28, 1.0, v28 :: v_dual_add_f32 v29, 1.0, v26
	s_delay_alu instid0(VALU_DEP_1) | instskip(NEXT) | instid1(VALU_DEP_2)
	v_add_f32_e32 v24, v24, v28
	v_add_f32_e32 v28, -1.0, v29
	s_delay_alu instid0(VALU_DEP_2) | instskip(NEXT) | instid1(VALU_DEP_2)
	v_ldexp_f32 v24, v24, v27
	v_dual_add_f32 v27, -1.0, v26 :: v_dual_sub_f32 v28, v26, v28
	s_delay_alu instid0(VALU_DEP_1) | instskip(NEXT) | instid1(VALU_DEP_2)
	v_add_f32_e32 v30, 1.0, v27
	v_add_f32_e32 v28, v24, v28
	s_delay_alu instid0(VALU_DEP_2) | instskip(NEXT) | instid1(VALU_DEP_2)
	v_sub_f32_e32 v26, v26, v30
	v_add_f32_e32 v30, v29, v28
	s_delay_alu instid0(VALU_DEP_2) | instskip(NEXT) | instid1(VALU_DEP_2)
	v_add_f32_e32 v24, v24, v26
	v_rcp_f32_e32 v26, v30
	v_sub_f32_e32 v29, v30, v29
	s_delay_alu instid0(VALU_DEP_1) | instskip(NEXT) | instid1(VALU_DEP_1)
	v_dual_add_f32 v31, v27, v24 :: v_dual_sub_f32 v28, v28, v29
	v_sub_f32_e32 v27, v31, v27
	s_waitcnt_depctr 0xfff
	v_mul_f32_e32 v32, v31, v26
	s_delay_alu instid0(VALU_DEP_1) | instskip(NEXT) | instid1(VALU_DEP_1)
	v_dual_sub_f32 v24, v24, v27 :: v_dual_mul_f32 v33, v30, v32
	v_fma_f32 v29, v32, v30, -v33
	s_delay_alu instid0(VALU_DEP_1) | instskip(NEXT) | instid1(VALU_DEP_1)
	v_fmac_f32_e32 v29, v32, v28
	v_add_f32_e32 v34, v33, v29
	s_delay_alu instid0(VALU_DEP_1) | instskip(SKIP_1) | instid1(VALU_DEP_2)
	v_sub_f32_e32 v35, v31, v34
	v_sub_f32_e32 v27, v34, v33
	;; [unrolled: 1-line block ×3, first 2 shown]
	s_delay_alu instid0(VALU_DEP_2) | instskip(NEXT) | instid1(VALU_DEP_2)
	v_sub_f32_e32 v27, v27, v29
	v_sub_f32_e32 v31, v31, v34
	s_delay_alu instid0(VALU_DEP_1) | instskip(NEXT) | instid1(VALU_DEP_1)
	v_add_f32_e32 v24, v24, v31
	v_add_f32_e32 v24, v27, v24
	s_delay_alu instid0(VALU_DEP_1) | instskip(NEXT) | instid1(VALU_DEP_1)
	v_add_f32_e32 v27, v35, v24
	v_mul_f32_e32 v29, v26, v27
	s_delay_alu instid0(VALU_DEP_1) | instskip(NEXT) | instid1(VALU_DEP_1)
	v_dual_sub_f32 v34, v35, v27 :: v_dual_mul_f32 v31, v30, v29
	v_fma_f32 v30, v29, v30, -v31
	s_delay_alu instid0(VALU_DEP_1) | instskip(NEXT) | instid1(VALU_DEP_1)
	v_fmac_f32_e32 v30, v29, v28
	v_add_f32_e32 v28, v31, v30
	s_delay_alu instid0(VALU_DEP_1) | instskip(SKIP_1) | instid1(VALU_DEP_2)
	v_sub_f32_e32 v33, v27, v28
	v_sub_f32_e32 v31, v28, v31
	v_dual_sub_f32 v27, v27, v33 :: v_dual_add_f32 v24, v24, v34
	s_delay_alu instid0(VALU_DEP_1) | instskip(NEXT) | instid1(VALU_DEP_1)
	v_sub_f32_e32 v27, v27, v28
	v_add_f32_e32 v24, v24, v27
	s_delay_alu instid0(VALU_DEP_4) | instskip(NEXT) | instid1(VALU_DEP_1)
	v_dual_add_f32 v27, v32, v29 :: v_dual_sub_f32 v28, v31, v30
	v_add_f32_e32 v24, v28, v24
	s_delay_alu instid0(VALU_DEP_2) | instskip(NEXT) | instid1(VALU_DEP_2)
	v_sub_f32_e32 v28, v27, v32
	v_add_f32_e32 v24, v33, v24
	s_delay_alu instid0(VALU_DEP_2) | instskip(NEXT) | instid1(VALU_DEP_2)
	v_sub_f32_e32 v28, v29, v28
	v_mul_f32_e32 v24, v26, v24
	s_delay_alu instid0(VALU_DEP_1) | instskip(NEXT) | instid1(VALU_DEP_1)
	v_add_f32_e32 v24, v28, v24
	v_add_f32_e32 v26, v27, v24
	s_delay_alu instid0(VALU_DEP_1) | instskip(NEXT) | instid1(VALU_DEP_1)
	v_mul_f32_e32 v28, v26, v26
	v_fmaak_f32 v29, s13, v28, 0x3ecc95a3
	v_mul_f32_e32 v30, v26, v28
	s_delay_alu instid0(VALU_DEP_2) | instskip(SKIP_2) | instid1(VALU_DEP_3)
	v_fmaak_f32 v28, v28, v29, 0x3f2aaada
	v_ldexp_f32 v29, v26, 1
	v_sub_f32_e32 v26, v26, v27
	v_mul_f32_e32 v28, v30, v28
	v_mul_f32_e32 v30, 0x3f317218, v23
	s_delay_alu instid0(VALU_DEP_2) | instskip(NEXT) | instid1(VALU_DEP_1)
	v_dual_sub_f32 v24, v24, v26 :: v_dual_add_f32 v27, v29, v28
	v_ldexp_f32 v24, v24, 1
	s_delay_alu instid0(VALU_DEP_2) | instskip(NEXT) | instid1(VALU_DEP_4)
	v_sub_f32_e32 v26, v27, v29
	v_fma_f32 v29, 0x3f317218, v23, -v30
	s_delay_alu instid0(VALU_DEP_1) | instskip(NEXT) | instid1(VALU_DEP_1)
	v_dual_sub_f32 v26, v28, v26 :: v_dual_fmac_f32 v29, 0xb102e308, v23
	v_dual_add_f32 v23, v24, v26 :: v_dual_add_f32 v24, v30, v29
	s_delay_alu instid0(VALU_DEP_1) | instskip(NEXT) | instid1(VALU_DEP_2)
	v_add_f32_e32 v26, v27, v23
	v_sub_f32_e32 v30, v24, v30
	s_delay_alu instid0(VALU_DEP_2) | instskip(NEXT) | instid1(VALU_DEP_2)
	v_dual_add_f32 v28, v24, v26 :: v_dual_sub_f32 v27, v26, v27
	v_sub_f32_e32 v29, v29, v30
	s_delay_alu instid0(VALU_DEP_2) | instskip(NEXT) | instid1(VALU_DEP_3)
	v_sub_f32_e32 v31, v28, v24
	v_sub_f32_e32 v23, v23, v27
	s_delay_alu instid0(VALU_DEP_2) | instskip(SKIP_1) | instid1(VALU_DEP_2)
	v_sub_f32_e32 v32, v28, v31
	v_sub_f32_e32 v26, v26, v31
	v_dual_add_f32 v27, v29, v23 :: v_dual_sub_f32 v24, v24, v32
	s_delay_alu instid0(VALU_DEP_1) | instskip(NEXT) | instid1(VALU_DEP_2)
	v_add_f32_e32 v24, v26, v24
	v_sub_f32_e32 v26, v27, v29
	s_delay_alu instid0(VALU_DEP_2) | instskip(NEXT) | instid1(VALU_DEP_2)
	v_add_f32_e32 v24, v27, v24
	v_sub_f32_e32 v27, v27, v26
	s_delay_alu instid0(VALU_DEP_2) | instskip(NEXT) | instid1(VALU_DEP_1)
	v_dual_sub_f32 v23, v23, v26 :: v_dual_add_f32 v30, v28, v24
	v_dual_sub_f32 v26, v29, v27 :: v_dual_sub_f32 v27, v30, v28
	s_delay_alu instid0(VALU_DEP_1) | instskip(NEXT) | instid1(VALU_DEP_1)
	v_dual_add_f32 v23, v23, v26 :: v_dual_sub_f32 v24, v24, v27
	v_add_f32_e32 v23, v23, v24
	s_delay_alu instid0(VALU_DEP_1) | instskip(NEXT) | instid1(VALU_DEP_1)
	v_add_f32_e32 v23, v30, v23
	v_cndmask_b32_e32 v23, v23, v25, vcc_lo
	v_cmp_ngt_f32_e32 vcc_lo, -1.0, v25
	s_delay_alu instid0(VALU_DEP_2) | instskip(SKIP_1) | instid1(VALU_DEP_2)
	v_cndmask_b32_e32 v23, 0x7fc00000, v23, vcc_lo
	v_cmp_neq_f32_e32 vcc_lo, -1.0, v25
	v_cndmask_b32_e32 v23, 0xff800000, v23, vcc_lo
	v_cmp_gt_f32_e64 vcc_lo, 0x33800000, |v25|
	s_delay_alu instid0(VALU_DEP_2) | instskip(NEXT) | instid1(VALU_DEP_1)
	v_cndmask_b32_e32 v23, v23, v25, vcc_lo
	v_bfe_u32 v24, v23, 16, 1
	v_cmp_o_f32_e32 vcc_lo, v23, v23
	s_delay_alu instid0(VALU_DEP_2) | instskip(NEXT) | instid1(VALU_DEP_1)
	v_add3_u32 v24, v23, v24, 0x7fff
	v_lshrrev_b32_e32 v24, 16, v24
	s_delay_alu instid0(VALU_DEP_1)
	v_cndmask_b32_e32 v25, 0x7fc0, v24, vcc_lo
	v_add_co_u32 v23, vcc_lo, v7, s8
	v_add_co_ci_u32_e32 v24, vcc_lo, s9, v8, vcc_lo
	global_store_b16 v[23:24], v25, off
	s_branch .LBB207_8
.LBB207_25:
	s_nop 0
	s_sendmsg sendmsg(MSG_DEALLOC_VGPRS)
	s_endpgm
	.section	.rodata,"a",@progbits
	.p2align	6, 0x0
	.amdhsa_kernel _ZN2at6native12_GLOBAL__N_125multi_tensor_apply_kernelINS1_18TensorListMetadataILi2EEENS1_14UnaryOpFunctorIN3c108BFloat16ELi2ELi1ELi1EEEJNS0_5Log1pIfEEEEEvT_T0_DpT1_
		.amdhsa_group_segment_fixed_size 0
		.amdhsa_private_segment_fixed_size 0
		.amdhsa_kernarg_size 3408
		.amdhsa_user_sgpr_count 15
		.amdhsa_user_sgpr_dispatch_ptr 0
		.amdhsa_user_sgpr_queue_ptr 0
		.amdhsa_user_sgpr_kernarg_segment_ptr 1
		.amdhsa_user_sgpr_dispatch_id 0
		.amdhsa_user_sgpr_private_segment_size 0
		.amdhsa_wavefront_size32 1
		.amdhsa_uses_dynamic_stack 0
		.amdhsa_enable_private_segment 0
		.amdhsa_system_sgpr_workgroup_id_x 1
		.amdhsa_system_sgpr_workgroup_id_y 0
		.amdhsa_system_sgpr_workgroup_id_z 0
		.amdhsa_system_sgpr_workgroup_info 0
		.amdhsa_system_vgpr_workitem_id 0
		.amdhsa_next_free_vgpr 58
		.amdhsa_next_free_sgpr 21
		.amdhsa_reserve_vcc 1
		.amdhsa_float_round_mode_32 0
		.amdhsa_float_round_mode_16_64 0
		.amdhsa_float_denorm_mode_32 3
		.amdhsa_float_denorm_mode_16_64 3
		.amdhsa_dx10_clamp 1
		.amdhsa_ieee_mode 1
		.amdhsa_fp16_overflow 0
		.amdhsa_workgroup_processor_mode 1
		.amdhsa_memory_ordered 1
		.amdhsa_forward_progress 0
		.amdhsa_shared_vgpr_count 0
		.amdhsa_exception_fp_ieee_invalid_op 0
		.amdhsa_exception_fp_denorm_src 0
		.amdhsa_exception_fp_ieee_div_zero 0
		.amdhsa_exception_fp_ieee_overflow 0
		.amdhsa_exception_fp_ieee_underflow 0
		.amdhsa_exception_fp_ieee_inexact 0
		.amdhsa_exception_int_div_zero 0
	.end_amdhsa_kernel
	.section	.text._ZN2at6native12_GLOBAL__N_125multi_tensor_apply_kernelINS1_18TensorListMetadataILi2EEENS1_14UnaryOpFunctorIN3c108BFloat16ELi2ELi1ELi1EEEJNS0_5Log1pIfEEEEEvT_T0_DpT1_,"axG",@progbits,_ZN2at6native12_GLOBAL__N_125multi_tensor_apply_kernelINS1_18TensorListMetadataILi2EEENS1_14UnaryOpFunctorIN3c108BFloat16ELi2ELi1ELi1EEEJNS0_5Log1pIfEEEEEvT_T0_DpT1_,comdat
.Lfunc_end207:
	.size	_ZN2at6native12_GLOBAL__N_125multi_tensor_apply_kernelINS1_18TensorListMetadataILi2EEENS1_14UnaryOpFunctorIN3c108BFloat16ELi2ELi1ELi1EEEJNS0_5Log1pIfEEEEEvT_T0_DpT1_, .Lfunc_end207-_ZN2at6native12_GLOBAL__N_125multi_tensor_apply_kernelINS1_18TensorListMetadataILi2EEENS1_14UnaryOpFunctorIN3c108BFloat16ELi2ELi1ELi1EEEJNS0_5Log1pIfEEEEEvT_T0_DpT1_
                                        ; -- End function
	.section	.AMDGPU.csdata,"",@progbits
; Kernel info:
; codeLenInByte = 7292
; NumSgprs: 23
; NumVgprs: 58
; ScratchSize: 0
; MemoryBound: 0
; FloatMode: 240
; IeeeMode: 1
; LDSByteSize: 0 bytes/workgroup (compile time only)
; SGPRBlocks: 2
; VGPRBlocks: 7
; NumSGPRsForWavesPerEU: 23
; NumVGPRsForWavesPerEU: 58
; Occupancy: 16
; WaveLimiterHint : 0
; COMPUTE_PGM_RSRC2:SCRATCH_EN: 0
; COMPUTE_PGM_RSRC2:USER_SGPR: 15
; COMPUTE_PGM_RSRC2:TRAP_HANDLER: 0
; COMPUTE_PGM_RSRC2:TGID_X_EN: 1
; COMPUTE_PGM_RSRC2:TGID_Y_EN: 0
; COMPUTE_PGM_RSRC2:TGID_Z_EN: 0
; COMPUTE_PGM_RSRC2:TIDIG_COMP_CNT: 0
	.section	.text._ZN2at6native12_GLOBAL__N_125multi_tensor_apply_kernelINS1_18TensorListMetadataILi1EEENS1_14UnaryOpFunctorIdLi1ELi1ELi0EEEJNS0_5Log1pIdEEEEEvT_T0_DpT1_,"axG",@progbits,_ZN2at6native12_GLOBAL__N_125multi_tensor_apply_kernelINS1_18TensorListMetadataILi1EEENS1_14UnaryOpFunctorIdLi1ELi1ELi0EEEJNS0_5Log1pIdEEEEEvT_T0_DpT1_,comdat
	.globl	_ZN2at6native12_GLOBAL__N_125multi_tensor_apply_kernelINS1_18TensorListMetadataILi1EEENS1_14UnaryOpFunctorIdLi1ELi1ELi0EEEJNS0_5Log1pIdEEEEEvT_T0_DpT1_ ; -- Begin function _ZN2at6native12_GLOBAL__N_125multi_tensor_apply_kernelINS1_18TensorListMetadataILi1EEENS1_14UnaryOpFunctorIdLi1ELi1ELi0EEEJNS0_5Log1pIdEEEEEvT_T0_DpT1_
	.p2align	8
	.type	_ZN2at6native12_GLOBAL__N_125multi_tensor_apply_kernelINS1_18TensorListMetadataILi1EEENS1_14UnaryOpFunctorIdLi1ELi1ELi0EEEJNS0_5Log1pIdEEEEEvT_T0_DpT1_,@function
_ZN2at6native12_GLOBAL__N_125multi_tensor_apply_kernelINS1_18TensorListMetadataILi1EEENS1_14UnaryOpFunctorIdLi1ELi1ELi0EEEJNS0_5Log1pIdEEEEEvT_T0_DpT1_: ; @_ZN2at6native12_GLOBAL__N_125multi_tensor_apply_kernelINS1_18TensorListMetadataILi1EEENS1_14UnaryOpFunctorIdLi1ELi1ELi0EEEJNS0_5Log1pIdEEEEEvT_T0_DpT1_
; %bb.0:
	v_mov_b32_e32 v1, s15
	s_add_u32 s2, s0, s15
	s_mul_hi_u32 s3, s15, 3
	s_mul_i32 s15, s15, 3
	s_addc_u32 s4, s1, 0
	global_load_u8 v1, v1, s[0:1] offset:1760
	s_add_u32 s2, s2, s15
	s_addc_u32 s3, s4, s3
	s_mov_b32 s13, 0
	s_load_b32 s2, s[2:3], 0x820
	s_waitcnt vmcnt(0)
	v_readfirstlane_b32 s5, v1
	s_delay_alu instid0(VALU_DEP_1)
	s_lshl_b32 s3, s5, 3
	s_clause 0x1
	s_load_b64 s[8:9], s[0:1], s3 offset:0x0
	s_load_b64 s[4:5], s[0:1], s3 offset:0x370
	s_waitcnt lgkmcnt(0)
	s_ashr_i32 s3, s2, 31
	s_delay_alu instid0(SALU_CYCLE_1)
	s_lshl_b64 s[10:11], s[2:3], 19
	s_lshl_b64 s[2:3], s[2:3], 16
	s_and_b32 s12, s8, 31
	s_sub_u32 s6, s4, s2
	s_subb_u32 s7, s5, s3
	s_and_b32 s2, s4, 3
	s_mov_b32 s3, s13
	s_delay_alu instid0(SALU_CYCLE_1) | instskip(NEXT) | instid1(SALU_CYCLE_1)
	s_or_b64 s[2:3], s[12:13], s[2:3]
	s_cmp_eq_u64 s[2:3], 0
	s_cbranch_scc1 .LBB208_21
; %bb.1:
	v_cmp_lt_i64_e64 s2, s[6:7], 1
	s_delay_alu instid0(VALU_DEP_1)
	s_and_b32 vcc_lo, exec_lo, s2
	s_cbranch_vccnz .LBB208_20
; %bb.2:
	s_load_b32 s2, s[0:1], 0xd3c
	v_cmp_gt_u64_e64 s3, 0x10000, s[6:7]
	v_lshlrev_b32_e32 v1, 3, v0
	s_mov_b32 s14, 0x55555555
	s_mov_b32 s16, 0xfefa39ef
	;; [unrolled: 1-line block ×17, first 2 shown]
	s_waitcnt lgkmcnt(0)
	s_and_b32 s2, s2, 0xffff
	s_and_b32 s3, s3, exec_lo
	v_add_co_u32 v13, s5, v0, s2
	s_cselect_b32 s13, s7, 0
	s_cselect_b32 s12, s6, 0x10000
	s_lshl_b32 s3, s2, 1
	s_delay_alu instid0(VALU_DEP_1)
	v_lshlrev_b32_e32 v3, 3, v13
	s_mul_i32 s4, s2, 3
	s_lshl_b32 s33, s2, 2
	s_add_u32 s34, s8, s10
	v_add_co_u32 v14, s4, s4, v0
	v_add_co_u32 v16, s3, s3, v0
	s_addc_u32 s35, s9, s11
	v_add_co_ci_u32_e64 v15, null, 0, 0, s4
	v_add_co_u32 v1, s4, s34, v1
	v_add_co_ci_u32_e64 v17, null, 0, 0, s3
	v_add_co_u32 v3, s3, s34, v3
	v_add_co_ci_u32_e64 v2, null, s35, 0, s4
	v_add_co_ci_u32_e64 v18, null, 0, 0, s5
	;; [unrolled: 1-line block ×3, first 2 shown]
	s_mul_i32 s38, s2, 24
	s_lshl_b32 s39, s2, 5
	s_mov_b32 s31, 0x3fd99999
	s_lshl_b32 s40, s2, 4
	s_mov_b64 s[34:35], 0
	s_mov_b32 s36, 0x55555780
	s_branch .LBB208_4
.LBB208_3:                              ;   in Loop: Header=BB208_4 Depth=1
	s_or_b32 exec_lo, exec_lo, s2
	s_add_u32 s34, s34, s33
	s_addc_u32 s35, s35, 0
	v_add_co_u32 v1, vcc_lo, v1, s39
	v_cmp_lt_i64_e64 s2, s[34:35], s[6:7]
	v_cmp_gt_u64_e64 s3, 0x10000, s[34:35]
	v_add_co_ci_u32_e32 v2, vcc_lo, 0, v2, vcc_lo
	v_add_co_u32 v3, vcc_lo, v3, s39
	v_add_co_ci_u32_e32 v4, vcc_lo, 0, v4, vcc_lo
	s_delay_alu instid0(VALU_DEP_4) | instskip(NEXT) | instid1(SALU_CYCLE_1)
	s_and_b32 s2, s2, s3
	s_and_b32 vcc_lo, exec_lo, s2
	s_cbranch_vccz .LBB208_20
.LBB208_4:                              ; =>This Inner Loop Header: Depth=1
	s_waitcnt vmcnt(0)
	v_add_co_u32 v5, s2, v0, s34
	s_delay_alu instid0(VALU_DEP_1) | instskip(SKIP_2) | instid1(VALU_DEP_3)
	v_add_co_ci_u32_e64 v6, null, 0, s35, s2
	v_mov_b32_e32 v9, 0
	v_mov_b32_e32 v10, 0
	v_cmp_gt_u64_e64 s4, s[12:13], v[5:6]
	s_delay_alu instid0(VALU_DEP_2) | instskip(NEXT) | instid1(VALU_DEP_2)
	v_dual_mov_b32 v12, v10 :: v_dual_mov_b32 v11, v9
	s_and_saveexec_b32 s2, s4
	s_cbranch_execz .LBB208_6
; %bb.5:                                ;   in Loop: Header=BB208_4 Depth=1
	global_load_b64 v[11:12], v[1:2], off
.LBB208_6:                              ;   in Loop: Header=BB208_4 Depth=1
	s_or_b32 exec_lo, exec_lo, s2
	v_add_co_u32 v5, vcc_lo, v13, s34
	v_add_co_ci_u32_e32 v6, vcc_lo, s35, v18, vcc_lo
	s_delay_alu instid0(VALU_DEP_1) | instskip(NEXT) | instid1(VALU_DEP_1)
	v_cmp_gt_u64_e64 s3, s[12:13], v[5:6]
	s_and_saveexec_b32 s2, s3
	s_cbranch_execz .LBB208_8
; %bb.7:                                ;   in Loop: Header=BB208_4 Depth=1
	global_load_b64 v[9:10], v[3:4], off
.LBB208_8:                              ;   in Loop: Header=BB208_4 Depth=1
	s_or_b32 exec_lo, exec_lo, s2
	v_add_co_u32 v7, vcc_lo, v16, s34
	v_add_co_ci_u32_e32 v8, vcc_lo, s35, v17, vcc_lo
	v_mov_b32_e32 v5, 0
	v_mov_b32_e32 v6, 0
	s_delay_alu instid0(VALU_DEP_3) | instskip(NEXT) | instid1(VALU_DEP_2)
	v_cmp_gt_u64_e64 s2, s[12:13], v[7:8]
	v_dual_mov_b32 v8, v6 :: v_dual_mov_b32 v7, v5
	s_delay_alu instid0(VALU_DEP_2)
	s_and_saveexec_b32 s5, s2
	s_cbranch_execz .LBB208_10
; %bb.9:                                ;   in Loop: Header=BB208_4 Depth=1
	v_add_co_u32 v7, vcc_lo, v1, s40
	v_add_co_ci_u32_e32 v8, vcc_lo, 0, v2, vcc_lo
	global_load_b64 v[7:8], v[7:8], off
.LBB208_10:                             ;   in Loop: Header=BB208_4 Depth=1
	s_or_b32 exec_lo, exec_lo, s5
	v_add_co_u32 v19, vcc_lo, v14, s34
	v_add_co_ci_u32_e32 v20, vcc_lo, s35, v15, vcc_lo
	s_delay_alu instid0(VALU_DEP_1)
	v_cmp_gt_u64_e32 vcc_lo, s[12:13], v[19:20]
	s_and_saveexec_b32 s37, vcc_lo
	s_cbranch_execnz .LBB208_15
; %bb.11:                               ;   in Loop: Header=BB208_4 Depth=1
	s_or_b32 exec_lo, exec_lo, s37
	s_and_saveexec_b32 s5, s4
	s_cbranch_execnz .LBB208_16
.LBB208_12:                             ;   in Loop: Header=BB208_4 Depth=1
	s_or_b32 exec_lo, exec_lo, s5
	s_and_saveexec_b32 s4, s3
	s_cbranch_execnz .LBB208_17
.LBB208_13:                             ;   in Loop: Header=BB208_4 Depth=1
	s_or_b32 exec_lo, exec_lo, s4
	s_and_saveexec_b32 s3, s2
	s_cbranch_execnz .LBB208_18
.LBB208_14:                             ;   in Loop: Header=BB208_4 Depth=1
	s_or_b32 exec_lo, exec_lo, s3
	s_and_saveexec_b32 s2, vcc_lo
	s_cbranch_execz .LBB208_3
	s_branch .LBB208_19
.LBB208_15:                             ;   in Loop: Header=BB208_4 Depth=1
	v_add_co_u32 v5, s5, v1, s38
	s_delay_alu instid0(VALU_DEP_1)
	v_add_co_ci_u32_e64 v6, s5, 0, v2, s5
	global_load_b64 v[5:6], v[5:6], off
	s_or_b32 exec_lo, exec_lo, s37
	s_and_saveexec_b32 s5, s4
	s_cbranch_execz .LBB208_12
.LBB208_16:                             ;   in Loop: Header=BB208_4 Depth=1
	s_waitcnt vmcnt(0)
	v_add_f64 v[19:20], v[11:12], 1.0
	s_mov_b32 s37, s15
	s_delay_alu instid0(VALU_DEP_1) | instskip(SKIP_2) | instid1(VALU_DEP_3)
	v_frexp_mant_f64_e32 v[21:22], v[19:20]
	v_frexp_exp_i32_f64_e32 v25, v[19:20]
	v_add_f64 v[23:24], v[19:20], -1.0
	v_cmp_gt_f64_e64 s4, s[14:15], v[21:22]
	s_delay_alu instid0(VALU_DEP_2) | instskip(SKIP_1) | instid1(VALU_DEP_3)
	v_add_f64 v[21:22], v[23:24], -v[19:20]
	v_add_f64 v[23:24], v[11:12], -v[23:24]
	v_subrev_co_ci_u32_e64 v41, s4, 0, v25, s4
	s_delay_alu instid0(VALU_DEP_3) | instskip(SKIP_1) | instid1(VALU_DEP_3)
	v_add_f64 v[21:22], v[21:22], 1.0
	v_cmp_eq_f64_e64 s4, 0x7ff00000, v[11:12]
	v_sub_nc_u32_e32 v27, 0, v41
	s_delay_alu instid0(VALU_DEP_1) | instskip(NEXT) | instid1(VALU_DEP_4)
	v_ldexp_f64 v[19:20], v[19:20], v27
	v_add_f64 v[21:22], v[23:24], v[21:22]
	s_delay_alu instid0(VALU_DEP_2) | instskip(SKIP_1) | instid1(VALU_DEP_3)
	v_add_f64 v[25:26], v[19:20], 1.0
	v_add_f64 v[31:32], v[19:20], -1.0
	v_ldexp_f64 v[21:22], v[21:22], v27
	s_delay_alu instid0(VALU_DEP_3) | instskip(NEXT) | instid1(VALU_DEP_3)
	v_add_f64 v[23:24], v[25:26], -1.0
	v_add_f64 v[33:34], v[31:32], 1.0
	s_delay_alu instid0(VALU_DEP_2) | instskip(NEXT) | instid1(VALU_DEP_2)
	v_add_f64 v[23:24], v[19:20], -v[23:24]
	v_add_f64 v[19:20], v[19:20], -v[33:34]
	s_delay_alu instid0(VALU_DEP_2) | instskip(NEXT) | instid1(VALU_DEP_2)
	v_add_f64 v[23:24], v[21:22], v[23:24]
	v_add_f64 v[19:20], v[21:22], v[19:20]
	s_delay_alu instid0(VALU_DEP_2) | instskip(NEXT) | instid1(VALU_DEP_2)
	v_add_f64 v[27:28], v[25:26], v[23:24]
	v_add_f64 v[33:34], v[31:32], v[19:20]
	s_delay_alu instid0(VALU_DEP_2) | instskip(SKIP_1) | instid1(VALU_DEP_2)
	v_rcp_f64_e32 v[29:30], v[27:28]
	v_add_f64 v[25:26], v[27:28], -v[25:26]
	v_add_f64 v[31:32], v[33:34], -v[31:32]
	s_delay_alu instid0(VALU_DEP_2) | instskip(SKIP_3) | instid1(VALU_DEP_2)
	v_add_f64 v[23:24], v[23:24], -v[25:26]
	s_waitcnt_depctr 0xfff
	v_fma_f64 v[35:36], -v[27:28], v[29:30], 1.0
	v_add_f64 v[19:20], v[19:20], -v[31:32]
	v_fma_f64 v[29:30], v[35:36], v[29:30], v[29:30]
	s_delay_alu instid0(VALU_DEP_1) | instskip(NEXT) | instid1(VALU_DEP_1)
	v_fma_f64 v[21:22], -v[27:28], v[29:30], 1.0
	v_fma_f64 v[21:22], v[21:22], v[29:30], v[29:30]
	s_delay_alu instid0(VALU_DEP_1) | instskip(NEXT) | instid1(VALU_DEP_1)
	v_mul_f64 v[29:30], v[33:34], v[21:22]
	v_mul_f64 v[35:36], v[27:28], v[29:30]
	s_delay_alu instid0(VALU_DEP_1) | instskip(NEXT) | instid1(VALU_DEP_1)
	v_fma_f64 v[25:26], v[29:30], v[27:28], -v[35:36]
	v_fma_f64 v[25:26], v[29:30], v[23:24], v[25:26]
	s_delay_alu instid0(VALU_DEP_1) | instskip(NEXT) | instid1(VALU_DEP_1)
	v_add_f64 v[37:38], v[35:36], v[25:26]
	v_add_f64 v[39:40], v[33:34], -v[37:38]
	v_add_f64 v[31:32], v[37:38], -v[35:36]
	s_delay_alu instid0(VALU_DEP_2) | instskip(NEXT) | instid1(VALU_DEP_2)
	v_add_f64 v[33:34], v[33:34], -v[39:40]
	v_add_f64 v[25:26], v[31:32], -v[25:26]
	s_delay_alu instid0(VALU_DEP_2) | instskip(NEXT) | instid1(VALU_DEP_1)
	v_add_f64 v[33:34], v[33:34], -v[37:38]
	v_add_f64 v[19:20], v[19:20], v[33:34]
	s_delay_alu instid0(VALU_DEP_1) | instskip(NEXT) | instid1(VALU_DEP_1)
	v_add_f64 v[19:20], v[25:26], v[19:20]
	v_add_f64 v[25:26], v[39:40], v[19:20]
	s_delay_alu instid0(VALU_DEP_1) | instskip(SKIP_1) | instid1(VALU_DEP_2)
	v_mul_f64 v[31:32], v[21:22], v[25:26]
	v_add_f64 v[37:38], v[39:40], -v[25:26]
	v_mul_f64 v[33:34], v[27:28], v[31:32]
	s_delay_alu instid0(VALU_DEP_2) | instskip(NEXT) | instid1(VALU_DEP_2)
	v_add_f64 v[19:20], v[19:20], v[37:38]
	v_fma_f64 v[27:28], v[31:32], v[27:28], -v[33:34]
	s_delay_alu instid0(VALU_DEP_1) | instskip(NEXT) | instid1(VALU_DEP_1)
	v_fma_f64 v[23:24], v[31:32], v[23:24], v[27:28]
	v_add_f64 v[27:28], v[33:34], v[23:24]
	s_delay_alu instid0(VALU_DEP_1) | instskip(SKIP_1) | instid1(VALU_DEP_2)
	v_add_f64 v[35:36], v[25:26], -v[27:28]
	v_add_f64 v[33:34], v[27:28], -v[33:34]
	;; [unrolled: 1-line block ×3, first 2 shown]
	s_delay_alu instid0(VALU_DEP_2) | instskip(NEXT) | instid1(VALU_DEP_2)
	v_add_f64 v[23:24], v[33:34], -v[23:24]
	v_add_f64 v[25:26], v[25:26], -v[27:28]
	s_delay_alu instid0(VALU_DEP_1) | instskip(SKIP_1) | instid1(VALU_DEP_2)
	v_add_f64 v[19:20], v[19:20], v[25:26]
	v_add_f64 v[25:26], v[29:30], v[31:32]
	;; [unrolled: 1-line block ×3, first 2 shown]
	s_delay_alu instid0(VALU_DEP_2) | instskip(NEXT) | instid1(VALU_DEP_2)
	v_add_f64 v[23:24], v[25:26], -v[29:30]
	v_add_f64 v[19:20], v[35:36], v[19:20]
	s_delay_alu instid0(VALU_DEP_2) | instskip(NEXT) | instid1(VALU_DEP_2)
	v_add_f64 v[23:24], v[31:32], -v[23:24]
	v_mul_f64 v[19:20], v[21:22], v[19:20]
	s_delay_alu instid0(VALU_DEP_1) | instskip(NEXT) | instid1(VALU_DEP_1)
	v_add_f64 v[19:20], v[23:24], v[19:20]
	v_add_f64 v[21:22], v[25:26], v[19:20]
	s_delay_alu instid0(VALU_DEP_1) | instskip(NEXT) | instid1(VALU_DEP_1)
	v_mul_f64 v[23:24], v[21:22], v[21:22]
	v_fma_f64 v[27:28], v[23:24], s[22:23], s[20:21]
	v_mul_f64 v[29:30], v[21:22], v[23:24]
	s_delay_alu instid0(VALU_DEP_2) | instskip(NEXT) | instid1(VALU_DEP_1)
	v_fma_f64 v[27:28], v[23:24], v[27:28], s[24:25]
	v_fma_f64 v[27:28], v[23:24], v[27:28], s[26:27]
	s_delay_alu instid0(VALU_DEP_1) | instskip(NEXT) | instid1(VALU_DEP_1)
	v_fma_f64 v[27:28], v[23:24], v[27:28], s[28:29]
	v_fma_f64 v[27:28], v[23:24], v[27:28], s[30:31]
	s_delay_alu instid0(VALU_DEP_1) | instskip(SKIP_2) | instid1(VALU_DEP_3)
	v_fma_f64 v[23:24], v[23:24], v[27:28], s[36:37]
	v_ldexp_f64 v[27:28], v[21:22], 1
	v_add_f64 v[21:22], v[21:22], -v[25:26]
	v_mul_f64 v[23:24], v[29:30], v[23:24]
	v_cvt_f64_i32_e32 v[29:30], v41
	s_delay_alu instid0(VALU_DEP_3) | instskip(NEXT) | instid1(VALU_DEP_3)
	v_add_f64 v[19:20], v[19:20], -v[21:22]
	v_add_f64 v[25:26], v[27:28], v[23:24]
	s_delay_alu instid0(VALU_DEP_3) | instskip(NEXT) | instid1(VALU_DEP_3)
	v_mul_f64 v[31:32], v[29:30], s[16:17]
	v_ldexp_f64 v[19:20], v[19:20], 1
	s_delay_alu instid0(VALU_DEP_3) | instskip(NEXT) | instid1(VALU_DEP_3)
	v_add_f64 v[21:22], v[25:26], -v[27:28]
	v_fma_f64 v[27:28], v[29:30], s[16:17], -v[31:32]
	s_delay_alu instid0(VALU_DEP_2) | instskip(NEXT) | instid1(VALU_DEP_2)
	v_add_f64 v[21:22], v[23:24], -v[21:22]
	v_fma_f64 v[23:24], v[29:30], s[18:19], v[27:28]
	s_delay_alu instid0(VALU_DEP_2) | instskip(NEXT) | instid1(VALU_DEP_2)
	v_add_f64 v[19:20], v[19:20], v[21:22]
	v_add_f64 v[21:22], v[31:32], v[23:24]
	s_delay_alu instid0(VALU_DEP_2) | instskip(NEXT) | instid1(VALU_DEP_2)
	v_add_f64 v[27:28], v[25:26], v[19:20]
	v_add_f64 v[31:32], v[21:22], -v[31:32]
	s_delay_alu instid0(VALU_DEP_2) | instskip(SKIP_1) | instid1(VALU_DEP_3)
	v_add_f64 v[29:30], v[21:22], v[27:28]
	v_add_f64 v[25:26], v[27:28], -v[25:26]
	v_add_f64 v[23:24], v[23:24], -v[31:32]
	s_delay_alu instid0(VALU_DEP_3) | instskip(NEXT) | instid1(VALU_DEP_3)
	v_add_f64 v[33:34], v[29:30], -v[21:22]
	v_add_f64 v[19:20], v[19:20], -v[25:26]
	s_delay_alu instid0(VALU_DEP_2) | instskip(SKIP_1) | instid1(VALU_DEP_3)
	v_add_f64 v[35:36], v[29:30], -v[33:34]
	v_add_f64 v[25:26], v[27:28], -v[33:34]
	v_add_f64 v[27:28], v[23:24], v[19:20]
	s_delay_alu instid0(VALU_DEP_3) | instskip(NEXT) | instid1(VALU_DEP_1)
	v_add_f64 v[21:22], v[21:22], -v[35:36]
	v_add_f64 v[21:22], v[25:26], v[21:22]
	s_delay_alu instid0(VALU_DEP_3) | instskip(NEXT) | instid1(VALU_DEP_2)
	v_add_f64 v[25:26], v[27:28], -v[23:24]
	v_add_f64 v[21:22], v[27:28], v[21:22]
	s_delay_alu instid0(VALU_DEP_2) | instskip(SKIP_1) | instid1(VALU_DEP_3)
	v_add_f64 v[27:28], v[27:28], -v[25:26]
	v_add_f64 v[19:20], v[19:20], -v[25:26]
	v_add_f64 v[31:32], v[29:30], v[21:22]
	s_delay_alu instid0(VALU_DEP_3) | instskip(NEXT) | instid1(VALU_DEP_2)
	v_add_f64 v[23:24], v[23:24], -v[27:28]
	v_add_f64 v[25:26], v[31:32], -v[29:30]
	s_delay_alu instid0(VALU_DEP_2) | instskip(NEXT) | instid1(VALU_DEP_2)
	v_add_f64 v[19:20], v[19:20], v[23:24]
	v_add_f64 v[21:22], v[21:22], -v[25:26]
	s_delay_alu instid0(VALU_DEP_1) | instskip(NEXT) | instid1(VALU_DEP_1)
	v_add_f64 v[19:20], v[19:20], v[21:22]
	v_add_f64 v[19:20], v[31:32], v[19:20]
	s_delay_alu instid0(VALU_DEP_1) | instskip(NEXT) | instid1(VALU_DEP_2)
	v_cndmask_b32_e64 v19, v19, v11, s4
	v_cndmask_b32_e64 v20, v20, v12, s4
	v_cmp_ngt_f64_e64 s4, -1.0, v[11:12]
	s_delay_alu instid0(VALU_DEP_1) | instskip(SKIP_1) | instid1(VALU_DEP_1)
	v_cndmask_b32_e64 v20, 0x7ff80000, v20, s4
	v_cmp_nge_f64_e64 s4, -1.0, v[11:12]
	v_cndmask_b32_e64 v19, 0, v19, s4
	v_cmp_neq_f64_e64 s4, -1.0, v[11:12]
	s_delay_alu instid0(VALU_DEP_1)
	v_cndmask_b32_e64 v20, 0xfff00000, v20, s4
	global_store_b64 v[1:2], v[19:20], off
	s_or_b32 exec_lo, exec_lo, s5
	s_and_saveexec_b32 s4, s3
	s_cbranch_execz .LBB208_13
.LBB208_17:                             ;   in Loop: Header=BB208_4 Depth=1
	s_waitcnt vmcnt(0)
	v_add_f64 v[11:12], v[9:10], 1.0
	s_mov_b32 s37, s15
	s_delay_alu instid0(VALU_DEP_1) | instskip(SKIP_2) | instid1(VALU_DEP_3)
	v_frexp_mant_f64_e32 v[19:20], v[11:12]
	v_frexp_exp_i32_f64_e32 v23, v[11:12]
	v_add_f64 v[21:22], v[11:12], -1.0
	v_cmp_gt_f64_e64 s3, s[14:15], v[19:20]
	s_delay_alu instid0(VALU_DEP_2) | instskip(SKIP_1) | instid1(VALU_DEP_3)
	v_add_f64 v[19:20], v[21:22], -v[11:12]
	v_add_f64 v[21:22], v[9:10], -v[21:22]
	v_subrev_co_ci_u32_e64 v39, s3, 0, v23, s3
	s_delay_alu instid0(VALU_DEP_3) | instskip(SKIP_1) | instid1(VALU_DEP_3)
	v_add_f64 v[19:20], v[19:20], 1.0
	v_cmp_eq_f64_e64 s3, 0x7ff00000, v[9:10]
	v_sub_nc_u32_e32 v25, 0, v39
	s_delay_alu instid0(VALU_DEP_1) | instskip(NEXT) | instid1(VALU_DEP_4)
	v_ldexp_f64 v[11:12], v[11:12], v25
	v_add_f64 v[19:20], v[21:22], v[19:20]
	s_delay_alu instid0(VALU_DEP_2) | instskip(SKIP_1) | instid1(VALU_DEP_3)
	v_add_f64 v[23:24], v[11:12], 1.0
	v_add_f64 v[29:30], v[11:12], -1.0
	v_ldexp_f64 v[19:20], v[19:20], v25
	s_delay_alu instid0(VALU_DEP_3) | instskip(NEXT) | instid1(VALU_DEP_3)
	v_add_f64 v[21:22], v[23:24], -1.0
	v_add_f64 v[31:32], v[29:30], 1.0
	s_delay_alu instid0(VALU_DEP_2) | instskip(NEXT) | instid1(VALU_DEP_2)
	v_add_f64 v[21:22], v[11:12], -v[21:22]
	v_add_f64 v[11:12], v[11:12], -v[31:32]
	s_delay_alu instid0(VALU_DEP_2) | instskip(NEXT) | instid1(VALU_DEP_2)
	v_add_f64 v[21:22], v[19:20], v[21:22]
	v_add_f64 v[11:12], v[19:20], v[11:12]
	s_delay_alu instid0(VALU_DEP_2) | instskip(NEXT) | instid1(VALU_DEP_2)
	v_add_f64 v[25:26], v[23:24], v[21:22]
	v_add_f64 v[31:32], v[29:30], v[11:12]
	s_delay_alu instid0(VALU_DEP_2) | instskip(SKIP_1) | instid1(VALU_DEP_2)
	v_rcp_f64_e32 v[27:28], v[25:26]
	v_add_f64 v[23:24], v[25:26], -v[23:24]
	v_add_f64 v[29:30], v[31:32], -v[29:30]
	s_delay_alu instid0(VALU_DEP_2) | instskip(SKIP_3) | instid1(VALU_DEP_2)
	v_add_f64 v[21:22], v[21:22], -v[23:24]
	s_waitcnt_depctr 0xfff
	v_fma_f64 v[33:34], -v[25:26], v[27:28], 1.0
	v_add_f64 v[11:12], v[11:12], -v[29:30]
	v_fma_f64 v[27:28], v[33:34], v[27:28], v[27:28]
	s_delay_alu instid0(VALU_DEP_1) | instskip(NEXT) | instid1(VALU_DEP_1)
	v_fma_f64 v[19:20], -v[25:26], v[27:28], 1.0
	v_fma_f64 v[19:20], v[19:20], v[27:28], v[27:28]
	s_delay_alu instid0(VALU_DEP_1) | instskip(NEXT) | instid1(VALU_DEP_1)
	v_mul_f64 v[27:28], v[31:32], v[19:20]
	v_mul_f64 v[33:34], v[25:26], v[27:28]
	s_delay_alu instid0(VALU_DEP_1) | instskip(NEXT) | instid1(VALU_DEP_1)
	v_fma_f64 v[23:24], v[27:28], v[25:26], -v[33:34]
	v_fma_f64 v[23:24], v[27:28], v[21:22], v[23:24]
	s_delay_alu instid0(VALU_DEP_1) | instskip(NEXT) | instid1(VALU_DEP_1)
	v_add_f64 v[35:36], v[33:34], v[23:24]
	v_add_f64 v[37:38], v[31:32], -v[35:36]
	v_add_f64 v[29:30], v[35:36], -v[33:34]
	s_delay_alu instid0(VALU_DEP_2) | instskip(NEXT) | instid1(VALU_DEP_2)
	v_add_f64 v[31:32], v[31:32], -v[37:38]
	v_add_f64 v[23:24], v[29:30], -v[23:24]
	s_delay_alu instid0(VALU_DEP_2) | instskip(NEXT) | instid1(VALU_DEP_1)
	v_add_f64 v[31:32], v[31:32], -v[35:36]
	v_add_f64 v[11:12], v[11:12], v[31:32]
	s_delay_alu instid0(VALU_DEP_1) | instskip(NEXT) | instid1(VALU_DEP_1)
	v_add_f64 v[11:12], v[23:24], v[11:12]
	v_add_f64 v[23:24], v[37:38], v[11:12]
	s_delay_alu instid0(VALU_DEP_1) | instskip(SKIP_1) | instid1(VALU_DEP_2)
	v_mul_f64 v[29:30], v[19:20], v[23:24]
	v_add_f64 v[35:36], v[37:38], -v[23:24]
	v_mul_f64 v[31:32], v[25:26], v[29:30]
	s_delay_alu instid0(VALU_DEP_2) | instskip(NEXT) | instid1(VALU_DEP_2)
	v_add_f64 v[11:12], v[11:12], v[35:36]
	v_fma_f64 v[25:26], v[29:30], v[25:26], -v[31:32]
	s_delay_alu instid0(VALU_DEP_1) | instskip(NEXT) | instid1(VALU_DEP_1)
	v_fma_f64 v[21:22], v[29:30], v[21:22], v[25:26]
	v_add_f64 v[25:26], v[31:32], v[21:22]
	s_delay_alu instid0(VALU_DEP_1) | instskip(SKIP_1) | instid1(VALU_DEP_2)
	v_add_f64 v[33:34], v[23:24], -v[25:26]
	v_add_f64 v[31:32], v[25:26], -v[31:32]
	;; [unrolled: 1-line block ×3, first 2 shown]
	s_delay_alu instid0(VALU_DEP_2) | instskip(NEXT) | instid1(VALU_DEP_2)
	v_add_f64 v[21:22], v[31:32], -v[21:22]
	v_add_f64 v[23:24], v[23:24], -v[25:26]
	s_delay_alu instid0(VALU_DEP_1) | instskip(SKIP_1) | instid1(VALU_DEP_2)
	v_add_f64 v[11:12], v[11:12], v[23:24]
	v_add_f64 v[23:24], v[27:28], v[29:30]
	;; [unrolled: 1-line block ×3, first 2 shown]
	s_delay_alu instid0(VALU_DEP_2) | instskip(NEXT) | instid1(VALU_DEP_2)
	v_add_f64 v[21:22], v[23:24], -v[27:28]
	v_add_f64 v[11:12], v[33:34], v[11:12]
	s_delay_alu instid0(VALU_DEP_2) | instskip(NEXT) | instid1(VALU_DEP_2)
	v_add_f64 v[21:22], v[29:30], -v[21:22]
	v_mul_f64 v[11:12], v[19:20], v[11:12]
	s_delay_alu instid0(VALU_DEP_1) | instskip(NEXT) | instid1(VALU_DEP_1)
	v_add_f64 v[11:12], v[21:22], v[11:12]
	v_add_f64 v[19:20], v[23:24], v[11:12]
	s_delay_alu instid0(VALU_DEP_1) | instskip(NEXT) | instid1(VALU_DEP_1)
	v_mul_f64 v[21:22], v[19:20], v[19:20]
	v_fma_f64 v[25:26], v[21:22], s[22:23], s[20:21]
	v_mul_f64 v[27:28], v[19:20], v[21:22]
	s_delay_alu instid0(VALU_DEP_2) | instskip(NEXT) | instid1(VALU_DEP_1)
	v_fma_f64 v[25:26], v[21:22], v[25:26], s[24:25]
	v_fma_f64 v[25:26], v[21:22], v[25:26], s[26:27]
	s_delay_alu instid0(VALU_DEP_1) | instskip(NEXT) | instid1(VALU_DEP_1)
	v_fma_f64 v[25:26], v[21:22], v[25:26], s[28:29]
	v_fma_f64 v[25:26], v[21:22], v[25:26], s[30:31]
	s_delay_alu instid0(VALU_DEP_1) | instskip(SKIP_2) | instid1(VALU_DEP_3)
	v_fma_f64 v[21:22], v[21:22], v[25:26], s[36:37]
	v_ldexp_f64 v[25:26], v[19:20], 1
	v_add_f64 v[19:20], v[19:20], -v[23:24]
	v_mul_f64 v[21:22], v[27:28], v[21:22]
	v_cvt_f64_i32_e32 v[27:28], v39
	s_delay_alu instid0(VALU_DEP_3) | instskip(NEXT) | instid1(VALU_DEP_3)
	v_add_f64 v[11:12], v[11:12], -v[19:20]
	v_add_f64 v[23:24], v[25:26], v[21:22]
	s_delay_alu instid0(VALU_DEP_3) | instskip(NEXT) | instid1(VALU_DEP_3)
	v_mul_f64 v[29:30], v[27:28], s[16:17]
	v_ldexp_f64 v[11:12], v[11:12], 1
	s_delay_alu instid0(VALU_DEP_3) | instskip(NEXT) | instid1(VALU_DEP_3)
	v_add_f64 v[19:20], v[23:24], -v[25:26]
	v_fma_f64 v[25:26], v[27:28], s[16:17], -v[29:30]
	s_delay_alu instid0(VALU_DEP_2) | instskip(NEXT) | instid1(VALU_DEP_2)
	v_add_f64 v[19:20], v[21:22], -v[19:20]
	v_fma_f64 v[21:22], v[27:28], s[18:19], v[25:26]
	s_delay_alu instid0(VALU_DEP_2) | instskip(NEXT) | instid1(VALU_DEP_2)
	v_add_f64 v[11:12], v[11:12], v[19:20]
	v_add_f64 v[19:20], v[29:30], v[21:22]
	s_delay_alu instid0(VALU_DEP_2) | instskip(NEXT) | instid1(VALU_DEP_2)
	v_add_f64 v[25:26], v[23:24], v[11:12]
	v_add_f64 v[29:30], v[19:20], -v[29:30]
	s_delay_alu instid0(VALU_DEP_2) | instskip(SKIP_1) | instid1(VALU_DEP_3)
	v_add_f64 v[27:28], v[19:20], v[25:26]
	v_add_f64 v[23:24], v[25:26], -v[23:24]
	v_add_f64 v[21:22], v[21:22], -v[29:30]
	s_delay_alu instid0(VALU_DEP_3) | instskip(NEXT) | instid1(VALU_DEP_3)
	v_add_f64 v[31:32], v[27:28], -v[19:20]
	v_add_f64 v[11:12], v[11:12], -v[23:24]
	s_delay_alu instid0(VALU_DEP_2) | instskip(SKIP_1) | instid1(VALU_DEP_3)
	v_add_f64 v[33:34], v[27:28], -v[31:32]
	v_add_f64 v[23:24], v[25:26], -v[31:32]
	v_add_f64 v[25:26], v[21:22], v[11:12]
	s_delay_alu instid0(VALU_DEP_3) | instskip(NEXT) | instid1(VALU_DEP_1)
	v_add_f64 v[19:20], v[19:20], -v[33:34]
	v_add_f64 v[19:20], v[23:24], v[19:20]
	s_delay_alu instid0(VALU_DEP_3) | instskip(NEXT) | instid1(VALU_DEP_2)
	v_add_f64 v[23:24], v[25:26], -v[21:22]
	v_add_f64 v[19:20], v[25:26], v[19:20]
	s_delay_alu instid0(VALU_DEP_2) | instskip(SKIP_1) | instid1(VALU_DEP_3)
	v_add_f64 v[25:26], v[25:26], -v[23:24]
	v_add_f64 v[11:12], v[11:12], -v[23:24]
	v_add_f64 v[29:30], v[27:28], v[19:20]
	s_delay_alu instid0(VALU_DEP_3) | instskip(NEXT) | instid1(VALU_DEP_2)
	v_add_f64 v[21:22], v[21:22], -v[25:26]
	v_add_f64 v[23:24], v[29:30], -v[27:28]
	s_delay_alu instid0(VALU_DEP_2) | instskip(NEXT) | instid1(VALU_DEP_2)
	v_add_f64 v[11:12], v[11:12], v[21:22]
	v_add_f64 v[19:20], v[19:20], -v[23:24]
	s_delay_alu instid0(VALU_DEP_1) | instskip(NEXT) | instid1(VALU_DEP_1)
	v_add_f64 v[11:12], v[11:12], v[19:20]
	v_add_f64 v[11:12], v[29:30], v[11:12]
	s_delay_alu instid0(VALU_DEP_1) | instskip(NEXT) | instid1(VALU_DEP_2)
	v_cndmask_b32_e64 v11, v11, v9, s3
	v_cndmask_b32_e64 v12, v12, v10, s3
	v_cmp_ngt_f64_e64 s3, -1.0, v[9:10]
	s_delay_alu instid0(VALU_DEP_1) | instskip(SKIP_1) | instid1(VALU_DEP_1)
	v_cndmask_b32_e64 v12, 0x7ff80000, v12, s3
	v_cmp_nge_f64_e64 s3, -1.0, v[9:10]
	v_cndmask_b32_e64 v11, 0, v11, s3
	v_cmp_neq_f64_e64 s3, -1.0, v[9:10]
	s_delay_alu instid0(VALU_DEP_1)
	v_cndmask_b32_e64 v12, 0xfff00000, v12, s3
	global_store_b64 v[3:4], v[11:12], off
	s_or_b32 exec_lo, exec_lo, s4
	s_and_saveexec_b32 s3, s2
	s_cbranch_execz .LBB208_14
.LBB208_18:                             ;   in Loop: Header=BB208_4 Depth=1
	s_waitcnt vmcnt(0)
	v_add_f64 v[9:10], v[7:8], 1.0
	s_mov_b32 s37, s15
	s_delay_alu instid0(VALU_DEP_1) | instskip(SKIP_2) | instid1(VALU_DEP_3)
	v_frexp_mant_f64_e32 v[11:12], v[9:10]
	v_frexp_exp_i32_f64_e32 v21, v[9:10]
	v_add_f64 v[19:20], v[9:10], -1.0
	v_cmp_gt_f64_e64 s2, s[14:15], v[11:12]
	s_delay_alu instid0(VALU_DEP_2) | instskip(SKIP_1) | instid1(VALU_DEP_3)
	v_add_f64 v[11:12], v[19:20], -v[9:10]
	v_add_f64 v[19:20], v[7:8], -v[19:20]
	v_subrev_co_ci_u32_e64 v37, s2, 0, v21, s2
	s_delay_alu instid0(VALU_DEP_3) | instskip(SKIP_1) | instid1(VALU_DEP_3)
	v_add_f64 v[11:12], v[11:12], 1.0
	v_cmp_eq_f64_e64 s2, 0x7ff00000, v[7:8]
	v_sub_nc_u32_e32 v23, 0, v37
	s_delay_alu instid0(VALU_DEP_1) | instskip(NEXT) | instid1(VALU_DEP_4)
	v_ldexp_f64 v[9:10], v[9:10], v23
	v_add_f64 v[11:12], v[19:20], v[11:12]
	s_delay_alu instid0(VALU_DEP_2) | instskip(SKIP_1) | instid1(VALU_DEP_3)
	v_add_f64 v[21:22], v[9:10], 1.0
	v_add_f64 v[27:28], v[9:10], -1.0
	v_ldexp_f64 v[11:12], v[11:12], v23
	s_delay_alu instid0(VALU_DEP_3) | instskip(NEXT) | instid1(VALU_DEP_3)
	v_add_f64 v[19:20], v[21:22], -1.0
	v_add_f64 v[29:30], v[27:28], 1.0
	s_delay_alu instid0(VALU_DEP_2) | instskip(NEXT) | instid1(VALU_DEP_2)
	v_add_f64 v[19:20], v[9:10], -v[19:20]
	v_add_f64 v[9:10], v[9:10], -v[29:30]
	s_delay_alu instid0(VALU_DEP_2) | instskip(NEXT) | instid1(VALU_DEP_2)
	v_add_f64 v[19:20], v[11:12], v[19:20]
	v_add_f64 v[9:10], v[11:12], v[9:10]
	s_delay_alu instid0(VALU_DEP_2) | instskip(NEXT) | instid1(VALU_DEP_2)
	v_add_f64 v[23:24], v[21:22], v[19:20]
	v_add_f64 v[29:30], v[27:28], v[9:10]
	s_delay_alu instid0(VALU_DEP_2) | instskip(SKIP_1) | instid1(VALU_DEP_2)
	v_rcp_f64_e32 v[25:26], v[23:24]
	v_add_f64 v[21:22], v[23:24], -v[21:22]
	v_add_f64 v[27:28], v[29:30], -v[27:28]
	s_delay_alu instid0(VALU_DEP_2) | instskip(SKIP_3) | instid1(VALU_DEP_2)
	v_add_f64 v[19:20], v[19:20], -v[21:22]
	s_waitcnt_depctr 0xfff
	v_fma_f64 v[31:32], -v[23:24], v[25:26], 1.0
	v_add_f64 v[9:10], v[9:10], -v[27:28]
	v_fma_f64 v[25:26], v[31:32], v[25:26], v[25:26]
	s_delay_alu instid0(VALU_DEP_1) | instskip(NEXT) | instid1(VALU_DEP_1)
	v_fma_f64 v[11:12], -v[23:24], v[25:26], 1.0
	v_fma_f64 v[11:12], v[11:12], v[25:26], v[25:26]
	s_delay_alu instid0(VALU_DEP_1) | instskip(NEXT) | instid1(VALU_DEP_1)
	v_mul_f64 v[25:26], v[29:30], v[11:12]
	v_mul_f64 v[31:32], v[23:24], v[25:26]
	s_delay_alu instid0(VALU_DEP_1) | instskip(NEXT) | instid1(VALU_DEP_1)
	v_fma_f64 v[21:22], v[25:26], v[23:24], -v[31:32]
	v_fma_f64 v[21:22], v[25:26], v[19:20], v[21:22]
	s_delay_alu instid0(VALU_DEP_1) | instskip(NEXT) | instid1(VALU_DEP_1)
	v_add_f64 v[33:34], v[31:32], v[21:22]
	v_add_f64 v[35:36], v[29:30], -v[33:34]
	v_add_f64 v[27:28], v[33:34], -v[31:32]
	s_delay_alu instid0(VALU_DEP_2) | instskip(NEXT) | instid1(VALU_DEP_2)
	v_add_f64 v[29:30], v[29:30], -v[35:36]
	v_add_f64 v[21:22], v[27:28], -v[21:22]
	s_delay_alu instid0(VALU_DEP_2) | instskip(NEXT) | instid1(VALU_DEP_1)
	v_add_f64 v[29:30], v[29:30], -v[33:34]
	v_add_f64 v[9:10], v[9:10], v[29:30]
	s_delay_alu instid0(VALU_DEP_1) | instskip(NEXT) | instid1(VALU_DEP_1)
	v_add_f64 v[9:10], v[21:22], v[9:10]
	v_add_f64 v[21:22], v[35:36], v[9:10]
	s_delay_alu instid0(VALU_DEP_1) | instskip(SKIP_1) | instid1(VALU_DEP_2)
	v_mul_f64 v[27:28], v[11:12], v[21:22]
	v_add_f64 v[33:34], v[35:36], -v[21:22]
	v_mul_f64 v[29:30], v[23:24], v[27:28]
	s_delay_alu instid0(VALU_DEP_2) | instskip(NEXT) | instid1(VALU_DEP_2)
	v_add_f64 v[9:10], v[9:10], v[33:34]
	v_fma_f64 v[23:24], v[27:28], v[23:24], -v[29:30]
	s_delay_alu instid0(VALU_DEP_1) | instskip(NEXT) | instid1(VALU_DEP_1)
	v_fma_f64 v[19:20], v[27:28], v[19:20], v[23:24]
	v_add_f64 v[23:24], v[29:30], v[19:20]
	s_delay_alu instid0(VALU_DEP_1) | instskip(SKIP_1) | instid1(VALU_DEP_2)
	v_add_f64 v[31:32], v[21:22], -v[23:24]
	v_add_f64 v[29:30], v[23:24], -v[29:30]
	;; [unrolled: 1-line block ×3, first 2 shown]
	s_delay_alu instid0(VALU_DEP_2) | instskip(NEXT) | instid1(VALU_DEP_2)
	v_add_f64 v[19:20], v[29:30], -v[19:20]
	v_add_f64 v[21:22], v[21:22], -v[23:24]
	s_delay_alu instid0(VALU_DEP_1) | instskip(SKIP_1) | instid1(VALU_DEP_2)
	v_add_f64 v[9:10], v[9:10], v[21:22]
	v_add_f64 v[21:22], v[25:26], v[27:28]
	;; [unrolled: 1-line block ×3, first 2 shown]
	s_delay_alu instid0(VALU_DEP_2) | instskip(NEXT) | instid1(VALU_DEP_2)
	v_add_f64 v[19:20], v[21:22], -v[25:26]
	v_add_f64 v[9:10], v[31:32], v[9:10]
	s_delay_alu instid0(VALU_DEP_2) | instskip(NEXT) | instid1(VALU_DEP_2)
	v_add_f64 v[19:20], v[27:28], -v[19:20]
	v_mul_f64 v[9:10], v[11:12], v[9:10]
	s_delay_alu instid0(VALU_DEP_1) | instskip(NEXT) | instid1(VALU_DEP_1)
	v_add_f64 v[9:10], v[19:20], v[9:10]
	v_add_f64 v[11:12], v[21:22], v[9:10]
	s_delay_alu instid0(VALU_DEP_1) | instskip(NEXT) | instid1(VALU_DEP_1)
	v_mul_f64 v[19:20], v[11:12], v[11:12]
	v_fma_f64 v[23:24], v[19:20], s[22:23], s[20:21]
	v_mul_f64 v[25:26], v[11:12], v[19:20]
	s_delay_alu instid0(VALU_DEP_2) | instskip(NEXT) | instid1(VALU_DEP_1)
	v_fma_f64 v[23:24], v[19:20], v[23:24], s[24:25]
	v_fma_f64 v[23:24], v[19:20], v[23:24], s[26:27]
	s_delay_alu instid0(VALU_DEP_1) | instskip(NEXT) | instid1(VALU_DEP_1)
	v_fma_f64 v[23:24], v[19:20], v[23:24], s[28:29]
	v_fma_f64 v[23:24], v[19:20], v[23:24], s[30:31]
	s_delay_alu instid0(VALU_DEP_1) | instskip(SKIP_2) | instid1(VALU_DEP_3)
	v_fma_f64 v[19:20], v[19:20], v[23:24], s[36:37]
	v_ldexp_f64 v[23:24], v[11:12], 1
	v_add_f64 v[11:12], v[11:12], -v[21:22]
	v_mul_f64 v[19:20], v[25:26], v[19:20]
	v_cvt_f64_i32_e32 v[25:26], v37
	s_delay_alu instid0(VALU_DEP_3) | instskip(NEXT) | instid1(VALU_DEP_3)
	v_add_f64 v[9:10], v[9:10], -v[11:12]
	v_add_f64 v[21:22], v[23:24], v[19:20]
	s_delay_alu instid0(VALU_DEP_3) | instskip(NEXT) | instid1(VALU_DEP_3)
	v_mul_f64 v[27:28], v[25:26], s[16:17]
	v_ldexp_f64 v[9:10], v[9:10], 1
	s_delay_alu instid0(VALU_DEP_3) | instskip(NEXT) | instid1(VALU_DEP_3)
	v_add_f64 v[11:12], v[21:22], -v[23:24]
	v_fma_f64 v[23:24], v[25:26], s[16:17], -v[27:28]
	s_delay_alu instid0(VALU_DEP_2) | instskip(NEXT) | instid1(VALU_DEP_2)
	v_add_f64 v[11:12], v[19:20], -v[11:12]
	v_fma_f64 v[19:20], v[25:26], s[18:19], v[23:24]
	s_delay_alu instid0(VALU_DEP_2) | instskip(NEXT) | instid1(VALU_DEP_2)
	v_add_f64 v[9:10], v[9:10], v[11:12]
	v_add_f64 v[11:12], v[27:28], v[19:20]
	s_delay_alu instid0(VALU_DEP_2) | instskip(NEXT) | instid1(VALU_DEP_2)
	v_add_f64 v[23:24], v[21:22], v[9:10]
	v_add_f64 v[27:28], v[11:12], -v[27:28]
	s_delay_alu instid0(VALU_DEP_2) | instskip(SKIP_1) | instid1(VALU_DEP_3)
	v_add_f64 v[25:26], v[11:12], v[23:24]
	v_add_f64 v[21:22], v[23:24], -v[21:22]
	v_add_f64 v[19:20], v[19:20], -v[27:28]
	s_delay_alu instid0(VALU_DEP_3) | instskip(NEXT) | instid1(VALU_DEP_3)
	v_add_f64 v[29:30], v[25:26], -v[11:12]
	v_add_f64 v[9:10], v[9:10], -v[21:22]
	s_delay_alu instid0(VALU_DEP_2) | instskip(SKIP_1) | instid1(VALU_DEP_3)
	v_add_f64 v[31:32], v[25:26], -v[29:30]
	v_add_f64 v[21:22], v[23:24], -v[29:30]
	v_add_f64 v[23:24], v[19:20], v[9:10]
	s_delay_alu instid0(VALU_DEP_3) | instskip(NEXT) | instid1(VALU_DEP_1)
	v_add_f64 v[11:12], v[11:12], -v[31:32]
	v_add_f64 v[11:12], v[21:22], v[11:12]
	s_delay_alu instid0(VALU_DEP_3) | instskip(NEXT) | instid1(VALU_DEP_2)
	v_add_f64 v[21:22], v[23:24], -v[19:20]
	v_add_f64 v[11:12], v[23:24], v[11:12]
	s_delay_alu instid0(VALU_DEP_2) | instskip(SKIP_1) | instid1(VALU_DEP_3)
	v_add_f64 v[23:24], v[23:24], -v[21:22]
	v_add_f64 v[9:10], v[9:10], -v[21:22]
	v_add_f64 v[27:28], v[25:26], v[11:12]
	s_delay_alu instid0(VALU_DEP_3) | instskip(NEXT) | instid1(VALU_DEP_2)
	v_add_f64 v[19:20], v[19:20], -v[23:24]
	v_add_f64 v[21:22], v[27:28], -v[25:26]
	s_delay_alu instid0(VALU_DEP_2) | instskip(NEXT) | instid1(VALU_DEP_2)
	v_add_f64 v[9:10], v[9:10], v[19:20]
	v_add_f64 v[11:12], v[11:12], -v[21:22]
	s_delay_alu instid0(VALU_DEP_1) | instskip(NEXT) | instid1(VALU_DEP_1)
	v_add_f64 v[9:10], v[9:10], v[11:12]
	v_add_f64 v[9:10], v[27:28], v[9:10]
	s_delay_alu instid0(VALU_DEP_1) | instskip(NEXT) | instid1(VALU_DEP_2)
	v_cndmask_b32_e64 v9, v9, v7, s2
	v_cndmask_b32_e64 v10, v10, v8, s2
	v_cmp_ngt_f64_e64 s2, -1.0, v[7:8]
	s_delay_alu instid0(VALU_DEP_1) | instskip(SKIP_1) | instid1(VALU_DEP_1)
	v_cndmask_b32_e64 v10, 0x7ff80000, v10, s2
	v_cmp_nge_f64_e64 s2, -1.0, v[7:8]
	v_cndmask_b32_e64 v9, 0, v9, s2
	v_cmp_neq_f64_e64 s2, -1.0, v[7:8]
	s_delay_alu instid0(VALU_DEP_1) | instskip(SKIP_1) | instid1(VALU_DEP_1)
	v_cndmask_b32_e64 v10, 0xfff00000, v10, s2
	v_add_co_u32 v7, s2, v1, s40
	v_add_co_ci_u32_e64 v8, s2, 0, v2, s2
	global_store_b64 v[7:8], v[9:10], off
	s_or_b32 exec_lo, exec_lo, s3
	s_and_saveexec_b32 s2, vcc_lo
	s_cbranch_execz .LBB208_3
.LBB208_19:                             ;   in Loop: Header=BB208_4 Depth=1
	s_waitcnt vmcnt(0)
	v_add_f64 v[7:8], v[5:6], 1.0
	s_mov_b32 s37, s15
	s_delay_alu instid0(VALU_DEP_1) | instskip(SKIP_2) | instid1(VALU_DEP_3)
	v_frexp_mant_f64_e32 v[9:10], v[7:8]
	v_frexp_exp_i32_f64_e32 v19, v[7:8]
	v_add_f64 v[11:12], v[7:8], -1.0
	v_cmp_gt_f64_e32 vcc_lo, s[14:15], v[9:10]
	s_delay_alu instid0(VALU_DEP_2) | instskip(SKIP_2) | instid1(VALU_DEP_3)
	v_add_f64 v[9:10], v[11:12], -v[7:8]
	v_add_f64 v[11:12], v[5:6], -v[11:12]
	v_subrev_co_ci_u32_e32 v35, vcc_lo, 0, v19, vcc_lo
	v_add_f64 v[9:10], v[9:10], 1.0
	v_cmp_eq_f64_e32 vcc_lo, 0x7ff00000, v[5:6]
	s_delay_alu instid0(VALU_DEP_3) | instskip(NEXT) | instid1(VALU_DEP_1)
	v_sub_nc_u32_e32 v21, 0, v35
	v_ldexp_f64 v[7:8], v[7:8], v21
	s_delay_alu instid0(VALU_DEP_4) | instskip(NEXT) | instid1(VALU_DEP_2)
	v_add_f64 v[9:10], v[11:12], v[9:10]
	v_add_f64 v[19:20], v[7:8], 1.0
	v_add_f64 v[25:26], v[7:8], -1.0
	s_delay_alu instid0(VALU_DEP_3) | instskip(NEXT) | instid1(VALU_DEP_3)
	v_ldexp_f64 v[9:10], v[9:10], v21
	v_add_f64 v[11:12], v[19:20], -1.0
	s_delay_alu instid0(VALU_DEP_3) | instskip(NEXT) | instid1(VALU_DEP_2)
	v_add_f64 v[27:28], v[25:26], 1.0
	v_add_f64 v[11:12], v[7:8], -v[11:12]
	s_delay_alu instid0(VALU_DEP_2) | instskip(NEXT) | instid1(VALU_DEP_2)
	v_add_f64 v[7:8], v[7:8], -v[27:28]
	v_add_f64 v[11:12], v[9:10], v[11:12]
	s_delay_alu instid0(VALU_DEP_2) | instskip(NEXT) | instid1(VALU_DEP_2)
	v_add_f64 v[7:8], v[9:10], v[7:8]
	v_add_f64 v[21:22], v[19:20], v[11:12]
	s_delay_alu instid0(VALU_DEP_2) | instskip(NEXT) | instid1(VALU_DEP_2)
	v_add_f64 v[27:28], v[25:26], v[7:8]
	v_rcp_f64_e32 v[23:24], v[21:22]
	v_add_f64 v[19:20], v[21:22], -v[19:20]
	s_delay_alu instid0(VALU_DEP_2) | instskip(NEXT) | instid1(VALU_DEP_2)
	v_add_f64 v[25:26], v[27:28], -v[25:26]
	v_add_f64 v[11:12], v[11:12], -v[19:20]
	s_waitcnt_depctr 0xfff
	v_fma_f64 v[29:30], -v[21:22], v[23:24], 1.0
	v_add_f64 v[7:8], v[7:8], -v[25:26]
	s_delay_alu instid0(VALU_DEP_2) | instskip(NEXT) | instid1(VALU_DEP_1)
	v_fma_f64 v[23:24], v[29:30], v[23:24], v[23:24]
	v_fma_f64 v[9:10], -v[21:22], v[23:24], 1.0
	s_delay_alu instid0(VALU_DEP_1) | instskip(NEXT) | instid1(VALU_DEP_1)
	v_fma_f64 v[9:10], v[9:10], v[23:24], v[23:24]
	v_mul_f64 v[23:24], v[27:28], v[9:10]
	s_delay_alu instid0(VALU_DEP_1) | instskip(NEXT) | instid1(VALU_DEP_1)
	v_mul_f64 v[29:30], v[21:22], v[23:24]
	v_fma_f64 v[19:20], v[23:24], v[21:22], -v[29:30]
	s_delay_alu instid0(VALU_DEP_1) | instskip(NEXT) | instid1(VALU_DEP_1)
	v_fma_f64 v[19:20], v[23:24], v[11:12], v[19:20]
	v_add_f64 v[31:32], v[29:30], v[19:20]
	s_delay_alu instid0(VALU_DEP_1) | instskip(SKIP_1) | instid1(VALU_DEP_2)
	v_add_f64 v[33:34], v[27:28], -v[31:32]
	v_add_f64 v[25:26], v[31:32], -v[29:30]
	;; [unrolled: 1-line block ×3, first 2 shown]
	s_delay_alu instid0(VALU_DEP_2) | instskip(NEXT) | instid1(VALU_DEP_2)
	v_add_f64 v[19:20], v[25:26], -v[19:20]
	v_add_f64 v[27:28], v[27:28], -v[31:32]
	s_delay_alu instid0(VALU_DEP_1) | instskip(NEXT) | instid1(VALU_DEP_1)
	v_add_f64 v[7:8], v[7:8], v[27:28]
	v_add_f64 v[7:8], v[19:20], v[7:8]
	s_delay_alu instid0(VALU_DEP_1) | instskip(NEXT) | instid1(VALU_DEP_1)
	v_add_f64 v[19:20], v[33:34], v[7:8]
	v_mul_f64 v[25:26], v[9:10], v[19:20]
	v_add_f64 v[31:32], v[33:34], -v[19:20]
	s_delay_alu instid0(VALU_DEP_2) | instskip(NEXT) | instid1(VALU_DEP_2)
	v_mul_f64 v[27:28], v[21:22], v[25:26]
	v_add_f64 v[7:8], v[7:8], v[31:32]
	s_delay_alu instid0(VALU_DEP_2) | instskip(NEXT) | instid1(VALU_DEP_1)
	v_fma_f64 v[21:22], v[25:26], v[21:22], -v[27:28]
	v_fma_f64 v[11:12], v[25:26], v[11:12], v[21:22]
	s_delay_alu instid0(VALU_DEP_1) | instskip(NEXT) | instid1(VALU_DEP_1)
	v_add_f64 v[21:22], v[27:28], v[11:12]
	v_add_f64 v[29:30], v[19:20], -v[21:22]
	v_add_f64 v[27:28], v[21:22], -v[27:28]
	s_delay_alu instid0(VALU_DEP_2) | instskip(NEXT) | instid1(VALU_DEP_2)
	v_add_f64 v[19:20], v[19:20], -v[29:30]
	v_add_f64 v[11:12], v[27:28], -v[11:12]
	s_delay_alu instid0(VALU_DEP_2) | instskip(NEXT) | instid1(VALU_DEP_1)
	v_add_f64 v[19:20], v[19:20], -v[21:22]
	v_add_f64 v[7:8], v[7:8], v[19:20]
	v_add_f64 v[19:20], v[23:24], v[25:26]
	s_delay_alu instid0(VALU_DEP_2) | instskip(NEXT) | instid1(VALU_DEP_2)
	v_add_f64 v[7:8], v[11:12], v[7:8]
	v_add_f64 v[11:12], v[19:20], -v[23:24]
	s_delay_alu instid0(VALU_DEP_2) | instskip(NEXT) | instid1(VALU_DEP_2)
	v_add_f64 v[7:8], v[29:30], v[7:8]
	v_add_f64 v[11:12], v[25:26], -v[11:12]
	s_delay_alu instid0(VALU_DEP_2) | instskip(NEXT) | instid1(VALU_DEP_1)
	v_mul_f64 v[7:8], v[9:10], v[7:8]
	v_add_f64 v[7:8], v[11:12], v[7:8]
	s_delay_alu instid0(VALU_DEP_1) | instskip(NEXT) | instid1(VALU_DEP_1)
	v_add_f64 v[9:10], v[19:20], v[7:8]
	v_mul_f64 v[11:12], v[9:10], v[9:10]
	s_delay_alu instid0(VALU_DEP_1) | instskip(SKIP_1) | instid1(VALU_DEP_2)
	v_fma_f64 v[21:22], v[11:12], s[22:23], s[20:21]
	v_mul_f64 v[23:24], v[9:10], v[11:12]
	v_fma_f64 v[21:22], v[11:12], v[21:22], s[24:25]
	s_delay_alu instid0(VALU_DEP_1) | instskip(NEXT) | instid1(VALU_DEP_1)
	v_fma_f64 v[21:22], v[11:12], v[21:22], s[26:27]
	v_fma_f64 v[21:22], v[11:12], v[21:22], s[28:29]
	s_delay_alu instid0(VALU_DEP_1) | instskip(NEXT) | instid1(VALU_DEP_1)
	v_fma_f64 v[21:22], v[11:12], v[21:22], s[30:31]
	v_fma_f64 v[11:12], v[11:12], v[21:22], s[36:37]
	v_ldexp_f64 v[21:22], v[9:10], 1
	v_add_f64 v[9:10], v[9:10], -v[19:20]
	s_delay_alu instid0(VALU_DEP_3) | instskip(SKIP_1) | instid1(VALU_DEP_3)
	v_mul_f64 v[11:12], v[23:24], v[11:12]
	v_cvt_f64_i32_e32 v[23:24], v35
	v_add_f64 v[7:8], v[7:8], -v[9:10]
	s_delay_alu instid0(VALU_DEP_3) | instskip(NEXT) | instid1(VALU_DEP_3)
	v_add_f64 v[19:20], v[21:22], v[11:12]
	v_mul_f64 v[25:26], v[23:24], s[16:17]
	s_delay_alu instid0(VALU_DEP_3) | instskip(NEXT) | instid1(VALU_DEP_3)
	v_ldexp_f64 v[7:8], v[7:8], 1
	v_add_f64 v[9:10], v[19:20], -v[21:22]
	s_delay_alu instid0(VALU_DEP_3) | instskip(NEXT) | instid1(VALU_DEP_2)
	v_fma_f64 v[21:22], v[23:24], s[16:17], -v[25:26]
	v_add_f64 v[9:10], v[11:12], -v[9:10]
	s_delay_alu instid0(VALU_DEP_2) | instskip(NEXT) | instid1(VALU_DEP_2)
	v_fma_f64 v[11:12], v[23:24], s[18:19], v[21:22]
	v_add_f64 v[7:8], v[7:8], v[9:10]
	s_delay_alu instid0(VALU_DEP_2) | instskip(NEXT) | instid1(VALU_DEP_2)
	v_add_f64 v[9:10], v[25:26], v[11:12]
	v_add_f64 v[21:22], v[19:20], v[7:8]
	s_delay_alu instid0(VALU_DEP_2) | instskip(NEXT) | instid1(VALU_DEP_2)
	v_add_f64 v[25:26], v[9:10], -v[25:26]
	v_add_f64 v[23:24], v[9:10], v[21:22]
	v_add_f64 v[19:20], v[21:22], -v[19:20]
	s_delay_alu instid0(VALU_DEP_3) | instskip(NEXT) | instid1(VALU_DEP_3)
	v_add_f64 v[11:12], v[11:12], -v[25:26]
	v_add_f64 v[27:28], v[23:24], -v[9:10]
	s_delay_alu instid0(VALU_DEP_3) | instskip(NEXT) | instid1(VALU_DEP_2)
	v_add_f64 v[7:8], v[7:8], -v[19:20]
	v_add_f64 v[29:30], v[23:24], -v[27:28]
	;; [unrolled: 1-line block ×3, first 2 shown]
	s_delay_alu instid0(VALU_DEP_3) | instskip(NEXT) | instid1(VALU_DEP_3)
	v_add_f64 v[21:22], v[11:12], v[7:8]
	v_add_f64 v[9:10], v[9:10], -v[29:30]
	s_delay_alu instid0(VALU_DEP_1) | instskip(NEXT) | instid1(VALU_DEP_3)
	v_add_f64 v[9:10], v[19:20], v[9:10]
	v_add_f64 v[19:20], v[21:22], -v[11:12]
	s_delay_alu instid0(VALU_DEP_2) | instskip(NEXT) | instid1(VALU_DEP_2)
	v_add_f64 v[9:10], v[21:22], v[9:10]
	v_add_f64 v[21:22], v[21:22], -v[19:20]
	v_add_f64 v[7:8], v[7:8], -v[19:20]
	s_delay_alu instid0(VALU_DEP_3) | instskip(NEXT) | instid1(VALU_DEP_3)
	v_add_f64 v[25:26], v[23:24], v[9:10]
	v_add_f64 v[11:12], v[11:12], -v[21:22]
	s_delay_alu instid0(VALU_DEP_2) | instskip(NEXT) | instid1(VALU_DEP_2)
	v_add_f64 v[19:20], v[25:26], -v[23:24]
	v_add_f64 v[7:8], v[7:8], v[11:12]
	s_delay_alu instid0(VALU_DEP_2) | instskip(NEXT) | instid1(VALU_DEP_1)
	v_add_f64 v[9:10], v[9:10], -v[19:20]
	v_add_f64 v[7:8], v[7:8], v[9:10]
	s_delay_alu instid0(VALU_DEP_1) | instskip(NEXT) | instid1(VALU_DEP_1)
	v_add_f64 v[7:8], v[25:26], v[7:8]
	v_dual_cndmask_b32 v7, v7, v5 :: v_dual_cndmask_b32 v8, v8, v6
	v_cmp_ngt_f64_e32 vcc_lo, -1.0, v[5:6]
	s_delay_alu instid0(VALU_DEP_2) | instskip(SKIP_1) | instid1(VALU_DEP_4)
	v_cndmask_b32_e32 v8, 0x7ff80000, v8, vcc_lo
	v_cmp_nge_f64_e32 vcc_lo, -1.0, v[5:6]
	v_cndmask_b32_e32 v7, 0, v7, vcc_lo
	v_cmp_neq_f64_e32 vcc_lo, -1.0, v[5:6]
	s_delay_alu instid0(VALU_DEP_4)
	v_cndmask_b32_e32 v8, 0xfff00000, v8, vcc_lo
	v_add_co_u32 v5, vcc_lo, v1, s38
	v_add_co_ci_u32_e32 v6, vcc_lo, 0, v2, vcc_lo
	global_store_b64 v[5:6], v[7:8], off
	s_branch .LBB208_3
.LBB208_20:
	s_cbranch_execz .LBB208_22
	s_branch .LBB208_25
.LBB208_21:
.LBB208_22:
	s_waitcnt vmcnt(0)
	v_dual_mov_b32 v9, 0 :: v_dual_lshlrev_b32 v8, 2, v0
	s_mov_b32 s5, 0
	s_mov_b32 s2, exec_lo
	s_delay_alu instid0(VALU_DEP_1)
	v_cmpx_gt_i64_e64 s[6:7], v[8:9]
	s_cbranch_execz .LBB208_25
; %bb.23:
	s_load_b32 s0, s[0:1], 0xd3c
	v_lshlrev_b32_e32 v1, 5, v0
	s_mov_b32 s12, 0x6b47b09a
	s_mov_b32 s14, 0xbf559e2b
	;; [unrolled: 1-line block ×16, first 2 shown]
	s_waitcnt lgkmcnt(0)
	s_and_b32 s0, s0, 0xffff
	s_delay_alu instid0(SALU_CYCLE_1) | instskip(SKIP_4) | instid1(VALU_DEP_1)
	s_lshl_b32 s28, s0, 2
	s_add_u32 s1, s8, s10
	v_add_lshl_u32 v8, v0, s0, 2
	s_addc_u32 s2, s9, s11
	v_add_co_u32 v0, s1, s1, v1
	v_add_co_ci_u32_e64 v1, null, s2, 0, s1
	s_mov_b32 s8, 0x55555555
	s_delay_alu instid0(VALU_DEP_2) | instskip(NEXT) | instid1(VALU_DEP_2)
	v_add_co_u32 v10, vcc_lo, v0, 16
	v_add_co_ci_u32_e32 v11, vcc_lo, 0, v1, vcc_lo
	s_mov_b32 s9, 0x3fe55555
	s_lshl_b32 s29, s0, 5
	s_mov_b32 s10, 0x55555780
	s_mov_b32 s11, s9
.LBB208_24:                             ; =>This Inner Loop Header: Depth=1
	s_clause 0x1
	global_load_b128 v[4:7], v[10:11], off offset:-16
	global_load_b128 v[0:3], v[10:11], off
	v_cmp_le_i64_e64 s3, s[6:7], v[8:9]
	v_cmp_lt_u64_e64 s4, 0xffff, v[8:9]
	s_waitcnt vmcnt(1)
	v_add_f64 v[12:13], v[4:5], 1.0
	v_add_f64 v[14:15], v[6:7], 1.0
	s_waitcnt vmcnt(0)
	v_add_f64 v[24:25], v[0:1], 1.0
	v_add_f64 v[26:27], v[2:3], 1.0
	v_cmp_eq_f64_e64 s0, 0x7ff00000, v[6:7]
	v_cmp_eq_f64_e64 s1, 0x7ff00000, v[0:1]
	;; [unrolled: 1-line block ×3, first 2 shown]
	v_frexp_mant_f64_e32 v[16:17], v[12:13]
	v_frexp_exp_i32_f64_e32 v28, v[12:13]
	v_frexp_mant_f64_e32 v[18:19], v[14:15]
	v_frexp_exp_i32_f64_e32 v29, v[14:15]
	v_add_f64 v[20:21], v[12:13], -1.0
	v_add_f64 v[22:23], v[14:15], -1.0
	v_frexp_exp_i32_f64_e32 v40, v[24:25]
	v_frexp_mant_f64_e32 v[30:31], v[26:27]
	v_frexp_exp_i32_f64_e32 v41, v[26:27]
	v_add_f64 v[32:33], v[24:25], -1.0
	v_add_f64 v[34:35], v[26:27], -1.0
	v_cmp_gt_f64_e32 vcc_lo, s[8:9], v[16:17]
	v_add_f64 v[16:17], v[20:21], -v[12:13]
	v_add_f64 v[20:21], v[4:5], -v[20:21]
	v_subrev_co_ci_u32_e32 v88, vcc_lo, 0, v28, vcc_lo
	v_cmp_gt_f64_e32 vcc_lo, s[8:9], v[18:19]
	v_add_f64 v[18:19], v[22:23], -v[14:15]
	v_add_f64 v[22:23], v[6:7], -v[22:23]
	s_delay_alu instid0(VALU_DEP_4) | instskip(SKIP_1) | instid1(VALU_DEP_2)
	v_sub_nc_u32_e32 v42, 0, v88
	v_add_f64 v[16:17], v[16:17], 1.0
	v_ldexp_f64 v[12:13], v[12:13], v42
	v_subrev_co_ci_u32_e32 v89, vcc_lo, 0, v29, vcc_lo
	v_frexp_mant_f64_e32 v[28:29], v[24:25]
	v_add_f64 v[18:19], v[18:19], 1.0
	v_add_f64 v[16:17], v[20:21], v[16:17]
	s_delay_alu instid0(VALU_DEP_4) | instskip(SKIP_2) | instid1(VALU_DEP_3)
	v_sub_nc_u32_e32 v43, 0, v89
	v_add_f64 v[36:37], v[12:13], 1.0
	v_add_f64 v[48:49], v[12:13], -1.0
	v_ldexp_f64 v[14:15], v[14:15], v43
	v_cmp_gt_f64_e32 vcc_lo, s[8:9], v[28:29]
	v_add_f64 v[28:29], v[32:33], -v[24:25]
	v_add_f64 v[18:19], v[22:23], v[18:19]
	v_add_f64 v[32:33], v[0:1], -v[32:33]
	v_ldexp_f64 v[16:17], v[16:17], v42
	v_add_f64 v[20:21], v[36:37], -1.0
	v_add_f64 v[56:57], v[48:49], 1.0
	v_add_f64 v[38:39], v[14:15], 1.0
	v_add_f64 v[50:51], v[14:15], -1.0
	v_subrev_co_ci_u32_e32 v90, vcc_lo, 0, v40, vcc_lo
	v_cmp_gt_f64_e32 vcc_lo, s[8:9], v[30:31]
	v_add_f64 v[30:31], v[34:35], -v[26:27]
	v_add_f64 v[34:35], v[2:3], -v[34:35]
	s_delay_alu instid0(VALU_DEP_4)
	v_sub_nc_u32_e32 v44, 0, v90
	v_add_f64 v[28:29], v[28:29], 1.0
	v_add_f64 v[20:21], v[12:13], -v[20:21]
	v_add_f64 v[22:23], v[38:39], -1.0
	v_ldexp_f64 v[18:19], v[18:19], v43
	v_ldexp_f64 v[24:25], v[24:25], v44
	v_add_f64 v[58:59], v[50:51], 1.0
	v_add_f64 v[12:13], v[12:13], -v[56:57]
	v_subrev_co_ci_u32_e32 v91, vcc_lo, 0, v41, vcc_lo
	v_add_f64 v[30:31], v[30:31], 1.0
	v_cmp_eq_f64_e32 vcc_lo, 0x7ff00000, v[4:5]
	v_add_f64 v[28:29], v[32:33], v[28:29]
	s_delay_alu instid0(VALU_DEP_4)
	v_sub_nc_u32_e32 v45, 0, v91
	v_add_f64 v[22:23], v[14:15], -v[22:23]
	v_add_f64 v[20:21], v[16:17], v[20:21]
	v_add_f64 v[40:41], v[24:25], 1.0
	v_add_f64 v[14:15], v[14:15], -v[58:59]
	v_ldexp_f64 v[26:27], v[26:27], v45
	v_add_f64 v[68:69], v[24:25], -1.0
	v_add_f64 v[12:13], v[16:17], v[12:13]
	v_add_f64 v[30:31], v[34:35], v[30:31]
	v_ldexp_f64 v[28:29], v[28:29], v44
	v_add_f64 v[22:23], v[18:19], v[22:23]
	v_add_f64 v[32:33], v[40:41], -1.0
	v_add_f64 v[14:15], v[18:19], v[14:15]
	v_add_f64 v[42:43], v[26:27], 1.0
	v_add_f64 v[70:71], v[26:27], -1.0
	v_ldexp_f64 v[30:31], v[30:31], v45
	v_add_f64 v[44:45], v[36:37], v[20:21]
	v_add_f64 v[46:47], v[38:39], v[22:23]
	v_add_f64 v[32:33], v[24:25], -v[32:33]
	v_add_f64 v[34:35], v[42:43], -1.0
	s_delay_alu instid0(VALU_DEP_4) | instskip(SKIP_1) | instid1(VALU_DEP_4)
	v_rcp_f64_e32 v[52:53], v[44:45]
	v_add_f64 v[36:37], v[44:45], -v[36:37]
	v_rcp_f64_e32 v[54:55], v[46:47]
	v_add_f64 v[38:39], v[46:47], -v[38:39]
	s_delay_alu instid0(VALU_DEP_4) | instskip(NEXT) | instid1(VALU_DEP_4)
	v_add_f64 v[32:33], v[28:29], v[32:33]
	v_add_f64 v[34:35], v[26:27], -v[34:35]
	s_delay_alu instid0(VALU_DEP_4) | instskip(NEXT) | instid1(TRANS32_DEP_2)
	v_add_f64 v[20:21], v[20:21], -v[36:37]
	v_fma_f64 v[62:63], -v[44:45], v[52:53], 1.0
	v_add_f64 v[22:23], v[22:23], -v[38:39]
	v_add_f64 v[60:61], v[40:41], v[32:33]
	s_delay_alu instid0(TRANS32_DEP_1) | instskip(SKIP_4) | instid1(VALU_DEP_4)
	v_fma_f64 v[66:67], -v[46:47], v[54:55], 1.0
	v_add_f64 v[34:35], v[30:31], v[34:35]
	v_fma_f64 v[52:53], v[62:63], v[52:53], v[52:53]
	v_add_f64 v[62:63], v[68:69], 1.0
	v_rcp_f64_e32 v[56:57], v[60:61]
	v_fma_f64 v[54:55], v[66:67], v[54:55], v[54:55]
	s_delay_alu instid0(VALU_DEP_4)
	v_add_f64 v[64:65], v[42:43], v[34:35]
	v_add_f64 v[66:67], v[70:71], 1.0
	v_add_f64 v[40:41], v[60:61], -v[40:41]
	v_fma_f64 v[16:17], -v[44:45], v[52:53], 1.0
	v_add_f64 v[24:25], v[24:25], -v[62:63]
	v_add_f64 v[62:63], v[48:49], v[12:13]
	v_fma_f64 v[72:73], -v[46:47], v[54:55], 1.0
	v_rcp_f64_e32 v[58:59], v[64:65]
	s_delay_alu instid0(TRANS32_DEP_2)
	v_fma_f64 v[18:19], -v[60:61], v[56:57], 1.0
	v_add_f64 v[26:27], v[26:27], -v[66:67]
	v_add_f64 v[66:67], v[50:51], v[14:15]
	v_add_f64 v[42:43], v[64:65], -v[42:43]
	v_add_f64 v[32:33], v[32:33], -v[40:41]
	v_fma_f64 v[16:17], v[16:17], v[52:53], v[52:53]
	v_add_f64 v[24:25], v[28:29], v[24:25]
	v_add_f64 v[48:49], v[62:63], -v[48:49]
	v_fma_f64 v[52:53], v[72:73], v[54:55], v[54:55]
	v_fma_f64 v[18:19], v[18:19], v[56:57], v[56:57]
	s_delay_alu instid0(TRANS32_DEP_1)
	v_fma_f64 v[74:75], -v[64:65], v[58:59], 1.0
	v_add_f64 v[26:27], v[30:31], v[26:27]
	v_add_f64 v[50:51], v[66:67], -v[50:51]
	v_add_f64 v[34:35], v[34:35], -v[42:43]
	v_mul_f64 v[28:29], v[62:63], v[16:17]
	v_add_f64 v[72:73], v[68:69], v[24:25]
	v_add_f64 v[12:13], v[12:13], -v[48:49]
	v_mul_f64 v[56:57], v[66:67], v[52:53]
	v_fma_f64 v[30:31], -v[60:61], v[18:19], 1.0
	v_fma_f64 v[54:55], v[74:75], v[58:59], v[58:59]
	v_add_f64 v[74:75], v[70:71], v[26:27]
	v_add_f64 v[14:15], v[14:15], -v[50:51]
	v_mul_f64 v[76:77], v[44:45], v[28:29]
	v_add_f64 v[68:69], v[72:73], -v[68:69]
	v_fma_f64 v[18:19], v[30:31], v[18:19], v[18:19]
	v_fma_f64 v[58:59], -v[64:65], v[54:55], 1.0
	v_mul_f64 v[30:31], v[46:47], v[56:57]
	v_add_f64 v[70:71], v[74:75], -v[70:71]
	v_fma_f64 v[36:37], v[28:29], v[44:45], -v[76:77]
	v_add_f64 v[24:25], v[24:25], -v[68:69]
	v_mul_f64 v[38:39], v[72:73], v[18:19]
	v_fma_f64 v[54:55], v[58:59], v[54:55], v[54:55]
	v_fma_f64 v[58:59], v[56:57], v[46:47], -v[30:31]
	v_add_f64 v[26:27], v[26:27], -v[70:71]
	v_fma_f64 v[36:37], v[28:29], v[20:21], v[36:37]
	v_mul_f64 v[80:81], v[60:61], v[38:39]
	v_mul_f64 v[78:79], v[74:75], v[54:55]
	v_fma_f64 v[58:59], v[56:57], v[22:23], v[58:59]
	s_delay_alu instid0(VALU_DEP_4) | instskip(NEXT) | instid1(VALU_DEP_4)
	v_add_f64 v[40:41], v[76:77], v[36:37]
	v_fma_f64 v[42:43], v[38:39], v[60:61], -v[80:81]
	s_delay_alu instid0(VALU_DEP_4) | instskip(NEXT) | instid1(VALU_DEP_4)
	v_mul_f64 v[82:83], v[64:65], v[78:79]
	v_add_f64 v[84:85], v[30:31], v[58:59]
	s_delay_alu instid0(VALU_DEP_4)
	v_add_f64 v[48:49], v[62:63], -v[40:41]
	v_add_f64 v[76:77], v[40:41], -v[76:77]
	v_fma_f64 v[42:43], v[38:39], v[32:33], v[42:43]
	v_fma_f64 v[86:87], v[78:79], v[64:65], -v[82:83]
	v_add_f64 v[50:51], v[66:67], -v[84:85]
	v_add_f64 v[30:31], v[84:85], -v[30:31]
	;; [unrolled: 1-line block ×4, first 2 shown]
	v_add_f64 v[68:69], v[80:81], v[42:43]
	v_fma_f64 v[86:87], v[78:79], v[34:35], v[86:87]
	v_add_f64 v[66:67], v[66:67], -v[50:51]
	v_add_f64 v[30:31], v[30:31], -v[58:59]
	;; [unrolled: 1-line block ×4, first 2 shown]
	v_add_f64 v[70:71], v[82:83], v[86:87]
	v_add_f64 v[66:67], v[66:67], -v[84:85]
	v_add_f64 v[80:81], v[68:69], -v[80:81]
	v_add_f64 v[12:13], v[12:13], v[40:41]
	v_add_f64 v[72:73], v[72:73], -v[62:63]
	v_add_f64 v[84:85], v[74:75], -v[70:71]
	v_add_f64 v[14:15], v[14:15], v[66:67]
	v_add_f64 v[40:41], v[80:81], -v[42:43]
	v_add_f64 v[12:13], v[36:37], v[12:13]
	v_add_f64 v[68:69], v[72:73], -v[68:69]
	v_add_f64 v[74:75], v[74:75], -v[84:85]
	;; [unrolled: 1-line block ×3, first 2 shown]
	v_add_f64 v[14:15], v[30:31], v[14:15]
	v_add_f64 v[30:31], v[48:49], v[12:13]
	;; [unrolled: 1-line block ×3, first 2 shown]
	v_add_f64 v[70:71], v[74:75], -v[70:71]
	v_add_f64 v[42:43], v[72:73], -v[86:87]
	v_add_f64 v[36:37], v[50:51], v[14:15]
	v_mul_f64 v[58:59], v[16:17], v[30:31]
	v_add_f64 v[48:49], v[48:49], -v[30:31]
	v_add_f64 v[24:25], v[40:41], v[24:25]
	v_add_f64 v[26:27], v[26:27], v[70:71]
	v_mul_f64 v[66:67], v[52:53], v[36:37]
	v_add_f64 v[50:51], v[50:51], -v[36:37]
	v_mul_f64 v[72:73], v[44:45], v[58:59]
	v_add_f64 v[12:13], v[12:13], v[48:49]
	v_add_f64 v[40:41], v[62:63], v[24:25]
	;; [unrolled: 1-line block ×3, first 2 shown]
	v_mul_f64 v[74:75], v[46:47], v[66:67]
	v_add_f64 v[14:15], v[14:15], v[50:51]
	v_fma_f64 v[44:45], v[58:59], v[44:45], -v[72:73]
	v_mul_f64 v[68:69], v[18:19], v[40:41]
	v_add_f64 v[42:43], v[84:85], v[26:27]
	v_add_f64 v[62:63], v[62:63], -v[40:41]
	v_fma_f64 v[46:47], v[66:67], v[46:47], -v[74:75]
	v_fma_f64 v[20:21], v[58:59], v[20:21], v[44:45]
	v_mul_f64 v[76:77], v[60:61], v[68:69]
	v_mul_f64 v[70:71], v[54:55], v[42:43]
	v_add_f64 v[84:85], v[84:85], -v[42:43]
	v_fma_f64 v[22:23], v[66:67], v[22:23], v[46:47]
	v_add_f64 v[24:25], v[24:25], v[62:63]
	v_add_f64 v[44:45], v[72:73], v[20:21]
	v_fma_f64 v[60:61], v[68:69], v[60:61], -v[76:77]
	v_mul_f64 v[80:81], v[64:65], v[70:71]
	v_add_f64 v[26:27], v[26:27], v[84:85]
	v_add_f64 v[46:47], v[74:75], v[22:23]
	v_add_f64 v[82:83], v[30:31], -v[44:45]
	v_add_f64 v[62:63], v[44:45], -v[72:73]
	v_fma_f64 v[32:33], v[68:69], v[32:33], v[60:61]
	v_fma_f64 v[64:65], v[70:71], v[64:65], -v[80:81]
	v_add_f64 v[86:87], v[36:37], -v[46:47]
	v_add_f64 v[30:31], v[30:31], -v[82:83]
	;; [unrolled: 1-line block ×3, first 2 shown]
	v_add_f64 v[60:61], v[76:77], v[32:33]
	v_fma_f64 v[34:35], v[70:71], v[34:35], v[64:65]
	v_add_f64 v[36:37], v[36:37], -v[86:87]
	v_add_f64 v[30:31], v[30:31], -v[44:45]
	;; [unrolled: 1-line block ×4, first 2 shown]
	v_add_f64 v[64:65], v[80:81], v[34:35]
	v_add_f64 v[36:37], v[36:37], -v[46:47]
	v_add_f64 v[46:47], v[60:61], -v[76:77]
	v_add_f64 v[12:13], v[12:13], v[30:31]
	v_add_f64 v[22:23], v[44:45], -v[22:23]
	v_add_f64 v[40:41], v[40:41], -v[48:49]
	;; [unrolled: 1-line block ×3, first 2 shown]
	v_add_f64 v[14:15], v[14:15], v[36:37]
	v_add_f64 v[30:31], v[46:47], -v[32:33]
	v_add_f64 v[12:13], v[20:21], v[12:13]
	v_add_f64 v[20:21], v[56:57], v[66:67]
	v_add_f64 v[40:41], v[40:41], -v[60:61]
	v_add_f64 v[42:43], v[42:43], -v[50:51]
	;; [unrolled: 1-line block ×3, first 2 shown]
	v_add_f64 v[14:15], v[22:23], v[14:15]
	v_add_f64 v[22:23], v[38:39], v[68:69]
	;; [unrolled: 1-line block ×4, first 2 shown]
	v_add_f64 v[42:43], v[42:43], -v[64:65]
	v_add_f64 v[32:33], v[60:61], -v[34:35]
	v_add_f64 v[34:35], v[28:29], v[58:59]
	v_add_f64 v[14:15], v[86:87], v[14:15]
	v_add_f64 v[36:37], v[22:23], -v[38:39]
	v_mul_f64 v[12:13], v[16:17], v[12:13]
	v_add_f64 v[24:25], v[30:31], v[24:25]
	v_add_f64 v[26:27], v[26:27], v[42:43]
	;; [unrolled: 1-line block ×3, first 2 shown]
	v_add_f64 v[28:29], v[34:35], -v[28:29]
	v_mul_f64 v[14:15], v[52:53], v[14:15]
	v_add_f64 v[24:25], v[48:49], v[24:25]
	v_add_f64 v[26:27], v[32:33], v[26:27]
	v_add_f64 v[32:33], v[20:21], -v[56:57]
	v_add_f64 v[38:39], v[30:31], -v[78:79]
	;; [unrolled: 1-line block ×3, first 2 shown]
	v_cvt_f64_i32_e32 v[56:57], v90
	v_cvt_f64_i32_e32 v[58:59], v91
	v_mul_f64 v[18:19], v[18:19], v[24:25]
	v_add_f64 v[26:27], v[50:51], v[26:27]
	v_add_f64 v[16:17], v[66:67], -v[32:33]
	v_add_f64 v[32:33], v[68:69], -v[36:37]
	;; [unrolled: 1-line block ×3, first 2 shown]
	v_add_f64 v[12:13], v[28:29], v[12:13]
	v_mul_f64 v[64:65], v[56:57], s[24:25]
	v_mul_f64 v[66:67], v[58:59], s[24:25]
	;; [unrolled: 1-line block ×3, first 2 shown]
	v_add_f64 v[14:15], v[16:17], v[14:15]
	v_add_f64 v[16:17], v[32:33], v[18:19]
	v_cvt_f64_i32_e32 v[54:55], v89
	s_delay_alu instid0(VALU_DEP_4)
	v_add_f64 v[18:19], v[24:25], v[26:27]
	v_add_f64 v[24:25], v[34:35], v[12:13]
	;; [unrolled: 1-line block ×4, first 2 shown]
	v_mul_f64 v[62:63], v[54:55], s[24:25]
	v_add_f64 v[32:33], v[30:31], v[18:19]
	v_mul_f64 v[36:37], v[24:25], v[24:25]
	v_mul_f64 v[38:39], v[26:27], v[26:27]
	;; [unrolled: 1-line block ×3, first 2 shown]
	v_add_f64 v[20:21], v[26:27], -v[20:21]
	v_add_f64 v[22:23], v[28:29], -v[22:23]
	v_mul_f64 v[42:43], v[32:33], v[32:33]
	v_fma_f64 v[44:45], v[36:37], s[14:15], s[12:13]
	v_fma_f64 v[46:47], v[38:39], s[14:15], s[12:13]
	;; [unrolled: 1-line block ×3, first 2 shown]
	v_mul_f64 v[52:53], v[24:25], v[36:37]
	v_add_f64 v[30:31], v[32:33], -v[30:31]
	v_add_f64 v[14:15], v[14:15], -v[20:21]
	;; [unrolled: 1-line block ×3, first 2 shown]
	v_fma_f64 v[50:51], v[42:43], s[14:15], s[12:13]
	v_fma_f64 v[44:45], v[36:37], v[44:45], s[16:17]
	;; [unrolled: 1-line block ×4, first 2 shown]
	v_add_f64 v[18:19], v[18:19], -v[30:31]
	v_ldexp_f64 v[14:15], v[14:15], 1
	v_ldexp_f64 v[16:17], v[16:17], 1
	v_fma_f64 v[50:51], v[42:43], v[50:51], s[16:17]
	v_fma_f64 v[44:45], v[36:37], v[44:45], s[18:19]
	v_fma_f64 v[46:47], v[38:39], v[46:47], s[18:19]
	v_fma_f64 v[48:49], v[40:41], v[48:49], s[18:19]
	v_ldexp_f64 v[18:19], v[18:19], 1
	v_fma_f64 v[50:51], v[42:43], v[50:51], s[18:19]
	v_fma_f64 v[44:45], v[36:37], v[44:45], s[20:21]
	;; [unrolled: 1-line block ×4, first 2 shown]
	s_delay_alu instid0(VALU_DEP_4) | instskip(NEXT) | instid1(VALU_DEP_4)
	v_fma_f64 v[50:51], v[42:43], v[50:51], s[20:21]
	v_fma_f64 v[44:45], v[36:37], v[44:45], s[22:23]
	s_delay_alu instid0(VALU_DEP_4) | instskip(NEXT) | instid1(VALU_DEP_4)
	v_fma_f64 v[46:47], v[38:39], v[46:47], s[22:23]
	v_fma_f64 v[48:49], v[40:41], v[48:49], s[22:23]
	;; [unrolled: 3-line block ×3, first 2 shown]
	v_mul_f64 v[44:45], v[26:27], v[38:39]
	v_fma_f64 v[38:39], v[38:39], v[46:47], s[10:11]
	v_mul_f64 v[46:47], v[28:29], v[40:41]
	v_fma_f64 v[40:41], v[40:41], v[48:49], s[10:11]
	v_mul_f64 v[48:49], v[32:33], v[42:43]
	v_fma_f64 v[42:43], v[42:43], v[50:51], s[10:11]
	v_ldexp_f64 v[50:51], v[24:25], 1
	v_mul_f64 v[36:37], v[52:53], v[36:37]
	v_ldexp_f64 v[52:53], v[26:27], 1
	v_mul_f64 v[38:39], v[44:45], v[38:39]
	;; [unrolled: 2-line block ×3, first 2 shown]
	v_ldexp_f64 v[46:47], v[32:33], 1
	v_add_f64 v[24:25], v[24:25], -v[34:35]
	v_mul_f64 v[42:43], v[48:49], v[42:43]
	v_cvt_f64_i32_e32 v[48:49], v88
	v_add_f64 v[34:35], v[50:51], v[36:37]
	v_add_f64 v[26:27], v[52:53], v[38:39]
	;; [unrolled: 1-line block ×3, first 2 shown]
	v_add_f64 v[12:13], v[12:13], -v[24:25]
	v_add_f64 v[32:33], v[46:47], v[42:43]
	v_mul_f64 v[60:61], v[48:49], s[24:25]
	v_add_f64 v[24:25], v[34:35], -v[50:51]
	v_fma_f64 v[50:51], v[56:57], s[24:25], -v[64:65]
	v_add_f64 v[20:21], v[26:27], -v[52:53]
	v_fma_f64 v[52:53], v[58:59], s[24:25], -v[66:67]
	v_add_f64 v[22:23], v[28:29], -v[44:45]
	v_ldexp_f64 v[12:13], v[12:13], 1
	v_add_f64 v[30:31], v[32:33], -v[46:47]
	v_fma_f64 v[44:45], v[48:49], s[24:25], -v[60:61]
	v_add_f64 v[24:25], v[36:37], -v[24:25]
	v_fma_f64 v[46:47], v[54:55], s[24:25], -v[62:63]
	v_add_f64 v[20:21], v[38:39], -v[20:21]
	v_add_f64 v[22:23], v[40:41], -v[22:23]
	;; [unrolled: 1-line block ×3, first 2 shown]
	v_fma_f64 v[36:37], v[48:49], s[26:27], v[44:45]
	v_add_f64 v[12:13], v[12:13], v[24:25]
	v_fma_f64 v[24:25], v[54:55], s[26:27], v[46:47]
	v_add_f64 v[14:15], v[14:15], v[20:21]
	v_fma_f64 v[20:21], v[56:57], s[26:27], v[50:51]
	v_add_f64 v[16:17], v[16:17], v[22:23]
	v_fma_f64 v[22:23], v[58:59], s[26:27], v[52:53]
	v_add_f64 v[18:19], v[18:19], v[30:31]
	v_add_f64 v[30:31], v[60:61], v[36:37]
	v_add_f64 v[38:39], v[34:35], v[12:13]
	;; [unrolled: 1-line block ×8, first 2 shown]
	v_add_f64 v[60:61], v[30:31], -v[60:61]
	v_add_f64 v[52:53], v[30:31], v[38:39]
	v_add_f64 v[34:35], v[38:39], -v[34:35]
	v_add_f64 v[54:55], v[40:41], v[42:43]
	;; [unrolled: 2-line block ×3, first 2 shown]
	v_add_f64 v[28:29], v[46:47], -v[28:29]
	v_add_f64 v[62:63], v[40:41], -v[62:63]
	;; [unrolled: 1-line block ×4, first 2 shown]
	v_add_f64 v[58:59], v[48:49], v[50:51]
	v_add_f64 v[32:33], v[50:51], -v[32:33]
	v_add_f64 v[68:69], v[52:53], -v[30:31]
	;; [unrolled: 1-line block ×24, first 2 shown]
	v_add_f64 v[44:45], v[36:37], v[12:13]
	v_add_f64 v[42:43], v[48:49], -v[82:83]
	v_add_f64 v[26:27], v[26:27], v[28:29]
	v_add_f64 v[28:29], v[24:25], v[14:15]
	;; [unrolled: 1-line block ×7, first 2 shown]
	v_add_f64 v[42:43], v[44:45], -v[36:37]
	v_add_f64 v[26:27], v[44:45], v[26:27]
	v_add_f64 v[46:47], v[28:29], -v[24:25]
	v_add_f64 v[30:31], v[28:29], v[30:31]
	;; [unrolled: 2-line block ×5, first 2 shown]
	v_add_f64 v[12:13], v[12:13], -v[42:43]
	v_add_f64 v[28:29], v[28:29], -v[46:47]
	v_add_f64 v[62:63], v[54:55], v[30:31]
	v_add_f64 v[14:15], v[14:15], -v[46:47]
	v_add_f64 v[32:33], v[32:33], -v[48:49]
	v_add_f64 v[64:65], v[56:57], v[34:35]
	v_add_f64 v[16:17], v[16:17], -v[48:49]
	v_add_f64 v[38:39], v[38:39], -v[50:51]
	;; [unrolled: 1-line block ×3, first 2 shown]
	v_add_f64 v[66:67], v[58:59], v[40:41]
	v_add_f64 v[36:37], v[36:37], -v[44:45]
	v_add_f64 v[42:43], v[60:61], -v[52:53]
	;; [unrolled: 1-line block ×8, first 2 shown]
	v_add_f64 v[12:13], v[12:13], v[36:37]
	v_add_f64 v[26:27], v[26:27], -v[42:43]
	v_add_f64 v[14:15], v[14:15], v[24:25]
	v_add_f64 v[24:25], v[30:31], -v[28:29]
	;; [unrolled: 2-line block ×4, first 2 shown]
	v_add_f64 v[12:13], v[12:13], v[26:27]
	v_add_f64 v[14:15], v[14:15], v[24:25]
	;; [unrolled: 1-line block ×3, first 2 shown]
	s_delay_alu instid0(VALU_DEP_4) | instskip(NEXT) | instid1(VALU_DEP_4)
	v_add_f64 v[18:19], v[18:19], v[22:23]
	v_add_f64 v[12:13], v[60:61], v[12:13]
	s_delay_alu instid0(VALU_DEP_4) | instskip(NEXT) | instid1(VALU_DEP_4)
	v_add_f64 v[14:15], v[62:63], v[14:15]
	v_add_f64 v[16:17], v[64:65], v[16:17]
	s_delay_alu instid0(VALU_DEP_4) | instskip(NEXT) | instid1(VALU_DEP_4)
	v_add_f64 v[18:19], v[66:67], v[18:19]
	v_dual_cndmask_b32 v12, v12, v4 :: v_dual_cndmask_b32 v13, v13, v5
	v_cmp_ngt_f64_e32 vcc_lo, -1.0, v[4:5]
	v_cndmask_b32_e64 v15, v15, v7, s0
	v_cndmask_b32_e64 v14, v14, v6, s0
	s_or_b32 s0, s3, s4
	v_cndmask_b32_e64 v17, v17, v1, s1
	v_cndmask_b32_e64 v16, v16, v0, s1
	s_and_b32 s0, exec_lo, s0
	s_delay_alu instid0(SALU_CYCLE_1)
	s_or_b32 s5, s0, s5
	v_cndmask_b32_e64 v19, v19, v3, s2
	v_cndmask_b32_e64 v18, v18, v2, s2
	v_cndmask_b32_e32 v13, 0x7ff80000, v13, vcc_lo
	v_cmp_nge_f64_e32 vcc_lo, -1.0, v[4:5]
	v_cndmask_b32_e32 v12, 0, v12, vcc_lo
	v_cmp_ngt_f64_e32 vcc_lo, -1.0, v[6:7]
	v_cndmask_b32_e32 v15, 0x7ff80000, v15, vcc_lo
	v_cmp_nge_f64_e32 vcc_lo, -1.0, v[6:7]
	v_cndmask_b32_e32 v14, 0, v14, vcc_lo
	v_cmp_ngt_f64_e32 vcc_lo, -1.0, v[0:1]
	;; [unrolled: 4-line block ×3, first 2 shown]
	v_cndmask_b32_e32 v19, 0x7ff80000, v19, vcc_lo
	v_cmp_nge_f64_e32 vcc_lo, -1.0, v[2:3]
	v_cndmask_b32_e32 v18, 0, v18, vcc_lo
	v_cmp_neq_f64_e32 vcc_lo, -1.0, v[4:5]
	v_cndmask_b32_e32 v13, 0xfff00000, v13, vcc_lo
	v_cmp_neq_f64_e32 vcc_lo, -1.0, v[6:7]
	;; [unrolled: 2-line block ×4, first 2 shown]
	v_cndmask_b32_e32 v19, 0xfff00000, v19, vcc_lo
	v_add_co_u32 v8, vcc_lo, v8, s28
	v_add_co_ci_u32_e32 v9, vcc_lo, 0, v9, vcc_lo
	s_clause 0x1
	global_store_b128 v[10:11], v[12:15], off offset:-16
	global_store_b128 v[10:11], v[16:19], off
	v_add_co_u32 v10, vcc_lo, v10, s29
	v_add_co_ci_u32_e32 v11, vcc_lo, 0, v11, vcc_lo
	s_and_not1_b32 exec_lo, exec_lo, s5
	s_cbranch_execnz .LBB208_24
.LBB208_25:
	s_nop 0
	s_sendmsg sendmsg(MSG_DEALLOC_VGPRS)
	s_endpgm
	.section	.rodata,"a",@progbits
	.p2align	6, 0x0
	.amdhsa_kernel _ZN2at6native12_GLOBAL__N_125multi_tensor_apply_kernelINS1_18TensorListMetadataILi1EEENS1_14UnaryOpFunctorIdLi1ELi1ELi0EEEJNS0_5Log1pIdEEEEEvT_T0_DpT1_
		.amdhsa_group_segment_fixed_size 0
		.amdhsa_private_segment_fixed_size 0
		.amdhsa_kernarg_size 3632
		.amdhsa_user_sgpr_count 15
		.amdhsa_user_sgpr_dispatch_ptr 0
		.amdhsa_user_sgpr_queue_ptr 0
		.amdhsa_user_sgpr_kernarg_segment_ptr 1
		.amdhsa_user_sgpr_dispatch_id 0
		.amdhsa_user_sgpr_private_segment_size 0
		.amdhsa_wavefront_size32 1
		.amdhsa_uses_dynamic_stack 0
		.amdhsa_enable_private_segment 0
		.amdhsa_system_sgpr_workgroup_id_x 1
		.amdhsa_system_sgpr_workgroup_id_y 0
		.amdhsa_system_sgpr_workgroup_id_z 0
		.amdhsa_system_sgpr_workgroup_info 0
		.amdhsa_system_vgpr_workitem_id 0
		.amdhsa_next_free_vgpr 92
		.amdhsa_next_free_sgpr 41
		.amdhsa_reserve_vcc 1
		.amdhsa_float_round_mode_32 0
		.amdhsa_float_round_mode_16_64 0
		.amdhsa_float_denorm_mode_32 3
		.amdhsa_float_denorm_mode_16_64 3
		.amdhsa_dx10_clamp 1
		.amdhsa_ieee_mode 1
		.amdhsa_fp16_overflow 0
		.amdhsa_workgroup_processor_mode 1
		.amdhsa_memory_ordered 1
		.amdhsa_forward_progress 0
		.amdhsa_shared_vgpr_count 0
		.amdhsa_exception_fp_ieee_invalid_op 0
		.amdhsa_exception_fp_denorm_src 0
		.amdhsa_exception_fp_ieee_div_zero 0
		.amdhsa_exception_fp_ieee_overflow 0
		.amdhsa_exception_fp_ieee_underflow 0
		.amdhsa_exception_fp_ieee_inexact 0
		.amdhsa_exception_int_div_zero 0
	.end_amdhsa_kernel
	.section	.text._ZN2at6native12_GLOBAL__N_125multi_tensor_apply_kernelINS1_18TensorListMetadataILi1EEENS1_14UnaryOpFunctorIdLi1ELi1ELi0EEEJNS0_5Log1pIdEEEEEvT_T0_DpT1_,"axG",@progbits,_ZN2at6native12_GLOBAL__N_125multi_tensor_apply_kernelINS1_18TensorListMetadataILi1EEENS1_14UnaryOpFunctorIdLi1ELi1ELi0EEEJNS0_5Log1pIdEEEEEvT_T0_DpT1_,comdat
.Lfunc_end208:
	.size	_ZN2at6native12_GLOBAL__N_125multi_tensor_apply_kernelINS1_18TensorListMetadataILi1EEENS1_14UnaryOpFunctorIdLi1ELi1ELi0EEEJNS0_5Log1pIdEEEEEvT_T0_DpT1_, .Lfunc_end208-_ZN2at6native12_GLOBAL__N_125multi_tensor_apply_kernelINS1_18TensorListMetadataILi1EEENS1_14UnaryOpFunctorIdLi1ELi1ELi0EEEJNS0_5Log1pIdEEEEEvT_T0_DpT1_
                                        ; -- End function
	.section	.AMDGPU.csdata,"",@progbits
; Kernel info:
; codeLenInByte = 9732
; NumSgprs: 43
; NumVgprs: 92
; ScratchSize: 0
; MemoryBound: 0
; FloatMode: 240
; IeeeMode: 1
; LDSByteSize: 0 bytes/workgroup (compile time only)
; SGPRBlocks: 5
; VGPRBlocks: 11
; NumSGPRsForWavesPerEU: 43
; NumVGPRsForWavesPerEU: 92
; Occupancy: 16
; WaveLimiterHint : 0
; COMPUTE_PGM_RSRC2:SCRATCH_EN: 0
; COMPUTE_PGM_RSRC2:USER_SGPR: 15
; COMPUTE_PGM_RSRC2:TRAP_HANDLER: 0
; COMPUTE_PGM_RSRC2:TGID_X_EN: 1
; COMPUTE_PGM_RSRC2:TGID_Y_EN: 0
; COMPUTE_PGM_RSRC2:TGID_Z_EN: 0
; COMPUTE_PGM_RSRC2:TIDIG_COMP_CNT: 0
	.section	.text._ZN2at6native12_GLOBAL__N_125multi_tensor_apply_kernelINS1_18TensorListMetadataILi1EEENS1_14UnaryOpFunctorIfLi1ELi1ELi0EEEJNS0_5Log1pIfEEEEEvT_T0_DpT1_,"axG",@progbits,_ZN2at6native12_GLOBAL__N_125multi_tensor_apply_kernelINS1_18TensorListMetadataILi1EEENS1_14UnaryOpFunctorIfLi1ELi1ELi0EEEJNS0_5Log1pIfEEEEEvT_T0_DpT1_,comdat
	.globl	_ZN2at6native12_GLOBAL__N_125multi_tensor_apply_kernelINS1_18TensorListMetadataILi1EEENS1_14UnaryOpFunctorIfLi1ELi1ELi0EEEJNS0_5Log1pIfEEEEEvT_T0_DpT1_ ; -- Begin function _ZN2at6native12_GLOBAL__N_125multi_tensor_apply_kernelINS1_18TensorListMetadataILi1EEENS1_14UnaryOpFunctorIfLi1ELi1ELi0EEEJNS0_5Log1pIfEEEEEvT_T0_DpT1_
	.p2align	8
	.type	_ZN2at6native12_GLOBAL__N_125multi_tensor_apply_kernelINS1_18TensorListMetadataILi1EEENS1_14UnaryOpFunctorIfLi1ELi1ELi0EEEJNS0_5Log1pIfEEEEEvT_T0_DpT1_,@function
_ZN2at6native12_GLOBAL__N_125multi_tensor_apply_kernelINS1_18TensorListMetadataILi1EEENS1_14UnaryOpFunctorIfLi1ELi1ELi0EEEJNS0_5Log1pIfEEEEEvT_T0_DpT1_: ; @_ZN2at6native12_GLOBAL__N_125multi_tensor_apply_kernelINS1_18TensorListMetadataILi1EEENS1_14UnaryOpFunctorIfLi1ELi1ELi0EEEJNS0_5Log1pIfEEEEEvT_T0_DpT1_
; %bb.0:
	v_mov_b32_e32 v1, s15
	s_add_u32 s2, s0, s15
	s_mul_hi_u32 s3, s15, 3
	s_mul_i32 s15, s15, 3
	s_addc_u32 s4, s1, 0
	global_load_u8 v1, v1, s[0:1] offset:1760
	s_add_u32 s2, s2, s15
	s_addc_u32 s3, s4, s3
	s_mov_b32 s13, 0
	s_load_b32 s2, s[2:3], 0x820
	s_waitcnt vmcnt(0)
	v_readfirstlane_b32 s5, v1
	s_delay_alu instid0(VALU_DEP_1)
	s_lshl_b32 s3, s5, 3
	s_clause 0x1
	s_load_b64 s[8:9], s[0:1], s3 offset:0x0
	s_load_b64 s[4:5], s[0:1], s3 offset:0x370
	s_waitcnt lgkmcnt(0)
	s_ashr_i32 s3, s2, 31
	s_delay_alu instid0(SALU_CYCLE_1)
	s_lshl_b64 s[10:11], s[2:3], 18
	s_lshl_b64 s[2:3], s[2:3], 16
	s_and_b32 s12, s8, 15
	s_sub_u32 s6, s4, s2
	s_subb_u32 s7, s5, s3
	s_and_b32 s2, s4, 3
	s_mov_b32 s3, s13
	s_delay_alu instid0(SALU_CYCLE_1) | instskip(NEXT) | instid1(SALU_CYCLE_1)
	s_or_b64 s[2:3], s[12:13], s[2:3]
	s_cmp_eq_u64 s[2:3], 0
	s_cbranch_scc1 .LBB209_21
; %bb.1:
	v_cmp_lt_i64_e64 s2, s[6:7], 1
	s_delay_alu instid0(VALU_DEP_1)
	s_and_b32 vcc_lo, exec_lo, s2
	s_cbranch_vccnz .LBB209_20
; %bb.2:
	s_load_b32 s2, s[0:1], 0xd3c
	v_cmp_gt_u64_e64 s3, 0x10000, s[6:7]
	v_lshlrev_b32_e32 v1, 2, v0
	s_mov_b32 s20, 0x3e9b6dac
	s_waitcnt lgkmcnt(0)
	s_and_b32 s2, s2, 0xffff
	s_delay_alu instid0(VALU_DEP_2)
	s_and_b32 s3, s3, exec_lo
	v_add_co_u32 v5, s5, v0, s2
	s_cselect_b32 s13, s7, 0
	s_cselect_b32 s12, s6, 0x10000
	s_lshl_b32 s3, s2, 1
	s_lshl_b32 s16, s2, 2
	v_lshlrev_b32_e32 v3, 2, v5
	v_add_co_ci_u32_e64 v6, null, 0, 0, s5
	s_add_u32 s5, s8, s10
	v_add_co_u32 v9, s3, s3, v0
	s_mul_i32 s4, s2, 3
	s_addc_u32 s14, s9, s11
	v_add_co_ci_u32_e64 v10, null, 0, 0, s3
	v_add_co_u32 v1, s3, s5, v1
	v_add_co_u32 v7, s4, s4, v0
	v_add_co_ci_u32_e64 v2, null, s14, 0, s3
	v_add_co_u32 v3, s3, s5, v3
	v_add_co_ci_u32_e64 v8, null, 0, 0, s4
	v_add_co_ci_u32_e64 v4, null, s14, 0, s3
	s_mul_i32 s17, s2, 12
	s_lshl_b32 s18, s2, 4
	s_lshl_b32 s19, s2, 3
	s_mov_b64 s[14:15], 0
	s_branch .LBB209_4
.LBB209_3:                              ;   in Loop: Header=BB209_4 Depth=1
	s_or_b32 exec_lo, exec_lo, s2
	s_add_u32 s14, s14, s16
	s_addc_u32 s15, s15, 0
	v_add_co_u32 v1, vcc_lo, v1, s18
	v_cmp_lt_i64_e64 s2, s[14:15], s[6:7]
	v_cmp_gt_u64_e64 s3, 0x10000, s[14:15]
	v_add_co_ci_u32_e32 v2, vcc_lo, 0, v2, vcc_lo
	v_add_co_u32 v3, vcc_lo, v3, s18
	v_add_co_ci_u32_e32 v4, vcc_lo, 0, v4, vcc_lo
	s_delay_alu instid0(VALU_DEP_4) | instskip(NEXT) | instid1(SALU_CYCLE_1)
	s_and_b32 s2, s2, s3
	s_and_b32 vcc_lo, exec_lo, s2
	s_cbranch_vccz .LBB209_20
.LBB209_4:                              ; =>This Inner Loop Header: Depth=1
	s_waitcnt vmcnt(0)
	v_add_co_u32 v11, s2, v0, s14
	s_delay_alu instid0(VALU_DEP_1) | instskip(SKIP_1) | instid1(VALU_DEP_2)
	v_add_co_ci_u32_e64 v12, null, 0, s15, s2
	v_mov_b32_e32 v14, 0
	v_cmp_gt_u64_e64 s4, s[12:13], v[11:12]
	s_delay_alu instid0(VALU_DEP_1)
	s_and_saveexec_b32 s2, s4
	s_cbranch_execz .LBB209_6
; %bb.5:                                ;   in Loop: Header=BB209_4 Depth=1
	global_load_b32 v14, v[1:2], off
.LBB209_6:                              ;   in Loop: Header=BB209_4 Depth=1
	s_or_b32 exec_lo, exec_lo, s2
	v_add_co_u32 v11, vcc_lo, v5, s14
	v_add_co_ci_u32_e32 v12, vcc_lo, s15, v6, vcc_lo
	v_mov_b32_e32 v13, 0
	s_delay_alu instid0(VALU_DEP_2) | instskip(NEXT) | instid1(VALU_DEP_1)
	v_cmp_gt_u64_e64 s3, s[12:13], v[11:12]
	s_and_saveexec_b32 s2, s3
	s_cbranch_execz .LBB209_8
; %bb.7:                                ;   in Loop: Header=BB209_4 Depth=1
	global_load_b32 v13, v[3:4], off
.LBB209_8:                              ;   in Loop: Header=BB209_4 Depth=1
	s_or_b32 exec_lo, exec_lo, s2
	v_add_co_u32 v11, vcc_lo, v9, s14
	v_add_co_ci_u32_e32 v12, vcc_lo, s15, v10, vcc_lo
	s_delay_alu instid0(VALU_DEP_1) | instskip(SKIP_1) | instid1(VALU_DEP_2)
	v_cmp_gt_u64_e64 s2, s[12:13], v[11:12]
	v_dual_mov_b32 v11, 0 :: v_dual_mov_b32 v12, 0
	s_and_saveexec_b32 s5, s2
	s_cbranch_execz .LBB209_10
; %bb.9:                                ;   in Loop: Header=BB209_4 Depth=1
	v_add_co_u32 v15, vcc_lo, v1, s19
	v_add_co_ci_u32_e32 v16, vcc_lo, 0, v2, vcc_lo
	global_load_b32 v12, v[15:16], off
.LBB209_10:                             ;   in Loop: Header=BB209_4 Depth=1
	s_or_b32 exec_lo, exec_lo, s5
	v_add_co_u32 v15, vcc_lo, v7, s14
	v_add_co_ci_u32_e32 v16, vcc_lo, s15, v8, vcc_lo
	s_delay_alu instid0(VALU_DEP_1)
	v_cmp_gt_u64_e32 vcc_lo, s[12:13], v[15:16]
	s_and_saveexec_b32 s21, vcc_lo
	s_cbranch_execnz .LBB209_15
; %bb.11:                               ;   in Loop: Header=BB209_4 Depth=1
	s_or_b32 exec_lo, exec_lo, s21
	s_and_saveexec_b32 s5, s4
	s_cbranch_execnz .LBB209_16
.LBB209_12:                             ;   in Loop: Header=BB209_4 Depth=1
	s_or_b32 exec_lo, exec_lo, s5
	s_and_saveexec_b32 s4, s3
	s_cbranch_execnz .LBB209_17
.LBB209_13:                             ;   in Loop: Header=BB209_4 Depth=1
	s_or_b32 exec_lo, exec_lo, s4
	s_and_saveexec_b32 s3, s2
	s_cbranch_execnz .LBB209_18
.LBB209_14:                             ;   in Loop: Header=BB209_4 Depth=1
	s_or_b32 exec_lo, exec_lo, s3
	s_and_saveexec_b32 s2, vcc_lo
	s_cbranch_execz .LBB209_3
	s_branch .LBB209_19
.LBB209_15:                             ;   in Loop: Header=BB209_4 Depth=1
	v_add_co_u32 v15, s5, v1, s17
	s_delay_alu instid0(VALU_DEP_1)
	v_add_co_ci_u32_e64 v16, s5, 0, v2, s5
	global_load_b32 v11, v[15:16], off
	s_or_b32 exec_lo, exec_lo, s21
	s_and_saveexec_b32 s5, s4
	s_cbranch_execz .LBB209_12
.LBB209_16:                             ;   in Loop: Header=BB209_4 Depth=1
	s_waitcnt vmcnt(0)
	v_add_f32_e32 v17, 1.0, v14
	s_delay_alu instid0(VALU_DEP_1) | instskip(NEXT) | instid1(VALU_DEP_1)
	v_cvt_f64_f32_e32 v[15:16], v17
	v_frexp_exp_i32_f64_e32 v15, v[15:16]
	v_frexp_mant_f32_e32 v16, v17
	s_delay_alu instid0(VALU_DEP_1) | instskip(SKIP_1) | instid1(VALU_DEP_1)
	v_cmp_gt_f32_e64 s4, 0x3f2aaaab, v16
	v_add_f32_e32 v16, -1.0, v17
	v_sub_f32_e32 v19, v16, v17
	s_delay_alu instid0(VALU_DEP_1) | instskip(NEXT) | instid1(VALU_DEP_4)
	v_dual_add_f32 v19, 1.0, v19 :: v_dual_sub_f32 v16, v14, v16
	v_subrev_co_ci_u32_e64 v15, s4, 0, v15, s4
	v_cmp_eq_f32_e64 s4, 0x7f800000, v14
	s_delay_alu instid0(VALU_DEP_2) | instskip(SKIP_1) | instid1(VALU_DEP_2)
	v_sub_nc_u32_e32 v18, 0, v15
	v_cvt_f32_i32_e32 v15, v15
	v_ldexp_f32 v17, v17, v18
	s_delay_alu instid0(VALU_DEP_1) | instskip(NEXT) | instid1(VALU_DEP_1)
	v_add_f32_e32 v20, 1.0, v17
	v_dual_add_f32 v16, v16, v19 :: v_dual_add_f32 v19, -1.0, v20
	v_add_f32_e32 v21, -1.0, v17
	s_delay_alu instid0(VALU_DEP_2) | instskip(NEXT) | instid1(VALU_DEP_2)
	v_ldexp_f32 v16, v16, v18
	v_dual_sub_f32 v18, v17, v19 :: v_dual_add_f32 v19, 1.0, v21
	s_delay_alu instid0(VALU_DEP_1) | instskip(NEXT) | instid1(VALU_DEP_1)
	v_dual_add_f32 v18, v16, v18 :: v_dual_sub_f32 v17, v17, v19
	v_add_f32_e32 v19, v20, v18
	s_delay_alu instid0(VALU_DEP_2) | instskip(NEXT) | instid1(VALU_DEP_1)
	v_add_f32_e32 v16, v16, v17
	v_add_f32_e32 v22, v21, v16
	s_delay_alu instid0(VALU_DEP_1) | instskip(NEXT) | instid1(VALU_DEP_1)
	v_dual_sub_f32 v20, v19, v20 :: v_dual_sub_f32 v21, v22, v21
	v_sub_f32_e32 v18, v18, v20
	v_rcp_f32_e32 v17, v19
	s_waitcnt_depctr 0xfff
	v_mul_f32_e32 v23, v22, v17
	s_delay_alu instid0(VALU_DEP_1) | instskip(NEXT) | instid1(VALU_DEP_1)
	v_mul_f32_e32 v24, v19, v23
	v_fma_f32 v20, v23, v19, -v24
	s_delay_alu instid0(VALU_DEP_1) | instskip(NEXT) | instid1(VALU_DEP_1)
	v_fmac_f32_e32 v20, v23, v18
	v_add_f32_e32 v25, v24, v20
	s_delay_alu instid0(VALU_DEP_1) | instskip(SKIP_1) | instid1(VALU_DEP_2)
	v_sub_f32_e32 v26, v22, v25
	v_sub_f32_e32 v16, v16, v21
	;; [unrolled: 1-line block ×3, first 2 shown]
	s_delay_alu instid0(VALU_DEP_1) | instskip(NEXT) | instid1(VALU_DEP_1)
	v_dual_sub_f32 v21, v22, v25 :: v_dual_sub_f32 v24, v25, v24
	v_add_f32_e32 v16, v16, v21
	s_delay_alu instid0(VALU_DEP_2) | instskip(NEXT) | instid1(VALU_DEP_1)
	v_sub_f32_e32 v20, v24, v20
	v_add_f32_e32 v16, v20, v16
	s_delay_alu instid0(VALU_DEP_1) | instskip(NEXT) | instid1(VALU_DEP_1)
	v_add_f32_e32 v20, v26, v16
	v_mul_f32_e32 v21, v17, v20
	s_delay_alu instid0(VALU_DEP_1) | instskip(NEXT) | instid1(VALU_DEP_1)
	v_mul_f32_e32 v22, v19, v21
	v_fma_f32 v19, v21, v19, -v22
	s_delay_alu instid0(VALU_DEP_1) | instskip(SKIP_1) | instid1(VALU_DEP_2)
	v_fmac_f32_e32 v19, v21, v18
	v_sub_f32_e32 v25, v26, v20
	v_add_f32_e32 v18, v22, v19
	s_delay_alu instid0(VALU_DEP_2) | instskip(NEXT) | instid1(VALU_DEP_2)
	v_add_f32_e32 v16, v16, v25
	v_sub_f32_e32 v24, v20, v18
	v_sub_f32_e32 v22, v18, v22
	s_delay_alu instid0(VALU_DEP_1) | instskip(NEXT) | instid1(VALU_DEP_1)
	v_dual_sub_f32 v20, v20, v24 :: v_dual_sub_f32 v19, v22, v19
	v_sub_f32_e32 v18, v20, v18
	s_delay_alu instid0(VALU_DEP_1) | instskip(SKIP_1) | instid1(VALU_DEP_1)
	v_add_f32_e32 v16, v16, v18
	v_add_f32_e32 v18, v23, v21
	v_dual_add_f32 v16, v19, v16 :: v_dual_sub_f32 v19, v18, v23
	s_delay_alu instid0(VALU_DEP_1) | instskip(NEXT) | instid1(VALU_DEP_1)
	v_dual_add_f32 v16, v24, v16 :: v_dual_sub_f32 v19, v21, v19
	v_mul_f32_e32 v16, v17, v16
	s_delay_alu instid0(VALU_DEP_1) | instskip(NEXT) | instid1(VALU_DEP_1)
	v_add_f32_e32 v16, v19, v16
	v_add_f32_e32 v17, v18, v16
	s_delay_alu instid0(VALU_DEP_1) | instskip(NEXT) | instid1(VALU_DEP_1)
	v_mul_f32_e32 v19, v17, v17
	v_fmaak_f32 v20, s20, v19, 0x3ecc95a3
	v_mul_f32_e32 v21, v17, v19
	s_delay_alu instid0(VALU_DEP_2) | instskip(SKIP_2) | instid1(VALU_DEP_3)
	v_fmaak_f32 v19, v19, v20, 0x3f2aaada
	v_ldexp_f32 v20, v17, 1
	v_sub_f32_e32 v17, v17, v18
	v_mul_f32_e32 v19, v21, v19
	s_delay_alu instid0(VALU_DEP_2) | instskip(NEXT) | instid1(VALU_DEP_2)
	v_dual_mul_f32 v21, 0x3f317218, v15 :: v_dual_sub_f32 v16, v16, v17
	v_add_f32_e32 v18, v20, v19
	s_delay_alu instid0(VALU_DEP_2) | instskip(NEXT) | instid1(VALU_DEP_2)
	v_ldexp_f32 v16, v16, 1
	v_sub_f32_e32 v17, v18, v20
	s_delay_alu instid0(VALU_DEP_4) | instskip(NEXT) | instid1(VALU_DEP_1)
	v_fma_f32 v20, 0x3f317218, v15, -v21
	v_dual_sub_f32 v17, v19, v17 :: v_dual_fmac_f32 v20, 0xb102e308, v15
	s_delay_alu instid0(VALU_DEP_1) | instskip(NEXT) | instid1(VALU_DEP_1)
	v_add_f32_e32 v15, v16, v17
	v_add_f32_e32 v17, v18, v15
	s_delay_alu instid0(VALU_DEP_1) | instskip(NEXT) | instid1(VALU_DEP_1)
	v_sub_f32_e32 v18, v17, v18
	v_dual_sub_f32 v15, v15, v18 :: v_dual_add_f32 v16, v21, v20
	s_delay_alu instid0(VALU_DEP_1) | instskip(NEXT) | instid1(VALU_DEP_1)
	v_add_f32_e32 v19, v16, v17
	v_dual_sub_f32 v21, v16, v21 :: v_dual_sub_f32 v22, v19, v16
	s_delay_alu instid0(VALU_DEP_1) | instskip(NEXT) | instid1(VALU_DEP_1)
	v_dual_sub_f32 v20, v20, v21 :: v_dual_sub_f32 v23, v19, v22
	v_dual_sub_f32 v17, v17, v22 :: v_dual_add_f32 v18, v20, v15
	s_delay_alu instid0(VALU_DEP_2) | instskip(NEXT) | instid1(VALU_DEP_1)
	v_sub_f32_e32 v16, v16, v23
	v_add_f32_e32 v16, v17, v16
	s_delay_alu instid0(VALU_DEP_3) | instskip(NEXT) | instid1(VALU_DEP_2)
	v_sub_f32_e32 v17, v18, v20
	v_add_f32_e32 v16, v18, v16
	s_delay_alu instid0(VALU_DEP_2) | instskip(SKIP_1) | instid1(VALU_DEP_3)
	v_sub_f32_e32 v18, v18, v17
	v_sub_f32_e32 v15, v15, v17
	v_add_f32_e32 v21, v19, v16
	s_delay_alu instid0(VALU_DEP_1) | instskip(NEXT) | instid1(VALU_DEP_1)
	v_dual_sub_f32 v17, v20, v18 :: v_dual_sub_f32 v18, v21, v19
	v_dual_add_f32 v15, v15, v17 :: v_dual_sub_f32 v16, v16, v18
	s_delay_alu instid0(VALU_DEP_1) | instskip(NEXT) | instid1(VALU_DEP_1)
	v_add_f32_e32 v15, v15, v16
	v_add_f32_e32 v15, v21, v15
	s_delay_alu instid0(VALU_DEP_1) | instskip(SKIP_1) | instid1(VALU_DEP_1)
	v_cndmask_b32_e64 v15, v15, v14, s4
	v_cmp_ngt_f32_e64 s4, -1.0, v14
	v_cndmask_b32_e64 v15, 0x7fc00000, v15, s4
	v_cmp_neq_f32_e64 s4, -1.0, v14
	s_delay_alu instid0(VALU_DEP_1) | instskip(SKIP_1) | instid1(VALU_DEP_1)
	v_cndmask_b32_e64 v15, 0xff800000, v15, s4
	v_cmp_gt_f32_e64 s4, 0x33800000, |v14|
	v_cndmask_b32_e64 v14, v15, v14, s4
	global_store_b32 v[1:2], v14, off
	s_or_b32 exec_lo, exec_lo, s5
	s_and_saveexec_b32 s4, s3
	s_cbranch_execz .LBB209_13
.LBB209_17:                             ;   in Loop: Header=BB209_4 Depth=1
	s_waitcnt vmcnt(0)
	v_add_f32_e32 v16, 1.0, v13
	s_delay_alu instid0(VALU_DEP_1) | instskip(NEXT) | instid1(VALU_DEP_1)
	v_cvt_f64_f32_e32 v[14:15], v16
	v_frexp_exp_i32_f64_e32 v14, v[14:15]
	v_frexp_mant_f32_e32 v15, v16
	s_delay_alu instid0(VALU_DEP_1) | instskip(SKIP_1) | instid1(VALU_DEP_1)
	v_cmp_gt_f32_e64 s3, 0x3f2aaaab, v15
	v_add_f32_e32 v15, -1.0, v16
	v_sub_f32_e32 v18, v15, v16
	s_delay_alu instid0(VALU_DEP_1) | instskip(NEXT) | instid1(VALU_DEP_4)
	v_dual_add_f32 v18, 1.0, v18 :: v_dual_sub_f32 v15, v13, v15
	v_subrev_co_ci_u32_e64 v14, s3, 0, v14, s3
	v_cmp_eq_f32_e64 s3, 0x7f800000, v13
	s_delay_alu instid0(VALU_DEP_2) | instskip(SKIP_1) | instid1(VALU_DEP_2)
	v_sub_nc_u32_e32 v17, 0, v14
	v_cvt_f32_i32_e32 v14, v14
	v_ldexp_f32 v16, v16, v17
	s_delay_alu instid0(VALU_DEP_1) | instskip(NEXT) | instid1(VALU_DEP_1)
	v_add_f32_e32 v19, 1.0, v16
	v_dual_add_f32 v15, v15, v18 :: v_dual_add_f32 v18, -1.0, v19
	s_delay_alu instid0(VALU_DEP_1) | instskip(NEXT) | instid1(VALU_DEP_2)
	v_ldexp_f32 v15, v15, v17
	v_dual_sub_f32 v18, v16, v18 :: v_dual_add_f32 v17, -1.0, v16
	s_delay_alu instid0(VALU_DEP_1) | instskip(NEXT) | instid1(VALU_DEP_2)
	v_add_f32_e32 v18, v15, v18
	v_add_f32_e32 v20, 1.0, v17
	s_delay_alu instid0(VALU_DEP_1) | instskip(NEXT) | instid1(VALU_DEP_1)
	v_sub_f32_e32 v16, v16, v20
	v_add_f32_e32 v15, v15, v16
	s_delay_alu instid0(VALU_DEP_1) | instskip(NEXT) | instid1(VALU_DEP_1)
	v_dual_add_f32 v21, v17, v15 :: v_dual_add_f32 v20, v19, v18
	v_sub_f32_e32 v17, v21, v17
	s_delay_alu instid0(VALU_DEP_2) | instskip(SKIP_1) | instid1(VALU_DEP_1)
	v_rcp_f32_e32 v16, v20
	v_sub_f32_e32 v19, v20, v19
	v_dual_sub_f32 v15, v15, v17 :: v_dual_sub_f32 v18, v18, v19
	s_waitcnt_depctr 0xfff
	v_mul_f32_e32 v22, v21, v16
	s_delay_alu instid0(VALU_DEP_1) | instskip(NEXT) | instid1(VALU_DEP_1)
	v_mul_f32_e32 v23, v20, v22
	v_fma_f32 v19, v22, v20, -v23
	s_delay_alu instid0(VALU_DEP_1) | instskip(NEXT) | instid1(VALU_DEP_1)
	v_fmac_f32_e32 v19, v22, v18
	v_add_f32_e32 v24, v23, v19
	s_delay_alu instid0(VALU_DEP_1) | instskip(SKIP_1) | instid1(VALU_DEP_2)
	v_sub_f32_e32 v25, v21, v24
	v_sub_f32_e32 v17, v24, v23
	;; [unrolled: 1-line block ×3, first 2 shown]
	s_delay_alu instid0(VALU_DEP_2) | instskip(NEXT) | instid1(VALU_DEP_2)
	v_sub_f32_e32 v17, v17, v19
	v_sub_f32_e32 v21, v21, v24
	s_delay_alu instid0(VALU_DEP_1) | instskip(NEXT) | instid1(VALU_DEP_1)
	v_add_f32_e32 v15, v15, v21
	v_add_f32_e32 v15, v17, v15
	s_delay_alu instid0(VALU_DEP_1) | instskip(NEXT) | instid1(VALU_DEP_1)
	v_add_f32_e32 v17, v25, v15
	v_mul_f32_e32 v19, v16, v17
	s_delay_alu instid0(VALU_DEP_1) | instskip(NEXT) | instid1(VALU_DEP_1)
	v_dual_sub_f32 v24, v25, v17 :: v_dual_mul_f32 v21, v20, v19
	v_add_f32_e32 v15, v15, v24
	s_delay_alu instid0(VALU_DEP_2) | instskip(NEXT) | instid1(VALU_DEP_1)
	v_fma_f32 v20, v19, v20, -v21
	v_fmac_f32_e32 v20, v19, v18
	s_delay_alu instid0(VALU_DEP_1) | instskip(NEXT) | instid1(VALU_DEP_1)
	v_add_f32_e32 v18, v21, v20
	v_sub_f32_e32 v23, v17, v18
	v_sub_f32_e32 v21, v18, v21
	s_delay_alu instid0(VALU_DEP_2) | instskip(NEXT) | instid1(VALU_DEP_1)
	v_sub_f32_e32 v17, v17, v23
	v_sub_f32_e32 v17, v17, v18
	s_delay_alu instid0(VALU_DEP_1) | instskip(SKIP_1) | instid1(VALU_DEP_1)
	v_dual_sub_f32 v18, v21, v20 :: v_dual_add_f32 v15, v15, v17
	v_add_f32_e32 v17, v22, v19
	v_dual_add_f32 v15, v18, v15 :: v_dual_sub_f32 v18, v17, v22
	s_delay_alu instid0(VALU_DEP_1) | instskip(NEXT) | instid1(VALU_DEP_1)
	v_add_f32_e32 v15, v23, v15
	v_dual_sub_f32 v18, v19, v18 :: v_dual_mul_f32 v15, v16, v15
	s_delay_alu instid0(VALU_DEP_1) | instskip(NEXT) | instid1(VALU_DEP_1)
	v_add_f32_e32 v15, v18, v15
	v_add_f32_e32 v16, v17, v15
	s_delay_alu instid0(VALU_DEP_1) | instskip(NEXT) | instid1(VALU_DEP_1)
	v_mul_f32_e32 v18, v16, v16
	v_fmaak_f32 v19, s20, v18, 0x3ecc95a3
	v_mul_f32_e32 v20, v16, v18
	s_delay_alu instid0(VALU_DEP_2) | instskip(SKIP_2) | instid1(VALU_DEP_3)
	v_fmaak_f32 v18, v18, v19, 0x3f2aaada
	v_ldexp_f32 v19, v16, 1
	v_sub_f32_e32 v16, v16, v17
	v_mul_f32_e32 v18, v20, v18
	s_delay_alu instid0(VALU_DEP_2) | instskip(NEXT) | instid1(VALU_DEP_2)
	v_dual_mul_f32 v20, 0x3f317218, v14 :: v_dual_sub_f32 v15, v15, v16
	v_add_f32_e32 v17, v19, v18
	s_delay_alu instid0(VALU_DEP_2) | instskip(NEXT) | instid1(VALU_DEP_2)
	v_ldexp_f32 v15, v15, 1
	v_sub_f32_e32 v16, v17, v19
	s_delay_alu instid0(VALU_DEP_4) | instskip(NEXT) | instid1(VALU_DEP_1)
	v_fma_f32 v19, 0x3f317218, v14, -v20
	v_dual_sub_f32 v16, v18, v16 :: v_dual_fmac_f32 v19, 0xb102e308, v14
	s_delay_alu instid0(VALU_DEP_1) | instskip(NEXT) | instid1(VALU_DEP_1)
	v_add_f32_e32 v14, v15, v16
	v_add_f32_e32 v16, v17, v14
	s_delay_alu instid0(VALU_DEP_1) | instskip(NEXT) | instid1(VALU_DEP_1)
	v_sub_f32_e32 v17, v16, v17
	v_dual_sub_f32 v14, v14, v17 :: v_dual_add_f32 v15, v20, v19
	s_delay_alu instid0(VALU_DEP_1) | instskip(NEXT) | instid1(VALU_DEP_1)
	v_add_f32_e32 v18, v15, v16
	v_dual_sub_f32 v20, v15, v20 :: v_dual_sub_f32 v21, v18, v15
	s_delay_alu instid0(VALU_DEP_1) | instskip(NEXT) | instid1(VALU_DEP_1)
	v_dual_sub_f32 v19, v19, v20 :: v_dual_sub_f32 v22, v18, v21
	v_dual_sub_f32 v16, v16, v21 :: v_dual_add_f32 v17, v19, v14
	s_delay_alu instid0(VALU_DEP_2) | instskip(NEXT) | instid1(VALU_DEP_1)
	v_sub_f32_e32 v15, v15, v22
	v_add_f32_e32 v15, v16, v15
	s_delay_alu instid0(VALU_DEP_3) | instskip(NEXT) | instid1(VALU_DEP_2)
	v_sub_f32_e32 v16, v17, v19
	v_add_f32_e32 v15, v17, v15
	s_delay_alu instid0(VALU_DEP_2) | instskip(SKIP_1) | instid1(VALU_DEP_2)
	v_sub_f32_e32 v17, v17, v16
	v_sub_f32_e32 v14, v14, v16
	v_dual_add_f32 v20, v18, v15 :: v_dual_sub_f32 v17, v19, v17
	s_delay_alu instid0(VALU_DEP_1) | instskip(NEXT) | instid1(VALU_DEP_1)
	v_sub_f32_e32 v16, v20, v18
	v_dual_add_f32 v14, v14, v17 :: v_dual_sub_f32 v15, v15, v16
	s_delay_alu instid0(VALU_DEP_1) | instskip(NEXT) | instid1(VALU_DEP_1)
	v_add_f32_e32 v14, v14, v15
	v_add_f32_e32 v14, v20, v14
	s_delay_alu instid0(VALU_DEP_1) | instskip(SKIP_1) | instid1(VALU_DEP_1)
	v_cndmask_b32_e64 v14, v14, v13, s3
	v_cmp_ngt_f32_e64 s3, -1.0, v13
	v_cndmask_b32_e64 v14, 0x7fc00000, v14, s3
	v_cmp_neq_f32_e64 s3, -1.0, v13
	s_delay_alu instid0(VALU_DEP_1) | instskip(SKIP_1) | instid1(VALU_DEP_1)
	v_cndmask_b32_e64 v14, 0xff800000, v14, s3
	v_cmp_gt_f32_e64 s3, 0x33800000, |v13|
	v_cndmask_b32_e64 v13, v14, v13, s3
	global_store_b32 v[3:4], v13, off
	s_or_b32 exec_lo, exec_lo, s4
	s_and_saveexec_b32 s3, s2
	s_cbranch_execz .LBB209_14
.LBB209_18:                             ;   in Loop: Header=BB209_4 Depth=1
	s_waitcnt vmcnt(0)
	v_add_f32_e32 v15, 1.0, v12
	s_delay_alu instid0(VALU_DEP_1) | instskip(NEXT) | instid1(VALU_DEP_1)
	v_cvt_f64_f32_e32 v[13:14], v15
	v_frexp_exp_i32_f64_e32 v13, v[13:14]
	v_frexp_mant_f32_e32 v14, v15
	s_delay_alu instid0(VALU_DEP_1) | instskip(SKIP_1) | instid1(VALU_DEP_1)
	v_cmp_gt_f32_e64 s2, 0x3f2aaaab, v14
	v_add_f32_e32 v14, -1.0, v15
	v_sub_f32_e32 v17, v14, v15
	s_delay_alu instid0(VALU_DEP_1) | instskip(NEXT) | instid1(VALU_DEP_4)
	v_dual_add_f32 v17, 1.0, v17 :: v_dual_sub_f32 v14, v12, v14
	v_subrev_co_ci_u32_e64 v13, s2, 0, v13, s2
	v_cmp_eq_f32_e64 s2, 0x7f800000, v12
	s_delay_alu instid0(VALU_DEP_2) | instskip(SKIP_1) | instid1(VALU_DEP_2)
	v_sub_nc_u32_e32 v16, 0, v13
	v_cvt_f32_i32_e32 v13, v13
	v_ldexp_f32 v15, v15, v16
	s_delay_alu instid0(VALU_DEP_1) | instskip(NEXT) | instid1(VALU_DEP_1)
	v_add_f32_e32 v18, 1.0, v15
	v_dual_add_f32 v14, v14, v17 :: v_dual_add_f32 v17, -1.0, v18
	s_delay_alu instid0(VALU_DEP_1) | instskip(NEXT) | instid1(VALU_DEP_2)
	v_ldexp_f32 v14, v14, v16
	v_dual_sub_f32 v17, v15, v17 :: v_dual_add_f32 v16, -1.0, v15
	s_delay_alu instid0(VALU_DEP_1) | instskip(NEXT) | instid1(VALU_DEP_2)
	v_add_f32_e32 v17, v14, v17
	v_add_f32_e32 v19, 1.0, v16
	s_delay_alu instid0(VALU_DEP_1) | instskip(NEXT) | instid1(VALU_DEP_1)
	v_sub_f32_e32 v15, v15, v19
	v_add_f32_e32 v14, v14, v15
	s_delay_alu instid0(VALU_DEP_1) | instskip(NEXT) | instid1(VALU_DEP_1)
	v_dual_add_f32 v20, v16, v14 :: v_dual_add_f32 v19, v18, v17
	v_sub_f32_e32 v16, v20, v16
	s_delay_alu instid0(VALU_DEP_2) | instskip(SKIP_1) | instid1(VALU_DEP_1)
	v_rcp_f32_e32 v15, v19
	v_sub_f32_e32 v18, v19, v18
	v_dual_sub_f32 v14, v14, v16 :: v_dual_sub_f32 v17, v17, v18
	s_waitcnt_depctr 0xfff
	v_mul_f32_e32 v21, v20, v15
	s_delay_alu instid0(VALU_DEP_1) | instskip(NEXT) | instid1(VALU_DEP_1)
	v_mul_f32_e32 v22, v19, v21
	v_fma_f32 v18, v21, v19, -v22
	s_delay_alu instid0(VALU_DEP_1) | instskip(NEXT) | instid1(VALU_DEP_1)
	v_fmac_f32_e32 v18, v21, v17
	v_add_f32_e32 v23, v22, v18
	s_delay_alu instid0(VALU_DEP_1) | instskip(SKIP_1) | instid1(VALU_DEP_2)
	v_sub_f32_e32 v24, v20, v23
	v_sub_f32_e32 v16, v23, v22
	;; [unrolled: 1-line block ×3, first 2 shown]
	s_delay_alu instid0(VALU_DEP_2) | instskip(NEXT) | instid1(VALU_DEP_2)
	v_sub_f32_e32 v16, v16, v18
	v_sub_f32_e32 v20, v20, v23
	s_delay_alu instid0(VALU_DEP_1) | instskip(NEXT) | instid1(VALU_DEP_1)
	v_add_f32_e32 v14, v14, v20
	v_add_f32_e32 v14, v16, v14
	s_delay_alu instid0(VALU_DEP_1) | instskip(NEXT) | instid1(VALU_DEP_1)
	v_add_f32_e32 v16, v24, v14
	v_mul_f32_e32 v18, v15, v16
	s_delay_alu instid0(VALU_DEP_1) | instskip(NEXT) | instid1(VALU_DEP_1)
	v_dual_sub_f32 v23, v24, v16 :: v_dual_mul_f32 v20, v19, v18
	v_add_f32_e32 v14, v14, v23
	s_delay_alu instid0(VALU_DEP_2) | instskip(NEXT) | instid1(VALU_DEP_1)
	v_fma_f32 v19, v18, v19, -v20
	v_fmac_f32_e32 v19, v18, v17
	s_delay_alu instid0(VALU_DEP_1) | instskip(NEXT) | instid1(VALU_DEP_1)
	v_add_f32_e32 v17, v20, v19
	v_sub_f32_e32 v22, v16, v17
	v_sub_f32_e32 v20, v17, v20
	s_delay_alu instid0(VALU_DEP_2) | instskip(NEXT) | instid1(VALU_DEP_1)
	v_sub_f32_e32 v16, v16, v22
	v_sub_f32_e32 v16, v16, v17
	s_delay_alu instid0(VALU_DEP_1) | instskip(SKIP_1) | instid1(VALU_DEP_1)
	v_dual_sub_f32 v17, v20, v19 :: v_dual_add_f32 v14, v14, v16
	v_add_f32_e32 v16, v21, v18
	v_dual_add_f32 v14, v17, v14 :: v_dual_sub_f32 v17, v16, v21
	s_delay_alu instid0(VALU_DEP_1) | instskip(NEXT) | instid1(VALU_DEP_1)
	v_add_f32_e32 v14, v22, v14
	v_dual_sub_f32 v17, v18, v17 :: v_dual_mul_f32 v14, v15, v14
	s_delay_alu instid0(VALU_DEP_1) | instskip(NEXT) | instid1(VALU_DEP_1)
	v_add_f32_e32 v14, v17, v14
	v_add_f32_e32 v15, v16, v14
	s_delay_alu instid0(VALU_DEP_1) | instskip(NEXT) | instid1(VALU_DEP_1)
	v_mul_f32_e32 v17, v15, v15
	v_fmaak_f32 v18, s20, v17, 0x3ecc95a3
	v_mul_f32_e32 v19, v15, v17
	s_delay_alu instid0(VALU_DEP_2) | instskip(SKIP_2) | instid1(VALU_DEP_3)
	v_fmaak_f32 v17, v17, v18, 0x3f2aaada
	v_ldexp_f32 v18, v15, 1
	v_sub_f32_e32 v15, v15, v16
	v_mul_f32_e32 v17, v19, v17
	s_delay_alu instid0(VALU_DEP_2) | instskip(NEXT) | instid1(VALU_DEP_2)
	v_dual_mul_f32 v19, 0x3f317218, v13 :: v_dual_sub_f32 v14, v14, v15
	v_add_f32_e32 v16, v18, v17
	s_delay_alu instid0(VALU_DEP_2) | instskip(NEXT) | instid1(VALU_DEP_2)
	v_ldexp_f32 v14, v14, 1
	v_sub_f32_e32 v15, v16, v18
	s_delay_alu instid0(VALU_DEP_4) | instskip(NEXT) | instid1(VALU_DEP_1)
	v_fma_f32 v18, 0x3f317218, v13, -v19
	v_dual_sub_f32 v15, v17, v15 :: v_dual_fmac_f32 v18, 0xb102e308, v13
	s_delay_alu instid0(VALU_DEP_1) | instskip(NEXT) | instid1(VALU_DEP_1)
	v_add_f32_e32 v13, v14, v15
	v_add_f32_e32 v15, v16, v13
	s_delay_alu instid0(VALU_DEP_1) | instskip(NEXT) | instid1(VALU_DEP_1)
	v_sub_f32_e32 v16, v15, v16
	v_dual_sub_f32 v13, v13, v16 :: v_dual_add_f32 v14, v19, v18
	s_delay_alu instid0(VALU_DEP_1) | instskip(NEXT) | instid1(VALU_DEP_1)
	v_add_f32_e32 v17, v14, v15
	v_dual_sub_f32 v19, v14, v19 :: v_dual_sub_f32 v20, v17, v14
	s_delay_alu instid0(VALU_DEP_1) | instskip(NEXT) | instid1(VALU_DEP_1)
	v_dual_sub_f32 v18, v18, v19 :: v_dual_sub_f32 v21, v17, v20
	v_dual_sub_f32 v15, v15, v20 :: v_dual_add_f32 v16, v18, v13
	s_delay_alu instid0(VALU_DEP_2) | instskip(NEXT) | instid1(VALU_DEP_1)
	v_sub_f32_e32 v14, v14, v21
	v_add_f32_e32 v14, v15, v14
	s_delay_alu instid0(VALU_DEP_3) | instskip(NEXT) | instid1(VALU_DEP_2)
	v_sub_f32_e32 v15, v16, v18
	v_add_f32_e32 v14, v16, v14
	s_delay_alu instid0(VALU_DEP_2) | instskip(SKIP_1) | instid1(VALU_DEP_3)
	v_sub_f32_e32 v16, v16, v15
	v_sub_f32_e32 v13, v13, v15
	v_add_f32_e32 v19, v17, v14
	s_delay_alu instid0(VALU_DEP_1) | instskip(NEXT) | instid1(VALU_DEP_1)
	v_dual_sub_f32 v15, v18, v16 :: v_dual_sub_f32 v16, v19, v17
	v_dual_add_f32 v13, v13, v15 :: v_dual_sub_f32 v14, v14, v16
	s_delay_alu instid0(VALU_DEP_1) | instskip(NEXT) | instid1(VALU_DEP_1)
	v_add_f32_e32 v13, v13, v14
	v_add_f32_e32 v13, v19, v13
	s_delay_alu instid0(VALU_DEP_1) | instskip(SKIP_1) | instid1(VALU_DEP_1)
	v_cndmask_b32_e64 v13, v13, v12, s2
	v_cmp_ngt_f32_e64 s2, -1.0, v12
	v_cndmask_b32_e64 v13, 0x7fc00000, v13, s2
	v_cmp_neq_f32_e64 s2, -1.0, v12
	s_delay_alu instid0(VALU_DEP_1) | instskip(SKIP_1) | instid1(VALU_DEP_1)
	v_cndmask_b32_e64 v13, 0xff800000, v13, s2
	v_cmp_gt_f32_e64 s2, 0x33800000, |v12|
	v_cndmask_b32_e64 v14, v13, v12, s2
	v_add_co_u32 v12, s2, v1, s19
	s_delay_alu instid0(VALU_DEP_1)
	v_add_co_ci_u32_e64 v13, s2, 0, v2, s2
	global_store_b32 v[12:13], v14, off
	s_or_b32 exec_lo, exec_lo, s3
	s_and_saveexec_b32 s2, vcc_lo
	s_cbranch_execz .LBB209_3
.LBB209_19:                             ;   in Loop: Header=BB209_4 Depth=1
	s_waitcnt vmcnt(0)
	v_add_f32_e32 v14, 1.0, v11
	s_delay_alu instid0(VALU_DEP_1) | instskip(NEXT) | instid1(VALU_DEP_1)
	v_cvt_f64_f32_e32 v[12:13], v14
	v_frexp_exp_i32_f64_e32 v12, v[12:13]
	v_frexp_mant_f32_e32 v13, v14
	s_delay_alu instid0(VALU_DEP_1) | instskip(SKIP_1) | instid1(VALU_DEP_1)
	v_cmp_gt_f32_e32 vcc_lo, 0x3f2aaaab, v13
	v_add_f32_e32 v13, -1.0, v14
	v_sub_f32_e32 v16, v13, v14
	s_delay_alu instid0(VALU_DEP_1) | instskip(SKIP_2) | instid1(VALU_DEP_2)
	v_dual_add_f32 v16, 1.0, v16 :: v_dual_sub_f32 v13, v11, v13
	v_subrev_co_ci_u32_e32 v12, vcc_lo, 0, v12, vcc_lo
	v_cmp_eq_f32_e32 vcc_lo, 0x7f800000, v11
	v_sub_nc_u32_e32 v15, 0, v12
	v_cvt_f32_i32_e32 v12, v12
	s_delay_alu instid0(VALU_DEP_2) | instskip(NEXT) | instid1(VALU_DEP_1)
	v_ldexp_f32 v14, v14, v15
	v_add_f32_e32 v17, 1.0, v14
	s_delay_alu instid0(VALU_DEP_1) | instskip(NEXT) | instid1(VALU_DEP_1)
	v_dual_add_f32 v13, v13, v16 :: v_dual_add_f32 v16, -1.0, v17
	v_ldexp_f32 v13, v13, v15
	s_delay_alu instid0(VALU_DEP_2) | instskip(NEXT) | instid1(VALU_DEP_1)
	v_dual_sub_f32 v16, v14, v16 :: v_dual_add_f32 v15, -1.0, v14
	v_add_f32_e32 v16, v13, v16
	s_delay_alu instid0(VALU_DEP_2) | instskip(NEXT) | instid1(VALU_DEP_1)
	v_add_f32_e32 v18, 1.0, v15
	v_sub_f32_e32 v14, v14, v18
	s_delay_alu instid0(VALU_DEP_1) | instskip(NEXT) | instid1(VALU_DEP_1)
	v_add_f32_e32 v13, v13, v14
	v_dual_add_f32 v19, v15, v13 :: v_dual_add_f32 v18, v17, v16
	s_delay_alu instid0(VALU_DEP_1) | instskip(NEXT) | instid1(VALU_DEP_2)
	v_sub_f32_e32 v15, v19, v15
	v_rcp_f32_e32 v14, v18
	v_sub_f32_e32 v17, v18, v17
	s_delay_alu instid0(VALU_DEP_1) | instskip(SKIP_2) | instid1(VALU_DEP_1)
	v_dual_sub_f32 v13, v13, v15 :: v_dual_sub_f32 v16, v16, v17
	s_waitcnt_depctr 0xfff
	v_mul_f32_e32 v20, v19, v14
	v_mul_f32_e32 v21, v18, v20
	s_delay_alu instid0(VALU_DEP_1) | instskip(NEXT) | instid1(VALU_DEP_1)
	v_fma_f32 v17, v20, v18, -v21
	v_fmac_f32_e32 v17, v20, v16
	s_delay_alu instid0(VALU_DEP_1) | instskip(NEXT) | instid1(VALU_DEP_1)
	v_add_f32_e32 v22, v21, v17
	v_sub_f32_e32 v23, v19, v22
	v_sub_f32_e32 v15, v22, v21
	s_delay_alu instid0(VALU_DEP_2) | instskip(NEXT) | instid1(VALU_DEP_2)
	v_sub_f32_e32 v19, v19, v23
	v_sub_f32_e32 v15, v15, v17
	s_delay_alu instid0(VALU_DEP_2) | instskip(NEXT) | instid1(VALU_DEP_1)
	v_sub_f32_e32 v19, v19, v22
	v_add_f32_e32 v13, v13, v19
	s_delay_alu instid0(VALU_DEP_1) | instskip(NEXT) | instid1(VALU_DEP_1)
	v_add_f32_e32 v13, v15, v13
	v_add_f32_e32 v15, v23, v13
	s_delay_alu instid0(VALU_DEP_1) | instskip(NEXT) | instid1(VALU_DEP_1)
	v_mul_f32_e32 v17, v14, v15
	v_dual_sub_f32 v22, v23, v15 :: v_dual_mul_f32 v19, v18, v17
	s_delay_alu instid0(VALU_DEP_1) | instskip(NEXT) | instid1(VALU_DEP_2)
	v_add_f32_e32 v13, v13, v22
	v_fma_f32 v18, v17, v18, -v19
	s_delay_alu instid0(VALU_DEP_1) | instskip(NEXT) | instid1(VALU_DEP_1)
	v_fmac_f32_e32 v18, v17, v16
	v_add_f32_e32 v16, v19, v18
	s_delay_alu instid0(VALU_DEP_1) | instskip(SKIP_1) | instid1(VALU_DEP_2)
	v_sub_f32_e32 v21, v15, v16
	v_sub_f32_e32 v19, v16, v19
	;; [unrolled: 1-line block ×3, first 2 shown]
	s_delay_alu instid0(VALU_DEP_1) | instskip(NEXT) | instid1(VALU_DEP_1)
	v_sub_f32_e32 v15, v15, v16
	v_dual_sub_f32 v16, v19, v18 :: v_dual_add_f32 v13, v13, v15
	v_add_f32_e32 v15, v20, v17
	s_delay_alu instid0(VALU_DEP_1) | instskip(NEXT) | instid1(VALU_DEP_1)
	v_dual_add_f32 v13, v16, v13 :: v_dual_sub_f32 v16, v15, v20
	v_add_f32_e32 v13, v21, v13
	s_delay_alu instid0(VALU_DEP_1) | instskip(NEXT) | instid1(VALU_DEP_1)
	v_dual_sub_f32 v16, v17, v16 :: v_dual_mul_f32 v13, v14, v13
	v_add_f32_e32 v13, v16, v13
	s_delay_alu instid0(VALU_DEP_1) | instskip(NEXT) | instid1(VALU_DEP_1)
	v_add_f32_e32 v14, v15, v13
	v_mul_f32_e32 v16, v14, v14
	s_delay_alu instid0(VALU_DEP_1) | instskip(SKIP_1) | instid1(VALU_DEP_2)
	v_fmaak_f32 v17, s20, v16, 0x3ecc95a3
	v_mul_f32_e32 v18, v14, v16
	v_fmaak_f32 v16, v16, v17, 0x3f2aaada
	v_ldexp_f32 v17, v14, 1
	v_sub_f32_e32 v14, v14, v15
	s_delay_alu instid0(VALU_DEP_3) | instskip(NEXT) | instid1(VALU_DEP_2)
	v_mul_f32_e32 v16, v18, v16
	v_dual_mul_f32 v18, 0x3f317218, v12 :: v_dual_sub_f32 v13, v13, v14
	s_delay_alu instid0(VALU_DEP_2) | instskip(NEXT) | instid1(VALU_DEP_2)
	v_add_f32_e32 v15, v17, v16
	v_ldexp_f32 v13, v13, 1
	s_delay_alu instid0(VALU_DEP_2) | instskip(NEXT) | instid1(VALU_DEP_4)
	v_sub_f32_e32 v14, v15, v17
	v_fma_f32 v17, 0x3f317218, v12, -v18
	s_delay_alu instid0(VALU_DEP_1) | instskip(NEXT) | instid1(VALU_DEP_1)
	v_dual_sub_f32 v14, v16, v14 :: v_dual_fmac_f32 v17, 0xb102e308, v12
	v_add_f32_e32 v12, v13, v14
	s_delay_alu instid0(VALU_DEP_1) | instskip(NEXT) | instid1(VALU_DEP_1)
	v_add_f32_e32 v14, v15, v12
	v_sub_f32_e32 v15, v14, v15
	s_delay_alu instid0(VALU_DEP_1) | instskip(NEXT) | instid1(VALU_DEP_1)
	v_dual_sub_f32 v12, v12, v15 :: v_dual_add_f32 v13, v18, v17
	v_add_f32_e32 v16, v13, v14
	s_delay_alu instid0(VALU_DEP_1) | instskip(NEXT) | instid1(VALU_DEP_1)
	v_dual_sub_f32 v18, v13, v18 :: v_dual_sub_f32 v19, v16, v13
	v_dual_sub_f32 v17, v17, v18 :: v_dual_sub_f32 v20, v16, v19
	s_delay_alu instid0(VALU_DEP_1) | instskip(NEXT) | instid1(VALU_DEP_2)
	v_dual_sub_f32 v14, v14, v19 :: v_dual_add_f32 v15, v17, v12
	v_sub_f32_e32 v13, v13, v20
	s_delay_alu instid0(VALU_DEP_1) | instskip(NEXT) | instid1(VALU_DEP_3)
	v_add_f32_e32 v13, v14, v13
	v_sub_f32_e32 v14, v15, v17
	s_delay_alu instid0(VALU_DEP_2) | instskip(NEXT) | instid1(VALU_DEP_2)
	v_add_f32_e32 v13, v15, v13
	v_sub_f32_e32 v15, v15, v14
	v_sub_f32_e32 v12, v12, v14
	s_delay_alu instid0(VALU_DEP_3) | instskip(NEXT) | instid1(VALU_DEP_1)
	v_add_f32_e32 v18, v16, v13
	v_dual_sub_f32 v14, v17, v15 :: v_dual_sub_f32 v15, v18, v16
	s_delay_alu instid0(VALU_DEP_1) | instskip(NEXT) | instid1(VALU_DEP_1)
	v_dual_add_f32 v12, v12, v14 :: v_dual_sub_f32 v13, v13, v15
	v_add_f32_e32 v12, v12, v13
	s_delay_alu instid0(VALU_DEP_1) | instskip(NEXT) | instid1(VALU_DEP_1)
	v_add_f32_e32 v12, v18, v12
	v_cndmask_b32_e32 v12, v12, v11, vcc_lo
	v_cmp_ngt_f32_e32 vcc_lo, -1.0, v11
	s_delay_alu instid0(VALU_DEP_2) | instskip(SKIP_1) | instid1(VALU_DEP_2)
	v_cndmask_b32_e32 v12, 0x7fc00000, v12, vcc_lo
	v_cmp_neq_f32_e32 vcc_lo, -1.0, v11
	v_cndmask_b32_e32 v12, 0xff800000, v12, vcc_lo
	v_cmp_gt_f32_e64 vcc_lo, 0x33800000, |v11|
	s_delay_alu instid0(VALU_DEP_2)
	v_cndmask_b32_e32 v13, v12, v11, vcc_lo
	v_add_co_u32 v11, vcc_lo, v1, s17
	v_add_co_ci_u32_e32 v12, vcc_lo, 0, v2, vcc_lo
	global_store_b32 v[11:12], v13, off
	s_branch .LBB209_3
.LBB209_20:
	s_cbranch_execz .LBB209_22
	s_branch .LBB209_25
.LBB209_21:
.LBB209_22:
	v_dual_mov_b32 v5, 0 :: v_dual_lshlrev_b32 v4, 2, v0
	s_mov_b32 s2, 0
	s_mov_b32 s3, exec_lo
	s_delay_alu instid0(VALU_DEP_1)
	v_cmpx_gt_i64_e64 s[6:7], v[4:5]
	s_cbranch_execz .LBB209_25
; %bb.23:
	s_load_b32 s0, s[0:1], 0xd3c
	v_lshlrev_b32_e32 v1, 4, v0
	s_mov_b32 s5, 0x3e9b6dac
	s_waitcnt lgkmcnt(0)
	s_and_b32 s0, s0, 0xffff
	s_delay_alu instid0(SALU_CYCLE_1) | instskip(SKIP_3) | instid1(VALU_DEP_1)
	s_lshl_b32 s3, s0, 2
	s_add_u32 s1, s8, s10
	s_addc_u32 s4, s9, s11
	v_add_co_u32 v1, s1, s1, v1
	v_add_co_ci_u32_e64 v2, null, s4, 0, s1
	v_add_lshl_u32 v4, v0, s0, 2
	s_delay_alu instid0(VALU_DEP_3) | instskip(NEXT) | instid1(VALU_DEP_3)
	v_add_co_u32 v6, vcc_lo, v1, 8
	v_add_co_ci_u32_e32 v7, vcc_lo, 0, v2, vcc_lo
	s_lshl_b32 s4, s0, 4
.LBB209_24:                             ; =>This Inner Loop Header: Depth=1
	global_load_b128 v[0:3], v[6:7], off offset:-8
	v_cmp_lt_u64_e64 s0, 0xffff, v[4:5]
	s_waitcnt vmcnt(0)
	v_dual_add_f32 v16, 1.0, v0 :: v_dual_add_f32 v17, 1.0, v1
	v_dual_add_f32 v18, 1.0, v2 :: v_dual_add_f32 v19, 1.0, v3
	v_cmp_eq_f32_e64 s1, 0x7f800000, v0
	s_delay_alu instid0(VALU_DEP_3) | instskip(NEXT) | instid1(VALU_DEP_4)
	v_cvt_f64_f32_e32 v[8:9], v16
	v_cvt_f64_f32_e32 v[10:11], v17
	s_delay_alu instid0(VALU_DEP_4) | instskip(SKIP_4) | instid1(VALU_DEP_2)
	v_cvt_f64_f32_e32 v[12:13], v18
	v_cvt_f64_f32_e32 v[14:15], v19
	v_frexp_mant_f32_e32 v21, v18
	v_add_f32_e32 v20, -1.0, v18
	v_frexp_mant_f32_e32 v27, v19
	v_dual_sub_f32 v25, v20, v18 :: v_dual_add_f32 v22, -1.0, v19
	s_delay_alu instid0(VALU_DEP_1)
	v_add_f32_e32 v25, 1.0, v25
	v_frexp_exp_i32_f64_e32 v8, v[8:9]
	v_frexp_exp_i32_f64_e32 v9, v[10:11]
	;; [unrolled: 1-line block ×3, first 2 shown]
	v_frexp_mant_f32_e32 v13, v16
	v_frexp_exp_i32_f64_e32 v11, v[14:15]
	v_frexp_mant_f32_e32 v15, v17
	v_add_f32_e32 v12, -1.0, v16
	v_add_f32_e32 v14, -1.0, v17
	v_cmp_gt_f32_e32 vcc_lo, 0x3f2aaaab, v13
	s_delay_alu instid0(VALU_DEP_3) | instskip(NEXT) | instid1(VALU_DEP_1)
	v_sub_f32_e32 v23, v12, v16
	v_add_f32_e32 v23, 1.0, v23
	v_subrev_co_ci_u32_e32 v8, vcc_lo, 0, v8, vcc_lo
	v_cmp_gt_f32_e32 vcc_lo, 0x3f2aaaab, v15
	s_delay_alu instid0(VALU_DEP_2)
	v_sub_nc_u32_e32 v13, 0, v8
	v_cvt_f32_i32_e32 v8, v8
	v_subrev_co_ci_u32_e32 v9, vcc_lo, 0, v9, vcc_lo
	v_cmp_gt_f32_e32 vcc_lo, 0x3f2aaaab, v21
	v_sub_f32_e32 v24, v14, v17
	v_sub_f32_e32 v14, v1, v14
	s_delay_alu instid0(VALU_DEP_4)
	v_sub_nc_u32_e32 v15, 0, v9
	v_cvt_f32_i32_e32 v9, v9
	v_subrev_co_ci_u32_e32 v10, vcc_lo, 0, v10, vcc_lo
	v_sub_f32_e32 v12, v0, v12
	v_cmp_gt_f32_e32 vcc_lo, 0x3f2aaaab, v27
	v_ldexp_f32 v17, v17, v15
	s_delay_alu instid0(VALU_DEP_4) | instskip(SKIP_3) | instid1(VALU_DEP_4)
	v_sub_nc_u32_e32 v21, 0, v10
	v_cvt_f32_i32_e32 v10, v10
	v_sub_f32_e32 v20, v2, v20
	v_subrev_co_ci_u32_e32 v11, vcc_lo, 0, v11, vcc_lo
	v_ldexp_f32 v18, v18, v21
	v_add_f32_e32 v24, 1.0, v24
	v_ldexp_f32 v16, v16, v13
	v_sub_f32_e32 v26, v22, v19
	v_dual_sub_f32 v22, v3, v22 :: v_dual_add_f32 v27, -1.0, v17
	s_delay_alu instid0(VALU_DEP_4) | instskip(SKIP_1) | instid1(VALU_DEP_2)
	v_dual_add_f32 v31, 1.0, v18 :: v_dual_add_f32 v14, v14, v24
	v_cmp_le_i64_e32 vcc_lo, s[6:7], v[4:5]
	v_add_f32_e32 v39, -1.0, v31
	s_delay_alu instid0(VALU_DEP_3) | instskip(SKIP_2) | instid1(SALU_CYCLE_1)
	v_ldexp_f32 v14, v14, v15
	v_mul_f32_e32 v15, 0x3f317218, v9
	s_or_b32 s0, vcc_lo, s0
	s_and_b32 s0, exec_lo, s0
	s_delay_alu instid0(VALU_DEP_1) | instskip(SKIP_1) | instid1(VALU_DEP_1)
	v_fma_f32 v29, 0x3f317218, v9, -v15
	s_or_b32 s2, s0, s2
	v_dual_fmac_f32 v29, 0xb102e308, v9 :: v_dual_add_f32 v30, -1.0, v18
	v_dual_add_f32 v20, v20, v25 :: v_dual_add_f32 v25, 1.0, v16
	v_add_f32_e32 v12, v12, v23
	v_sub_nc_u32_e32 v23, 0, v11
	v_cvt_f32_i32_e32 v11, v11
	s_delay_alu instid0(VALU_DEP_4) | instskip(NEXT) | instid1(VALU_DEP_4)
	v_add_f32_e32 v37, -1.0, v25
	v_ldexp_f32 v12, v12, v13
	s_delay_alu instid0(VALU_DEP_4) | instskip(SKIP_1) | instid1(VALU_DEP_1)
	v_ldexp_f32 v19, v19, v23
	v_dual_add_f32 v26, 1.0, v26 :: v_dual_mul_f32 v13, 0x3f317218, v8
	v_dual_add_f32 v33, -1.0, v19 :: v_dual_add_f32 v22, v22, v26
	s_delay_alu instid0(VALU_DEP_2) | instskip(NEXT) | instid1(VALU_DEP_2)
	v_fma_f32 v26, 0x3f317218, v8, -v13
	v_ldexp_f32 v22, v22, v23
	v_mul_f32_e32 v23, 0x3f317218, v11
	s_delay_alu instid0(VALU_DEP_1) | instskip(NEXT) | instid1(VALU_DEP_1)
	v_fma_f32 v35, 0x3f317218, v11, -v23
	v_dual_add_f32 v24, -1.0, v16 :: v_dual_fmac_f32 v35, 0xb102e308, v11
	s_delay_alu instid0(VALU_DEP_1) | instskip(SKIP_2) | instid1(VALU_DEP_3)
	v_add_f32_e32 v36, 1.0, v24
	v_add_f32_e32 v28, 1.0, v17
	v_fmac_f32_e32 v26, 0xb102e308, v8
	v_dual_add_f32 v8, 1.0, v27 :: v_dual_sub_f32 v11, v16, v36
	v_sub_f32_e32 v16, v16, v37
	v_add_f32_e32 v37, v15, v29
	v_add_f32_e32 v9, 1.0, v30
	v_ldexp_f32 v20, v20, v21
	v_dual_mul_f32 v21, 0x3f317218, v10 :: v_dual_add_f32 v38, -1.0, v28
	v_add_f32_e32 v11, v12, v11
	v_add_f32_e32 v34, 1.0, v19
	v_sub_f32_e32 v8, v17, v8
	s_delay_alu instid0(VALU_DEP_4) | instskip(SKIP_1) | instid1(VALU_DEP_4)
	v_fma_f32 v32, 0x3f317218, v10, -v21
	v_sub_f32_e32 v17, v17, v38
	v_dual_sub_f32 v9, v18, v9 :: v_dual_add_f32 v40, -1.0, v34
	v_sub_f32_e32 v18, v18, v39
	v_dual_add_f32 v39, v23, v35 :: v_dual_add_f32 v36, v13, v26
	v_fmac_f32_e32 v32, 0xb102e308, v10
	v_dual_add_f32 v10, 1.0, v33 :: v_dual_sub_f32 v15, v37, v15
	v_dual_add_f32 v9, v20, v9 :: v_dual_add_f32 v8, v14, v8
	v_add_f32_e32 v14, v14, v17
	s_delay_alu instid0(VALU_DEP_3) | instskip(SKIP_1) | instid1(VALU_DEP_1)
	v_sub_f32_e32 v10, v19, v10
	v_sub_f32_e32 v19, v19, v40
	v_dual_add_f32 v17, v22, v19 :: v_dual_add_f32 v12, v12, v16
	s_delay_alu instid0(VALU_DEP_1) | instskip(NEXT) | instid1(VALU_DEP_2)
	v_add_f32_e32 v43, v34, v17
	v_dual_add_f32 v19, v25, v12 :: v_dual_add_f32 v16, v20, v18
	v_add_f32_e32 v18, v24, v11
	s_delay_alu instid0(VALU_DEP_3)
	v_sub_f32_e32 v34, v43, v34
	v_add_f32_e32 v40, v30, v9
	v_rcp_f32_e32 v47, v43
	v_sub_f32_e32 v25, v19, v25
	v_rcp_f32_e32 v44, v19
	v_dual_sub_f32 v17, v17, v34 :: v_dual_add_f32 v20, v27, v8
	v_sub_f32_e32 v30, v40, v30
	s_delay_alu instid0(VALU_DEP_2) | instskip(NEXT) | instid1(VALU_DEP_2)
	v_dual_sub_f32 v24, v18, v24 :: v_dual_sub_f32 v27, v20, v27
	v_sub_f32_e32 v9, v9, v30
	s_delay_alu instid0(VALU_DEP_2) | instskip(SKIP_1) | instid1(VALU_DEP_2)
	v_dual_add_f32 v10, v22, v10 :: v_dual_sub_f32 v11, v11, v24
	v_add_f32_e32 v22, v28, v14
	v_add_f32_e32 v42, v33, v10
	s_delay_alu instid0(VALU_DEP_2) | instskip(NEXT) | instid1(VALU_DEP_2)
	v_sub_f32_e32 v28, v22, v28
	v_sub_f32_e32 v33, v42, v33
	v_add_f32_e32 v41, v31, v16
	s_delay_alu instid0(VALU_DEP_3) | instskip(SKIP_2) | instid1(VALU_DEP_4)
	v_sub_f32_e32 v14, v14, v28
	v_dual_mul_f32 v28, v42, v47 :: v_dual_sub_f32 v13, v36, v13
	v_add_f32_e32 v38, v21, v32
	v_rcp_f32_e32 v46, v41
	s_delay_alu instid0(VALU_DEP_2) | instskip(NEXT) | instid1(VALU_DEP_1)
	v_dual_sub_f32 v31, v41, v31 :: v_dual_mul_f32 v50, v43, v28
	v_dual_sub_f32 v13, v26, v13 :: v_dual_sub_f32 v16, v16, v31
	s_delay_alu instid0(VALU_DEP_2) | instskip(NEXT) | instid1(VALU_DEP_1)
	v_fma_f32 v53, v28, v43, -v50
	v_fmac_f32_e32 v53, v28, v17
	s_delay_alu instid0(VALU_DEP_1)
	v_add_f32_e32 v55, v50, v53
	v_rcp_f32_e32 v45, v22
	v_sub_f32_e32 v12, v12, v25
	s_waitcnt_depctr 0xfff
	v_mul_f32_e32 v25, v20, v45
	v_sub_f32_e32 v8, v8, v27
	v_mul_f32_e32 v27, v40, v46
	s_delay_alu instid0(VALU_DEP_3) | instskip(NEXT) | instid1(VALU_DEP_2)
	v_mul_f32_e32 v31, v22, v25
	v_dual_mul_f32 v49, v41, v27 :: v_dual_sub_f32 v10, v10, v33
	s_delay_alu instid0(VALU_DEP_2) | instskip(NEXT) | instid1(VALU_DEP_2)
	v_fma_f32 v34, v25, v22, -v31
	v_fma_f32 v52, v27, v41, -v49
	s_delay_alu instid0(VALU_DEP_2) | instskip(NEXT) | instid1(VALU_DEP_2)
	v_fmac_f32_e32 v34, v25, v14
	v_fmac_f32_e32 v52, v27, v16
	s_delay_alu instid0(VALU_DEP_2) | instskip(NEXT) | instid1(VALU_DEP_2)
	v_dual_add_f32 v33, v31, v34 :: v_dual_mul_f32 v24, v18, v44
	v_add_f32_e32 v54, v49, v52
	s_delay_alu instid0(VALU_DEP_2) | instskip(SKIP_1) | instid1(VALU_DEP_3)
	v_sub_f32_e32 v31, v33, v31
	v_sub_f32_e32 v57, v20, v33
	v_dual_sub_f32 v58, v40, v54 :: v_dual_sub_f32 v49, v54, v49
	s_delay_alu instid0(VALU_DEP_2) | instskip(NEXT) | instid1(VALU_DEP_2)
	v_dual_sub_f32 v31, v31, v34 :: v_dual_sub_f32 v20, v20, v57
	v_sub_f32_e32 v34, v40, v58
	v_mul_f32_e32 v48, v19, v24
	s_delay_alu instid0(VALU_DEP_2) | instskip(NEXT) | instid1(VALU_DEP_2)
	v_dual_sub_f32 v20, v20, v33 :: v_dual_sub_f32 v33, v34, v54
	v_fma_f32 v51, v24, v19, -v48
	s_delay_alu instid0(VALU_DEP_2) | instskip(NEXT) | instid1(VALU_DEP_2)
	v_add_f32_e32 v8, v8, v20
	v_dual_sub_f32 v20, v38, v21 :: v_dual_fmac_f32 v51, v24, v12
	v_sub_f32_e32 v21, v39, v23
	s_delay_alu instid0(VALU_DEP_3) | instskip(NEXT) | instid1(VALU_DEP_3)
	v_dual_sub_f32 v59, v42, v55 :: v_dual_add_f32 v8, v31, v8
	v_dual_add_f32 v9, v9, v33 :: v_dual_add_f32 v30, v48, v51
	s_delay_alu instid0(VALU_DEP_2) | instskip(NEXT) | instid1(VALU_DEP_2)
	v_dual_sub_f32 v40, v42, v59 :: v_dual_add_f32 v23, v57, v8
	v_sub_f32_e32 v56, v18, v30
	v_sub_f32_e32 v48, v30, v48
	s_delay_alu instid0(VALU_DEP_3) | instskip(NEXT) | instid1(VALU_DEP_4)
	v_sub_f32_e32 v34, v40, v55
	v_mul_f32_e32 v40, v45, v23
	v_sub_f32_e32 v42, v57, v23
	v_sub_f32_e32 v18, v18, v56
	;; [unrolled: 1-line block ×3, first 2 shown]
	v_add_f32_e32 v10, v10, v34
	s_delay_alu instid0(VALU_DEP_4) | instskip(NEXT) | instid1(VALU_DEP_4)
	v_add_f32_e32 v8, v8, v42
	v_sub_f32_e32 v18, v18, v30
	s_delay_alu instid0(VALU_DEP_1) | instskip(NEXT) | instid1(VALU_DEP_1)
	v_dual_add_f32 v42, v25, v40 :: v_dual_add_f32 v11, v11, v18
	v_sub_f32_e32 v25, v42, v25
	s_delay_alu instid0(VALU_DEP_2) | instskip(NEXT) | instid1(VALU_DEP_1)
	v_dual_add_f32 v11, v48, v11 :: v_dual_sub_f32 v50, v55, v50
	v_sub_f32_e32 v18, v50, v53
	v_mul_f32_e32 v53, v22, v40
	s_delay_alu instid0(VALU_DEP_2) | instskip(NEXT) | instid1(VALU_DEP_4)
	v_add_f32_e32 v10, v18, v10
	v_add_f32_e32 v18, v56, v11
	s_delay_alu instid0(VALU_DEP_3) | instskip(NEXT) | instid1(VALU_DEP_3)
	v_fma_f32 v22, v40, v22, -v53
	v_add_f32_e32 v31, v59, v10
	s_delay_alu instid0(VALU_DEP_3) | instskip(NEXT) | instid1(VALU_DEP_3)
	v_mul_f32_e32 v33, v44, v18
	v_fmac_f32_e32 v22, v40, v14
	s_delay_alu instid0(VALU_DEP_3) | instskip(SKIP_1) | instid1(VALU_DEP_4)
	v_mul_f32_e32 v50, v47, v31
	v_dual_sub_f32 v30, v49, v52 :: v_dual_sub_f32 v51, v59, v31
	v_mul_f32_e32 v52, v19, v33
	s_delay_alu instid0(VALU_DEP_2) | instskip(SKIP_1) | instid1(VALU_DEP_4)
	v_dual_mul_f32 v55, v43, v50 :: v_dual_add_f32 v10, v10, v51
	v_add_f32_e32 v51, v28, v50
	v_add_f32_e32 v9, v30, v9
	s_delay_alu instid0(VALU_DEP_3) | instskip(SKIP_1) | instid1(VALU_DEP_3)
	v_fma_f32 v43, v50, v43, -v55
	v_fma_f32 v19, v33, v19, -v52
	v_add_f32_e32 v30, v58, v9
	s_delay_alu instid0(VALU_DEP_3) | instskip(NEXT) | instid1(VALU_DEP_3)
	v_fmac_f32_e32 v43, v50, v17
	v_fmac_f32_e32 v19, v33, v12
	v_dual_sub_f32 v12, v51, v28 :: v_dual_add_f32 v17, v53, v22
	s_delay_alu instid0(VALU_DEP_3) | instskip(NEXT) | instid1(VALU_DEP_2)
	v_dual_sub_f32 v49, v58, v30 :: v_dual_add_f32 v28, v55, v43
	v_dual_add_f32 v14, v52, v19 :: v_dual_sub_f32 v53, v17, v53
	s_delay_alu instid0(VALU_DEP_2) | instskip(SKIP_1) | instid1(VALU_DEP_2)
	v_dual_add_f32 v9, v9, v49 :: v_dual_sub_f32 v58, v31, v28
	v_sub_f32_e32 v55, v28, v55
	v_sub_f32_e32 v31, v31, v58
	;; [unrolled: 1-line block ×3, first 2 shown]
	v_mul_f32_e32 v48, v46, v30
	v_sub_f32_e32 v56, v23, v17
	s_delay_alu instid0(VALU_DEP_3) | instskip(NEXT) | instid1(VALU_DEP_3)
	v_dual_add_f32 v11, v11, v34 :: v_dual_add_f32 v34, v24, v33
	v_mul_f32_e32 v54, v41, v48
	s_delay_alu instid0(VALU_DEP_3) | instskip(NEXT) | instid1(VALU_DEP_3)
	v_sub_f32_e32 v23, v23, v56
	v_sub_f32_e32 v24, v34, v24
	s_delay_alu instid0(VALU_DEP_3) | instskip(NEXT) | instid1(VALU_DEP_3)
	v_fma_f32 v41, v48, v41, -v54
	v_sub_f32_e32 v17, v23, v17
	s_delay_alu instid0(VALU_DEP_2) | instskip(NEXT) | instid1(VALU_DEP_4)
	v_fmac_f32_e32 v41, v48, v16
	v_sub_f32_e32 v16, v33, v24
	v_sub_f32_e32 v33, v14, v52
	s_delay_alu instid0(VALU_DEP_1) | instskip(NEXT) | instid1(VALU_DEP_1)
	v_dual_sub_f32 v52, v18, v14 :: v_dual_sub_f32 v19, v33, v19
	v_sub_f32_e32 v18, v18, v52
	s_delay_alu instid0(VALU_DEP_1) | instskip(NEXT) | instid1(VALU_DEP_1)
	v_sub_f32_e32 v14, v18, v14
	v_dual_add_f32 v11, v11, v14 :: v_dual_add_f32 v24, v54, v41
	v_sub_f32_e32 v14, v55, v43
	s_delay_alu instid0(VALU_DEP_2) | instskip(NEXT) | instid1(VALU_DEP_3)
	v_add_f32_e32 v11, v19, v11
	v_dual_sub_f32 v57, v30, v24 :: v_dual_sub_f32 v54, v24, v54
	v_add_f32_e32 v49, v27, v48
	s_delay_alu instid0(VALU_DEP_2) | instskip(NEXT) | instid1(VALU_DEP_2)
	v_dual_add_f32 v11, v52, v11 :: v_dual_sub_f32 v30, v30, v57
	v_dual_sub_f32 v18, v54, v41 :: v_dual_sub_f32 v27, v49, v27
	s_delay_alu instid0(VALU_DEP_2) | instskip(NEXT) | instid1(VALU_DEP_3)
	v_mul_f32_e32 v11, v44, v11
	v_sub_f32_e32 v23, v30, v24
	s_delay_alu instid0(VALU_DEP_1) | instskip(NEXT) | instid1(VALU_DEP_1)
	v_dual_sub_f32 v24, v31, v28 :: v_dual_add_f32 v9, v9, v23
	v_add_f32_e32 v9, v18, v9
	v_add_f32_e32 v8, v8, v17
	v_dual_sub_f32 v17, v40, v25 :: v_dual_sub_f32 v12, v50, v12
	s_delay_alu instid0(VALU_DEP_3) | instskip(NEXT) | instid1(VALU_DEP_1)
	v_dual_add_f32 v9, v57, v9 :: v_dual_add_f32 v10, v10, v24
	v_mul_f32_e32 v9, v46, v9
	s_delay_alu instid0(VALU_DEP_2) | instskip(SKIP_1) | instid1(VALU_DEP_2)
	v_add_f32_e32 v10, v14, v10
	v_sub_f32_e32 v14, v48, v27
	v_add_f32_e32 v10, v58, v10
	s_delay_alu instid0(VALU_DEP_2) | instskip(SKIP_1) | instid1(VALU_DEP_3)
	v_dual_add_f32 v9, v14, v9 :: v_dual_sub_f32 v22, v53, v22
	v_sub_f32_e32 v14, v29, v15
	v_mul_f32_e32 v10, v47, v10
	s_delay_alu instid0(VALU_DEP_3) | instskip(NEXT) | instid1(VALU_DEP_2)
	v_add_f32_e32 v8, v22, v8
	v_add_f32_e32 v10, v12, v10
	s_delay_alu instid0(VALU_DEP_2) | instskip(NEXT) | instid1(VALU_DEP_1)
	v_add_f32_e32 v8, v56, v8
	v_mul_f32_e32 v8, v45, v8
	s_delay_alu instid0(VALU_DEP_1) | instskip(SKIP_1) | instid1(VALU_DEP_2)
	v_dual_add_f32 v8, v17, v8 :: v_dual_add_f32 v17, v51, v10
	v_dual_add_f32 v11, v16, v11 :: v_dual_add_f32 v16, v49, v9
	v_add_f32_e32 v15, v42, v8
	s_delay_alu instid0(VALU_DEP_2) | instskip(NEXT) | instid1(VALU_DEP_3)
	v_dual_mul_f32 v29, v17, v17 :: v_dual_add_f32 v12, v34, v11
	v_sub_f32_e32 v27, v16, v49
	v_ldexp_f32 v28, v16, 1
	s_delay_alu instid0(VALU_DEP_4) | instskip(SKIP_4) | instid1(VALU_DEP_4)
	v_mul_f32_e32 v23, v15, v15
	v_sub_f32_e32 v24, v15, v42
	v_sub_f32_e32 v19, v12, v34
	v_ldexp_f32 v25, v15, 1
	v_ldexp_f32 v22, v12, 1
	v_dual_mul_f32 v15, v15, v23 :: v_dual_sub_f32 v8, v8, v24
	s_delay_alu instid0(VALU_DEP_4)
	v_sub_f32_e32 v11, v11, v19
	v_fmaak_f32 v19, s5, v23, 0x3ecc95a3
	v_sub_f32_e32 v9, v9, v27
	v_fmaak_f32 v27, s5, v29, 0x3ecc95a3
	v_ldexp_f32 v8, v8, 1
	v_ldexp_f32 v11, v11, 1
	v_fmaak_f32 v19, v23, v19, 0x3f2aaada
	v_ldexp_f32 v9, v9, 1
	v_ldexp_f32 v31, v17, 1
	s_delay_alu instid0(VALU_DEP_3) | instskip(NEXT) | instid1(VALU_DEP_1)
	v_mul_f32_e32 v15, v15, v19
	v_dual_add_f32 v19, v25, v15 :: v_dual_mul_f32 v18, v12, v12
	s_delay_alu instid0(VALU_DEP_1) | instskip(NEXT) | instid1(VALU_DEP_2)
	v_sub_f32_e32 v25, v19, v25
	v_fmaak_f32 v33, s5, v18, 0x3ecc95a3
	s_delay_alu instid0(VALU_DEP_2) | instskip(NEXT) | instid1(VALU_DEP_2)
	v_dual_mul_f32 v12, v12, v18 :: v_dual_sub_f32 v15, v15, v25
	v_fmaak_f32 v18, v18, v33, 0x3f2aaada
	s_delay_alu instid0(VALU_DEP_2) | instskip(NEXT) | instid1(VALU_DEP_2)
	v_add_f32_e32 v8, v8, v15
	v_mul_f32_e32 v12, v12, v18
	s_delay_alu instid0(VALU_DEP_1) | instskip(NEXT) | instid1(VALU_DEP_1)
	v_add_f32_e32 v18, v22, v12
	v_sub_f32_e32 v22, v18, v22
	s_delay_alu instid0(VALU_DEP_1) | instskip(NEXT) | instid1(VALU_DEP_1)
	v_sub_f32_e32 v12, v12, v22
	v_add_f32_e32 v11, v11, v12
	s_delay_alu instid0(VALU_DEP_1) | instskip(NEXT) | instid1(VALU_DEP_1)
	v_dual_sub_f32 v12, v32, v20 :: v_dual_add_f32 v15, v18, v11
	v_sub_f32_e32 v18, v15, v18
	v_mul_f32_e32 v26, v16, v16
	s_delay_alu instid0(VALU_DEP_2) | instskip(NEXT) | instid1(VALU_DEP_2)
	v_dual_add_f32 v22, v36, v15 :: v_dual_sub_f32 v11, v11, v18
	v_fmaak_f32 v24, s5, v26, 0x3ecc95a3
	v_mul_f32_e32 v16, v16, v26
	s_delay_alu instid0(VALU_DEP_3) | instskip(NEXT) | instid1(VALU_DEP_3)
	v_sub_f32_e32 v18, v22, v36
	v_dual_fmaak_f32 v23, v26, v24, 0x3f2aaada :: v_dual_fmaak_f32 v24, v29, v27, 0x3f2aaada
	s_delay_alu instid0(VALU_DEP_1) | instskip(NEXT) | instid1(VALU_DEP_1)
	v_dual_sub_f32 v15, v15, v18 :: v_dual_mul_f32 v16, v16, v23
	v_add_f32_e32 v23, v28, v16
	s_delay_alu instid0(VALU_DEP_1) | instskip(SKIP_2) | instid1(VALU_DEP_2)
	v_sub_f32_e32 v26, v23, v28
	v_sub_f32_e32 v28, v22, v18
	v_add_f32_e32 v18, v13, v11
	v_sub_f32_e32 v28, v36, v28
	s_delay_alu instid0(VALU_DEP_2) | instskip(NEXT) | instid1(VALU_DEP_2)
	v_sub_f32_e32 v32, v18, v13
	v_dual_sub_f32 v16, v16, v26 :: v_dual_add_f32 v15, v15, v28
	s_delay_alu instid0(VALU_DEP_2) | instskip(NEXT) | instid1(VALU_DEP_2)
	v_sub_f32_e32 v11, v11, v32
	v_dual_add_f32 v9, v9, v16 :: v_dual_sub_f32 v16, v35, v21
	v_sub_f32_e32 v28, v18, v32
	s_delay_alu instid0(VALU_DEP_2) | instskip(NEXT) | instid1(VALU_DEP_2)
	v_dual_add_f32 v15, v18, v15 :: v_dual_add_f32 v20, v23, v9
	v_sub_f32_e32 v13, v13, v28
	s_delay_alu instid0(VALU_DEP_2) | instskip(SKIP_2) | instid1(VALU_DEP_4)
	v_dual_sub_f32 v23, v20, v23 :: v_dual_add_f32 v26, v38, v20
	v_sub_f32_e32 v30, v17, v51
	v_mul_f32_e32 v17, v17, v29
	v_add_f32_e32 v11, v11, v13
	s_delay_alu instid0(VALU_DEP_4) | instskip(SKIP_1) | instid1(VALU_DEP_4)
	v_sub_f32_e32 v9, v9, v23
	v_sub_f32_e32 v23, v26, v38
	v_dual_sub_f32 v10, v10, v30 :: v_dual_mul_f32 v17, v17, v24
	s_delay_alu instid0(VALU_DEP_2) | instskip(SKIP_2) | instid1(VALU_DEP_4)
	v_sub_f32_e32 v30, v26, v23
	v_sub_f32_e32 v20, v20, v23
	v_add_f32_e32 v23, v12, v9
	v_ldexp_f32 v10, v10, 1
	s_delay_alu instid0(VALU_DEP_4) | instskip(NEXT) | instid1(VALU_DEP_3)
	v_sub_f32_e32 v30, v38, v30
	v_sub_f32_e32 v34, v23, v12
	v_add_f32_e32 v24, v31, v17
	s_delay_alu instid0(VALU_DEP_3) | instskip(NEXT) | instid1(VALU_DEP_3)
	v_add_f32_e32 v20, v20, v30
	v_sub_f32_e32 v9, v9, v34
	s_delay_alu instid0(VALU_DEP_3) | instskip(NEXT) | instid1(VALU_DEP_1)
	v_dual_sub_f32 v27, v24, v31 :: v_dual_sub_f32 v30, v23, v34
	v_dual_add_f32 v18, v23, v20 :: v_dual_sub_f32 v17, v17, v27
	s_delay_alu instid0(VALU_DEP_1) | instskip(NEXT) | instid1(VALU_DEP_1)
	v_dual_add_f32 v10, v10, v17 :: v_dual_add_f32 v17, v19, v8
	v_add_f32_e32 v21, v24, v10
	s_delay_alu instid0(VALU_DEP_2) | instskip(SKIP_1) | instid1(VALU_DEP_3)
	v_sub_f32_e32 v19, v17, v19
	v_add_f32_e32 v25, v37, v17
	v_dual_sub_f32 v24, v21, v24 :: v_dual_add_f32 v27, v39, v21
	s_delay_alu instid0(VALU_DEP_2) | instskip(NEXT) | instid1(VALU_DEP_2)
	v_dual_sub_f32 v8, v8, v19 :: v_dual_sub_f32 v19, v25, v37
	v_sub_f32_e32 v10, v10, v24
	s_delay_alu instid0(VALU_DEP_3) | instskip(NEXT) | instid1(VALU_DEP_3)
	v_sub_f32_e32 v24, v27, v39
	v_sub_f32_e32 v29, v25, v19
	;; [unrolled: 1-line block ×3, first 2 shown]
	v_add_f32_e32 v19, v14, v8
	s_delay_alu instid0(VALU_DEP_4) | instskip(SKIP_2) | instid1(VALU_DEP_4)
	v_sub_f32_e32 v31, v27, v24
	v_sub_f32_e32 v21, v21, v24
	;; [unrolled: 1-line block ×4, first 2 shown]
	s_delay_alu instid0(VALU_DEP_4) | instskip(NEXT) | instid1(VALU_DEP_3)
	v_dual_sub_f32 v31, v39, v31 :: v_dual_sub_f32 v12, v12, v30
	v_add_f32_e32 v17, v17, v29
	s_delay_alu instid0(VALU_DEP_3) | instskip(NEXT) | instid1(VALU_DEP_3)
	v_sub_f32_e32 v29, v19, v33
	v_add_f32_e32 v21, v21, v31
	s_delay_alu instid0(VALU_DEP_4) | instskip(NEXT) | instid1(VALU_DEP_4)
	v_dual_add_f32 v9, v9, v12 :: v_dual_sub_f32 v8, v8, v33
	v_dual_add_f32 v17, v19, v17 :: v_dual_add_f32 v24, v16, v10
	v_add_f32_e32 v13, v22, v15
	s_delay_alu instid0(VALU_DEP_2) | instskip(NEXT) | instid1(VALU_DEP_2)
	v_dual_sub_f32 v14, v14, v29 :: v_dual_sub_f32 v35, v24, v16
	v_sub_f32_e32 v12, v13, v22
	s_delay_alu instid0(VALU_DEP_2) | instskip(SKIP_4) | instid1(VALU_DEP_3)
	v_add_f32_e32 v8, v8, v14
	v_add_f32_e32 v14, v25, v17
	;; [unrolled: 1-line block ×3, first 2 shown]
	v_dual_sub_f32 v31, v24, v35 :: v_dual_add_f32 v20, v26, v18
	v_sub_f32_e32 v12, v15, v12
	v_dual_sub_f32 v22, v14, v25 :: v_dual_add_f32 v21, v27, v19
	v_sub_f32_e32 v10, v10, v35
	s_delay_alu instid0(VALU_DEP_4) | instskip(SKIP_1) | instid1(VALU_DEP_4)
	v_sub_f32_e32 v16, v16, v31
	v_sub_f32_e32 v23, v20, v26
	;; [unrolled: 1-line block ×3, first 2 shown]
	v_dual_add_f32 v11, v11, v12 :: v_dual_sub_f32 v24, v21, v27
	s_delay_alu instid0(VALU_DEP_4) | instskip(NEXT) | instid1(VALU_DEP_4)
	v_add_f32_e32 v10, v10, v16
	v_sub_f32_e32 v16, v18, v23
	s_delay_alu instid0(VALU_DEP_4) | instskip(NEXT) | instid1(VALU_DEP_4)
	v_add_f32_e32 v8, v8, v15
	v_add_f32_e32 v11, v13, v11
	v_sub_f32_e32 v17, v19, v24
	s_delay_alu instid0(VALU_DEP_4) | instskip(NEXT) | instid1(VALU_DEP_4)
	v_add_f32_e32 v9, v9, v16
	v_add_f32_e32 v8, v14, v8
	s_delay_alu instid0(VALU_DEP_4) | instskip(SKIP_3) | instid1(VALU_DEP_3)
	v_cndmask_b32_e64 v11, v11, v0, s1
	v_cmp_eq_f32_e64 s1, 0x7f800000, v1
	v_add_f32_e32 v10, v10, v17
	v_add_f32_e32 v9, v20, v9
	v_cndmask_b32_e64 v8, v8, v1, s1
	v_cmp_eq_f32_e64 s1, 0x7f800000, v2
	s_delay_alu instid0(VALU_DEP_4) | instskip(NEXT) | instid1(VALU_DEP_2)
	v_add_f32_e32 v10, v21, v10
	v_cndmask_b32_e64 v9, v9, v2, s1
	v_cmp_eq_f32_e64 s1, 0x7f800000, v3
	s_delay_alu instid0(VALU_DEP_1) | instskip(SKIP_1) | instid1(VALU_DEP_1)
	v_cndmask_b32_e64 v10, v10, v3, s1
	v_cmp_ngt_f32_e64 s1, -1.0, v0
	v_cndmask_b32_e64 v11, 0x7fc00000, v11, s1
	v_cmp_ngt_f32_e64 s1, -1.0, v1
	s_delay_alu instid0(VALU_DEP_1) | instskip(SKIP_1) | instid1(VALU_DEP_1)
	v_cndmask_b32_e64 v8, 0x7fc00000, v8, s1
	v_cmp_ngt_f32_e64 s1, -1.0, v2
	v_cndmask_b32_e64 v9, 0x7fc00000, v9, s1
	v_cmp_ngt_f32_e64 s1, -1.0, v3
	s_delay_alu instid0(VALU_DEP_1) | instskip(SKIP_1) | instid1(VALU_DEP_1)
	v_cndmask_b32_e64 v10, 0x7fc00000, v10, s1
	v_cmp_neq_f32_e64 s1, -1.0, v0
	v_cndmask_b32_e64 v11, 0xff800000, v11, s1
	v_cmp_neq_f32_e64 s1, -1.0, v1
	s_delay_alu instid0(VALU_DEP_1) | instskip(SKIP_1) | instid1(VALU_DEP_1)
	v_cndmask_b32_e64 v8, 0xff800000, v8, s1
	v_cmp_neq_f32_e64 s1, -1.0, v2
	v_cndmask_b32_e64 v9, 0xff800000, v9, s1
	v_cmp_neq_f32_e64 s1, -1.0, v3
	s_delay_alu instid0(VALU_DEP_1) | instskip(SKIP_1) | instid1(VALU_DEP_1)
	v_cndmask_b32_e64 v10, 0xff800000, v10, s1
	v_cmp_gt_f32_e64 s1, 0x33800000, |v0|
	v_cndmask_b32_e64 v0, v11, v0, s1
	v_cmp_gt_f32_e64 s1, 0x33800000, |v1|
	s_delay_alu instid0(VALU_DEP_1) | instskip(SKIP_1) | instid1(VALU_DEP_1)
	v_cndmask_b32_e64 v1, v8, v1, s1
	v_cmp_gt_f32_e64 s1, 0x33800000, |v2|
	v_cndmask_b32_e64 v2, v9, v2, s1
	v_cmp_gt_f32_e64 s1, 0x33800000, |v3|
	s_delay_alu instid0(VALU_DEP_1) | instskip(SKIP_1) | instid1(VALU_DEP_1)
	v_cndmask_b32_e64 v3, v10, v3, s1
	v_add_co_u32 v4, s1, v4, s3
	v_add_co_ci_u32_e64 v5, s1, 0, v5, s1
	global_store_b128 v[6:7], v[0:3], off offset:-8
	v_add_co_u32 v6, vcc_lo, v6, s4
	v_add_co_ci_u32_e32 v7, vcc_lo, 0, v7, vcc_lo
	s_and_not1_b32 exec_lo, exec_lo, s2
	s_cbranch_execnz .LBB209_24
.LBB209_25:
	s_nop 0
	s_sendmsg sendmsg(MSG_DEALLOC_VGPRS)
	s_endpgm
	.section	.rodata,"a",@progbits
	.p2align	6, 0x0
	.amdhsa_kernel _ZN2at6native12_GLOBAL__N_125multi_tensor_apply_kernelINS1_18TensorListMetadataILi1EEENS1_14UnaryOpFunctorIfLi1ELi1ELi0EEEJNS0_5Log1pIfEEEEEvT_T0_DpT1_
		.amdhsa_group_segment_fixed_size 0
		.amdhsa_private_segment_fixed_size 0
		.amdhsa_kernarg_size 3632
		.amdhsa_user_sgpr_count 15
		.amdhsa_user_sgpr_dispatch_ptr 0
		.amdhsa_user_sgpr_queue_ptr 0
		.amdhsa_user_sgpr_kernarg_segment_ptr 1
		.amdhsa_user_sgpr_dispatch_id 0
		.amdhsa_user_sgpr_private_segment_size 0
		.amdhsa_wavefront_size32 1
		.amdhsa_uses_dynamic_stack 0
		.amdhsa_enable_private_segment 0
		.amdhsa_system_sgpr_workgroup_id_x 1
		.amdhsa_system_sgpr_workgroup_id_y 0
		.amdhsa_system_sgpr_workgroup_id_z 0
		.amdhsa_system_sgpr_workgroup_info 0
		.amdhsa_system_vgpr_workitem_id 0
		.amdhsa_next_free_vgpr 60
		.amdhsa_next_free_sgpr 22
		.amdhsa_reserve_vcc 1
		.amdhsa_float_round_mode_32 0
		.amdhsa_float_round_mode_16_64 0
		.amdhsa_float_denorm_mode_32 3
		.amdhsa_float_denorm_mode_16_64 3
		.amdhsa_dx10_clamp 1
		.amdhsa_ieee_mode 1
		.amdhsa_fp16_overflow 0
		.amdhsa_workgroup_processor_mode 1
		.amdhsa_memory_ordered 1
		.amdhsa_forward_progress 0
		.amdhsa_shared_vgpr_count 0
		.amdhsa_exception_fp_ieee_invalid_op 0
		.amdhsa_exception_fp_denorm_src 0
		.amdhsa_exception_fp_ieee_div_zero 0
		.amdhsa_exception_fp_ieee_overflow 0
		.amdhsa_exception_fp_ieee_underflow 0
		.amdhsa_exception_fp_ieee_inexact 0
		.amdhsa_exception_int_div_zero 0
	.end_amdhsa_kernel
	.section	.text._ZN2at6native12_GLOBAL__N_125multi_tensor_apply_kernelINS1_18TensorListMetadataILi1EEENS1_14UnaryOpFunctorIfLi1ELi1ELi0EEEJNS0_5Log1pIfEEEEEvT_T0_DpT1_,"axG",@progbits,_ZN2at6native12_GLOBAL__N_125multi_tensor_apply_kernelINS1_18TensorListMetadataILi1EEENS1_14UnaryOpFunctorIfLi1ELi1ELi0EEEJNS0_5Log1pIfEEEEEvT_T0_DpT1_,comdat
.Lfunc_end209:
	.size	_ZN2at6native12_GLOBAL__N_125multi_tensor_apply_kernelINS1_18TensorListMetadataILi1EEENS1_14UnaryOpFunctorIfLi1ELi1ELi0EEEJNS0_5Log1pIfEEEEEvT_T0_DpT1_, .Lfunc_end209-_ZN2at6native12_GLOBAL__N_125multi_tensor_apply_kernelINS1_18TensorListMetadataILi1EEENS1_14UnaryOpFunctorIfLi1ELi1ELi0EEEJNS0_5Log1pIfEEEEEvT_T0_DpT1_
                                        ; -- End function
	.section	.AMDGPU.csdata,"",@progbits
; Kernel info:
; codeLenInByte = 6520
; NumSgprs: 24
; NumVgprs: 60
; ScratchSize: 0
; MemoryBound: 0
; FloatMode: 240
; IeeeMode: 1
; LDSByteSize: 0 bytes/workgroup (compile time only)
; SGPRBlocks: 2
; VGPRBlocks: 7
; NumSGPRsForWavesPerEU: 24
; NumVGPRsForWavesPerEU: 60
; Occupancy: 16
; WaveLimiterHint : 0
; COMPUTE_PGM_RSRC2:SCRATCH_EN: 0
; COMPUTE_PGM_RSRC2:USER_SGPR: 15
; COMPUTE_PGM_RSRC2:TRAP_HANDLER: 0
; COMPUTE_PGM_RSRC2:TGID_X_EN: 1
; COMPUTE_PGM_RSRC2:TGID_Y_EN: 0
; COMPUTE_PGM_RSRC2:TGID_Z_EN: 0
; COMPUTE_PGM_RSRC2:TIDIG_COMP_CNT: 0
	.section	.text._ZN2at6native12_GLOBAL__N_125multi_tensor_apply_kernelINS1_18TensorListMetadataILi1EEENS1_14UnaryOpFunctorIN3c107complexIdEELi1ELi1ELi0EEEJNS0_5Log1pIS8_EEEEEvT_T0_DpT1_,"axG",@progbits,_ZN2at6native12_GLOBAL__N_125multi_tensor_apply_kernelINS1_18TensorListMetadataILi1EEENS1_14UnaryOpFunctorIN3c107complexIdEELi1ELi1ELi0EEEJNS0_5Log1pIS8_EEEEEvT_T0_DpT1_,comdat
	.globl	_ZN2at6native12_GLOBAL__N_125multi_tensor_apply_kernelINS1_18TensorListMetadataILi1EEENS1_14UnaryOpFunctorIN3c107complexIdEELi1ELi1ELi0EEEJNS0_5Log1pIS8_EEEEEvT_T0_DpT1_ ; -- Begin function _ZN2at6native12_GLOBAL__N_125multi_tensor_apply_kernelINS1_18TensorListMetadataILi1EEENS1_14UnaryOpFunctorIN3c107complexIdEELi1ELi1ELi0EEEJNS0_5Log1pIS8_EEEEEvT_T0_DpT1_
	.p2align	8
	.type	_ZN2at6native12_GLOBAL__N_125multi_tensor_apply_kernelINS1_18TensorListMetadataILi1EEENS1_14UnaryOpFunctorIN3c107complexIdEELi1ELi1ELi0EEEJNS0_5Log1pIS8_EEEEEvT_T0_DpT1_,@function
_ZN2at6native12_GLOBAL__N_125multi_tensor_apply_kernelINS1_18TensorListMetadataILi1EEENS1_14UnaryOpFunctorIN3c107complexIdEELi1ELi1ELi0EEEJNS0_5Log1pIS8_EEEEEvT_T0_DpT1_: ; @_ZN2at6native12_GLOBAL__N_125multi_tensor_apply_kernelINS1_18TensorListMetadataILi1EEENS1_14UnaryOpFunctorIN3c107complexIdEELi1ELi1ELi0EEEJNS0_5Log1pIS8_EEEEEvT_T0_DpT1_
; %bb.0:
	v_mov_b32_e32 v1, s15
	s_add_u32 s2, s0, s15
	s_mul_hi_u32 s3, s15, 3
	s_mul_i32 s15, s15, 3
	s_addc_u32 s4, s1, 0
	global_load_u8 v1, v1, s[0:1] offset:1760
	s_add_u32 s2, s2, s15
	s_addc_u32 s3, s4, s3
	s_mov_b32 s7, 0
	s_load_b32 s2, s[2:3], 0x820
	s_waitcnt vmcnt(0)
	v_readfirstlane_b32 s5, v1
	s_delay_alu instid0(VALU_DEP_1)
	s_lshl_b32 s3, s5, 3
	s_clause 0x1
	s_load_b64 s[12:13], s[0:1], s3 offset:0x0
	s_load_b64 s[4:5], s[0:1], s3 offset:0x370
	s_waitcnt lgkmcnt(0)
	s_ashr_i32 s3, s2, 31
	s_delay_alu instid0(SALU_CYCLE_1) | instskip(NEXT) | instid1(SALU_CYCLE_1)
	s_lshl_b64 s[16:17], s[2:3], 20
	s_add_u32 s33, s12, s16
	s_addc_u32 s86, s13, s17
	s_lshl_b64 s[2:3], s[2:3], 16
	s_and_b32 s6, s33, 63
	s_sub_u32 s14, s4, s2
	s_subb_u32 s15, s5, s3
	s_and_b32 s2, s4, 3
	s_mov_b32 s3, s7
	s_delay_alu instid0(SALU_CYCLE_1) | instskip(NEXT) | instid1(SALU_CYCLE_1)
	s_or_b64 s[2:3], s[6:7], s[2:3]
	s_cmp_eq_u64 s[2:3], 0
	s_cbranch_scc1 .LBB210_45
; %bb.1:
	v_cmp_lt_i64_e64 s2, s[14:15], 1
	s_delay_alu instid0(VALU_DEP_1)
	s_and_b32 vcc_lo, exec_lo, s2
	s_cbranch_vccnz .LBB210_44
; %bb.2:
	s_load_b32 s2, s[0:1], 0xd3c
	v_dual_mov_b32 v17, 0 :: v_dual_mov_b32 v58, 0x4002d97c
	v_cmp_gt_u64_e64 s3, 0x10000, s[14:15]
	v_lshlrev_b32_e32 v19, 4, v0
	s_delay_alu instid0(VALU_DEP_3)
	v_dual_mov_b32 v57, 0x7f3321d2 :: v_dual_mov_b32 v20, v17
	s_mov_b32 s20, 0x55555555
	s_mov_b32 s22, 0x6b47b09a
	;; [unrolled: 1-line block ×13, first 2 shown]
	s_waitcnt lgkmcnt(0)
	s_and_b32 s2, s2, 0xffff
	s_and_b32 s3, s3, exec_lo
	v_mad_u64_u32 v[21:22], null, s2, 48, v[19:20]
	s_cselect_b32 s19, s15, 0
	s_cselect_b32 s18, s14, 0x10000
	s_lshl_b32 s3, s2, 1
	s_mul_i32 s4, s2, 3
	s_lshl_b32 s87, s2, 2
	s_lshl_b32 s88, s2, 6
	v_add_co_u32 v49, s5, v0, s2
	s_lshl_b32 s2, s2, 5
	v_add_co_u32 v20, s4, s4, v0
	v_add_co_u32 v1, s2, s2, v19
	s_delay_alu instid0(VALU_DEP_1)
	v_add_co_ci_u32_e64 v52, null, 0, 0, s2
	v_add_co_u32 v55, s2, s3, v0
	v_add_co_ci_u32_e64 v50, null, 0, 0, s5
	v_add_co_ci_u32_e64 v51, null, 0, 0, s4
	v_lshlrev_b32_e32 v53, 4, v49
	v_or_b32_e32 v54, 8, v1
	v_or_b32_e32 v21, 8, v21
	v_add_co_ci_u32_e64 v56, null, 0, 0, s2
	s_mov_b32 s48, 0xaf56de9b
	s_mov_b32 s50, 0xa595c56f
	;; [unrolled: 1-line block ×47, first 2 shown]
	s_mov_b64 s[82:83], 0
	s_mov_b32 s84, 0x55555780
	s_mov_b32 s11, 0x400921fb
	s_branch .LBB210_4
.LBB210_3:                              ;   in Loop: Header=BB210_4 Depth=1
	s_or_b32 exec_lo, exec_lo, s3
	s_add_u32 s82, s82, s87
	s_addc_u32 s83, s83, 0
	s_delay_alu instid0(SALU_CYCLE_1) | instskip(SKIP_1) | instid1(VALU_DEP_1)
	v_cmp_ge_i64_e64 s2, s[82:83], s[14:15]
	v_cmp_lt_u64_e64 s3, 0xffff, s[82:83]
	s_or_b32 s2, s2, s3
	s_add_u32 s33, s33, s88
	s_addc_u32 s86, s86, 0
	s_and_b32 vcc_lo, exec_lo, s2
	s_cbranch_vccnz .LBB210_44
.LBB210_4:                              ; =>This Inner Loop Header: Depth=1
	v_add_co_u32 v1, s2, v0, s82
	s_delay_alu instid0(VALU_DEP_1) | instskip(SKIP_2) | instid1(VALU_DEP_3)
	v_add_co_ci_u32_e64 v2, null, 0, s83, s2
	v_mov_b32_e32 v11, 0
	v_mov_b32_e32 v12, 0
	v_cmp_gt_u64_e32 vcc_lo, s[18:19], v[1:2]
	s_delay_alu instid0(VALU_DEP_2)
	v_dual_mov_b32 v16, v12 :: v_dual_mov_b32 v15, v11
	v_dual_mov_b32 v14, v12 :: v_dual_mov_b32 v13, v11
	s_and_saveexec_b32 s2, vcc_lo
	s_cbranch_execz .LBB210_6
; %bb.5:                                ;   in Loop: Header=BB210_4 Depth=1
	v_add_co_u32 v1, s3, s33, v19
	s_delay_alu instid0(VALU_DEP_1)
	v_add_co_ci_u32_e64 v2, null, s86, 0, s3
	global_load_b128 v[13:16], v[1:2], off
.LBB210_6:                              ;   in Loop: Header=BB210_4 Depth=1
	s_or_b32 exec_lo, exec_lo, s2
	v_add_co_u32 v1, s2, v49, s82
	s_delay_alu instid0(VALU_DEP_1) | instskip(SKIP_1) | instid1(VALU_DEP_2)
	v_add_co_ci_u32_e64 v2, s2, s83, v50, s2
	v_dual_mov_b32 v9, v11 :: v_dual_mov_b32 v10, v12
	v_cmp_gt_u64_e64 s4, s[18:19], v[1:2]
	s_delay_alu instid0(VALU_DEP_1)
	s_and_saveexec_b32 s2, s4
	s_cbranch_execz .LBB210_8
; %bb.7:                                ;   in Loop: Header=BB210_4 Depth=1
	v_add_co_u32 v1, s3, s33, v53
	s_delay_alu instid0(VALU_DEP_1)
	v_add_co_ci_u32_e64 v2, null, s86, 0, s3
	global_load_b128 v[9:12], v[1:2], off
.LBB210_8:                              ;   in Loop: Header=BB210_4 Depth=1
	s_or_b32 exec_lo, exec_lo, s2
	v_add_co_u32 v1, s2, v55, s82
	s_delay_alu instid0(VALU_DEP_1) | instskip(SKIP_2) | instid1(VALU_DEP_3)
	v_add_co_ci_u32_e64 v2, s2, s83, v56, s2
	v_mov_b32_e32 v3, 0
	v_mov_b32_e32 v4, 0
	v_cmp_gt_u64_e64 s3, s[18:19], v[1:2]
	s_delay_alu instid0(VALU_DEP_2) | instskip(SKIP_1) | instid1(VALU_DEP_3)
	v_dual_mov_b32 v8, v4 :: v_dual_mov_b32 v7, v3
	v_dual_mov_b32 v6, v4 :: v_dual_mov_b32 v5, v3
	s_and_saveexec_b32 s5, s3
	s_cbranch_execz .LBB210_10
; %bb.9:                                ;   in Loop: Header=BB210_4 Depth=1
	v_add_co_u32 v1, s2, s33, v54
	s_delay_alu instid0(VALU_DEP_1)
	v_add_co_ci_u32_e64 v2, s2, s86, v52, s2
	global_load_b128 v[5:8], v[1:2], off offset:-8
.LBB210_10:                             ;   in Loop: Header=BB210_4 Depth=1
	s_or_b32 exec_lo, exec_lo, s5
	v_add_co_u32 v1, s2, v20, s82
	s_delay_alu instid0(VALU_DEP_1) | instskip(NEXT) | instid1(VALU_DEP_1)
	v_add_co_ci_u32_e64 v2, s2, s83, v51, s2
	v_cmp_gt_u64_e64 s2, s[18:19], v[1:2]
	v_dual_mov_b32 v1, v3 :: v_dual_mov_b32 v2, v4
	s_delay_alu instid0(VALU_DEP_2)
	s_and_saveexec_b32 s6, s2
	s_cbranch_execz .LBB210_12
; %bb.11:                               ;   in Loop: Header=BB210_4 Depth=1
	v_add_co_u32 v1, s5, s33, v21
	s_delay_alu instid0(VALU_DEP_1)
	v_add_co_ci_u32_e64 v2, s5, s86, v22, s5
	global_load_b128 v[1:4], v[1:2], off offset:-8
.LBB210_12:                             ;   in Loop: Header=BB210_4 Depth=1
	s_or_b32 exec_lo, exec_lo, s6
	s_waitcnt vmcnt(0)
	v_max_f64 v[23:24], |v[13:14]|, |v[13:14]|
	v_max_f64 v[25:26], |v[15:16]|, |v[15:16]|
	v_cmp_class_f64_e64 s8, v[13:14], 0x204
	v_cmp_class_f64_e64 s89, v[15:16], 0x204
	v_cmp_u_f64_e64 s6, v[13:14], v[15:16]
	s_delay_alu instid0(VALU_DEP_4) | instskip(NEXT) | instid1(VALU_DEP_3)
	v_max_f64 v[23:24], v[23:24], v[25:26]
	s_or_b32 s8, s89, s8
	s_delay_alu instid0(VALU_DEP_2) | instid1(SALU_CYCLE_1)
	s_or_b32 s6, s8, s6
	s_delay_alu instid0(VALU_DEP_1) | instskip(NEXT) | instid1(VALU_DEP_1)
	v_frexp_exp_i32_f64_e32 v18, v[23:24]
	v_sub_nc_u32_e32 v27, 0, v18
	s_delay_alu instid0(VALU_DEP_1) | instskip(SKIP_1) | instid1(VALU_DEP_2)
	v_ldexp_f64 v[23:24], |v[15:16]|, v27
	v_ldexp_f64 v[27:28], |v[13:14]|, v27
	v_mul_f64 v[23:24], v[23:24], v[23:24]
	s_delay_alu instid0(VALU_DEP_1) | instskip(NEXT) | instid1(VALU_DEP_1)
	v_fma_f64 v[23:24], v[27:28], v[27:28], v[23:24]
	v_rsq_f64_e32 v[27:28], v[23:24]
	v_cmp_eq_f64_e64 s5, 0, v[23:24]
	s_waitcnt_depctr 0xfff
	v_mul_f64 v[29:30], v[23:24], v[27:28]
	v_mul_f64 v[27:28], v[27:28], 0.5
	s_delay_alu instid0(VALU_DEP_1) | instskip(NEXT) | instid1(VALU_DEP_1)
	v_fma_f64 v[31:32], -v[27:28], v[29:30], 0.5
	v_fma_f64 v[29:30], v[29:30], v[31:32], v[29:30]
	v_fma_f64 v[27:28], v[27:28], v[31:32], v[27:28]
	s_delay_alu instid0(VALU_DEP_2) | instskip(NEXT) | instid1(VALU_DEP_1)
	v_fma_f64 v[31:32], -v[29:30], v[29:30], v[23:24]
	v_fma_f64 v[27:28], v[31:32], v[27:28], v[29:30]
	s_delay_alu instid0(VALU_DEP_1) | instskip(NEXT) | instid1(VALU_DEP_2)
	v_cndmask_b32_e64 v24, v28, v24, s5
	v_cndmask_b32_e64 v23, v27, v23, s5
	s_delay_alu instid0(VALU_DEP_1) | instskip(SKIP_1) | instid1(VALU_DEP_2)
	v_ldexp_f64 v[27:28], v[23:24], v18
	v_add_f64 v[23:24], v[13:14], 1.0
	v_cmp_ngt_f64_e64 s7, 0.5, v[27:28]
	s_delay_alu instid0(VALU_DEP_2) | instskip(SKIP_2) | instid1(VALU_DEP_4)
	v_max_f64 v[27:28], |v[23:24]|, v[25:26]
	v_cmp_o_f64_e64 s5, v[23:24], v[15:16]
	v_cmp_class_f64_e64 s90, v[23:24], 0x204
	s_or_b32 s6, s6, s7
	s_delay_alu instid0(SALU_CYCLE_1) | instskip(NEXT) | instid1(SALU_CYCLE_1)
	s_and_saveexec_b32 s7, s6
	s_xor_b32 s7, exec_lo, s7
	s_cbranch_execz .LBB210_14
; %bb.13:                               ;   in Loop: Header=BB210_4 Depth=1
	s_delay_alu instid0(VALU_DEP_3) | instskip(NEXT) | instid1(VALU_DEP_2)
	v_frexp_exp_i32_f64_e32 v18, v[27:28]
	s_or_b32 s8, s89, s90
	s_mov_b32 s85, s21
	s_delay_alu instid0(VALU_DEP_1) | instskip(NEXT) | instid1(VALU_DEP_1)
	v_sub_nc_u32_e32 v29, 0, v18
	v_ldexp_f64 v[13:14], |v[15:16]|, v29
	v_ldexp_f64 v[29:30], |v[23:24]|, v29
	s_delay_alu instid0(VALU_DEP_2) | instskip(NEXT) | instid1(VALU_DEP_1)
	v_mul_f64 v[13:14], v[13:14], v[13:14]
	v_fma_f64 v[13:14], v[29:30], v[29:30], v[13:14]
	s_delay_alu instid0(VALU_DEP_1) | instskip(SKIP_4) | instid1(VALU_DEP_1)
	v_rsq_f64_e32 v[29:30], v[13:14]
	v_cmp_eq_f64_e64 s6, 0, v[13:14]
	s_waitcnt_depctr 0xfff
	v_mul_f64 v[31:32], v[13:14], v[29:30]
	v_mul_f64 v[29:30], v[29:30], 0.5
	v_fma_f64 v[33:34], -v[29:30], v[31:32], 0.5
	s_delay_alu instid0(VALU_DEP_1) | instskip(SKIP_1) | instid1(VALU_DEP_2)
	v_fma_f64 v[31:32], v[31:32], v[33:34], v[31:32]
	v_fma_f64 v[29:30], v[29:30], v[33:34], v[29:30]
	v_fma_f64 v[33:34], -v[31:32], v[31:32], v[13:14]
	s_delay_alu instid0(VALU_DEP_1) | instskip(NEXT) | instid1(VALU_DEP_1)
	v_fma_f64 v[29:30], v[33:34], v[29:30], v[31:32]
	v_cndmask_b32_e64 v14, v30, v14, s6
	s_delay_alu instid0(VALU_DEP_2) | instskip(NEXT) | instid1(VALU_DEP_1)
	v_cndmask_b32_e64 v13, v29, v13, s6
	v_ldexp_f64 v[13:14], v[13:14], v18
	s_delay_alu instid0(VALU_DEP_1) | instskip(NEXT) | instid1(VALU_DEP_2)
	v_cndmask_b32_e64 v59, 0x7ff80000, v14, s5
	v_cndmask_b32_e64 v60, 0, v13, s5
	v_and_b32_e32 v14, 0x7fffffff, v14
	s_delay_alu instid0(VALU_DEP_3) | instskip(NEXT) | instid1(VALU_DEP_3)
	v_cndmask_b32_e64 v30, v59, 0x7ff00000, s8
	v_cndmask_b32_e64 v29, v60, 0, s8
	s_delay_alu instid0(VALU_DEP_1) | instskip(NEXT) | instid1(VALU_DEP_1)
	v_frexp_mant_f64_e32 v[31:32], v[29:30]
	v_cmp_gt_f64_e64 s6, s[20:21], v[31:32]
	s_delay_alu instid0(VALU_DEP_1) | instskip(NEXT) | instid1(VALU_DEP_1)
	v_cndmask_b32_e64 v18, 0x3ff00000, 2.0, s6
	v_mul_f64 v[31:32], v[31:32], v[17:18]
	v_frexp_exp_i32_f64_e32 v18, v[29:30]
	s_delay_alu instid0(VALU_DEP_2) | instskip(SKIP_1) | instid1(VALU_DEP_3)
	v_add_f64 v[33:34], v[31:32], 1.0
	v_add_f64 v[39:40], v[31:32], -1.0
	v_subrev_co_ci_u32_e64 v18, s6, 0, v18, s6
	v_cmp_eq_f64_e64 s6, 0x7ff00000, v[13:14]
	s_delay_alu instid0(VALU_DEP_4) | instskip(SKIP_1) | instid1(VALU_DEP_2)
	v_rcp_f64_e32 v[35:36], v[33:34]
	v_add_f64 v[41:42], v[33:34], -1.0
	s_and_b32 s6, s5, s6
	s_delay_alu instid0(VALU_DEP_1) | instskip(SKIP_2) | instid1(VALU_DEP_1)
	v_add_f64 v[31:32], v[31:32], -v[41:42]
	s_waitcnt_depctr 0xfff
	v_fma_f64 v[37:38], -v[33:34], v[35:36], 1.0
	v_fma_f64 v[35:36], v[37:38], v[35:36], v[35:36]
	s_delay_alu instid0(VALU_DEP_1) | instskip(NEXT) | instid1(VALU_DEP_1)
	v_fma_f64 v[37:38], -v[33:34], v[35:36], 1.0
	v_fma_f64 v[35:36], v[37:38], v[35:36], v[35:36]
	s_delay_alu instid0(VALU_DEP_1) | instskip(NEXT) | instid1(VALU_DEP_1)
	v_mul_f64 v[37:38], v[39:40], v[35:36]
	v_mul_f64 v[43:44], v[33:34], v[37:38]
	s_delay_alu instid0(VALU_DEP_1) | instskip(NEXT) | instid1(VALU_DEP_1)
	v_fma_f64 v[33:34], v[37:38], v[33:34], -v[43:44]
	v_fma_f64 v[31:32], v[37:38], v[31:32], v[33:34]
	s_delay_alu instid0(VALU_DEP_1) | instskip(NEXT) | instid1(VALU_DEP_1)
	v_add_f64 v[33:34], v[43:44], v[31:32]
	v_add_f64 v[41:42], v[39:40], -v[33:34]
	v_add_f64 v[43:44], v[33:34], -v[43:44]
	s_delay_alu instid0(VALU_DEP_2) | instskip(NEXT) | instid1(VALU_DEP_2)
	v_add_f64 v[39:40], v[39:40], -v[41:42]
	v_add_f64 v[31:32], v[43:44], -v[31:32]
	s_delay_alu instid0(VALU_DEP_2) | instskip(NEXT) | instid1(VALU_DEP_1)
	v_add_f64 v[33:34], v[39:40], -v[33:34]
	v_add_f64 v[31:32], v[31:32], v[33:34]
	s_delay_alu instid0(VALU_DEP_1) | instskip(NEXT) | instid1(VALU_DEP_1)
	v_add_f64 v[31:32], v[41:42], v[31:32]
	v_mul_f64 v[31:32], v[35:36], v[31:32]
	s_delay_alu instid0(VALU_DEP_1) | instskip(NEXT) | instid1(VALU_DEP_1)
	v_add_f64 v[33:34], v[37:38], v[31:32]
	v_mul_f64 v[35:36], v[33:34], v[33:34]
	s_delay_alu instid0(VALU_DEP_1) | instskip(SKIP_1) | instid1(VALU_DEP_2)
	v_fma_f64 v[39:40], v[35:36], s[24:25], s[22:23]
	v_mul_f64 v[41:42], v[33:34], v[35:36]
	v_fma_f64 v[39:40], v[35:36], v[39:40], s[26:27]
	s_delay_alu instid0(VALU_DEP_1) | instskip(NEXT) | instid1(VALU_DEP_1)
	v_fma_f64 v[39:40], v[35:36], v[39:40], s[28:29]
	v_fma_f64 v[39:40], v[35:36], v[39:40], s[30:31]
	s_delay_alu instid0(VALU_DEP_1) | instskip(NEXT) | instid1(VALU_DEP_1)
	v_fma_f64 v[39:40], v[35:36], v[39:40], s[34:35]
	v_fma_f64 v[35:36], v[35:36], v[39:40], s[84:85]
	v_ldexp_f64 v[39:40], v[33:34], 1
	v_add_f64 v[33:34], v[33:34], -v[37:38]
	s_delay_alu instid0(VALU_DEP_3) | instskip(SKIP_1) | instid1(VALU_DEP_3)
	v_mul_f64 v[35:36], v[41:42], v[35:36]
	v_cvt_f64_i32_e32 v[41:42], v18
	v_add_f64 v[31:32], v[31:32], -v[33:34]
	s_delay_alu instid0(VALU_DEP_3) | instskip(NEXT) | instid1(VALU_DEP_3)
	v_add_f64 v[37:38], v[39:40], v[35:36]
	v_mul_f64 v[43:44], v[41:42], s[36:37]
	s_delay_alu instid0(VALU_DEP_3) | instskip(NEXT) | instid1(VALU_DEP_3)
	v_ldexp_f64 v[31:32], v[31:32], 1
	v_add_f64 v[33:34], v[37:38], -v[39:40]
	s_delay_alu instid0(VALU_DEP_3) | instskip(NEXT) | instid1(VALU_DEP_2)
	v_fma_f64 v[39:40], v[41:42], s[36:37], -v[43:44]
	v_add_f64 v[33:34], v[35:36], -v[33:34]
	s_delay_alu instid0(VALU_DEP_2) | instskip(NEXT) | instid1(VALU_DEP_2)
	v_fma_f64 v[35:36], v[41:42], s[38:39], v[39:40]
	v_add_f64 v[31:32], v[31:32], v[33:34]
	s_delay_alu instid0(VALU_DEP_2) | instskip(NEXT) | instid1(VALU_DEP_2)
	v_add_f64 v[33:34], v[43:44], v[35:36]
	v_add_f64 v[39:40], v[37:38], v[31:32]
	s_delay_alu instid0(VALU_DEP_2) | instskip(NEXT) | instid1(VALU_DEP_2)
	v_add_f64 v[43:44], v[33:34], -v[43:44]
	v_add_f64 v[41:42], v[33:34], v[39:40]
	v_add_f64 v[37:38], v[39:40], -v[37:38]
	s_delay_alu instid0(VALU_DEP_3) | instskip(NEXT) | instid1(VALU_DEP_3)
	v_add_f64 v[35:36], v[35:36], -v[43:44]
	v_add_f64 v[45:46], v[41:42], -v[33:34]
	s_delay_alu instid0(VALU_DEP_3) | instskip(NEXT) | instid1(VALU_DEP_2)
	v_add_f64 v[31:32], v[31:32], -v[37:38]
	v_add_f64 v[47:48], v[41:42], -v[45:46]
	;; [unrolled: 1-line block ×3, first 2 shown]
	s_delay_alu instid0(VALU_DEP_3) | instskip(NEXT) | instid1(VALU_DEP_3)
	v_add_f64 v[39:40], v[35:36], v[31:32]
	v_add_f64 v[33:34], v[33:34], -v[47:48]
	s_delay_alu instid0(VALU_DEP_1) | instskip(NEXT) | instid1(VALU_DEP_3)
	v_add_f64 v[33:34], v[37:38], v[33:34]
	v_add_f64 v[37:38], v[39:40], -v[35:36]
	s_delay_alu instid0(VALU_DEP_2) | instskip(NEXT) | instid1(VALU_DEP_2)
	v_add_f64 v[33:34], v[39:40], v[33:34]
	v_add_f64 v[39:40], v[39:40], -v[37:38]
	v_add_f64 v[31:32], v[31:32], -v[37:38]
	s_delay_alu instid0(VALU_DEP_3) | instskip(NEXT) | instid1(VALU_DEP_3)
	v_add_f64 v[43:44], v[41:42], v[33:34]
	v_add_f64 v[35:36], v[35:36], -v[39:40]
	s_delay_alu instid0(VALU_DEP_2) | instskip(NEXT) | instid1(VALU_DEP_2)
	v_add_f64 v[37:38], v[43:44], -v[41:42]
	v_add_f64 v[31:32], v[31:32], v[35:36]
	s_delay_alu instid0(VALU_DEP_2) | instskip(NEXT) | instid1(VALU_DEP_1)
	v_add_f64 v[33:34], v[33:34], -v[37:38]
	v_add_f64 v[31:32], v[31:32], v[33:34]
	s_delay_alu instid0(VALU_DEP_1) | instskip(NEXT) | instid1(VALU_DEP_1)
	v_add_f64 v[13:14], v[43:44], v[31:32]
	v_cndmask_b32_e64 v14, v14, v59, s6
	s_delay_alu instid0(VALU_DEP_2) | instskip(SKIP_1) | instid1(VALU_DEP_3)
	v_cndmask_b32_e64 v13, v13, v60, s6
	v_cmp_ngt_f64_e64 s6, 0, v[29:30]
	v_cndmask_b32_e64 v14, v14, 0x7ff00000, s8
	s_delay_alu instid0(VALU_DEP_3) | instskip(NEXT) | instid1(VALU_DEP_2)
	v_cndmask_b32_e64 v13, v13, 0, s8
	v_cndmask_b32_e64 v14, 0x7ff80000, v14, s6
	v_cmp_nge_f64_e64 s6, 0, v[29:30]
	s_delay_alu instid0(VALU_DEP_1) | instskip(SKIP_1) | instid1(VALU_DEP_1)
	v_cndmask_b32_e64 v13, 0, v13, s6
	v_cmp_neq_f64_e64 s6, 0, v[29:30]
	v_cndmask_b32_e64 v14, 0xfff00000, v14, s6
.LBB210_14:                             ;   in Loop: Header=BB210_4 Depth=1
	s_and_not1_saveexec_b32 s7, s7
	s_cbranch_execz .LBB210_18
; %bb.15:                               ;   in Loop: Header=BB210_4 Depth=1
	s_delay_alu instid0(VALU_DEP_1) | instskip(SKIP_1) | instid1(VALU_DEP_1)
	v_add_f64 v[29:30], v[13:14], 2.0
	s_mov_b32 s8, exec_lo
	v_mul_f64 v[29:30], v[13:14], v[29:30]
	s_delay_alu instid0(VALU_DEP_1) | instskip(NEXT) | instid1(VALU_DEP_1)
	v_fma_f64 v[29:30], v[15:16], v[15:16], v[29:30]
	v_cmpx_neq_f64_e32 0, v[29:30]
	s_cbranch_execz .LBB210_17
; %bb.16:                               ;   in Loop: Header=BB210_4 Depth=1
	v_add_f64 v[13:14], v[29:30], 1.0
	s_mov_b32 s85, s21
	s_delay_alu instid0(VALU_DEP_1) | instskip(SKIP_2) | instid1(VALU_DEP_3)
	v_frexp_mant_f64_e32 v[31:32], v[13:14]
	v_frexp_exp_i32_f64_e32 v18, v[13:14]
	v_add_f64 v[33:34], v[13:14], -1.0
	v_cmp_gt_f64_e64 s6, s[20:21], v[31:32]
	s_delay_alu instid0(VALU_DEP_2) | instskip(SKIP_1) | instid1(VALU_DEP_3)
	v_add_f64 v[31:32], v[33:34], -v[13:14]
	v_add_f64 v[33:34], v[29:30], -v[33:34]
	v_subrev_co_ci_u32_e64 v18, s6, 0, v18, s6
	s_delay_alu instid0(VALU_DEP_3) | instskip(SKIP_1) | instid1(VALU_DEP_3)
	v_add_f64 v[31:32], v[31:32], 1.0
	v_cmp_eq_f64_e64 s6, 0x7ff00000, v[29:30]
	v_sub_nc_u32_e32 v37, 0, v18
	s_delay_alu instid0(VALU_DEP_1) | instskip(NEXT) | instid1(VALU_DEP_4)
	v_ldexp_f64 v[13:14], v[13:14], v37
	v_add_f64 v[31:32], v[33:34], v[31:32]
	s_delay_alu instid0(VALU_DEP_2) | instskip(SKIP_1) | instid1(VALU_DEP_3)
	v_add_f64 v[35:36], v[13:14], 1.0
	v_add_f64 v[41:42], v[13:14], -1.0
	v_ldexp_f64 v[31:32], v[31:32], v37
	s_delay_alu instid0(VALU_DEP_3) | instskip(NEXT) | instid1(VALU_DEP_3)
	v_add_f64 v[33:34], v[35:36], -1.0
	v_add_f64 v[43:44], v[41:42], 1.0
	s_delay_alu instid0(VALU_DEP_2) | instskip(NEXT) | instid1(VALU_DEP_2)
	v_add_f64 v[33:34], v[13:14], -v[33:34]
	v_add_f64 v[13:14], v[13:14], -v[43:44]
	s_delay_alu instid0(VALU_DEP_2) | instskip(NEXT) | instid1(VALU_DEP_2)
	v_add_f64 v[33:34], v[31:32], v[33:34]
	v_add_f64 v[13:14], v[31:32], v[13:14]
	s_delay_alu instid0(VALU_DEP_2) | instskip(NEXT) | instid1(VALU_DEP_2)
	v_add_f64 v[37:38], v[35:36], v[33:34]
	v_add_f64 v[43:44], v[41:42], v[13:14]
	s_delay_alu instid0(VALU_DEP_2) | instskip(SKIP_1) | instid1(VALU_DEP_2)
	v_rcp_f64_e32 v[39:40], v[37:38]
	v_add_f64 v[35:36], v[37:38], -v[35:36]
	v_add_f64 v[41:42], v[43:44], -v[41:42]
	s_delay_alu instid0(VALU_DEP_2) | instskip(SKIP_3) | instid1(VALU_DEP_2)
	v_add_f64 v[33:34], v[33:34], -v[35:36]
	s_waitcnt_depctr 0xfff
	v_fma_f64 v[45:46], -v[37:38], v[39:40], 1.0
	v_add_f64 v[13:14], v[13:14], -v[41:42]
	v_fma_f64 v[39:40], v[45:46], v[39:40], v[39:40]
	s_delay_alu instid0(VALU_DEP_1) | instskip(NEXT) | instid1(VALU_DEP_1)
	v_fma_f64 v[31:32], -v[37:38], v[39:40], 1.0
	v_fma_f64 v[31:32], v[31:32], v[39:40], v[39:40]
	s_delay_alu instid0(VALU_DEP_1) | instskip(NEXT) | instid1(VALU_DEP_1)
	v_mul_f64 v[39:40], v[43:44], v[31:32]
	v_mul_f64 v[45:46], v[37:38], v[39:40]
	s_delay_alu instid0(VALU_DEP_1) | instskip(NEXT) | instid1(VALU_DEP_1)
	v_fma_f64 v[35:36], v[39:40], v[37:38], -v[45:46]
	v_fma_f64 v[35:36], v[39:40], v[33:34], v[35:36]
	s_delay_alu instid0(VALU_DEP_1) | instskip(NEXT) | instid1(VALU_DEP_1)
	v_add_f64 v[47:48], v[45:46], v[35:36]
	v_add_f64 v[59:60], v[43:44], -v[47:48]
	v_add_f64 v[41:42], v[47:48], -v[45:46]
	s_delay_alu instid0(VALU_DEP_2) | instskip(NEXT) | instid1(VALU_DEP_2)
	v_add_f64 v[43:44], v[43:44], -v[59:60]
	v_add_f64 v[35:36], v[41:42], -v[35:36]
	s_delay_alu instid0(VALU_DEP_2) | instskip(NEXT) | instid1(VALU_DEP_1)
	v_add_f64 v[43:44], v[43:44], -v[47:48]
	v_add_f64 v[13:14], v[13:14], v[43:44]
	s_delay_alu instid0(VALU_DEP_1) | instskip(NEXT) | instid1(VALU_DEP_1)
	v_add_f64 v[13:14], v[35:36], v[13:14]
	v_add_f64 v[35:36], v[59:60], v[13:14]
	s_delay_alu instid0(VALU_DEP_1) | instskip(SKIP_1) | instid1(VALU_DEP_2)
	v_mul_f64 v[41:42], v[31:32], v[35:36]
	v_add_f64 v[47:48], v[59:60], -v[35:36]
	v_mul_f64 v[43:44], v[37:38], v[41:42]
	s_delay_alu instid0(VALU_DEP_2) | instskip(NEXT) | instid1(VALU_DEP_2)
	v_add_f64 v[13:14], v[13:14], v[47:48]
	v_fma_f64 v[37:38], v[41:42], v[37:38], -v[43:44]
	s_delay_alu instid0(VALU_DEP_1) | instskip(NEXT) | instid1(VALU_DEP_1)
	v_fma_f64 v[33:34], v[41:42], v[33:34], v[37:38]
	v_add_f64 v[37:38], v[43:44], v[33:34]
	s_delay_alu instid0(VALU_DEP_1) | instskip(SKIP_1) | instid1(VALU_DEP_2)
	v_add_f64 v[45:46], v[35:36], -v[37:38]
	v_add_f64 v[43:44], v[37:38], -v[43:44]
	;; [unrolled: 1-line block ×3, first 2 shown]
	s_delay_alu instid0(VALU_DEP_2) | instskip(NEXT) | instid1(VALU_DEP_2)
	v_add_f64 v[33:34], v[43:44], -v[33:34]
	v_add_f64 v[35:36], v[35:36], -v[37:38]
	s_delay_alu instid0(VALU_DEP_1) | instskip(SKIP_1) | instid1(VALU_DEP_2)
	v_add_f64 v[13:14], v[13:14], v[35:36]
	v_add_f64 v[35:36], v[39:40], v[41:42]
	;; [unrolled: 1-line block ×3, first 2 shown]
	s_delay_alu instid0(VALU_DEP_2) | instskip(NEXT) | instid1(VALU_DEP_2)
	v_add_f64 v[33:34], v[35:36], -v[39:40]
	v_add_f64 v[13:14], v[45:46], v[13:14]
	s_delay_alu instid0(VALU_DEP_2) | instskip(NEXT) | instid1(VALU_DEP_2)
	v_add_f64 v[33:34], v[41:42], -v[33:34]
	v_mul_f64 v[13:14], v[31:32], v[13:14]
	s_delay_alu instid0(VALU_DEP_1) | instskip(NEXT) | instid1(VALU_DEP_1)
	v_add_f64 v[13:14], v[33:34], v[13:14]
	v_add_f64 v[31:32], v[35:36], v[13:14]
	s_delay_alu instid0(VALU_DEP_1) | instskip(NEXT) | instid1(VALU_DEP_1)
	v_mul_f64 v[33:34], v[31:32], v[31:32]
	v_fma_f64 v[37:38], v[33:34], s[24:25], s[22:23]
	v_mul_f64 v[39:40], v[31:32], v[33:34]
	s_delay_alu instid0(VALU_DEP_2) | instskip(NEXT) | instid1(VALU_DEP_1)
	v_fma_f64 v[37:38], v[33:34], v[37:38], s[26:27]
	v_fma_f64 v[37:38], v[33:34], v[37:38], s[28:29]
	s_delay_alu instid0(VALU_DEP_1) | instskip(NEXT) | instid1(VALU_DEP_1)
	v_fma_f64 v[37:38], v[33:34], v[37:38], s[30:31]
	v_fma_f64 v[37:38], v[33:34], v[37:38], s[34:35]
	s_delay_alu instid0(VALU_DEP_1) | instskip(SKIP_2) | instid1(VALU_DEP_3)
	v_fma_f64 v[33:34], v[33:34], v[37:38], s[84:85]
	v_ldexp_f64 v[37:38], v[31:32], 1
	v_add_f64 v[31:32], v[31:32], -v[35:36]
	v_mul_f64 v[33:34], v[39:40], v[33:34]
	v_cvt_f64_i32_e32 v[39:40], v18
	s_delay_alu instid0(VALU_DEP_3) | instskip(NEXT) | instid1(VALU_DEP_3)
	v_add_f64 v[13:14], v[13:14], -v[31:32]
	v_add_f64 v[35:36], v[37:38], v[33:34]
	s_delay_alu instid0(VALU_DEP_3) | instskip(NEXT) | instid1(VALU_DEP_3)
	v_mul_f64 v[41:42], v[39:40], s[36:37]
	v_ldexp_f64 v[13:14], v[13:14], 1
	s_delay_alu instid0(VALU_DEP_3) | instskip(NEXT) | instid1(VALU_DEP_3)
	v_add_f64 v[31:32], v[35:36], -v[37:38]
	v_fma_f64 v[37:38], v[39:40], s[36:37], -v[41:42]
	s_delay_alu instid0(VALU_DEP_2) | instskip(NEXT) | instid1(VALU_DEP_2)
	v_add_f64 v[31:32], v[33:34], -v[31:32]
	v_fma_f64 v[33:34], v[39:40], s[38:39], v[37:38]
	s_delay_alu instid0(VALU_DEP_2) | instskip(NEXT) | instid1(VALU_DEP_2)
	v_add_f64 v[13:14], v[13:14], v[31:32]
	v_add_f64 v[31:32], v[41:42], v[33:34]
	s_delay_alu instid0(VALU_DEP_2) | instskip(NEXT) | instid1(VALU_DEP_2)
	v_add_f64 v[37:38], v[35:36], v[13:14]
	v_add_f64 v[41:42], v[31:32], -v[41:42]
	s_delay_alu instid0(VALU_DEP_2) | instskip(SKIP_1) | instid1(VALU_DEP_3)
	v_add_f64 v[39:40], v[31:32], v[37:38]
	v_add_f64 v[35:36], v[37:38], -v[35:36]
	v_add_f64 v[33:34], v[33:34], -v[41:42]
	s_delay_alu instid0(VALU_DEP_3) | instskip(NEXT) | instid1(VALU_DEP_3)
	v_add_f64 v[43:44], v[39:40], -v[31:32]
	v_add_f64 v[13:14], v[13:14], -v[35:36]
	s_delay_alu instid0(VALU_DEP_2) | instskip(SKIP_1) | instid1(VALU_DEP_3)
	v_add_f64 v[45:46], v[39:40], -v[43:44]
	v_add_f64 v[35:36], v[37:38], -v[43:44]
	v_add_f64 v[37:38], v[33:34], v[13:14]
	s_delay_alu instid0(VALU_DEP_3) | instskip(NEXT) | instid1(VALU_DEP_1)
	v_add_f64 v[31:32], v[31:32], -v[45:46]
	v_add_f64 v[31:32], v[35:36], v[31:32]
	s_delay_alu instid0(VALU_DEP_3) | instskip(NEXT) | instid1(VALU_DEP_2)
	v_add_f64 v[35:36], v[37:38], -v[33:34]
	v_add_f64 v[31:32], v[37:38], v[31:32]
	s_delay_alu instid0(VALU_DEP_2) | instskip(SKIP_1) | instid1(VALU_DEP_3)
	v_add_f64 v[37:38], v[37:38], -v[35:36]
	v_add_f64 v[13:14], v[13:14], -v[35:36]
	v_add_f64 v[41:42], v[39:40], v[31:32]
	s_delay_alu instid0(VALU_DEP_3) | instskip(NEXT) | instid1(VALU_DEP_2)
	v_add_f64 v[33:34], v[33:34], -v[37:38]
	v_add_f64 v[35:36], v[41:42], -v[39:40]
	s_delay_alu instid0(VALU_DEP_2) | instskip(NEXT) | instid1(VALU_DEP_2)
	v_add_f64 v[13:14], v[13:14], v[33:34]
	v_add_f64 v[31:32], v[31:32], -v[35:36]
	s_delay_alu instid0(VALU_DEP_1) | instskip(NEXT) | instid1(VALU_DEP_1)
	v_add_f64 v[13:14], v[13:14], v[31:32]
	v_add_f64 v[13:14], v[41:42], v[13:14]
	s_delay_alu instid0(VALU_DEP_1) | instskip(NEXT) | instid1(VALU_DEP_2)
	v_cndmask_b32_e64 v14, v14, v30, s6
	v_cndmask_b32_e64 v13, v13, v29, s6
	v_cmp_ngt_f64_e64 s6, -1.0, v[29:30]
	s_delay_alu instid0(VALU_DEP_2) | instskip(NEXT) | instid1(VALU_DEP_1)
	v_mul_f64 v[13:14], v[13:14], 0.5
	v_cndmask_b32_e64 v14, 0x7ff80000, v14, s6
	v_cmp_nge_f64_e64 s6, -1.0, v[29:30]
	s_delay_alu instid0(VALU_DEP_1) | instskip(SKIP_1) | instid1(VALU_DEP_1)
	v_cndmask_b32_e64 v13, 0, v13, s6
	v_cmp_neq_f64_e64 s6, -1.0, v[29:30]
	v_cndmask_b32_e64 v14, 0xfff00000, v14, s6
.LBB210_17:                             ;   in Loop: Header=BB210_4 Depth=1
	s_or_b32 exec_lo, exec_lo, s8
.LBB210_18:                             ;   in Loop: Header=BB210_4 Depth=1
	s_delay_alu instid0(SALU_CYCLE_1)
	s_or_b32 exec_lo, exec_lo, s7
	v_max_f64 v[29:30], |v[9:10]|, |v[9:10]|
	v_max_f64 v[31:32], |v[11:12]|, |v[11:12]|
	v_cmp_class_f64_e64 s9, v[9:10], 0x204
	v_cmp_class_f64_e64 s91, v[11:12], 0x204
	v_cmp_u_f64_e64 s7, v[9:10], v[11:12]
	s_delay_alu instid0(VALU_DEP_4) | instskip(NEXT) | instid1(VALU_DEP_3)
	v_max_f64 v[29:30], v[29:30], v[31:32]
	s_or_b32 s9, s91, s9
	s_delay_alu instid0(VALU_DEP_2) | instid1(SALU_CYCLE_1)
	s_or_b32 s7, s9, s7
	s_delay_alu instid0(VALU_DEP_1) | instskip(NEXT) | instid1(VALU_DEP_1)
	v_frexp_exp_i32_f64_e32 v18, v[29:30]
	v_sub_nc_u32_e32 v33, 0, v18
	s_delay_alu instid0(VALU_DEP_1) | instskip(SKIP_1) | instid1(VALU_DEP_2)
	v_ldexp_f64 v[29:30], |v[11:12]|, v33
	v_ldexp_f64 v[33:34], |v[9:10]|, v33
	v_mul_f64 v[29:30], v[29:30], v[29:30]
	s_delay_alu instid0(VALU_DEP_1) | instskip(NEXT) | instid1(VALU_DEP_1)
	v_fma_f64 v[29:30], v[33:34], v[33:34], v[29:30]
	v_rsq_f64_e32 v[33:34], v[29:30]
	v_cmp_eq_f64_e64 s6, 0, v[29:30]
	s_waitcnt_depctr 0xfff
	v_mul_f64 v[35:36], v[29:30], v[33:34]
	v_mul_f64 v[33:34], v[33:34], 0.5
	s_delay_alu instid0(VALU_DEP_1) | instskip(NEXT) | instid1(VALU_DEP_1)
	v_fma_f64 v[37:38], -v[33:34], v[35:36], 0.5
	v_fma_f64 v[35:36], v[35:36], v[37:38], v[35:36]
	v_fma_f64 v[33:34], v[33:34], v[37:38], v[33:34]
	s_delay_alu instid0(VALU_DEP_2) | instskip(NEXT) | instid1(VALU_DEP_1)
	v_fma_f64 v[37:38], -v[35:36], v[35:36], v[29:30]
	v_fma_f64 v[33:34], v[37:38], v[33:34], v[35:36]
	s_delay_alu instid0(VALU_DEP_1) | instskip(NEXT) | instid1(VALU_DEP_2)
	v_cndmask_b32_e64 v30, v34, v30, s6
	v_cndmask_b32_e64 v29, v33, v29, s6
	s_delay_alu instid0(VALU_DEP_1) | instskip(SKIP_1) | instid1(VALU_DEP_2)
	v_ldexp_f64 v[33:34], v[29:30], v18
	v_add_f64 v[29:30], v[9:10], 1.0
	v_cmp_ngt_f64_e64 s8, 0.5, v[33:34]
	s_delay_alu instid0(VALU_DEP_2) | instskip(SKIP_2) | instid1(VALU_DEP_4)
	v_max_f64 v[33:34], |v[29:30]|, v[31:32]
	v_cmp_o_f64_e64 s6, v[29:30], v[11:12]
	v_cmp_class_f64_e64 s92, v[29:30], 0x204
	s_or_b32 s7, s7, s8
	s_delay_alu instid0(SALU_CYCLE_1) | instskip(NEXT) | instid1(SALU_CYCLE_1)
	s_and_saveexec_b32 s8, s7
	s_xor_b32 s8, exec_lo, s8
	s_cbranch_execz .LBB210_20
; %bb.19:                               ;   in Loop: Header=BB210_4 Depth=1
	s_delay_alu instid0(VALU_DEP_3) | instskip(NEXT) | instid1(VALU_DEP_2)
	v_frexp_exp_i32_f64_e32 v18, v[33:34]
	s_or_b32 s9, s91, s92
	s_mov_b32 s85, s21
	s_delay_alu instid0(VALU_DEP_1) | instskip(NEXT) | instid1(VALU_DEP_1)
	v_sub_nc_u32_e32 v35, 0, v18
	v_ldexp_f64 v[9:10], |v[11:12]|, v35
	v_ldexp_f64 v[35:36], |v[29:30]|, v35
	s_delay_alu instid0(VALU_DEP_2) | instskip(NEXT) | instid1(VALU_DEP_1)
	v_mul_f64 v[9:10], v[9:10], v[9:10]
	v_fma_f64 v[9:10], v[35:36], v[35:36], v[9:10]
	s_delay_alu instid0(VALU_DEP_1) | instskip(SKIP_4) | instid1(VALU_DEP_1)
	v_rsq_f64_e32 v[35:36], v[9:10]
	v_cmp_eq_f64_e64 s7, 0, v[9:10]
	s_waitcnt_depctr 0xfff
	v_mul_f64 v[37:38], v[9:10], v[35:36]
	v_mul_f64 v[35:36], v[35:36], 0.5
	v_fma_f64 v[39:40], -v[35:36], v[37:38], 0.5
	s_delay_alu instid0(VALU_DEP_1) | instskip(SKIP_1) | instid1(VALU_DEP_2)
	v_fma_f64 v[37:38], v[37:38], v[39:40], v[37:38]
	v_fma_f64 v[35:36], v[35:36], v[39:40], v[35:36]
	v_fma_f64 v[39:40], -v[37:38], v[37:38], v[9:10]
	s_delay_alu instid0(VALU_DEP_1) | instskip(NEXT) | instid1(VALU_DEP_1)
	v_fma_f64 v[35:36], v[39:40], v[35:36], v[37:38]
	v_cndmask_b32_e64 v10, v36, v10, s7
	s_delay_alu instid0(VALU_DEP_2) | instskip(NEXT) | instid1(VALU_DEP_1)
	v_cndmask_b32_e64 v9, v35, v9, s7
	v_ldexp_f64 v[9:10], v[9:10], v18
	s_delay_alu instid0(VALU_DEP_1) | instskip(NEXT) | instid1(VALU_DEP_2)
	v_cndmask_b32_e64 v65, 0x7ff80000, v10, s6
	v_cndmask_b32_e64 v66, 0, v9, s6
	v_and_b32_e32 v10, 0x7fffffff, v10
	s_delay_alu instid0(VALU_DEP_3) | instskip(NEXT) | instid1(VALU_DEP_3)
	v_cndmask_b32_e64 v36, v65, 0x7ff00000, s9
	v_cndmask_b32_e64 v35, v66, 0, s9
	s_delay_alu instid0(VALU_DEP_1) | instskip(NEXT) | instid1(VALU_DEP_1)
	v_frexp_mant_f64_e32 v[37:38], v[35:36]
	v_cmp_gt_f64_e64 s7, s[20:21], v[37:38]
	s_delay_alu instid0(VALU_DEP_1) | instskip(NEXT) | instid1(VALU_DEP_1)
	v_cndmask_b32_e64 v18, 0x3ff00000, 2.0, s7
	v_mul_f64 v[37:38], v[37:38], v[17:18]
	v_frexp_exp_i32_f64_e32 v18, v[35:36]
	s_delay_alu instid0(VALU_DEP_2) | instskip(SKIP_1) | instid1(VALU_DEP_3)
	v_add_f64 v[39:40], v[37:38], 1.0
	v_add_f64 v[45:46], v[37:38], -1.0
	v_subrev_co_ci_u32_e64 v18, s7, 0, v18, s7
	v_cmp_eq_f64_e64 s7, 0x7ff00000, v[9:10]
	s_delay_alu instid0(VALU_DEP_4) | instskip(SKIP_1) | instid1(VALU_DEP_2)
	v_rcp_f64_e32 v[41:42], v[39:40]
	v_add_f64 v[47:48], v[39:40], -1.0
	s_and_b32 s7, s6, s7
	s_delay_alu instid0(VALU_DEP_1) | instskip(SKIP_2) | instid1(VALU_DEP_1)
	v_add_f64 v[37:38], v[37:38], -v[47:48]
	s_waitcnt_depctr 0xfff
	v_fma_f64 v[43:44], -v[39:40], v[41:42], 1.0
	v_fma_f64 v[41:42], v[43:44], v[41:42], v[41:42]
	s_delay_alu instid0(VALU_DEP_1) | instskip(NEXT) | instid1(VALU_DEP_1)
	v_fma_f64 v[43:44], -v[39:40], v[41:42], 1.0
	v_fma_f64 v[41:42], v[43:44], v[41:42], v[41:42]
	s_delay_alu instid0(VALU_DEP_1) | instskip(NEXT) | instid1(VALU_DEP_1)
	v_mul_f64 v[43:44], v[45:46], v[41:42]
	v_mul_f64 v[59:60], v[39:40], v[43:44]
	s_delay_alu instid0(VALU_DEP_1) | instskip(NEXT) | instid1(VALU_DEP_1)
	v_fma_f64 v[39:40], v[43:44], v[39:40], -v[59:60]
	v_fma_f64 v[37:38], v[43:44], v[37:38], v[39:40]
	s_delay_alu instid0(VALU_DEP_1) | instskip(NEXT) | instid1(VALU_DEP_1)
	v_add_f64 v[39:40], v[59:60], v[37:38]
	v_add_f64 v[47:48], v[45:46], -v[39:40]
	v_add_f64 v[59:60], v[39:40], -v[59:60]
	s_delay_alu instid0(VALU_DEP_2) | instskip(NEXT) | instid1(VALU_DEP_2)
	v_add_f64 v[45:46], v[45:46], -v[47:48]
	v_add_f64 v[37:38], v[59:60], -v[37:38]
	s_delay_alu instid0(VALU_DEP_2) | instskip(NEXT) | instid1(VALU_DEP_1)
	v_add_f64 v[39:40], v[45:46], -v[39:40]
	v_add_f64 v[37:38], v[37:38], v[39:40]
	s_delay_alu instid0(VALU_DEP_1) | instskip(NEXT) | instid1(VALU_DEP_1)
	v_add_f64 v[37:38], v[47:48], v[37:38]
	v_mul_f64 v[37:38], v[41:42], v[37:38]
	s_delay_alu instid0(VALU_DEP_1) | instskip(NEXT) | instid1(VALU_DEP_1)
	v_add_f64 v[39:40], v[43:44], v[37:38]
	v_mul_f64 v[41:42], v[39:40], v[39:40]
	s_delay_alu instid0(VALU_DEP_1) | instskip(SKIP_1) | instid1(VALU_DEP_2)
	v_fma_f64 v[45:46], v[41:42], s[24:25], s[22:23]
	v_mul_f64 v[47:48], v[39:40], v[41:42]
	v_fma_f64 v[45:46], v[41:42], v[45:46], s[26:27]
	s_delay_alu instid0(VALU_DEP_1) | instskip(NEXT) | instid1(VALU_DEP_1)
	v_fma_f64 v[45:46], v[41:42], v[45:46], s[28:29]
	v_fma_f64 v[45:46], v[41:42], v[45:46], s[30:31]
	s_delay_alu instid0(VALU_DEP_1) | instskip(NEXT) | instid1(VALU_DEP_1)
	v_fma_f64 v[45:46], v[41:42], v[45:46], s[34:35]
	v_fma_f64 v[41:42], v[41:42], v[45:46], s[84:85]
	v_ldexp_f64 v[45:46], v[39:40], 1
	v_add_f64 v[39:40], v[39:40], -v[43:44]
	s_delay_alu instid0(VALU_DEP_3) | instskip(SKIP_1) | instid1(VALU_DEP_3)
	v_mul_f64 v[41:42], v[47:48], v[41:42]
	v_cvt_f64_i32_e32 v[47:48], v18
	v_add_f64 v[37:38], v[37:38], -v[39:40]
	s_delay_alu instid0(VALU_DEP_3) | instskip(NEXT) | instid1(VALU_DEP_3)
	v_add_f64 v[43:44], v[45:46], v[41:42]
	v_mul_f64 v[59:60], v[47:48], s[36:37]
	s_delay_alu instid0(VALU_DEP_3) | instskip(NEXT) | instid1(VALU_DEP_3)
	v_ldexp_f64 v[37:38], v[37:38], 1
	v_add_f64 v[39:40], v[43:44], -v[45:46]
	s_delay_alu instid0(VALU_DEP_3) | instskip(NEXT) | instid1(VALU_DEP_2)
	v_fma_f64 v[45:46], v[47:48], s[36:37], -v[59:60]
	v_add_f64 v[39:40], v[41:42], -v[39:40]
	s_delay_alu instid0(VALU_DEP_2) | instskip(NEXT) | instid1(VALU_DEP_2)
	v_fma_f64 v[41:42], v[47:48], s[38:39], v[45:46]
	v_add_f64 v[37:38], v[37:38], v[39:40]
	s_delay_alu instid0(VALU_DEP_2) | instskip(NEXT) | instid1(VALU_DEP_2)
	v_add_f64 v[39:40], v[59:60], v[41:42]
	v_add_f64 v[45:46], v[43:44], v[37:38]
	s_delay_alu instid0(VALU_DEP_2) | instskip(NEXT) | instid1(VALU_DEP_2)
	v_add_f64 v[59:60], v[39:40], -v[59:60]
	v_add_f64 v[47:48], v[39:40], v[45:46]
	v_add_f64 v[43:44], v[45:46], -v[43:44]
	s_delay_alu instid0(VALU_DEP_3) | instskip(NEXT) | instid1(VALU_DEP_3)
	v_add_f64 v[41:42], v[41:42], -v[59:60]
	v_add_f64 v[61:62], v[47:48], -v[39:40]
	s_delay_alu instid0(VALU_DEP_3) | instskip(NEXT) | instid1(VALU_DEP_2)
	v_add_f64 v[37:38], v[37:38], -v[43:44]
	v_add_f64 v[63:64], v[47:48], -v[61:62]
	;; [unrolled: 1-line block ×3, first 2 shown]
	s_delay_alu instid0(VALU_DEP_3) | instskip(NEXT) | instid1(VALU_DEP_3)
	v_add_f64 v[45:46], v[41:42], v[37:38]
	v_add_f64 v[39:40], v[39:40], -v[63:64]
	s_delay_alu instid0(VALU_DEP_1) | instskip(NEXT) | instid1(VALU_DEP_3)
	v_add_f64 v[39:40], v[43:44], v[39:40]
	v_add_f64 v[43:44], v[45:46], -v[41:42]
	s_delay_alu instid0(VALU_DEP_2) | instskip(NEXT) | instid1(VALU_DEP_2)
	v_add_f64 v[39:40], v[45:46], v[39:40]
	v_add_f64 v[45:46], v[45:46], -v[43:44]
	v_add_f64 v[37:38], v[37:38], -v[43:44]
	s_delay_alu instid0(VALU_DEP_3) | instskip(NEXT) | instid1(VALU_DEP_3)
	v_add_f64 v[59:60], v[47:48], v[39:40]
	v_add_f64 v[41:42], v[41:42], -v[45:46]
	s_delay_alu instid0(VALU_DEP_2) | instskip(NEXT) | instid1(VALU_DEP_2)
	v_add_f64 v[43:44], v[59:60], -v[47:48]
	v_add_f64 v[37:38], v[37:38], v[41:42]
	s_delay_alu instid0(VALU_DEP_2) | instskip(NEXT) | instid1(VALU_DEP_1)
	v_add_f64 v[39:40], v[39:40], -v[43:44]
	v_add_f64 v[37:38], v[37:38], v[39:40]
	s_delay_alu instid0(VALU_DEP_1) | instskip(NEXT) | instid1(VALU_DEP_1)
	v_add_f64 v[9:10], v[59:60], v[37:38]
	v_cndmask_b32_e64 v10, v10, v65, s7
	s_delay_alu instid0(VALU_DEP_2) | instskip(SKIP_1) | instid1(VALU_DEP_3)
	v_cndmask_b32_e64 v9, v9, v66, s7
	v_cmp_ngt_f64_e64 s7, 0, v[35:36]
	v_cndmask_b32_e64 v10, v10, 0x7ff00000, s9
	s_delay_alu instid0(VALU_DEP_3) | instskip(NEXT) | instid1(VALU_DEP_2)
	v_cndmask_b32_e64 v9, v9, 0, s9
	v_cndmask_b32_e64 v10, 0x7ff80000, v10, s7
	v_cmp_nge_f64_e64 s7, 0, v[35:36]
	s_delay_alu instid0(VALU_DEP_1) | instskip(SKIP_1) | instid1(VALU_DEP_1)
	v_cndmask_b32_e64 v9, 0, v9, s7
	v_cmp_neq_f64_e64 s7, 0, v[35:36]
	v_cndmask_b32_e64 v10, 0xfff00000, v10, s7
.LBB210_20:                             ;   in Loop: Header=BB210_4 Depth=1
	s_and_not1_saveexec_b32 s8, s8
	s_cbranch_execz .LBB210_24
; %bb.21:                               ;   in Loop: Header=BB210_4 Depth=1
	s_delay_alu instid0(VALU_DEP_1) | instskip(SKIP_1) | instid1(VALU_DEP_1)
	v_add_f64 v[35:36], v[9:10], 2.0
	s_mov_b32 s9, exec_lo
	v_mul_f64 v[35:36], v[9:10], v[35:36]
	s_delay_alu instid0(VALU_DEP_1) | instskip(NEXT) | instid1(VALU_DEP_1)
	v_fma_f64 v[35:36], v[11:12], v[11:12], v[35:36]
	v_cmpx_neq_f64_e32 0, v[35:36]
	s_cbranch_execz .LBB210_23
; %bb.22:                               ;   in Loop: Header=BB210_4 Depth=1
	v_add_f64 v[9:10], v[35:36], 1.0
	s_mov_b32 s85, s21
	s_delay_alu instid0(VALU_DEP_1) | instskip(SKIP_2) | instid1(VALU_DEP_3)
	v_frexp_mant_f64_e32 v[37:38], v[9:10]
	v_frexp_exp_i32_f64_e32 v18, v[9:10]
	v_add_f64 v[39:40], v[9:10], -1.0
	v_cmp_gt_f64_e64 s7, s[20:21], v[37:38]
	s_delay_alu instid0(VALU_DEP_2) | instskip(SKIP_1) | instid1(VALU_DEP_3)
	v_add_f64 v[37:38], v[39:40], -v[9:10]
	v_add_f64 v[39:40], v[35:36], -v[39:40]
	v_subrev_co_ci_u32_e64 v18, s7, 0, v18, s7
	s_delay_alu instid0(VALU_DEP_3) | instskip(SKIP_1) | instid1(VALU_DEP_3)
	v_add_f64 v[37:38], v[37:38], 1.0
	v_cmp_eq_f64_e64 s7, 0x7ff00000, v[35:36]
	v_sub_nc_u32_e32 v43, 0, v18
	s_delay_alu instid0(VALU_DEP_1) | instskip(NEXT) | instid1(VALU_DEP_4)
	v_ldexp_f64 v[9:10], v[9:10], v43
	v_add_f64 v[37:38], v[39:40], v[37:38]
	s_delay_alu instid0(VALU_DEP_2) | instskip(SKIP_1) | instid1(VALU_DEP_3)
	v_add_f64 v[41:42], v[9:10], 1.0
	v_add_f64 v[47:48], v[9:10], -1.0
	v_ldexp_f64 v[37:38], v[37:38], v43
	s_delay_alu instid0(VALU_DEP_3) | instskip(NEXT) | instid1(VALU_DEP_3)
	v_add_f64 v[39:40], v[41:42], -1.0
	v_add_f64 v[59:60], v[47:48], 1.0
	s_delay_alu instid0(VALU_DEP_2) | instskip(NEXT) | instid1(VALU_DEP_2)
	v_add_f64 v[39:40], v[9:10], -v[39:40]
	v_add_f64 v[9:10], v[9:10], -v[59:60]
	s_delay_alu instid0(VALU_DEP_2) | instskip(NEXT) | instid1(VALU_DEP_2)
	v_add_f64 v[39:40], v[37:38], v[39:40]
	v_add_f64 v[9:10], v[37:38], v[9:10]
	s_delay_alu instid0(VALU_DEP_2) | instskip(NEXT) | instid1(VALU_DEP_2)
	v_add_f64 v[43:44], v[41:42], v[39:40]
	v_add_f64 v[59:60], v[47:48], v[9:10]
	s_delay_alu instid0(VALU_DEP_2) | instskip(SKIP_1) | instid1(VALU_DEP_2)
	v_rcp_f64_e32 v[45:46], v[43:44]
	v_add_f64 v[41:42], v[43:44], -v[41:42]
	v_add_f64 v[47:48], v[59:60], -v[47:48]
	s_delay_alu instid0(VALU_DEP_2) | instskip(SKIP_3) | instid1(VALU_DEP_2)
	v_add_f64 v[39:40], v[39:40], -v[41:42]
	s_waitcnt_depctr 0xfff
	v_fma_f64 v[61:62], -v[43:44], v[45:46], 1.0
	v_add_f64 v[9:10], v[9:10], -v[47:48]
	v_fma_f64 v[45:46], v[61:62], v[45:46], v[45:46]
	s_delay_alu instid0(VALU_DEP_1) | instskip(NEXT) | instid1(VALU_DEP_1)
	v_fma_f64 v[37:38], -v[43:44], v[45:46], 1.0
	v_fma_f64 v[37:38], v[37:38], v[45:46], v[45:46]
	s_delay_alu instid0(VALU_DEP_1) | instskip(NEXT) | instid1(VALU_DEP_1)
	v_mul_f64 v[45:46], v[59:60], v[37:38]
	v_mul_f64 v[61:62], v[43:44], v[45:46]
	s_delay_alu instid0(VALU_DEP_1) | instskip(NEXT) | instid1(VALU_DEP_1)
	v_fma_f64 v[41:42], v[45:46], v[43:44], -v[61:62]
	v_fma_f64 v[41:42], v[45:46], v[39:40], v[41:42]
	s_delay_alu instid0(VALU_DEP_1) | instskip(NEXT) | instid1(VALU_DEP_1)
	v_add_f64 v[63:64], v[61:62], v[41:42]
	v_add_f64 v[65:66], v[59:60], -v[63:64]
	v_add_f64 v[47:48], v[63:64], -v[61:62]
	s_delay_alu instid0(VALU_DEP_2) | instskip(NEXT) | instid1(VALU_DEP_2)
	v_add_f64 v[59:60], v[59:60], -v[65:66]
	v_add_f64 v[41:42], v[47:48], -v[41:42]
	s_delay_alu instid0(VALU_DEP_2) | instskip(NEXT) | instid1(VALU_DEP_1)
	v_add_f64 v[59:60], v[59:60], -v[63:64]
	v_add_f64 v[9:10], v[9:10], v[59:60]
	s_delay_alu instid0(VALU_DEP_1) | instskip(NEXT) | instid1(VALU_DEP_1)
	v_add_f64 v[9:10], v[41:42], v[9:10]
	v_add_f64 v[41:42], v[65:66], v[9:10]
	s_delay_alu instid0(VALU_DEP_1) | instskip(SKIP_1) | instid1(VALU_DEP_2)
	v_mul_f64 v[47:48], v[37:38], v[41:42]
	v_add_f64 v[63:64], v[65:66], -v[41:42]
	v_mul_f64 v[59:60], v[43:44], v[47:48]
	s_delay_alu instid0(VALU_DEP_2) | instskip(NEXT) | instid1(VALU_DEP_2)
	v_add_f64 v[9:10], v[9:10], v[63:64]
	v_fma_f64 v[43:44], v[47:48], v[43:44], -v[59:60]
	s_delay_alu instid0(VALU_DEP_1) | instskip(NEXT) | instid1(VALU_DEP_1)
	v_fma_f64 v[39:40], v[47:48], v[39:40], v[43:44]
	v_add_f64 v[43:44], v[59:60], v[39:40]
	s_delay_alu instid0(VALU_DEP_1) | instskip(SKIP_1) | instid1(VALU_DEP_2)
	v_add_f64 v[61:62], v[41:42], -v[43:44]
	v_add_f64 v[59:60], v[43:44], -v[59:60]
	;; [unrolled: 1-line block ×3, first 2 shown]
	s_delay_alu instid0(VALU_DEP_2) | instskip(NEXT) | instid1(VALU_DEP_2)
	v_add_f64 v[39:40], v[59:60], -v[39:40]
	v_add_f64 v[41:42], v[41:42], -v[43:44]
	s_delay_alu instid0(VALU_DEP_1) | instskip(SKIP_1) | instid1(VALU_DEP_2)
	v_add_f64 v[9:10], v[9:10], v[41:42]
	v_add_f64 v[41:42], v[45:46], v[47:48]
	;; [unrolled: 1-line block ×3, first 2 shown]
	s_delay_alu instid0(VALU_DEP_2) | instskip(NEXT) | instid1(VALU_DEP_2)
	v_add_f64 v[39:40], v[41:42], -v[45:46]
	v_add_f64 v[9:10], v[61:62], v[9:10]
	s_delay_alu instid0(VALU_DEP_2) | instskip(NEXT) | instid1(VALU_DEP_2)
	v_add_f64 v[39:40], v[47:48], -v[39:40]
	v_mul_f64 v[9:10], v[37:38], v[9:10]
	s_delay_alu instid0(VALU_DEP_1) | instskip(NEXT) | instid1(VALU_DEP_1)
	v_add_f64 v[9:10], v[39:40], v[9:10]
	v_add_f64 v[37:38], v[41:42], v[9:10]
	s_delay_alu instid0(VALU_DEP_1) | instskip(NEXT) | instid1(VALU_DEP_1)
	v_mul_f64 v[39:40], v[37:38], v[37:38]
	v_fma_f64 v[43:44], v[39:40], s[24:25], s[22:23]
	v_mul_f64 v[45:46], v[37:38], v[39:40]
	s_delay_alu instid0(VALU_DEP_2) | instskip(NEXT) | instid1(VALU_DEP_1)
	v_fma_f64 v[43:44], v[39:40], v[43:44], s[26:27]
	v_fma_f64 v[43:44], v[39:40], v[43:44], s[28:29]
	s_delay_alu instid0(VALU_DEP_1) | instskip(NEXT) | instid1(VALU_DEP_1)
	v_fma_f64 v[43:44], v[39:40], v[43:44], s[30:31]
	v_fma_f64 v[43:44], v[39:40], v[43:44], s[34:35]
	s_delay_alu instid0(VALU_DEP_1) | instskip(SKIP_2) | instid1(VALU_DEP_3)
	v_fma_f64 v[39:40], v[39:40], v[43:44], s[84:85]
	v_ldexp_f64 v[43:44], v[37:38], 1
	v_add_f64 v[37:38], v[37:38], -v[41:42]
	v_mul_f64 v[39:40], v[45:46], v[39:40]
	v_cvt_f64_i32_e32 v[45:46], v18
	s_delay_alu instid0(VALU_DEP_3) | instskip(NEXT) | instid1(VALU_DEP_3)
	v_add_f64 v[9:10], v[9:10], -v[37:38]
	v_add_f64 v[41:42], v[43:44], v[39:40]
	s_delay_alu instid0(VALU_DEP_3) | instskip(NEXT) | instid1(VALU_DEP_3)
	v_mul_f64 v[47:48], v[45:46], s[36:37]
	v_ldexp_f64 v[9:10], v[9:10], 1
	s_delay_alu instid0(VALU_DEP_3) | instskip(NEXT) | instid1(VALU_DEP_3)
	v_add_f64 v[37:38], v[41:42], -v[43:44]
	v_fma_f64 v[43:44], v[45:46], s[36:37], -v[47:48]
	s_delay_alu instid0(VALU_DEP_2) | instskip(NEXT) | instid1(VALU_DEP_2)
	v_add_f64 v[37:38], v[39:40], -v[37:38]
	v_fma_f64 v[39:40], v[45:46], s[38:39], v[43:44]
	s_delay_alu instid0(VALU_DEP_2) | instskip(NEXT) | instid1(VALU_DEP_2)
	v_add_f64 v[9:10], v[9:10], v[37:38]
	v_add_f64 v[37:38], v[47:48], v[39:40]
	s_delay_alu instid0(VALU_DEP_2) | instskip(NEXT) | instid1(VALU_DEP_2)
	v_add_f64 v[43:44], v[41:42], v[9:10]
	v_add_f64 v[47:48], v[37:38], -v[47:48]
	s_delay_alu instid0(VALU_DEP_2) | instskip(SKIP_1) | instid1(VALU_DEP_3)
	v_add_f64 v[45:46], v[37:38], v[43:44]
	v_add_f64 v[41:42], v[43:44], -v[41:42]
	v_add_f64 v[39:40], v[39:40], -v[47:48]
	s_delay_alu instid0(VALU_DEP_3) | instskip(NEXT) | instid1(VALU_DEP_3)
	v_add_f64 v[59:60], v[45:46], -v[37:38]
	v_add_f64 v[9:10], v[9:10], -v[41:42]
	s_delay_alu instid0(VALU_DEP_2) | instskip(SKIP_1) | instid1(VALU_DEP_3)
	v_add_f64 v[61:62], v[45:46], -v[59:60]
	v_add_f64 v[41:42], v[43:44], -v[59:60]
	v_add_f64 v[43:44], v[39:40], v[9:10]
	s_delay_alu instid0(VALU_DEP_3) | instskip(NEXT) | instid1(VALU_DEP_1)
	v_add_f64 v[37:38], v[37:38], -v[61:62]
	v_add_f64 v[37:38], v[41:42], v[37:38]
	s_delay_alu instid0(VALU_DEP_3) | instskip(NEXT) | instid1(VALU_DEP_2)
	v_add_f64 v[41:42], v[43:44], -v[39:40]
	v_add_f64 v[37:38], v[43:44], v[37:38]
	s_delay_alu instid0(VALU_DEP_2) | instskip(SKIP_1) | instid1(VALU_DEP_3)
	v_add_f64 v[43:44], v[43:44], -v[41:42]
	v_add_f64 v[9:10], v[9:10], -v[41:42]
	v_add_f64 v[47:48], v[45:46], v[37:38]
	s_delay_alu instid0(VALU_DEP_3) | instskip(NEXT) | instid1(VALU_DEP_2)
	v_add_f64 v[39:40], v[39:40], -v[43:44]
	v_add_f64 v[41:42], v[47:48], -v[45:46]
	s_delay_alu instid0(VALU_DEP_2) | instskip(NEXT) | instid1(VALU_DEP_2)
	v_add_f64 v[9:10], v[9:10], v[39:40]
	v_add_f64 v[37:38], v[37:38], -v[41:42]
	s_delay_alu instid0(VALU_DEP_1) | instskip(NEXT) | instid1(VALU_DEP_1)
	v_add_f64 v[9:10], v[9:10], v[37:38]
	v_add_f64 v[9:10], v[47:48], v[9:10]
	s_delay_alu instid0(VALU_DEP_1) | instskip(NEXT) | instid1(VALU_DEP_2)
	v_cndmask_b32_e64 v10, v10, v36, s7
	v_cndmask_b32_e64 v9, v9, v35, s7
	v_cmp_ngt_f64_e64 s7, -1.0, v[35:36]
	s_delay_alu instid0(VALU_DEP_2) | instskip(NEXT) | instid1(VALU_DEP_1)
	v_mul_f64 v[9:10], v[9:10], 0.5
	v_cndmask_b32_e64 v10, 0x7ff80000, v10, s7
	v_cmp_nge_f64_e64 s7, -1.0, v[35:36]
	s_delay_alu instid0(VALU_DEP_1) | instskip(SKIP_1) | instid1(VALU_DEP_1)
	v_cndmask_b32_e64 v9, 0, v9, s7
	v_cmp_neq_f64_e64 s7, -1.0, v[35:36]
	v_cndmask_b32_e64 v10, 0xfff00000, v10, s7
.LBB210_23:                             ;   in Loop: Header=BB210_4 Depth=1
	s_or_b32 exec_lo, exec_lo, s9
.LBB210_24:                             ;   in Loop: Header=BB210_4 Depth=1
	s_delay_alu instid0(SALU_CYCLE_1)
	s_or_b32 exec_lo, exec_lo, s8
	v_max_f64 v[35:36], |v[5:6]|, |v[5:6]|
	v_max_f64 v[37:38], |v[7:8]|, |v[7:8]|
	v_cmp_class_f64_e64 s10, v[5:6], 0x204
	v_cmp_class_f64_e64 s93, v[7:8], 0x204
	v_cmp_u_f64_e64 s8, v[5:6], v[7:8]
	s_delay_alu instid0(VALU_DEP_4) | instskip(NEXT) | instid1(VALU_DEP_3)
	v_max_f64 v[35:36], v[35:36], v[37:38]
	s_or_b32 s10, s93, s10
	s_delay_alu instid0(VALU_DEP_2) | instid1(SALU_CYCLE_1)
	s_or_b32 s8, s10, s8
	s_delay_alu instid0(VALU_DEP_1) | instskip(NEXT) | instid1(VALU_DEP_1)
	v_frexp_exp_i32_f64_e32 v18, v[35:36]
	v_sub_nc_u32_e32 v39, 0, v18
	s_delay_alu instid0(VALU_DEP_1) | instskip(SKIP_1) | instid1(VALU_DEP_2)
	v_ldexp_f64 v[35:36], |v[7:8]|, v39
	v_ldexp_f64 v[39:40], |v[5:6]|, v39
	v_mul_f64 v[35:36], v[35:36], v[35:36]
	s_delay_alu instid0(VALU_DEP_1) | instskip(NEXT) | instid1(VALU_DEP_1)
	v_fma_f64 v[35:36], v[39:40], v[39:40], v[35:36]
	v_rsq_f64_e32 v[39:40], v[35:36]
	v_cmp_eq_f64_e64 s7, 0, v[35:36]
	s_waitcnt_depctr 0xfff
	v_mul_f64 v[41:42], v[35:36], v[39:40]
	v_mul_f64 v[39:40], v[39:40], 0.5
	s_delay_alu instid0(VALU_DEP_1) | instskip(NEXT) | instid1(VALU_DEP_1)
	v_fma_f64 v[43:44], -v[39:40], v[41:42], 0.5
	v_fma_f64 v[41:42], v[41:42], v[43:44], v[41:42]
	v_fma_f64 v[39:40], v[39:40], v[43:44], v[39:40]
	s_delay_alu instid0(VALU_DEP_2) | instskip(NEXT) | instid1(VALU_DEP_1)
	v_fma_f64 v[43:44], -v[41:42], v[41:42], v[35:36]
	v_fma_f64 v[39:40], v[43:44], v[39:40], v[41:42]
	s_delay_alu instid0(VALU_DEP_1) | instskip(NEXT) | instid1(VALU_DEP_2)
	v_cndmask_b32_e64 v36, v40, v36, s7
	v_cndmask_b32_e64 v35, v39, v35, s7
	s_delay_alu instid0(VALU_DEP_1) | instskip(SKIP_1) | instid1(VALU_DEP_2)
	v_ldexp_f64 v[39:40], v[35:36], v18
	v_add_f64 v[35:36], v[5:6], 1.0
	v_cmp_ngt_f64_e64 s9, 0.5, v[39:40]
	s_delay_alu instid0(VALU_DEP_2) | instskip(SKIP_2) | instid1(VALU_DEP_4)
	v_max_f64 v[39:40], |v[35:36]|, v[37:38]
	v_cmp_o_f64_e64 s7, v[35:36], v[7:8]
	v_cmp_class_f64_e64 s94, v[35:36], 0x204
	s_or_b32 s8, s8, s9
	s_delay_alu instid0(SALU_CYCLE_1) | instskip(NEXT) | instid1(SALU_CYCLE_1)
	s_and_saveexec_b32 s9, s8
	s_xor_b32 s9, exec_lo, s9
	s_cbranch_execz .LBB210_26
; %bb.25:                               ;   in Loop: Header=BB210_4 Depth=1
	s_delay_alu instid0(VALU_DEP_3) | instskip(NEXT) | instid1(VALU_DEP_2)
	v_frexp_exp_i32_f64_e32 v18, v[39:40]
	s_or_b32 s10, s93, s94
	s_mov_b32 s85, s21
	s_delay_alu instid0(VALU_DEP_1) | instskip(NEXT) | instid1(VALU_DEP_1)
	v_sub_nc_u32_e32 v41, 0, v18
	v_ldexp_f64 v[5:6], |v[7:8]|, v41
	v_ldexp_f64 v[41:42], |v[35:36]|, v41
	s_delay_alu instid0(VALU_DEP_2) | instskip(NEXT) | instid1(VALU_DEP_1)
	v_mul_f64 v[5:6], v[5:6], v[5:6]
	v_fma_f64 v[5:6], v[41:42], v[41:42], v[5:6]
	s_delay_alu instid0(VALU_DEP_1) | instskip(SKIP_4) | instid1(VALU_DEP_1)
	v_rsq_f64_e32 v[41:42], v[5:6]
	v_cmp_eq_f64_e64 s8, 0, v[5:6]
	s_waitcnt_depctr 0xfff
	v_mul_f64 v[43:44], v[5:6], v[41:42]
	v_mul_f64 v[41:42], v[41:42], 0.5
	v_fma_f64 v[45:46], -v[41:42], v[43:44], 0.5
	s_delay_alu instid0(VALU_DEP_1) | instskip(SKIP_1) | instid1(VALU_DEP_2)
	v_fma_f64 v[43:44], v[43:44], v[45:46], v[43:44]
	v_fma_f64 v[41:42], v[41:42], v[45:46], v[41:42]
	v_fma_f64 v[45:46], -v[43:44], v[43:44], v[5:6]
	s_delay_alu instid0(VALU_DEP_1) | instskip(NEXT) | instid1(VALU_DEP_1)
	v_fma_f64 v[41:42], v[45:46], v[41:42], v[43:44]
	v_cndmask_b32_e64 v6, v42, v6, s8
	s_delay_alu instid0(VALU_DEP_2) | instskip(NEXT) | instid1(VALU_DEP_1)
	v_cndmask_b32_e64 v5, v41, v5, s8
	v_ldexp_f64 v[5:6], v[5:6], v18
	s_delay_alu instid0(VALU_DEP_1) | instskip(NEXT) | instid1(VALU_DEP_2)
	v_cndmask_b32_e64 v71, 0x7ff80000, v6, s7
	v_cndmask_b32_e64 v72, 0, v5, s7
	v_and_b32_e32 v6, 0x7fffffff, v6
	s_delay_alu instid0(VALU_DEP_3) | instskip(NEXT) | instid1(VALU_DEP_3)
	v_cndmask_b32_e64 v42, v71, 0x7ff00000, s10
	v_cndmask_b32_e64 v41, v72, 0, s10
	s_delay_alu instid0(VALU_DEP_1) | instskip(NEXT) | instid1(VALU_DEP_1)
	v_frexp_mant_f64_e32 v[43:44], v[41:42]
	v_cmp_gt_f64_e64 s8, s[20:21], v[43:44]
	s_delay_alu instid0(VALU_DEP_1) | instskip(NEXT) | instid1(VALU_DEP_1)
	v_cndmask_b32_e64 v18, 0x3ff00000, 2.0, s8
	v_mul_f64 v[43:44], v[43:44], v[17:18]
	v_frexp_exp_i32_f64_e32 v18, v[41:42]
	s_delay_alu instid0(VALU_DEP_2) | instskip(SKIP_1) | instid1(VALU_DEP_3)
	v_add_f64 v[45:46], v[43:44], 1.0
	v_add_f64 v[61:62], v[43:44], -1.0
	v_subrev_co_ci_u32_e64 v18, s8, 0, v18, s8
	v_cmp_eq_f64_e64 s8, 0x7ff00000, v[5:6]
	s_delay_alu instid0(VALU_DEP_4) | instskip(SKIP_1) | instid1(VALU_DEP_2)
	v_rcp_f64_e32 v[47:48], v[45:46]
	v_add_f64 v[63:64], v[45:46], -1.0
	s_and_b32 s8, s7, s8
	s_delay_alu instid0(VALU_DEP_1) | instskip(SKIP_2) | instid1(VALU_DEP_1)
	v_add_f64 v[43:44], v[43:44], -v[63:64]
	s_waitcnt_depctr 0xfff
	v_fma_f64 v[59:60], -v[45:46], v[47:48], 1.0
	v_fma_f64 v[47:48], v[59:60], v[47:48], v[47:48]
	s_delay_alu instid0(VALU_DEP_1) | instskip(NEXT) | instid1(VALU_DEP_1)
	v_fma_f64 v[59:60], -v[45:46], v[47:48], 1.0
	v_fma_f64 v[47:48], v[59:60], v[47:48], v[47:48]
	s_delay_alu instid0(VALU_DEP_1) | instskip(NEXT) | instid1(VALU_DEP_1)
	v_mul_f64 v[59:60], v[61:62], v[47:48]
	v_mul_f64 v[65:66], v[45:46], v[59:60]
	s_delay_alu instid0(VALU_DEP_1) | instskip(NEXT) | instid1(VALU_DEP_1)
	v_fma_f64 v[45:46], v[59:60], v[45:46], -v[65:66]
	v_fma_f64 v[43:44], v[59:60], v[43:44], v[45:46]
	s_delay_alu instid0(VALU_DEP_1) | instskip(NEXT) | instid1(VALU_DEP_1)
	v_add_f64 v[45:46], v[65:66], v[43:44]
	v_add_f64 v[63:64], v[61:62], -v[45:46]
	v_add_f64 v[65:66], v[45:46], -v[65:66]
	s_delay_alu instid0(VALU_DEP_2) | instskip(NEXT) | instid1(VALU_DEP_2)
	v_add_f64 v[61:62], v[61:62], -v[63:64]
	v_add_f64 v[43:44], v[65:66], -v[43:44]
	s_delay_alu instid0(VALU_DEP_2) | instskip(NEXT) | instid1(VALU_DEP_1)
	v_add_f64 v[45:46], v[61:62], -v[45:46]
	v_add_f64 v[43:44], v[43:44], v[45:46]
	s_delay_alu instid0(VALU_DEP_1) | instskip(NEXT) | instid1(VALU_DEP_1)
	v_add_f64 v[43:44], v[63:64], v[43:44]
	v_mul_f64 v[43:44], v[47:48], v[43:44]
	s_delay_alu instid0(VALU_DEP_1) | instskip(NEXT) | instid1(VALU_DEP_1)
	v_add_f64 v[45:46], v[59:60], v[43:44]
	v_mul_f64 v[47:48], v[45:46], v[45:46]
	s_delay_alu instid0(VALU_DEP_1) | instskip(SKIP_1) | instid1(VALU_DEP_2)
	v_fma_f64 v[61:62], v[47:48], s[24:25], s[22:23]
	v_mul_f64 v[63:64], v[45:46], v[47:48]
	v_fma_f64 v[61:62], v[47:48], v[61:62], s[26:27]
	s_delay_alu instid0(VALU_DEP_1) | instskip(NEXT) | instid1(VALU_DEP_1)
	v_fma_f64 v[61:62], v[47:48], v[61:62], s[28:29]
	v_fma_f64 v[61:62], v[47:48], v[61:62], s[30:31]
	s_delay_alu instid0(VALU_DEP_1) | instskip(NEXT) | instid1(VALU_DEP_1)
	v_fma_f64 v[61:62], v[47:48], v[61:62], s[34:35]
	v_fma_f64 v[47:48], v[47:48], v[61:62], s[84:85]
	v_ldexp_f64 v[61:62], v[45:46], 1
	v_add_f64 v[45:46], v[45:46], -v[59:60]
	s_delay_alu instid0(VALU_DEP_3) | instskip(SKIP_1) | instid1(VALU_DEP_3)
	v_mul_f64 v[47:48], v[63:64], v[47:48]
	v_cvt_f64_i32_e32 v[63:64], v18
	v_add_f64 v[43:44], v[43:44], -v[45:46]
	s_delay_alu instid0(VALU_DEP_3) | instskip(NEXT) | instid1(VALU_DEP_3)
	v_add_f64 v[59:60], v[61:62], v[47:48]
	v_mul_f64 v[65:66], v[63:64], s[36:37]
	s_delay_alu instid0(VALU_DEP_3) | instskip(NEXT) | instid1(VALU_DEP_3)
	v_ldexp_f64 v[43:44], v[43:44], 1
	v_add_f64 v[45:46], v[59:60], -v[61:62]
	s_delay_alu instid0(VALU_DEP_3) | instskip(NEXT) | instid1(VALU_DEP_2)
	v_fma_f64 v[61:62], v[63:64], s[36:37], -v[65:66]
	v_add_f64 v[45:46], v[47:48], -v[45:46]
	s_delay_alu instid0(VALU_DEP_2) | instskip(NEXT) | instid1(VALU_DEP_2)
	v_fma_f64 v[47:48], v[63:64], s[38:39], v[61:62]
	v_add_f64 v[43:44], v[43:44], v[45:46]
	s_delay_alu instid0(VALU_DEP_2) | instskip(NEXT) | instid1(VALU_DEP_2)
	v_add_f64 v[45:46], v[65:66], v[47:48]
	v_add_f64 v[61:62], v[59:60], v[43:44]
	s_delay_alu instid0(VALU_DEP_2) | instskip(NEXT) | instid1(VALU_DEP_2)
	v_add_f64 v[65:66], v[45:46], -v[65:66]
	v_add_f64 v[63:64], v[45:46], v[61:62]
	v_add_f64 v[59:60], v[61:62], -v[59:60]
	s_delay_alu instid0(VALU_DEP_3) | instskip(NEXT) | instid1(VALU_DEP_3)
	v_add_f64 v[47:48], v[47:48], -v[65:66]
	v_add_f64 v[67:68], v[63:64], -v[45:46]
	s_delay_alu instid0(VALU_DEP_3) | instskip(NEXT) | instid1(VALU_DEP_2)
	v_add_f64 v[43:44], v[43:44], -v[59:60]
	v_add_f64 v[69:70], v[63:64], -v[67:68]
	;; [unrolled: 1-line block ×3, first 2 shown]
	s_delay_alu instid0(VALU_DEP_3) | instskip(NEXT) | instid1(VALU_DEP_3)
	v_add_f64 v[61:62], v[47:48], v[43:44]
	v_add_f64 v[45:46], v[45:46], -v[69:70]
	s_delay_alu instid0(VALU_DEP_1) | instskip(NEXT) | instid1(VALU_DEP_3)
	v_add_f64 v[45:46], v[59:60], v[45:46]
	v_add_f64 v[59:60], v[61:62], -v[47:48]
	s_delay_alu instid0(VALU_DEP_2) | instskip(NEXT) | instid1(VALU_DEP_2)
	v_add_f64 v[45:46], v[61:62], v[45:46]
	v_add_f64 v[61:62], v[61:62], -v[59:60]
	v_add_f64 v[43:44], v[43:44], -v[59:60]
	s_delay_alu instid0(VALU_DEP_3) | instskip(NEXT) | instid1(VALU_DEP_3)
	v_add_f64 v[65:66], v[63:64], v[45:46]
	v_add_f64 v[47:48], v[47:48], -v[61:62]
	s_delay_alu instid0(VALU_DEP_2) | instskip(NEXT) | instid1(VALU_DEP_2)
	v_add_f64 v[59:60], v[65:66], -v[63:64]
	v_add_f64 v[43:44], v[43:44], v[47:48]
	s_delay_alu instid0(VALU_DEP_2) | instskip(NEXT) | instid1(VALU_DEP_1)
	v_add_f64 v[45:46], v[45:46], -v[59:60]
	v_add_f64 v[43:44], v[43:44], v[45:46]
	s_delay_alu instid0(VALU_DEP_1) | instskip(NEXT) | instid1(VALU_DEP_1)
	v_add_f64 v[5:6], v[65:66], v[43:44]
	v_cndmask_b32_e64 v6, v6, v71, s8
	s_delay_alu instid0(VALU_DEP_2) | instskip(SKIP_1) | instid1(VALU_DEP_3)
	v_cndmask_b32_e64 v5, v5, v72, s8
	v_cmp_ngt_f64_e64 s8, 0, v[41:42]
	v_cndmask_b32_e64 v6, v6, 0x7ff00000, s10
	s_delay_alu instid0(VALU_DEP_3) | instskip(NEXT) | instid1(VALU_DEP_2)
	v_cndmask_b32_e64 v5, v5, 0, s10
	v_cndmask_b32_e64 v6, 0x7ff80000, v6, s8
	v_cmp_nge_f64_e64 s8, 0, v[41:42]
	s_delay_alu instid0(VALU_DEP_1) | instskip(SKIP_1) | instid1(VALU_DEP_1)
	v_cndmask_b32_e64 v5, 0, v5, s8
	v_cmp_neq_f64_e64 s8, 0, v[41:42]
	v_cndmask_b32_e64 v6, 0xfff00000, v6, s8
.LBB210_26:                             ;   in Loop: Header=BB210_4 Depth=1
	s_and_not1_saveexec_b32 s9, s9
	s_cbranch_execz .LBB210_30
; %bb.27:                               ;   in Loop: Header=BB210_4 Depth=1
	s_delay_alu instid0(VALU_DEP_1) | instskip(SKIP_1) | instid1(VALU_DEP_1)
	v_add_f64 v[41:42], v[5:6], 2.0
	s_mov_b32 s10, exec_lo
	v_mul_f64 v[41:42], v[5:6], v[41:42]
	s_delay_alu instid0(VALU_DEP_1) | instskip(NEXT) | instid1(VALU_DEP_1)
	v_fma_f64 v[41:42], v[7:8], v[7:8], v[41:42]
	v_cmpx_neq_f64_e32 0, v[41:42]
	s_cbranch_execz .LBB210_29
; %bb.28:                               ;   in Loop: Header=BB210_4 Depth=1
	v_add_f64 v[5:6], v[41:42], 1.0
	s_mov_b32 s85, s21
	s_delay_alu instid0(VALU_DEP_1) | instskip(SKIP_2) | instid1(VALU_DEP_3)
	v_frexp_mant_f64_e32 v[43:44], v[5:6]
	v_frexp_exp_i32_f64_e32 v18, v[5:6]
	v_add_f64 v[45:46], v[5:6], -1.0
	v_cmp_gt_f64_e64 s8, s[20:21], v[43:44]
	s_delay_alu instid0(VALU_DEP_2) | instskip(SKIP_1) | instid1(VALU_DEP_3)
	v_add_f64 v[43:44], v[45:46], -v[5:6]
	v_add_f64 v[45:46], v[41:42], -v[45:46]
	v_subrev_co_ci_u32_e64 v18, s8, 0, v18, s8
	s_delay_alu instid0(VALU_DEP_3) | instskip(SKIP_1) | instid1(VALU_DEP_3)
	v_add_f64 v[43:44], v[43:44], 1.0
	v_cmp_eq_f64_e64 s8, 0x7ff00000, v[41:42]
	v_sub_nc_u32_e32 v59, 0, v18
	s_delay_alu instid0(VALU_DEP_1) | instskip(NEXT) | instid1(VALU_DEP_4)
	v_ldexp_f64 v[5:6], v[5:6], v59
	v_add_f64 v[43:44], v[45:46], v[43:44]
	s_delay_alu instid0(VALU_DEP_2) | instskip(SKIP_1) | instid1(VALU_DEP_3)
	v_add_f64 v[47:48], v[5:6], 1.0
	v_add_f64 v[63:64], v[5:6], -1.0
	v_ldexp_f64 v[43:44], v[43:44], v59
	s_delay_alu instid0(VALU_DEP_3) | instskip(NEXT) | instid1(VALU_DEP_3)
	v_add_f64 v[45:46], v[47:48], -1.0
	v_add_f64 v[65:66], v[63:64], 1.0
	s_delay_alu instid0(VALU_DEP_2) | instskip(NEXT) | instid1(VALU_DEP_2)
	v_add_f64 v[45:46], v[5:6], -v[45:46]
	v_add_f64 v[5:6], v[5:6], -v[65:66]
	s_delay_alu instid0(VALU_DEP_2) | instskip(NEXT) | instid1(VALU_DEP_2)
	v_add_f64 v[45:46], v[43:44], v[45:46]
	v_add_f64 v[5:6], v[43:44], v[5:6]
	s_delay_alu instid0(VALU_DEP_2) | instskip(NEXT) | instid1(VALU_DEP_2)
	v_add_f64 v[59:60], v[47:48], v[45:46]
	v_add_f64 v[65:66], v[63:64], v[5:6]
	s_delay_alu instid0(VALU_DEP_2) | instskip(SKIP_1) | instid1(VALU_DEP_2)
	v_rcp_f64_e32 v[61:62], v[59:60]
	v_add_f64 v[47:48], v[59:60], -v[47:48]
	v_add_f64 v[63:64], v[65:66], -v[63:64]
	s_delay_alu instid0(VALU_DEP_2) | instskip(SKIP_3) | instid1(VALU_DEP_2)
	v_add_f64 v[45:46], v[45:46], -v[47:48]
	s_waitcnt_depctr 0xfff
	v_fma_f64 v[67:68], -v[59:60], v[61:62], 1.0
	v_add_f64 v[5:6], v[5:6], -v[63:64]
	v_fma_f64 v[61:62], v[67:68], v[61:62], v[61:62]
	s_delay_alu instid0(VALU_DEP_1) | instskip(NEXT) | instid1(VALU_DEP_1)
	v_fma_f64 v[43:44], -v[59:60], v[61:62], 1.0
	v_fma_f64 v[43:44], v[43:44], v[61:62], v[61:62]
	s_delay_alu instid0(VALU_DEP_1) | instskip(NEXT) | instid1(VALU_DEP_1)
	v_mul_f64 v[61:62], v[65:66], v[43:44]
	v_mul_f64 v[67:68], v[59:60], v[61:62]
	s_delay_alu instid0(VALU_DEP_1) | instskip(NEXT) | instid1(VALU_DEP_1)
	v_fma_f64 v[47:48], v[61:62], v[59:60], -v[67:68]
	v_fma_f64 v[47:48], v[61:62], v[45:46], v[47:48]
	s_delay_alu instid0(VALU_DEP_1) | instskip(NEXT) | instid1(VALU_DEP_1)
	v_add_f64 v[69:70], v[67:68], v[47:48]
	v_add_f64 v[71:72], v[65:66], -v[69:70]
	v_add_f64 v[63:64], v[69:70], -v[67:68]
	s_delay_alu instid0(VALU_DEP_2) | instskip(NEXT) | instid1(VALU_DEP_2)
	v_add_f64 v[65:66], v[65:66], -v[71:72]
	v_add_f64 v[47:48], v[63:64], -v[47:48]
	s_delay_alu instid0(VALU_DEP_2) | instskip(NEXT) | instid1(VALU_DEP_1)
	v_add_f64 v[65:66], v[65:66], -v[69:70]
	v_add_f64 v[5:6], v[5:6], v[65:66]
	s_delay_alu instid0(VALU_DEP_1) | instskip(NEXT) | instid1(VALU_DEP_1)
	v_add_f64 v[5:6], v[47:48], v[5:6]
	v_add_f64 v[47:48], v[71:72], v[5:6]
	s_delay_alu instid0(VALU_DEP_1) | instskip(SKIP_1) | instid1(VALU_DEP_2)
	v_mul_f64 v[63:64], v[43:44], v[47:48]
	v_add_f64 v[69:70], v[71:72], -v[47:48]
	v_mul_f64 v[65:66], v[59:60], v[63:64]
	s_delay_alu instid0(VALU_DEP_2) | instskip(NEXT) | instid1(VALU_DEP_2)
	v_add_f64 v[5:6], v[5:6], v[69:70]
	v_fma_f64 v[59:60], v[63:64], v[59:60], -v[65:66]
	s_delay_alu instid0(VALU_DEP_1) | instskip(NEXT) | instid1(VALU_DEP_1)
	v_fma_f64 v[45:46], v[63:64], v[45:46], v[59:60]
	v_add_f64 v[59:60], v[65:66], v[45:46]
	s_delay_alu instid0(VALU_DEP_1) | instskip(SKIP_1) | instid1(VALU_DEP_2)
	v_add_f64 v[67:68], v[47:48], -v[59:60]
	v_add_f64 v[65:66], v[59:60], -v[65:66]
	;; [unrolled: 1-line block ×3, first 2 shown]
	s_delay_alu instid0(VALU_DEP_2) | instskip(NEXT) | instid1(VALU_DEP_2)
	v_add_f64 v[45:46], v[65:66], -v[45:46]
	v_add_f64 v[47:48], v[47:48], -v[59:60]
	s_delay_alu instid0(VALU_DEP_1) | instskip(SKIP_1) | instid1(VALU_DEP_2)
	v_add_f64 v[5:6], v[5:6], v[47:48]
	v_add_f64 v[47:48], v[61:62], v[63:64]
	v_add_f64 v[5:6], v[45:46], v[5:6]
	s_delay_alu instid0(VALU_DEP_2) | instskip(NEXT) | instid1(VALU_DEP_2)
	v_add_f64 v[45:46], v[47:48], -v[61:62]
	v_add_f64 v[5:6], v[67:68], v[5:6]
	s_delay_alu instid0(VALU_DEP_2) | instskip(NEXT) | instid1(VALU_DEP_2)
	v_add_f64 v[45:46], v[63:64], -v[45:46]
	v_mul_f64 v[5:6], v[43:44], v[5:6]
	s_delay_alu instid0(VALU_DEP_1) | instskip(NEXT) | instid1(VALU_DEP_1)
	v_add_f64 v[5:6], v[45:46], v[5:6]
	v_add_f64 v[43:44], v[47:48], v[5:6]
	s_delay_alu instid0(VALU_DEP_1) | instskip(NEXT) | instid1(VALU_DEP_1)
	v_mul_f64 v[45:46], v[43:44], v[43:44]
	v_fma_f64 v[59:60], v[45:46], s[24:25], s[22:23]
	v_mul_f64 v[61:62], v[43:44], v[45:46]
	s_delay_alu instid0(VALU_DEP_2) | instskip(NEXT) | instid1(VALU_DEP_1)
	v_fma_f64 v[59:60], v[45:46], v[59:60], s[26:27]
	v_fma_f64 v[59:60], v[45:46], v[59:60], s[28:29]
	s_delay_alu instid0(VALU_DEP_1) | instskip(NEXT) | instid1(VALU_DEP_1)
	v_fma_f64 v[59:60], v[45:46], v[59:60], s[30:31]
	v_fma_f64 v[59:60], v[45:46], v[59:60], s[34:35]
	s_delay_alu instid0(VALU_DEP_1) | instskip(SKIP_2) | instid1(VALU_DEP_3)
	v_fma_f64 v[45:46], v[45:46], v[59:60], s[84:85]
	v_ldexp_f64 v[59:60], v[43:44], 1
	v_add_f64 v[43:44], v[43:44], -v[47:48]
	v_mul_f64 v[45:46], v[61:62], v[45:46]
	v_cvt_f64_i32_e32 v[61:62], v18
	s_delay_alu instid0(VALU_DEP_3) | instskip(NEXT) | instid1(VALU_DEP_3)
	v_add_f64 v[5:6], v[5:6], -v[43:44]
	v_add_f64 v[47:48], v[59:60], v[45:46]
	s_delay_alu instid0(VALU_DEP_3) | instskip(NEXT) | instid1(VALU_DEP_3)
	v_mul_f64 v[63:64], v[61:62], s[36:37]
	v_ldexp_f64 v[5:6], v[5:6], 1
	s_delay_alu instid0(VALU_DEP_3) | instskip(NEXT) | instid1(VALU_DEP_3)
	v_add_f64 v[43:44], v[47:48], -v[59:60]
	v_fma_f64 v[59:60], v[61:62], s[36:37], -v[63:64]
	s_delay_alu instid0(VALU_DEP_2) | instskip(NEXT) | instid1(VALU_DEP_2)
	v_add_f64 v[43:44], v[45:46], -v[43:44]
	v_fma_f64 v[45:46], v[61:62], s[38:39], v[59:60]
	s_delay_alu instid0(VALU_DEP_2) | instskip(NEXT) | instid1(VALU_DEP_2)
	v_add_f64 v[5:6], v[5:6], v[43:44]
	v_add_f64 v[43:44], v[63:64], v[45:46]
	s_delay_alu instid0(VALU_DEP_2) | instskip(NEXT) | instid1(VALU_DEP_2)
	v_add_f64 v[59:60], v[47:48], v[5:6]
	v_add_f64 v[63:64], v[43:44], -v[63:64]
	s_delay_alu instid0(VALU_DEP_2) | instskip(SKIP_1) | instid1(VALU_DEP_3)
	v_add_f64 v[61:62], v[43:44], v[59:60]
	v_add_f64 v[47:48], v[59:60], -v[47:48]
	v_add_f64 v[45:46], v[45:46], -v[63:64]
	s_delay_alu instid0(VALU_DEP_3) | instskip(NEXT) | instid1(VALU_DEP_3)
	v_add_f64 v[65:66], v[61:62], -v[43:44]
	v_add_f64 v[5:6], v[5:6], -v[47:48]
	s_delay_alu instid0(VALU_DEP_2) | instskip(SKIP_1) | instid1(VALU_DEP_3)
	v_add_f64 v[67:68], v[61:62], -v[65:66]
	v_add_f64 v[47:48], v[59:60], -v[65:66]
	v_add_f64 v[59:60], v[45:46], v[5:6]
	s_delay_alu instid0(VALU_DEP_3) | instskip(NEXT) | instid1(VALU_DEP_1)
	v_add_f64 v[43:44], v[43:44], -v[67:68]
	v_add_f64 v[43:44], v[47:48], v[43:44]
	s_delay_alu instid0(VALU_DEP_3) | instskip(NEXT) | instid1(VALU_DEP_2)
	v_add_f64 v[47:48], v[59:60], -v[45:46]
	v_add_f64 v[43:44], v[59:60], v[43:44]
	s_delay_alu instid0(VALU_DEP_2) | instskip(SKIP_1) | instid1(VALU_DEP_3)
	v_add_f64 v[59:60], v[59:60], -v[47:48]
	v_add_f64 v[5:6], v[5:6], -v[47:48]
	v_add_f64 v[63:64], v[61:62], v[43:44]
	s_delay_alu instid0(VALU_DEP_3) | instskip(NEXT) | instid1(VALU_DEP_2)
	v_add_f64 v[45:46], v[45:46], -v[59:60]
	v_add_f64 v[47:48], v[63:64], -v[61:62]
	s_delay_alu instid0(VALU_DEP_2) | instskip(NEXT) | instid1(VALU_DEP_2)
	v_add_f64 v[5:6], v[5:6], v[45:46]
	v_add_f64 v[43:44], v[43:44], -v[47:48]
	s_delay_alu instid0(VALU_DEP_1) | instskip(NEXT) | instid1(VALU_DEP_1)
	v_add_f64 v[5:6], v[5:6], v[43:44]
	v_add_f64 v[5:6], v[63:64], v[5:6]
	s_delay_alu instid0(VALU_DEP_1) | instskip(NEXT) | instid1(VALU_DEP_2)
	v_cndmask_b32_e64 v6, v6, v42, s8
	v_cndmask_b32_e64 v5, v5, v41, s8
	v_cmp_ngt_f64_e64 s8, -1.0, v[41:42]
	s_delay_alu instid0(VALU_DEP_2) | instskip(NEXT) | instid1(VALU_DEP_1)
	v_mul_f64 v[5:6], v[5:6], 0.5
	v_cndmask_b32_e64 v6, 0x7ff80000, v6, s8
	v_cmp_nge_f64_e64 s8, -1.0, v[41:42]
	s_delay_alu instid0(VALU_DEP_1) | instskip(SKIP_1) | instid1(VALU_DEP_1)
	v_cndmask_b32_e64 v5, 0, v5, s8
	v_cmp_neq_f64_e64 s8, -1.0, v[41:42]
	v_cndmask_b32_e64 v6, 0xfff00000, v6, s8
.LBB210_29:                             ;   in Loop: Header=BB210_4 Depth=1
	s_or_b32 exec_lo, exec_lo, s10
.LBB210_30:                             ;   in Loop: Header=BB210_4 Depth=1
	s_delay_alu instid0(SALU_CYCLE_1)
	s_or_b32 exec_lo, exec_lo, s9
	v_max_f64 v[41:42], |v[1:2]|, |v[1:2]|
	v_max_f64 v[43:44], |v[3:4]|, |v[3:4]|
	v_cmp_class_f64_e64 s85, v[1:2], 0x204
	v_cmp_class_f64_e64 s95, v[3:4], 0x204
	v_cmp_u_f64_e64 s9, v[1:2], v[3:4]
	s_delay_alu instid0(VALU_DEP_4) | instskip(NEXT) | instid1(VALU_DEP_3)
	v_max_f64 v[41:42], v[41:42], v[43:44]
	s_or_b32 s85, s95, s85
	s_delay_alu instid0(VALU_DEP_2) | instid1(SALU_CYCLE_1)
	s_or_b32 s9, s85, s9
	s_delay_alu instid0(VALU_DEP_1) | instskip(NEXT) | instid1(VALU_DEP_1)
	v_frexp_exp_i32_f64_e32 v18, v[41:42]
	v_sub_nc_u32_e32 v45, 0, v18
	s_delay_alu instid0(VALU_DEP_1) | instskip(SKIP_1) | instid1(VALU_DEP_2)
	v_ldexp_f64 v[41:42], |v[3:4]|, v45
	v_ldexp_f64 v[45:46], |v[1:2]|, v45
	v_mul_f64 v[41:42], v[41:42], v[41:42]
	s_delay_alu instid0(VALU_DEP_1) | instskip(NEXT) | instid1(VALU_DEP_1)
	v_fma_f64 v[41:42], v[45:46], v[45:46], v[41:42]
	v_rsq_f64_e32 v[45:46], v[41:42]
	v_cmp_eq_f64_e64 s8, 0, v[41:42]
	s_waitcnt_depctr 0xfff
	v_mul_f64 v[47:48], v[41:42], v[45:46]
	v_mul_f64 v[45:46], v[45:46], 0.5
	s_delay_alu instid0(VALU_DEP_1) | instskip(NEXT) | instid1(VALU_DEP_1)
	v_fma_f64 v[59:60], -v[45:46], v[47:48], 0.5
	v_fma_f64 v[47:48], v[47:48], v[59:60], v[47:48]
	v_fma_f64 v[45:46], v[45:46], v[59:60], v[45:46]
	s_delay_alu instid0(VALU_DEP_2) | instskip(NEXT) | instid1(VALU_DEP_1)
	v_fma_f64 v[59:60], -v[47:48], v[47:48], v[41:42]
	v_fma_f64 v[45:46], v[59:60], v[45:46], v[47:48]
	s_delay_alu instid0(VALU_DEP_1) | instskip(NEXT) | instid1(VALU_DEP_2)
	v_cndmask_b32_e64 v42, v46, v42, s8
	v_cndmask_b32_e64 v41, v45, v41, s8
	s_delay_alu instid0(VALU_DEP_1) | instskip(SKIP_1) | instid1(VALU_DEP_2)
	v_ldexp_f64 v[45:46], v[41:42], v18
	v_add_f64 v[41:42], v[1:2], 1.0
	v_cmp_ngt_f64_e64 s10, 0.5, v[45:46]
	s_delay_alu instid0(VALU_DEP_2) | instskip(SKIP_2) | instid1(VALU_DEP_4)
	v_max_f64 v[45:46], |v[41:42]|, v[43:44]
	v_cmp_o_f64_e64 s8, v[41:42], v[3:4]
	v_cmp_class_f64_e64 s96, v[41:42], 0x204
	s_or_b32 s9, s9, s10
	s_delay_alu instid0(SALU_CYCLE_1) | instskip(NEXT) | instid1(SALU_CYCLE_1)
	s_and_saveexec_b32 s10, s9
	s_xor_b32 s10, exec_lo, s10
	s_cbranch_execnz .LBB210_36
; %bb.31:                               ;   in Loop: Header=BB210_4 Depth=1
	s_and_not1_saveexec_b32 s10, s10
	s_cbranch_execnz .LBB210_37
.LBB210_32:                             ;   in Loop: Header=BB210_4 Depth=1
	s_or_b32 exec_lo, exec_lo, s10
	s_and_saveexec_b32 s9, vcc_lo
	s_delay_alu instid0(SALU_CYCLE_1)
	s_xor_b32 s85, exec_lo, s9
	s_cbranch_execnz .LBB210_40
.LBB210_33:                             ;   in Loop: Header=BB210_4 Depth=1
	s_or_b32 exec_lo, exec_lo, s85
	s_and_saveexec_b32 s5, s4
	s_cbranch_execnz .LBB210_41
.LBB210_34:                             ;   in Loop: Header=BB210_4 Depth=1
	s_or_b32 exec_lo, exec_lo, s5
	s_and_saveexec_b32 s4, s3
	s_cbranch_execnz .LBB210_42
.LBB210_35:                             ;   in Loop: Header=BB210_4 Depth=1
	s_or_b32 exec_lo, exec_lo, s4
	s_and_saveexec_b32 s3, s2
	s_cbranch_execz .LBB210_3
	s_branch .LBB210_43
.LBB210_36:                             ;   in Loop: Header=BB210_4 Depth=1
	s_delay_alu instid0(VALU_DEP_3) | instskip(NEXT) | instid1(VALU_DEP_2)
	v_frexp_exp_i32_f64_e32 v18, v[45:46]
	s_or_b32 s97, s95, s96
	s_mov_b32 s85, s21
	s_delay_alu instid0(VALU_DEP_1) | instskip(NEXT) | instid1(VALU_DEP_1)
	v_sub_nc_u32_e32 v47, 0, v18
	v_ldexp_f64 v[1:2], |v[3:4]|, v47
	v_ldexp_f64 v[47:48], |v[41:42]|, v47
	s_delay_alu instid0(VALU_DEP_2) | instskip(NEXT) | instid1(VALU_DEP_1)
	v_mul_f64 v[1:2], v[1:2], v[1:2]
	v_fma_f64 v[1:2], v[47:48], v[47:48], v[1:2]
	s_delay_alu instid0(VALU_DEP_1) | instskip(SKIP_4) | instid1(VALU_DEP_1)
	v_rsq_f64_e32 v[47:48], v[1:2]
	v_cmp_eq_f64_e64 s9, 0, v[1:2]
	s_waitcnt_depctr 0xfff
	v_mul_f64 v[59:60], v[1:2], v[47:48]
	v_mul_f64 v[47:48], v[47:48], 0.5
	v_fma_f64 v[61:62], -v[47:48], v[59:60], 0.5
	s_delay_alu instid0(VALU_DEP_1) | instskip(SKIP_1) | instid1(VALU_DEP_2)
	v_fma_f64 v[59:60], v[59:60], v[61:62], v[59:60]
	v_fma_f64 v[47:48], v[47:48], v[61:62], v[47:48]
	v_fma_f64 v[61:62], -v[59:60], v[59:60], v[1:2]
	s_delay_alu instid0(VALU_DEP_1) | instskip(NEXT) | instid1(VALU_DEP_1)
	v_fma_f64 v[47:48], v[61:62], v[47:48], v[59:60]
	v_cndmask_b32_e64 v2, v48, v2, s9
	s_delay_alu instid0(VALU_DEP_2) | instskip(NEXT) | instid1(VALU_DEP_1)
	v_cndmask_b32_e64 v1, v47, v1, s9
	v_ldexp_f64 v[1:2], v[1:2], v18
	s_delay_alu instid0(VALU_DEP_1) | instskip(NEXT) | instid1(VALU_DEP_2)
	v_cndmask_b32_e64 v77, 0x7ff80000, v2, s8
	v_cndmask_b32_e64 v78, 0, v1, s8
	v_and_b32_e32 v2, 0x7fffffff, v2
	s_delay_alu instid0(VALU_DEP_3) | instskip(NEXT) | instid1(VALU_DEP_3)
	v_cndmask_b32_e64 v48, v77, 0x7ff00000, s97
	v_cndmask_b32_e64 v47, v78, 0, s97
	s_delay_alu instid0(VALU_DEP_1) | instskip(NEXT) | instid1(VALU_DEP_1)
	v_frexp_mant_f64_e32 v[59:60], v[47:48]
	v_cmp_gt_f64_e64 s9, s[20:21], v[59:60]
	s_delay_alu instid0(VALU_DEP_1) | instskip(NEXT) | instid1(VALU_DEP_1)
	v_cndmask_b32_e64 v18, 0x3ff00000, 2.0, s9
	v_mul_f64 v[59:60], v[59:60], v[17:18]
	v_frexp_exp_i32_f64_e32 v18, v[47:48]
	s_delay_alu instid0(VALU_DEP_2) | instskip(SKIP_1) | instid1(VALU_DEP_3)
	v_add_f64 v[61:62], v[59:60], 1.0
	v_add_f64 v[67:68], v[59:60], -1.0
	v_subrev_co_ci_u32_e64 v18, s9, 0, v18, s9
	v_cmp_eq_f64_e64 s9, 0x7ff00000, v[1:2]
	s_delay_alu instid0(VALU_DEP_4) | instskip(SKIP_1) | instid1(VALU_DEP_2)
	v_rcp_f64_e32 v[63:64], v[61:62]
	v_add_f64 v[69:70], v[61:62], -1.0
	s_and_b32 s9, s8, s9
	s_delay_alu instid0(VALU_DEP_1) | instskip(SKIP_2) | instid1(VALU_DEP_1)
	v_add_f64 v[59:60], v[59:60], -v[69:70]
	s_waitcnt_depctr 0xfff
	v_fma_f64 v[65:66], -v[61:62], v[63:64], 1.0
	v_fma_f64 v[63:64], v[65:66], v[63:64], v[63:64]
	s_delay_alu instid0(VALU_DEP_1) | instskip(NEXT) | instid1(VALU_DEP_1)
	v_fma_f64 v[65:66], -v[61:62], v[63:64], 1.0
	v_fma_f64 v[63:64], v[65:66], v[63:64], v[63:64]
	s_delay_alu instid0(VALU_DEP_1) | instskip(NEXT) | instid1(VALU_DEP_1)
	v_mul_f64 v[65:66], v[67:68], v[63:64]
	v_mul_f64 v[71:72], v[61:62], v[65:66]
	s_delay_alu instid0(VALU_DEP_1) | instskip(NEXT) | instid1(VALU_DEP_1)
	v_fma_f64 v[61:62], v[65:66], v[61:62], -v[71:72]
	v_fma_f64 v[59:60], v[65:66], v[59:60], v[61:62]
	s_delay_alu instid0(VALU_DEP_1) | instskip(NEXT) | instid1(VALU_DEP_1)
	v_add_f64 v[61:62], v[71:72], v[59:60]
	v_add_f64 v[69:70], v[67:68], -v[61:62]
	v_add_f64 v[71:72], v[61:62], -v[71:72]
	s_delay_alu instid0(VALU_DEP_2) | instskip(NEXT) | instid1(VALU_DEP_2)
	v_add_f64 v[67:68], v[67:68], -v[69:70]
	v_add_f64 v[59:60], v[71:72], -v[59:60]
	s_delay_alu instid0(VALU_DEP_2) | instskip(NEXT) | instid1(VALU_DEP_1)
	v_add_f64 v[61:62], v[67:68], -v[61:62]
	v_add_f64 v[59:60], v[59:60], v[61:62]
	s_delay_alu instid0(VALU_DEP_1) | instskip(NEXT) | instid1(VALU_DEP_1)
	v_add_f64 v[59:60], v[69:70], v[59:60]
	v_mul_f64 v[59:60], v[63:64], v[59:60]
	s_delay_alu instid0(VALU_DEP_1) | instskip(NEXT) | instid1(VALU_DEP_1)
	v_add_f64 v[61:62], v[65:66], v[59:60]
	v_mul_f64 v[63:64], v[61:62], v[61:62]
	s_delay_alu instid0(VALU_DEP_1) | instskip(SKIP_1) | instid1(VALU_DEP_2)
	v_fma_f64 v[67:68], v[63:64], s[24:25], s[22:23]
	v_mul_f64 v[69:70], v[61:62], v[63:64]
	v_fma_f64 v[67:68], v[63:64], v[67:68], s[26:27]
	s_delay_alu instid0(VALU_DEP_1) | instskip(NEXT) | instid1(VALU_DEP_1)
	v_fma_f64 v[67:68], v[63:64], v[67:68], s[28:29]
	v_fma_f64 v[67:68], v[63:64], v[67:68], s[30:31]
	s_delay_alu instid0(VALU_DEP_1) | instskip(NEXT) | instid1(VALU_DEP_1)
	v_fma_f64 v[67:68], v[63:64], v[67:68], s[34:35]
	v_fma_f64 v[63:64], v[63:64], v[67:68], s[84:85]
	v_ldexp_f64 v[67:68], v[61:62], 1
	v_add_f64 v[61:62], v[61:62], -v[65:66]
	s_delay_alu instid0(VALU_DEP_3) | instskip(SKIP_1) | instid1(VALU_DEP_3)
	v_mul_f64 v[63:64], v[69:70], v[63:64]
	v_cvt_f64_i32_e32 v[69:70], v18
	v_add_f64 v[59:60], v[59:60], -v[61:62]
	s_delay_alu instid0(VALU_DEP_3) | instskip(NEXT) | instid1(VALU_DEP_3)
	v_add_f64 v[65:66], v[67:68], v[63:64]
	v_mul_f64 v[71:72], v[69:70], s[36:37]
	s_delay_alu instid0(VALU_DEP_3) | instskip(NEXT) | instid1(VALU_DEP_3)
	v_ldexp_f64 v[59:60], v[59:60], 1
	v_add_f64 v[61:62], v[65:66], -v[67:68]
	s_delay_alu instid0(VALU_DEP_3) | instskip(NEXT) | instid1(VALU_DEP_2)
	v_fma_f64 v[67:68], v[69:70], s[36:37], -v[71:72]
	v_add_f64 v[61:62], v[63:64], -v[61:62]
	s_delay_alu instid0(VALU_DEP_2) | instskip(NEXT) | instid1(VALU_DEP_2)
	v_fma_f64 v[63:64], v[69:70], s[38:39], v[67:68]
	v_add_f64 v[59:60], v[59:60], v[61:62]
	s_delay_alu instid0(VALU_DEP_2) | instskip(NEXT) | instid1(VALU_DEP_2)
	v_add_f64 v[61:62], v[71:72], v[63:64]
	v_add_f64 v[67:68], v[65:66], v[59:60]
	s_delay_alu instid0(VALU_DEP_2) | instskip(NEXT) | instid1(VALU_DEP_2)
	v_add_f64 v[71:72], v[61:62], -v[71:72]
	v_add_f64 v[69:70], v[61:62], v[67:68]
	v_add_f64 v[65:66], v[67:68], -v[65:66]
	s_delay_alu instid0(VALU_DEP_3) | instskip(NEXT) | instid1(VALU_DEP_3)
	v_add_f64 v[63:64], v[63:64], -v[71:72]
	v_add_f64 v[73:74], v[69:70], -v[61:62]
	s_delay_alu instid0(VALU_DEP_3) | instskip(NEXT) | instid1(VALU_DEP_2)
	v_add_f64 v[59:60], v[59:60], -v[65:66]
	v_add_f64 v[75:76], v[69:70], -v[73:74]
	v_add_f64 v[65:66], v[67:68], -v[73:74]
	s_delay_alu instid0(VALU_DEP_3) | instskip(NEXT) | instid1(VALU_DEP_3)
	v_add_f64 v[67:68], v[63:64], v[59:60]
	v_add_f64 v[61:62], v[61:62], -v[75:76]
	s_delay_alu instid0(VALU_DEP_1) | instskip(NEXT) | instid1(VALU_DEP_3)
	v_add_f64 v[61:62], v[65:66], v[61:62]
	v_add_f64 v[65:66], v[67:68], -v[63:64]
	s_delay_alu instid0(VALU_DEP_2) | instskip(NEXT) | instid1(VALU_DEP_2)
	v_add_f64 v[61:62], v[67:68], v[61:62]
	v_add_f64 v[67:68], v[67:68], -v[65:66]
	v_add_f64 v[59:60], v[59:60], -v[65:66]
	s_delay_alu instid0(VALU_DEP_3) | instskip(NEXT) | instid1(VALU_DEP_3)
	v_add_f64 v[71:72], v[69:70], v[61:62]
	v_add_f64 v[63:64], v[63:64], -v[67:68]
	s_delay_alu instid0(VALU_DEP_2) | instskip(NEXT) | instid1(VALU_DEP_2)
	v_add_f64 v[65:66], v[71:72], -v[69:70]
	v_add_f64 v[59:60], v[59:60], v[63:64]
	s_delay_alu instid0(VALU_DEP_2) | instskip(NEXT) | instid1(VALU_DEP_1)
	v_add_f64 v[61:62], v[61:62], -v[65:66]
	v_add_f64 v[59:60], v[59:60], v[61:62]
	s_delay_alu instid0(VALU_DEP_1) | instskip(NEXT) | instid1(VALU_DEP_1)
	v_add_f64 v[1:2], v[71:72], v[59:60]
	v_cndmask_b32_e64 v2, v2, v77, s9
	s_delay_alu instid0(VALU_DEP_2) | instskip(SKIP_1) | instid1(VALU_DEP_3)
	v_cndmask_b32_e64 v1, v1, v78, s9
	v_cmp_ngt_f64_e64 s9, 0, v[47:48]
	v_cndmask_b32_e64 v2, v2, 0x7ff00000, s97
	s_delay_alu instid0(VALU_DEP_3) | instskip(NEXT) | instid1(VALU_DEP_2)
	v_cndmask_b32_e64 v1, v1, 0, s97
	v_cndmask_b32_e64 v2, 0x7ff80000, v2, s9
	v_cmp_nge_f64_e64 s9, 0, v[47:48]
	s_delay_alu instid0(VALU_DEP_1) | instskip(SKIP_1) | instid1(VALU_DEP_1)
	v_cndmask_b32_e64 v1, 0, v1, s9
	v_cmp_neq_f64_e64 s9, 0, v[47:48]
	v_cndmask_b32_e64 v2, 0xfff00000, v2, s9
	s_and_not1_saveexec_b32 s10, s10
	s_cbranch_execz .LBB210_32
.LBB210_37:                             ;   in Loop: Header=BB210_4 Depth=1
	s_delay_alu instid0(VALU_DEP_1) | instskip(SKIP_1) | instid1(VALU_DEP_1)
	v_add_f64 v[47:48], v[1:2], 2.0
	s_mov_b32 s97, exec_lo
	v_mul_f64 v[47:48], v[1:2], v[47:48]
	s_delay_alu instid0(VALU_DEP_1) | instskip(NEXT) | instid1(VALU_DEP_1)
	v_fma_f64 v[47:48], v[3:4], v[3:4], v[47:48]
	v_cmpx_neq_f64_e32 0, v[47:48]
	s_cbranch_execz .LBB210_39
; %bb.38:                               ;   in Loop: Header=BB210_4 Depth=1
	v_add_f64 v[1:2], v[47:48], 1.0
	s_mov_b32 s85, s21
	s_delay_alu instid0(VALU_DEP_1) | instskip(SKIP_2) | instid1(VALU_DEP_3)
	v_frexp_mant_f64_e32 v[59:60], v[1:2]
	v_frexp_exp_i32_f64_e32 v18, v[1:2]
	v_add_f64 v[61:62], v[1:2], -1.0
	v_cmp_gt_f64_e64 s9, s[20:21], v[59:60]
	s_delay_alu instid0(VALU_DEP_2) | instskip(SKIP_1) | instid1(VALU_DEP_3)
	v_add_f64 v[59:60], v[61:62], -v[1:2]
	v_add_f64 v[61:62], v[47:48], -v[61:62]
	v_subrev_co_ci_u32_e64 v18, s9, 0, v18, s9
	s_delay_alu instid0(VALU_DEP_3) | instskip(SKIP_1) | instid1(VALU_DEP_3)
	v_add_f64 v[59:60], v[59:60], 1.0
	v_cmp_eq_f64_e64 s9, 0x7ff00000, v[47:48]
	v_sub_nc_u32_e32 v65, 0, v18
	s_delay_alu instid0(VALU_DEP_1) | instskip(NEXT) | instid1(VALU_DEP_4)
	v_ldexp_f64 v[1:2], v[1:2], v65
	v_add_f64 v[59:60], v[61:62], v[59:60]
	s_delay_alu instid0(VALU_DEP_2) | instskip(SKIP_1) | instid1(VALU_DEP_3)
	v_add_f64 v[63:64], v[1:2], 1.0
	v_add_f64 v[69:70], v[1:2], -1.0
	v_ldexp_f64 v[59:60], v[59:60], v65
	s_delay_alu instid0(VALU_DEP_3) | instskip(NEXT) | instid1(VALU_DEP_3)
	v_add_f64 v[61:62], v[63:64], -1.0
	v_add_f64 v[71:72], v[69:70], 1.0
	s_delay_alu instid0(VALU_DEP_2) | instskip(NEXT) | instid1(VALU_DEP_2)
	v_add_f64 v[61:62], v[1:2], -v[61:62]
	v_add_f64 v[1:2], v[1:2], -v[71:72]
	s_delay_alu instid0(VALU_DEP_2) | instskip(NEXT) | instid1(VALU_DEP_2)
	v_add_f64 v[61:62], v[59:60], v[61:62]
	v_add_f64 v[1:2], v[59:60], v[1:2]
	s_delay_alu instid0(VALU_DEP_2) | instskip(NEXT) | instid1(VALU_DEP_2)
	v_add_f64 v[65:66], v[63:64], v[61:62]
	v_add_f64 v[71:72], v[69:70], v[1:2]
	s_delay_alu instid0(VALU_DEP_2) | instskip(SKIP_1) | instid1(VALU_DEP_2)
	v_rcp_f64_e32 v[67:68], v[65:66]
	v_add_f64 v[63:64], v[65:66], -v[63:64]
	v_add_f64 v[69:70], v[71:72], -v[69:70]
	s_delay_alu instid0(VALU_DEP_2) | instskip(SKIP_3) | instid1(VALU_DEP_2)
	v_add_f64 v[61:62], v[61:62], -v[63:64]
	s_waitcnt_depctr 0xfff
	v_fma_f64 v[73:74], -v[65:66], v[67:68], 1.0
	v_add_f64 v[1:2], v[1:2], -v[69:70]
	v_fma_f64 v[67:68], v[73:74], v[67:68], v[67:68]
	s_delay_alu instid0(VALU_DEP_1) | instskip(NEXT) | instid1(VALU_DEP_1)
	v_fma_f64 v[59:60], -v[65:66], v[67:68], 1.0
	v_fma_f64 v[59:60], v[59:60], v[67:68], v[67:68]
	s_delay_alu instid0(VALU_DEP_1) | instskip(NEXT) | instid1(VALU_DEP_1)
	v_mul_f64 v[67:68], v[71:72], v[59:60]
	v_mul_f64 v[73:74], v[65:66], v[67:68]
	s_delay_alu instid0(VALU_DEP_1) | instskip(NEXT) | instid1(VALU_DEP_1)
	v_fma_f64 v[63:64], v[67:68], v[65:66], -v[73:74]
	v_fma_f64 v[63:64], v[67:68], v[61:62], v[63:64]
	s_delay_alu instid0(VALU_DEP_1) | instskip(NEXT) | instid1(VALU_DEP_1)
	v_add_f64 v[75:76], v[73:74], v[63:64]
	v_add_f64 v[77:78], v[71:72], -v[75:76]
	v_add_f64 v[69:70], v[75:76], -v[73:74]
	s_delay_alu instid0(VALU_DEP_2) | instskip(NEXT) | instid1(VALU_DEP_2)
	v_add_f64 v[71:72], v[71:72], -v[77:78]
	v_add_f64 v[63:64], v[69:70], -v[63:64]
	s_delay_alu instid0(VALU_DEP_2) | instskip(NEXT) | instid1(VALU_DEP_1)
	v_add_f64 v[71:72], v[71:72], -v[75:76]
	v_add_f64 v[1:2], v[1:2], v[71:72]
	s_delay_alu instid0(VALU_DEP_1) | instskip(NEXT) | instid1(VALU_DEP_1)
	v_add_f64 v[1:2], v[63:64], v[1:2]
	v_add_f64 v[63:64], v[77:78], v[1:2]
	s_delay_alu instid0(VALU_DEP_1) | instskip(SKIP_1) | instid1(VALU_DEP_2)
	v_mul_f64 v[69:70], v[59:60], v[63:64]
	v_add_f64 v[75:76], v[77:78], -v[63:64]
	v_mul_f64 v[71:72], v[65:66], v[69:70]
	s_delay_alu instid0(VALU_DEP_2) | instskip(NEXT) | instid1(VALU_DEP_2)
	v_add_f64 v[1:2], v[1:2], v[75:76]
	v_fma_f64 v[65:66], v[69:70], v[65:66], -v[71:72]
	s_delay_alu instid0(VALU_DEP_1) | instskip(NEXT) | instid1(VALU_DEP_1)
	v_fma_f64 v[61:62], v[69:70], v[61:62], v[65:66]
	v_add_f64 v[65:66], v[71:72], v[61:62]
	s_delay_alu instid0(VALU_DEP_1) | instskip(SKIP_1) | instid1(VALU_DEP_2)
	v_add_f64 v[73:74], v[63:64], -v[65:66]
	v_add_f64 v[71:72], v[65:66], -v[71:72]
	;; [unrolled: 1-line block ×3, first 2 shown]
	s_delay_alu instid0(VALU_DEP_2) | instskip(NEXT) | instid1(VALU_DEP_2)
	v_add_f64 v[61:62], v[71:72], -v[61:62]
	v_add_f64 v[63:64], v[63:64], -v[65:66]
	s_delay_alu instid0(VALU_DEP_1) | instskip(SKIP_1) | instid1(VALU_DEP_2)
	v_add_f64 v[1:2], v[1:2], v[63:64]
	v_add_f64 v[63:64], v[67:68], v[69:70]
	v_add_f64 v[1:2], v[61:62], v[1:2]
	s_delay_alu instid0(VALU_DEP_2) | instskip(NEXT) | instid1(VALU_DEP_2)
	v_add_f64 v[61:62], v[63:64], -v[67:68]
	v_add_f64 v[1:2], v[73:74], v[1:2]
	s_delay_alu instid0(VALU_DEP_2) | instskip(NEXT) | instid1(VALU_DEP_2)
	v_add_f64 v[61:62], v[69:70], -v[61:62]
	v_mul_f64 v[1:2], v[59:60], v[1:2]
	s_delay_alu instid0(VALU_DEP_1) | instskip(NEXT) | instid1(VALU_DEP_1)
	v_add_f64 v[1:2], v[61:62], v[1:2]
	v_add_f64 v[59:60], v[63:64], v[1:2]
	s_delay_alu instid0(VALU_DEP_1) | instskip(NEXT) | instid1(VALU_DEP_1)
	v_mul_f64 v[61:62], v[59:60], v[59:60]
	v_fma_f64 v[65:66], v[61:62], s[24:25], s[22:23]
	v_mul_f64 v[67:68], v[59:60], v[61:62]
	s_delay_alu instid0(VALU_DEP_2) | instskip(NEXT) | instid1(VALU_DEP_1)
	v_fma_f64 v[65:66], v[61:62], v[65:66], s[26:27]
	v_fma_f64 v[65:66], v[61:62], v[65:66], s[28:29]
	s_delay_alu instid0(VALU_DEP_1) | instskip(NEXT) | instid1(VALU_DEP_1)
	v_fma_f64 v[65:66], v[61:62], v[65:66], s[30:31]
	v_fma_f64 v[65:66], v[61:62], v[65:66], s[34:35]
	s_delay_alu instid0(VALU_DEP_1) | instskip(SKIP_2) | instid1(VALU_DEP_3)
	v_fma_f64 v[61:62], v[61:62], v[65:66], s[84:85]
	v_ldexp_f64 v[65:66], v[59:60], 1
	v_add_f64 v[59:60], v[59:60], -v[63:64]
	v_mul_f64 v[61:62], v[67:68], v[61:62]
	v_cvt_f64_i32_e32 v[67:68], v18
	s_delay_alu instid0(VALU_DEP_3) | instskip(NEXT) | instid1(VALU_DEP_3)
	v_add_f64 v[1:2], v[1:2], -v[59:60]
	v_add_f64 v[63:64], v[65:66], v[61:62]
	s_delay_alu instid0(VALU_DEP_3) | instskip(NEXT) | instid1(VALU_DEP_3)
	v_mul_f64 v[69:70], v[67:68], s[36:37]
	v_ldexp_f64 v[1:2], v[1:2], 1
	s_delay_alu instid0(VALU_DEP_3) | instskip(NEXT) | instid1(VALU_DEP_3)
	v_add_f64 v[59:60], v[63:64], -v[65:66]
	v_fma_f64 v[65:66], v[67:68], s[36:37], -v[69:70]
	s_delay_alu instid0(VALU_DEP_2) | instskip(NEXT) | instid1(VALU_DEP_2)
	v_add_f64 v[59:60], v[61:62], -v[59:60]
	v_fma_f64 v[61:62], v[67:68], s[38:39], v[65:66]
	s_delay_alu instid0(VALU_DEP_2) | instskip(NEXT) | instid1(VALU_DEP_2)
	v_add_f64 v[1:2], v[1:2], v[59:60]
	v_add_f64 v[59:60], v[69:70], v[61:62]
	s_delay_alu instid0(VALU_DEP_2) | instskip(NEXT) | instid1(VALU_DEP_2)
	v_add_f64 v[65:66], v[63:64], v[1:2]
	v_add_f64 v[69:70], v[59:60], -v[69:70]
	s_delay_alu instid0(VALU_DEP_2) | instskip(SKIP_1) | instid1(VALU_DEP_3)
	v_add_f64 v[67:68], v[59:60], v[65:66]
	v_add_f64 v[63:64], v[65:66], -v[63:64]
	v_add_f64 v[61:62], v[61:62], -v[69:70]
	s_delay_alu instid0(VALU_DEP_3) | instskip(NEXT) | instid1(VALU_DEP_3)
	v_add_f64 v[71:72], v[67:68], -v[59:60]
	v_add_f64 v[1:2], v[1:2], -v[63:64]
	s_delay_alu instid0(VALU_DEP_2) | instskip(SKIP_1) | instid1(VALU_DEP_3)
	v_add_f64 v[73:74], v[67:68], -v[71:72]
	v_add_f64 v[63:64], v[65:66], -v[71:72]
	v_add_f64 v[65:66], v[61:62], v[1:2]
	s_delay_alu instid0(VALU_DEP_3) | instskip(NEXT) | instid1(VALU_DEP_1)
	v_add_f64 v[59:60], v[59:60], -v[73:74]
	v_add_f64 v[59:60], v[63:64], v[59:60]
	s_delay_alu instid0(VALU_DEP_3) | instskip(NEXT) | instid1(VALU_DEP_2)
	v_add_f64 v[63:64], v[65:66], -v[61:62]
	v_add_f64 v[59:60], v[65:66], v[59:60]
	s_delay_alu instid0(VALU_DEP_2) | instskip(SKIP_1) | instid1(VALU_DEP_3)
	v_add_f64 v[65:66], v[65:66], -v[63:64]
	v_add_f64 v[1:2], v[1:2], -v[63:64]
	v_add_f64 v[69:70], v[67:68], v[59:60]
	s_delay_alu instid0(VALU_DEP_3) | instskip(NEXT) | instid1(VALU_DEP_2)
	v_add_f64 v[61:62], v[61:62], -v[65:66]
	v_add_f64 v[63:64], v[69:70], -v[67:68]
	s_delay_alu instid0(VALU_DEP_2) | instskip(NEXT) | instid1(VALU_DEP_2)
	v_add_f64 v[1:2], v[1:2], v[61:62]
	v_add_f64 v[59:60], v[59:60], -v[63:64]
	s_delay_alu instid0(VALU_DEP_1) | instskip(NEXT) | instid1(VALU_DEP_1)
	v_add_f64 v[1:2], v[1:2], v[59:60]
	v_add_f64 v[1:2], v[69:70], v[1:2]
	s_delay_alu instid0(VALU_DEP_1) | instskip(NEXT) | instid1(VALU_DEP_2)
	v_cndmask_b32_e64 v2, v2, v48, s9
	v_cndmask_b32_e64 v1, v1, v47, s9
	v_cmp_ngt_f64_e64 s9, -1.0, v[47:48]
	s_delay_alu instid0(VALU_DEP_2) | instskip(NEXT) | instid1(VALU_DEP_1)
	v_mul_f64 v[1:2], v[1:2], 0.5
	v_cndmask_b32_e64 v2, 0x7ff80000, v2, s9
	v_cmp_nge_f64_e64 s9, -1.0, v[47:48]
	s_delay_alu instid0(VALU_DEP_1) | instskip(SKIP_1) | instid1(VALU_DEP_1)
	v_cndmask_b32_e64 v1, 0, v1, s9
	v_cmp_neq_f64_e64 s9, -1.0, v[47:48]
	v_cndmask_b32_e64 v2, 0xfff00000, v2, s9
.LBB210_39:                             ;   in Loop: Header=BB210_4 Depth=1
	s_or_b32 exec_lo, exec_lo, s97
	s_delay_alu instid0(SALU_CYCLE_1) | instskip(SKIP_1) | instid1(SALU_CYCLE_1)
	s_or_b32 exec_lo, exec_lo, s10
	s_and_saveexec_b32 s9, vcc_lo
	s_xor_b32 s85, exec_lo, s9
	s_cbranch_execz .LBB210_33
.LBB210_40:                             ;   in Loop: Header=BB210_4 Depth=1
	v_max_f64 v[47:48], |v[23:24]|, |v[23:24]|
	s_mov_b32 s10, s40
	v_cmp_eq_f64_e64 s9, 0, v[15:16]
	v_ashrrev_i32_e32 v18, 31, v24
	s_delay_alu instid0(VALU_DEP_3) | instskip(NEXT) | instid1(VALU_DEP_1)
	v_min_f64 v[25:26], v[47:48], v[25:26]
	v_div_scale_f64 v[47:48], null, v[27:28], v[27:28], v[25:26]
	v_div_scale_f64 v[63:64], vcc_lo, v[25:26], v[27:28], v[25:26]
	s_delay_alu instid0(VALU_DEP_2) | instskip(SKIP_2) | instid1(VALU_DEP_1)
	v_rcp_f64_e32 v[59:60], v[47:48]
	s_waitcnt_depctr 0xfff
	v_fma_f64 v[61:62], -v[47:48], v[59:60], 1.0
	v_fma_f64 v[59:60], v[59:60], v[61:62], v[59:60]
	s_delay_alu instid0(VALU_DEP_1) | instskip(NEXT) | instid1(VALU_DEP_1)
	v_fma_f64 v[61:62], -v[47:48], v[59:60], 1.0
	v_fma_f64 v[59:60], v[59:60], v[61:62], v[59:60]
	s_delay_alu instid0(VALU_DEP_1) | instskip(NEXT) | instid1(VALU_DEP_1)
	v_mul_f64 v[61:62], v[63:64], v[59:60]
	v_fma_f64 v[47:48], -v[47:48], v[61:62], v[63:64]
	s_delay_alu instid0(VALU_DEP_1) | instskip(SKIP_1) | instid1(VALU_DEP_2)
	v_div_fmas_f64 v[47:48], v[47:48], v[59:60], v[61:62]
	v_cmp_lt_f64_e64 vcc_lo, |v[23:24]|, |v[15:16]|
	v_div_fixup_f64 v[25:26], v[47:48], v[27:28], v[25:26]
	s_delay_alu instid0(VALU_DEP_1) | instskip(NEXT) | instid1(VALU_DEP_1)
	v_mul_f64 v[27:28], v[25:26], v[25:26]
	v_fma_f64 v[47:48], v[27:28], s[44:45], s[42:43]
	s_delay_alu instid0(VALU_DEP_1) | instskip(NEXT) | instid1(VALU_DEP_1)
	v_fma_f64 v[47:48], v[27:28], v[47:48], s[46:47]
	v_fma_f64 v[47:48], v[27:28], v[47:48], s[48:49]
	s_delay_alu instid0(VALU_DEP_1) | instskip(NEXT) | instid1(VALU_DEP_1)
	v_fma_f64 v[47:48], v[27:28], v[47:48], s[50:51]
	;; [unrolled: 3-line block ×9, first 2 shown]
	v_fma_f64 v[47:48], v[27:28], v[47:48], s[80:81]
	s_delay_alu instid0(VALU_DEP_1) | instskip(NEXT) | instid1(VALU_DEP_1)
	v_mul_f64 v[27:28], v[27:28], v[47:48]
	v_fma_f64 v[25:26], v[25:26], v[27:28], v[25:26]
	s_delay_alu instid0(VALU_DEP_1) | instskip(NEXT) | instid1(VALU_DEP_1)
	v_add_f64 v[27:28], -v[25:26], s[40:41]
	v_dual_cndmask_b32 v26, v26, v28 :: v_dual_cndmask_b32 v25, v25, v27
	v_cmp_gt_i32_e32 vcc_lo, 0, v24
	v_and_b32_e32 v24, 0x54442d18, v18
	v_and_b32_e32 v18, 0x400921fb, v18
	s_delay_alu instid0(VALU_DEP_4) | instskip(SKIP_2) | instid1(VALU_DEP_1)
	v_add_f64 v[27:28], -v[25:26], s[10:11]
	v_cndmask_b32_e32 v23, 0x54442d18, v57, vcc_lo
	v_cndmask_b32_e32 v15, 0x3fe921fb, v58, vcc_lo
	v_bfi_b32 v15, 0x7fffffff, v15, v16
	s_delay_alu instid0(VALU_DEP_4) | instskip(SKIP_1) | instid1(VALU_DEP_1)
	v_dual_cndmask_b32 v25, v25, v27 :: v_dual_cndmask_b32 v26, v26, v28
	s_and_b32 vcc_lo, s89, s90
	v_cndmask_b32_e64 v24, v25, v24, s9
	s_delay_alu instid0(VALU_DEP_2) | instskip(NEXT) | instid1(VALU_DEP_1)
	v_cndmask_b32_e64 v18, v26, v18, s9
	v_cndmask_b32_e32 v15, v18, v15, vcc_lo
	s_delay_alu instid0(VALU_DEP_3) | instskip(NEXT) | instid1(VALU_DEP_2)
	v_cndmask_b32_e32 v18, v24, v23, vcc_lo
	v_cndmask_b32_e64 v23, 0x7ff80000, v15, s5
	s_delay_alu instid0(VALU_DEP_2) | instskip(NEXT) | instid1(VALU_DEP_2)
	v_cndmask_b32_e64 v15, 0, v18, s5
	v_bfi_b32 v16, 0x7fffffff, v23, v16
	v_add_co_u32 v23, s5, s33, v19
	s_delay_alu instid0(VALU_DEP_1)
	v_add_co_ci_u32_e64 v24, null, s86, 0, s5
	global_store_b128 v[23:24], v[13:16], off
	s_or_b32 exec_lo, exec_lo, s85
	s_and_saveexec_b32 s5, s4
	s_cbranch_execz .LBB210_34
.LBB210_41:                             ;   in Loop: Header=BB210_4 Depth=1
	v_max_f64 v[13:14], |v[29:30]|, |v[29:30]|
	s_mov_b32 s10, s40
	v_cmp_eq_f64_e64 s4, 0, v[11:12]
	v_ashrrev_i32_e32 v18, 31, v30
	s_delay_alu instid0(VALU_DEP_3) | instskip(NEXT) | instid1(VALU_DEP_1)
	v_min_f64 v[13:14], v[13:14], v[31:32]
	v_div_scale_f64 v[15:16], null, v[33:34], v[33:34], v[13:14]
	v_div_scale_f64 v[27:28], vcc_lo, v[13:14], v[33:34], v[13:14]
	s_delay_alu instid0(VALU_DEP_2) | instskip(SKIP_2) | instid1(VALU_DEP_1)
	v_rcp_f64_e32 v[23:24], v[15:16]
	s_waitcnt_depctr 0xfff
	v_fma_f64 v[25:26], -v[15:16], v[23:24], 1.0
	v_fma_f64 v[23:24], v[23:24], v[25:26], v[23:24]
	s_delay_alu instid0(VALU_DEP_1) | instskip(NEXT) | instid1(VALU_DEP_1)
	v_fma_f64 v[25:26], -v[15:16], v[23:24], 1.0
	v_fma_f64 v[23:24], v[23:24], v[25:26], v[23:24]
	s_delay_alu instid0(VALU_DEP_1) | instskip(NEXT) | instid1(VALU_DEP_1)
	v_mul_f64 v[25:26], v[27:28], v[23:24]
	v_fma_f64 v[15:16], -v[15:16], v[25:26], v[27:28]
	s_delay_alu instid0(VALU_DEP_1) | instskip(SKIP_1) | instid1(VALU_DEP_2)
	v_div_fmas_f64 v[15:16], v[15:16], v[23:24], v[25:26]
	v_cmp_lt_f64_e64 vcc_lo, |v[29:30]|, |v[11:12]|
	v_div_fixup_f64 v[13:14], v[15:16], v[33:34], v[13:14]
	s_delay_alu instid0(VALU_DEP_1) | instskip(NEXT) | instid1(VALU_DEP_1)
	v_mul_f64 v[15:16], v[13:14], v[13:14]
	v_fma_f64 v[23:24], v[15:16], s[44:45], s[42:43]
	s_delay_alu instid0(VALU_DEP_1) | instskip(NEXT) | instid1(VALU_DEP_1)
	v_fma_f64 v[23:24], v[15:16], v[23:24], s[46:47]
	v_fma_f64 v[23:24], v[15:16], v[23:24], s[48:49]
	s_delay_alu instid0(VALU_DEP_1) | instskip(NEXT) | instid1(VALU_DEP_1)
	v_fma_f64 v[23:24], v[15:16], v[23:24], s[50:51]
	;; [unrolled: 3-line block ×9, first 2 shown]
	v_fma_f64 v[23:24], v[15:16], v[23:24], s[80:81]
	s_delay_alu instid0(VALU_DEP_1) | instskip(SKIP_1) | instid1(VALU_DEP_2)
	v_mul_f64 v[15:16], v[15:16], v[23:24]
	v_and_b32_e32 v24, 0x54442d18, v18
	v_fma_f64 v[13:14], v[13:14], v[15:16], v[13:14]
	s_delay_alu instid0(VALU_DEP_1) | instskip(NEXT) | instid1(VALU_DEP_1)
	v_add_f64 v[15:16], -v[13:14], s[40:41]
	v_dual_cndmask_b32 v14, v14, v16 :: v_dual_cndmask_b32 v13, v13, v15
	v_cmp_gt_i32_e32 vcc_lo, 0, v30
	s_delay_alu instid0(VALU_DEP_2) | instskip(SKIP_2) | instid1(VALU_DEP_2)
	v_add_f64 v[15:16], -v[13:14], s[10:11]
	v_cndmask_b32_e32 v11, 0x3fe921fb, v58, vcc_lo
	v_cndmask_b32_e32 v23, 0x54442d18, v57, vcc_lo
	v_bfi_b32 v11, 0x7fffffff, v11, v12
	s_delay_alu instid0(VALU_DEP_4) | instskip(SKIP_2) | instid1(VALU_DEP_2)
	v_dual_cndmask_b32 v13, v13, v15 :: v_dual_cndmask_b32 v14, v14, v16
	v_and_b32_e32 v15, 0x400921fb, v18
	s_and_b32 vcc_lo, s91, s92
	v_cndmask_b32_e64 v13, v13, v24, s4
	s_delay_alu instid0(VALU_DEP_2) | instskip(NEXT) | instid1(VALU_DEP_2)
	v_cndmask_b32_e64 v14, v14, v15, s4
	v_cndmask_b32_e32 v13, v13, v23, vcc_lo
	s_delay_alu instid0(VALU_DEP_2) | instskip(NEXT) | instid1(VALU_DEP_1)
	v_cndmask_b32_e32 v11, v14, v11, vcc_lo
	v_cndmask_b32_e64 v14, 0x7ff80000, v11, s6
	s_delay_alu instid0(VALU_DEP_3) | instskip(SKIP_1) | instid1(VALU_DEP_3)
	v_cndmask_b32_e64 v11, 0, v13, s6
	v_add_co_u32 v13, s4, s33, v53
	v_bfi_b32 v12, 0x7fffffff, v14, v12
	v_add_co_ci_u32_e64 v14, null, s86, 0, s4
	global_store_b128 v[13:14], v[9:12], off
	s_or_b32 exec_lo, exec_lo, s5
	s_and_saveexec_b32 s4, s3
	s_cbranch_execz .LBB210_35
.LBB210_42:                             ;   in Loop: Header=BB210_4 Depth=1
	v_max_f64 v[9:10], |v[35:36]|, |v[35:36]|
	s_mov_b32 s10, s40
	v_cmp_eq_f64_e64 s3, 0, v[7:8]
	s_delay_alu instid0(VALU_DEP_2) | instskip(NEXT) | instid1(VALU_DEP_1)
	v_min_f64 v[9:10], v[9:10], v[37:38]
	v_div_scale_f64 v[11:12], null, v[39:40], v[39:40], v[9:10]
	v_div_scale_f64 v[23:24], vcc_lo, v[9:10], v[39:40], v[9:10]
	s_delay_alu instid0(VALU_DEP_2) | instskip(SKIP_2) | instid1(VALU_DEP_1)
	v_rcp_f64_e32 v[13:14], v[11:12]
	s_waitcnt_depctr 0xfff
	v_fma_f64 v[15:16], -v[11:12], v[13:14], 1.0
	v_fma_f64 v[13:14], v[13:14], v[15:16], v[13:14]
	s_delay_alu instid0(VALU_DEP_1) | instskip(NEXT) | instid1(VALU_DEP_1)
	v_fma_f64 v[15:16], -v[11:12], v[13:14], 1.0
	v_fma_f64 v[13:14], v[13:14], v[15:16], v[13:14]
	s_delay_alu instid0(VALU_DEP_1) | instskip(NEXT) | instid1(VALU_DEP_1)
	v_mul_f64 v[15:16], v[23:24], v[13:14]
	v_fma_f64 v[11:12], -v[11:12], v[15:16], v[23:24]
	s_delay_alu instid0(VALU_DEP_1) | instskip(SKIP_1) | instid1(VALU_DEP_2)
	v_div_fmas_f64 v[11:12], v[11:12], v[13:14], v[15:16]
	v_cmp_lt_f64_e64 vcc_lo, |v[35:36]|, |v[7:8]|
	v_div_fixup_f64 v[9:10], v[11:12], v[39:40], v[9:10]
	s_delay_alu instid0(VALU_DEP_1) | instskip(NEXT) | instid1(VALU_DEP_1)
	v_mul_f64 v[11:12], v[9:10], v[9:10]
	v_fma_f64 v[13:14], v[11:12], s[44:45], s[42:43]
	s_delay_alu instid0(VALU_DEP_1) | instskip(NEXT) | instid1(VALU_DEP_1)
	v_fma_f64 v[13:14], v[11:12], v[13:14], s[46:47]
	v_fma_f64 v[13:14], v[11:12], v[13:14], s[48:49]
	s_delay_alu instid0(VALU_DEP_1) | instskip(NEXT) | instid1(VALU_DEP_1)
	v_fma_f64 v[13:14], v[11:12], v[13:14], s[50:51]
	;; [unrolled: 3-line block ×9, first 2 shown]
	v_fma_f64 v[13:14], v[11:12], v[13:14], s[80:81]
	s_delay_alu instid0(VALU_DEP_1) | instskip(SKIP_1) | instid1(VALU_DEP_2)
	v_mul_f64 v[11:12], v[11:12], v[13:14]
	v_ashrrev_i32_e32 v13, 31, v36
	v_fma_f64 v[9:10], v[9:10], v[11:12], v[9:10]
	s_delay_alu instid0(VALU_DEP_1) | instskip(NEXT) | instid1(VALU_DEP_1)
	v_add_f64 v[11:12], -v[9:10], s[40:41]
	v_dual_cndmask_b32 v10, v10, v12 :: v_dual_cndmask_b32 v9, v9, v11
	v_cmp_gt_i32_e32 vcc_lo, 0, v36
	s_delay_alu instid0(VALU_DEP_2) | instskip(SKIP_3) | instid1(VALU_DEP_2)
	v_add_f64 v[11:12], -v[9:10], s[10:11]
	v_and_b32_e32 v15, 0x54442d18, v13
	v_cndmask_b32_e32 v7, 0x3fe921fb, v58, vcc_lo
	v_cndmask_b32_e32 v14, 0x54442d18, v57, vcc_lo
	v_bfi_b32 v7, 0x7fffffff, v7, v8
	v_dual_cndmask_b32 v10, v10, v12 :: v_dual_cndmask_b32 v9, v9, v11
	v_and_b32_e32 v11, 0x400921fb, v13
	s_and_b32 vcc_lo, s93, s94
	s_delay_alu instid0(VALU_DEP_2) | instskip(NEXT) | instid1(VALU_DEP_2)
	v_cndmask_b32_e64 v9, v9, v15, s3
	v_cndmask_b32_e64 v10, v10, v11, s3
	s_delay_alu instid0(VALU_DEP_2) | instskip(NEXT) | instid1(VALU_DEP_2)
	v_cndmask_b32_e32 v9, v9, v14, vcc_lo
	v_cndmask_b32_e32 v7, v10, v7, vcc_lo
	s_delay_alu instid0(VALU_DEP_1) | instskip(NEXT) | instid1(VALU_DEP_3)
	v_cndmask_b32_e64 v10, 0x7ff80000, v7, s7
	v_cndmask_b32_e64 v7, 0, v9, s7
	v_add_co_u32 v9, vcc_lo, s33, v54
	s_delay_alu instid0(VALU_DEP_3)
	v_bfi_b32 v8, 0x7fffffff, v10, v8
	v_add_co_ci_u32_e32 v10, vcc_lo, s86, v52, vcc_lo
	global_store_b128 v[9:10], v[5:8], off offset:-8
	s_or_b32 exec_lo, exec_lo, s4
	s_and_saveexec_b32 s3, s2
	s_cbranch_execz .LBB210_3
.LBB210_43:                             ;   in Loop: Header=BB210_4 Depth=1
	v_max_f64 v[5:6], |v[41:42]|, |v[41:42]|
	s_mov_b32 s10, s40
	v_cmp_eq_f64_e64 s2, 0, v[3:4]
	s_delay_alu instid0(VALU_DEP_2) | instskip(NEXT) | instid1(VALU_DEP_1)
	v_min_f64 v[5:6], v[5:6], v[43:44]
	v_div_scale_f64 v[7:8], null, v[45:46], v[45:46], v[5:6]
	v_div_scale_f64 v[13:14], vcc_lo, v[5:6], v[45:46], v[5:6]
	s_delay_alu instid0(VALU_DEP_2) | instskip(SKIP_2) | instid1(VALU_DEP_1)
	v_rcp_f64_e32 v[9:10], v[7:8]
	s_waitcnt_depctr 0xfff
	v_fma_f64 v[11:12], -v[7:8], v[9:10], 1.0
	v_fma_f64 v[9:10], v[9:10], v[11:12], v[9:10]
	s_delay_alu instid0(VALU_DEP_1) | instskip(NEXT) | instid1(VALU_DEP_1)
	v_fma_f64 v[11:12], -v[7:8], v[9:10], 1.0
	v_fma_f64 v[9:10], v[9:10], v[11:12], v[9:10]
	s_delay_alu instid0(VALU_DEP_1) | instskip(NEXT) | instid1(VALU_DEP_1)
	v_mul_f64 v[11:12], v[13:14], v[9:10]
	v_fma_f64 v[7:8], -v[7:8], v[11:12], v[13:14]
	s_delay_alu instid0(VALU_DEP_1) | instskip(SKIP_1) | instid1(VALU_DEP_2)
	v_div_fmas_f64 v[7:8], v[7:8], v[9:10], v[11:12]
	v_cmp_lt_f64_e64 vcc_lo, |v[41:42]|, |v[3:4]|
	v_div_fixup_f64 v[5:6], v[7:8], v[45:46], v[5:6]
	s_delay_alu instid0(VALU_DEP_1) | instskip(NEXT) | instid1(VALU_DEP_1)
	v_mul_f64 v[7:8], v[5:6], v[5:6]
	v_fma_f64 v[9:10], v[7:8], s[44:45], s[42:43]
	s_delay_alu instid0(VALU_DEP_1) | instskip(NEXT) | instid1(VALU_DEP_1)
	v_fma_f64 v[9:10], v[7:8], v[9:10], s[46:47]
	v_fma_f64 v[9:10], v[7:8], v[9:10], s[48:49]
	s_delay_alu instid0(VALU_DEP_1) | instskip(NEXT) | instid1(VALU_DEP_1)
	v_fma_f64 v[9:10], v[7:8], v[9:10], s[50:51]
	;; [unrolled: 3-line block ×9, first 2 shown]
	v_fma_f64 v[9:10], v[7:8], v[9:10], s[80:81]
	s_delay_alu instid0(VALU_DEP_1) | instskip(SKIP_1) | instid1(VALU_DEP_2)
	v_mul_f64 v[7:8], v[7:8], v[9:10]
	v_ashrrev_i32_e32 v9, 31, v42
	v_fma_f64 v[5:6], v[5:6], v[7:8], v[5:6]
	s_delay_alu instid0(VALU_DEP_1) | instskip(NEXT) | instid1(VALU_DEP_1)
	v_add_f64 v[7:8], -v[5:6], s[40:41]
	v_dual_cndmask_b32 v6, v6, v8 :: v_dual_cndmask_b32 v5, v5, v7
	v_cmp_gt_i32_e32 vcc_lo, 0, v42
	s_delay_alu instid0(VALU_DEP_2) | instskip(SKIP_3) | instid1(VALU_DEP_2)
	v_add_f64 v[7:8], -v[5:6], s[10:11]
	v_and_b32_e32 v11, 0x54442d18, v9
	v_cndmask_b32_e32 v3, 0x3fe921fb, v58, vcc_lo
	v_cndmask_b32_e32 v10, 0x54442d18, v57, vcc_lo
	v_bfi_b32 v3, 0x7fffffff, v3, v4
	v_dual_cndmask_b32 v6, v6, v8 :: v_dual_cndmask_b32 v5, v5, v7
	v_and_b32_e32 v7, 0x400921fb, v9
	s_and_b32 vcc_lo, s95, s96
	s_delay_alu instid0(VALU_DEP_2) | instskip(NEXT) | instid1(VALU_DEP_2)
	v_cndmask_b32_e64 v5, v5, v11, s2
	v_cndmask_b32_e64 v6, v6, v7, s2
	s_delay_alu instid0(VALU_DEP_2) | instskip(NEXT) | instid1(VALU_DEP_2)
	v_cndmask_b32_e32 v5, v5, v10, vcc_lo
	v_cndmask_b32_e32 v3, v6, v3, vcc_lo
	s_delay_alu instid0(VALU_DEP_1) | instskip(NEXT) | instid1(VALU_DEP_3)
	v_cndmask_b32_e64 v6, 0x7ff80000, v3, s8
	v_cndmask_b32_e64 v3, 0, v5, s8
	v_add_co_u32 v5, vcc_lo, s33, v21
	s_delay_alu instid0(VALU_DEP_3)
	v_bfi_b32 v4, 0x7fffffff, v6, v4
	v_add_co_ci_u32_e32 v6, vcc_lo, s86, v22, vcc_lo
	global_store_b128 v[5:6], v[1:4], off offset:-8
	s_branch .LBB210_3
.LBB210_44:
	s_cbranch_execz .LBB210_46
	s_branch .LBB210_73
.LBB210_45:
.LBB210_46:
	v_dual_mov_b32 v16, 0 :: v_dual_lshlrev_b32 v1, 2, v0
	s_mov_b32 s33, 0
	s_mov_b32 s2, exec_lo
	s_delay_alu instid0(VALU_DEP_1) | instskip(NEXT) | instid1(VALU_DEP_1)
	v_mov_b32_e32 v2, v16
	v_cmpx_gt_i64_e64 s[14:15], v[1:2]
	s_cbranch_execz .LBB210_73
; %bb.47:
	s_load_b32 s0, s[0:1], 0xd3c
	v_dual_mov_b32 v48, 0x7f3321d2 :: v_dual_lshlrev_b32 v1, 6, v0
	v_mov_b32_e32 v19, v16
	v_mov_b32_e32 v49, 0x4002d97c
	s_mov_b32 s18, 0x55555555
	s_mov_b32 s20, 0x6b47b09a
	;; [unrolled: 1-line block ×15, first 2 shown]
	s_waitcnt lgkmcnt(0)
	s_and_b32 s0, s0, 0xffff
	s_add_u32 s1, s12, s16
	s_addc_u32 s2, s13, s17
	v_add_co_u32 v20, s1, s1, v1
	v_add_lshl_u32 v18, v0, s0, 2
	v_add_co_ci_u32_e64 v21, null, s2, 0, s1
	s_mov_b32 s16, 0x998ef7b6
	s_mov_b32 s50, 0x5f08b19f
	;; [unrolled: 1-line block ×21, first 2 shown]
	s_lshl_b32 s82, s0, 6
	s_mov_b32 s17, 0x3fd99999
	s_mov_b32 s31, 0x3fe62e42
	;; [unrolled: 1-line block ×24, first 2 shown]
	s_lshl_b32 s83, s0, 2
	s_mov_b32 s78, 0x55555780
	s_mov_b32 s81, 0x400921fb
	s_branch .LBB210_50
.LBB210_48:                             ;   in Loop: Header=BB210_50 Depth=1
	s_or_b32 exec_lo, exec_lo, s5
.LBB210_49:                             ;   in Loop: Header=BB210_50 Depth=1
	s_delay_alu instid0(SALU_CYCLE_1)
	s_or_b32 exec_lo, exec_lo, s4
	v_max_f64 v[46:47], |v[34:35]|, |v[34:35]|
	v_max_f64 v[50:51], |v[28:29]|, |v[28:29]|
	;; [unrolled: 1-line block ×4, first 2 shown]
	s_mov_b32 s80, s36
	v_cmp_eq_f64_e64 s7, 0, v[10:11]
	v_cmp_eq_f64_e64 s10, 0, v[6:7]
	;; [unrolled: 1-line block ×3, first 2 shown]
	v_cmp_gt_i32_e64 s8, 0, v41
	v_cmp_le_i64_e64 s11, s[14:15], v[18:19]
	v_cmp_lt_u64_e64 s12, 0xffff, v[18:19]
	v_add_co_u32 v18, s13, v18, s83
	s_delay_alu instid0(VALU_DEP_1) | instskip(SKIP_4) | instid1(VALU_DEP_4)
	v_add_co_ci_u32_e64 v19, s13, 0, v19, s13
	v_min_f64 v[38:39], v[46:47], v[38:39]
	v_min_f64 v[32:33], v[50:51], v[32:33]
	;; [unrolled: 1-line block ×4, first 2 shown]
	v_div_scale_f64 v[46:47], null, v[36:37], v[36:37], v[38:39]
	s_delay_alu instid0(VALU_DEP_4) | instskip(NEXT) | instid1(VALU_DEP_4)
	v_div_scale_f64 v[50:51], null, v[30:31], v[30:31], v[32:33]
	v_div_scale_f64 v[52:53], null, v[24:25], v[24:25], v[26:27]
	s_delay_alu instid0(VALU_DEP_4) | instskip(SKIP_2) | instid1(VALU_DEP_4)
	v_div_scale_f64 v[54:55], null, v[42:43], v[42:43], v[44:45]
	v_div_scale_f64 v[72:73], vcc_lo, v[38:39], v[36:37], v[38:39]
	v_rcp_f64_e32 v[56:57], v[46:47]
	v_rcp_f64_e32 v[58:59], v[50:51]
	s_delay_alu instid0(VALU_DEP_3) | instskip(NEXT) | instid1(VALU_DEP_2)
	v_rcp_f64_e32 v[60:61], v[52:53]
	v_rcp_f64_e32 v[62:63], v[54:55]
	v_fma_f64 v[64:65], -v[46:47], v[56:57], 1.0
	s_delay_alu instid0(TRANS32_DEP_3)
	v_fma_f64 v[66:67], -v[50:51], v[58:59], 1.0
	s_waitcnt_depctr 0xfff
	v_fma_f64 v[68:69], -v[52:53], v[60:61], 1.0
	v_fma_f64 v[70:71], -v[54:55], v[62:63], 1.0
	v_fma_f64 v[56:57], v[56:57], v[64:65], v[56:57]
	v_fma_f64 v[58:59], v[58:59], v[66:67], v[58:59]
	s_delay_alu instid0(VALU_DEP_4) | instskip(NEXT) | instid1(VALU_DEP_4)
	v_fma_f64 v[60:61], v[60:61], v[68:69], v[60:61]
	v_fma_f64 v[62:63], v[62:63], v[70:71], v[62:63]
	s_delay_alu instid0(VALU_DEP_4) | instskip(NEXT) | instid1(VALU_DEP_4)
	v_fma_f64 v[64:65], -v[46:47], v[56:57], 1.0
	v_fma_f64 v[66:67], -v[50:51], v[58:59], 1.0
	s_delay_alu instid0(VALU_DEP_4) | instskip(NEXT) | instid1(VALU_DEP_4)
	v_fma_f64 v[68:69], -v[52:53], v[60:61], 1.0
	v_fma_f64 v[70:71], -v[54:55], v[62:63], 1.0
	s_delay_alu instid0(VALU_DEP_4)
	v_fma_f64 v[56:57], v[56:57], v[64:65], v[56:57]
	v_div_scale_f64 v[64:65], s4, v[32:33], v[30:31], v[32:33]
	v_fma_f64 v[58:59], v[58:59], v[66:67], v[58:59]
	v_div_scale_f64 v[66:67], s5, v[26:27], v[24:25], v[26:27]
	;; [unrolled: 2-line block ×3, first 2 shown]
	v_fma_f64 v[62:63], v[62:63], v[70:71], v[62:63]
	v_mul_f64 v[70:71], v[72:73], v[56:57]
	v_mul_f64 v[74:75], v[64:65], v[58:59]
	;; [unrolled: 1-line block ×3, first 2 shown]
	s_delay_alu instid0(VALU_DEP_4) | instskip(NEXT) | instid1(VALU_DEP_4)
	v_mul_f64 v[78:79], v[68:69], v[62:63]
	v_fma_f64 v[46:47], -v[46:47], v[70:71], v[72:73]
	s_delay_alu instid0(VALU_DEP_4) | instskip(NEXT) | instid1(VALU_DEP_4)
	v_fma_f64 v[50:51], -v[50:51], v[74:75], v[64:65]
	v_fma_f64 v[52:53], -v[52:53], v[76:77], v[66:67]
	s_delay_alu instid0(VALU_DEP_4) | instskip(NEXT) | instid1(VALU_DEP_4)
	v_fma_f64 v[54:55], -v[54:55], v[78:79], v[68:69]
	v_div_fmas_f64 v[46:47], v[46:47], v[56:57], v[70:71]
	s_mov_b32 vcc_lo, s4
	v_cmp_lt_f64_e64 s4, |v[28:29]|, |v[10:11]|
	v_div_fmas_f64 v[50:51], v[50:51], v[58:59], v[74:75]
	s_mov_b32 vcc_lo, s5
	v_cmp_lt_f64_e64 s5, |v[22:23]|, |v[2:3]|
	;; [unrolled: 3-line block ×3, first 2 shown]
	v_div_fmas_f64 v[54:55], v[54:55], v[62:63], v[78:79]
	v_cmp_lt_f64_e64 vcc_lo, |v[34:35]|, |v[14:15]|
	v_ashrrev_i32_e32 v22, 31, v35
	v_ashrrev_i32_e32 v34, 31, v23
	v_cndmask_b32_e64 v2, 0x54442d18, v48, s8
	s_delay_alu instid0(VALU_DEP_3) | instskip(SKIP_4) | instid1(VALU_DEP_4)
	v_and_b32_e32 v40, 0x54442d18, v22
	v_div_fixup_f64 v[36:37], v[46:47], v[36:37], v[38:39]
	v_div_fixup_f64 v[30:31], v[50:51], v[30:31], v[32:33]
	;; [unrolled: 1-line block ×4, first 2 shown]
	v_mul_f64 v[32:33], v[36:37], v[36:37]
	s_delay_alu instid0(VALU_DEP_4) | instskip(NEXT) | instid1(VALU_DEP_4)
	v_mul_f64 v[38:39], v[30:31], v[30:31]
	v_mul_f64 v[42:43], v[24:25], v[24:25]
	s_delay_alu instid0(VALU_DEP_4) | instskip(NEXT) | instid1(VALU_DEP_4)
	v_mul_f64 v[44:45], v[26:27], v[26:27]
	v_fma_f64 v[46:47], v[32:33], s[40:41], s[38:39]
	s_delay_alu instid0(VALU_DEP_4) | instskip(NEXT) | instid1(VALU_DEP_4)
	v_fma_f64 v[50:51], v[38:39], s[40:41], s[38:39]
	v_fma_f64 v[52:53], v[42:43], s[40:41], s[38:39]
	s_delay_alu instid0(VALU_DEP_4) | instskip(NEXT) | instid1(VALU_DEP_4)
	v_fma_f64 v[54:55], v[44:45], s[40:41], s[38:39]
	;; [unrolled: 3-line block ×38, first 2 shown]
	v_mul_f64 v[32:33], v[32:33], v[46:47]
	s_delay_alu instid0(VALU_DEP_4) | instskip(NEXT) | instid1(VALU_DEP_4)
	v_mul_f64 v[38:39], v[38:39], v[50:51]
	v_mul_f64 v[42:43], v[42:43], v[52:53]
	s_delay_alu instid0(VALU_DEP_4) | instskip(NEXT) | instid1(VALU_DEP_4)
	v_mul_f64 v[44:45], v[44:45], v[54:55]
	v_fma_f64 v[32:33], v[36:37], v[32:33], v[36:37]
	s_delay_alu instid0(VALU_DEP_4) | instskip(NEXT) | instid1(VALU_DEP_4)
	v_fma_f64 v[30:31], v[30:31], v[38:39], v[30:31]
	v_fma_f64 v[24:25], v[24:25], v[42:43], v[24:25]
	s_delay_alu instid0(VALU_DEP_4) | instskip(NEXT) | instid1(VALU_DEP_4)
	v_fma_f64 v[26:27], v[26:27], v[44:45], v[26:27]
	v_add_f64 v[36:37], -v[32:33], s[36:37]
	s_delay_alu instid0(VALU_DEP_4) | instskip(NEXT) | instid1(VALU_DEP_4)
	v_add_f64 v[38:39], -v[30:31], s[36:37]
	v_add_f64 v[42:43], -v[24:25], s[36:37]
	s_delay_alu instid0(VALU_DEP_4) | instskip(NEXT) | instid1(VALU_DEP_4)
	v_add_f64 v[44:45], -v[26:27], s[36:37]
	v_dual_cndmask_b32 v33, v33, v37 :: v_dual_cndmask_b32 v32, v32, v36
	v_cmp_gt_i32_e32 vcc_lo, 0, v35
	v_cndmask_b32_e64 v31, v31, v39, s4
	v_cndmask_b32_e64 v30, v30, v38, s4
	v_ashrrev_i32_e32 v35, 31, v41
	v_cndmask_b32_e64 v25, v25, v43, s5
	v_cndmask_b32_e64 v24, v24, v42, s5
	v_add_f64 v[36:37], -v[32:33], s[80:81]
	v_cndmask_b32_e64 v27, v27, v45, s6
	v_cndmask_b32_e64 v26, v26, v44, s6
	v_cmp_eq_f64_e64 s6, 0, v[14:15]
	v_add_f64 v[42:43], -v[24:25], s[80:81]
	v_add_f64 v[38:39], -v[30:31], s[80:81]
	v_cndmask_b32_e32 v17, 0x54442d18, v48, vcc_lo
	v_add_f64 v[44:45], -v[26:27], s[80:81]
	v_cmp_gt_i32_e64 s5, 0, v23
	v_and_b32_e32 v47, 0x54442d18, v34
	v_cmp_gt_i32_e64 s4, 0, v29
	v_cndmask_b32_e32 v6, 0x3fe921fb, v49, vcc_lo
	v_ashrrev_i32_e32 v29, 31, v29
	v_cndmask_b32_e64 v23, 0x54442d18, v48, s5
	s_delay_alu instid0(VALU_DEP_4) | instskip(NEXT) | instid1(VALU_DEP_4)
	v_cndmask_b32_e64 v28, 0x54442d18, v48, s4
	v_bfi_b32 v6, 0x7fffffff, v6, v15
	v_dual_cndmask_b32 v32, v32, v36 :: v_dual_cndmask_b32 v33, v33, v37
	s_and_b32 vcc_lo, s88, s89
	v_cndmask_b32_e64 v36, 0x3fe921fb, v49, s5
	v_cndmask_b32_e64 v10, v24, v42, s5
	v_and_b32_e32 v24, 0x54442d18, v35
	v_cndmask_b32_e64 v32, v32, v40, s6
	v_and_b32_e32 v22, 0x400921fb, v22
	v_cndmask_b32_e64 v14, v30, v38, s4
	v_cndmask_b32_e64 v30, 0x3fe921fb, v49, s4
	;; [unrolled: 1-line block ×3, first 2 shown]
	v_cndmask_b32_e32 v17, v32, v17, vcc_lo
	v_cndmask_b32_e64 v22, v33, v22, s6
	v_and_b32_e32 v35, 0x400921fb, v35
	v_bfi_b32 v30, 0x7fffffff, v30, v11
	v_cndmask_b32_e64 v31, v31, v39, s4
	v_cndmask_b32_e64 v27, v27, v45, s8
	v_cndmask_b32_e32 v6, v22, v6, vcc_lo
	s_and_b32 vcc_lo, s86, s87
	v_and_b32_e32 v46, 0x54442d18, v29
	v_and_b32_e32 v29, 0x400921fb, v29
	v_cndmask_b32_e64 v24, v26, v24, s10
	v_bfi_b32 v36, 0x7fffffff, v36, v3
	v_cndmask_b32_e64 v25, v25, v43, s5
	v_cndmask_b32_e64 v14, v14, v46, s7
	;; [unrolled: 1-line block ×6, first 2 shown]
	v_cndmask_b32_e32 v27, v14, v28, vcc_lo
	v_cndmask_b32_e32 v26, v26, v30, vcc_lo
	s_and_b32 vcc_lo, s84, s85
	v_and_b32_e32 v34, 0x400921fb, v34
	v_bfi_b32 v38, 0x7fffffff, v38, v7
	v_cndmask_b32_e32 v23, v10, v23, vcc_lo
	v_cndmask_b32_e64 v14, 0, v17, s2
	v_cndmask_b32_e64 v6, 0x7ff80000, v6, s2
	;; [unrolled: 1-line block ×4, first 2 shown]
	s_delay_alu instid0(VALU_DEP_3) | instskip(NEXT) | instid1(VALU_DEP_3)
	v_bfi_b32 v15, 0x7fffffff, v6, v15
	v_cndmask_b32_e32 v25, v25, v36, vcc_lo
	s_and_b32 vcc_lo, s90, s91
	v_cndmask_b32_e32 v17, v22, v38, vcc_lo
	v_cndmask_b32_e32 v22, v24, v2, vcc_lo
	s_delay_alu instid0(VALU_DEP_3)
	v_cndmask_b32_e64 v24, 0x7ff80000, v25, s0
	v_cndmask_b32_e64 v25, 0x7ff80000, v26, s1
	;; [unrolled: 1-line block ×5, first 2 shown]
	v_bfi_b32 v3, 0x7fffffff, v24, v3
	v_bfi_b32 v11, 0x7fffffff, v25, v11
	s_or_b32 s0, s11, s12
	v_bfi_b32 v7, 0x7fffffff, v17, v7
	s_clause 0x3
	global_store_b128 v[20:21], v[0:3], off
	global_store_b128 v[20:21], v[8:11], off offset:16
	global_store_b128 v[20:21], v[12:15], off offset:32
	;; [unrolled: 1-line block ×3, first 2 shown]
	v_add_co_u32 v20, vcc_lo, v20, s82
	v_add_co_ci_u32_e32 v21, vcc_lo, 0, v21, vcc_lo
	s_and_b32 s0, exec_lo, s0
	s_delay_alu instid0(SALU_CYCLE_1) | instskip(NEXT) | instid1(SALU_CYCLE_1)
	s_or_b32 s33, s0, s33
	s_and_not1_b32 exec_lo, exec_lo, s33
	s_cbranch_execz .LBB210_73
.LBB210_50:                             ; =>This Inner Loop Header: Depth=1
	global_load_b128 v[0:3], v[20:21], off
	s_waitcnt vmcnt(0)
	v_max_f64 v[4:5], |v[0:1]|, |v[0:1]|
	v_max_f64 v[26:27], |v[2:3]|, |v[2:3]|
	v_cmp_class_f64_e64 s2, v[0:1], 0x204
	v_cmp_class_f64_e64 s84, v[2:3], 0x204
	s_delay_alu instid0(VALU_DEP_3) | instskip(NEXT) | instid1(VALU_DEP_2)
	v_max_f64 v[4:5], v[4:5], v[26:27]
	s_or_b32 s2, s2, s84
	s_delay_alu instid0(VALU_DEP_1) | instskip(NEXT) | instid1(VALU_DEP_1)
	v_frexp_exp_i32_f64_e32 v17, v[4:5]
	v_sub_nc_u32_e32 v6, 0, v17
	s_delay_alu instid0(VALU_DEP_1) | instskip(SKIP_1) | instid1(VALU_DEP_2)
	v_ldexp_f64 v[4:5], |v[2:3]|, v6
	v_ldexp_f64 v[6:7], |v[0:1]|, v6
	v_mul_f64 v[4:5], v[4:5], v[4:5]
	s_delay_alu instid0(VALU_DEP_1)
	v_fma_f64 v[22:23], v[6:7], v[6:7], v[4:5]
	s_clause 0x2
	global_load_b128 v[8:11], v[20:21], off offset:16
	global_load_b128 v[4:7], v[20:21], off offset:48
	;; [unrolled: 1-line block ×3, first 2 shown]
	v_rsq_f64_e32 v[24:25], v[22:23]
	v_cmp_eq_f64_e32 vcc_lo, 0, v[22:23]
	s_waitcnt_depctr 0xfff
	v_mul_f64 v[28:29], v[22:23], v[24:25]
	v_mul_f64 v[24:25], v[24:25], 0.5
	s_delay_alu instid0(VALU_DEP_1) | instskip(NEXT) | instid1(VALU_DEP_1)
	v_fma_f64 v[30:31], -v[24:25], v[28:29], 0.5
	v_fma_f64 v[28:29], v[28:29], v[30:31], v[28:29]
	v_fma_f64 v[24:25], v[24:25], v[30:31], v[24:25]
	s_delay_alu instid0(VALU_DEP_2) | instskip(NEXT) | instid1(VALU_DEP_1)
	v_fma_f64 v[30:31], -v[28:29], v[28:29], v[22:23]
	v_fma_f64 v[24:25], v[30:31], v[24:25], v[28:29]
	s_delay_alu instid0(VALU_DEP_1) | instskip(SKIP_1) | instid1(VALU_DEP_2)
	v_dual_cndmask_b32 v23, v25, v23 :: v_dual_cndmask_b32 v22, v24, v22
	v_cmp_u_f64_e32 vcc_lo, v[0:1], v[2:3]
	v_ldexp_f64 v[24:25], v[22:23], v17
	v_add_f64 v[22:23], v[0:1], 1.0
	s_or_b32 s2, s2, vcc_lo
	s_delay_alu instid0(VALU_DEP_2) | instskip(NEXT) | instid1(VALU_DEP_2)
	v_cmp_ngt_f64_e64 s1, 0.5, v[24:25]
	v_max_f64 v[24:25], |v[22:23]|, v[26:27]
	v_cmp_o_f64_e64 s0, v[22:23], v[2:3]
	v_cmp_class_f64_e64 s85, v[22:23], 0x204
	s_delay_alu instid0(VALU_DEP_4) | instskip(NEXT) | instid1(SALU_CYCLE_1)
	s_or_b32 s1, s2, s1
	s_and_saveexec_b32 s2, s1
	s_delay_alu instid0(SALU_CYCLE_1)
	s_xor_b32 s1, exec_lo, s2
	s_cbranch_execz .LBB210_52
; %bb.51:                               ;   in Loop: Header=BB210_50 Depth=1
	s_delay_alu instid0(VALU_DEP_3) | instskip(NEXT) | instid1(VALU_DEP_2)
	v_frexp_exp_i32_f64_e32 v17, v[24:25]
	s_or_b32 s2, s85, s84
	s_mov_b32 s79, s19
	s_delay_alu instid0(VALU_DEP_1) | instskip(NEXT) | instid1(VALU_DEP_1)
	v_sub_nc_u32_e32 v28, 0, v17
	v_ldexp_f64 v[0:1], |v[2:3]|, v28
	v_ldexp_f64 v[28:29], |v[22:23]|, v28
	s_delay_alu instid0(VALU_DEP_2) | instskip(NEXT) | instid1(VALU_DEP_1)
	v_mul_f64 v[0:1], v[0:1], v[0:1]
	v_fma_f64 v[0:1], v[28:29], v[28:29], v[0:1]
	s_delay_alu instid0(VALU_DEP_1) | instskip(SKIP_4) | instid1(VALU_DEP_1)
	v_rsq_f64_e32 v[28:29], v[0:1]
	v_cmp_eq_f64_e32 vcc_lo, 0, v[0:1]
	s_waitcnt_depctr 0xfff
	v_mul_f64 v[30:31], v[0:1], v[28:29]
	v_mul_f64 v[28:29], v[28:29], 0.5
	v_fma_f64 v[32:33], -v[28:29], v[30:31], 0.5
	s_delay_alu instid0(VALU_DEP_1) | instskip(SKIP_1) | instid1(VALU_DEP_2)
	v_fma_f64 v[30:31], v[30:31], v[32:33], v[30:31]
	v_fma_f64 v[28:29], v[28:29], v[32:33], v[28:29]
	v_fma_f64 v[32:33], -v[30:31], v[30:31], v[0:1]
	s_delay_alu instid0(VALU_DEP_1) | instskip(NEXT) | instid1(VALU_DEP_1)
	v_fma_f64 v[28:29], v[32:33], v[28:29], v[30:31]
	v_dual_cndmask_b32 v1, v29, v1 :: v_dual_cndmask_b32 v0, v28, v0
	s_delay_alu instid0(VALU_DEP_1) | instskip(NEXT) | instid1(VALU_DEP_1)
	v_ldexp_f64 v[0:1], v[0:1], v17
	v_cndmask_b32_e64 v50, 0x7ff80000, v1, s0
	s_delay_alu instid0(VALU_DEP_2) | instskip(SKIP_1) | instid1(VALU_DEP_3)
	v_cndmask_b32_e64 v51, 0, v0, s0
	v_and_b32_e32 v1, 0x7fffffff, v1
	v_cndmask_b32_e64 v29, v50, 0x7ff00000, s2
	s_delay_alu instid0(VALU_DEP_3) | instskip(NEXT) | instid1(VALU_DEP_1)
	v_cndmask_b32_e64 v28, v51, 0, s2
	v_frexp_mant_f64_e32 v[30:31], v[28:29]
	s_delay_alu instid0(VALU_DEP_1) | instskip(SKIP_1) | instid1(VALU_DEP_1)
	v_cmp_gt_f64_e32 vcc_lo, s[18:19], v[30:31]
	v_cndmask_b32_e64 v17, 0x3ff00000, 2.0, vcc_lo
	v_mul_f64 v[30:31], v[30:31], v[16:17]
	v_frexp_exp_i32_f64_e32 v17, v[28:29]
	s_delay_alu instid0(VALU_DEP_2) | instskip(SKIP_1) | instid1(VALU_DEP_3)
	v_add_f64 v[32:33], v[30:31], 1.0
	v_add_f64 v[38:39], v[30:31], -1.0
	v_subrev_co_ci_u32_e32 v17, vcc_lo, 0, v17, vcc_lo
	v_cmp_eq_f64_e32 vcc_lo, 0x7ff00000, v[0:1]
	s_delay_alu instid0(VALU_DEP_4) | instskip(SKIP_2) | instid1(VALU_DEP_1)
	v_rcp_f64_e32 v[34:35], v[32:33]
	v_add_f64 v[40:41], v[32:33], -1.0
	s_and_b32 vcc_lo, s0, vcc_lo
	v_add_f64 v[30:31], v[30:31], -v[40:41]
	s_waitcnt_depctr 0xfff
	v_fma_f64 v[36:37], -v[32:33], v[34:35], 1.0
	s_delay_alu instid0(VALU_DEP_1) | instskip(NEXT) | instid1(VALU_DEP_1)
	v_fma_f64 v[34:35], v[36:37], v[34:35], v[34:35]
	v_fma_f64 v[36:37], -v[32:33], v[34:35], 1.0
	s_delay_alu instid0(VALU_DEP_1) | instskip(NEXT) | instid1(VALU_DEP_1)
	v_fma_f64 v[34:35], v[36:37], v[34:35], v[34:35]
	v_mul_f64 v[36:37], v[38:39], v[34:35]
	s_delay_alu instid0(VALU_DEP_1) | instskip(NEXT) | instid1(VALU_DEP_1)
	v_mul_f64 v[42:43], v[32:33], v[36:37]
	v_fma_f64 v[32:33], v[36:37], v[32:33], -v[42:43]
	s_delay_alu instid0(VALU_DEP_1) | instskip(NEXT) | instid1(VALU_DEP_1)
	v_fma_f64 v[30:31], v[36:37], v[30:31], v[32:33]
	v_add_f64 v[32:33], v[42:43], v[30:31]
	s_delay_alu instid0(VALU_DEP_1) | instskip(SKIP_1) | instid1(VALU_DEP_2)
	v_add_f64 v[40:41], v[38:39], -v[32:33]
	v_add_f64 v[42:43], v[32:33], -v[42:43]
	;; [unrolled: 1-line block ×3, first 2 shown]
	s_delay_alu instid0(VALU_DEP_2) | instskip(NEXT) | instid1(VALU_DEP_2)
	v_add_f64 v[30:31], v[42:43], -v[30:31]
	v_add_f64 v[32:33], v[38:39], -v[32:33]
	s_delay_alu instid0(VALU_DEP_1) | instskip(NEXT) | instid1(VALU_DEP_1)
	v_add_f64 v[30:31], v[30:31], v[32:33]
	v_add_f64 v[30:31], v[40:41], v[30:31]
	s_delay_alu instid0(VALU_DEP_1) | instskip(NEXT) | instid1(VALU_DEP_1)
	v_mul_f64 v[30:31], v[34:35], v[30:31]
	v_add_f64 v[32:33], v[36:37], v[30:31]
	s_delay_alu instid0(VALU_DEP_1) | instskip(NEXT) | instid1(VALU_DEP_1)
	v_mul_f64 v[34:35], v[32:33], v[32:33]
	v_fma_f64 v[38:39], v[34:35], s[22:23], s[20:21]
	v_mul_f64 v[40:41], v[32:33], v[34:35]
	s_delay_alu instid0(VALU_DEP_2) | instskip(NEXT) | instid1(VALU_DEP_1)
	v_fma_f64 v[38:39], v[34:35], v[38:39], s[24:25]
	v_fma_f64 v[38:39], v[34:35], v[38:39], s[26:27]
	s_delay_alu instid0(VALU_DEP_1) | instskip(NEXT) | instid1(VALU_DEP_1)
	v_fma_f64 v[38:39], v[34:35], v[38:39], s[28:29]
	v_fma_f64 v[38:39], v[34:35], v[38:39], s[16:17]
	s_delay_alu instid0(VALU_DEP_1) | instskip(SKIP_2) | instid1(VALU_DEP_3)
	v_fma_f64 v[34:35], v[34:35], v[38:39], s[78:79]
	v_ldexp_f64 v[38:39], v[32:33], 1
	v_add_f64 v[32:33], v[32:33], -v[36:37]
	v_mul_f64 v[34:35], v[40:41], v[34:35]
	v_cvt_f64_i32_e32 v[40:41], v17
	s_delay_alu instid0(VALU_DEP_3) | instskip(NEXT) | instid1(VALU_DEP_3)
	v_add_f64 v[30:31], v[30:31], -v[32:33]
	v_add_f64 v[36:37], v[38:39], v[34:35]
	s_delay_alu instid0(VALU_DEP_3) | instskip(NEXT) | instid1(VALU_DEP_3)
	v_mul_f64 v[42:43], v[40:41], s[30:31]
	v_ldexp_f64 v[30:31], v[30:31], 1
	s_delay_alu instid0(VALU_DEP_3) | instskip(NEXT) | instid1(VALU_DEP_3)
	v_add_f64 v[32:33], v[36:37], -v[38:39]
	v_fma_f64 v[38:39], v[40:41], s[30:31], -v[42:43]
	s_delay_alu instid0(VALU_DEP_2) | instskip(NEXT) | instid1(VALU_DEP_2)
	v_add_f64 v[32:33], v[34:35], -v[32:33]
	v_fma_f64 v[34:35], v[40:41], s[34:35], v[38:39]
	s_delay_alu instid0(VALU_DEP_2) | instskip(NEXT) | instid1(VALU_DEP_2)
	v_add_f64 v[30:31], v[30:31], v[32:33]
	v_add_f64 v[32:33], v[42:43], v[34:35]
	s_delay_alu instid0(VALU_DEP_2) | instskip(NEXT) | instid1(VALU_DEP_2)
	v_add_f64 v[38:39], v[36:37], v[30:31]
	v_add_f64 v[42:43], v[32:33], -v[42:43]
	s_delay_alu instid0(VALU_DEP_2) | instskip(SKIP_1) | instid1(VALU_DEP_3)
	v_add_f64 v[40:41], v[32:33], v[38:39]
	v_add_f64 v[36:37], v[38:39], -v[36:37]
	v_add_f64 v[34:35], v[34:35], -v[42:43]
	s_delay_alu instid0(VALU_DEP_3) | instskip(NEXT) | instid1(VALU_DEP_3)
	v_add_f64 v[44:45], v[40:41], -v[32:33]
	v_add_f64 v[30:31], v[30:31], -v[36:37]
	s_delay_alu instid0(VALU_DEP_2) | instskip(SKIP_1) | instid1(VALU_DEP_3)
	v_add_f64 v[46:47], v[40:41], -v[44:45]
	v_add_f64 v[36:37], v[38:39], -v[44:45]
	v_add_f64 v[38:39], v[34:35], v[30:31]
	s_delay_alu instid0(VALU_DEP_3) | instskip(NEXT) | instid1(VALU_DEP_1)
	v_add_f64 v[32:33], v[32:33], -v[46:47]
	v_add_f64 v[32:33], v[36:37], v[32:33]
	s_delay_alu instid0(VALU_DEP_3) | instskip(NEXT) | instid1(VALU_DEP_2)
	v_add_f64 v[36:37], v[38:39], -v[34:35]
	v_add_f64 v[32:33], v[38:39], v[32:33]
	s_delay_alu instid0(VALU_DEP_2) | instskip(SKIP_1) | instid1(VALU_DEP_3)
	v_add_f64 v[38:39], v[38:39], -v[36:37]
	v_add_f64 v[30:31], v[30:31], -v[36:37]
	v_add_f64 v[42:43], v[40:41], v[32:33]
	s_delay_alu instid0(VALU_DEP_3) | instskip(NEXT) | instid1(VALU_DEP_2)
	v_add_f64 v[34:35], v[34:35], -v[38:39]
	v_add_f64 v[36:37], v[42:43], -v[40:41]
	s_delay_alu instid0(VALU_DEP_2) | instskip(NEXT) | instid1(VALU_DEP_2)
	v_add_f64 v[30:31], v[30:31], v[34:35]
	v_add_f64 v[32:33], v[32:33], -v[36:37]
	s_delay_alu instid0(VALU_DEP_1) | instskip(NEXT) | instid1(VALU_DEP_1)
	v_add_f64 v[30:31], v[30:31], v[32:33]
	v_add_f64 v[0:1], v[42:43], v[30:31]
	s_delay_alu instid0(VALU_DEP_1) | instskip(NEXT) | instid1(VALU_DEP_1)
	v_cndmask_b32_e32 v0, v0, v51, vcc_lo
	v_cndmask_b32_e64 v0, v0, 0, s2
	s_delay_alu instid0(VALU_DEP_3) | instskip(SKIP_1) | instid1(VALU_DEP_2)
	v_cndmask_b32_e32 v1, v1, v50, vcc_lo
	v_cmp_ngt_f64_e32 vcc_lo, 0, v[28:29]
	v_cndmask_b32_e64 v1, v1, 0x7ff00000, s2
	s_delay_alu instid0(VALU_DEP_1) | instskip(SKIP_3) | instid1(VALU_DEP_4)
	v_cndmask_b32_e32 v1, 0x7ff80000, v1, vcc_lo
	v_cmp_nge_f64_e32 vcc_lo, 0, v[28:29]
	v_cndmask_b32_e32 v0, 0, v0, vcc_lo
	v_cmp_neq_f64_e32 vcc_lo, 0, v[28:29]
	v_cndmask_b32_e32 v1, 0xfff00000, v1, vcc_lo
.LBB210_52:                             ;   in Loop: Header=BB210_50 Depth=1
	s_and_not1_saveexec_b32 s1, s1
	s_cbranch_execz .LBB210_56
; %bb.53:                               ;   in Loop: Header=BB210_50 Depth=1
	s_delay_alu instid0(VALU_DEP_1) | instskip(SKIP_2) | instid1(VALU_DEP_1)
	v_add_f64 v[28:29], v[0:1], 2.0
	v_mul_f64 v[30:31], v[2:3], v[2:3]
	s_mov_b32 s2, exec_lo
	v_fma_f64 v[28:29], v[0:1], v[28:29], v[30:31]
	s_delay_alu instid0(VALU_DEP_1)
	v_cmpx_neq_f64_e32 0, v[28:29]
	s_cbranch_execz .LBB210_55
; %bb.54:                               ;   in Loop: Header=BB210_50 Depth=1
	v_add_f64 v[0:1], v[28:29], 1.0
	s_mov_b32 s79, s19
	s_delay_alu instid0(VALU_DEP_1) | instskip(SKIP_2) | instid1(VALU_DEP_3)
	v_frexp_mant_f64_e32 v[30:31], v[0:1]
	v_frexp_exp_i32_f64_e32 v17, v[0:1]
	v_add_f64 v[32:33], v[0:1], -1.0
	v_cmp_gt_f64_e32 vcc_lo, s[18:19], v[30:31]
	s_delay_alu instid0(VALU_DEP_2) | instskip(SKIP_2) | instid1(VALU_DEP_3)
	v_add_f64 v[30:31], v[32:33], -v[0:1]
	v_add_f64 v[32:33], v[28:29], -v[32:33]
	v_subrev_co_ci_u32_e32 v17, vcc_lo, 0, v17, vcc_lo
	v_add_f64 v[30:31], v[30:31], 1.0
	v_cmp_eq_f64_e32 vcc_lo, 0x7ff00000, v[28:29]
	s_delay_alu instid0(VALU_DEP_3) | instskip(NEXT) | instid1(VALU_DEP_1)
	v_sub_nc_u32_e32 v36, 0, v17
	v_ldexp_f64 v[0:1], v[0:1], v36
	s_delay_alu instid0(VALU_DEP_4) | instskip(NEXT) | instid1(VALU_DEP_2)
	v_add_f64 v[30:31], v[32:33], v[30:31]
	v_add_f64 v[34:35], v[0:1], 1.0
	v_add_f64 v[40:41], v[0:1], -1.0
	s_delay_alu instid0(VALU_DEP_3) | instskip(NEXT) | instid1(VALU_DEP_3)
	v_ldexp_f64 v[30:31], v[30:31], v36
	v_add_f64 v[32:33], v[34:35], -1.0
	s_delay_alu instid0(VALU_DEP_3) | instskip(NEXT) | instid1(VALU_DEP_2)
	v_add_f64 v[42:43], v[40:41], 1.0
	v_add_f64 v[32:33], v[0:1], -v[32:33]
	s_delay_alu instid0(VALU_DEP_2) | instskip(NEXT) | instid1(VALU_DEP_2)
	v_add_f64 v[0:1], v[0:1], -v[42:43]
	v_add_f64 v[32:33], v[30:31], v[32:33]
	s_delay_alu instid0(VALU_DEP_2) | instskip(NEXT) | instid1(VALU_DEP_2)
	v_add_f64 v[0:1], v[30:31], v[0:1]
	v_add_f64 v[36:37], v[34:35], v[32:33]
	s_delay_alu instid0(VALU_DEP_2) | instskip(NEXT) | instid1(VALU_DEP_2)
	v_add_f64 v[42:43], v[40:41], v[0:1]
	v_rcp_f64_e32 v[38:39], v[36:37]
	v_add_f64 v[34:35], v[36:37], -v[34:35]
	s_delay_alu instid0(VALU_DEP_2) | instskip(NEXT) | instid1(VALU_DEP_2)
	v_add_f64 v[40:41], v[42:43], -v[40:41]
	v_add_f64 v[32:33], v[32:33], -v[34:35]
	s_waitcnt_depctr 0xfff
	v_fma_f64 v[44:45], -v[36:37], v[38:39], 1.0
	v_add_f64 v[0:1], v[0:1], -v[40:41]
	s_delay_alu instid0(VALU_DEP_2) | instskip(NEXT) | instid1(VALU_DEP_1)
	v_fma_f64 v[38:39], v[44:45], v[38:39], v[38:39]
	v_fma_f64 v[30:31], -v[36:37], v[38:39], 1.0
	s_delay_alu instid0(VALU_DEP_1) | instskip(NEXT) | instid1(VALU_DEP_1)
	v_fma_f64 v[30:31], v[30:31], v[38:39], v[38:39]
	v_mul_f64 v[38:39], v[42:43], v[30:31]
	s_delay_alu instid0(VALU_DEP_1) | instskip(NEXT) | instid1(VALU_DEP_1)
	v_mul_f64 v[44:45], v[36:37], v[38:39]
	v_fma_f64 v[34:35], v[38:39], v[36:37], -v[44:45]
	s_delay_alu instid0(VALU_DEP_1) | instskip(NEXT) | instid1(VALU_DEP_1)
	v_fma_f64 v[34:35], v[38:39], v[32:33], v[34:35]
	v_add_f64 v[46:47], v[44:45], v[34:35]
	s_delay_alu instid0(VALU_DEP_1) | instskip(SKIP_1) | instid1(VALU_DEP_2)
	v_add_f64 v[50:51], v[42:43], -v[46:47]
	v_add_f64 v[40:41], v[46:47], -v[44:45]
	;; [unrolled: 1-line block ×3, first 2 shown]
	s_delay_alu instid0(VALU_DEP_2) | instskip(NEXT) | instid1(VALU_DEP_2)
	v_add_f64 v[34:35], v[40:41], -v[34:35]
	v_add_f64 v[42:43], v[42:43], -v[46:47]
	s_delay_alu instid0(VALU_DEP_1) | instskip(NEXT) | instid1(VALU_DEP_1)
	v_add_f64 v[0:1], v[0:1], v[42:43]
	v_add_f64 v[0:1], v[34:35], v[0:1]
	s_delay_alu instid0(VALU_DEP_1) | instskip(NEXT) | instid1(VALU_DEP_1)
	v_add_f64 v[34:35], v[50:51], v[0:1]
	v_mul_f64 v[40:41], v[30:31], v[34:35]
	v_add_f64 v[46:47], v[50:51], -v[34:35]
	s_delay_alu instid0(VALU_DEP_2) | instskip(NEXT) | instid1(VALU_DEP_2)
	v_mul_f64 v[42:43], v[36:37], v[40:41]
	v_add_f64 v[0:1], v[0:1], v[46:47]
	s_delay_alu instid0(VALU_DEP_2) | instskip(NEXT) | instid1(VALU_DEP_1)
	v_fma_f64 v[36:37], v[40:41], v[36:37], -v[42:43]
	v_fma_f64 v[32:33], v[40:41], v[32:33], v[36:37]
	s_delay_alu instid0(VALU_DEP_1) | instskip(NEXT) | instid1(VALU_DEP_1)
	v_add_f64 v[36:37], v[42:43], v[32:33]
	v_add_f64 v[44:45], v[34:35], -v[36:37]
	v_add_f64 v[42:43], v[36:37], -v[42:43]
	s_delay_alu instid0(VALU_DEP_2) | instskip(NEXT) | instid1(VALU_DEP_2)
	v_add_f64 v[34:35], v[34:35], -v[44:45]
	v_add_f64 v[32:33], v[42:43], -v[32:33]
	s_delay_alu instid0(VALU_DEP_2) | instskip(NEXT) | instid1(VALU_DEP_1)
	v_add_f64 v[34:35], v[34:35], -v[36:37]
	v_add_f64 v[0:1], v[0:1], v[34:35]
	v_add_f64 v[34:35], v[38:39], v[40:41]
	s_delay_alu instid0(VALU_DEP_2) | instskip(NEXT) | instid1(VALU_DEP_2)
	v_add_f64 v[0:1], v[32:33], v[0:1]
	v_add_f64 v[32:33], v[34:35], -v[38:39]
	s_delay_alu instid0(VALU_DEP_2) | instskip(NEXT) | instid1(VALU_DEP_2)
	v_add_f64 v[0:1], v[44:45], v[0:1]
	v_add_f64 v[32:33], v[40:41], -v[32:33]
	s_delay_alu instid0(VALU_DEP_2) | instskip(NEXT) | instid1(VALU_DEP_1)
	v_mul_f64 v[0:1], v[30:31], v[0:1]
	v_add_f64 v[0:1], v[32:33], v[0:1]
	s_delay_alu instid0(VALU_DEP_1) | instskip(NEXT) | instid1(VALU_DEP_1)
	v_add_f64 v[30:31], v[34:35], v[0:1]
	v_mul_f64 v[32:33], v[30:31], v[30:31]
	s_delay_alu instid0(VALU_DEP_1) | instskip(SKIP_1) | instid1(VALU_DEP_2)
	v_fma_f64 v[36:37], v[32:33], s[22:23], s[20:21]
	v_mul_f64 v[38:39], v[30:31], v[32:33]
	v_fma_f64 v[36:37], v[32:33], v[36:37], s[24:25]
	s_delay_alu instid0(VALU_DEP_1) | instskip(NEXT) | instid1(VALU_DEP_1)
	v_fma_f64 v[36:37], v[32:33], v[36:37], s[26:27]
	v_fma_f64 v[36:37], v[32:33], v[36:37], s[28:29]
	s_delay_alu instid0(VALU_DEP_1) | instskip(NEXT) | instid1(VALU_DEP_1)
	v_fma_f64 v[36:37], v[32:33], v[36:37], s[16:17]
	v_fma_f64 v[32:33], v[32:33], v[36:37], s[78:79]
	v_ldexp_f64 v[36:37], v[30:31], 1
	v_add_f64 v[30:31], v[30:31], -v[34:35]
	s_delay_alu instid0(VALU_DEP_3) | instskip(SKIP_1) | instid1(VALU_DEP_3)
	v_mul_f64 v[32:33], v[38:39], v[32:33]
	v_cvt_f64_i32_e32 v[38:39], v17
	v_add_f64 v[0:1], v[0:1], -v[30:31]
	s_delay_alu instid0(VALU_DEP_3) | instskip(NEXT) | instid1(VALU_DEP_3)
	v_add_f64 v[34:35], v[36:37], v[32:33]
	v_mul_f64 v[40:41], v[38:39], s[30:31]
	s_delay_alu instid0(VALU_DEP_3) | instskip(NEXT) | instid1(VALU_DEP_3)
	v_ldexp_f64 v[0:1], v[0:1], 1
	v_add_f64 v[30:31], v[34:35], -v[36:37]
	s_delay_alu instid0(VALU_DEP_3) | instskip(NEXT) | instid1(VALU_DEP_2)
	v_fma_f64 v[36:37], v[38:39], s[30:31], -v[40:41]
	v_add_f64 v[30:31], v[32:33], -v[30:31]
	s_delay_alu instid0(VALU_DEP_2) | instskip(NEXT) | instid1(VALU_DEP_2)
	v_fma_f64 v[32:33], v[38:39], s[34:35], v[36:37]
	v_add_f64 v[0:1], v[0:1], v[30:31]
	s_delay_alu instid0(VALU_DEP_2) | instskip(NEXT) | instid1(VALU_DEP_2)
	v_add_f64 v[30:31], v[40:41], v[32:33]
	v_add_f64 v[36:37], v[34:35], v[0:1]
	s_delay_alu instid0(VALU_DEP_2) | instskip(NEXT) | instid1(VALU_DEP_2)
	v_add_f64 v[40:41], v[30:31], -v[40:41]
	v_add_f64 v[38:39], v[30:31], v[36:37]
	v_add_f64 v[34:35], v[36:37], -v[34:35]
	s_delay_alu instid0(VALU_DEP_3) | instskip(NEXT) | instid1(VALU_DEP_3)
	v_add_f64 v[32:33], v[32:33], -v[40:41]
	v_add_f64 v[42:43], v[38:39], -v[30:31]
	s_delay_alu instid0(VALU_DEP_3) | instskip(NEXT) | instid1(VALU_DEP_2)
	v_add_f64 v[0:1], v[0:1], -v[34:35]
	v_add_f64 v[44:45], v[38:39], -v[42:43]
	;; [unrolled: 1-line block ×3, first 2 shown]
	s_delay_alu instid0(VALU_DEP_3) | instskip(NEXT) | instid1(VALU_DEP_3)
	v_add_f64 v[36:37], v[32:33], v[0:1]
	v_add_f64 v[30:31], v[30:31], -v[44:45]
	s_delay_alu instid0(VALU_DEP_1) | instskip(NEXT) | instid1(VALU_DEP_3)
	v_add_f64 v[30:31], v[34:35], v[30:31]
	v_add_f64 v[34:35], v[36:37], -v[32:33]
	s_delay_alu instid0(VALU_DEP_2) | instskip(NEXT) | instid1(VALU_DEP_2)
	v_add_f64 v[30:31], v[36:37], v[30:31]
	v_add_f64 v[36:37], v[36:37], -v[34:35]
	v_add_f64 v[0:1], v[0:1], -v[34:35]
	s_delay_alu instid0(VALU_DEP_3) | instskip(NEXT) | instid1(VALU_DEP_3)
	v_add_f64 v[40:41], v[38:39], v[30:31]
	v_add_f64 v[32:33], v[32:33], -v[36:37]
	s_delay_alu instid0(VALU_DEP_2) | instskip(NEXT) | instid1(VALU_DEP_2)
	v_add_f64 v[34:35], v[40:41], -v[38:39]
	v_add_f64 v[0:1], v[0:1], v[32:33]
	s_delay_alu instid0(VALU_DEP_2) | instskip(NEXT) | instid1(VALU_DEP_1)
	v_add_f64 v[30:31], v[30:31], -v[34:35]
	v_add_f64 v[0:1], v[0:1], v[30:31]
	s_delay_alu instid0(VALU_DEP_1) | instskip(NEXT) | instid1(VALU_DEP_1)
	v_add_f64 v[0:1], v[40:41], v[0:1]
	v_dual_cndmask_b32 v1, v1, v29 :: v_dual_cndmask_b32 v0, v0, v28
	v_cmp_ngt_f64_e32 vcc_lo, -1.0, v[28:29]
	s_delay_alu instid0(VALU_DEP_2) | instskip(NEXT) | instid1(VALU_DEP_1)
	v_mul_f64 v[0:1], v[0:1], 0.5
	v_cndmask_b32_e32 v1, 0x7ff80000, v1, vcc_lo
	v_cmp_nge_f64_e32 vcc_lo, -1.0, v[28:29]
	s_delay_alu instid0(VALU_DEP_3) | instskip(SKIP_1) | instid1(VALU_DEP_4)
	v_cndmask_b32_e32 v0, 0, v0, vcc_lo
	v_cmp_neq_f64_e32 vcc_lo, -1.0, v[28:29]
	v_cndmask_b32_e32 v1, 0xfff00000, v1, vcc_lo
.LBB210_55:                             ;   in Loop: Header=BB210_50 Depth=1
	s_or_b32 exec_lo, exec_lo, s2
.LBB210_56:                             ;   in Loop: Header=BB210_50 Depth=1
	s_delay_alu instid0(SALU_CYCLE_1)
	s_or_b32 exec_lo, exec_lo, s1
	s_waitcnt vmcnt(2)
	v_max_f64 v[28:29], |v[8:9]|, |v[8:9]|
	v_max_f64 v[32:33], |v[10:11]|, |v[10:11]|
	v_cmp_class_f64_e64 s3, v[8:9], 0x204
	v_cmp_class_f64_e64 s86, v[10:11], 0x204
	s_delay_alu instid0(VALU_DEP_3) | instskip(NEXT) | instid1(VALU_DEP_2)
	v_max_f64 v[28:29], v[28:29], v[32:33]
	s_or_b32 s3, s3, s86
	s_delay_alu instid0(VALU_DEP_1) | instskip(NEXT) | instid1(VALU_DEP_1)
	v_frexp_exp_i32_f64_e32 v17, v[28:29]
	v_sub_nc_u32_e32 v30, 0, v17
	s_delay_alu instid0(VALU_DEP_1) | instskip(SKIP_1) | instid1(VALU_DEP_2)
	v_ldexp_f64 v[28:29], |v[10:11]|, v30
	v_ldexp_f64 v[30:31], |v[8:9]|, v30
	v_mul_f64 v[28:29], v[28:29], v[28:29]
	s_delay_alu instid0(VALU_DEP_1) | instskip(NEXT) | instid1(VALU_DEP_1)
	v_fma_f64 v[28:29], v[30:31], v[30:31], v[28:29]
	v_rsq_f64_e32 v[30:31], v[28:29]
	v_cmp_eq_f64_e32 vcc_lo, 0, v[28:29]
	s_waitcnt_depctr 0xfff
	v_mul_f64 v[34:35], v[28:29], v[30:31]
	v_mul_f64 v[30:31], v[30:31], 0.5
	s_delay_alu instid0(VALU_DEP_1) | instskip(NEXT) | instid1(VALU_DEP_1)
	v_fma_f64 v[36:37], -v[30:31], v[34:35], 0.5
	v_fma_f64 v[34:35], v[34:35], v[36:37], v[34:35]
	v_fma_f64 v[30:31], v[30:31], v[36:37], v[30:31]
	s_delay_alu instid0(VALU_DEP_2) | instskip(NEXT) | instid1(VALU_DEP_1)
	v_fma_f64 v[36:37], -v[34:35], v[34:35], v[28:29]
	v_fma_f64 v[30:31], v[36:37], v[30:31], v[34:35]
	s_delay_alu instid0(VALU_DEP_1) | instskip(SKIP_1) | instid1(VALU_DEP_2)
	v_dual_cndmask_b32 v29, v31, v29 :: v_dual_cndmask_b32 v28, v30, v28
	v_cmp_u_f64_e32 vcc_lo, v[8:9], v[10:11]
	v_ldexp_f64 v[30:31], v[28:29], v17
	v_add_f64 v[28:29], v[8:9], 1.0
	s_or_b32 s3, s3, vcc_lo
	s_delay_alu instid0(VALU_DEP_2) | instskip(NEXT) | instid1(VALU_DEP_2)
	v_cmp_ngt_f64_e64 s2, 0.5, v[30:31]
	v_max_f64 v[30:31], |v[28:29]|, v[32:33]
	v_cmp_o_f64_e64 s1, v[28:29], v[10:11]
	v_cmp_class_f64_e64 s87, v[28:29], 0x204
	s_delay_alu instid0(VALU_DEP_4) | instskip(NEXT) | instid1(SALU_CYCLE_1)
	s_or_b32 s2, s3, s2
	s_and_saveexec_b32 s3, s2
	s_delay_alu instid0(SALU_CYCLE_1)
	s_xor_b32 s2, exec_lo, s3
	s_cbranch_execz .LBB210_58
; %bb.57:                               ;   in Loop: Header=BB210_50 Depth=1
	s_delay_alu instid0(VALU_DEP_3) | instskip(NEXT) | instid1(VALU_DEP_2)
	v_frexp_exp_i32_f64_e32 v17, v[30:31]
	s_or_b32 s3, s87, s86
	s_mov_b32 s79, s19
	s_delay_alu instid0(VALU_DEP_1) | instskip(NEXT) | instid1(VALU_DEP_1)
	v_sub_nc_u32_e32 v34, 0, v17
	v_ldexp_f64 v[8:9], |v[10:11]|, v34
	v_ldexp_f64 v[34:35], |v[28:29]|, v34
	s_delay_alu instid0(VALU_DEP_2) | instskip(NEXT) | instid1(VALU_DEP_1)
	v_mul_f64 v[8:9], v[8:9], v[8:9]
	v_fma_f64 v[8:9], v[34:35], v[34:35], v[8:9]
	s_delay_alu instid0(VALU_DEP_1) | instskip(SKIP_4) | instid1(VALU_DEP_1)
	v_rsq_f64_e32 v[34:35], v[8:9]
	v_cmp_eq_f64_e32 vcc_lo, 0, v[8:9]
	s_waitcnt_depctr 0xfff
	v_mul_f64 v[36:37], v[8:9], v[34:35]
	v_mul_f64 v[34:35], v[34:35], 0.5
	v_fma_f64 v[38:39], -v[34:35], v[36:37], 0.5
	s_delay_alu instid0(VALU_DEP_1) | instskip(SKIP_1) | instid1(VALU_DEP_2)
	v_fma_f64 v[36:37], v[36:37], v[38:39], v[36:37]
	v_fma_f64 v[34:35], v[34:35], v[38:39], v[34:35]
	v_fma_f64 v[38:39], -v[36:37], v[36:37], v[8:9]
	s_delay_alu instid0(VALU_DEP_1) | instskip(NEXT) | instid1(VALU_DEP_1)
	v_fma_f64 v[34:35], v[38:39], v[34:35], v[36:37]
	v_dual_cndmask_b32 v9, v35, v9 :: v_dual_cndmask_b32 v8, v34, v8
	s_delay_alu instid0(VALU_DEP_1) | instskip(NEXT) | instid1(VALU_DEP_1)
	v_ldexp_f64 v[8:9], v[8:9], v17
	v_cndmask_b32_e64 v56, 0x7ff80000, v9, s1
	s_delay_alu instid0(VALU_DEP_2) | instskip(SKIP_1) | instid1(VALU_DEP_3)
	v_cndmask_b32_e64 v57, 0, v8, s1
	v_and_b32_e32 v9, 0x7fffffff, v9
	v_cndmask_b32_e64 v35, v56, 0x7ff00000, s3
	s_delay_alu instid0(VALU_DEP_3) | instskip(NEXT) | instid1(VALU_DEP_1)
	v_cndmask_b32_e64 v34, v57, 0, s3
	v_frexp_mant_f64_e32 v[36:37], v[34:35]
	s_delay_alu instid0(VALU_DEP_1) | instskip(SKIP_1) | instid1(VALU_DEP_1)
	v_cmp_gt_f64_e32 vcc_lo, s[18:19], v[36:37]
	v_cndmask_b32_e64 v17, 0x3ff00000, 2.0, vcc_lo
	v_mul_f64 v[36:37], v[36:37], v[16:17]
	v_frexp_exp_i32_f64_e32 v17, v[34:35]
	s_delay_alu instid0(VALU_DEP_2) | instskip(SKIP_1) | instid1(VALU_DEP_3)
	v_add_f64 v[38:39], v[36:37], 1.0
	v_add_f64 v[44:45], v[36:37], -1.0
	v_subrev_co_ci_u32_e32 v17, vcc_lo, 0, v17, vcc_lo
	v_cmp_eq_f64_e32 vcc_lo, 0x7ff00000, v[8:9]
	s_delay_alu instid0(VALU_DEP_4) | instskip(SKIP_2) | instid1(VALU_DEP_1)
	v_rcp_f64_e32 v[40:41], v[38:39]
	v_add_f64 v[46:47], v[38:39], -1.0
	s_and_b32 vcc_lo, s1, vcc_lo
	v_add_f64 v[36:37], v[36:37], -v[46:47]
	s_waitcnt_depctr 0xfff
	v_fma_f64 v[42:43], -v[38:39], v[40:41], 1.0
	s_delay_alu instid0(VALU_DEP_1) | instskip(NEXT) | instid1(VALU_DEP_1)
	v_fma_f64 v[40:41], v[42:43], v[40:41], v[40:41]
	v_fma_f64 v[42:43], -v[38:39], v[40:41], 1.0
	s_delay_alu instid0(VALU_DEP_1) | instskip(NEXT) | instid1(VALU_DEP_1)
	v_fma_f64 v[40:41], v[42:43], v[40:41], v[40:41]
	v_mul_f64 v[42:43], v[44:45], v[40:41]
	s_delay_alu instid0(VALU_DEP_1) | instskip(NEXT) | instid1(VALU_DEP_1)
	v_mul_f64 v[50:51], v[38:39], v[42:43]
	v_fma_f64 v[38:39], v[42:43], v[38:39], -v[50:51]
	s_delay_alu instid0(VALU_DEP_1) | instskip(NEXT) | instid1(VALU_DEP_1)
	v_fma_f64 v[36:37], v[42:43], v[36:37], v[38:39]
	v_add_f64 v[38:39], v[50:51], v[36:37]
	s_delay_alu instid0(VALU_DEP_1) | instskip(SKIP_1) | instid1(VALU_DEP_2)
	v_add_f64 v[46:47], v[44:45], -v[38:39]
	v_add_f64 v[50:51], v[38:39], -v[50:51]
	;; [unrolled: 1-line block ×3, first 2 shown]
	s_delay_alu instid0(VALU_DEP_2) | instskip(NEXT) | instid1(VALU_DEP_2)
	v_add_f64 v[36:37], v[50:51], -v[36:37]
	v_add_f64 v[38:39], v[44:45], -v[38:39]
	s_delay_alu instid0(VALU_DEP_1) | instskip(NEXT) | instid1(VALU_DEP_1)
	v_add_f64 v[36:37], v[36:37], v[38:39]
	v_add_f64 v[36:37], v[46:47], v[36:37]
	s_delay_alu instid0(VALU_DEP_1) | instskip(NEXT) | instid1(VALU_DEP_1)
	v_mul_f64 v[36:37], v[40:41], v[36:37]
	v_add_f64 v[38:39], v[42:43], v[36:37]
	s_delay_alu instid0(VALU_DEP_1) | instskip(NEXT) | instid1(VALU_DEP_1)
	v_mul_f64 v[40:41], v[38:39], v[38:39]
	v_fma_f64 v[44:45], v[40:41], s[22:23], s[20:21]
	v_mul_f64 v[46:47], v[38:39], v[40:41]
	s_delay_alu instid0(VALU_DEP_2) | instskip(NEXT) | instid1(VALU_DEP_1)
	v_fma_f64 v[44:45], v[40:41], v[44:45], s[24:25]
	v_fma_f64 v[44:45], v[40:41], v[44:45], s[26:27]
	s_delay_alu instid0(VALU_DEP_1) | instskip(NEXT) | instid1(VALU_DEP_1)
	v_fma_f64 v[44:45], v[40:41], v[44:45], s[28:29]
	v_fma_f64 v[44:45], v[40:41], v[44:45], s[16:17]
	s_delay_alu instid0(VALU_DEP_1) | instskip(SKIP_2) | instid1(VALU_DEP_3)
	v_fma_f64 v[40:41], v[40:41], v[44:45], s[78:79]
	v_ldexp_f64 v[44:45], v[38:39], 1
	v_add_f64 v[38:39], v[38:39], -v[42:43]
	v_mul_f64 v[40:41], v[46:47], v[40:41]
	v_cvt_f64_i32_e32 v[46:47], v17
	s_delay_alu instid0(VALU_DEP_3) | instskip(NEXT) | instid1(VALU_DEP_3)
	v_add_f64 v[36:37], v[36:37], -v[38:39]
	v_add_f64 v[42:43], v[44:45], v[40:41]
	s_delay_alu instid0(VALU_DEP_3) | instskip(NEXT) | instid1(VALU_DEP_3)
	v_mul_f64 v[50:51], v[46:47], s[30:31]
	v_ldexp_f64 v[36:37], v[36:37], 1
	s_delay_alu instid0(VALU_DEP_3) | instskip(NEXT) | instid1(VALU_DEP_3)
	v_add_f64 v[38:39], v[42:43], -v[44:45]
	v_fma_f64 v[44:45], v[46:47], s[30:31], -v[50:51]
	s_delay_alu instid0(VALU_DEP_2) | instskip(NEXT) | instid1(VALU_DEP_2)
	v_add_f64 v[38:39], v[40:41], -v[38:39]
	v_fma_f64 v[40:41], v[46:47], s[34:35], v[44:45]
	s_delay_alu instid0(VALU_DEP_2) | instskip(NEXT) | instid1(VALU_DEP_2)
	v_add_f64 v[36:37], v[36:37], v[38:39]
	v_add_f64 v[38:39], v[50:51], v[40:41]
	s_delay_alu instid0(VALU_DEP_2) | instskip(NEXT) | instid1(VALU_DEP_2)
	v_add_f64 v[44:45], v[42:43], v[36:37]
	v_add_f64 v[50:51], v[38:39], -v[50:51]
	s_delay_alu instid0(VALU_DEP_2) | instskip(SKIP_1) | instid1(VALU_DEP_3)
	v_add_f64 v[46:47], v[38:39], v[44:45]
	v_add_f64 v[42:43], v[44:45], -v[42:43]
	v_add_f64 v[40:41], v[40:41], -v[50:51]
	s_delay_alu instid0(VALU_DEP_3) | instskip(NEXT) | instid1(VALU_DEP_3)
	v_add_f64 v[52:53], v[46:47], -v[38:39]
	v_add_f64 v[36:37], v[36:37], -v[42:43]
	s_delay_alu instid0(VALU_DEP_2) | instskip(SKIP_1) | instid1(VALU_DEP_3)
	v_add_f64 v[54:55], v[46:47], -v[52:53]
	v_add_f64 v[42:43], v[44:45], -v[52:53]
	v_add_f64 v[44:45], v[40:41], v[36:37]
	s_delay_alu instid0(VALU_DEP_3) | instskip(NEXT) | instid1(VALU_DEP_1)
	v_add_f64 v[38:39], v[38:39], -v[54:55]
	v_add_f64 v[38:39], v[42:43], v[38:39]
	s_delay_alu instid0(VALU_DEP_3) | instskip(NEXT) | instid1(VALU_DEP_2)
	v_add_f64 v[42:43], v[44:45], -v[40:41]
	v_add_f64 v[38:39], v[44:45], v[38:39]
	s_delay_alu instid0(VALU_DEP_2) | instskip(SKIP_1) | instid1(VALU_DEP_3)
	v_add_f64 v[44:45], v[44:45], -v[42:43]
	v_add_f64 v[36:37], v[36:37], -v[42:43]
	v_add_f64 v[50:51], v[46:47], v[38:39]
	s_delay_alu instid0(VALU_DEP_3) | instskip(NEXT) | instid1(VALU_DEP_2)
	v_add_f64 v[40:41], v[40:41], -v[44:45]
	v_add_f64 v[42:43], v[50:51], -v[46:47]
	s_delay_alu instid0(VALU_DEP_2) | instskip(NEXT) | instid1(VALU_DEP_2)
	v_add_f64 v[36:37], v[36:37], v[40:41]
	v_add_f64 v[38:39], v[38:39], -v[42:43]
	s_delay_alu instid0(VALU_DEP_1) | instskip(NEXT) | instid1(VALU_DEP_1)
	v_add_f64 v[36:37], v[36:37], v[38:39]
	v_add_f64 v[8:9], v[50:51], v[36:37]
	s_delay_alu instid0(VALU_DEP_1) | instskip(SKIP_1) | instid1(VALU_DEP_2)
	v_dual_cndmask_b32 v9, v9, v56 :: v_dual_cndmask_b32 v8, v8, v57
	v_cmp_ngt_f64_e32 vcc_lo, 0, v[34:35]
	v_cndmask_b32_e64 v9, v9, 0x7ff00000, s3
	s_delay_alu instid0(VALU_DEP_3) | instskip(NEXT) | instid1(VALU_DEP_2)
	v_cndmask_b32_e64 v8, v8, 0, s3
	v_cndmask_b32_e32 v9, 0x7ff80000, v9, vcc_lo
	v_cmp_nge_f64_e32 vcc_lo, 0, v[34:35]
	s_delay_alu instid0(VALU_DEP_3) | instskip(SKIP_1) | instid1(VALU_DEP_4)
	v_cndmask_b32_e32 v8, 0, v8, vcc_lo
	v_cmp_neq_f64_e32 vcc_lo, 0, v[34:35]
	v_cndmask_b32_e32 v9, 0xfff00000, v9, vcc_lo
.LBB210_58:                             ;   in Loop: Header=BB210_50 Depth=1
	s_and_not1_saveexec_b32 s2, s2
	s_cbranch_execz .LBB210_62
; %bb.59:                               ;   in Loop: Header=BB210_50 Depth=1
	s_delay_alu instid0(VALU_DEP_1) | instskip(SKIP_2) | instid1(VALU_DEP_1)
	v_add_f64 v[34:35], v[8:9], 2.0
	v_mul_f64 v[36:37], v[10:11], v[10:11]
	s_mov_b32 s3, exec_lo
	v_fma_f64 v[34:35], v[8:9], v[34:35], v[36:37]
	s_delay_alu instid0(VALU_DEP_1)
	v_cmpx_neq_f64_e32 0, v[34:35]
	s_cbranch_execz .LBB210_61
; %bb.60:                               ;   in Loop: Header=BB210_50 Depth=1
	v_add_f64 v[8:9], v[34:35], 1.0
	s_mov_b32 s79, s19
	s_delay_alu instid0(VALU_DEP_1) | instskip(SKIP_2) | instid1(VALU_DEP_3)
	v_frexp_mant_f64_e32 v[36:37], v[8:9]
	v_frexp_exp_i32_f64_e32 v17, v[8:9]
	v_add_f64 v[38:39], v[8:9], -1.0
	v_cmp_gt_f64_e32 vcc_lo, s[18:19], v[36:37]
	s_delay_alu instid0(VALU_DEP_2) | instskip(SKIP_2) | instid1(VALU_DEP_3)
	v_add_f64 v[36:37], v[38:39], -v[8:9]
	v_add_f64 v[38:39], v[34:35], -v[38:39]
	v_subrev_co_ci_u32_e32 v17, vcc_lo, 0, v17, vcc_lo
	v_add_f64 v[36:37], v[36:37], 1.0
	v_cmp_eq_f64_e32 vcc_lo, 0x7ff00000, v[34:35]
	s_delay_alu instid0(VALU_DEP_3) | instskip(NEXT) | instid1(VALU_DEP_1)
	v_sub_nc_u32_e32 v42, 0, v17
	v_ldexp_f64 v[8:9], v[8:9], v42
	s_delay_alu instid0(VALU_DEP_4) | instskip(NEXT) | instid1(VALU_DEP_2)
	v_add_f64 v[36:37], v[38:39], v[36:37]
	v_add_f64 v[40:41], v[8:9], 1.0
	v_add_f64 v[46:47], v[8:9], -1.0
	s_delay_alu instid0(VALU_DEP_3) | instskip(NEXT) | instid1(VALU_DEP_3)
	v_ldexp_f64 v[36:37], v[36:37], v42
	v_add_f64 v[38:39], v[40:41], -1.0
	s_delay_alu instid0(VALU_DEP_3) | instskip(NEXT) | instid1(VALU_DEP_2)
	v_add_f64 v[50:51], v[46:47], 1.0
	v_add_f64 v[38:39], v[8:9], -v[38:39]
	s_delay_alu instid0(VALU_DEP_2) | instskip(NEXT) | instid1(VALU_DEP_2)
	v_add_f64 v[8:9], v[8:9], -v[50:51]
	v_add_f64 v[38:39], v[36:37], v[38:39]
	s_delay_alu instid0(VALU_DEP_2) | instskip(NEXT) | instid1(VALU_DEP_2)
	v_add_f64 v[8:9], v[36:37], v[8:9]
	v_add_f64 v[42:43], v[40:41], v[38:39]
	s_delay_alu instid0(VALU_DEP_2) | instskip(NEXT) | instid1(VALU_DEP_2)
	v_add_f64 v[50:51], v[46:47], v[8:9]
	v_rcp_f64_e32 v[44:45], v[42:43]
	v_add_f64 v[40:41], v[42:43], -v[40:41]
	s_delay_alu instid0(VALU_DEP_2) | instskip(NEXT) | instid1(VALU_DEP_2)
	v_add_f64 v[46:47], v[50:51], -v[46:47]
	v_add_f64 v[38:39], v[38:39], -v[40:41]
	s_waitcnt_depctr 0xfff
	v_fma_f64 v[52:53], -v[42:43], v[44:45], 1.0
	v_add_f64 v[8:9], v[8:9], -v[46:47]
	s_delay_alu instid0(VALU_DEP_2) | instskip(NEXT) | instid1(VALU_DEP_1)
	v_fma_f64 v[44:45], v[52:53], v[44:45], v[44:45]
	v_fma_f64 v[36:37], -v[42:43], v[44:45], 1.0
	s_delay_alu instid0(VALU_DEP_1) | instskip(NEXT) | instid1(VALU_DEP_1)
	v_fma_f64 v[36:37], v[36:37], v[44:45], v[44:45]
	v_mul_f64 v[44:45], v[50:51], v[36:37]
	s_delay_alu instid0(VALU_DEP_1) | instskip(NEXT) | instid1(VALU_DEP_1)
	v_mul_f64 v[52:53], v[42:43], v[44:45]
	v_fma_f64 v[40:41], v[44:45], v[42:43], -v[52:53]
	s_delay_alu instid0(VALU_DEP_1) | instskip(NEXT) | instid1(VALU_DEP_1)
	v_fma_f64 v[40:41], v[44:45], v[38:39], v[40:41]
	v_add_f64 v[54:55], v[52:53], v[40:41]
	s_delay_alu instid0(VALU_DEP_1) | instskip(SKIP_1) | instid1(VALU_DEP_2)
	v_add_f64 v[56:57], v[50:51], -v[54:55]
	v_add_f64 v[46:47], v[54:55], -v[52:53]
	;; [unrolled: 1-line block ×3, first 2 shown]
	s_delay_alu instid0(VALU_DEP_2) | instskip(NEXT) | instid1(VALU_DEP_2)
	v_add_f64 v[40:41], v[46:47], -v[40:41]
	v_add_f64 v[50:51], v[50:51], -v[54:55]
	s_delay_alu instid0(VALU_DEP_1) | instskip(NEXT) | instid1(VALU_DEP_1)
	v_add_f64 v[8:9], v[8:9], v[50:51]
	v_add_f64 v[8:9], v[40:41], v[8:9]
	s_delay_alu instid0(VALU_DEP_1) | instskip(NEXT) | instid1(VALU_DEP_1)
	v_add_f64 v[40:41], v[56:57], v[8:9]
	v_mul_f64 v[46:47], v[36:37], v[40:41]
	v_add_f64 v[54:55], v[56:57], -v[40:41]
	s_delay_alu instid0(VALU_DEP_2) | instskip(NEXT) | instid1(VALU_DEP_2)
	v_mul_f64 v[50:51], v[42:43], v[46:47]
	v_add_f64 v[8:9], v[8:9], v[54:55]
	s_delay_alu instid0(VALU_DEP_2) | instskip(NEXT) | instid1(VALU_DEP_1)
	v_fma_f64 v[42:43], v[46:47], v[42:43], -v[50:51]
	v_fma_f64 v[38:39], v[46:47], v[38:39], v[42:43]
	s_delay_alu instid0(VALU_DEP_1) | instskip(NEXT) | instid1(VALU_DEP_1)
	v_add_f64 v[42:43], v[50:51], v[38:39]
	v_add_f64 v[52:53], v[40:41], -v[42:43]
	v_add_f64 v[50:51], v[42:43], -v[50:51]
	s_delay_alu instid0(VALU_DEP_2) | instskip(NEXT) | instid1(VALU_DEP_2)
	v_add_f64 v[40:41], v[40:41], -v[52:53]
	v_add_f64 v[38:39], v[50:51], -v[38:39]
	s_delay_alu instid0(VALU_DEP_2) | instskip(NEXT) | instid1(VALU_DEP_1)
	v_add_f64 v[40:41], v[40:41], -v[42:43]
	v_add_f64 v[8:9], v[8:9], v[40:41]
	v_add_f64 v[40:41], v[44:45], v[46:47]
	s_delay_alu instid0(VALU_DEP_2) | instskip(NEXT) | instid1(VALU_DEP_2)
	v_add_f64 v[8:9], v[38:39], v[8:9]
	v_add_f64 v[38:39], v[40:41], -v[44:45]
	s_delay_alu instid0(VALU_DEP_2) | instskip(NEXT) | instid1(VALU_DEP_2)
	v_add_f64 v[8:9], v[52:53], v[8:9]
	v_add_f64 v[38:39], v[46:47], -v[38:39]
	s_delay_alu instid0(VALU_DEP_2) | instskip(NEXT) | instid1(VALU_DEP_1)
	v_mul_f64 v[8:9], v[36:37], v[8:9]
	v_add_f64 v[8:9], v[38:39], v[8:9]
	s_delay_alu instid0(VALU_DEP_1) | instskip(NEXT) | instid1(VALU_DEP_1)
	v_add_f64 v[36:37], v[40:41], v[8:9]
	v_mul_f64 v[38:39], v[36:37], v[36:37]
	s_delay_alu instid0(VALU_DEP_1) | instskip(SKIP_1) | instid1(VALU_DEP_2)
	v_fma_f64 v[42:43], v[38:39], s[22:23], s[20:21]
	v_mul_f64 v[44:45], v[36:37], v[38:39]
	v_fma_f64 v[42:43], v[38:39], v[42:43], s[24:25]
	s_delay_alu instid0(VALU_DEP_1) | instskip(NEXT) | instid1(VALU_DEP_1)
	v_fma_f64 v[42:43], v[38:39], v[42:43], s[26:27]
	v_fma_f64 v[42:43], v[38:39], v[42:43], s[28:29]
	s_delay_alu instid0(VALU_DEP_1) | instskip(NEXT) | instid1(VALU_DEP_1)
	v_fma_f64 v[42:43], v[38:39], v[42:43], s[16:17]
	v_fma_f64 v[38:39], v[38:39], v[42:43], s[78:79]
	v_ldexp_f64 v[42:43], v[36:37], 1
	v_add_f64 v[36:37], v[36:37], -v[40:41]
	s_delay_alu instid0(VALU_DEP_3) | instskip(SKIP_1) | instid1(VALU_DEP_3)
	v_mul_f64 v[38:39], v[44:45], v[38:39]
	v_cvt_f64_i32_e32 v[44:45], v17
	v_add_f64 v[8:9], v[8:9], -v[36:37]
	s_delay_alu instid0(VALU_DEP_3) | instskip(NEXT) | instid1(VALU_DEP_3)
	v_add_f64 v[40:41], v[42:43], v[38:39]
	v_mul_f64 v[46:47], v[44:45], s[30:31]
	s_delay_alu instid0(VALU_DEP_3) | instskip(NEXT) | instid1(VALU_DEP_3)
	v_ldexp_f64 v[8:9], v[8:9], 1
	v_add_f64 v[36:37], v[40:41], -v[42:43]
	s_delay_alu instid0(VALU_DEP_3) | instskip(NEXT) | instid1(VALU_DEP_2)
	v_fma_f64 v[42:43], v[44:45], s[30:31], -v[46:47]
	v_add_f64 v[36:37], v[38:39], -v[36:37]
	s_delay_alu instid0(VALU_DEP_2) | instskip(NEXT) | instid1(VALU_DEP_2)
	v_fma_f64 v[38:39], v[44:45], s[34:35], v[42:43]
	v_add_f64 v[8:9], v[8:9], v[36:37]
	s_delay_alu instid0(VALU_DEP_2) | instskip(NEXT) | instid1(VALU_DEP_2)
	v_add_f64 v[36:37], v[46:47], v[38:39]
	v_add_f64 v[42:43], v[40:41], v[8:9]
	s_delay_alu instid0(VALU_DEP_2) | instskip(NEXT) | instid1(VALU_DEP_2)
	v_add_f64 v[46:47], v[36:37], -v[46:47]
	v_add_f64 v[44:45], v[36:37], v[42:43]
	v_add_f64 v[40:41], v[42:43], -v[40:41]
	s_delay_alu instid0(VALU_DEP_3) | instskip(NEXT) | instid1(VALU_DEP_3)
	v_add_f64 v[38:39], v[38:39], -v[46:47]
	v_add_f64 v[50:51], v[44:45], -v[36:37]
	s_delay_alu instid0(VALU_DEP_3) | instskip(NEXT) | instid1(VALU_DEP_2)
	v_add_f64 v[8:9], v[8:9], -v[40:41]
	v_add_f64 v[52:53], v[44:45], -v[50:51]
	;; [unrolled: 1-line block ×3, first 2 shown]
	s_delay_alu instid0(VALU_DEP_3) | instskip(NEXT) | instid1(VALU_DEP_3)
	v_add_f64 v[42:43], v[38:39], v[8:9]
	v_add_f64 v[36:37], v[36:37], -v[52:53]
	s_delay_alu instid0(VALU_DEP_1) | instskip(NEXT) | instid1(VALU_DEP_3)
	v_add_f64 v[36:37], v[40:41], v[36:37]
	v_add_f64 v[40:41], v[42:43], -v[38:39]
	s_delay_alu instid0(VALU_DEP_2) | instskip(NEXT) | instid1(VALU_DEP_2)
	v_add_f64 v[36:37], v[42:43], v[36:37]
	v_add_f64 v[42:43], v[42:43], -v[40:41]
	v_add_f64 v[8:9], v[8:9], -v[40:41]
	s_delay_alu instid0(VALU_DEP_3) | instskip(NEXT) | instid1(VALU_DEP_3)
	v_add_f64 v[46:47], v[44:45], v[36:37]
	v_add_f64 v[38:39], v[38:39], -v[42:43]
	s_delay_alu instid0(VALU_DEP_2) | instskip(NEXT) | instid1(VALU_DEP_2)
	v_add_f64 v[40:41], v[46:47], -v[44:45]
	v_add_f64 v[8:9], v[8:9], v[38:39]
	s_delay_alu instid0(VALU_DEP_2) | instskip(NEXT) | instid1(VALU_DEP_1)
	v_add_f64 v[36:37], v[36:37], -v[40:41]
	v_add_f64 v[8:9], v[8:9], v[36:37]
	s_delay_alu instid0(VALU_DEP_1) | instskip(NEXT) | instid1(VALU_DEP_1)
	v_add_f64 v[8:9], v[46:47], v[8:9]
	v_dual_cndmask_b32 v9, v9, v35 :: v_dual_cndmask_b32 v8, v8, v34
	v_cmp_ngt_f64_e32 vcc_lo, -1.0, v[34:35]
	s_delay_alu instid0(VALU_DEP_2) | instskip(NEXT) | instid1(VALU_DEP_1)
	v_mul_f64 v[8:9], v[8:9], 0.5
	v_cndmask_b32_e32 v9, 0x7ff80000, v9, vcc_lo
	v_cmp_nge_f64_e32 vcc_lo, -1.0, v[34:35]
	s_delay_alu instid0(VALU_DEP_3) | instskip(SKIP_1) | instid1(VALU_DEP_4)
	v_cndmask_b32_e32 v8, 0, v8, vcc_lo
	v_cmp_neq_f64_e32 vcc_lo, -1.0, v[34:35]
	v_cndmask_b32_e32 v9, 0xfff00000, v9, vcc_lo
.LBB210_61:                             ;   in Loop: Header=BB210_50 Depth=1
	s_or_b32 exec_lo, exec_lo, s3
.LBB210_62:                             ;   in Loop: Header=BB210_50 Depth=1
	s_delay_alu instid0(SALU_CYCLE_1)
	s_or_b32 exec_lo, exec_lo, s2
	s_waitcnt vmcnt(0)
	v_max_f64 v[34:35], |v[12:13]|, |v[12:13]|
	v_max_f64 v[38:39], |v[14:15]|, |v[14:15]|
	v_cmp_class_f64_e64 s4, v[12:13], 0x204
	v_cmp_class_f64_e64 s88, v[14:15], 0x204
	s_delay_alu instid0(VALU_DEP_3) | instskip(NEXT) | instid1(VALU_DEP_2)
	v_max_f64 v[34:35], v[34:35], v[38:39]
	s_or_b32 s4, s4, s88
	s_delay_alu instid0(VALU_DEP_1) | instskip(NEXT) | instid1(VALU_DEP_1)
	v_frexp_exp_i32_f64_e32 v17, v[34:35]
	v_sub_nc_u32_e32 v36, 0, v17
	s_delay_alu instid0(VALU_DEP_1) | instskip(SKIP_1) | instid1(VALU_DEP_2)
	v_ldexp_f64 v[34:35], |v[14:15]|, v36
	v_ldexp_f64 v[36:37], |v[12:13]|, v36
	v_mul_f64 v[34:35], v[34:35], v[34:35]
	s_delay_alu instid0(VALU_DEP_1) | instskip(NEXT) | instid1(VALU_DEP_1)
	v_fma_f64 v[34:35], v[36:37], v[36:37], v[34:35]
	v_rsq_f64_e32 v[36:37], v[34:35]
	v_cmp_eq_f64_e32 vcc_lo, 0, v[34:35]
	s_waitcnt_depctr 0xfff
	v_mul_f64 v[40:41], v[34:35], v[36:37]
	v_mul_f64 v[36:37], v[36:37], 0.5
	s_delay_alu instid0(VALU_DEP_1) | instskip(NEXT) | instid1(VALU_DEP_1)
	v_fma_f64 v[42:43], -v[36:37], v[40:41], 0.5
	v_fma_f64 v[40:41], v[40:41], v[42:43], v[40:41]
	v_fma_f64 v[36:37], v[36:37], v[42:43], v[36:37]
	s_delay_alu instid0(VALU_DEP_2) | instskip(NEXT) | instid1(VALU_DEP_1)
	v_fma_f64 v[42:43], -v[40:41], v[40:41], v[34:35]
	v_fma_f64 v[36:37], v[42:43], v[36:37], v[40:41]
	s_delay_alu instid0(VALU_DEP_1) | instskip(SKIP_1) | instid1(VALU_DEP_2)
	v_dual_cndmask_b32 v35, v37, v35 :: v_dual_cndmask_b32 v34, v36, v34
	v_cmp_u_f64_e32 vcc_lo, v[12:13], v[14:15]
	v_ldexp_f64 v[36:37], v[34:35], v17
	v_add_f64 v[34:35], v[12:13], 1.0
	s_or_b32 s4, s4, vcc_lo
	s_delay_alu instid0(VALU_DEP_2) | instskip(NEXT) | instid1(VALU_DEP_2)
	v_cmp_ngt_f64_e64 s3, 0.5, v[36:37]
	v_max_f64 v[36:37], |v[34:35]|, v[38:39]
	v_cmp_o_f64_e64 s2, v[34:35], v[14:15]
	v_cmp_class_f64_e64 s89, v[34:35], 0x204
	s_delay_alu instid0(VALU_DEP_4) | instskip(NEXT) | instid1(SALU_CYCLE_1)
	s_or_b32 s3, s4, s3
	s_and_saveexec_b32 s4, s3
	s_delay_alu instid0(SALU_CYCLE_1)
	s_xor_b32 s3, exec_lo, s4
	s_cbranch_execz .LBB210_64
; %bb.63:                               ;   in Loop: Header=BB210_50 Depth=1
	s_delay_alu instid0(VALU_DEP_3) | instskip(NEXT) | instid1(VALU_DEP_2)
	v_frexp_exp_i32_f64_e32 v17, v[36:37]
	s_or_b32 s4, s89, s88
	s_mov_b32 s79, s19
	s_delay_alu instid0(VALU_DEP_1) | instskip(NEXT) | instid1(VALU_DEP_1)
	v_sub_nc_u32_e32 v40, 0, v17
	v_ldexp_f64 v[12:13], |v[14:15]|, v40
	v_ldexp_f64 v[40:41], |v[34:35]|, v40
	s_delay_alu instid0(VALU_DEP_2) | instskip(NEXT) | instid1(VALU_DEP_1)
	v_mul_f64 v[12:13], v[12:13], v[12:13]
	v_fma_f64 v[12:13], v[40:41], v[40:41], v[12:13]
	s_delay_alu instid0(VALU_DEP_1) | instskip(SKIP_4) | instid1(VALU_DEP_1)
	v_rsq_f64_e32 v[40:41], v[12:13]
	v_cmp_eq_f64_e32 vcc_lo, 0, v[12:13]
	s_waitcnt_depctr 0xfff
	v_mul_f64 v[42:43], v[12:13], v[40:41]
	v_mul_f64 v[40:41], v[40:41], 0.5
	v_fma_f64 v[44:45], -v[40:41], v[42:43], 0.5
	s_delay_alu instid0(VALU_DEP_1) | instskip(SKIP_1) | instid1(VALU_DEP_2)
	v_fma_f64 v[42:43], v[42:43], v[44:45], v[42:43]
	v_fma_f64 v[40:41], v[40:41], v[44:45], v[40:41]
	v_fma_f64 v[44:45], -v[42:43], v[42:43], v[12:13]
	s_delay_alu instid0(VALU_DEP_1) | instskip(NEXT) | instid1(VALU_DEP_1)
	v_fma_f64 v[40:41], v[44:45], v[40:41], v[42:43]
	v_dual_cndmask_b32 v13, v41, v13 :: v_dual_cndmask_b32 v12, v40, v12
	s_delay_alu instid0(VALU_DEP_1) | instskip(NEXT) | instid1(VALU_DEP_1)
	v_ldexp_f64 v[12:13], v[12:13], v17
	v_cndmask_b32_e64 v62, 0x7ff80000, v13, s2
	s_delay_alu instid0(VALU_DEP_2) | instskip(SKIP_1) | instid1(VALU_DEP_3)
	v_cndmask_b32_e64 v63, 0, v12, s2
	v_and_b32_e32 v13, 0x7fffffff, v13
	v_cndmask_b32_e64 v41, v62, 0x7ff00000, s4
	s_delay_alu instid0(VALU_DEP_3) | instskip(NEXT) | instid1(VALU_DEP_1)
	v_cndmask_b32_e64 v40, v63, 0, s4
	v_frexp_mant_f64_e32 v[42:43], v[40:41]
	s_delay_alu instid0(VALU_DEP_1) | instskip(SKIP_1) | instid1(VALU_DEP_1)
	v_cmp_gt_f64_e32 vcc_lo, s[18:19], v[42:43]
	v_cndmask_b32_e64 v17, 0x3ff00000, 2.0, vcc_lo
	v_mul_f64 v[42:43], v[42:43], v[16:17]
	v_frexp_exp_i32_f64_e32 v17, v[40:41]
	s_delay_alu instid0(VALU_DEP_2) | instskip(SKIP_1) | instid1(VALU_DEP_3)
	v_add_f64 v[44:45], v[42:43], 1.0
	v_add_f64 v[52:53], v[42:43], -1.0
	v_subrev_co_ci_u32_e32 v17, vcc_lo, 0, v17, vcc_lo
	v_cmp_eq_f64_e32 vcc_lo, 0x7ff00000, v[12:13]
	s_delay_alu instid0(VALU_DEP_4) | instskip(SKIP_2) | instid1(VALU_DEP_1)
	v_rcp_f64_e32 v[46:47], v[44:45]
	v_add_f64 v[54:55], v[44:45], -1.0
	s_and_b32 vcc_lo, s2, vcc_lo
	v_add_f64 v[42:43], v[42:43], -v[54:55]
	s_waitcnt_depctr 0xfff
	v_fma_f64 v[50:51], -v[44:45], v[46:47], 1.0
	s_delay_alu instid0(VALU_DEP_1) | instskip(NEXT) | instid1(VALU_DEP_1)
	v_fma_f64 v[46:47], v[50:51], v[46:47], v[46:47]
	v_fma_f64 v[50:51], -v[44:45], v[46:47], 1.0
	s_delay_alu instid0(VALU_DEP_1) | instskip(NEXT) | instid1(VALU_DEP_1)
	v_fma_f64 v[46:47], v[50:51], v[46:47], v[46:47]
	v_mul_f64 v[50:51], v[52:53], v[46:47]
	s_delay_alu instid0(VALU_DEP_1) | instskip(NEXT) | instid1(VALU_DEP_1)
	v_mul_f64 v[56:57], v[44:45], v[50:51]
	v_fma_f64 v[44:45], v[50:51], v[44:45], -v[56:57]
	s_delay_alu instid0(VALU_DEP_1) | instskip(NEXT) | instid1(VALU_DEP_1)
	v_fma_f64 v[42:43], v[50:51], v[42:43], v[44:45]
	v_add_f64 v[44:45], v[56:57], v[42:43]
	s_delay_alu instid0(VALU_DEP_1) | instskip(SKIP_1) | instid1(VALU_DEP_2)
	v_add_f64 v[54:55], v[52:53], -v[44:45]
	v_add_f64 v[56:57], v[44:45], -v[56:57]
	;; [unrolled: 1-line block ×3, first 2 shown]
	s_delay_alu instid0(VALU_DEP_2) | instskip(NEXT) | instid1(VALU_DEP_2)
	v_add_f64 v[42:43], v[56:57], -v[42:43]
	v_add_f64 v[44:45], v[52:53], -v[44:45]
	s_delay_alu instid0(VALU_DEP_1) | instskip(NEXT) | instid1(VALU_DEP_1)
	v_add_f64 v[42:43], v[42:43], v[44:45]
	v_add_f64 v[42:43], v[54:55], v[42:43]
	s_delay_alu instid0(VALU_DEP_1) | instskip(NEXT) | instid1(VALU_DEP_1)
	v_mul_f64 v[42:43], v[46:47], v[42:43]
	v_add_f64 v[44:45], v[50:51], v[42:43]
	s_delay_alu instid0(VALU_DEP_1) | instskip(NEXT) | instid1(VALU_DEP_1)
	v_mul_f64 v[46:47], v[44:45], v[44:45]
	v_fma_f64 v[52:53], v[46:47], s[22:23], s[20:21]
	v_mul_f64 v[54:55], v[44:45], v[46:47]
	s_delay_alu instid0(VALU_DEP_2) | instskip(NEXT) | instid1(VALU_DEP_1)
	v_fma_f64 v[52:53], v[46:47], v[52:53], s[24:25]
	v_fma_f64 v[52:53], v[46:47], v[52:53], s[26:27]
	s_delay_alu instid0(VALU_DEP_1) | instskip(NEXT) | instid1(VALU_DEP_1)
	v_fma_f64 v[52:53], v[46:47], v[52:53], s[28:29]
	v_fma_f64 v[52:53], v[46:47], v[52:53], s[16:17]
	s_delay_alu instid0(VALU_DEP_1) | instskip(SKIP_2) | instid1(VALU_DEP_3)
	v_fma_f64 v[46:47], v[46:47], v[52:53], s[78:79]
	v_ldexp_f64 v[52:53], v[44:45], 1
	v_add_f64 v[44:45], v[44:45], -v[50:51]
	v_mul_f64 v[46:47], v[54:55], v[46:47]
	v_cvt_f64_i32_e32 v[54:55], v17
	s_delay_alu instid0(VALU_DEP_3) | instskip(NEXT) | instid1(VALU_DEP_3)
	v_add_f64 v[42:43], v[42:43], -v[44:45]
	v_add_f64 v[50:51], v[52:53], v[46:47]
	s_delay_alu instid0(VALU_DEP_3) | instskip(NEXT) | instid1(VALU_DEP_3)
	v_mul_f64 v[56:57], v[54:55], s[30:31]
	v_ldexp_f64 v[42:43], v[42:43], 1
	s_delay_alu instid0(VALU_DEP_3) | instskip(NEXT) | instid1(VALU_DEP_3)
	v_add_f64 v[44:45], v[50:51], -v[52:53]
	v_fma_f64 v[52:53], v[54:55], s[30:31], -v[56:57]
	s_delay_alu instid0(VALU_DEP_2) | instskip(NEXT) | instid1(VALU_DEP_2)
	v_add_f64 v[44:45], v[46:47], -v[44:45]
	v_fma_f64 v[46:47], v[54:55], s[34:35], v[52:53]
	s_delay_alu instid0(VALU_DEP_2) | instskip(NEXT) | instid1(VALU_DEP_2)
	v_add_f64 v[42:43], v[42:43], v[44:45]
	v_add_f64 v[44:45], v[56:57], v[46:47]
	s_delay_alu instid0(VALU_DEP_2) | instskip(NEXT) | instid1(VALU_DEP_2)
	v_add_f64 v[52:53], v[50:51], v[42:43]
	v_add_f64 v[56:57], v[44:45], -v[56:57]
	s_delay_alu instid0(VALU_DEP_2) | instskip(SKIP_1) | instid1(VALU_DEP_3)
	v_add_f64 v[54:55], v[44:45], v[52:53]
	v_add_f64 v[50:51], v[52:53], -v[50:51]
	v_add_f64 v[46:47], v[46:47], -v[56:57]
	s_delay_alu instid0(VALU_DEP_3) | instskip(NEXT) | instid1(VALU_DEP_3)
	v_add_f64 v[58:59], v[54:55], -v[44:45]
	v_add_f64 v[42:43], v[42:43], -v[50:51]
	s_delay_alu instid0(VALU_DEP_2) | instskip(SKIP_1) | instid1(VALU_DEP_3)
	v_add_f64 v[60:61], v[54:55], -v[58:59]
	v_add_f64 v[50:51], v[52:53], -v[58:59]
	v_add_f64 v[52:53], v[46:47], v[42:43]
	s_delay_alu instid0(VALU_DEP_3) | instskip(NEXT) | instid1(VALU_DEP_1)
	v_add_f64 v[44:45], v[44:45], -v[60:61]
	v_add_f64 v[44:45], v[50:51], v[44:45]
	s_delay_alu instid0(VALU_DEP_3) | instskip(NEXT) | instid1(VALU_DEP_2)
	v_add_f64 v[50:51], v[52:53], -v[46:47]
	v_add_f64 v[44:45], v[52:53], v[44:45]
	s_delay_alu instid0(VALU_DEP_2) | instskip(SKIP_1) | instid1(VALU_DEP_3)
	v_add_f64 v[52:53], v[52:53], -v[50:51]
	v_add_f64 v[42:43], v[42:43], -v[50:51]
	v_add_f64 v[56:57], v[54:55], v[44:45]
	s_delay_alu instid0(VALU_DEP_3) | instskip(NEXT) | instid1(VALU_DEP_2)
	v_add_f64 v[46:47], v[46:47], -v[52:53]
	v_add_f64 v[50:51], v[56:57], -v[54:55]
	s_delay_alu instid0(VALU_DEP_2) | instskip(NEXT) | instid1(VALU_DEP_2)
	v_add_f64 v[42:43], v[42:43], v[46:47]
	v_add_f64 v[44:45], v[44:45], -v[50:51]
	s_delay_alu instid0(VALU_DEP_1) | instskip(NEXT) | instid1(VALU_DEP_1)
	v_add_f64 v[42:43], v[42:43], v[44:45]
	v_add_f64 v[12:13], v[56:57], v[42:43]
	s_delay_alu instid0(VALU_DEP_1) | instskip(NEXT) | instid1(VALU_DEP_1)
	v_cndmask_b32_e32 v12, v12, v63, vcc_lo
	v_cndmask_b32_e64 v12, v12, 0, s4
	s_delay_alu instid0(VALU_DEP_3) | instskip(SKIP_1) | instid1(VALU_DEP_2)
	v_cndmask_b32_e32 v13, v13, v62, vcc_lo
	v_cmp_ngt_f64_e32 vcc_lo, 0, v[40:41]
	v_cndmask_b32_e64 v13, v13, 0x7ff00000, s4
	s_delay_alu instid0(VALU_DEP_1) | instskip(SKIP_3) | instid1(VALU_DEP_4)
	v_cndmask_b32_e32 v13, 0x7ff80000, v13, vcc_lo
	v_cmp_nge_f64_e32 vcc_lo, 0, v[40:41]
	v_cndmask_b32_e32 v12, 0, v12, vcc_lo
	v_cmp_neq_f64_e32 vcc_lo, 0, v[40:41]
	v_cndmask_b32_e32 v13, 0xfff00000, v13, vcc_lo
.LBB210_64:                             ;   in Loop: Header=BB210_50 Depth=1
	s_and_not1_saveexec_b32 s3, s3
	s_cbranch_execz .LBB210_68
; %bb.65:                               ;   in Loop: Header=BB210_50 Depth=1
	s_delay_alu instid0(VALU_DEP_1) | instskip(SKIP_2) | instid1(VALU_DEP_1)
	v_add_f64 v[40:41], v[12:13], 2.0
	v_mul_f64 v[42:43], v[14:15], v[14:15]
	s_mov_b32 s4, exec_lo
	v_fma_f64 v[40:41], v[12:13], v[40:41], v[42:43]
	s_delay_alu instid0(VALU_DEP_1)
	v_cmpx_neq_f64_e32 0, v[40:41]
	s_cbranch_execz .LBB210_67
; %bb.66:                               ;   in Loop: Header=BB210_50 Depth=1
	v_add_f64 v[12:13], v[40:41], 1.0
	s_mov_b32 s79, s19
	s_delay_alu instid0(VALU_DEP_1) | instskip(SKIP_2) | instid1(VALU_DEP_3)
	v_frexp_mant_f64_e32 v[42:43], v[12:13]
	v_frexp_exp_i32_f64_e32 v17, v[12:13]
	v_add_f64 v[44:45], v[12:13], -1.0
	v_cmp_gt_f64_e32 vcc_lo, s[18:19], v[42:43]
	s_delay_alu instid0(VALU_DEP_2) | instskip(SKIP_2) | instid1(VALU_DEP_3)
	v_add_f64 v[42:43], v[44:45], -v[12:13]
	v_add_f64 v[44:45], v[40:41], -v[44:45]
	v_subrev_co_ci_u32_e32 v17, vcc_lo, 0, v17, vcc_lo
	v_add_f64 v[42:43], v[42:43], 1.0
	v_cmp_eq_f64_e32 vcc_lo, 0x7ff00000, v[40:41]
	s_delay_alu instid0(VALU_DEP_3) | instskip(NEXT) | instid1(VALU_DEP_1)
	v_sub_nc_u32_e32 v50, 0, v17
	v_ldexp_f64 v[12:13], v[12:13], v50
	s_delay_alu instid0(VALU_DEP_4) | instskip(NEXT) | instid1(VALU_DEP_2)
	v_add_f64 v[42:43], v[44:45], v[42:43]
	v_add_f64 v[46:47], v[12:13], 1.0
	v_add_f64 v[54:55], v[12:13], -1.0
	s_delay_alu instid0(VALU_DEP_3) | instskip(NEXT) | instid1(VALU_DEP_3)
	v_ldexp_f64 v[42:43], v[42:43], v50
	v_add_f64 v[44:45], v[46:47], -1.0
	s_delay_alu instid0(VALU_DEP_3) | instskip(NEXT) | instid1(VALU_DEP_2)
	v_add_f64 v[56:57], v[54:55], 1.0
	v_add_f64 v[44:45], v[12:13], -v[44:45]
	s_delay_alu instid0(VALU_DEP_2) | instskip(NEXT) | instid1(VALU_DEP_2)
	v_add_f64 v[12:13], v[12:13], -v[56:57]
	v_add_f64 v[44:45], v[42:43], v[44:45]
	s_delay_alu instid0(VALU_DEP_2) | instskip(NEXT) | instid1(VALU_DEP_2)
	v_add_f64 v[12:13], v[42:43], v[12:13]
	v_add_f64 v[50:51], v[46:47], v[44:45]
	s_delay_alu instid0(VALU_DEP_2) | instskip(NEXT) | instid1(VALU_DEP_2)
	v_add_f64 v[56:57], v[54:55], v[12:13]
	v_rcp_f64_e32 v[52:53], v[50:51]
	v_add_f64 v[46:47], v[50:51], -v[46:47]
	s_delay_alu instid0(VALU_DEP_2) | instskip(NEXT) | instid1(VALU_DEP_2)
	v_add_f64 v[54:55], v[56:57], -v[54:55]
	v_add_f64 v[44:45], v[44:45], -v[46:47]
	s_waitcnt_depctr 0xfff
	v_fma_f64 v[58:59], -v[50:51], v[52:53], 1.0
	v_add_f64 v[12:13], v[12:13], -v[54:55]
	s_delay_alu instid0(VALU_DEP_2) | instskip(NEXT) | instid1(VALU_DEP_1)
	v_fma_f64 v[52:53], v[58:59], v[52:53], v[52:53]
	v_fma_f64 v[42:43], -v[50:51], v[52:53], 1.0
	s_delay_alu instid0(VALU_DEP_1) | instskip(NEXT) | instid1(VALU_DEP_1)
	v_fma_f64 v[42:43], v[42:43], v[52:53], v[52:53]
	v_mul_f64 v[52:53], v[56:57], v[42:43]
	s_delay_alu instid0(VALU_DEP_1) | instskip(NEXT) | instid1(VALU_DEP_1)
	v_mul_f64 v[58:59], v[50:51], v[52:53]
	v_fma_f64 v[46:47], v[52:53], v[50:51], -v[58:59]
	s_delay_alu instid0(VALU_DEP_1) | instskip(NEXT) | instid1(VALU_DEP_1)
	v_fma_f64 v[46:47], v[52:53], v[44:45], v[46:47]
	v_add_f64 v[60:61], v[58:59], v[46:47]
	s_delay_alu instid0(VALU_DEP_1) | instskip(SKIP_1) | instid1(VALU_DEP_2)
	v_add_f64 v[62:63], v[56:57], -v[60:61]
	v_add_f64 v[54:55], v[60:61], -v[58:59]
	;; [unrolled: 1-line block ×3, first 2 shown]
	s_delay_alu instid0(VALU_DEP_2) | instskip(NEXT) | instid1(VALU_DEP_2)
	v_add_f64 v[46:47], v[54:55], -v[46:47]
	v_add_f64 v[56:57], v[56:57], -v[60:61]
	s_delay_alu instid0(VALU_DEP_1) | instskip(NEXT) | instid1(VALU_DEP_1)
	v_add_f64 v[12:13], v[12:13], v[56:57]
	v_add_f64 v[12:13], v[46:47], v[12:13]
	s_delay_alu instid0(VALU_DEP_1) | instskip(NEXT) | instid1(VALU_DEP_1)
	v_add_f64 v[46:47], v[62:63], v[12:13]
	v_mul_f64 v[54:55], v[42:43], v[46:47]
	v_add_f64 v[60:61], v[62:63], -v[46:47]
	s_delay_alu instid0(VALU_DEP_2) | instskip(NEXT) | instid1(VALU_DEP_2)
	v_mul_f64 v[56:57], v[50:51], v[54:55]
	v_add_f64 v[12:13], v[12:13], v[60:61]
	s_delay_alu instid0(VALU_DEP_2) | instskip(NEXT) | instid1(VALU_DEP_1)
	v_fma_f64 v[50:51], v[54:55], v[50:51], -v[56:57]
	v_fma_f64 v[44:45], v[54:55], v[44:45], v[50:51]
	s_delay_alu instid0(VALU_DEP_1) | instskip(NEXT) | instid1(VALU_DEP_1)
	v_add_f64 v[50:51], v[56:57], v[44:45]
	v_add_f64 v[58:59], v[46:47], -v[50:51]
	v_add_f64 v[56:57], v[50:51], -v[56:57]
	s_delay_alu instid0(VALU_DEP_2) | instskip(NEXT) | instid1(VALU_DEP_2)
	v_add_f64 v[46:47], v[46:47], -v[58:59]
	v_add_f64 v[44:45], v[56:57], -v[44:45]
	s_delay_alu instid0(VALU_DEP_2) | instskip(NEXT) | instid1(VALU_DEP_1)
	v_add_f64 v[46:47], v[46:47], -v[50:51]
	v_add_f64 v[12:13], v[12:13], v[46:47]
	v_add_f64 v[46:47], v[52:53], v[54:55]
	s_delay_alu instid0(VALU_DEP_2) | instskip(NEXT) | instid1(VALU_DEP_2)
	v_add_f64 v[12:13], v[44:45], v[12:13]
	v_add_f64 v[44:45], v[46:47], -v[52:53]
	s_delay_alu instid0(VALU_DEP_2) | instskip(NEXT) | instid1(VALU_DEP_2)
	v_add_f64 v[12:13], v[58:59], v[12:13]
	v_add_f64 v[44:45], v[54:55], -v[44:45]
	s_delay_alu instid0(VALU_DEP_2) | instskip(NEXT) | instid1(VALU_DEP_1)
	v_mul_f64 v[12:13], v[42:43], v[12:13]
	v_add_f64 v[12:13], v[44:45], v[12:13]
	s_delay_alu instid0(VALU_DEP_1) | instskip(NEXT) | instid1(VALU_DEP_1)
	v_add_f64 v[42:43], v[46:47], v[12:13]
	v_mul_f64 v[44:45], v[42:43], v[42:43]
	s_delay_alu instid0(VALU_DEP_1) | instskip(SKIP_1) | instid1(VALU_DEP_2)
	v_fma_f64 v[50:51], v[44:45], s[22:23], s[20:21]
	v_mul_f64 v[52:53], v[42:43], v[44:45]
	v_fma_f64 v[50:51], v[44:45], v[50:51], s[24:25]
	s_delay_alu instid0(VALU_DEP_1) | instskip(NEXT) | instid1(VALU_DEP_1)
	v_fma_f64 v[50:51], v[44:45], v[50:51], s[26:27]
	v_fma_f64 v[50:51], v[44:45], v[50:51], s[28:29]
	s_delay_alu instid0(VALU_DEP_1) | instskip(NEXT) | instid1(VALU_DEP_1)
	v_fma_f64 v[50:51], v[44:45], v[50:51], s[16:17]
	v_fma_f64 v[44:45], v[44:45], v[50:51], s[78:79]
	v_ldexp_f64 v[50:51], v[42:43], 1
	v_add_f64 v[42:43], v[42:43], -v[46:47]
	s_delay_alu instid0(VALU_DEP_3) | instskip(SKIP_1) | instid1(VALU_DEP_3)
	v_mul_f64 v[44:45], v[52:53], v[44:45]
	v_cvt_f64_i32_e32 v[52:53], v17
	v_add_f64 v[12:13], v[12:13], -v[42:43]
	s_delay_alu instid0(VALU_DEP_3) | instskip(NEXT) | instid1(VALU_DEP_3)
	v_add_f64 v[46:47], v[50:51], v[44:45]
	v_mul_f64 v[54:55], v[52:53], s[30:31]
	s_delay_alu instid0(VALU_DEP_3) | instskip(NEXT) | instid1(VALU_DEP_3)
	v_ldexp_f64 v[12:13], v[12:13], 1
	v_add_f64 v[42:43], v[46:47], -v[50:51]
	s_delay_alu instid0(VALU_DEP_3) | instskip(NEXT) | instid1(VALU_DEP_2)
	v_fma_f64 v[50:51], v[52:53], s[30:31], -v[54:55]
	v_add_f64 v[42:43], v[44:45], -v[42:43]
	s_delay_alu instid0(VALU_DEP_2) | instskip(NEXT) | instid1(VALU_DEP_2)
	v_fma_f64 v[44:45], v[52:53], s[34:35], v[50:51]
	v_add_f64 v[12:13], v[12:13], v[42:43]
	s_delay_alu instid0(VALU_DEP_2) | instskip(NEXT) | instid1(VALU_DEP_2)
	v_add_f64 v[42:43], v[54:55], v[44:45]
	v_add_f64 v[50:51], v[46:47], v[12:13]
	s_delay_alu instid0(VALU_DEP_2) | instskip(NEXT) | instid1(VALU_DEP_2)
	v_add_f64 v[54:55], v[42:43], -v[54:55]
	v_add_f64 v[52:53], v[42:43], v[50:51]
	v_add_f64 v[46:47], v[50:51], -v[46:47]
	s_delay_alu instid0(VALU_DEP_3) | instskip(NEXT) | instid1(VALU_DEP_3)
	v_add_f64 v[44:45], v[44:45], -v[54:55]
	v_add_f64 v[56:57], v[52:53], -v[42:43]
	s_delay_alu instid0(VALU_DEP_3) | instskip(NEXT) | instid1(VALU_DEP_2)
	v_add_f64 v[12:13], v[12:13], -v[46:47]
	v_add_f64 v[58:59], v[52:53], -v[56:57]
	;; [unrolled: 1-line block ×3, first 2 shown]
	s_delay_alu instid0(VALU_DEP_3) | instskip(NEXT) | instid1(VALU_DEP_3)
	v_add_f64 v[50:51], v[44:45], v[12:13]
	v_add_f64 v[42:43], v[42:43], -v[58:59]
	s_delay_alu instid0(VALU_DEP_1) | instskip(NEXT) | instid1(VALU_DEP_3)
	v_add_f64 v[42:43], v[46:47], v[42:43]
	v_add_f64 v[46:47], v[50:51], -v[44:45]
	s_delay_alu instid0(VALU_DEP_2) | instskip(NEXT) | instid1(VALU_DEP_2)
	v_add_f64 v[42:43], v[50:51], v[42:43]
	v_add_f64 v[50:51], v[50:51], -v[46:47]
	v_add_f64 v[12:13], v[12:13], -v[46:47]
	s_delay_alu instid0(VALU_DEP_3) | instskip(NEXT) | instid1(VALU_DEP_3)
	v_add_f64 v[54:55], v[52:53], v[42:43]
	v_add_f64 v[44:45], v[44:45], -v[50:51]
	s_delay_alu instid0(VALU_DEP_2) | instskip(NEXT) | instid1(VALU_DEP_2)
	v_add_f64 v[46:47], v[54:55], -v[52:53]
	v_add_f64 v[12:13], v[12:13], v[44:45]
	s_delay_alu instid0(VALU_DEP_2) | instskip(NEXT) | instid1(VALU_DEP_1)
	v_add_f64 v[42:43], v[42:43], -v[46:47]
	v_add_f64 v[12:13], v[12:13], v[42:43]
	s_delay_alu instid0(VALU_DEP_1) | instskip(NEXT) | instid1(VALU_DEP_1)
	v_add_f64 v[12:13], v[54:55], v[12:13]
	v_dual_cndmask_b32 v13, v13, v41 :: v_dual_cndmask_b32 v12, v12, v40
	v_cmp_ngt_f64_e32 vcc_lo, -1.0, v[40:41]
	s_delay_alu instid0(VALU_DEP_2) | instskip(NEXT) | instid1(VALU_DEP_1)
	v_mul_f64 v[12:13], v[12:13], 0.5
	v_cndmask_b32_e32 v13, 0x7ff80000, v13, vcc_lo
	v_cmp_nge_f64_e32 vcc_lo, -1.0, v[40:41]
	s_delay_alu instid0(VALU_DEP_3) | instskip(SKIP_1) | instid1(VALU_DEP_4)
	v_cndmask_b32_e32 v12, 0, v12, vcc_lo
	v_cmp_neq_f64_e32 vcc_lo, -1.0, v[40:41]
	v_cndmask_b32_e32 v13, 0xfff00000, v13, vcc_lo
.LBB210_67:                             ;   in Loop: Header=BB210_50 Depth=1
	s_or_b32 exec_lo, exec_lo, s4
.LBB210_68:                             ;   in Loop: Header=BB210_50 Depth=1
	s_delay_alu instid0(SALU_CYCLE_1) | instskip(SKIP_4) | instid1(VALU_DEP_3)
	s_or_b32 exec_lo, exec_lo, s3
	v_max_f64 v[40:41], |v[4:5]|, |v[4:5]|
	v_max_f64 v[44:45], |v[6:7]|, |v[6:7]|
	v_cmp_class_f64_e64 s5, v[4:5], 0x204
	v_cmp_class_f64_e64 s90, v[6:7], 0x204
	v_max_f64 v[40:41], v[40:41], v[44:45]
	s_delay_alu instid0(VALU_DEP_2) | instskip(NEXT) | instid1(VALU_DEP_1)
	s_or_b32 s5, s5, s90
	v_frexp_exp_i32_f64_e32 v17, v[40:41]
	s_delay_alu instid0(VALU_DEP_1) | instskip(NEXT) | instid1(VALU_DEP_1)
	v_sub_nc_u32_e32 v42, 0, v17
	v_ldexp_f64 v[40:41], |v[6:7]|, v42
	v_ldexp_f64 v[42:43], |v[4:5]|, v42
	s_delay_alu instid0(VALU_DEP_2) | instskip(NEXT) | instid1(VALU_DEP_1)
	v_mul_f64 v[40:41], v[40:41], v[40:41]
	v_fma_f64 v[40:41], v[42:43], v[42:43], v[40:41]
	s_delay_alu instid0(VALU_DEP_1) | instskip(SKIP_4) | instid1(VALU_DEP_1)
	v_rsq_f64_e32 v[42:43], v[40:41]
	v_cmp_eq_f64_e32 vcc_lo, 0, v[40:41]
	s_waitcnt_depctr 0xfff
	v_mul_f64 v[46:47], v[40:41], v[42:43]
	v_mul_f64 v[42:43], v[42:43], 0.5
	v_fma_f64 v[50:51], -v[42:43], v[46:47], 0.5
	s_delay_alu instid0(VALU_DEP_1) | instskip(SKIP_1) | instid1(VALU_DEP_2)
	v_fma_f64 v[46:47], v[46:47], v[50:51], v[46:47]
	v_fma_f64 v[42:43], v[42:43], v[50:51], v[42:43]
	v_fma_f64 v[50:51], -v[46:47], v[46:47], v[40:41]
	s_delay_alu instid0(VALU_DEP_1) | instskip(NEXT) | instid1(VALU_DEP_1)
	v_fma_f64 v[42:43], v[50:51], v[42:43], v[46:47]
	v_dual_cndmask_b32 v41, v43, v41 :: v_dual_cndmask_b32 v40, v42, v40
	v_cmp_u_f64_e32 vcc_lo, v[4:5], v[6:7]
	s_delay_alu instid0(VALU_DEP_2) | instskip(SKIP_2) | instid1(VALU_DEP_2)
	v_ldexp_f64 v[42:43], v[40:41], v17
	v_add_f64 v[40:41], v[4:5], 1.0
	s_or_b32 s5, s5, vcc_lo
	v_cmp_ngt_f64_e64 s4, 0.5, v[42:43]
	s_delay_alu instid0(VALU_DEP_2) | instskip(SKIP_2) | instid1(VALU_DEP_4)
	v_max_f64 v[42:43], |v[40:41]|, v[44:45]
	v_cmp_o_f64_e64 s3, v[40:41], v[6:7]
	v_cmp_class_f64_e64 s91, v[40:41], 0x204
	s_or_b32 s4, s5, s4
	s_delay_alu instid0(SALU_CYCLE_1) | instskip(NEXT) | instid1(SALU_CYCLE_1)
	s_and_saveexec_b32 s5, s4
	s_xor_b32 s4, exec_lo, s5
	s_cbranch_execz .LBB210_70
; %bb.69:                               ;   in Loop: Header=BB210_50 Depth=1
	s_delay_alu instid0(VALU_DEP_3) | instskip(NEXT) | instid1(VALU_DEP_2)
	v_frexp_exp_i32_f64_e32 v17, v[42:43]
	s_or_b32 s5, s91, s90
	s_mov_b32 s79, s19
	s_delay_alu instid0(VALU_DEP_1) | instskip(NEXT) | instid1(VALU_DEP_1)
	v_sub_nc_u32_e32 v46, 0, v17
	v_ldexp_f64 v[4:5], |v[6:7]|, v46
	v_ldexp_f64 v[46:47], |v[40:41]|, v46
	s_delay_alu instid0(VALU_DEP_2) | instskip(NEXT) | instid1(VALU_DEP_1)
	v_mul_f64 v[4:5], v[4:5], v[4:5]
	v_fma_f64 v[4:5], v[46:47], v[46:47], v[4:5]
	s_delay_alu instid0(VALU_DEP_1) | instskip(SKIP_4) | instid1(VALU_DEP_1)
	v_rsq_f64_e32 v[46:47], v[4:5]
	v_cmp_eq_f64_e32 vcc_lo, 0, v[4:5]
	s_waitcnt_depctr 0xfff
	v_mul_f64 v[50:51], v[4:5], v[46:47]
	v_mul_f64 v[46:47], v[46:47], 0.5
	v_fma_f64 v[52:53], -v[46:47], v[50:51], 0.5
	s_delay_alu instid0(VALU_DEP_1) | instskip(SKIP_1) | instid1(VALU_DEP_2)
	v_fma_f64 v[50:51], v[50:51], v[52:53], v[50:51]
	v_fma_f64 v[46:47], v[46:47], v[52:53], v[46:47]
	v_fma_f64 v[52:53], -v[50:51], v[50:51], v[4:5]
	s_delay_alu instid0(VALU_DEP_1) | instskip(NEXT) | instid1(VALU_DEP_1)
	v_fma_f64 v[46:47], v[52:53], v[46:47], v[50:51]
	v_dual_cndmask_b32 v5, v47, v5 :: v_dual_cndmask_b32 v4, v46, v4
	s_delay_alu instid0(VALU_DEP_1) | instskip(NEXT) | instid1(VALU_DEP_1)
	v_ldexp_f64 v[4:5], v[4:5], v17
	v_cndmask_b32_e64 v68, 0x7ff80000, v5, s3
	s_delay_alu instid0(VALU_DEP_2) | instskip(SKIP_1) | instid1(VALU_DEP_3)
	v_cndmask_b32_e64 v69, 0, v4, s3
	v_and_b32_e32 v5, 0x7fffffff, v5
	v_cndmask_b32_e64 v47, v68, 0x7ff00000, s5
	s_delay_alu instid0(VALU_DEP_3) | instskip(NEXT) | instid1(VALU_DEP_1)
	v_cndmask_b32_e64 v46, v69, 0, s5
	v_frexp_mant_f64_e32 v[50:51], v[46:47]
	s_delay_alu instid0(VALU_DEP_1) | instskip(SKIP_1) | instid1(VALU_DEP_1)
	v_cmp_gt_f64_e32 vcc_lo, s[18:19], v[50:51]
	v_cndmask_b32_e64 v17, 0x3ff00000, 2.0, vcc_lo
	v_mul_f64 v[50:51], v[50:51], v[16:17]
	v_frexp_exp_i32_f64_e32 v17, v[46:47]
	s_delay_alu instid0(VALU_DEP_2) | instskip(SKIP_1) | instid1(VALU_DEP_3)
	v_add_f64 v[52:53], v[50:51], 1.0
	v_add_f64 v[58:59], v[50:51], -1.0
	v_subrev_co_ci_u32_e32 v17, vcc_lo, 0, v17, vcc_lo
	v_cmp_eq_f64_e32 vcc_lo, 0x7ff00000, v[4:5]
	s_delay_alu instid0(VALU_DEP_4) | instskip(SKIP_2) | instid1(VALU_DEP_1)
	v_rcp_f64_e32 v[54:55], v[52:53]
	v_add_f64 v[60:61], v[52:53], -1.0
	s_and_b32 vcc_lo, s3, vcc_lo
	v_add_f64 v[50:51], v[50:51], -v[60:61]
	s_waitcnt_depctr 0xfff
	v_fma_f64 v[56:57], -v[52:53], v[54:55], 1.0
	s_delay_alu instid0(VALU_DEP_1) | instskip(NEXT) | instid1(VALU_DEP_1)
	v_fma_f64 v[54:55], v[56:57], v[54:55], v[54:55]
	v_fma_f64 v[56:57], -v[52:53], v[54:55], 1.0
	s_delay_alu instid0(VALU_DEP_1) | instskip(NEXT) | instid1(VALU_DEP_1)
	v_fma_f64 v[54:55], v[56:57], v[54:55], v[54:55]
	v_mul_f64 v[56:57], v[58:59], v[54:55]
	s_delay_alu instid0(VALU_DEP_1) | instskip(NEXT) | instid1(VALU_DEP_1)
	v_mul_f64 v[62:63], v[52:53], v[56:57]
	v_fma_f64 v[52:53], v[56:57], v[52:53], -v[62:63]
	s_delay_alu instid0(VALU_DEP_1) | instskip(NEXT) | instid1(VALU_DEP_1)
	v_fma_f64 v[50:51], v[56:57], v[50:51], v[52:53]
	v_add_f64 v[52:53], v[62:63], v[50:51]
	s_delay_alu instid0(VALU_DEP_1) | instskip(SKIP_1) | instid1(VALU_DEP_2)
	v_add_f64 v[60:61], v[58:59], -v[52:53]
	v_add_f64 v[62:63], v[52:53], -v[62:63]
	;; [unrolled: 1-line block ×3, first 2 shown]
	s_delay_alu instid0(VALU_DEP_2) | instskip(NEXT) | instid1(VALU_DEP_2)
	v_add_f64 v[50:51], v[62:63], -v[50:51]
	v_add_f64 v[52:53], v[58:59], -v[52:53]
	s_delay_alu instid0(VALU_DEP_1) | instskip(NEXT) | instid1(VALU_DEP_1)
	v_add_f64 v[50:51], v[50:51], v[52:53]
	v_add_f64 v[50:51], v[60:61], v[50:51]
	s_delay_alu instid0(VALU_DEP_1) | instskip(NEXT) | instid1(VALU_DEP_1)
	v_mul_f64 v[50:51], v[54:55], v[50:51]
	v_add_f64 v[52:53], v[56:57], v[50:51]
	s_delay_alu instid0(VALU_DEP_1) | instskip(NEXT) | instid1(VALU_DEP_1)
	v_mul_f64 v[54:55], v[52:53], v[52:53]
	v_fma_f64 v[58:59], v[54:55], s[22:23], s[20:21]
	v_mul_f64 v[60:61], v[52:53], v[54:55]
	s_delay_alu instid0(VALU_DEP_2) | instskip(NEXT) | instid1(VALU_DEP_1)
	v_fma_f64 v[58:59], v[54:55], v[58:59], s[24:25]
	v_fma_f64 v[58:59], v[54:55], v[58:59], s[26:27]
	s_delay_alu instid0(VALU_DEP_1) | instskip(NEXT) | instid1(VALU_DEP_1)
	v_fma_f64 v[58:59], v[54:55], v[58:59], s[28:29]
	v_fma_f64 v[58:59], v[54:55], v[58:59], s[16:17]
	s_delay_alu instid0(VALU_DEP_1) | instskip(SKIP_2) | instid1(VALU_DEP_3)
	v_fma_f64 v[54:55], v[54:55], v[58:59], s[78:79]
	v_ldexp_f64 v[58:59], v[52:53], 1
	v_add_f64 v[52:53], v[52:53], -v[56:57]
	v_mul_f64 v[54:55], v[60:61], v[54:55]
	v_cvt_f64_i32_e32 v[60:61], v17
	s_delay_alu instid0(VALU_DEP_3) | instskip(NEXT) | instid1(VALU_DEP_3)
	v_add_f64 v[50:51], v[50:51], -v[52:53]
	v_add_f64 v[56:57], v[58:59], v[54:55]
	s_delay_alu instid0(VALU_DEP_3) | instskip(NEXT) | instid1(VALU_DEP_3)
	v_mul_f64 v[62:63], v[60:61], s[30:31]
	v_ldexp_f64 v[50:51], v[50:51], 1
	s_delay_alu instid0(VALU_DEP_3) | instskip(NEXT) | instid1(VALU_DEP_3)
	v_add_f64 v[52:53], v[56:57], -v[58:59]
	v_fma_f64 v[58:59], v[60:61], s[30:31], -v[62:63]
	s_delay_alu instid0(VALU_DEP_2) | instskip(NEXT) | instid1(VALU_DEP_2)
	v_add_f64 v[52:53], v[54:55], -v[52:53]
	v_fma_f64 v[54:55], v[60:61], s[34:35], v[58:59]
	s_delay_alu instid0(VALU_DEP_2) | instskip(NEXT) | instid1(VALU_DEP_2)
	v_add_f64 v[50:51], v[50:51], v[52:53]
	v_add_f64 v[52:53], v[62:63], v[54:55]
	s_delay_alu instid0(VALU_DEP_2) | instskip(NEXT) | instid1(VALU_DEP_2)
	v_add_f64 v[58:59], v[56:57], v[50:51]
	v_add_f64 v[62:63], v[52:53], -v[62:63]
	s_delay_alu instid0(VALU_DEP_2) | instskip(SKIP_1) | instid1(VALU_DEP_3)
	v_add_f64 v[60:61], v[52:53], v[58:59]
	v_add_f64 v[56:57], v[58:59], -v[56:57]
	v_add_f64 v[54:55], v[54:55], -v[62:63]
	s_delay_alu instid0(VALU_DEP_3) | instskip(NEXT) | instid1(VALU_DEP_3)
	v_add_f64 v[64:65], v[60:61], -v[52:53]
	v_add_f64 v[50:51], v[50:51], -v[56:57]
	s_delay_alu instid0(VALU_DEP_2) | instskip(SKIP_1) | instid1(VALU_DEP_3)
	v_add_f64 v[66:67], v[60:61], -v[64:65]
	v_add_f64 v[56:57], v[58:59], -v[64:65]
	v_add_f64 v[58:59], v[54:55], v[50:51]
	s_delay_alu instid0(VALU_DEP_3) | instskip(NEXT) | instid1(VALU_DEP_1)
	v_add_f64 v[52:53], v[52:53], -v[66:67]
	v_add_f64 v[52:53], v[56:57], v[52:53]
	s_delay_alu instid0(VALU_DEP_3) | instskip(NEXT) | instid1(VALU_DEP_2)
	v_add_f64 v[56:57], v[58:59], -v[54:55]
	v_add_f64 v[52:53], v[58:59], v[52:53]
	s_delay_alu instid0(VALU_DEP_2) | instskip(SKIP_1) | instid1(VALU_DEP_3)
	v_add_f64 v[58:59], v[58:59], -v[56:57]
	v_add_f64 v[50:51], v[50:51], -v[56:57]
	v_add_f64 v[62:63], v[60:61], v[52:53]
	s_delay_alu instid0(VALU_DEP_3) | instskip(NEXT) | instid1(VALU_DEP_2)
	v_add_f64 v[54:55], v[54:55], -v[58:59]
	v_add_f64 v[56:57], v[62:63], -v[60:61]
	s_delay_alu instid0(VALU_DEP_2) | instskip(NEXT) | instid1(VALU_DEP_2)
	v_add_f64 v[50:51], v[50:51], v[54:55]
	v_add_f64 v[52:53], v[52:53], -v[56:57]
	s_delay_alu instid0(VALU_DEP_1) | instskip(NEXT) | instid1(VALU_DEP_1)
	v_add_f64 v[50:51], v[50:51], v[52:53]
	v_add_f64 v[4:5], v[62:63], v[50:51]
	s_delay_alu instid0(VALU_DEP_1) | instskip(SKIP_1) | instid1(VALU_DEP_2)
	v_dual_cndmask_b32 v5, v5, v68 :: v_dual_cndmask_b32 v4, v4, v69
	v_cmp_ngt_f64_e32 vcc_lo, 0, v[46:47]
	v_cndmask_b32_e64 v5, v5, 0x7ff00000, s5
	s_delay_alu instid0(VALU_DEP_3) | instskip(NEXT) | instid1(VALU_DEP_2)
	v_cndmask_b32_e64 v4, v4, 0, s5
	v_cndmask_b32_e32 v5, 0x7ff80000, v5, vcc_lo
	v_cmp_nge_f64_e32 vcc_lo, 0, v[46:47]
	s_delay_alu instid0(VALU_DEP_3) | instskip(SKIP_1) | instid1(VALU_DEP_4)
	v_cndmask_b32_e32 v4, 0, v4, vcc_lo
	v_cmp_neq_f64_e32 vcc_lo, 0, v[46:47]
	v_cndmask_b32_e32 v5, 0xfff00000, v5, vcc_lo
.LBB210_70:                             ;   in Loop: Header=BB210_50 Depth=1
	s_and_not1_saveexec_b32 s4, s4
	s_cbranch_execz .LBB210_49
; %bb.71:                               ;   in Loop: Header=BB210_50 Depth=1
	s_delay_alu instid0(VALU_DEP_1) | instskip(SKIP_2) | instid1(VALU_DEP_1)
	v_add_f64 v[46:47], v[4:5], 2.0
	v_mul_f64 v[50:51], v[6:7], v[6:7]
	s_mov_b32 s5, exec_lo
	v_fma_f64 v[46:47], v[4:5], v[46:47], v[50:51]
	s_delay_alu instid0(VALU_DEP_1)
	v_cmpx_neq_f64_e32 0, v[46:47]
	s_cbranch_execz .LBB210_48
; %bb.72:                               ;   in Loop: Header=BB210_50 Depth=1
	v_add_f64 v[4:5], v[46:47], 1.0
	s_mov_b32 s79, s19
	s_delay_alu instid0(VALU_DEP_1) | instskip(SKIP_2) | instid1(VALU_DEP_3)
	v_frexp_mant_f64_e32 v[50:51], v[4:5]
	v_frexp_exp_i32_f64_e32 v17, v[4:5]
	v_add_f64 v[52:53], v[4:5], -1.0
	v_cmp_gt_f64_e32 vcc_lo, s[18:19], v[50:51]
	s_delay_alu instid0(VALU_DEP_2) | instskip(SKIP_2) | instid1(VALU_DEP_3)
	v_add_f64 v[50:51], v[52:53], -v[4:5]
	v_add_f64 v[52:53], v[46:47], -v[52:53]
	v_subrev_co_ci_u32_e32 v17, vcc_lo, 0, v17, vcc_lo
	v_add_f64 v[50:51], v[50:51], 1.0
	v_cmp_eq_f64_e32 vcc_lo, 0x7ff00000, v[46:47]
	s_delay_alu instid0(VALU_DEP_3) | instskip(NEXT) | instid1(VALU_DEP_1)
	v_sub_nc_u32_e32 v56, 0, v17
	v_ldexp_f64 v[4:5], v[4:5], v56
	s_delay_alu instid0(VALU_DEP_4) | instskip(NEXT) | instid1(VALU_DEP_2)
	v_add_f64 v[50:51], v[52:53], v[50:51]
	v_add_f64 v[54:55], v[4:5], 1.0
	v_add_f64 v[60:61], v[4:5], -1.0
	s_delay_alu instid0(VALU_DEP_3) | instskip(NEXT) | instid1(VALU_DEP_3)
	v_ldexp_f64 v[50:51], v[50:51], v56
	v_add_f64 v[52:53], v[54:55], -1.0
	s_delay_alu instid0(VALU_DEP_3) | instskip(NEXT) | instid1(VALU_DEP_2)
	v_add_f64 v[62:63], v[60:61], 1.0
	v_add_f64 v[52:53], v[4:5], -v[52:53]
	s_delay_alu instid0(VALU_DEP_2) | instskip(NEXT) | instid1(VALU_DEP_2)
	v_add_f64 v[4:5], v[4:5], -v[62:63]
	v_add_f64 v[52:53], v[50:51], v[52:53]
	s_delay_alu instid0(VALU_DEP_2) | instskip(NEXT) | instid1(VALU_DEP_2)
	v_add_f64 v[4:5], v[50:51], v[4:5]
	v_add_f64 v[56:57], v[54:55], v[52:53]
	s_delay_alu instid0(VALU_DEP_2) | instskip(NEXT) | instid1(VALU_DEP_2)
	v_add_f64 v[62:63], v[60:61], v[4:5]
	v_rcp_f64_e32 v[58:59], v[56:57]
	v_add_f64 v[54:55], v[56:57], -v[54:55]
	s_delay_alu instid0(VALU_DEP_2) | instskip(NEXT) | instid1(VALU_DEP_2)
	v_add_f64 v[60:61], v[62:63], -v[60:61]
	v_add_f64 v[52:53], v[52:53], -v[54:55]
	s_waitcnt_depctr 0xfff
	v_fma_f64 v[64:65], -v[56:57], v[58:59], 1.0
	v_add_f64 v[4:5], v[4:5], -v[60:61]
	s_delay_alu instid0(VALU_DEP_2) | instskip(NEXT) | instid1(VALU_DEP_1)
	v_fma_f64 v[58:59], v[64:65], v[58:59], v[58:59]
	v_fma_f64 v[50:51], -v[56:57], v[58:59], 1.0
	s_delay_alu instid0(VALU_DEP_1) | instskip(NEXT) | instid1(VALU_DEP_1)
	v_fma_f64 v[50:51], v[50:51], v[58:59], v[58:59]
	v_mul_f64 v[58:59], v[62:63], v[50:51]
	s_delay_alu instid0(VALU_DEP_1) | instskip(NEXT) | instid1(VALU_DEP_1)
	v_mul_f64 v[64:65], v[56:57], v[58:59]
	v_fma_f64 v[54:55], v[58:59], v[56:57], -v[64:65]
	s_delay_alu instid0(VALU_DEP_1) | instskip(NEXT) | instid1(VALU_DEP_1)
	v_fma_f64 v[54:55], v[58:59], v[52:53], v[54:55]
	v_add_f64 v[66:67], v[64:65], v[54:55]
	s_delay_alu instid0(VALU_DEP_1) | instskip(SKIP_1) | instid1(VALU_DEP_2)
	v_add_f64 v[68:69], v[62:63], -v[66:67]
	v_add_f64 v[60:61], v[66:67], -v[64:65]
	;; [unrolled: 1-line block ×3, first 2 shown]
	s_delay_alu instid0(VALU_DEP_2) | instskip(NEXT) | instid1(VALU_DEP_2)
	v_add_f64 v[54:55], v[60:61], -v[54:55]
	v_add_f64 v[62:63], v[62:63], -v[66:67]
	s_delay_alu instid0(VALU_DEP_1) | instskip(NEXT) | instid1(VALU_DEP_1)
	v_add_f64 v[4:5], v[4:5], v[62:63]
	v_add_f64 v[4:5], v[54:55], v[4:5]
	s_delay_alu instid0(VALU_DEP_1) | instskip(NEXT) | instid1(VALU_DEP_1)
	v_add_f64 v[54:55], v[68:69], v[4:5]
	v_mul_f64 v[60:61], v[50:51], v[54:55]
	v_add_f64 v[66:67], v[68:69], -v[54:55]
	s_delay_alu instid0(VALU_DEP_2) | instskip(NEXT) | instid1(VALU_DEP_2)
	v_mul_f64 v[62:63], v[56:57], v[60:61]
	v_add_f64 v[4:5], v[4:5], v[66:67]
	s_delay_alu instid0(VALU_DEP_2) | instskip(NEXT) | instid1(VALU_DEP_1)
	v_fma_f64 v[56:57], v[60:61], v[56:57], -v[62:63]
	v_fma_f64 v[52:53], v[60:61], v[52:53], v[56:57]
	s_delay_alu instid0(VALU_DEP_1) | instskip(NEXT) | instid1(VALU_DEP_1)
	v_add_f64 v[56:57], v[62:63], v[52:53]
	v_add_f64 v[64:65], v[54:55], -v[56:57]
	v_add_f64 v[62:63], v[56:57], -v[62:63]
	s_delay_alu instid0(VALU_DEP_2) | instskip(NEXT) | instid1(VALU_DEP_2)
	v_add_f64 v[54:55], v[54:55], -v[64:65]
	v_add_f64 v[52:53], v[62:63], -v[52:53]
	s_delay_alu instid0(VALU_DEP_2) | instskip(NEXT) | instid1(VALU_DEP_1)
	v_add_f64 v[54:55], v[54:55], -v[56:57]
	v_add_f64 v[4:5], v[4:5], v[54:55]
	v_add_f64 v[54:55], v[58:59], v[60:61]
	s_delay_alu instid0(VALU_DEP_2) | instskip(NEXT) | instid1(VALU_DEP_2)
	v_add_f64 v[4:5], v[52:53], v[4:5]
	v_add_f64 v[52:53], v[54:55], -v[58:59]
	s_delay_alu instid0(VALU_DEP_2) | instskip(NEXT) | instid1(VALU_DEP_2)
	v_add_f64 v[4:5], v[64:65], v[4:5]
	v_add_f64 v[52:53], v[60:61], -v[52:53]
	s_delay_alu instid0(VALU_DEP_2) | instskip(NEXT) | instid1(VALU_DEP_1)
	v_mul_f64 v[4:5], v[50:51], v[4:5]
	v_add_f64 v[4:5], v[52:53], v[4:5]
	s_delay_alu instid0(VALU_DEP_1) | instskip(NEXT) | instid1(VALU_DEP_1)
	v_add_f64 v[50:51], v[54:55], v[4:5]
	v_mul_f64 v[52:53], v[50:51], v[50:51]
	s_delay_alu instid0(VALU_DEP_1) | instskip(SKIP_1) | instid1(VALU_DEP_2)
	v_fma_f64 v[56:57], v[52:53], s[22:23], s[20:21]
	v_mul_f64 v[58:59], v[50:51], v[52:53]
	v_fma_f64 v[56:57], v[52:53], v[56:57], s[24:25]
	s_delay_alu instid0(VALU_DEP_1) | instskip(NEXT) | instid1(VALU_DEP_1)
	v_fma_f64 v[56:57], v[52:53], v[56:57], s[26:27]
	v_fma_f64 v[56:57], v[52:53], v[56:57], s[28:29]
	s_delay_alu instid0(VALU_DEP_1) | instskip(NEXT) | instid1(VALU_DEP_1)
	v_fma_f64 v[56:57], v[52:53], v[56:57], s[16:17]
	v_fma_f64 v[52:53], v[52:53], v[56:57], s[78:79]
	v_ldexp_f64 v[56:57], v[50:51], 1
	v_add_f64 v[50:51], v[50:51], -v[54:55]
	s_delay_alu instid0(VALU_DEP_3) | instskip(SKIP_1) | instid1(VALU_DEP_3)
	v_mul_f64 v[52:53], v[58:59], v[52:53]
	v_cvt_f64_i32_e32 v[58:59], v17
	v_add_f64 v[4:5], v[4:5], -v[50:51]
	s_delay_alu instid0(VALU_DEP_3) | instskip(NEXT) | instid1(VALU_DEP_3)
	v_add_f64 v[54:55], v[56:57], v[52:53]
	v_mul_f64 v[60:61], v[58:59], s[30:31]
	s_delay_alu instid0(VALU_DEP_3) | instskip(NEXT) | instid1(VALU_DEP_3)
	v_ldexp_f64 v[4:5], v[4:5], 1
	v_add_f64 v[50:51], v[54:55], -v[56:57]
	s_delay_alu instid0(VALU_DEP_3) | instskip(NEXT) | instid1(VALU_DEP_2)
	v_fma_f64 v[56:57], v[58:59], s[30:31], -v[60:61]
	v_add_f64 v[50:51], v[52:53], -v[50:51]
	s_delay_alu instid0(VALU_DEP_2) | instskip(NEXT) | instid1(VALU_DEP_2)
	v_fma_f64 v[52:53], v[58:59], s[34:35], v[56:57]
	v_add_f64 v[4:5], v[4:5], v[50:51]
	s_delay_alu instid0(VALU_DEP_2) | instskip(NEXT) | instid1(VALU_DEP_2)
	v_add_f64 v[50:51], v[60:61], v[52:53]
	v_add_f64 v[56:57], v[54:55], v[4:5]
	s_delay_alu instid0(VALU_DEP_2) | instskip(NEXT) | instid1(VALU_DEP_2)
	v_add_f64 v[60:61], v[50:51], -v[60:61]
	v_add_f64 v[58:59], v[50:51], v[56:57]
	v_add_f64 v[54:55], v[56:57], -v[54:55]
	s_delay_alu instid0(VALU_DEP_3) | instskip(NEXT) | instid1(VALU_DEP_3)
	v_add_f64 v[52:53], v[52:53], -v[60:61]
	v_add_f64 v[62:63], v[58:59], -v[50:51]
	s_delay_alu instid0(VALU_DEP_3) | instskip(NEXT) | instid1(VALU_DEP_2)
	v_add_f64 v[4:5], v[4:5], -v[54:55]
	v_add_f64 v[64:65], v[58:59], -v[62:63]
	;; [unrolled: 1-line block ×3, first 2 shown]
	s_delay_alu instid0(VALU_DEP_3) | instskip(NEXT) | instid1(VALU_DEP_3)
	v_add_f64 v[56:57], v[52:53], v[4:5]
	v_add_f64 v[50:51], v[50:51], -v[64:65]
	s_delay_alu instid0(VALU_DEP_1) | instskip(NEXT) | instid1(VALU_DEP_3)
	v_add_f64 v[50:51], v[54:55], v[50:51]
	v_add_f64 v[54:55], v[56:57], -v[52:53]
	s_delay_alu instid0(VALU_DEP_2) | instskip(NEXT) | instid1(VALU_DEP_2)
	v_add_f64 v[50:51], v[56:57], v[50:51]
	v_add_f64 v[56:57], v[56:57], -v[54:55]
	v_add_f64 v[4:5], v[4:5], -v[54:55]
	s_delay_alu instid0(VALU_DEP_3) | instskip(NEXT) | instid1(VALU_DEP_3)
	v_add_f64 v[60:61], v[58:59], v[50:51]
	v_add_f64 v[52:53], v[52:53], -v[56:57]
	s_delay_alu instid0(VALU_DEP_2) | instskip(NEXT) | instid1(VALU_DEP_2)
	v_add_f64 v[54:55], v[60:61], -v[58:59]
	v_add_f64 v[4:5], v[4:5], v[52:53]
	s_delay_alu instid0(VALU_DEP_2) | instskip(NEXT) | instid1(VALU_DEP_1)
	v_add_f64 v[50:51], v[50:51], -v[54:55]
	v_add_f64 v[4:5], v[4:5], v[50:51]
	s_delay_alu instid0(VALU_DEP_1) | instskip(NEXT) | instid1(VALU_DEP_1)
	v_add_f64 v[4:5], v[60:61], v[4:5]
	v_dual_cndmask_b32 v5, v5, v47 :: v_dual_cndmask_b32 v4, v4, v46
	v_cmp_ngt_f64_e32 vcc_lo, -1.0, v[46:47]
	s_delay_alu instid0(VALU_DEP_2) | instskip(NEXT) | instid1(VALU_DEP_1)
	v_mul_f64 v[4:5], v[4:5], 0.5
	v_cndmask_b32_e32 v5, 0x7ff80000, v5, vcc_lo
	v_cmp_nge_f64_e32 vcc_lo, -1.0, v[46:47]
	s_delay_alu instid0(VALU_DEP_3) | instskip(SKIP_1) | instid1(VALU_DEP_4)
	v_cndmask_b32_e32 v4, 0, v4, vcc_lo
	v_cmp_neq_f64_e32 vcc_lo, -1.0, v[46:47]
	v_cndmask_b32_e32 v5, 0xfff00000, v5, vcc_lo
	s_branch .LBB210_48
.LBB210_73:
	s_nop 0
	s_sendmsg sendmsg(MSG_DEALLOC_VGPRS)
	s_endpgm
	.section	.rodata,"a",@progbits
	.p2align	6, 0x0
	.amdhsa_kernel _ZN2at6native12_GLOBAL__N_125multi_tensor_apply_kernelINS1_18TensorListMetadataILi1EEENS1_14UnaryOpFunctorIN3c107complexIdEELi1ELi1ELi0EEEJNS0_5Log1pIS8_EEEEEvT_T0_DpT1_
		.amdhsa_group_segment_fixed_size 0
		.amdhsa_private_segment_fixed_size 0
		.amdhsa_kernarg_size 3632
		.amdhsa_user_sgpr_count 15
		.amdhsa_user_sgpr_dispatch_ptr 0
		.amdhsa_user_sgpr_queue_ptr 0
		.amdhsa_user_sgpr_kernarg_segment_ptr 1
		.amdhsa_user_sgpr_dispatch_id 0
		.amdhsa_user_sgpr_private_segment_size 0
		.amdhsa_wavefront_size32 1
		.amdhsa_uses_dynamic_stack 0
		.amdhsa_enable_private_segment 0
		.amdhsa_system_sgpr_workgroup_id_x 1
		.amdhsa_system_sgpr_workgroup_id_y 0
		.amdhsa_system_sgpr_workgroup_id_z 0
		.amdhsa_system_sgpr_workgroup_info 0
		.amdhsa_system_vgpr_workitem_id 0
		.amdhsa_next_free_vgpr 80
		.amdhsa_next_free_sgpr 98
		.amdhsa_reserve_vcc 1
		.amdhsa_float_round_mode_32 0
		.amdhsa_float_round_mode_16_64 0
		.amdhsa_float_denorm_mode_32 3
		.amdhsa_float_denorm_mode_16_64 3
		.amdhsa_dx10_clamp 1
		.amdhsa_ieee_mode 1
		.amdhsa_fp16_overflow 0
		.amdhsa_workgroup_processor_mode 1
		.amdhsa_memory_ordered 1
		.amdhsa_forward_progress 0
		.amdhsa_shared_vgpr_count 0
		.amdhsa_exception_fp_ieee_invalid_op 0
		.amdhsa_exception_fp_denorm_src 0
		.amdhsa_exception_fp_ieee_div_zero 0
		.amdhsa_exception_fp_ieee_overflow 0
		.amdhsa_exception_fp_ieee_underflow 0
		.amdhsa_exception_fp_ieee_inexact 0
		.amdhsa_exception_int_div_zero 0
	.end_amdhsa_kernel
	.section	.text._ZN2at6native12_GLOBAL__N_125multi_tensor_apply_kernelINS1_18TensorListMetadataILi1EEENS1_14UnaryOpFunctorIN3c107complexIdEELi1ELi1ELi0EEEJNS0_5Log1pIS8_EEEEEvT_T0_DpT1_,"axG",@progbits,_ZN2at6native12_GLOBAL__N_125multi_tensor_apply_kernelINS1_18TensorListMetadataILi1EEENS1_14UnaryOpFunctorIN3c107complexIdEELi1ELi1ELi0EEEJNS0_5Log1pIS8_EEEEEvT_T0_DpT1_,comdat
.Lfunc_end210:
	.size	_ZN2at6native12_GLOBAL__N_125multi_tensor_apply_kernelINS1_18TensorListMetadataILi1EEENS1_14UnaryOpFunctorIN3c107complexIdEELi1ELi1ELi0EEEJNS0_5Log1pIS8_EEEEEvT_T0_DpT1_, .Lfunc_end210-_ZN2at6native12_GLOBAL__N_125multi_tensor_apply_kernelINS1_18TensorListMetadataILi1EEENS1_14UnaryOpFunctorIN3c107complexIdEELi1ELi1ELi0EEEJNS0_5Log1pIS8_EEEEEvT_T0_DpT1_
                                        ; -- End function
	.section	.AMDGPU.csdata,"",@progbits
; Kernel info:
; codeLenInByte = 26708
; NumSgprs: 100
; NumVgprs: 80
; ScratchSize: 0
; MemoryBound: 1
; FloatMode: 240
; IeeeMode: 1
; LDSByteSize: 0 bytes/workgroup (compile time only)
; SGPRBlocks: 12
; VGPRBlocks: 9
; NumSGPRsForWavesPerEU: 100
; NumVGPRsForWavesPerEU: 80
; Occupancy: 16
; WaveLimiterHint : 0
; COMPUTE_PGM_RSRC2:SCRATCH_EN: 0
; COMPUTE_PGM_RSRC2:USER_SGPR: 15
; COMPUTE_PGM_RSRC2:TRAP_HANDLER: 0
; COMPUTE_PGM_RSRC2:TGID_X_EN: 1
; COMPUTE_PGM_RSRC2:TGID_Y_EN: 0
; COMPUTE_PGM_RSRC2:TGID_Z_EN: 0
; COMPUTE_PGM_RSRC2:TIDIG_COMP_CNT: 0
	.section	.text._ZN2at6native12_GLOBAL__N_125multi_tensor_apply_kernelINS1_18TensorListMetadataILi1EEENS1_14UnaryOpFunctorIN3c107complexIfEELi1ELi1ELi0EEEJNS0_5Log1pIS8_EEEEEvT_T0_DpT1_,"axG",@progbits,_ZN2at6native12_GLOBAL__N_125multi_tensor_apply_kernelINS1_18TensorListMetadataILi1EEENS1_14UnaryOpFunctorIN3c107complexIfEELi1ELi1ELi0EEEJNS0_5Log1pIS8_EEEEEvT_T0_DpT1_,comdat
	.globl	_ZN2at6native12_GLOBAL__N_125multi_tensor_apply_kernelINS1_18TensorListMetadataILi1EEENS1_14UnaryOpFunctorIN3c107complexIfEELi1ELi1ELi0EEEJNS0_5Log1pIS8_EEEEEvT_T0_DpT1_ ; -- Begin function _ZN2at6native12_GLOBAL__N_125multi_tensor_apply_kernelINS1_18TensorListMetadataILi1EEENS1_14UnaryOpFunctorIN3c107complexIfEELi1ELi1ELi0EEEJNS0_5Log1pIS8_EEEEEvT_T0_DpT1_
	.p2align	8
	.type	_ZN2at6native12_GLOBAL__N_125multi_tensor_apply_kernelINS1_18TensorListMetadataILi1EEENS1_14UnaryOpFunctorIN3c107complexIfEELi1ELi1ELi0EEEJNS0_5Log1pIS8_EEEEEvT_T0_DpT1_,@function
_ZN2at6native12_GLOBAL__N_125multi_tensor_apply_kernelINS1_18TensorListMetadataILi1EEENS1_14UnaryOpFunctorIN3c107complexIfEELi1ELi1ELi0EEEJNS0_5Log1pIS8_EEEEEvT_T0_DpT1_: ; @_ZN2at6native12_GLOBAL__N_125multi_tensor_apply_kernelINS1_18TensorListMetadataILi1EEENS1_14UnaryOpFunctorIN3c107complexIfEELi1ELi1ELi0EEEJNS0_5Log1pIS8_EEEEEvT_T0_DpT1_
; %bb.0:
	v_mov_b32_e32 v1, s15
	s_add_u32 s2, s0, s15
	s_mul_hi_u32 s3, s15, 3
	s_mul_i32 s15, s15, 3
	s_addc_u32 s4, s1, 0
	global_load_u8 v1, v1, s[0:1] offset:1760
	s_add_u32 s2, s2, s15
	s_addc_u32 s3, s4, s3
	s_mov_b32 s15, 0
	s_load_b32 s2, s[2:3], 0x820
	s_waitcnt vmcnt(0)
	v_readfirstlane_b32 s5, v1
	s_delay_alu instid0(VALU_DEP_1)
	s_lshl_b32 s3, s5, 3
	s_clause 0x1
	s_load_b64 s[10:11], s[0:1], s3 offset:0x0
	s_load_b64 s[4:5], s[0:1], s3 offset:0x370
	s_waitcnt lgkmcnt(0)
	s_ashr_i32 s3, s2, 31
	s_delay_alu instid0(SALU_CYCLE_1) | instskip(NEXT) | instid1(SALU_CYCLE_1)
	s_lshl_b64 s[12:13], s[2:3], 19
	s_add_u32 s7, s10, s12
	s_addc_u32 s18, s11, s13
	s_lshl_b64 s[2:3], s[2:3], 16
	s_and_b32 s14, s7, 31
	s_sub_u32 s8, s4, s2
	s_subb_u32 s9, s5, s3
	s_and_b32 s2, s4, 3
	s_mov_b32 s3, s15
	s_delay_alu instid0(SALU_CYCLE_1) | instskip(NEXT) | instid1(SALU_CYCLE_1)
	s_or_b64 s[2:3], s[14:15], s[2:3]
	s_cmp_eq_u64 s[2:3], 0
	s_cbranch_scc1 .LBB211_45
; %bb.1:
	v_cmp_lt_i64_e64 s2, s[8:9], 1
	s_delay_alu instid0(VALU_DEP_1)
	s_and_b32 vcc_lo, exec_lo, s2
	s_cbranch_vccnz .LBB211_44
; %bb.2:
	s_load_b32 s2, s[0:1], 0xd3c
	v_cmp_gt_u64_e64 s3, 0x10000, s[8:9]
	v_dual_mov_b32 v2, 0 :: v_dual_lshlrev_b32 v1, 3, v0
	v_mov_b32_e32 v21, 0x4016cbe4
	s_mov_b64 s[16:17], 0
	s_mov_b32 s21, 0x3e9b6dac
	s_mov_b32 s22, 0x3b2d2a58
	s_waitcnt lgkmcnt(0)
	s_and_b32 s2, s2, 0xffff
	s_and_b32 s3, s3, exec_lo
	v_mad_u64_u32 v[3:4], null, s2, 24, v[1:2]
	s_cselect_b32 s15, s9, 0
	s_cselect_b32 s14, s8, 0x10000
	s_lshl_b32 s3, s2, 1
	s_mul_i32 s4, s2, 3
	s_lshl_b32 s19, s2, 2
	s_lshl_b32 s20, s2, 5
	v_add_co_u32 v13, s5, v0, s2
	s_lshl_b32 s2, s2, 4
	v_add_co_u32 v2, s4, s4, v0
	v_add_co_u32 v5, s2, s2, v1
	s_delay_alu instid0(VALU_DEP_1)
	v_add_co_ci_u32_e64 v16, null, 0, 0, s2
	v_add_co_u32 v19, s2, s3, v0
	v_add_co_ci_u32_e64 v14, null, 0, 0, s5
	v_add_co_ci_u32_e64 v15, null, 0, 0, s4
	v_lshlrev_b32_e32 v17, 3, v13
	v_or_b32_e32 v18, 4, v5
	v_or_b32_e32 v3, 4, v3
	v_add_co_ci_u32_e64 v20, null, 0, 0, s2
	s_branch .LBB211_4
.LBB211_3:                              ;   in Loop: Header=BB211_4 Depth=1
	s_or_b32 exec_lo, exec_lo, s3
	s_add_u32 s16, s16, s19
	s_addc_u32 s17, s17, 0
	s_delay_alu instid0(SALU_CYCLE_1) | instskip(SKIP_1) | instid1(VALU_DEP_1)
	v_cmp_ge_i64_e64 s2, s[16:17], s[8:9]
	v_cmp_lt_u64_e64 s3, 0xffff, s[16:17]
	s_or_b32 s2, s2, s3
	s_add_u32 s7, s7, s20
	s_addc_u32 s18, s18, 0
	s_and_b32 vcc_lo, exec_lo, s2
	s_cbranch_vccnz .LBB211_44
.LBB211_4:                              ; =>This Inner Loop Header: Depth=1
	v_add_co_u32 v5, s2, v0, s16
	s_delay_alu instid0(VALU_DEP_1) | instskip(SKIP_1) | instid1(VALU_DEP_2)
	v_add_co_ci_u32_e64 v6, null, 0, s17, s2
	v_dual_mov_b32 v12, 0 :: v_dual_mov_b32 v11, 0
	v_cmp_gt_u64_e64 s4, s[14:15], v[5:6]
	s_delay_alu instid0(VALU_DEP_1)
	s_and_saveexec_b32 s2, s4
	s_cbranch_execz .LBB211_6
; %bb.5:                                ;   in Loop: Header=BB211_4 Depth=1
	v_add_co_u32 v5, s3, s7, v1
	s_delay_alu instid0(VALU_DEP_1)
	v_add_co_ci_u32_e64 v6, null, s18, 0, s3
	global_load_b64 v[11:12], v[5:6], off
.LBB211_6:                              ;   in Loop: Header=BB211_4 Depth=1
	s_or_b32 exec_lo, exec_lo, s2
	v_add_co_u32 v5, vcc_lo, v13, s16
	v_add_co_ci_u32_e32 v6, vcc_lo, s17, v14, vcc_lo
	v_dual_mov_b32 v8, 0 :: v_dual_mov_b32 v9, 0
	v_mov_b32_e32 v10, 0
	s_delay_alu instid0(VALU_DEP_3) | instskip(NEXT) | instid1(VALU_DEP_1)
	v_cmp_gt_u64_e64 s3, s[14:15], v[5:6]
	s_and_saveexec_b32 s2, s3
	s_cbranch_execz .LBB211_8
; %bb.7:                                ;   in Loop: Header=BB211_4 Depth=1
	v_add_co_u32 v5, s5, s7, v17
	s_delay_alu instid0(VALU_DEP_1)
	v_add_co_ci_u32_e64 v6, null, s18, 0, s5
	global_load_b64 v[9:10], v[5:6], off
.LBB211_8:                              ;   in Loop: Header=BB211_4 Depth=1
	s_or_b32 exec_lo, exec_lo, s2
	v_add_co_u32 v5, vcc_lo, v19, s16
	v_add_co_ci_u32_e32 v6, vcc_lo, s17, v20, vcc_lo
	v_mov_b32_e32 v7, 0
	s_delay_alu instid0(VALU_DEP_2) | instskip(NEXT) | instid1(VALU_DEP_1)
	v_cmp_gt_u64_e64 s2, s[14:15], v[5:6]
	s_and_saveexec_b32 s5, s2
	s_cbranch_execz .LBB211_10
; %bb.9:                                ;   in Loop: Header=BB211_4 Depth=1
	v_add_co_u32 v5, vcc_lo, s7, v18
	v_add_co_ci_u32_e32 v6, vcc_lo, s18, v16, vcc_lo
	global_load_b64 v[7:8], v[5:6], off offset:-4
.LBB211_10:                             ;   in Loop: Header=BB211_4 Depth=1
	s_or_b32 exec_lo, exec_lo, s5
	v_add_co_u32 v5, vcc_lo, v2, s16
	v_add_co_ci_u32_e32 v6, vcc_lo, s17, v15, vcc_lo
	s_delay_alu instid0(VALU_DEP_1)
	v_cmp_gt_u64_e32 vcc_lo, s[14:15], v[5:6]
	v_dual_mov_b32 v6, 0 :: v_dual_mov_b32 v5, 0
	s_and_saveexec_b32 s6, vcc_lo
	s_cbranch_execz .LBB211_12
; %bb.11:                               ;   in Loop: Header=BB211_4 Depth=1
	v_add_co_u32 v5, s5, s7, v3
	s_delay_alu instid0(VALU_DEP_1)
	v_add_co_ci_u32_e64 v6, s5, s18, v4, s5
	global_load_b64 v[5:6], v[5:6], off offset:-4
.LBB211_12:                             ;   in Loop: Header=BB211_4 Depth=1
	s_or_b32 exec_lo, exec_lo, s6
	s_waitcnt vmcnt(0)
	v_max_f32_e64 v22, |v11|, |v11|
	v_max_f32_e64 v23, |v12|, |v12|
	s_delay_alu instid0(VALU_DEP_1) | instskip(NEXT) | instid1(VALU_DEP_1)
	v_max_f32_e32 v26, v22, v23
	v_cvt_f64_f32_e32 v[24:25], v26
	s_delay_alu instid0(VALU_DEP_1) | instskip(NEXT) | instid1(VALU_DEP_1)
	v_frexp_exp_i32_f64_e32 v22, v[24:25]
	v_sub_nc_u32_e32 v24, 0, v22
	s_delay_alu instid0(VALU_DEP_1) | instskip(SKIP_1) | instid1(VALU_DEP_2)
	v_ldexp_f32 v25, |v12|, v24
	v_ldexp_f32 v24, |v11|, v24
	v_mul_f32_e32 v25, v25, v25
	v_cmp_eq_f32_e64 s5, 0x7f800000, v26
	s_delay_alu instid0(VALU_DEP_2) | instskip(NEXT) | instid1(VALU_DEP_1)
	v_fmac_f32_e32 v25, v24, v24
	v_sqrt_f32_e32 v24, v25
	s_waitcnt_depctr 0xfff
	v_ldexp_f32 v24, v24, v22
	v_add_f32_e32 v22, 1.0, v11
	s_delay_alu instid0(VALU_DEP_2) | instskip(NEXT) | instid1(VALU_DEP_2)
	v_cmp_ngt_f32_e64 s6, 0.5, v24
	v_max_f32_e64 v24, |v22|, v23
	s_delay_alu instid0(VALU_DEP_2) | instskip(NEXT) | instid1(SALU_CYCLE_1)
	s_or_b32 s5, s5, s6
	s_and_saveexec_b32 s6, s5
	s_delay_alu instid0(SALU_CYCLE_1)
	s_xor_b32 s23, exec_lo, s6
	s_cbranch_execz .LBB211_14
; %bb.13:                               ;   in Loop: Header=BB211_4 Depth=1
	v_cvt_f64_f32_e32 v[25:26], v24
	v_cmp_neq_f32_e64 s5, 0x7f800000, v24
	s_delay_alu instid0(VALU_DEP_2) | instskip(NEXT) | instid1(VALU_DEP_1)
	v_frexp_exp_i32_f64_e32 v11, v[25:26]
	v_sub_nc_u32_e32 v25, 0, v11
	s_delay_alu instid0(VALU_DEP_1) | instskip(SKIP_1) | instid1(VALU_DEP_2)
	v_ldexp_f32 v26, |v12|, v25
	v_ldexp_f32 v25, |v22|, v25
	v_mul_f32_e32 v26, v26, v26
	s_delay_alu instid0(VALU_DEP_1) | instskip(NEXT) | instid1(VALU_DEP_1)
	v_fmac_f32_e32 v26, v25, v25
	v_sqrt_f32_e32 v25, v26
	s_waitcnt_depctr 0xfff
	v_ldexp_f32 v11, v25, v11
	s_delay_alu instid0(VALU_DEP_1) | instskip(NEXT) | instid1(VALU_DEP_1)
	v_cndmask_b32_e64 v11, 0x7f800000, v11, s5
	v_cmp_gt_f32_e64 s5, 0x800000, v11
	s_delay_alu instid0(VALU_DEP_1) | instskip(NEXT) | instid1(VALU_DEP_1)
	v_cndmask_b32_e64 v25, 1.0, 0x4f800000, s5
	v_mul_f32_e32 v11, v11, v25
	s_delay_alu instid0(VALU_DEP_1) | instskip(SKIP_3) | instid1(VALU_DEP_2)
	v_log_f32_e32 v11, v11
	s_waitcnt_depctr 0xfff
	v_mul_f32_e32 v25, 0x3f317217, v11
	v_cmp_gt_f32_e64 s6, 0x7f800000, |v11|
	v_fma_f32 v26, 0x3f317217, v11, -v25
	s_delay_alu instid0(VALU_DEP_1) | instskip(NEXT) | instid1(VALU_DEP_1)
	v_fmac_f32_e32 v26, 0x3377d1cf, v11
	v_add_f32_e32 v25, v25, v26
	s_delay_alu instid0(VALU_DEP_1) | instskip(SKIP_1) | instid1(VALU_DEP_1)
	v_cndmask_b32_e64 v11, v11, v25, s6
	v_cndmask_b32_e64 v25, 0, 0x41b17218, s5
	v_sub_f32_e32 v11, v11, v25
.LBB211_14:                             ;   in Loop: Header=BB211_4 Depth=1
	s_and_not1_saveexec_b32 s6, s23
	s_cbranch_execz .LBB211_18
; %bb.15:                               ;   in Loop: Header=BB211_4 Depth=1
	s_delay_alu instid0(VALU_DEP_1) | instskip(SKIP_1) | instid1(VALU_DEP_1)
	v_add_f32_e32 v25, 2.0, v11
	s_mov_b32 s23, exec_lo
	v_mul_f32_e32 v25, v11, v25
	s_delay_alu instid0(VALU_DEP_1) | instskip(NEXT) | instid1(VALU_DEP_1)
	v_fmac_f32_e32 v25, v12, v12
	v_cmpx_neq_f32_e32 0, v25
	s_cbranch_execz .LBB211_17
; %bb.16:                               ;   in Loop: Header=BB211_4 Depth=1
	v_add_f32_e32 v11, 1.0, v25
	s_delay_alu instid0(VALU_DEP_1) | instskip(NEXT) | instid1(VALU_DEP_1)
	v_cvt_f64_f32_e32 v[26:27], v11
	v_frexp_exp_i32_f64_e32 v26, v[26:27]
	v_frexp_mant_f32_e32 v27, v11
	s_delay_alu instid0(VALU_DEP_1) | instskip(SKIP_1) | instid1(VALU_DEP_1)
	v_cmp_gt_f32_e64 s5, 0x3f2aaaab, v27
	v_add_f32_e32 v27, -1.0, v11
	v_sub_f32_e32 v29, v27, v11
	v_sub_f32_e32 v27, v25, v27
	s_delay_alu instid0(VALU_DEP_4) | instskip(SKIP_1) | instid1(VALU_DEP_2)
	v_subrev_co_ci_u32_e64 v26, s5, 0, v26, s5
	v_cmp_eq_f32_e64 s5, 0x7f800000, v25
	v_sub_nc_u32_e32 v28, 0, v26
	v_cvt_f32_i32_e32 v26, v26
	s_delay_alu instid0(VALU_DEP_2) | instskip(NEXT) | instid1(VALU_DEP_1)
	v_ldexp_f32 v11, v11, v28
	v_dual_add_f32 v29, 1.0, v29 :: v_dual_add_f32 v30, 1.0, v11
	s_delay_alu instid0(VALU_DEP_1) | instskip(NEXT) | instid1(VALU_DEP_1)
	v_add_f32_e32 v27, v27, v29
	v_ldexp_f32 v27, v27, v28
	s_delay_alu instid0(VALU_DEP_3) | instskip(NEXT) | instid1(VALU_DEP_1)
	v_dual_add_f32 v28, -1.0, v11 :: v_dual_add_f32 v29, -1.0, v30
	v_add_f32_e32 v31, 1.0, v28
	s_delay_alu instid0(VALU_DEP_2) | instskip(NEXT) | instid1(VALU_DEP_2)
	v_sub_f32_e32 v29, v11, v29
	v_sub_f32_e32 v11, v11, v31
	s_delay_alu instid0(VALU_DEP_2) | instskip(NEXT) | instid1(VALU_DEP_2)
	v_add_f32_e32 v29, v27, v29
	v_add_f32_e32 v11, v27, v11
	s_delay_alu instid0(VALU_DEP_1) | instskip(NEXT) | instid1(VALU_DEP_1)
	v_dual_add_f32 v31, v30, v29 :: v_dual_add_f32 v32, v28, v11
	v_rcp_f32_e32 v27, v31
	v_sub_f32_e32 v30, v31, v30
	s_delay_alu instid0(VALU_DEP_1) | instskip(NEXT) | instid1(VALU_DEP_1)
	v_dual_sub_f32 v28, v32, v28 :: v_dual_sub_f32 v29, v29, v30
	v_sub_f32_e32 v11, v11, v28
	s_waitcnt_depctr 0xfff
	v_mul_f32_e32 v33, v32, v27
	s_delay_alu instid0(VALU_DEP_1) | instskip(NEXT) | instid1(VALU_DEP_1)
	v_mul_f32_e32 v34, v31, v33
	v_fma_f32 v30, v33, v31, -v34
	s_delay_alu instid0(VALU_DEP_1) | instskip(NEXT) | instid1(VALU_DEP_1)
	v_fmac_f32_e32 v30, v33, v29
	v_add_f32_e32 v35, v34, v30
	s_delay_alu instid0(VALU_DEP_1) | instskip(SKIP_1) | instid1(VALU_DEP_2)
	v_sub_f32_e32 v36, v32, v35
	v_sub_f32_e32 v28, v35, v34
	;; [unrolled: 1-line block ×3, first 2 shown]
	s_delay_alu instid0(VALU_DEP_2) | instskip(NEXT) | instid1(VALU_DEP_2)
	v_sub_f32_e32 v28, v28, v30
	v_sub_f32_e32 v32, v32, v35
	s_delay_alu instid0(VALU_DEP_1) | instskip(NEXT) | instid1(VALU_DEP_1)
	v_add_f32_e32 v11, v11, v32
	v_add_f32_e32 v11, v28, v11
	s_delay_alu instid0(VALU_DEP_1) | instskip(NEXT) | instid1(VALU_DEP_1)
	v_add_f32_e32 v28, v36, v11
	v_mul_f32_e32 v30, v27, v28
	s_delay_alu instid0(VALU_DEP_1) | instskip(NEXT) | instid1(VALU_DEP_1)
	v_dual_sub_f32 v35, v36, v28 :: v_dual_mul_f32 v32, v31, v30
	v_add_f32_e32 v11, v11, v35
	s_delay_alu instid0(VALU_DEP_2) | instskip(NEXT) | instid1(VALU_DEP_1)
	v_fma_f32 v31, v30, v31, -v32
	v_fmac_f32_e32 v31, v30, v29
	s_delay_alu instid0(VALU_DEP_1) | instskip(NEXT) | instid1(VALU_DEP_1)
	v_add_f32_e32 v29, v32, v31
	v_sub_f32_e32 v34, v28, v29
	v_sub_f32_e32 v32, v29, v32
	s_delay_alu instid0(VALU_DEP_2) | instskip(NEXT) | instid1(VALU_DEP_1)
	v_sub_f32_e32 v28, v28, v34
	v_sub_f32_e32 v28, v28, v29
	s_delay_alu instid0(VALU_DEP_1) | instskip(NEXT) | instid1(VALU_DEP_4)
	v_dual_add_f32 v11, v11, v28 :: v_dual_add_f32 v28, v33, v30
	v_sub_f32_e32 v29, v32, v31
	s_delay_alu instid0(VALU_DEP_1) | instskip(NEXT) | instid1(VALU_DEP_3)
	v_add_f32_e32 v11, v29, v11
	v_sub_f32_e32 v29, v28, v33
	s_delay_alu instid0(VALU_DEP_2) | instskip(NEXT) | instid1(VALU_DEP_2)
	v_add_f32_e32 v11, v34, v11
	v_sub_f32_e32 v29, v30, v29
	s_delay_alu instid0(VALU_DEP_2) | instskip(NEXT) | instid1(VALU_DEP_1)
	v_mul_f32_e32 v11, v27, v11
	v_add_f32_e32 v11, v29, v11
	s_delay_alu instid0(VALU_DEP_1) | instskip(NEXT) | instid1(VALU_DEP_1)
	v_add_f32_e32 v27, v28, v11
	v_mul_f32_e32 v29, v27, v27
	s_delay_alu instid0(VALU_DEP_1) | instskip(SKIP_1) | instid1(VALU_DEP_2)
	v_fmaak_f32 v30, s21, v29, 0x3ecc95a3
	v_mul_f32_e32 v31, v27, v29
	v_fmaak_f32 v29, v29, v30, 0x3f2aaada
	v_ldexp_f32 v30, v27, 1
	v_sub_f32_e32 v27, v27, v28
	s_delay_alu instid0(VALU_DEP_3) | instskip(SKIP_1) | instid1(VALU_DEP_2)
	v_mul_f32_e32 v29, v31, v29
	v_mul_f32_e32 v31, 0x3f317218, v26
	v_dual_sub_f32 v11, v11, v27 :: v_dual_add_f32 v28, v30, v29
	s_delay_alu instid0(VALU_DEP_1) | instskip(NEXT) | instid1(VALU_DEP_2)
	v_ldexp_f32 v11, v11, 1
	v_sub_f32_e32 v27, v28, v30
	s_delay_alu instid0(VALU_DEP_4) | instskip(NEXT) | instid1(VALU_DEP_1)
	v_fma_f32 v30, 0x3f317218, v26, -v31
	v_dual_sub_f32 v27, v29, v27 :: v_dual_fmac_f32 v30, 0xb102e308, v26
	s_delay_alu instid0(VALU_DEP_1) | instskip(NEXT) | instid1(VALU_DEP_1)
	v_add_f32_e32 v11, v11, v27
	v_dual_add_f32 v26, v31, v30 :: v_dual_add_f32 v27, v28, v11
	s_delay_alu instid0(VALU_DEP_1) | instskip(NEXT) | instid1(VALU_DEP_2)
	v_sub_f32_e32 v31, v26, v31
	v_dual_add_f32 v29, v26, v27 :: v_dual_sub_f32 v28, v27, v28
	s_delay_alu instid0(VALU_DEP_2) | instskip(NEXT) | instid1(VALU_DEP_2)
	v_sub_f32_e32 v30, v30, v31
	v_dual_sub_f32 v32, v29, v26 :: v_dual_sub_f32 v11, v11, v28
	s_delay_alu instid0(VALU_DEP_1) | instskip(NEXT) | instid1(VALU_DEP_2)
	v_sub_f32_e32 v33, v29, v32
	v_dual_sub_f32 v27, v27, v32 :: v_dual_add_f32 v28, v30, v11
	s_delay_alu instid0(VALU_DEP_2) | instskip(NEXT) | instid1(VALU_DEP_1)
	v_sub_f32_e32 v26, v26, v33
	v_add_f32_e32 v26, v27, v26
	s_delay_alu instid0(VALU_DEP_3) | instskip(NEXT) | instid1(VALU_DEP_2)
	v_sub_f32_e32 v27, v28, v30
	v_add_f32_e32 v26, v28, v26
	s_delay_alu instid0(VALU_DEP_2) | instskip(SKIP_1) | instid1(VALU_DEP_2)
	v_sub_f32_e32 v28, v28, v27
	v_sub_f32_e32 v11, v11, v27
	v_dual_add_f32 v31, v29, v26 :: v_dual_sub_f32 v28, v30, v28
	s_delay_alu instid0(VALU_DEP_1) | instskip(NEXT) | instid1(VALU_DEP_1)
	v_sub_f32_e32 v27, v31, v29
	v_dual_add_f32 v11, v11, v28 :: v_dual_sub_f32 v26, v26, v27
	s_delay_alu instid0(VALU_DEP_1) | instskip(NEXT) | instid1(VALU_DEP_1)
	v_add_f32_e32 v11, v11, v26
	v_add_f32_e32 v11, v31, v11
	s_delay_alu instid0(VALU_DEP_1) | instskip(SKIP_1) | instid1(VALU_DEP_1)
	v_cndmask_b32_e64 v11, v11, v25, s5
	v_cmp_ngt_f32_e64 s5, -1.0, v25
	v_cndmask_b32_e64 v11, 0x7fc00000, v11, s5
	v_cmp_neq_f32_e64 s5, -1.0, v25
	s_delay_alu instid0(VALU_DEP_1) | instskip(SKIP_1) | instid1(VALU_DEP_1)
	v_cndmask_b32_e64 v11, 0xff800000, v11, s5
	v_cmp_gt_f32_e64 s5, 0x33800000, |v25|
	v_cndmask_b32_e64 v11, v11, v25, s5
	s_delay_alu instid0(VALU_DEP_1)
	v_mul_f32_e32 v11, 0.5, v11
.LBB211_17:                             ;   in Loop: Header=BB211_4 Depth=1
	s_or_b32 exec_lo, exec_lo, s23
.LBB211_18:                             ;   in Loop: Header=BB211_4 Depth=1
	s_delay_alu instid0(SALU_CYCLE_1) | instskip(SKIP_2) | instid1(VALU_DEP_1)
	s_or_b32 exec_lo, exec_lo, s6
	v_max_f32_e64 v25, |v9|, |v9|
	v_max_f32_e64 v26, |v10|, |v10|
	v_max_f32_e32 v29, v25, v26
	s_delay_alu instid0(VALU_DEP_1) | instskip(NEXT) | instid1(VALU_DEP_1)
	v_cvt_f64_f32_e32 v[27:28], v29
	v_frexp_exp_i32_f64_e32 v25, v[27:28]
	s_delay_alu instid0(VALU_DEP_1) | instskip(NEXT) | instid1(VALU_DEP_1)
	v_sub_nc_u32_e32 v27, 0, v25
	v_ldexp_f32 v28, |v10|, v27
	v_ldexp_f32 v27, |v9|, v27
	s_delay_alu instid0(VALU_DEP_2) | instskip(SKIP_1) | instid1(VALU_DEP_2)
	v_mul_f32_e32 v28, v28, v28
	v_cmp_eq_f32_e64 s5, 0x7f800000, v29
	v_fmac_f32_e32 v28, v27, v27
	s_delay_alu instid0(VALU_DEP_1) | instskip(SKIP_3) | instid1(VALU_DEP_2)
	v_sqrt_f32_e32 v27, v28
	s_waitcnt_depctr 0xfff
	v_ldexp_f32 v27, v27, v25
	v_add_f32_e32 v25, 1.0, v9
	v_cmp_ngt_f32_e64 s6, 0.5, v27
	s_delay_alu instid0(VALU_DEP_2) | instskip(NEXT) | instid1(VALU_DEP_2)
	v_max_f32_e64 v27, |v25|, v26
	s_or_b32 s5, s5, s6
	s_delay_alu instid0(SALU_CYCLE_1) | instskip(NEXT) | instid1(SALU_CYCLE_1)
	s_and_saveexec_b32 s6, s5
	s_xor_b32 s23, exec_lo, s6
	s_cbranch_execz .LBB211_20
; %bb.19:                               ;   in Loop: Header=BB211_4 Depth=1
	v_cvt_f64_f32_e32 v[28:29], v27
	v_cmp_neq_f32_e64 s5, 0x7f800000, v27
	s_delay_alu instid0(VALU_DEP_2) | instskip(NEXT) | instid1(VALU_DEP_1)
	v_frexp_exp_i32_f64_e32 v9, v[28:29]
	v_sub_nc_u32_e32 v28, 0, v9
	s_delay_alu instid0(VALU_DEP_1) | instskip(SKIP_1) | instid1(VALU_DEP_2)
	v_ldexp_f32 v29, |v10|, v28
	v_ldexp_f32 v28, |v25|, v28
	v_mul_f32_e32 v29, v29, v29
	s_delay_alu instid0(VALU_DEP_1) | instskip(NEXT) | instid1(VALU_DEP_1)
	v_fmac_f32_e32 v29, v28, v28
	v_sqrt_f32_e32 v28, v29
	s_waitcnt_depctr 0xfff
	v_ldexp_f32 v9, v28, v9
	s_delay_alu instid0(VALU_DEP_1) | instskip(NEXT) | instid1(VALU_DEP_1)
	v_cndmask_b32_e64 v9, 0x7f800000, v9, s5
	v_cmp_gt_f32_e64 s5, 0x800000, v9
	s_delay_alu instid0(VALU_DEP_1) | instskip(NEXT) | instid1(VALU_DEP_1)
	v_cndmask_b32_e64 v28, 1.0, 0x4f800000, s5
	v_mul_f32_e32 v9, v9, v28
	s_delay_alu instid0(VALU_DEP_1) | instskip(SKIP_3) | instid1(VALU_DEP_2)
	v_log_f32_e32 v9, v9
	s_waitcnt_depctr 0xfff
	v_mul_f32_e32 v28, 0x3f317217, v9
	v_cmp_gt_f32_e64 s6, 0x7f800000, |v9|
	v_fma_f32 v29, 0x3f317217, v9, -v28
	s_delay_alu instid0(VALU_DEP_1) | instskip(NEXT) | instid1(VALU_DEP_1)
	v_fmac_f32_e32 v29, 0x3377d1cf, v9
	v_add_f32_e32 v28, v28, v29
	s_delay_alu instid0(VALU_DEP_1) | instskip(SKIP_1) | instid1(VALU_DEP_1)
	v_cndmask_b32_e64 v9, v9, v28, s6
	v_cndmask_b32_e64 v28, 0, 0x41b17218, s5
	v_sub_f32_e32 v9, v9, v28
.LBB211_20:                             ;   in Loop: Header=BB211_4 Depth=1
	s_and_not1_saveexec_b32 s6, s23
	s_cbranch_execz .LBB211_24
; %bb.21:                               ;   in Loop: Header=BB211_4 Depth=1
	s_delay_alu instid0(VALU_DEP_1) | instskip(SKIP_1) | instid1(VALU_DEP_1)
	v_add_f32_e32 v28, 2.0, v9
	s_mov_b32 s23, exec_lo
	v_mul_f32_e32 v28, v9, v28
	s_delay_alu instid0(VALU_DEP_1) | instskip(NEXT) | instid1(VALU_DEP_1)
	v_fmac_f32_e32 v28, v10, v10
	v_cmpx_neq_f32_e32 0, v28
	s_cbranch_execz .LBB211_23
; %bb.22:                               ;   in Loop: Header=BB211_4 Depth=1
	v_add_f32_e32 v9, 1.0, v28
	s_delay_alu instid0(VALU_DEP_1) | instskip(NEXT) | instid1(VALU_DEP_1)
	v_cvt_f64_f32_e32 v[29:30], v9
	v_frexp_exp_i32_f64_e32 v29, v[29:30]
	v_frexp_mant_f32_e32 v30, v9
	s_delay_alu instid0(VALU_DEP_1) | instskip(SKIP_1) | instid1(VALU_DEP_1)
	v_cmp_gt_f32_e64 s5, 0x3f2aaaab, v30
	v_add_f32_e32 v30, -1.0, v9
	v_sub_f32_e32 v32, v30, v9
	v_sub_f32_e32 v30, v28, v30
	s_delay_alu instid0(VALU_DEP_4) | instskip(SKIP_1) | instid1(VALU_DEP_2)
	v_subrev_co_ci_u32_e64 v29, s5, 0, v29, s5
	v_cmp_eq_f32_e64 s5, 0x7f800000, v28
	v_sub_nc_u32_e32 v31, 0, v29
	v_cvt_f32_i32_e32 v29, v29
	s_delay_alu instid0(VALU_DEP_2) | instskip(NEXT) | instid1(VALU_DEP_1)
	v_ldexp_f32 v9, v9, v31
	v_dual_add_f32 v32, 1.0, v32 :: v_dual_add_f32 v33, 1.0, v9
	s_delay_alu instid0(VALU_DEP_1) | instskip(NEXT) | instid1(VALU_DEP_2)
	v_add_f32_e32 v30, v30, v32
	v_add_f32_e32 v32, -1.0, v33
	s_delay_alu instid0(VALU_DEP_2) | instskip(NEXT) | instid1(VALU_DEP_2)
	v_ldexp_f32 v30, v30, v31
	v_dual_add_f32 v31, -1.0, v9 :: v_dual_sub_f32 v32, v9, v32
	s_delay_alu instid0(VALU_DEP_1) | instskip(NEXT) | instid1(VALU_DEP_1)
	v_add_f32_e32 v34, 1.0, v31
	v_sub_f32_e32 v9, v9, v34
	s_delay_alu instid0(VALU_DEP_1) | instskip(NEXT) | instid1(VALU_DEP_1)
	v_add_f32_e32 v9, v30, v9
	v_dual_add_f32 v35, v31, v9 :: v_dual_add_f32 v32, v30, v32
	s_delay_alu instid0(VALU_DEP_1) | instskip(NEXT) | instid1(VALU_DEP_1)
	v_dual_sub_f32 v31, v35, v31 :: v_dual_add_f32 v34, v33, v32
	v_sub_f32_e32 v9, v9, v31
	s_delay_alu instid0(VALU_DEP_2) | instskip(SKIP_1) | instid1(VALU_DEP_1)
	v_rcp_f32_e32 v30, v34
	v_sub_f32_e32 v33, v34, v33
	v_sub_f32_e32 v32, v32, v33
	s_waitcnt_depctr 0xfff
	v_mul_f32_e32 v36, v35, v30
	s_delay_alu instid0(VALU_DEP_1) | instskip(NEXT) | instid1(VALU_DEP_1)
	v_mul_f32_e32 v37, v34, v36
	v_fma_f32 v33, v36, v34, -v37
	s_delay_alu instid0(VALU_DEP_1) | instskip(NEXT) | instid1(VALU_DEP_1)
	v_fmac_f32_e32 v33, v36, v32
	v_add_f32_e32 v38, v37, v33
	s_delay_alu instid0(VALU_DEP_1) | instskip(SKIP_1) | instid1(VALU_DEP_2)
	v_sub_f32_e32 v39, v35, v38
	v_sub_f32_e32 v31, v38, v37
	;; [unrolled: 1-line block ×3, first 2 shown]
	s_delay_alu instid0(VALU_DEP_2) | instskip(NEXT) | instid1(VALU_DEP_2)
	v_sub_f32_e32 v31, v31, v33
	v_sub_f32_e32 v35, v35, v38
	s_delay_alu instid0(VALU_DEP_1) | instskip(NEXT) | instid1(VALU_DEP_1)
	v_add_f32_e32 v9, v9, v35
	v_add_f32_e32 v9, v31, v9
	s_delay_alu instid0(VALU_DEP_1) | instskip(NEXT) | instid1(VALU_DEP_1)
	v_add_f32_e32 v31, v39, v9
	v_mul_f32_e32 v33, v30, v31
	s_delay_alu instid0(VALU_DEP_1) | instskip(NEXT) | instid1(VALU_DEP_1)
	v_dual_sub_f32 v38, v39, v31 :: v_dual_mul_f32 v35, v34, v33
	v_add_f32_e32 v9, v9, v38
	s_delay_alu instid0(VALU_DEP_2) | instskip(NEXT) | instid1(VALU_DEP_1)
	v_fma_f32 v34, v33, v34, -v35
	v_fmac_f32_e32 v34, v33, v32
	s_delay_alu instid0(VALU_DEP_1) | instskip(NEXT) | instid1(VALU_DEP_1)
	v_add_f32_e32 v32, v35, v34
	v_sub_f32_e32 v37, v31, v32
	s_delay_alu instid0(VALU_DEP_1) | instskip(NEXT) | instid1(VALU_DEP_1)
	v_sub_f32_e32 v31, v31, v37
	v_sub_f32_e32 v31, v31, v32
	s_delay_alu instid0(VALU_DEP_1) | instskip(SKIP_2) | instid1(VALU_DEP_1)
	v_add_f32_e32 v9, v9, v31
	v_add_f32_e32 v31, v36, v33
	v_sub_f32_e32 v35, v32, v35
	v_sub_f32_e32 v32, v35, v34
	s_delay_alu instid0(VALU_DEP_1) | instskip(NEXT) | instid1(VALU_DEP_1)
	v_dual_add_f32 v9, v32, v9 :: v_dual_sub_f32 v32, v31, v36
	v_add_f32_e32 v9, v37, v9
	s_delay_alu instid0(VALU_DEP_1) | instskip(NEXT) | instid1(VALU_DEP_1)
	v_dual_sub_f32 v32, v33, v32 :: v_dual_mul_f32 v9, v30, v9
	v_add_f32_e32 v9, v32, v9
	s_delay_alu instid0(VALU_DEP_1) | instskip(NEXT) | instid1(VALU_DEP_1)
	v_add_f32_e32 v30, v31, v9
	v_mul_f32_e32 v32, v30, v30
	s_delay_alu instid0(VALU_DEP_1) | instskip(SKIP_1) | instid1(VALU_DEP_2)
	v_fmaak_f32 v33, s21, v32, 0x3ecc95a3
	v_mul_f32_e32 v34, v30, v32
	v_fmaak_f32 v32, v32, v33, 0x3f2aaada
	v_ldexp_f32 v33, v30, 1
	v_sub_f32_e32 v30, v30, v31
	s_delay_alu instid0(VALU_DEP_3) | instskip(NEXT) | instid1(VALU_DEP_2)
	v_mul_f32_e32 v32, v34, v32
	v_dual_mul_f32 v34, 0x3f317218, v29 :: v_dual_sub_f32 v9, v9, v30
	s_delay_alu instid0(VALU_DEP_2) | instskip(NEXT) | instid1(VALU_DEP_2)
	v_add_f32_e32 v31, v33, v32
	v_ldexp_f32 v9, v9, 1
	s_delay_alu instid0(VALU_DEP_2) | instskip(NEXT) | instid1(VALU_DEP_4)
	v_sub_f32_e32 v30, v31, v33
	v_fma_f32 v33, 0x3f317218, v29, -v34
	s_delay_alu instid0(VALU_DEP_1) | instskip(NEXT) | instid1(VALU_DEP_1)
	v_dual_sub_f32 v30, v32, v30 :: v_dual_fmac_f32 v33, 0xb102e308, v29
	v_add_f32_e32 v9, v9, v30
	s_delay_alu instid0(VALU_DEP_2) | instskip(NEXT) | instid1(VALU_DEP_2)
	v_add_f32_e32 v29, v34, v33
	v_add_f32_e32 v30, v31, v9
	s_delay_alu instid0(VALU_DEP_2) | instskip(NEXT) | instid1(VALU_DEP_2)
	v_sub_f32_e32 v34, v29, v34
	v_dual_add_f32 v32, v29, v30 :: v_dual_sub_f32 v31, v30, v31
	s_delay_alu instid0(VALU_DEP_2) | instskip(NEXT) | instid1(VALU_DEP_2)
	v_sub_f32_e32 v33, v33, v34
	v_sub_f32_e32 v35, v32, v29
	s_delay_alu instid0(VALU_DEP_3) | instskip(NEXT) | instid1(VALU_DEP_2)
	v_sub_f32_e32 v9, v9, v31
	v_sub_f32_e32 v36, v32, v35
	s_delay_alu instid0(VALU_DEP_2) | instskip(NEXT) | instid1(VALU_DEP_2)
	v_dual_sub_f32 v30, v30, v35 :: v_dual_add_f32 v31, v33, v9
	v_sub_f32_e32 v29, v29, v36
	s_delay_alu instid0(VALU_DEP_1) | instskip(NEXT) | instid1(VALU_DEP_3)
	v_add_f32_e32 v29, v30, v29
	v_sub_f32_e32 v30, v31, v33
	s_delay_alu instid0(VALU_DEP_2) | instskip(NEXT) | instid1(VALU_DEP_2)
	v_add_f32_e32 v29, v31, v29
	v_sub_f32_e32 v31, v31, v30
	s_delay_alu instid0(VALU_DEP_2) | instskip(NEXT) | instid1(VALU_DEP_1)
	v_dual_sub_f32 v9, v9, v30 :: v_dual_add_f32 v34, v32, v29
	v_dual_sub_f32 v31, v33, v31 :: v_dual_sub_f32 v30, v34, v32
	s_delay_alu instid0(VALU_DEP_1) | instskip(NEXT) | instid1(VALU_DEP_2)
	v_add_f32_e32 v9, v9, v31
	v_sub_f32_e32 v29, v29, v30
	s_delay_alu instid0(VALU_DEP_1) | instskip(NEXT) | instid1(VALU_DEP_1)
	v_add_f32_e32 v9, v9, v29
	v_add_f32_e32 v9, v34, v9
	s_delay_alu instid0(VALU_DEP_1) | instskip(SKIP_1) | instid1(VALU_DEP_1)
	v_cndmask_b32_e64 v9, v9, v28, s5
	v_cmp_ngt_f32_e64 s5, -1.0, v28
	v_cndmask_b32_e64 v9, 0x7fc00000, v9, s5
	v_cmp_neq_f32_e64 s5, -1.0, v28
	s_delay_alu instid0(VALU_DEP_1) | instskip(SKIP_1) | instid1(VALU_DEP_1)
	v_cndmask_b32_e64 v9, 0xff800000, v9, s5
	v_cmp_gt_f32_e64 s5, 0x33800000, |v28|
	v_cndmask_b32_e64 v9, v9, v28, s5
	s_delay_alu instid0(VALU_DEP_1)
	v_mul_f32_e32 v9, 0.5, v9
.LBB211_23:                             ;   in Loop: Header=BB211_4 Depth=1
	s_or_b32 exec_lo, exec_lo, s23
.LBB211_24:                             ;   in Loop: Header=BB211_4 Depth=1
	s_delay_alu instid0(SALU_CYCLE_1) | instskip(SKIP_2) | instid1(VALU_DEP_1)
	s_or_b32 exec_lo, exec_lo, s6
	v_max_f32_e64 v28, |v7|, |v7|
	v_max_f32_e64 v29, |v8|, |v8|
	v_max_f32_e32 v32, v28, v29
	s_delay_alu instid0(VALU_DEP_1) | instskip(NEXT) | instid1(VALU_DEP_1)
	v_cvt_f64_f32_e32 v[30:31], v32
	v_frexp_exp_i32_f64_e32 v28, v[30:31]
	s_delay_alu instid0(VALU_DEP_1) | instskip(NEXT) | instid1(VALU_DEP_1)
	v_sub_nc_u32_e32 v30, 0, v28
	v_ldexp_f32 v31, |v8|, v30
	v_ldexp_f32 v30, |v7|, v30
	s_delay_alu instid0(VALU_DEP_2) | instskip(SKIP_1) | instid1(VALU_DEP_2)
	v_mul_f32_e32 v31, v31, v31
	v_cmp_eq_f32_e64 s5, 0x7f800000, v32
	v_fmac_f32_e32 v31, v30, v30
	s_delay_alu instid0(VALU_DEP_1) | instskip(SKIP_3) | instid1(VALU_DEP_2)
	v_sqrt_f32_e32 v30, v31
	s_waitcnt_depctr 0xfff
	v_ldexp_f32 v30, v30, v28
	v_add_f32_e32 v28, 1.0, v7
	v_cmp_ngt_f32_e64 s6, 0.5, v30
	s_delay_alu instid0(VALU_DEP_2) | instskip(NEXT) | instid1(VALU_DEP_2)
	v_max_f32_e64 v30, |v28|, v29
	s_or_b32 s5, s5, s6
	s_delay_alu instid0(SALU_CYCLE_1) | instskip(NEXT) | instid1(SALU_CYCLE_1)
	s_and_saveexec_b32 s6, s5
	s_xor_b32 s23, exec_lo, s6
	s_cbranch_execz .LBB211_26
; %bb.25:                               ;   in Loop: Header=BB211_4 Depth=1
	v_cvt_f64_f32_e32 v[31:32], v30
	v_cmp_neq_f32_e64 s5, 0x7f800000, v30
	s_delay_alu instid0(VALU_DEP_2) | instskip(NEXT) | instid1(VALU_DEP_1)
	v_frexp_exp_i32_f64_e32 v7, v[31:32]
	v_sub_nc_u32_e32 v31, 0, v7
	s_delay_alu instid0(VALU_DEP_1) | instskip(SKIP_1) | instid1(VALU_DEP_2)
	v_ldexp_f32 v32, |v8|, v31
	v_ldexp_f32 v31, |v28|, v31
	v_mul_f32_e32 v32, v32, v32
	s_delay_alu instid0(VALU_DEP_1) | instskip(NEXT) | instid1(VALU_DEP_1)
	v_fmac_f32_e32 v32, v31, v31
	v_sqrt_f32_e32 v31, v32
	s_waitcnt_depctr 0xfff
	v_ldexp_f32 v7, v31, v7
	s_delay_alu instid0(VALU_DEP_1) | instskip(NEXT) | instid1(VALU_DEP_1)
	v_cndmask_b32_e64 v7, 0x7f800000, v7, s5
	v_cmp_gt_f32_e64 s5, 0x800000, v7
	s_delay_alu instid0(VALU_DEP_1) | instskip(NEXT) | instid1(VALU_DEP_1)
	v_cndmask_b32_e64 v31, 1.0, 0x4f800000, s5
	v_mul_f32_e32 v7, v7, v31
	s_delay_alu instid0(VALU_DEP_1) | instskip(SKIP_3) | instid1(VALU_DEP_2)
	v_log_f32_e32 v7, v7
	s_waitcnt_depctr 0xfff
	v_mul_f32_e32 v31, 0x3f317217, v7
	v_cmp_gt_f32_e64 s6, 0x7f800000, |v7|
	v_fma_f32 v32, 0x3f317217, v7, -v31
	s_delay_alu instid0(VALU_DEP_1) | instskip(NEXT) | instid1(VALU_DEP_1)
	v_fmac_f32_e32 v32, 0x3377d1cf, v7
	v_add_f32_e32 v31, v31, v32
	s_delay_alu instid0(VALU_DEP_1) | instskip(SKIP_1) | instid1(VALU_DEP_1)
	v_cndmask_b32_e64 v7, v7, v31, s6
	v_cndmask_b32_e64 v31, 0, 0x41b17218, s5
	v_sub_f32_e32 v7, v7, v31
.LBB211_26:                             ;   in Loop: Header=BB211_4 Depth=1
	s_and_not1_saveexec_b32 s6, s23
	s_cbranch_execz .LBB211_30
; %bb.27:                               ;   in Loop: Header=BB211_4 Depth=1
	s_delay_alu instid0(VALU_DEP_1) | instskip(SKIP_1) | instid1(VALU_DEP_1)
	v_add_f32_e32 v31, 2.0, v7
	s_mov_b32 s23, exec_lo
	v_mul_f32_e32 v31, v7, v31
	s_delay_alu instid0(VALU_DEP_1) | instskip(NEXT) | instid1(VALU_DEP_1)
	v_fmac_f32_e32 v31, v8, v8
	v_cmpx_neq_f32_e32 0, v31
	s_cbranch_execz .LBB211_29
; %bb.28:                               ;   in Loop: Header=BB211_4 Depth=1
	v_add_f32_e32 v7, 1.0, v31
	s_delay_alu instid0(VALU_DEP_1) | instskip(NEXT) | instid1(VALU_DEP_1)
	v_cvt_f64_f32_e32 v[32:33], v7
	v_frexp_exp_i32_f64_e32 v32, v[32:33]
	v_frexp_mant_f32_e32 v33, v7
	s_delay_alu instid0(VALU_DEP_1) | instskip(SKIP_1) | instid1(VALU_DEP_1)
	v_cmp_gt_f32_e64 s5, 0x3f2aaaab, v33
	v_add_f32_e32 v33, -1.0, v7
	v_sub_f32_e32 v35, v33, v7
	s_delay_alu instid0(VALU_DEP_1) | instskip(NEXT) | instid1(VALU_DEP_4)
	v_add_f32_e32 v35, 1.0, v35
	v_subrev_co_ci_u32_e64 v32, s5, 0, v32, s5
	v_cmp_eq_f32_e64 s5, 0x7f800000, v31
	s_delay_alu instid0(VALU_DEP_2) | instskip(SKIP_1) | instid1(VALU_DEP_2)
	v_sub_nc_u32_e32 v34, 0, v32
	v_cvt_f32_i32_e32 v32, v32
	v_ldexp_f32 v7, v7, v34
	s_delay_alu instid0(VALU_DEP_1) | instskip(NEXT) | instid1(VALU_DEP_1)
	v_dual_sub_f32 v33, v31, v33 :: v_dual_add_f32 v36, 1.0, v7
	v_add_f32_e32 v33, v33, v35
	s_delay_alu instid0(VALU_DEP_2) | instskip(NEXT) | instid1(VALU_DEP_2)
	v_add_f32_e32 v35, -1.0, v36
	v_ldexp_f32 v33, v33, v34
	v_add_f32_e32 v34, -1.0, v7
	s_delay_alu instid0(VALU_DEP_3) | instskip(NEXT) | instid1(VALU_DEP_2)
	v_sub_f32_e32 v35, v7, v35
	v_add_f32_e32 v37, 1.0, v34
	s_delay_alu instid0(VALU_DEP_2) | instskip(NEXT) | instid1(VALU_DEP_2)
	v_add_f32_e32 v35, v33, v35
	v_sub_f32_e32 v7, v7, v37
	s_delay_alu instid0(VALU_DEP_2) | instskip(NEXT) | instid1(VALU_DEP_2)
	v_add_f32_e32 v37, v36, v35
	v_add_f32_e32 v7, v33, v7
	s_delay_alu instid0(VALU_DEP_2) | instskip(SKIP_1) | instid1(VALU_DEP_1)
	v_rcp_f32_e32 v33, v37
	v_sub_f32_e32 v36, v37, v36
	v_dual_add_f32 v38, v34, v7 :: v_dual_sub_f32 v35, v35, v36
	s_delay_alu instid0(VALU_DEP_1) | instskip(SKIP_2) | instid1(VALU_DEP_1)
	v_sub_f32_e32 v34, v38, v34
	s_waitcnt_depctr 0xfff
	v_mul_f32_e32 v39, v38, v33
	v_dual_sub_f32 v7, v7, v34 :: v_dual_mul_f32 v40, v37, v39
	s_delay_alu instid0(VALU_DEP_1) | instskip(NEXT) | instid1(VALU_DEP_1)
	v_fma_f32 v36, v39, v37, -v40
	v_fmac_f32_e32 v36, v39, v35
	s_delay_alu instid0(VALU_DEP_1) | instskip(NEXT) | instid1(VALU_DEP_1)
	v_add_f32_e32 v41, v40, v36
	v_sub_f32_e32 v42, v38, v41
	v_sub_f32_e32 v34, v41, v40
	s_delay_alu instid0(VALU_DEP_2) | instskip(NEXT) | instid1(VALU_DEP_2)
	v_sub_f32_e32 v38, v38, v42
	v_sub_f32_e32 v34, v34, v36
	s_delay_alu instid0(VALU_DEP_2) | instskip(NEXT) | instid1(VALU_DEP_1)
	v_sub_f32_e32 v38, v38, v41
	v_add_f32_e32 v7, v7, v38
	s_delay_alu instid0(VALU_DEP_1) | instskip(NEXT) | instid1(VALU_DEP_1)
	v_add_f32_e32 v7, v34, v7
	v_add_f32_e32 v34, v42, v7
	s_delay_alu instid0(VALU_DEP_1) | instskip(NEXT) | instid1(VALU_DEP_1)
	v_mul_f32_e32 v36, v33, v34
	v_dual_sub_f32 v41, v42, v34 :: v_dual_mul_f32 v38, v37, v36
	s_delay_alu instid0(VALU_DEP_1) | instskip(NEXT) | instid1(VALU_DEP_1)
	v_fma_f32 v37, v36, v37, -v38
	v_fmac_f32_e32 v37, v36, v35
	s_delay_alu instid0(VALU_DEP_1) | instskip(NEXT) | instid1(VALU_DEP_1)
	v_add_f32_e32 v35, v38, v37
	v_sub_f32_e32 v40, v34, v35
	v_sub_f32_e32 v38, v35, v38
	s_delay_alu instid0(VALU_DEP_2) | instskip(NEXT) | instid1(VALU_DEP_1)
	v_dual_add_f32 v7, v7, v41 :: v_dual_sub_f32 v34, v34, v40
	v_sub_f32_e32 v34, v34, v35
	s_delay_alu instid0(VALU_DEP_1) | instskip(NEXT) | instid1(VALU_DEP_4)
	v_add_f32_e32 v7, v7, v34
	v_dual_add_f32 v34, v39, v36 :: v_dual_sub_f32 v35, v38, v37
	s_delay_alu instid0(VALU_DEP_1) | instskip(NEXT) | instid1(VALU_DEP_2)
	v_add_f32_e32 v7, v35, v7
	v_sub_f32_e32 v35, v34, v39
	s_delay_alu instid0(VALU_DEP_2) | instskip(NEXT) | instid1(VALU_DEP_2)
	v_add_f32_e32 v7, v40, v7
	v_sub_f32_e32 v35, v36, v35
	s_delay_alu instid0(VALU_DEP_2) | instskip(NEXT) | instid1(VALU_DEP_1)
	v_mul_f32_e32 v7, v33, v7
	v_add_f32_e32 v7, v35, v7
	s_delay_alu instid0(VALU_DEP_1) | instskip(NEXT) | instid1(VALU_DEP_1)
	v_add_f32_e32 v33, v34, v7
	v_mul_f32_e32 v35, v33, v33
	s_delay_alu instid0(VALU_DEP_1) | instskip(SKIP_1) | instid1(VALU_DEP_2)
	v_fmaak_f32 v36, s21, v35, 0x3ecc95a3
	v_mul_f32_e32 v37, v33, v35
	v_fmaak_f32 v35, v35, v36, 0x3f2aaada
	v_ldexp_f32 v36, v33, 1
	v_sub_f32_e32 v33, v33, v34
	s_delay_alu instid0(VALU_DEP_3) | instskip(SKIP_1) | instid1(VALU_DEP_2)
	v_mul_f32_e32 v35, v37, v35
	v_mul_f32_e32 v37, 0x3f317218, v32
	v_dual_sub_f32 v7, v7, v33 :: v_dual_add_f32 v34, v36, v35
	s_delay_alu instid0(VALU_DEP_1) | instskip(NEXT) | instid1(VALU_DEP_2)
	v_ldexp_f32 v7, v7, 1
	v_sub_f32_e32 v33, v34, v36
	s_delay_alu instid0(VALU_DEP_4) | instskip(NEXT) | instid1(VALU_DEP_1)
	v_fma_f32 v36, 0x3f317218, v32, -v37
	v_dual_sub_f32 v33, v35, v33 :: v_dual_fmac_f32 v36, 0xb102e308, v32
	s_delay_alu instid0(VALU_DEP_1) | instskip(NEXT) | instid1(VALU_DEP_1)
	v_dual_add_f32 v7, v7, v33 :: v_dual_add_f32 v32, v37, v36
	v_add_f32_e32 v33, v34, v7
	s_delay_alu instid0(VALU_DEP_2) | instskip(NEXT) | instid1(VALU_DEP_2)
	v_sub_f32_e32 v37, v32, v37
	v_dual_add_f32 v35, v32, v33 :: v_dual_sub_f32 v34, v33, v34
	s_delay_alu instid0(VALU_DEP_2) | instskip(NEXT) | instid1(VALU_DEP_2)
	v_sub_f32_e32 v36, v36, v37
	v_sub_f32_e32 v38, v35, v32
	s_delay_alu instid0(VALU_DEP_3) | instskip(NEXT) | instid1(VALU_DEP_1)
	v_sub_f32_e32 v7, v7, v34
	v_dual_sub_f32 v39, v35, v38 :: v_dual_add_f32 v34, v36, v7
	s_delay_alu instid0(VALU_DEP_1) | instskip(NEXT) | instid1(VALU_DEP_1)
	v_dual_sub_f32 v33, v33, v38 :: v_dual_sub_f32 v32, v32, v39
	v_add_f32_e32 v32, v33, v32
	s_delay_alu instid0(VALU_DEP_3) | instskip(NEXT) | instid1(VALU_DEP_2)
	v_sub_f32_e32 v33, v34, v36
	v_add_f32_e32 v32, v34, v32
	s_delay_alu instid0(VALU_DEP_2) | instskip(SKIP_1) | instid1(VALU_DEP_2)
	v_sub_f32_e32 v34, v34, v33
	v_sub_f32_e32 v7, v7, v33
	v_dual_add_f32 v37, v35, v32 :: v_dual_sub_f32 v34, v36, v34
	s_delay_alu instid0(VALU_DEP_1) | instskip(NEXT) | instid1(VALU_DEP_1)
	v_sub_f32_e32 v33, v37, v35
	v_dual_add_f32 v7, v7, v34 :: v_dual_sub_f32 v32, v32, v33
	s_delay_alu instid0(VALU_DEP_1) | instskip(NEXT) | instid1(VALU_DEP_1)
	v_add_f32_e32 v7, v7, v32
	v_add_f32_e32 v7, v37, v7
	s_delay_alu instid0(VALU_DEP_1) | instskip(SKIP_1) | instid1(VALU_DEP_1)
	v_cndmask_b32_e64 v7, v7, v31, s5
	v_cmp_ngt_f32_e64 s5, -1.0, v31
	v_cndmask_b32_e64 v7, 0x7fc00000, v7, s5
	v_cmp_neq_f32_e64 s5, -1.0, v31
	s_delay_alu instid0(VALU_DEP_1) | instskip(SKIP_1) | instid1(VALU_DEP_1)
	v_cndmask_b32_e64 v7, 0xff800000, v7, s5
	v_cmp_gt_f32_e64 s5, 0x33800000, |v31|
	v_cndmask_b32_e64 v7, v7, v31, s5
	s_delay_alu instid0(VALU_DEP_1)
	v_mul_f32_e32 v7, 0.5, v7
.LBB211_29:                             ;   in Loop: Header=BB211_4 Depth=1
	s_or_b32 exec_lo, exec_lo, s23
.LBB211_30:                             ;   in Loop: Header=BB211_4 Depth=1
	s_delay_alu instid0(SALU_CYCLE_1) | instskip(SKIP_2) | instid1(VALU_DEP_1)
	s_or_b32 exec_lo, exec_lo, s6
	v_max_f32_e64 v31, |v5|, |v5|
	v_max_f32_e64 v32, |v6|, |v6|
	v_max_f32_e32 v35, v31, v32
	s_delay_alu instid0(VALU_DEP_1) | instskip(NEXT) | instid1(VALU_DEP_1)
	v_cvt_f64_f32_e32 v[33:34], v35
	v_frexp_exp_i32_f64_e32 v31, v[33:34]
	s_delay_alu instid0(VALU_DEP_1) | instskip(NEXT) | instid1(VALU_DEP_1)
	v_sub_nc_u32_e32 v33, 0, v31
	v_ldexp_f32 v34, |v6|, v33
	v_ldexp_f32 v33, |v5|, v33
	s_delay_alu instid0(VALU_DEP_2) | instskip(SKIP_1) | instid1(VALU_DEP_2)
	v_mul_f32_e32 v34, v34, v34
	v_cmp_eq_f32_e64 s5, 0x7f800000, v35
	v_fmac_f32_e32 v34, v33, v33
	s_delay_alu instid0(VALU_DEP_1) | instskip(SKIP_3) | instid1(VALU_DEP_2)
	v_sqrt_f32_e32 v33, v34
	s_waitcnt_depctr 0xfff
	v_ldexp_f32 v33, v33, v31
	v_add_f32_e32 v31, 1.0, v5
	v_cmp_ngt_f32_e64 s6, 0.5, v33
	s_delay_alu instid0(VALU_DEP_2) | instskip(NEXT) | instid1(VALU_DEP_2)
	v_max_f32_e64 v33, |v31|, v32
	s_or_b32 s5, s5, s6
	s_delay_alu instid0(SALU_CYCLE_1) | instskip(NEXT) | instid1(SALU_CYCLE_1)
	s_and_saveexec_b32 s6, s5
	s_xor_b32 s23, exec_lo, s6
	s_cbranch_execnz .LBB211_36
; %bb.31:                               ;   in Loop: Header=BB211_4 Depth=1
	s_and_not1_saveexec_b32 s6, s23
	s_cbranch_execnz .LBB211_37
.LBB211_32:                             ;   in Loop: Header=BB211_4 Depth=1
	s_or_b32 exec_lo, exec_lo, s6
	s_and_saveexec_b32 s5, s4
	s_delay_alu instid0(SALU_CYCLE_1)
	s_xor_b32 s6, exec_lo, s5
	s_cbranch_execnz .LBB211_40
.LBB211_33:                             ;   in Loop: Header=BB211_4 Depth=1
	s_or_b32 exec_lo, exec_lo, s6
	s_and_saveexec_b32 s5, s3
	s_cbranch_execnz .LBB211_41
.LBB211_34:                             ;   in Loop: Header=BB211_4 Depth=1
	s_or_b32 exec_lo, exec_lo, s5
	s_and_saveexec_b32 s4, s2
	s_cbranch_execnz .LBB211_42
.LBB211_35:                             ;   in Loop: Header=BB211_4 Depth=1
	s_or_b32 exec_lo, exec_lo, s4
	s_and_saveexec_b32 s3, vcc_lo
	s_cbranch_execz .LBB211_3
	s_branch .LBB211_43
.LBB211_36:                             ;   in Loop: Header=BB211_4 Depth=1
	v_cvt_f64_f32_e32 v[34:35], v33
	v_cmp_neq_f32_e64 s5, 0x7f800000, v33
	s_delay_alu instid0(VALU_DEP_2) | instskip(NEXT) | instid1(VALU_DEP_1)
	v_frexp_exp_i32_f64_e32 v5, v[34:35]
	v_sub_nc_u32_e32 v34, 0, v5
	s_delay_alu instid0(VALU_DEP_1) | instskip(SKIP_1) | instid1(VALU_DEP_2)
	v_ldexp_f32 v35, |v6|, v34
	v_ldexp_f32 v34, |v31|, v34
	v_mul_f32_e32 v35, v35, v35
	s_delay_alu instid0(VALU_DEP_1) | instskip(NEXT) | instid1(VALU_DEP_1)
	v_fmac_f32_e32 v35, v34, v34
	v_sqrt_f32_e32 v34, v35
	s_waitcnt_depctr 0xfff
	v_ldexp_f32 v5, v34, v5
	s_delay_alu instid0(VALU_DEP_1) | instskip(NEXT) | instid1(VALU_DEP_1)
	v_cndmask_b32_e64 v5, 0x7f800000, v5, s5
	v_cmp_gt_f32_e64 s5, 0x800000, v5
	s_delay_alu instid0(VALU_DEP_1) | instskip(NEXT) | instid1(VALU_DEP_1)
	v_cndmask_b32_e64 v34, 1.0, 0x4f800000, s5
	v_mul_f32_e32 v5, v5, v34
	s_delay_alu instid0(VALU_DEP_1) | instskip(SKIP_3) | instid1(VALU_DEP_2)
	v_log_f32_e32 v5, v5
	s_waitcnt_depctr 0xfff
	v_mul_f32_e32 v34, 0x3f317217, v5
	v_cmp_gt_f32_e64 s6, 0x7f800000, |v5|
	v_fma_f32 v35, 0x3f317217, v5, -v34
	s_delay_alu instid0(VALU_DEP_1) | instskip(NEXT) | instid1(VALU_DEP_1)
	v_fmac_f32_e32 v35, 0x3377d1cf, v5
	v_add_f32_e32 v34, v34, v35
	s_delay_alu instid0(VALU_DEP_1) | instskip(SKIP_1) | instid1(VALU_DEP_1)
	v_cndmask_b32_e64 v5, v5, v34, s6
	v_cndmask_b32_e64 v34, 0, 0x41b17218, s5
	v_sub_f32_e32 v5, v5, v34
	s_and_not1_saveexec_b32 s6, s23
	s_cbranch_execz .LBB211_32
.LBB211_37:                             ;   in Loop: Header=BB211_4 Depth=1
	s_delay_alu instid0(VALU_DEP_1) | instskip(SKIP_1) | instid1(VALU_DEP_1)
	v_add_f32_e32 v34, 2.0, v5
	s_mov_b32 s23, exec_lo
	v_mul_f32_e32 v34, v5, v34
	s_delay_alu instid0(VALU_DEP_1) | instskip(NEXT) | instid1(VALU_DEP_1)
	v_fmac_f32_e32 v34, v6, v6
	v_cmpx_neq_f32_e32 0, v34
	s_cbranch_execz .LBB211_39
; %bb.38:                               ;   in Loop: Header=BB211_4 Depth=1
	v_add_f32_e32 v5, 1.0, v34
	s_delay_alu instid0(VALU_DEP_1) | instskip(NEXT) | instid1(VALU_DEP_1)
	v_cvt_f64_f32_e32 v[35:36], v5
	v_frexp_exp_i32_f64_e32 v35, v[35:36]
	v_frexp_mant_f32_e32 v36, v5
	s_delay_alu instid0(VALU_DEP_1) | instskip(SKIP_1) | instid1(VALU_DEP_1)
	v_cmp_gt_f32_e64 s5, 0x3f2aaaab, v36
	v_add_f32_e32 v36, -1.0, v5
	v_sub_f32_e32 v38, v36, v5
	v_sub_f32_e32 v36, v34, v36
	s_delay_alu instid0(VALU_DEP_4) | instskip(SKIP_1) | instid1(VALU_DEP_2)
	v_subrev_co_ci_u32_e64 v35, s5, 0, v35, s5
	v_cmp_eq_f32_e64 s5, 0x7f800000, v34
	v_sub_nc_u32_e32 v37, 0, v35
	v_cvt_f32_i32_e32 v35, v35
	s_delay_alu instid0(VALU_DEP_2) | instskip(NEXT) | instid1(VALU_DEP_1)
	v_ldexp_f32 v5, v5, v37
	v_dual_add_f32 v38, 1.0, v38 :: v_dual_add_f32 v39, 1.0, v5
	s_delay_alu instid0(VALU_DEP_1) | instskip(NEXT) | instid1(VALU_DEP_1)
	v_add_f32_e32 v36, v36, v38
	v_ldexp_f32 v36, v36, v37
	s_delay_alu instid0(VALU_DEP_3) | instskip(NEXT) | instid1(VALU_DEP_1)
	v_dual_add_f32 v37, -1.0, v5 :: v_dual_add_f32 v38, -1.0, v39
	v_add_f32_e32 v40, 1.0, v37
	s_delay_alu instid0(VALU_DEP_2) | instskip(NEXT) | instid1(VALU_DEP_2)
	v_sub_f32_e32 v38, v5, v38
	v_sub_f32_e32 v5, v5, v40
	s_delay_alu instid0(VALU_DEP_1) | instskip(NEXT) | instid1(VALU_DEP_1)
	v_add_f32_e32 v5, v36, v5
	v_dual_add_f32 v38, v36, v38 :: v_dual_add_f32 v41, v37, v5
	s_delay_alu instid0(VALU_DEP_1) | instskip(NEXT) | instid1(VALU_DEP_1)
	v_dual_add_f32 v40, v39, v38 :: v_dual_sub_f32 v37, v41, v37
	v_rcp_f32_e32 v36, v40
	v_sub_f32_e32 v39, v40, v39
	s_delay_alu instid0(VALU_DEP_1) | instskip(SKIP_2) | instid1(VALU_DEP_1)
	v_dual_sub_f32 v38, v38, v39 :: v_dual_sub_f32 v5, v5, v37
	s_waitcnt_depctr 0xfff
	v_mul_f32_e32 v42, v41, v36
	v_mul_f32_e32 v43, v40, v42
	s_delay_alu instid0(VALU_DEP_1) | instskip(NEXT) | instid1(VALU_DEP_1)
	v_fma_f32 v39, v42, v40, -v43
	v_fmac_f32_e32 v39, v42, v38
	s_delay_alu instid0(VALU_DEP_1) | instskip(NEXT) | instid1(VALU_DEP_1)
	v_add_f32_e32 v44, v43, v39
	v_sub_f32_e32 v45, v41, v44
	s_delay_alu instid0(VALU_DEP_1) | instskip(SKIP_1) | instid1(VALU_DEP_2)
	v_sub_f32_e32 v41, v41, v45
	v_sub_f32_e32 v37, v44, v43
	;; [unrolled: 1-line block ×3, first 2 shown]
	s_delay_alu instid0(VALU_DEP_2) | instskip(NEXT) | instid1(VALU_DEP_2)
	v_sub_f32_e32 v37, v37, v39
	v_add_f32_e32 v5, v5, v41
	s_delay_alu instid0(VALU_DEP_1) | instskip(NEXT) | instid1(VALU_DEP_1)
	v_add_f32_e32 v5, v37, v5
	v_add_f32_e32 v37, v45, v5
	s_delay_alu instid0(VALU_DEP_1) | instskip(NEXT) | instid1(VALU_DEP_1)
	v_mul_f32_e32 v39, v36, v37
	v_dual_sub_f32 v44, v45, v37 :: v_dual_mul_f32 v41, v40, v39
	s_delay_alu instid0(VALU_DEP_1) | instskip(NEXT) | instid1(VALU_DEP_2)
	v_add_f32_e32 v5, v5, v44
	v_fma_f32 v40, v39, v40, -v41
	s_delay_alu instid0(VALU_DEP_1) | instskip(NEXT) | instid1(VALU_DEP_1)
	v_fmac_f32_e32 v40, v39, v38
	v_add_f32_e32 v38, v41, v40
	s_delay_alu instid0(VALU_DEP_1) | instskip(NEXT) | instid1(VALU_DEP_1)
	v_sub_f32_e32 v43, v37, v38
	v_sub_f32_e32 v37, v37, v43
	s_delay_alu instid0(VALU_DEP_1) | instskip(NEXT) | instid1(VALU_DEP_1)
	v_sub_f32_e32 v37, v37, v38
	v_add_f32_e32 v5, v5, v37
	v_add_f32_e32 v37, v42, v39
	v_sub_f32_e32 v41, v38, v41
	s_delay_alu instid0(VALU_DEP_1) | instskip(NEXT) | instid1(VALU_DEP_1)
	v_sub_f32_e32 v38, v41, v40
	v_dual_add_f32 v5, v38, v5 :: v_dual_sub_f32 v38, v37, v42
	s_delay_alu instid0(VALU_DEP_1) | instskip(NEXT) | instid1(VALU_DEP_1)
	v_add_f32_e32 v5, v43, v5
	v_dual_sub_f32 v38, v39, v38 :: v_dual_mul_f32 v5, v36, v5
	s_delay_alu instid0(VALU_DEP_1) | instskip(NEXT) | instid1(VALU_DEP_1)
	v_add_f32_e32 v5, v38, v5
	v_add_f32_e32 v36, v37, v5
	s_delay_alu instid0(VALU_DEP_1) | instskip(NEXT) | instid1(VALU_DEP_1)
	v_mul_f32_e32 v38, v36, v36
	v_fmaak_f32 v39, s21, v38, 0x3ecc95a3
	v_mul_f32_e32 v40, v36, v38
	s_delay_alu instid0(VALU_DEP_2) | instskip(SKIP_2) | instid1(VALU_DEP_3)
	v_fmaak_f32 v38, v38, v39, 0x3f2aaada
	v_ldexp_f32 v39, v36, 1
	v_sub_f32_e32 v36, v36, v37
	v_mul_f32_e32 v38, v40, v38
	s_delay_alu instid0(VALU_DEP_2) | instskip(NEXT) | instid1(VALU_DEP_2)
	v_dual_mul_f32 v40, 0x3f317218, v35 :: v_dual_sub_f32 v5, v5, v36
	v_add_f32_e32 v37, v39, v38
	s_delay_alu instid0(VALU_DEP_2) | instskip(NEXT) | instid1(VALU_DEP_2)
	v_ldexp_f32 v5, v5, 1
	v_sub_f32_e32 v36, v37, v39
	s_delay_alu instid0(VALU_DEP_4) | instskip(NEXT) | instid1(VALU_DEP_2)
	v_fma_f32 v39, 0x3f317218, v35, -v40
	v_sub_f32_e32 v36, v38, v36
	s_delay_alu instid0(VALU_DEP_1) | instskip(NEXT) | instid1(VALU_DEP_1)
	v_add_f32_e32 v5, v5, v36
	v_dual_fmac_f32 v39, 0xb102e308, v35 :: v_dual_add_f32 v36, v37, v5
	s_delay_alu instid0(VALU_DEP_1) | instskip(NEXT) | instid1(VALU_DEP_1)
	v_add_f32_e32 v35, v40, v39
	v_add_f32_e32 v38, v35, v36
	s_delay_alu instid0(VALU_DEP_1) | instskip(NEXT) | instid1(VALU_DEP_1)
	v_dual_sub_f32 v40, v35, v40 :: v_dual_sub_f32 v41, v38, v35
	v_dual_sub_f32 v39, v39, v40 :: v_dual_sub_f32 v42, v38, v41
	v_sub_f32_e32 v37, v36, v37
	s_delay_alu instid0(VALU_DEP_2) | instskip(NEXT) | instid1(VALU_DEP_2)
	v_dual_sub_f32 v36, v36, v41 :: v_dual_sub_f32 v35, v35, v42
	v_sub_f32_e32 v5, v5, v37
	s_delay_alu instid0(VALU_DEP_2) | instskip(NEXT) | instid1(VALU_DEP_2)
	v_add_f32_e32 v35, v36, v35
	v_add_f32_e32 v37, v39, v5
	s_delay_alu instid0(VALU_DEP_1) | instskip(NEXT) | instid1(VALU_DEP_3)
	v_sub_f32_e32 v36, v37, v39
	v_add_f32_e32 v35, v37, v35
	s_delay_alu instid0(VALU_DEP_1) | instskip(SKIP_1) | instid1(VALU_DEP_2)
	v_dual_sub_f32 v37, v37, v36 :: v_dual_add_f32 v40, v38, v35
	v_sub_f32_e32 v5, v5, v36
	v_dual_sub_f32 v37, v39, v37 :: v_dual_sub_f32 v36, v40, v38
	s_delay_alu instid0(VALU_DEP_1) | instskip(NEXT) | instid1(VALU_DEP_2)
	v_add_f32_e32 v5, v5, v37
	v_sub_f32_e32 v35, v35, v36
	s_delay_alu instid0(VALU_DEP_1) | instskip(NEXT) | instid1(VALU_DEP_1)
	v_add_f32_e32 v5, v5, v35
	v_add_f32_e32 v5, v40, v5
	s_delay_alu instid0(VALU_DEP_1) | instskip(SKIP_1) | instid1(VALU_DEP_1)
	v_cndmask_b32_e64 v5, v5, v34, s5
	v_cmp_ngt_f32_e64 s5, -1.0, v34
	v_cndmask_b32_e64 v5, 0x7fc00000, v5, s5
	v_cmp_neq_f32_e64 s5, -1.0, v34
	s_delay_alu instid0(VALU_DEP_1) | instskip(SKIP_1) | instid1(VALU_DEP_1)
	v_cndmask_b32_e64 v5, 0xff800000, v5, s5
	v_cmp_gt_f32_e64 s5, 0x33800000, |v34|
	v_cndmask_b32_e64 v5, v5, v34, s5
	s_delay_alu instid0(VALU_DEP_1)
	v_mul_f32_e32 v5, 0.5, v5
.LBB211_39:                             ;   in Loop: Header=BB211_4 Depth=1
	s_or_b32 exec_lo, exec_lo, s23
	s_delay_alu instid0(SALU_CYCLE_1) | instskip(SKIP_1) | instid1(SALU_CYCLE_1)
	s_or_b32 exec_lo, exec_lo, s6
	s_and_saveexec_b32 s5, s4
	s_xor_b32 s6, exec_lo, s5
	s_cbranch_execz .LBB211_33
.LBB211_40:                             ;   in Loop: Header=BB211_4 Depth=1
	v_max_f32_e64 v34, |v22|, |v22|
	v_frexp_mant_f32_e32 v35, v24
	v_frexp_exp_i32_f32_e32 v24, v24
	v_cmp_gt_f32_e64 s4, |v12|, |v22|
	v_cmp_gt_i32_e64 s5, 0, v22
	v_min_f32_e32 v23, v34, v23
	v_rcp_f32_e32 v34, v35
	v_cmp_class_f32_e64 s23, v22, 0x204
	s_delay_alu instid0(VALU_DEP_2)
	v_frexp_mant_f32_e32 v35, v23
	s_waitcnt_depctr 0xfff
	v_mul_f32_e32 v34, v35, v34
	v_frexp_exp_i32_f32_e32 v23, v23
	v_cndmask_b32_e64 v35, 0, 0x40490fdb, s5
	v_cmp_class_f32_e64 s5, v12, 0x204
	s_delay_alu instid0(VALU_DEP_3) | instskip(NEXT) | instid1(VALU_DEP_1)
	v_sub_nc_u32_e32 v23, v23, v24
	v_ldexp_f32 v23, v34, v23
	s_delay_alu instid0(VALU_DEP_1) | instskip(NEXT) | instid1(VALU_DEP_1)
	v_mul_f32_e32 v24, v23, v23
	v_fmaak_f32 v34, s22, v24, 0xbc7a590c
	s_delay_alu instid0(VALU_DEP_1) | instskip(NEXT) | instid1(VALU_DEP_1)
	v_fmaak_f32 v34, v24, v34, 0x3d29fb3f
	v_fmaak_f32 v34, v24, v34, 0xbd97d4d7
	s_delay_alu instid0(VALU_DEP_1) | instskip(NEXT) | instid1(VALU_DEP_1)
	v_fmaak_f32 v34, v24, v34, 0x3dd931b2
	;; [unrolled: 3-line block ×3, first 2 shown]
	v_fmaak_f32 v34, v24, v34, 0xbeaaaa62
	s_delay_alu instid0(VALU_DEP_1) | instskip(NEXT) | instid1(VALU_DEP_1)
	v_mul_f32_e32 v24, v24, v34
	v_fmac_f32_e32 v23, v23, v24
	s_delay_alu instid0(VALU_DEP_1) | instskip(NEXT) | instid1(VALU_DEP_1)
	v_sub_f32_e32 v24, 0x3fc90fdb, v23
	v_cndmask_b32_e64 v23, v23, v24, s4
	v_cmp_gt_f32_e64 s4, 0, v22
	s_delay_alu instid0(VALU_DEP_2) | instskip(NEXT) | instid1(VALU_DEP_2)
	v_sub_f32_e32 v24, 0x40490fdb, v23
	v_cndmask_b32_e64 v34, 0x3f490fdb, v21, s4
	s_delay_alu instid0(VALU_DEP_2) | instskip(SKIP_1) | instid1(VALU_DEP_1)
	v_cndmask_b32_e64 v23, v23, v24, s4
	v_cmp_eq_f32_e64 s4, 0, v12
	v_cndmask_b32_e64 v23, v23, v35, s4
	s_and_b32 s4, s5, s23
	s_delay_alu instid0(VALU_DEP_1) | instid1(SALU_CYCLE_1)
	v_cndmask_b32_e64 v23, v23, v34, s4
	v_cmp_o_f32_e64 s4, v22, v12
	s_delay_alu instid0(VALU_DEP_1) | instskip(NEXT) | instid1(VALU_DEP_1)
	v_cndmask_b32_e64 v22, 0x7fc00000, v23, s4
	v_bfi_b32 v12, 0x7fffffff, v22, v12
	v_add_co_u32 v22, s4, s7, v1
	s_delay_alu instid0(VALU_DEP_1)
	v_add_co_ci_u32_e64 v23, null, s18, 0, s4
	global_store_b64 v[22:23], v[11:12], off
	s_or_b32 exec_lo, exec_lo, s6
	s_and_saveexec_b32 s5, s3
	s_cbranch_execz .LBB211_34
.LBB211_41:                             ;   in Loop: Header=BB211_4 Depth=1
	v_max_f32_e64 v11, |v25|, |v25|
	v_frexp_mant_f32_e32 v12, v27
	v_frexp_exp_i32_f32_e32 v22, v27
	v_cmp_gt_f32_e64 s3, |v10|, |v25|
	v_cmp_gt_i32_e64 s4, 0, v25
	v_min_f32_e32 v11, v11, v26
	v_rcp_f32_e32 v12, v12
	v_cmp_class_f32_e64 s6, v25, 0x204
	s_delay_alu instid0(VALU_DEP_2)
	v_frexp_mant_f32_e32 v23, v11
	v_frexp_exp_i32_f32_e32 v11, v11
	s_waitcnt_depctr 0xfff
	v_mul_f32_e32 v12, v23, v12
	v_sub_nc_u32_e32 v11, v11, v22
	v_cndmask_b32_e64 v23, 0, 0x40490fdb, s4
	v_cmp_class_f32_e64 s4, v10, 0x204
	s_delay_alu instid0(VALU_DEP_3) | instskip(NEXT) | instid1(VALU_DEP_1)
	v_ldexp_f32 v11, v12, v11
	v_mul_f32_e32 v12, v11, v11
	s_delay_alu instid0(VALU_DEP_1) | instskip(NEXT) | instid1(VALU_DEP_1)
	v_fmaak_f32 v22, s22, v12, 0xbc7a590c
	v_fmaak_f32 v22, v12, v22, 0x3d29fb3f
	s_delay_alu instid0(VALU_DEP_1) | instskip(NEXT) | instid1(VALU_DEP_1)
	v_fmaak_f32 v22, v12, v22, 0xbd97d4d7
	v_fmaak_f32 v22, v12, v22, 0x3dd931b2
	;; [unrolled: 3-line block ×3, first 2 shown]
	s_delay_alu instid0(VALU_DEP_1) | instskip(NEXT) | instid1(VALU_DEP_1)
	v_fmaak_f32 v22, v12, v22, 0xbeaaaa62
	v_mul_f32_e32 v12, v12, v22
	s_delay_alu instid0(VALU_DEP_1) | instskip(NEXT) | instid1(VALU_DEP_1)
	v_fmac_f32_e32 v11, v11, v12
	v_sub_f32_e32 v12, 0x3fc90fdb, v11
	s_delay_alu instid0(VALU_DEP_1) | instskip(SKIP_1) | instid1(VALU_DEP_2)
	v_cndmask_b32_e64 v11, v11, v12, s3
	v_cmp_gt_f32_e64 s3, 0, v25
	v_sub_f32_e32 v12, 0x40490fdb, v11
	s_delay_alu instid0(VALU_DEP_2) | instskip(NEXT) | instid1(VALU_DEP_2)
	v_cndmask_b32_e64 v22, 0x3f490fdb, v21, s3
	v_cndmask_b32_e64 v11, v11, v12, s3
	v_cmp_eq_f32_e64 s3, 0, v10
	s_delay_alu instid0(VALU_DEP_1)
	v_cndmask_b32_e64 v11, v11, v23, s3
	s_and_b32 s3, s4, s6
	s_delay_alu instid0(VALU_DEP_1) | instid1(SALU_CYCLE_1)
	v_cndmask_b32_e64 v11, v11, v22, s3
	v_cmp_o_f32_e64 s3, v25, v10
	s_delay_alu instid0(VALU_DEP_1) | instskip(NEXT) | instid1(VALU_DEP_1)
	v_cndmask_b32_e64 v11, 0x7fc00000, v11, s3
	v_bfi_b32 v10, 0x7fffffff, v11, v10
	v_add_co_u32 v11, s3, s7, v17
	s_delay_alu instid0(VALU_DEP_1)
	v_add_co_ci_u32_e64 v12, null, s18, 0, s3
	global_store_b64 v[11:12], v[9:10], off
	s_or_b32 exec_lo, exec_lo, s5
	s_and_saveexec_b32 s4, s2
	s_cbranch_execz .LBB211_35
.LBB211_42:                             ;   in Loop: Header=BB211_4 Depth=1
	v_max_f32_e64 v9, |v28|, |v28|
	v_frexp_mant_f32_e32 v10, v30
	v_frexp_exp_i32_f32_e32 v11, v30
	v_cmp_gt_f32_e64 s2, |v8|, |v28|
	v_cmp_gt_i32_e64 s3, 0, v28
	v_cmp_class_f32_e64 s5, v28, 0x204
	v_rcp_f32_e32 v10, v10
	v_min_f32_e32 v9, v9, v29
	s_delay_alu instid0(VALU_DEP_1)
	v_frexp_mant_f32_e32 v12, v9
	s_waitcnt_depctr 0xfff
	v_mul_f32_e32 v10, v12, v10
	v_frexp_exp_i32_f32_e32 v9, v9
	v_cndmask_b32_e64 v12, 0, 0x40490fdb, s3
	v_cmp_class_f32_e64 s3, v8, 0x204
	s_delay_alu instid0(VALU_DEP_3) | instskip(NEXT) | instid1(VALU_DEP_1)
	v_sub_nc_u32_e32 v9, v9, v11
	v_ldexp_f32 v9, v10, v9
	s_delay_alu instid0(VALU_DEP_1) | instskip(NEXT) | instid1(VALU_DEP_1)
	v_mul_f32_e32 v10, v9, v9
	v_fmaak_f32 v11, s22, v10, 0xbc7a590c
	s_delay_alu instid0(VALU_DEP_1) | instskip(NEXT) | instid1(VALU_DEP_1)
	v_fmaak_f32 v11, v10, v11, 0x3d29fb3f
	v_fmaak_f32 v11, v10, v11, 0xbd97d4d7
	s_delay_alu instid0(VALU_DEP_1) | instskip(NEXT) | instid1(VALU_DEP_1)
	v_fmaak_f32 v11, v10, v11, 0x3dd931b2
	;; [unrolled: 3-line block ×3, first 2 shown]
	v_fmaak_f32 v11, v10, v11, 0xbeaaaa62
	s_delay_alu instid0(VALU_DEP_1) | instskip(NEXT) | instid1(VALU_DEP_1)
	v_mul_f32_e32 v10, v10, v11
	v_fmac_f32_e32 v9, v9, v10
	s_delay_alu instid0(VALU_DEP_1) | instskip(NEXT) | instid1(VALU_DEP_1)
	v_sub_f32_e32 v10, 0x3fc90fdb, v9
	v_cndmask_b32_e64 v9, v9, v10, s2
	v_cmp_gt_f32_e64 s2, 0, v28
	s_delay_alu instid0(VALU_DEP_2) | instskip(NEXT) | instid1(VALU_DEP_2)
	v_sub_f32_e32 v10, 0x40490fdb, v9
	v_cndmask_b32_e64 v11, 0x3f490fdb, v21, s2
	s_delay_alu instid0(VALU_DEP_2) | instskip(SKIP_1) | instid1(VALU_DEP_1)
	v_cndmask_b32_e64 v9, v9, v10, s2
	v_cmp_eq_f32_e64 s2, 0, v8
	v_cndmask_b32_e64 v9, v9, v12, s2
	s_and_b32 s2, s3, s5
	s_delay_alu instid0(VALU_DEP_1) | instid1(SALU_CYCLE_1)
	v_cndmask_b32_e64 v9, v9, v11, s2
	v_cmp_o_f32_e64 s2, v28, v8
	s_delay_alu instid0(VALU_DEP_1) | instskip(NEXT) | instid1(VALU_DEP_1)
	v_cndmask_b32_e64 v9, 0x7fc00000, v9, s2
	v_bfi_b32 v8, 0x7fffffff, v9, v8
	v_add_co_u32 v9, s2, s7, v18
	s_delay_alu instid0(VALU_DEP_1)
	v_add_co_ci_u32_e64 v10, s2, s18, v16, s2
	global_store_b64 v[9:10], v[7:8], off offset:-4
	s_or_b32 exec_lo, exec_lo, s4
	s_and_saveexec_b32 s3, vcc_lo
	s_cbranch_execz .LBB211_3
.LBB211_43:                             ;   in Loop: Header=BB211_4 Depth=1
	v_max_f32_e64 v7, |v31|, |v31|
	v_frexp_mant_f32_e32 v8, v33
	v_frexp_exp_i32_f32_e32 v9, v33
	v_cmp_gt_i32_e64 s2, 0, v31
	v_cmp_gt_f32_e64 vcc_lo, |v6|, |v31|
	v_min_f32_e32 v7, v7, v32
	v_rcp_f32_e32 v8, v8
	v_cmp_class_f32_e64 s4, v31, 0x204
	s_delay_alu instid0(VALU_DEP_2)
	v_frexp_mant_f32_e32 v10, v7
	v_frexp_exp_i32_f32_e32 v7, v7
	s_waitcnt_depctr 0xfff
	v_mul_f32_e32 v8, v10, v8
	v_sub_nc_u32_e32 v7, v7, v9
	v_cndmask_b32_e64 v10, 0, 0x40490fdb, s2
	v_cmp_class_f32_e64 s2, v6, 0x204
	s_delay_alu instid0(VALU_DEP_3) | instskip(NEXT) | instid1(VALU_DEP_1)
	v_ldexp_f32 v7, v8, v7
	v_mul_f32_e32 v8, v7, v7
	s_delay_alu instid0(VALU_DEP_1) | instskip(NEXT) | instid1(VALU_DEP_1)
	v_fmaak_f32 v9, s22, v8, 0xbc7a590c
	v_fmaak_f32 v9, v8, v9, 0x3d29fb3f
	s_delay_alu instid0(VALU_DEP_1) | instskip(NEXT) | instid1(VALU_DEP_1)
	v_fmaak_f32 v9, v8, v9, 0xbd97d4d7
	v_fmaak_f32 v9, v8, v9, 0x3dd931b2
	;; [unrolled: 3-line block ×3, first 2 shown]
	s_delay_alu instid0(VALU_DEP_1) | instskip(NEXT) | instid1(VALU_DEP_1)
	v_fmaak_f32 v9, v8, v9, 0xbeaaaa62
	v_mul_f32_e32 v8, v8, v9
	s_delay_alu instid0(VALU_DEP_1) | instskip(NEXT) | instid1(VALU_DEP_1)
	v_fmac_f32_e32 v7, v7, v8
	v_sub_f32_e32 v8, 0x3fc90fdb, v7
	s_delay_alu instid0(VALU_DEP_1) | instskip(SKIP_2) | instid1(VALU_DEP_3)
	v_cndmask_b32_e32 v7, v7, v8, vcc_lo
	v_cmp_gt_f32_e32 vcc_lo, 0, v31
	v_cndmask_b32_e32 v9, 0x3f490fdb, v21, vcc_lo
	v_sub_f32_e32 v8, 0x40490fdb, v7
	s_delay_alu instid0(VALU_DEP_1) | instskip(SKIP_1) | instid1(VALU_DEP_2)
	v_cndmask_b32_e32 v7, v7, v8, vcc_lo
	v_cmp_eq_f32_e32 vcc_lo, 0, v6
	v_cndmask_b32_e32 v7, v7, v10, vcc_lo
	s_and_b32 vcc_lo, s2, s4
	s_delay_alu instid0(VALU_DEP_1) | instskip(SKIP_1) | instid1(VALU_DEP_2)
	v_cndmask_b32_e32 v7, v7, v9, vcc_lo
	v_cmp_o_f32_e32 vcc_lo, v31, v6
	v_cndmask_b32_e32 v7, 0x7fc00000, v7, vcc_lo
	s_delay_alu instid0(VALU_DEP_1)
	v_bfi_b32 v6, 0x7fffffff, v7, v6
	v_add_co_u32 v7, vcc_lo, s7, v3
	v_add_co_ci_u32_e32 v8, vcc_lo, s18, v4, vcc_lo
	global_store_b64 v[7:8], v[5:6], off offset:-4
	s_branch .LBB211_3
.LBB211_44:
	s_cbranch_execz .LBB211_46
	s_branch .LBB211_73
.LBB211_45:
.LBB211_46:
	v_dual_mov_b32 v17, 0 :: v_dual_lshlrev_b32 v16, 2, v0
	s_mov_b32 s2, 0
	s_mov_b32 s3, exec_lo
	s_delay_alu instid0(VALU_DEP_1)
	v_cmpx_gt_i64_e64 s[8:9], v[16:17]
	s_cbranch_execz .LBB211_73
; %bb.47:
	s_load_b32 s0, s[0:1], 0xd3c
	v_dual_mov_b32 v20, 0x4016cbe4 :: v_dual_lshlrev_b32 v1, 5, v0
	s_mov_b32 s5, 0x3e9b6dac
	s_mov_b32 s6, 0x3b2d2a58
	s_waitcnt lgkmcnt(0)
	s_and_b32 s0, s0, 0xffff
	s_delay_alu instid0(SALU_CYCLE_1)
	s_lshl_b32 s3, s0, 2
	s_add_u32 s1, s10, s12
	s_addc_u32 s4, s11, s13
	v_add_co_u32 v18, s1, s1, v1
	v_add_lshl_u32 v16, v0, s0, 2
	v_add_co_ci_u32_e64 v19, null, s4, 0, s1
	s_lshl_b32 s4, s0, 5
	s_branch .LBB211_50
.LBB211_48:                             ;   in Loop: Header=BB211_50 Depth=1
	s_or_b32 exec_lo, exec_lo, s1
	s_delay_alu instid0(VALU_DEP_1)
	v_mov_b32_e32 v14, v2
.LBB211_49:                             ;   in Loop: Header=BB211_50 Depth=1
	s_or_b32 exec_lo, exec_lo, s0
	v_max_f32_e64 v2, |v6|, |v6|
	v_frexp_mant_f32_e32 v26, v23
	v_frexp_exp_i32_f32_e32 v27, v21
	v_frexp_mant_f32_e32 v21, v21
	v_max_f32_e64 v28, |v9|, |v9|
	v_min_f32_e32 v2, v2, v22
	v_rcp_f32_e32 v22, v26
	v_max_f32_e64 v26, |v4|, |v4|
	v_rcp_f32_e32 v21, v21
	v_min_f32_e32 v11, v28, v11
	v_frexp_mant_f32_e32 v29, v2
	v_frexp_exp_i32_f32_e32 v23, v23
	v_min_f32_e32 v15, v26, v15
	v_frexp_exp_i32_f32_e32 v2, v2
	v_frexp_exp_i32_f32_e32 v30, v13
	v_frexp_mant_f32_e32 v13, v13
	v_mul_f32_e32 v22, v29, v22
	v_frexp_mant_f32_e32 v29, v15
	v_frexp_exp_i32_f32_e32 v15, v15
	v_sub_nc_u32_e32 v2, v2, v23
	v_max_f32_e64 v23, |v0|, |v0|
	v_frexp_exp_i32_f32_e32 v26, v25
	v_mul_f32_e32 v21, v29, v21
	v_sub_nc_u32_e32 v15, v15, v27
	v_ldexp_f32 v2, v22, v2
	v_frexp_mant_f32_e32 v22, v25
	v_rcp_f32_e32 v13, v13
	v_cmp_gt_f32_e32 vcc_lo, 0, v6
	v_ldexp_f32 v15, v21, v15
	v_frexp_exp_i32_f32_e32 v21, v11
	v_rcp_f32_e32 v22, v22
	v_frexp_mant_f32_e32 v11, v11
	v_cmp_gt_i32_e64 s0, 0, v6
	v_dual_mul_f32 v28, v15, v15 :: v_dual_mul_f32 v25, v2, v2
	v_min_f32_e32 v23, v23, v24
	v_cmp_class_f32_e64 s7, v1, 0x204
	v_cmp_class_f32_e64 s10, v6, 0x204
	v_cmp_gt_i32_e64 s1, 0, v4
	v_fmaak_f32 v24, s6, v25, 0xbc7a590c
	v_frexp_exp_i32_f32_e32 v27, v23
	v_frexp_mant_f32_e32 v23, v23
	v_mul_f32_e32 v11, v11, v13
	v_sub_nc_u32_e32 v13, v21, v30
	v_fmaak_f32 v24, v25, v24, 0x3d29fb3f
	v_cmp_class_f32_e64 s11, v7, 0x204
	v_mul_f32_e32 v22, v23, v22
	v_sub_nc_u32_e32 v23, v27, v26
	v_ldexp_f32 v11, v11, v13
	v_fmaak_f32 v21, v25, v24, 0xbd97d4d7
	v_fmaak_f32 v24, s6, v28, 0xbc7a590c
	v_cmp_class_f32_e64 s12, v0, 0x204
	v_ldexp_f32 v22, v22, v23
	v_mul_f32_e32 v23, v11, v11
	v_fmaak_f32 v13, v25, v21, 0x3dd931b2
	s_delay_alu instid0(VALU_DEP_2) | instskip(NEXT) | instid1(VALU_DEP_4)
	v_fmaak_f32 v26, s6, v23, 0xbc7a590c
	v_dual_fmaak_f32 v21, v28, v24, 0x3d29fb3f :: v_dual_mul_f32 v24, v22, v22
	s_delay_alu instid0(VALU_DEP_3) | instskip(NEXT) | instid1(VALU_DEP_2)
	v_fmaak_f32 v13, v25, v13, 0xbe1160e6
	v_fmaak_f32 v27, s6, v24, 0xbc7a590c
	s_delay_alu instid0(VALU_DEP_2) | instskip(NEXT) | instid1(VALU_DEP_2)
	v_fmaak_f32 v13, v25, v13, 0x3e4cb8bf
	v_fmaak_f32 v27, v24, v27, 0x3d29fb3f
	s_delay_alu instid0(VALU_DEP_2) | instskip(NEXT) | instid1(VALU_DEP_1)
	v_fmaak_f32 v13, v25, v13, 0xbeaaaa62
	v_mul_f32_e32 v13, v25, v13
	s_delay_alu instid0(VALU_DEP_1) | instskip(SKIP_2) | instid1(VALU_DEP_3)
	v_dual_fmac_f32 v2, v2, v13 :: v_dual_fmaak_f32 v13, v24, v27, 0xbd97d4d7
	v_fmaak_f32 v26, v23, v26, 0x3d29fb3f
	v_fmaak_f32 v21, v28, v21, 0xbd97d4d7
	v_sub_f32_e32 v27, 0x3fc90fdb, v2
	s_delay_alu instid0(VALU_DEP_4) | instskip(NEXT) | instid1(VALU_DEP_3)
	v_fmaak_f32 v13, v24, v13, 0x3dd931b2
	v_fmaak_f32 v21, v28, v21, 0x3dd931b2
	s_delay_alu instid0(VALU_DEP_2) | instskip(NEXT) | instid1(VALU_DEP_2)
	v_fmaak_f32 v13, v24, v13, 0xbe1160e6
	v_fmaak_f32 v21, v28, v21, 0xbe1160e6
	s_delay_alu instid0(VALU_DEP_2) | instskip(NEXT) | instid1(VALU_DEP_2)
	v_fmaak_f32 v13, v24, v13, 0x3e4cb8bf
	v_fmaak_f32 v21, v28, v21, 0x3e4cb8bf
	s_delay_alu instid0(VALU_DEP_2) | instskip(NEXT) | instid1(VALU_DEP_2)
	v_fmaak_f32 v13, v24, v13, 0xbeaaaa62
	v_fmaak_f32 v21, v28, v21, 0xbeaaaa62
	s_delay_alu instid0(VALU_DEP_2) | instskip(SKIP_1) | instid1(VALU_DEP_3)
	v_mul_f32_e32 v13, v24, v13
	v_cndmask_b32_e32 v29, 0x3f490fdb, v20, vcc_lo
	v_mul_f32_e32 v21, v28, v21
	v_cndmask_b32_e64 v28, 0, 0x40490fdb, s1
	v_cmp_class_f32_e64 s1, v4, 0x204
	v_dual_fmac_f32 v22, v22, v13 :: v_dual_fmaak_f32 v25, v23, v26, 0xbd97d4d7
	v_cndmask_b32_e64 v26, 0, 0x40490fdb, s0
	v_cmp_gt_f32_e64 s0, |v1|, |v6|
	v_fmac_f32_e32 v15, v15, v21
	s_delay_alu instid0(VALU_DEP_4) | instskip(NEXT) | instid1(VALU_DEP_3)
	v_fmaak_f32 v25, v23, v25, 0x3dd931b2
	v_cndmask_b32_e64 v2, v2, v27, s0
	s_delay_alu instid0(VALU_DEP_3) | instskip(SKIP_1) | instid1(VALU_DEP_4)
	v_sub_f32_e32 v30, 0x3fc90fdb, v15
	v_cmp_gt_f32_e64 s0, 0, v4
	v_fmaak_f32 v25, v23, v25, 0xbe1160e6
	s_delay_alu instid0(VALU_DEP_2) | instskip(NEXT) | instid1(VALU_DEP_2)
	v_cndmask_b32_e64 v27, 0x3f490fdb, v20, s0
	v_fmaak_f32 v21, v23, v25, 0x3e4cb8bf
	v_sub_f32_e32 v25, 0x40490fdb, v2
	s_delay_alu instid0(VALU_DEP_2) | instskip(NEXT) | instid1(VALU_DEP_2)
	v_fmaak_f32 v21, v23, v21, 0xbeaaaa62
	v_cndmask_b32_e32 v2, v2, v25, vcc_lo
	v_cmp_gt_f32_e64 vcc_lo, |v7|, |v4|
	s_delay_alu instid0(VALU_DEP_3) | instskip(SKIP_2) | instid1(VALU_DEP_3)
	v_mul_f32_e32 v21, v23, v21
	v_cndmask_b32_e32 v15, v15, v30, vcc_lo
	v_cmp_eq_f32_e32 vcc_lo, 0, v1
	v_fmac_f32_e32 v11, v11, v21
	s_delay_alu instid0(VALU_DEP_3) | instskip(SKIP_1) | instid1(VALU_DEP_2)
	v_dual_sub_f32 v23, 0x40490fdb, v15 :: v_dual_cndmask_b32 v2, v2, v26
	s_and_b32 vcc_lo, s7, s10
	v_sub_f32_e32 v13, 0x3fc90fdb, v11
	v_cmp_class_f32_e64 s7, v5, 0x204
	s_delay_alu instid0(VALU_DEP_3) | instskip(SKIP_4) | instid1(VALU_DEP_4)
	v_cndmask_b32_e64 v15, v15, v23, s0
	v_cndmask_b32_e32 v2, v2, v29, vcc_lo
	v_cmp_o_f32_e32 vcc_lo, v6, v1
	v_cmp_gt_i32_e64 s0, 0, v9
	v_cmp_class_f32_e64 s10, v9, 0x204
	v_cndmask_b32_e32 v2, 0x7fc00000, v2, vcc_lo
	v_cmp_eq_f32_e32 vcc_lo, 0, v7
	v_cndmask_b32_e32 v6, v15, v28, vcc_lo
	v_cmp_gt_f32_e64 vcc_lo, |v5|, |v9|
	v_sub_f32_e32 v15, 0x3fc90fdb, v22
	v_cndmask_b32_e32 v11, v11, v13, vcc_lo
	v_cmp_gt_f32_e64 vcc_lo, |v3|, |v0|
	s_delay_alu instid0(VALU_DEP_2) | instskip(NEXT) | instid1(VALU_DEP_4)
	v_sub_f32_e32 v21, 0x40490fdb, v11
	v_cndmask_b32_e32 v13, v22, v15, vcc_lo
	v_cmp_gt_f32_e32 vcc_lo, 0, v9
	v_cndmask_b32_e64 v22, 0, 0x40490fdb, s0
	v_cmp_gt_f32_e64 s0, 0, v0
	s_delay_alu instid0(VALU_DEP_4)
	v_sub_f32_e32 v23, 0x40490fdb, v13
	v_cndmask_b32_e32 v15, 0x3f490fdb, v20, vcc_lo
	v_cndmask_b32_e32 v11, v11, v21, vcc_lo
	v_cmp_gt_i32_e32 vcc_lo, 0, v0
	v_cndmask_b32_e64 v21, 0x3f490fdb, v20, s0
	v_cndmask_b32_e64 v13, v13, v23, s0
	v_cmp_class_f32_e64 s0, v3, 0x204
	v_cndmask_b32_e64 v24, 0, 0x40490fdb, vcc_lo
	v_cmp_eq_f32_e32 vcc_lo, 0, v5
	v_cndmask_b32_e32 v11, v11, v22, vcc_lo
	v_cmp_eq_f32_e32 vcc_lo, 0, v3
	s_delay_alu instid0(VALU_DEP_4)
	v_cndmask_b32_e32 v13, v13, v24, vcc_lo
	s_and_b32 vcc_lo, s11, s1
	v_cndmask_b32_e32 v6, v6, v27, vcc_lo
	s_and_b32 vcc_lo, s7, s10
	;; [unrolled: 2-line block ×3, first 2 shown]
	v_cmp_lt_u64_e64 s0, 0xffff, v[16:17]
	v_cndmask_b32_e32 v13, v13, v21, vcc_lo
	v_cmp_o_f32_e32 vcc_lo, v4, v7
	v_cndmask_b32_e32 v4, 0x7fc00000, v6, vcc_lo
	v_cmp_o_f32_e32 vcc_lo, v9, v5
	;; [unrolled: 2-line block ×3, first 2 shown]
	s_delay_alu instid0(VALU_DEP_4) | instskip(NEXT) | instid1(VALU_DEP_3)
	v_bfi_b32 v11, 0x7fffffff, v4, v7
	v_bfi_b32 v9, 0x7fffffff, v6, v5
	v_cndmask_b32_e32 v0, 0x7fc00000, v13, vcc_lo
	v_cmp_le_i64_e32 vcc_lo, s[8:9], v[16:17]
	v_bfi_b32 v13, 0x7fffffff, v2, v1
	s_delay_alu instid0(VALU_DEP_3)
	v_bfi_b32 v15, 0x7fffffff, v0, v3
	s_clause 0x1
	global_store_b128 v[18:19], v[8:11], off
	global_store_b128 v[18:19], v[12:15], off offset:16
	s_or_b32 s0, vcc_lo, s0
	v_add_co_u32 v16, vcc_lo, v16, s3
	v_add_co_ci_u32_e32 v17, vcc_lo, 0, v17, vcc_lo
	v_add_co_u32 v18, vcc_lo, v18, s4
	v_add_co_ci_u32_e32 v19, vcc_lo, 0, v19, vcc_lo
	s_and_b32 s0, exec_lo, s0
	s_delay_alu instid0(SALU_CYCLE_1) | instskip(NEXT) | instid1(SALU_CYCLE_1)
	s_or_b32 s2, s0, s2
	s_and_not1_b32 exec_lo, exec_lo, s2
	s_cbranch_execz .LBB211_73
.LBB211_50:                             ; =>This Inner Loop Header: Depth=1
	s_clause 0x1
	global_load_b128 v[4:7], v[18:19], off
	global_load_b128 v[0:3], v[18:19], off offset:16
	s_waitcnt vmcnt(1)
	v_max_f32_e64 v8, |v4|, |v4|
	v_max_f32_e64 v11, |v5|, |v5|
	s_delay_alu instid0(VALU_DEP_1) | instskip(NEXT) | instid1(VALU_DEP_1)
	v_max_f32_e32 v10, v8, v11
	v_cvt_f64_f32_e32 v[8:9], v10
	s_delay_alu instid0(VALU_DEP_1) | instskip(NEXT) | instid1(VALU_DEP_1)
	v_frexp_exp_i32_f64_e32 v8, v[8:9]
	v_sub_nc_u32_e32 v9, 0, v8
	s_delay_alu instid0(VALU_DEP_1) | instskip(SKIP_1) | instid1(VALU_DEP_2)
	v_ldexp_f32 v12, |v5|, v9
	v_ldexp_f32 v9, |v4|, v9
	v_mul_f32_e32 v12, v12, v12
	s_delay_alu instid0(VALU_DEP_1) | instskip(NEXT) | instid1(VALU_DEP_1)
	v_fmac_f32_e32 v12, v9, v9
	v_sqrt_f32_e32 v9, v12
	s_waitcnt_depctr 0xfff
	v_ldexp_f32 v8, v9, v8
	v_add_f32_e32 v9, 1.0, v4
	v_cmp_eq_f32_e32 vcc_lo, 0x7f800000, v10
	s_delay_alu instid0(VALU_DEP_3) | instskip(NEXT) | instid1(VALU_DEP_3)
	v_cmp_ngt_f32_e64 s0, 0.5, v8
	v_max_f32_e64 v13, |v9|, v11
                                        ; implicit-def: $vgpr8
	s_delay_alu instid0(VALU_DEP_2) | instskip(NEXT) | instid1(SALU_CYCLE_1)
	s_or_b32 s0, vcc_lo, s0
	s_and_saveexec_b32 s1, s0
	s_delay_alu instid0(SALU_CYCLE_1)
	s_xor_b32 s1, exec_lo, s1
	s_cbranch_execz .LBB211_52
; %bb.51:                               ;   in Loop: Header=BB211_50 Depth=1
	v_cvt_f64_f32_e32 v[14:15], v13
	v_cmp_neq_f32_e32 vcc_lo, 0x7f800000, v13
	s_delay_alu instid0(VALU_DEP_2) | instskip(NEXT) | instid1(VALU_DEP_1)
	v_frexp_exp_i32_f64_e32 v8, v[14:15]
	v_sub_nc_u32_e32 v10, 0, v8
	s_delay_alu instid0(VALU_DEP_1) | instskip(SKIP_1) | instid1(VALU_DEP_2)
	v_ldexp_f32 v12, |v5|, v10
	v_ldexp_f32 v10, |v9|, v10
	v_mul_f32_e32 v12, v12, v12
	s_delay_alu instid0(VALU_DEP_1) | instskip(NEXT) | instid1(VALU_DEP_1)
	v_fmac_f32_e32 v12, v10, v10
	v_sqrt_f32_e32 v10, v12
	s_waitcnt_depctr 0xfff
	v_ldexp_f32 v8, v10, v8
	s_delay_alu instid0(VALU_DEP_1) | instskip(NEXT) | instid1(VALU_DEP_1)
	v_cndmask_b32_e32 v8, 0x7f800000, v8, vcc_lo
	v_cmp_gt_f32_e32 vcc_lo, 0x800000, v8
	v_cndmask_b32_e64 v10, 1.0, 0x4f800000, vcc_lo
	s_delay_alu instid0(VALU_DEP_1) | instskip(NEXT) | instid1(VALU_DEP_1)
	v_mul_f32_e32 v8, v8, v10
	v_log_f32_e32 v8, v8
	s_waitcnt_depctr 0xfff
	v_mul_f32_e32 v10, 0x3f317217, v8
	v_cmp_gt_f32_e64 s0, 0x7f800000, |v8|
	s_delay_alu instid0(VALU_DEP_2) | instskip(NEXT) | instid1(VALU_DEP_1)
	v_fma_f32 v12, 0x3f317217, v8, -v10
	v_fmac_f32_e32 v12, 0x3377d1cf, v8
	s_delay_alu instid0(VALU_DEP_1) | instskip(NEXT) | instid1(VALU_DEP_1)
	v_add_f32_e32 v10, v10, v12
	v_cndmask_b32_e64 v8, v8, v10, s0
	v_cndmask_b32_e64 v10, 0, 0x41b17218, vcc_lo
	s_delay_alu instid0(VALU_DEP_1)
	v_sub_f32_e32 v8, v8, v10
.LBB211_52:                             ;   in Loop: Header=BB211_50 Depth=1
	s_and_not1_saveexec_b32 s0, s1
	s_cbranch_execz .LBB211_56
; %bb.53:                               ;   in Loop: Header=BB211_50 Depth=1
	v_add_f32_e32 v8, 2.0, v4
	s_mov_b32 s1, exec_lo
	s_delay_alu instid0(VALU_DEP_1) | instskip(NEXT) | instid1(VALU_DEP_1)
	v_mul_f32_e32 v8, v4, v8
	v_fmac_f32_e32 v8, v5, v5
	s_delay_alu instid0(VALU_DEP_1)
	v_cmpx_neq_f32_e32 0, v8
	s_cbranch_execz .LBB211_55
; %bb.54:                               ;   in Loop: Header=BB211_50 Depth=1
	v_add_f32_e32 v4, 1.0, v8
	s_delay_alu instid0(VALU_DEP_1) | instskip(SKIP_1) | instid1(VALU_DEP_1)
	v_cvt_f64_f32_e32 v[14:15], v4
	v_frexp_mant_f32_e32 v12, v4
	v_cmp_gt_f32_e32 vcc_lo, 0x3f2aaaab, v12
	v_add_f32_e32 v12, -1.0, v4
	s_delay_alu instid0(VALU_DEP_4) | instskip(NEXT) | instid1(VALU_DEP_2)
	v_frexp_exp_i32_f64_e32 v10, v[14:15]
	v_sub_f32_e32 v15, v12, v4
	s_delay_alu instid0(VALU_DEP_1) | instskip(NEXT) | instid1(VALU_DEP_3)
	v_add_f32_e32 v15, 1.0, v15
	v_subrev_co_ci_u32_e32 v10, vcc_lo, 0, v10, vcc_lo
	v_cmp_eq_f32_e32 vcc_lo, 0x7f800000, v8
	s_delay_alu instid0(VALU_DEP_2) | instskip(SKIP_1) | instid1(VALU_DEP_2)
	v_sub_nc_u32_e32 v14, 0, v10
	v_cvt_f32_i32_e32 v10, v10
	v_ldexp_f32 v4, v4, v14
	s_delay_alu instid0(VALU_DEP_1) | instskip(SKIP_1) | instid1(VALU_DEP_1)
	v_add_f32_e32 v21, 1.0, v4
	v_sub_f32_e32 v12, v8, v12
	v_dual_add_f32 v12, v12, v15 :: v_dual_add_f32 v15, -1.0, v21
	s_delay_alu instid0(VALU_DEP_1) | instskip(NEXT) | instid1(VALU_DEP_2)
	v_ldexp_f32 v12, v12, v14
	v_dual_add_f32 v14, -1.0, v4 :: v_dual_sub_f32 v15, v4, v15
	s_delay_alu instid0(VALU_DEP_1) | instskip(NEXT) | instid1(VALU_DEP_1)
	v_add_f32_e32 v22, 1.0, v14
	v_sub_f32_e32 v4, v4, v22
	s_delay_alu instid0(VALU_DEP_1) | instskip(NEXT) | instid1(VALU_DEP_1)
	v_add_f32_e32 v4, v12, v4
	v_add_f32_e32 v23, v14, v4
	;; [unrolled: 1-line block ×3, first 2 shown]
	s_delay_alu instid0(VALU_DEP_1) | instskip(NEXT) | instid1(VALU_DEP_1)
	v_add_f32_e32 v22, v21, v15
	v_rcp_f32_e32 v12, v22
	s_waitcnt_depctr 0xfff
	v_dual_sub_f32 v21, v22, v21 :: v_dual_mul_f32 v24, v23, v12
	s_delay_alu instid0(VALU_DEP_1) | instskip(NEXT) | instid1(VALU_DEP_2)
	v_sub_f32_e32 v15, v15, v21
	v_mul_f32_e32 v25, v22, v24
	s_delay_alu instid0(VALU_DEP_1) | instskip(NEXT) | instid1(VALU_DEP_1)
	v_fma_f32 v21, v24, v22, -v25
	v_fmac_f32_e32 v21, v24, v15
	s_delay_alu instid0(VALU_DEP_1) | instskip(SKIP_1) | instid1(VALU_DEP_2)
	v_add_f32_e32 v26, v25, v21
	v_sub_f32_e32 v14, v23, v14
	v_sub_f32_e32 v27, v23, v26
	s_delay_alu instid0(VALU_DEP_1) | instskip(NEXT) | instid1(VALU_DEP_1)
	v_dual_sub_f32 v4, v4, v14 :: v_dual_sub_f32 v23, v23, v27
	v_dual_sub_f32 v14, v26, v25 :: v_dual_sub_f32 v23, v23, v26
	s_delay_alu instid0(VALU_DEP_1) | instskip(NEXT) | instid1(VALU_DEP_2)
	v_sub_f32_e32 v14, v14, v21
	v_add_f32_e32 v4, v4, v23
	s_delay_alu instid0(VALU_DEP_1) | instskip(NEXT) | instid1(VALU_DEP_1)
	v_add_f32_e32 v4, v14, v4
	v_add_f32_e32 v14, v27, v4
	s_delay_alu instid0(VALU_DEP_1) | instskip(NEXT) | instid1(VALU_DEP_1)
	v_mul_f32_e32 v21, v12, v14
	v_dual_sub_f32 v26, v27, v14 :: v_dual_mul_f32 v23, v22, v21
	s_delay_alu instid0(VALU_DEP_1) | instskip(NEXT) | instid1(VALU_DEP_2)
	v_add_f32_e32 v4, v4, v26
	v_fma_f32 v22, v21, v22, -v23
	s_delay_alu instid0(VALU_DEP_1) | instskip(NEXT) | instid1(VALU_DEP_1)
	v_fmac_f32_e32 v22, v21, v15
	v_add_f32_e32 v15, v23, v22
	s_delay_alu instid0(VALU_DEP_1) | instskip(NEXT) | instid1(VALU_DEP_1)
	v_sub_f32_e32 v25, v14, v15
	v_dual_sub_f32 v23, v15, v23 :: v_dual_sub_f32 v14, v14, v25
	s_delay_alu instid0(VALU_DEP_1) | instskip(NEXT) | instid1(VALU_DEP_1)
	v_dual_sub_f32 v14, v14, v15 :: v_dual_sub_f32 v15, v23, v22
	v_add_f32_e32 v4, v4, v14
	v_add_f32_e32 v14, v24, v21
	s_delay_alu instid0(VALU_DEP_2) | instskip(NEXT) | instid1(VALU_DEP_2)
	v_add_f32_e32 v4, v15, v4
	v_sub_f32_e32 v15, v14, v24
	s_delay_alu instid0(VALU_DEP_2) | instskip(NEXT) | instid1(VALU_DEP_1)
	v_add_f32_e32 v4, v25, v4
	v_dual_sub_f32 v15, v21, v15 :: v_dual_mul_f32 v4, v12, v4
	s_delay_alu instid0(VALU_DEP_1) | instskip(NEXT) | instid1(VALU_DEP_1)
	v_add_f32_e32 v4, v15, v4
	v_add_f32_e32 v12, v14, v4
	s_delay_alu instid0(VALU_DEP_1) | instskip(NEXT) | instid1(VALU_DEP_1)
	v_mul_f32_e32 v15, v12, v12
	v_fmaak_f32 v21, s5, v15, 0x3ecc95a3
	s_delay_alu instid0(VALU_DEP_1) | instskip(SKIP_1) | instid1(VALU_DEP_2)
	v_dual_mul_f32 v22, v12, v15 :: v_dual_fmaak_f32 v15, v15, v21, 0x3f2aaada
	v_ldexp_f32 v21, v12, 1
	v_dual_mul_f32 v15, v22, v15 :: v_dual_sub_f32 v12, v12, v14
	v_mul_f32_e32 v22, 0x3f317218, v10
	s_delay_alu instid0(VALU_DEP_2) | instskip(NEXT) | instid1(VALU_DEP_3)
	v_add_f32_e32 v14, v21, v15
	v_sub_f32_e32 v4, v4, v12
	s_delay_alu instid0(VALU_DEP_2) | instskip(NEXT) | instid1(VALU_DEP_4)
	v_sub_f32_e32 v12, v14, v21
	v_fma_f32 v21, 0x3f317218, v10, -v22
	s_delay_alu instid0(VALU_DEP_3) | instskip(NEXT) | instid1(VALU_DEP_2)
	v_ldexp_f32 v4, v4, 1
	v_dual_sub_f32 v12, v15, v12 :: v_dual_fmac_f32 v21, 0xb102e308, v10
	s_delay_alu instid0(VALU_DEP_1) | instskip(NEXT) | instid1(VALU_DEP_2)
	v_add_f32_e32 v4, v4, v12
	v_add_f32_e32 v10, v22, v21
	s_delay_alu instid0(VALU_DEP_2) | instskip(NEXT) | instid1(VALU_DEP_2)
	v_add_f32_e32 v12, v14, v4
	v_sub_f32_e32 v22, v10, v22
	s_delay_alu instid0(VALU_DEP_2) | instskip(NEXT) | instid1(VALU_DEP_2)
	v_dual_add_f32 v15, v10, v12 :: v_dual_sub_f32 v14, v12, v14
	v_sub_f32_e32 v21, v21, v22
	s_delay_alu instid0(VALU_DEP_2) | instskip(NEXT) | instid1(VALU_DEP_3)
	v_sub_f32_e32 v23, v15, v10
	v_sub_f32_e32 v4, v4, v14
	s_delay_alu instid0(VALU_DEP_2) | instskip(SKIP_1) | instid1(VALU_DEP_3)
	v_sub_f32_e32 v24, v15, v23
	v_sub_f32_e32 v12, v12, v23
	v_add_f32_e32 v14, v21, v4
	s_delay_alu instid0(VALU_DEP_3) | instskip(NEXT) | instid1(VALU_DEP_1)
	v_sub_f32_e32 v10, v10, v24
	v_add_f32_e32 v10, v12, v10
	s_delay_alu instid0(VALU_DEP_3) | instskip(NEXT) | instid1(VALU_DEP_2)
	v_sub_f32_e32 v12, v14, v21
	v_add_f32_e32 v10, v14, v10
	s_delay_alu instid0(VALU_DEP_2) | instskip(SKIP_1) | instid1(VALU_DEP_3)
	v_sub_f32_e32 v14, v14, v12
	v_sub_f32_e32 v4, v4, v12
	v_add_f32_e32 v22, v15, v10
	s_delay_alu instid0(VALU_DEP_3) | instskip(NEXT) | instid1(VALU_DEP_2)
	v_sub_f32_e32 v14, v21, v14
	v_sub_f32_e32 v12, v22, v15
	s_delay_alu instid0(VALU_DEP_2) | instskip(NEXT) | instid1(VALU_DEP_2)
	v_add_f32_e32 v4, v4, v14
	v_sub_f32_e32 v10, v10, v12
	s_delay_alu instid0(VALU_DEP_1) | instskip(NEXT) | instid1(VALU_DEP_1)
	v_add_f32_e32 v4, v4, v10
	v_add_f32_e32 v4, v22, v4
	s_delay_alu instid0(VALU_DEP_1) | instskip(SKIP_1) | instid1(VALU_DEP_2)
	v_cndmask_b32_e32 v4, v4, v8, vcc_lo
	v_cmp_ngt_f32_e32 vcc_lo, -1.0, v8
	v_cndmask_b32_e32 v4, 0x7fc00000, v4, vcc_lo
	v_cmp_neq_f32_e32 vcc_lo, -1.0, v8
	s_delay_alu instid0(VALU_DEP_2) | instskip(SKIP_1) | instid1(VALU_DEP_2)
	v_cndmask_b32_e32 v4, 0xff800000, v4, vcc_lo
	v_cmp_gt_f32_e64 vcc_lo, 0x33800000, |v8|
	v_cndmask_b32_e32 v4, v4, v8, vcc_lo
	s_delay_alu instid0(VALU_DEP_1)
	v_mul_f32_e32 v4, 0.5, v4
.LBB211_55:                             ;   in Loop: Header=BB211_50 Depth=1
	s_or_b32 exec_lo, exec_lo, s1
	s_delay_alu instid0(VALU_DEP_1)
	v_mov_b32_e32 v8, v4
.LBB211_56:                             ;   in Loop: Header=BB211_50 Depth=1
	s_or_b32 exec_lo, exec_lo, s0
	v_max_f32_e64 v4, |v6|, |v6|
	v_max_f32_e64 v15, |v7|, |v7|
	s_delay_alu instid0(VALU_DEP_1) | instskip(NEXT) | instid1(VALU_DEP_1)
	v_max_f32_e32 v10, v4, v15
	v_cvt_f64_f32_e32 v[21:22], v10
	v_cmp_eq_f32_e32 vcc_lo, 0x7f800000, v10
	s_delay_alu instid0(VALU_DEP_2) | instskip(NEXT) | instid1(VALU_DEP_1)
	v_frexp_exp_i32_f64_e32 v4, v[21:22]
	v_sub_nc_u32_e32 v12, 0, v4
	s_delay_alu instid0(VALU_DEP_1) | instskip(SKIP_1) | instid1(VALU_DEP_2)
	v_ldexp_f32 v14, |v7|, v12
	v_ldexp_f32 v12, |v6|, v12
	v_mul_f32_e32 v14, v14, v14
	s_delay_alu instid0(VALU_DEP_1) | instskip(NEXT) | instid1(VALU_DEP_1)
	v_fmac_f32_e32 v14, v12, v12
	v_sqrt_f32_e32 v12, v14
	s_waitcnt_depctr 0xfff
	v_ldexp_f32 v12, v12, v4
	v_add_f32_e32 v4, 1.0, v6
	s_delay_alu instid0(VALU_DEP_2) | instskip(NEXT) | instid1(VALU_DEP_2)
	v_cmp_ngt_f32_e64 s0, 0.5, v12
	v_max_f32_e64 v21, |v4|, v15
	s_delay_alu instid0(VALU_DEP_2) | instskip(NEXT) | instid1(SALU_CYCLE_1)
	s_or_b32 s0, vcc_lo, s0
	s_and_saveexec_b32 s1, s0
	s_delay_alu instid0(SALU_CYCLE_1)
	s_xor_b32 s1, exec_lo, s1
	s_cbranch_execz .LBB211_58
; %bb.57:                               ;   in Loop: Header=BB211_50 Depth=1
	v_cvt_f64_f32_e32 v[22:23], v21
	v_cmp_neq_f32_e32 vcc_lo, 0x7f800000, v21
	s_delay_alu instid0(VALU_DEP_2) | instskip(NEXT) | instid1(VALU_DEP_1)
	v_frexp_exp_i32_f64_e32 v10, v[22:23]
	v_sub_nc_u32_e32 v12, 0, v10
	s_delay_alu instid0(VALU_DEP_1) | instskip(SKIP_1) | instid1(VALU_DEP_2)
	v_ldexp_f32 v14, |v7|, v12
	v_ldexp_f32 v12, |v4|, v12
	v_mul_f32_e32 v14, v14, v14
	s_delay_alu instid0(VALU_DEP_1) | instskip(NEXT) | instid1(VALU_DEP_1)
	v_fmac_f32_e32 v14, v12, v12
	v_sqrt_f32_e32 v12, v14
	s_waitcnt_depctr 0xfff
	v_ldexp_f32 v10, v12, v10
	s_delay_alu instid0(VALU_DEP_1) | instskip(NEXT) | instid1(VALU_DEP_1)
	v_cndmask_b32_e32 v10, 0x7f800000, v10, vcc_lo
	v_cmp_gt_f32_e32 vcc_lo, 0x800000, v10
	v_cndmask_b32_e64 v12, 1.0, 0x4f800000, vcc_lo
	s_delay_alu instid0(VALU_DEP_1) | instskip(NEXT) | instid1(VALU_DEP_1)
	v_mul_f32_e32 v10, v10, v12
	v_log_f32_e32 v10, v10
	s_waitcnt_depctr 0xfff
	v_mul_f32_e32 v12, 0x3f317217, v10
	v_cmp_gt_f32_e64 s0, 0x7f800000, |v10|
	s_delay_alu instid0(VALU_DEP_2) | instskip(NEXT) | instid1(VALU_DEP_1)
	v_fma_f32 v14, 0x3f317217, v10, -v12
	v_fmac_f32_e32 v14, 0x3377d1cf, v10
	s_delay_alu instid0(VALU_DEP_1) | instskip(NEXT) | instid1(VALU_DEP_1)
	v_add_f32_e32 v12, v12, v14
	v_cndmask_b32_e64 v10, v10, v12, s0
	v_cndmask_b32_e64 v12, 0, 0x41b17218, vcc_lo
	s_delay_alu instid0(VALU_DEP_1)
	v_sub_f32_e32 v10, v10, v12
.LBB211_58:                             ;   in Loop: Header=BB211_50 Depth=1
	s_and_not1_saveexec_b32 s0, s1
	s_cbranch_execz .LBB211_62
; %bb.59:                               ;   in Loop: Header=BB211_50 Depth=1
	v_add_f32_e32 v10, 2.0, v6
	s_mov_b32 s1, exec_lo
	s_delay_alu instid0(VALU_DEP_1) | instskip(NEXT) | instid1(VALU_DEP_1)
	v_mul_f32_e32 v10, v6, v10
	v_fmac_f32_e32 v10, v7, v7
	s_delay_alu instid0(VALU_DEP_1)
	v_cmpx_neq_f32_e32 0, v10
	s_cbranch_execz .LBB211_61
; %bb.60:                               ;   in Loop: Header=BB211_50 Depth=1
	v_add_f32_e32 v6, 1.0, v10
	s_delay_alu instid0(VALU_DEP_1) | instskip(SKIP_1) | instid1(VALU_DEP_1)
	v_cvt_f64_f32_e32 v[22:23], v6
	v_frexp_mant_f32_e32 v14, v6
	v_cmp_gt_f32_e32 vcc_lo, 0x3f2aaaab, v14
	v_add_f32_e32 v14, -1.0, v6
	s_delay_alu instid0(VALU_DEP_4) | instskip(NEXT) | instid1(VALU_DEP_2)
	v_frexp_exp_i32_f64_e32 v12, v[22:23]
	v_sub_f32_e32 v23, v14, v6
	s_delay_alu instid0(VALU_DEP_1) | instskip(NEXT) | instid1(VALU_DEP_3)
	v_add_f32_e32 v23, 1.0, v23
	v_subrev_co_ci_u32_e32 v12, vcc_lo, 0, v12, vcc_lo
	v_cmp_eq_f32_e32 vcc_lo, 0x7f800000, v10
	s_delay_alu instid0(VALU_DEP_2) | instskip(SKIP_1) | instid1(VALU_DEP_2)
	v_sub_nc_u32_e32 v22, 0, v12
	v_cvt_f32_i32_e32 v12, v12
	v_ldexp_f32 v6, v6, v22
	s_delay_alu instid0(VALU_DEP_1) | instskip(SKIP_1) | instid1(VALU_DEP_1)
	v_add_f32_e32 v24, 1.0, v6
	v_sub_f32_e32 v14, v10, v14
	v_dual_add_f32 v14, v14, v23 :: v_dual_add_f32 v23, -1.0, v24
	s_delay_alu instid0(VALU_DEP_1) | instskip(NEXT) | instid1(VALU_DEP_2)
	v_ldexp_f32 v14, v14, v22
	v_dual_sub_f32 v23, v6, v23 :: v_dual_add_f32 v22, -1.0, v6
	s_delay_alu instid0(VALU_DEP_1) | instskip(NEXT) | instid1(VALU_DEP_2)
	v_add_f32_e32 v23, v14, v23
	v_add_f32_e32 v25, 1.0, v22
	s_delay_alu instid0(VALU_DEP_1) | instskip(NEXT) | instid1(VALU_DEP_1)
	v_dual_sub_f32 v6, v6, v25 :: v_dual_add_f32 v25, v24, v23
	v_sub_f32_e32 v24, v25, v24
	s_delay_alu instid0(VALU_DEP_1) | instskip(SKIP_1) | instid1(VALU_DEP_1)
	v_dual_sub_f32 v23, v23, v24 :: v_dual_add_f32 v6, v14, v6
	v_rcp_f32_e32 v14, v25
	v_add_f32_e32 v26, v22, v6
	s_delay_alu instid0(VALU_DEP_1) | instskip(SKIP_2) | instid1(VALU_DEP_1)
	v_sub_f32_e32 v22, v26, v22
	s_waitcnt_depctr 0xfff
	v_mul_f32_e32 v27, v26, v14
	v_mul_f32_e32 v28, v25, v27
	s_delay_alu instid0(VALU_DEP_1) | instskip(NEXT) | instid1(VALU_DEP_1)
	v_fma_f32 v24, v27, v25, -v28
	v_fmac_f32_e32 v24, v27, v23
	s_delay_alu instid0(VALU_DEP_1) | instskip(NEXT) | instid1(VALU_DEP_1)
	v_dual_add_f32 v29, v28, v24 :: v_dual_sub_f32 v6, v6, v22
	v_sub_f32_e32 v30, v26, v29
	v_sub_f32_e32 v22, v29, v28
	s_delay_alu instid0(VALU_DEP_2) | instskip(NEXT) | instid1(VALU_DEP_2)
	v_sub_f32_e32 v26, v26, v30
	v_sub_f32_e32 v22, v22, v24
	s_delay_alu instid0(VALU_DEP_2) | instskip(NEXT) | instid1(VALU_DEP_1)
	v_sub_f32_e32 v26, v26, v29
	v_add_f32_e32 v6, v6, v26
	s_delay_alu instid0(VALU_DEP_1) | instskip(NEXT) | instid1(VALU_DEP_1)
	v_add_f32_e32 v6, v22, v6
	v_add_f32_e32 v22, v30, v6
	s_delay_alu instid0(VALU_DEP_1) | instskip(NEXT) | instid1(VALU_DEP_1)
	v_mul_f32_e32 v24, v14, v22
	v_dual_sub_f32 v29, v30, v22 :: v_dual_mul_f32 v26, v25, v24
	s_delay_alu instid0(VALU_DEP_1) | instskip(NEXT) | instid1(VALU_DEP_2)
	v_add_f32_e32 v6, v6, v29
	v_fma_f32 v25, v24, v25, -v26
	s_delay_alu instid0(VALU_DEP_1) | instskip(NEXT) | instid1(VALU_DEP_1)
	v_fmac_f32_e32 v25, v24, v23
	v_add_f32_e32 v23, v26, v25
	s_delay_alu instid0(VALU_DEP_1) | instskip(SKIP_1) | instid1(VALU_DEP_2)
	v_sub_f32_e32 v28, v22, v23
	v_sub_f32_e32 v26, v23, v26
	;; [unrolled: 1-line block ×3, first 2 shown]
	s_delay_alu instid0(VALU_DEP_1) | instskip(NEXT) | instid1(VALU_DEP_3)
	v_sub_f32_e32 v22, v22, v23
	v_sub_f32_e32 v23, v26, v25
	s_delay_alu instid0(VALU_DEP_2) | instskip(SKIP_1) | instid1(VALU_DEP_1)
	v_add_f32_e32 v6, v6, v22
	v_add_f32_e32 v22, v27, v24
	v_dual_add_f32 v6, v23, v6 :: v_dual_sub_f32 v23, v22, v27
	s_delay_alu instid0(VALU_DEP_1) | instskip(NEXT) | instid1(VALU_DEP_1)
	v_add_f32_e32 v6, v28, v6
	v_dual_sub_f32 v23, v24, v23 :: v_dual_mul_f32 v6, v14, v6
	s_delay_alu instid0(VALU_DEP_1) | instskip(NEXT) | instid1(VALU_DEP_1)
	v_add_f32_e32 v6, v23, v6
	v_add_f32_e32 v14, v22, v6
	s_delay_alu instid0(VALU_DEP_1) | instskip(NEXT) | instid1(VALU_DEP_1)
	v_mul_f32_e32 v23, v14, v14
	v_fmaak_f32 v24, s5, v23, 0x3ecc95a3
	v_mul_f32_e32 v25, v14, v23
	s_delay_alu instid0(VALU_DEP_2) | instskip(SKIP_1) | instid1(VALU_DEP_2)
	v_fmaak_f32 v23, v23, v24, 0x3f2aaada
	v_ldexp_f32 v24, v14, 1
	v_dual_sub_f32 v14, v14, v22 :: v_dual_mul_f32 v23, v25, v23
	s_delay_alu instid0(VALU_DEP_1) | instskip(NEXT) | instid1(VALU_DEP_2)
	v_dual_mul_f32 v25, 0x3f317218, v12 :: v_dual_sub_f32 v6, v6, v14
	v_add_f32_e32 v22, v24, v23
	s_delay_alu instid0(VALU_DEP_2) | instskip(NEXT) | instid1(VALU_DEP_2)
	v_ldexp_f32 v6, v6, 1
	v_sub_f32_e32 v14, v22, v24
	s_delay_alu instid0(VALU_DEP_4) | instskip(NEXT) | instid1(VALU_DEP_2)
	v_fma_f32 v24, 0x3f317218, v12, -v25
	v_sub_f32_e32 v14, v23, v14
	s_delay_alu instid0(VALU_DEP_2) | instskip(NEXT) | instid1(VALU_DEP_2)
	v_fmac_f32_e32 v24, 0xb102e308, v12
	v_add_f32_e32 v6, v6, v14
	s_delay_alu instid0(VALU_DEP_2) | instskip(NEXT) | instid1(VALU_DEP_1)
	v_add_f32_e32 v12, v25, v24
	v_dual_add_f32 v14, v22, v6 :: v_dual_sub_f32 v25, v12, v25
	s_delay_alu instid0(VALU_DEP_1) | instskip(SKIP_1) | instid1(VALU_DEP_3)
	v_add_f32_e32 v23, v12, v14
	v_sub_f32_e32 v22, v14, v22
	v_sub_f32_e32 v24, v24, v25
	s_delay_alu instid0(VALU_DEP_3) | instskip(NEXT) | instid1(VALU_DEP_3)
	v_sub_f32_e32 v26, v23, v12
	v_sub_f32_e32 v6, v6, v22
	s_delay_alu instid0(VALU_DEP_2) | instskip(SKIP_1) | instid1(VALU_DEP_3)
	v_sub_f32_e32 v27, v23, v26
	v_sub_f32_e32 v14, v14, v26
	v_add_f32_e32 v22, v24, v6
	s_delay_alu instid0(VALU_DEP_3) | instskip(NEXT) | instid1(VALU_DEP_1)
	v_sub_f32_e32 v12, v12, v27
	v_add_f32_e32 v12, v14, v12
	s_delay_alu instid0(VALU_DEP_3) | instskip(NEXT) | instid1(VALU_DEP_2)
	v_sub_f32_e32 v14, v22, v24
	v_add_f32_e32 v12, v22, v12
	s_delay_alu instid0(VALU_DEP_2) | instskip(NEXT) | instid1(VALU_DEP_2)
	v_sub_f32_e32 v22, v22, v14
	v_dual_sub_f32 v6, v6, v14 :: v_dual_add_f32 v25, v23, v12
	s_delay_alu instid0(VALU_DEP_2) | instskip(NEXT) | instid1(VALU_DEP_2)
	v_sub_f32_e32 v22, v24, v22
	v_sub_f32_e32 v14, v25, v23
	s_delay_alu instid0(VALU_DEP_2) | instskip(NEXT) | instid1(VALU_DEP_2)
	v_add_f32_e32 v6, v6, v22
	v_sub_f32_e32 v12, v12, v14
	s_delay_alu instid0(VALU_DEP_1) | instskip(NEXT) | instid1(VALU_DEP_1)
	v_add_f32_e32 v6, v6, v12
	v_add_f32_e32 v6, v25, v6
	s_delay_alu instid0(VALU_DEP_1) | instskip(SKIP_1) | instid1(VALU_DEP_2)
	v_cndmask_b32_e32 v6, v6, v10, vcc_lo
	v_cmp_ngt_f32_e32 vcc_lo, -1.0, v10
	v_cndmask_b32_e32 v6, 0x7fc00000, v6, vcc_lo
	v_cmp_neq_f32_e32 vcc_lo, -1.0, v10
	s_delay_alu instid0(VALU_DEP_2) | instskip(SKIP_1) | instid1(VALU_DEP_2)
	v_cndmask_b32_e32 v6, 0xff800000, v6, vcc_lo
	v_cmp_gt_f32_e64 vcc_lo, 0x33800000, |v10|
	v_cndmask_b32_e32 v6, v6, v10, vcc_lo
	s_delay_alu instid0(VALU_DEP_1)
	v_mul_f32_e32 v6, 0.5, v6
.LBB211_61:                             ;   in Loop: Header=BB211_50 Depth=1
	s_or_b32 exec_lo, exec_lo, s1
	s_delay_alu instid0(VALU_DEP_1)
	v_mov_b32_e32 v10, v6
.LBB211_62:                             ;   in Loop: Header=BB211_50 Depth=1
	s_or_b32 exec_lo, exec_lo, s0
	s_waitcnt vmcnt(0)
	v_max_f32_e64 v6, |v0|, |v0|
	v_max_f32_e64 v22, |v1|, |v1|
	s_delay_alu instid0(VALU_DEP_1) | instskip(NEXT) | instid1(VALU_DEP_1)
	v_max_f32_e32 v12, v6, v22
	v_cvt_f64_f32_e32 v[23:24], v12
	s_delay_alu instid0(VALU_DEP_1) | instskip(NEXT) | instid1(VALU_DEP_1)
	v_frexp_exp_i32_f64_e32 v6, v[23:24]
	v_sub_nc_u32_e32 v14, 0, v6
	s_delay_alu instid0(VALU_DEP_1) | instskip(SKIP_1) | instid1(VALU_DEP_2)
	v_ldexp_f32 v23, |v1|, v14
	v_ldexp_f32 v14, |v0|, v14
	v_mul_f32_e32 v23, v23, v23
	v_cmp_eq_f32_e32 vcc_lo, 0x7f800000, v12
                                        ; implicit-def: $vgpr12
	s_delay_alu instid0(VALU_DEP_2) | instskip(NEXT) | instid1(VALU_DEP_1)
	v_fmac_f32_e32 v23, v14, v14
	v_sqrt_f32_e32 v14, v23
	s_waitcnt_depctr 0xfff
	v_ldexp_f32 v14, v14, v6
	v_add_f32_e32 v6, 1.0, v0
	s_delay_alu instid0(VALU_DEP_2) | instskip(NEXT) | instid1(VALU_DEP_2)
	v_cmp_ngt_f32_e64 s0, 0.5, v14
	v_max_f32_e64 v23, |v6|, v22
	s_delay_alu instid0(VALU_DEP_2) | instskip(NEXT) | instid1(SALU_CYCLE_1)
	s_or_b32 s0, vcc_lo, s0
	s_and_saveexec_b32 s1, s0
	s_delay_alu instid0(SALU_CYCLE_1)
	s_xor_b32 s1, exec_lo, s1
	s_cbranch_execz .LBB211_64
; %bb.63:                               ;   in Loop: Header=BB211_50 Depth=1
	v_cvt_f64_f32_e32 v[24:25], v23
	v_cmp_neq_f32_e32 vcc_lo, 0x7f800000, v23
	s_delay_alu instid0(VALU_DEP_2) | instskip(NEXT) | instid1(VALU_DEP_1)
	v_frexp_exp_i32_f64_e32 v12, v[24:25]
	v_sub_nc_u32_e32 v14, 0, v12
	s_delay_alu instid0(VALU_DEP_1) | instskip(SKIP_1) | instid1(VALU_DEP_2)
	v_ldexp_f32 v24, |v1|, v14
	v_ldexp_f32 v14, |v6|, v14
	v_mul_f32_e32 v24, v24, v24
	s_delay_alu instid0(VALU_DEP_1) | instskip(NEXT) | instid1(VALU_DEP_1)
	v_fmac_f32_e32 v24, v14, v14
	v_sqrt_f32_e32 v14, v24
	s_waitcnt_depctr 0xfff
	v_ldexp_f32 v12, v14, v12
	s_delay_alu instid0(VALU_DEP_1) | instskip(NEXT) | instid1(VALU_DEP_1)
	v_cndmask_b32_e32 v12, 0x7f800000, v12, vcc_lo
	v_cmp_gt_f32_e32 vcc_lo, 0x800000, v12
	v_cndmask_b32_e64 v14, 1.0, 0x4f800000, vcc_lo
	s_delay_alu instid0(VALU_DEP_1) | instskip(NEXT) | instid1(VALU_DEP_1)
	v_mul_f32_e32 v12, v12, v14
	v_log_f32_e32 v12, v12
	s_waitcnt_depctr 0xfff
	v_mul_f32_e32 v14, 0x3f317217, v12
	v_cmp_gt_f32_e64 s0, 0x7f800000, |v12|
	s_delay_alu instid0(VALU_DEP_2) | instskip(NEXT) | instid1(VALU_DEP_1)
	v_fma_f32 v24, 0x3f317217, v12, -v14
	v_fmac_f32_e32 v24, 0x3377d1cf, v12
	s_delay_alu instid0(VALU_DEP_1) | instskip(NEXT) | instid1(VALU_DEP_1)
	v_add_f32_e32 v14, v14, v24
	v_cndmask_b32_e64 v12, v12, v14, s0
	v_cndmask_b32_e64 v14, 0, 0x41b17218, vcc_lo
	s_delay_alu instid0(VALU_DEP_1)
	v_sub_f32_e32 v12, v12, v14
.LBB211_64:                             ;   in Loop: Header=BB211_50 Depth=1
	s_and_not1_saveexec_b32 s0, s1
	s_cbranch_execz .LBB211_68
; %bb.65:                               ;   in Loop: Header=BB211_50 Depth=1
	v_add_f32_e32 v12, 2.0, v0
	s_mov_b32 s1, exec_lo
	s_delay_alu instid0(VALU_DEP_1) | instskip(NEXT) | instid1(VALU_DEP_1)
	v_mul_f32_e32 v12, v0, v12
	v_fmac_f32_e32 v12, v1, v1
	s_delay_alu instid0(VALU_DEP_1)
	v_cmpx_neq_f32_e32 0, v12
	s_cbranch_execz .LBB211_67
; %bb.66:                               ;   in Loop: Header=BB211_50 Depth=1
	v_add_f32_e32 v0, 1.0, v12
	s_delay_alu instid0(VALU_DEP_1) | instskip(NEXT) | instid1(VALU_DEP_1)
	v_cvt_f64_f32_e32 v[24:25], v0
	v_frexp_exp_i32_f64_e32 v14, v[24:25]
	v_frexp_mant_f32_e32 v24, v0
	s_delay_alu instid0(VALU_DEP_1) | instskip(SKIP_1) | instid1(VALU_DEP_1)
	v_cmp_gt_f32_e32 vcc_lo, 0x3f2aaaab, v24
	v_add_f32_e32 v24, -1.0, v0
	v_sub_f32_e32 v26, v24, v0
	v_sub_f32_e32 v24, v12, v24
	v_subrev_co_ci_u32_e32 v14, vcc_lo, 0, v14, vcc_lo
	v_cmp_eq_f32_e32 vcc_lo, 0x7f800000, v12
	s_delay_alu instid0(VALU_DEP_2) | instskip(SKIP_1) | instid1(VALU_DEP_2)
	v_sub_nc_u32_e32 v25, 0, v14
	v_cvt_f32_i32_e32 v14, v14
	v_ldexp_f32 v0, v0, v25
	s_delay_alu instid0(VALU_DEP_1) | instskip(NEXT) | instid1(VALU_DEP_1)
	v_dual_add_f32 v26, 1.0, v26 :: v_dual_add_f32 v27, 1.0, v0
	v_add_f32_e32 v24, v24, v26
	s_delay_alu instid0(VALU_DEP_1) | instskip(NEXT) | instid1(VALU_DEP_3)
	v_ldexp_f32 v24, v24, v25
	v_dual_add_f32 v25, -1.0, v0 :: v_dual_add_f32 v26, -1.0, v27
	s_delay_alu instid0(VALU_DEP_1) | instskip(NEXT) | instid1(VALU_DEP_2)
	v_add_f32_e32 v28, 1.0, v25
	v_sub_f32_e32 v26, v0, v26
	s_delay_alu instid0(VALU_DEP_2) | instskip(NEXT) | instid1(VALU_DEP_1)
	v_sub_f32_e32 v0, v0, v28
	v_add_f32_e32 v0, v24, v0
	s_delay_alu instid0(VALU_DEP_1) | instskip(NEXT) | instid1(VALU_DEP_1)
	v_dual_add_f32 v29, v25, v0 :: v_dual_add_f32 v26, v24, v26
	v_dual_sub_f32 v25, v29, v25 :: v_dual_add_f32 v28, v27, v26
	s_delay_alu instid0(VALU_DEP_1) | instskip(NEXT) | instid1(VALU_DEP_2)
	v_sub_f32_e32 v0, v0, v25
	v_rcp_f32_e32 v24, v28
	v_sub_f32_e32 v27, v28, v27
	s_delay_alu instid0(VALU_DEP_1) | instskip(SKIP_2) | instid1(VALU_DEP_1)
	v_sub_f32_e32 v26, v26, v27
	s_waitcnt_depctr 0xfff
	v_mul_f32_e32 v30, v29, v24
	v_mul_f32_e32 v31, v28, v30
	s_delay_alu instid0(VALU_DEP_1) | instskip(NEXT) | instid1(VALU_DEP_1)
	v_fma_f32 v27, v30, v28, -v31
	v_fmac_f32_e32 v27, v30, v26
	s_delay_alu instid0(VALU_DEP_1) | instskip(NEXT) | instid1(VALU_DEP_1)
	v_add_f32_e32 v32, v31, v27
	v_sub_f32_e32 v33, v29, v32
	v_sub_f32_e32 v25, v32, v31
	s_delay_alu instid0(VALU_DEP_2) | instskip(NEXT) | instid1(VALU_DEP_2)
	v_sub_f32_e32 v29, v29, v33
	v_sub_f32_e32 v25, v25, v27
	s_delay_alu instid0(VALU_DEP_2) | instskip(NEXT) | instid1(VALU_DEP_1)
	v_sub_f32_e32 v29, v29, v32
	v_add_f32_e32 v0, v0, v29
	s_delay_alu instid0(VALU_DEP_1) | instskip(NEXT) | instid1(VALU_DEP_1)
	v_add_f32_e32 v0, v25, v0
	v_add_f32_e32 v25, v33, v0
	s_delay_alu instid0(VALU_DEP_1) | instskip(NEXT) | instid1(VALU_DEP_1)
	v_mul_f32_e32 v27, v24, v25
	v_dual_sub_f32 v32, v33, v25 :: v_dual_mul_f32 v29, v28, v27
	s_delay_alu instid0(VALU_DEP_1) | instskip(NEXT) | instid1(VALU_DEP_2)
	v_add_f32_e32 v0, v0, v32
	v_fma_f32 v28, v27, v28, -v29
	s_delay_alu instid0(VALU_DEP_1) | instskip(NEXT) | instid1(VALU_DEP_1)
	v_fmac_f32_e32 v28, v27, v26
	v_add_f32_e32 v26, v29, v28
	s_delay_alu instid0(VALU_DEP_1) | instskip(SKIP_1) | instid1(VALU_DEP_2)
	v_sub_f32_e32 v31, v25, v26
	v_sub_f32_e32 v29, v26, v29
	;; [unrolled: 1-line block ×3, first 2 shown]
	s_delay_alu instid0(VALU_DEP_1) | instskip(NEXT) | instid1(VALU_DEP_1)
	v_sub_f32_e32 v25, v25, v26
	v_dual_add_f32 v0, v0, v25 :: v_dual_add_f32 v25, v30, v27
	s_delay_alu instid0(VALU_DEP_4) | instskip(NEXT) | instid1(VALU_DEP_1)
	v_sub_f32_e32 v26, v29, v28
	v_add_f32_e32 v0, v26, v0
	s_delay_alu instid0(VALU_DEP_3) | instskip(NEXT) | instid1(VALU_DEP_2)
	v_sub_f32_e32 v26, v25, v30
	v_add_f32_e32 v0, v31, v0
	s_delay_alu instid0(VALU_DEP_2) | instskip(NEXT) | instid1(VALU_DEP_2)
	v_sub_f32_e32 v26, v27, v26
	v_mul_f32_e32 v0, v24, v0
	s_delay_alu instid0(VALU_DEP_1) | instskip(NEXT) | instid1(VALU_DEP_1)
	v_add_f32_e32 v0, v26, v0
	v_add_f32_e32 v24, v25, v0
	s_delay_alu instid0(VALU_DEP_1) | instskip(NEXT) | instid1(VALU_DEP_1)
	v_mul_f32_e32 v26, v24, v24
	v_fmaak_f32 v27, s5, v26, 0x3ecc95a3
	v_mul_f32_e32 v28, v24, v26
	s_delay_alu instid0(VALU_DEP_2) | instskip(SKIP_2) | instid1(VALU_DEP_3)
	v_fmaak_f32 v26, v26, v27, 0x3f2aaada
	v_ldexp_f32 v27, v24, 1
	v_sub_f32_e32 v24, v24, v25
	v_mul_f32_e32 v26, v28, v26
	v_mul_f32_e32 v28, 0x3f317218, v14
	s_delay_alu instid0(VALU_DEP_2) | instskip(NEXT) | instid1(VALU_DEP_1)
	v_dual_sub_f32 v0, v0, v24 :: v_dual_add_f32 v25, v27, v26
	v_ldexp_f32 v0, v0, 1
	s_delay_alu instid0(VALU_DEP_2) | instskip(NEXT) | instid1(VALU_DEP_4)
	v_sub_f32_e32 v24, v25, v27
	v_fma_f32 v27, 0x3f317218, v14, -v28
	s_delay_alu instid0(VALU_DEP_1) | instskip(NEXT) | instid1(VALU_DEP_1)
	v_dual_sub_f32 v24, v26, v24 :: v_dual_fmac_f32 v27, 0xb102e308, v14
	v_add_f32_e32 v0, v0, v24
	s_delay_alu instid0(VALU_DEP_2) | instskip(NEXT) | instid1(VALU_DEP_2)
	v_add_f32_e32 v14, v28, v27
	v_add_f32_e32 v24, v25, v0
	s_delay_alu instid0(VALU_DEP_2) | instskip(NEXT) | instid1(VALU_DEP_2)
	v_sub_f32_e32 v28, v14, v28
	v_dual_add_f32 v26, v14, v24 :: v_dual_sub_f32 v25, v24, v25
	s_delay_alu instid0(VALU_DEP_2) | instskip(NEXT) | instid1(VALU_DEP_2)
	v_sub_f32_e32 v27, v27, v28
	v_dual_sub_f32 v29, v26, v14 :: v_dual_sub_f32 v0, v0, v25
	s_delay_alu instid0(VALU_DEP_1) | instskip(SKIP_1) | instid1(VALU_DEP_2)
	v_dual_sub_f32 v30, v26, v29 :: v_dual_add_f32 v25, v27, v0
	v_sub_f32_e32 v24, v24, v29
	v_sub_f32_e32 v14, v14, v30
	s_delay_alu instid0(VALU_DEP_1) | instskip(NEXT) | instid1(VALU_DEP_4)
	v_add_f32_e32 v14, v24, v14
	v_sub_f32_e32 v24, v25, v27
	s_delay_alu instid0(VALU_DEP_2) | instskip(NEXT) | instid1(VALU_DEP_2)
	v_add_f32_e32 v14, v25, v14
	v_sub_f32_e32 v25, v25, v24
	v_sub_f32_e32 v0, v0, v24
	s_delay_alu instid0(VALU_DEP_2) | instskip(NEXT) | instid1(VALU_DEP_1)
	v_dual_add_f32 v28, v26, v14 :: v_dual_sub_f32 v25, v27, v25
	v_sub_f32_e32 v24, v28, v26
	s_delay_alu instid0(VALU_DEP_2) | instskip(NEXT) | instid1(VALU_DEP_2)
	v_add_f32_e32 v0, v0, v25
	v_sub_f32_e32 v14, v14, v24
	s_delay_alu instid0(VALU_DEP_1) | instskip(NEXT) | instid1(VALU_DEP_1)
	v_add_f32_e32 v0, v0, v14
	v_add_f32_e32 v0, v28, v0
	s_delay_alu instid0(VALU_DEP_1) | instskip(SKIP_1) | instid1(VALU_DEP_2)
	v_cndmask_b32_e32 v0, v0, v12, vcc_lo
	v_cmp_ngt_f32_e32 vcc_lo, -1.0, v12
	v_cndmask_b32_e32 v0, 0x7fc00000, v0, vcc_lo
	v_cmp_neq_f32_e32 vcc_lo, -1.0, v12
	s_delay_alu instid0(VALU_DEP_2) | instskip(SKIP_1) | instid1(VALU_DEP_2)
	v_cndmask_b32_e32 v0, 0xff800000, v0, vcc_lo
	v_cmp_gt_f32_e64 vcc_lo, 0x33800000, |v12|
	v_cndmask_b32_e32 v0, v0, v12, vcc_lo
	s_delay_alu instid0(VALU_DEP_1)
	v_mul_f32_e32 v0, 0.5, v0
.LBB211_67:                             ;   in Loop: Header=BB211_50 Depth=1
	s_or_b32 exec_lo, exec_lo, s1
	s_delay_alu instid0(VALU_DEP_1)
	v_mov_b32_e32 v12, v0
.LBB211_68:                             ;   in Loop: Header=BB211_50 Depth=1
	s_or_b32 exec_lo, exec_lo, s0
	v_max_f32_e64 v0, |v2|, |v2|
	v_max_f32_e64 v24, |v3|, |v3|
	s_delay_alu instid0(VALU_DEP_1) | instskip(NEXT) | instid1(VALU_DEP_1)
	v_max_f32_e32 v14, v0, v24
	v_cvt_f64_f32_e32 v[25:26], v14
	v_cmp_eq_f32_e32 vcc_lo, 0x7f800000, v14
	s_delay_alu instid0(VALU_DEP_2) | instskip(NEXT) | instid1(VALU_DEP_1)
	v_frexp_exp_i32_f64_e32 v0, v[25:26]
	v_sub_nc_u32_e32 v25, 0, v0
	s_delay_alu instid0(VALU_DEP_1) | instskip(SKIP_1) | instid1(VALU_DEP_2)
	v_ldexp_f32 v26, |v3|, v25
	v_ldexp_f32 v25, |v2|, v25
	v_mul_f32_e32 v26, v26, v26
	s_delay_alu instid0(VALU_DEP_1) | instskip(NEXT) | instid1(VALU_DEP_1)
	v_fmac_f32_e32 v26, v25, v25
	v_sqrt_f32_e32 v25, v26
	s_waitcnt_depctr 0xfff
	v_ldexp_f32 v25, v25, v0
	v_add_f32_e32 v0, 1.0, v2
	s_delay_alu instid0(VALU_DEP_2) | instskip(NEXT) | instid1(VALU_DEP_2)
	v_cmp_ngt_f32_e64 s0, 0.5, v25
	v_max_f32_e64 v25, |v0|, v24
	s_delay_alu instid0(VALU_DEP_2) | instskip(NEXT) | instid1(SALU_CYCLE_1)
	s_or_b32 s0, vcc_lo, s0
	s_and_saveexec_b32 s1, s0
	s_delay_alu instid0(SALU_CYCLE_1)
	s_xor_b32 s1, exec_lo, s1
	s_cbranch_execz .LBB211_70
; %bb.69:                               ;   in Loop: Header=BB211_50 Depth=1
	v_cvt_f64_f32_e32 v[26:27], v25
	v_cmp_neq_f32_e32 vcc_lo, 0x7f800000, v25
	s_delay_alu instid0(VALU_DEP_2) | instskip(NEXT) | instid1(VALU_DEP_1)
	v_frexp_exp_i32_f64_e32 v14, v[26:27]
	v_sub_nc_u32_e32 v26, 0, v14
	s_delay_alu instid0(VALU_DEP_1) | instskip(SKIP_1) | instid1(VALU_DEP_2)
	v_ldexp_f32 v27, |v3|, v26
	v_ldexp_f32 v26, |v0|, v26
	v_mul_f32_e32 v27, v27, v27
	s_delay_alu instid0(VALU_DEP_1) | instskip(NEXT) | instid1(VALU_DEP_1)
	v_fmac_f32_e32 v27, v26, v26
	v_sqrt_f32_e32 v26, v27
	s_waitcnt_depctr 0xfff
	v_ldexp_f32 v14, v26, v14
	s_delay_alu instid0(VALU_DEP_1) | instskip(NEXT) | instid1(VALU_DEP_1)
	v_cndmask_b32_e32 v14, 0x7f800000, v14, vcc_lo
	v_cmp_gt_f32_e32 vcc_lo, 0x800000, v14
	v_cndmask_b32_e64 v26, 1.0, 0x4f800000, vcc_lo
	s_delay_alu instid0(VALU_DEP_1) | instskip(NEXT) | instid1(VALU_DEP_1)
	v_mul_f32_e32 v14, v14, v26
	v_log_f32_e32 v14, v14
	s_waitcnt_depctr 0xfff
	v_mul_f32_e32 v26, 0x3f317217, v14
	v_cmp_gt_f32_e64 s0, 0x7f800000, |v14|
	s_delay_alu instid0(VALU_DEP_2) | instskip(NEXT) | instid1(VALU_DEP_1)
	v_fma_f32 v27, 0x3f317217, v14, -v26
	v_fmac_f32_e32 v27, 0x3377d1cf, v14
	s_delay_alu instid0(VALU_DEP_1) | instskip(NEXT) | instid1(VALU_DEP_1)
	v_add_f32_e32 v26, v26, v27
	v_cndmask_b32_e64 v14, v14, v26, s0
	v_cndmask_b32_e64 v26, 0, 0x41b17218, vcc_lo
	s_delay_alu instid0(VALU_DEP_1)
	v_sub_f32_e32 v14, v14, v26
.LBB211_70:                             ;   in Loop: Header=BB211_50 Depth=1
	s_and_not1_saveexec_b32 s0, s1
	s_cbranch_execz .LBB211_49
; %bb.71:                               ;   in Loop: Header=BB211_50 Depth=1
	v_add_f32_e32 v14, 2.0, v2
	s_mov_b32 s1, exec_lo
	s_delay_alu instid0(VALU_DEP_1) | instskip(NEXT) | instid1(VALU_DEP_1)
	v_mul_f32_e32 v14, v2, v14
	v_fmac_f32_e32 v14, v3, v3
	s_delay_alu instid0(VALU_DEP_1)
	v_cmpx_neq_f32_e32 0, v14
	s_cbranch_execz .LBB211_48
; %bb.72:                               ;   in Loop: Header=BB211_50 Depth=1
	v_add_f32_e32 v2, 1.0, v14
	s_delay_alu instid0(VALU_DEP_1) | instskip(NEXT) | instid1(VALU_DEP_1)
	v_cvt_f64_f32_e32 v[26:27], v2
	v_frexp_exp_i32_f64_e32 v26, v[26:27]
	v_frexp_mant_f32_e32 v27, v2
	s_delay_alu instid0(VALU_DEP_1) | instskip(SKIP_1) | instid1(VALU_DEP_1)
	v_cmp_gt_f32_e32 vcc_lo, 0x3f2aaaab, v27
	v_add_f32_e32 v27, -1.0, v2
	v_sub_f32_e32 v29, v27, v2
	v_sub_f32_e32 v27, v14, v27
	v_subrev_co_ci_u32_e32 v26, vcc_lo, 0, v26, vcc_lo
	v_cmp_eq_f32_e32 vcc_lo, 0x7f800000, v14
	s_delay_alu instid0(VALU_DEP_2) | instskip(SKIP_1) | instid1(VALU_DEP_2)
	v_sub_nc_u32_e32 v28, 0, v26
	v_cvt_f32_i32_e32 v26, v26
	v_ldexp_f32 v2, v2, v28
	s_delay_alu instid0(VALU_DEP_1) | instskip(NEXT) | instid1(VALU_DEP_1)
	v_dual_add_f32 v29, 1.0, v29 :: v_dual_add_f32 v30, 1.0, v2
	v_add_f32_e32 v27, v27, v29
	s_delay_alu instid0(VALU_DEP_2) | instskip(NEXT) | instid1(VALU_DEP_2)
	v_add_f32_e32 v29, -1.0, v30
	v_ldexp_f32 v27, v27, v28
	s_delay_alu instid0(VALU_DEP_2) | instskip(NEXT) | instid1(VALU_DEP_1)
	v_dual_add_f32 v28, -1.0, v2 :: v_dual_sub_f32 v29, v2, v29
	v_add_f32_e32 v31, 1.0, v28
	s_delay_alu instid0(VALU_DEP_1) | instskip(NEXT) | instid1(VALU_DEP_1)
	v_sub_f32_e32 v2, v2, v31
	v_add_f32_e32 v2, v27, v2
	s_delay_alu instid0(VALU_DEP_1) | instskip(NEXT) | instid1(VALU_DEP_1)
	v_dual_add_f32 v32, v28, v2 :: v_dual_add_f32 v29, v27, v29
	v_dual_sub_f32 v28, v32, v28 :: v_dual_add_f32 v31, v30, v29
	s_delay_alu instid0(VALU_DEP_1) | instskip(NEXT) | instid1(VALU_DEP_2)
	v_sub_f32_e32 v2, v2, v28
	v_rcp_f32_e32 v27, v31
	v_sub_f32_e32 v30, v31, v30
	s_delay_alu instid0(VALU_DEP_1) | instskip(SKIP_2) | instid1(VALU_DEP_1)
	v_sub_f32_e32 v29, v29, v30
	s_waitcnt_depctr 0xfff
	v_mul_f32_e32 v33, v32, v27
	v_mul_f32_e32 v34, v31, v33
	s_delay_alu instid0(VALU_DEP_1) | instskip(NEXT) | instid1(VALU_DEP_1)
	v_fma_f32 v30, v33, v31, -v34
	v_fmac_f32_e32 v30, v33, v29
	s_delay_alu instid0(VALU_DEP_1) | instskip(NEXT) | instid1(VALU_DEP_1)
	v_add_f32_e32 v35, v34, v30
	v_sub_f32_e32 v36, v32, v35
	v_sub_f32_e32 v28, v35, v34
	s_delay_alu instid0(VALU_DEP_2) | instskip(NEXT) | instid1(VALU_DEP_2)
	v_sub_f32_e32 v32, v32, v36
	v_sub_f32_e32 v28, v28, v30
	s_delay_alu instid0(VALU_DEP_2) | instskip(NEXT) | instid1(VALU_DEP_1)
	v_sub_f32_e32 v32, v32, v35
	v_add_f32_e32 v2, v2, v32
	s_delay_alu instid0(VALU_DEP_1) | instskip(NEXT) | instid1(VALU_DEP_1)
	v_add_f32_e32 v2, v28, v2
	v_add_f32_e32 v28, v36, v2
	s_delay_alu instid0(VALU_DEP_1) | instskip(NEXT) | instid1(VALU_DEP_1)
	v_mul_f32_e32 v30, v27, v28
	v_dual_sub_f32 v35, v36, v28 :: v_dual_mul_f32 v32, v31, v30
	s_delay_alu instid0(VALU_DEP_1) | instskip(NEXT) | instid1(VALU_DEP_2)
	v_add_f32_e32 v2, v2, v35
	v_fma_f32 v31, v30, v31, -v32
	s_delay_alu instid0(VALU_DEP_1) | instskip(NEXT) | instid1(VALU_DEP_1)
	v_fmac_f32_e32 v31, v30, v29
	v_add_f32_e32 v29, v32, v31
	s_delay_alu instid0(VALU_DEP_1) | instskip(NEXT) | instid1(VALU_DEP_1)
	v_sub_f32_e32 v34, v28, v29
	v_sub_f32_e32 v28, v28, v34
	s_delay_alu instid0(VALU_DEP_1) | instskip(NEXT) | instid1(VALU_DEP_1)
	v_sub_f32_e32 v28, v28, v29
	v_add_f32_e32 v2, v2, v28
	v_add_f32_e32 v28, v33, v30
	v_sub_f32_e32 v32, v29, v32
	s_delay_alu instid0(VALU_DEP_1) | instskip(NEXT) | instid1(VALU_DEP_1)
	v_sub_f32_e32 v29, v32, v31
	v_dual_add_f32 v2, v29, v2 :: v_dual_sub_f32 v29, v28, v33
	s_delay_alu instid0(VALU_DEP_1) | instskip(NEXT) | instid1(VALU_DEP_1)
	v_add_f32_e32 v2, v34, v2
	v_dual_sub_f32 v29, v30, v29 :: v_dual_mul_f32 v2, v27, v2
	s_delay_alu instid0(VALU_DEP_1) | instskip(NEXT) | instid1(VALU_DEP_1)
	v_add_f32_e32 v2, v29, v2
	v_add_f32_e32 v27, v28, v2
	s_delay_alu instid0(VALU_DEP_1) | instskip(NEXT) | instid1(VALU_DEP_1)
	v_mul_f32_e32 v29, v27, v27
	v_fmaak_f32 v30, s5, v29, 0x3ecc95a3
	v_mul_f32_e32 v31, v27, v29
	s_delay_alu instid0(VALU_DEP_2) | instskip(SKIP_2) | instid1(VALU_DEP_3)
	v_fmaak_f32 v29, v29, v30, 0x3f2aaada
	v_ldexp_f32 v30, v27, 1
	v_sub_f32_e32 v27, v27, v28
	v_mul_f32_e32 v29, v31, v29
	s_delay_alu instid0(VALU_DEP_2) | instskip(NEXT) | instid1(VALU_DEP_2)
	v_dual_mul_f32 v31, 0x3f317218, v26 :: v_dual_sub_f32 v2, v2, v27
	v_add_f32_e32 v28, v30, v29
	s_delay_alu instid0(VALU_DEP_2) | instskip(NEXT) | instid1(VALU_DEP_2)
	v_ldexp_f32 v2, v2, 1
	v_sub_f32_e32 v27, v28, v30
	s_delay_alu instid0(VALU_DEP_4) | instskip(NEXT) | instid1(VALU_DEP_1)
	v_fma_f32 v30, 0x3f317218, v26, -v31
	v_dual_sub_f32 v27, v29, v27 :: v_dual_fmac_f32 v30, 0xb102e308, v26
	s_delay_alu instid0(VALU_DEP_1) | instskip(NEXT) | instid1(VALU_DEP_2)
	v_add_f32_e32 v2, v2, v27
	v_add_f32_e32 v26, v31, v30
	s_delay_alu instid0(VALU_DEP_2) | instskip(NEXT) | instid1(VALU_DEP_2)
	v_add_f32_e32 v27, v28, v2
	v_sub_f32_e32 v31, v26, v31
	s_delay_alu instid0(VALU_DEP_2) | instskip(NEXT) | instid1(VALU_DEP_2)
	v_dual_add_f32 v29, v26, v27 :: v_dual_sub_f32 v28, v27, v28
	v_sub_f32_e32 v30, v30, v31
	s_delay_alu instid0(VALU_DEP_2) | instskip(NEXT) | instid1(VALU_DEP_3)
	v_sub_f32_e32 v32, v29, v26
	v_sub_f32_e32 v2, v2, v28
	s_delay_alu instid0(VALU_DEP_2) | instskip(NEXT) | instid1(VALU_DEP_2)
	v_sub_f32_e32 v33, v29, v32
	v_dual_sub_f32 v27, v27, v32 :: v_dual_add_f32 v28, v30, v2
	s_delay_alu instid0(VALU_DEP_2) | instskip(NEXT) | instid1(VALU_DEP_1)
	v_sub_f32_e32 v26, v26, v33
	v_add_f32_e32 v26, v27, v26
	s_delay_alu instid0(VALU_DEP_3) | instskip(NEXT) | instid1(VALU_DEP_2)
	v_sub_f32_e32 v27, v28, v30
	v_add_f32_e32 v26, v28, v26
	s_delay_alu instid0(VALU_DEP_2) | instskip(NEXT) | instid1(VALU_DEP_2)
	v_sub_f32_e32 v28, v28, v27
	v_dual_sub_f32 v2, v2, v27 :: v_dual_add_f32 v31, v29, v26
	s_delay_alu instid0(VALU_DEP_1) | instskip(NEXT) | instid1(VALU_DEP_1)
	v_dual_sub_f32 v28, v30, v28 :: v_dual_sub_f32 v27, v31, v29
	v_add_f32_e32 v2, v2, v28
	s_delay_alu instid0(VALU_DEP_2) | instskip(NEXT) | instid1(VALU_DEP_1)
	v_sub_f32_e32 v26, v26, v27
	v_add_f32_e32 v2, v2, v26
	s_delay_alu instid0(VALU_DEP_1) | instskip(NEXT) | instid1(VALU_DEP_1)
	v_add_f32_e32 v2, v31, v2
	v_cndmask_b32_e32 v2, v2, v14, vcc_lo
	v_cmp_ngt_f32_e32 vcc_lo, -1.0, v14
	s_delay_alu instid0(VALU_DEP_2) | instskip(SKIP_1) | instid1(VALU_DEP_2)
	v_cndmask_b32_e32 v2, 0x7fc00000, v2, vcc_lo
	v_cmp_neq_f32_e32 vcc_lo, -1.0, v14
	v_cndmask_b32_e32 v2, 0xff800000, v2, vcc_lo
	v_cmp_gt_f32_e64 vcc_lo, 0x33800000, |v14|
	s_delay_alu instid0(VALU_DEP_2) | instskip(NEXT) | instid1(VALU_DEP_1)
	v_cndmask_b32_e32 v2, v2, v14, vcc_lo
	v_mul_f32_e32 v2, 0.5, v2
	s_branch .LBB211_48
.LBB211_73:
	s_nop 0
	s_sendmsg sendmsg(MSG_DEALLOC_VGPRS)
	s_endpgm
	.section	.rodata,"a",@progbits
	.p2align	6, 0x0
	.amdhsa_kernel _ZN2at6native12_GLOBAL__N_125multi_tensor_apply_kernelINS1_18TensorListMetadataILi1EEENS1_14UnaryOpFunctorIN3c107complexIfEELi1ELi1ELi0EEEJNS0_5Log1pIS8_EEEEEvT_T0_DpT1_
		.amdhsa_group_segment_fixed_size 0
		.amdhsa_private_segment_fixed_size 0
		.amdhsa_kernarg_size 3632
		.amdhsa_user_sgpr_count 15
		.amdhsa_user_sgpr_dispatch_ptr 0
		.amdhsa_user_sgpr_queue_ptr 0
		.amdhsa_user_sgpr_kernarg_segment_ptr 1
		.amdhsa_user_sgpr_dispatch_id 0
		.amdhsa_user_sgpr_private_segment_size 0
		.amdhsa_wavefront_size32 1
		.amdhsa_uses_dynamic_stack 0
		.amdhsa_enable_private_segment 0
		.amdhsa_system_sgpr_workgroup_id_x 1
		.amdhsa_system_sgpr_workgroup_id_y 0
		.amdhsa_system_sgpr_workgroup_id_z 0
		.amdhsa_system_sgpr_workgroup_info 0
		.amdhsa_system_vgpr_workitem_id 0
		.amdhsa_next_free_vgpr 46
		.amdhsa_next_free_sgpr 24
		.amdhsa_reserve_vcc 1
		.amdhsa_float_round_mode_32 0
		.amdhsa_float_round_mode_16_64 0
		.amdhsa_float_denorm_mode_32 3
		.amdhsa_float_denorm_mode_16_64 3
		.amdhsa_dx10_clamp 1
		.amdhsa_ieee_mode 1
		.amdhsa_fp16_overflow 0
		.amdhsa_workgroup_processor_mode 1
		.amdhsa_memory_ordered 1
		.amdhsa_forward_progress 0
		.amdhsa_shared_vgpr_count 0
		.amdhsa_exception_fp_ieee_invalid_op 0
		.amdhsa_exception_fp_denorm_src 0
		.amdhsa_exception_fp_ieee_div_zero 0
		.amdhsa_exception_fp_ieee_overflow 0
		.amdhsa_exception_fp_ieee_underflow 0
		.amdhsa_exception_fp_ieee_inexact 0
		.amdhsa_exception_int_div_zero 0
	.end_amdhsa_kernel
	.section	.text._ZN2at6native12_GLOBAL__N_125multi_tensor_apply_kernelINS1_18TensorListMetadataILi1EEENS1_14UnaryOpFunctorIN3c107complexIfEELi1ELi1ELi0EEEJNS0_5Log1pIS8_EEEEEvT_T0_DpT1_,"axG",@progbits,_ZN2at6native12_GLOBAL__N_125multi_tensor_apply_kernelINS1_18TensorListMetadataILi1EEENS1_14UnaryOpFunctorIN3c107complexIfEELi1ELi1ELi0EEEJNS0_5Log1pIS8_EEEEEvT_T0_DpT1_,comdat
.Lfunc_end211:
	.size	_ZN2at6native12_GLOBAL__N_125multi_tensor_apply_kernelINS1_18TensorListMetadataILi1EEENS1_14UnaryOpFunctorIN3c107complexIfEELi1ELi1ELi0EEEJNS0_5Log1pIS8_EEEEEvT_T0_DpT1_, .Lfunc_end211-_ZN2at6native12_GLOBAL__N_125multi_tensor_apply_kernelINS1_18TensorListMetadataILi1EEENS1_14UnaryOpFunctorIN3c107complexIfEELi1ELi1ELi0EEEJNS0_5Log1pIS8_EEEEEvT_T0_DpT1_
                                        ; -- End function
	.section	.AMDGPU.csdata,"",@progbits
; Kernel info:
; codeLenInByte = 12496
; NumSgprs: 26
; NumVgprs: 46
; ScratchSize: 0
; MemoryBound: 0
; FloatMode: 240
; IeeeMode: 1
; LDSByteSize: 0 bytes/workgroup (compile time only)
; SGPRBlocks: 3
; VGPRBlocks: 5
; NumSGPRsForWavesPerEU: 26
; NumVGPRsForWavesPerEU: 46
; Occupancy: 16
; WaveLimiterHint : 0
; COMPUTE_PGM_RSRC2:SCRATCH_EN: 0
; COMPUTE_PGM_RSRC2:USER_SGPR: 15
; COMPUTE_PGM_RSRC2:TRAP_HANDLER: 0
; COMPUTE_PGM_RSRC2:TGID_X_EN: 1
; COMPUTE_PGM_RSRC2:TGID_Y_EN: 0
; COMPUTE_PGM_RSRC2:TGID_Z_EN: 0
; COMPUTE_PGM_RSRC2:TIDIG_COMP_CNT: 0
	.section	.text._ZN2at6native12_GLOBAL__N_125multi_tensor_apply_kernelINS1_18TensorListMetadataILi1EEENS1_14UnaryOpFunctorIN3c104HalfELi1ELi1ELi0EEEJNS0_5Log1pIfEEEEEvT_T0_DpT1_,"axG",@progbits,_ZN2at6native12_GLOBAL__N_125multi_tensor_apply_kernelINS1_18TensorListMetadataILi1EEENS1_14UnaryOpFunctorIN3c104HalfELi1ELi1ELi0EEEJNS0_5Log1pIfEEEEEvT_T0_DpT1_,comdat
	.globl	_ZN2at6native12_GLOBAL__N_125multi_tensor_apply_kernelINS1_18TensorListMetadataILi1EEENS1_14UnaryOpFunctorIN3c104HalfELi1ELi1ELi0EEEJNS0_5Log1pIfEEEEEvT_T0_DpT1_ ; -- Begin function _ZN2at6native12_GLOBAL__N_125multi_tensor_apply_kernelINS1_18TensorListMetadataILi1EEENS1_14UnaryOpFunctorIN3c104HalfELi1ELi1ELi0EEEJNS0_5Log1pIfEEEEEvT_T0_DpT1_
	.p2align	8
	.type	_ZN2at6native12_GLOBAL__N_125multi_tensor_apply_kernelINS1_18TensorListMetadataILi1EEENS1_14UnaryOpFunctorIN3c104HalfELi1ELi1ELi0EEEJNS0_5Log1pIfEEEEEvT_T0_DpT1_,@function
_ZN2at6native12_GLOBAL__N_125multi_tensor_apply_kernelINS1_18TensorListMetadataILi1EEENS1_14UnaryOpFunctorIN3c104HalfELi1ELi1ELi0EEEJNS0_5Log1pIfEEEEEvT_T0_DpT1_: ; @_ZN2at6native12_GLOBAL__N_125multi_tensor_apply_kernelINS1_18TensorListMetadataILi1EEENS1_14UnaryOpFunctorIN3c104HalfELi1ELi1ELi0EEEJNS0_5Log1pIfEEEEEvT_T0_DpT1_
; %bb.0:
	v_mov_b32_e32 v1, s15
	s_add_u32 s2, s0, s15
	s_mul_hi_u32 s3, s15, 3
	s_mul_i32 s15, s15, 3
	s_addc_u32 s4, s1, 0
	global_load_u8 v1, v1, s[0:1] offset:1760
	s_add_u32 s2, s2, s15
	s_addc_u32 s3, s4, s3
	s_mov_b32 s13, 0
	s_load_b32 s2, s[2:3], 0x820
	s_waitcnt vmcnt(0)
	v_readfirstlane_b32 s5, v1
	s_delay_alu instid0(VALU_DEP_1)
	s_lshl_b32 s3, s5, 3
	s_clause 0x1
	s_load_b64 s[8:9], s[0:1], s3 offset:0x0
	s_load_b64 s[4:5], s[0:1], s3 offset:0x370
	s_waitcnt lgkmcnt(0)
	s_ashr_i32 s3, s2, 31
	s_delay_alu instid0(SALU_CYCLE_1)
	s_lshl_b64 s[10:11], s[2:3], 17
	s_lshl_b64 s[2:3], s[2:3], 16
	s_and_b32 s12, s8, 7
	s_sub_u32 s6, s4, s2
	s_subb_u32 s7, s5, s3
	s_and_b32 s2, s4, 3
	s_mov_b32 s3, s13
	s_delay_alu instid0(SALU_CYCLE_1) | instskip(NEXT) | instid1(SALU_CYCLE_1)
	s_or_b64 s[2:3], s[12:13], s[2:3]
	s_cmp_eq_u64 s[2:3], 0
	s_cbranch_scc1 .LBB212_21
; %bb.1:
	v_cmp_lt_i64_e64 s2, s[6:7], 1
	s_delay_alu instid0(VALU_DEP_1)
	s_and_b32 vcc_lo, exec_lo, s2
	s_cbranch_vccnz .LBB212_20
; %bb.2:
	s_load_b32 s2, s[0:1], 0xd3c
	v_cmp_gt_u64_e64 s3, 0x10000, s[6:7]
	v_lshlrev_b32_e32 v1, 1, v0
	s_mov_b32 s19, 0x3e9b6dac
	s_waitcnt lgkmcnt(0)
	s_and_b32 s2, s2, 0xffff
	s_delay_alu instid0(VALU_DEP_2)
	s_and_b32 s3, s3, exec_lo
	v_add_co_u32 v5, s5, v0, s2
	s_cselect_b32 s13, s7, 0
	s_cselect_b32 s12, s6, 0x10000
	s_lshl_b32 s3, s2, 1
	s_lshl_b32 s16, s2, 2
	v_lshlrev_b32_e32 v3, 1, v5
	v_add_co_ci_u32_e64 v6, null, 0, 0, s5
	s_add_u32 s5, s8, s10
	v_add_co_u32 v9, s3, s3, v0
	s_mul_i32 s4, s2, 3
	s_addc_u32 s14, s9, s11
	v_add_co_ci_u32_e64 v10, null, 0, 0, s3
	v_add_co_u32 v1, s3, s5, v1
	v_add_co_u32 v7, s4, s4, v0
	v_add_co_ci_u32_e64 v2, null, s14, 0, s3
	v_add_co_u32 v3, s3, s5, v3
	v_add_co_ci_u32_e64 v8, null, 0, 0, s4
	v_add_co_ci_u32_e64 v4, null, s14, 0, s3
	s_lshl_b32 s17, s2, 3
	s_mul_i32 s18, s2, 6
	s_mov_b64 s[14:15], 0
	s_branch .LBB212_4
.LBB212_3:                              ;   in Loop: Header=BB212_4 Depth=1
	s_or_b32 exec_lo, exec_lo, s2
	s_add_u32 s14, s14, s16
	s_addc_u32 s15, s15, 0
	v_add_co_u32 v1, vcc_lo, v1, s17
	v_cmp_lt_i64_e64 s2, s[14:15], s[6:7]
	v_cmp_gt_u64_e64 s3, 0x10000, s[14:15]
	v_add_co_ci_u32_e32 v2, vcc_lo, 0, v2, vcc_lo
	v_add_co_u32 v3, vcc_lo, v3, s17
	v_add_co_ci_u32_e32 v4, vcc_lo, 0, v4, vcc_lo
	s_delay_alu instid0(VALU_DEP_4) | instskip(NEXT) | instid1(SALU_CYCLE_1)
	s_and_b32 s2, s2, s3
	s_and_b32 vcc_lo, exec_lo, s2
	s_cbranch_vccz .LBB212_20
.LBB212_4:                              ; =>This Inner Loop Header: Depth=1
	s_waitcnt vmcnt(0)
	v_add_co_u32 v11, s2, v0, s14
	s_delay_alu instid0(VALU_DEP_1) | instskip(SKIP_1) | instid1(VALU_DEP_2)
	v_add_co_ci_u32_e64 v12, null, 0, s15, s2
	v_mov_b32_e32 v14, 0
	v_cmp_gt_u64_e64 s4, s[12:13], v[11:12]
	s_delay_alu instid0(VALU_DEP_1)
	s_and_saveexec_b32 s2, s4
	s_cbranch_execz .LBB212_6
; %bb.5:                                ;   in Loop: Header=BB212_4 Depth=1
	global_load_u16 v14, v[1:2], off
.LBB212_6:                              ;   in Loop: Header=BB212_4 Depth=1
	s_or_b32 exec_lo, exec_lo, s2
	v_add_co_u32 v11, vcc_lo, v5, s14
	v_add_co_ci_u32_e32 v12, vcc_lo, s15, v6, vcc_lo
	v_mov_b32_e32 v13, 0
	s_delay_alu instid0(VALU_DEP_2) | instskip(NEXT) | instid1(VALU_DEP_1)
	v_cmp_gt_u64_e64 s3, s[12:13], v[11:12]
	s_and_saveexec_b32 s2, s3
	s_cbranch_execz .LBB212_8
; %bb.7:                                ;   in Loop: Header=BB212_4 Depth=1
	global_load_u16 v13, v[3:4], off
.LBB212_8:                              ;   in Loop: Header=BB212_4 Depth=1
	s_or_b32 exec_lo, exec_lo, s2
	v_add_co_u32 v11, vcc_lo, v9, s14
	v_add_co_ci_u32_e32 v12, vcc_lo, s15, v10, vcc_lo
	s_delay_alu instid0(VALU_DEP_1) | instskip(SKIP_1) | instid1(VALU_DEP_2)
	v_cmp_gt_u64_e64 s2, s[12:13], v[11:12]
	v_dual_mov_b32 v11, 0 :: v_dual_mov_b32 v12, 0
	s_and_saveexec_b32 s5, s2
	s_cbranch_execz .LBB212_10
; %bb.9:                                ;   in Loop: Header=BB212_4 Depth=1
	v_add_co_u32 v15, vcc_lo, v1, s16
	v_add_co_ci_u32_e32 v16, vcc_lo, 0, v2, vcc_lo
	global_load_u16 v12, v[15:16], off
.LBB212_10:                             ;   in Loop: Header=BB212_4 Depth=1
	s_or_b32 exec_lo, exec_lo, s5
	v_add_co_u32 v15, vcc_lo, v7, s14
	v_add_co_ci_u32_e32 v16, vcc_lo, s15, v8, vcc_lo
	s_delay_alu instid0(VALU_DEP_1)
	v_cmp_gt_u64_e32 vcc_lo, s[12:13], v[15:16]
	s_and_saveexec_b32 s20, vcc_lo
	s_cbranch_execnz .LBB212_15
; %bb.11:                               ;   in Loop: Header=BB212_4 Depth=1
	s_or_b32 exec_lo, exec_lo, s20
	s_and_saveexec_b32 s5, s4
	s_cbranch_execnz .LBB212_16
.LBB212_12:                             ;   in Loop: Header=BB212_4 Depth=1
	s_or_b32 exec_lo, exec_lo, s5
	s_and_saveexec_b32 s4, s3
	s_cbranch_execnz .LBB212_17
.LBB212_13:                             ;   in Loop: Header=BB212_4 Depth=1
	s_or_b32 exec_lo, exec_lo, s4
	s_and_saveexec_b32 s3, s2
	s_cbranch_execnz .LBB212_18
.LBB212_14:                             ;   in Loop: Header=BB212_4 Depth=1
	s_or_b32 exec_lo, exec_lo, s3
	s_and_saveexec_b32 s2, vcc_lo
	s_cbranch_execz .LBB212_3
	s_branch .LBB212_19
.LBB212_15:                             ;   in Loop: Header=BB212_4 Depth=1
	v_add_co_u32 v15, s5, v1, s18
	s_delay_alu instid0(VALU_DEP_1)
	v_add_co_ci_u32_e64 v16, s5, 0, v2, s5
	global_load_u16 v11, v[15:16], off
	s_or_b32 exec_lo, exec_lo, s20
	s_and_saveexec_b32 s5, s4
	s_cbranch_execz .LBB212_12
.LBB212_16:                             ;   in Loop: Header=BB212_4 Depth=1
	s_waitcnt vmcnt(0)
	v_cvt_f32_f16_e32 v17, v14
	s_delay_alu instid0(VALU_DEP_1) | instskip(NEXT) | instid1(VALU_DEP_1)
	v_add_f32_e32 v18, 1.0, v17
	v_cvt_f64_f32_e32 v[15:16], v18
	s_delay_alu instid0(VALU_DEP_1) | instskip(SKIP_1) | instid1(VALU_DEP_1)
	v_frexp_exp_i32_f64_e32 v15, v[15:16]
	v_frexp_mant_f32_e32 v16, v18
	v_cmp_gt_f32_e64 s4, 0x3f2aaaab, v16
	v_add_f32_e32 v16, -1.0, v18
	s_delay_alu instid0(VALU_DEP_1) | instskip(NEXT) | instid1(VALU_DEP_1)
	v_sub_f32_e32 v20, v16, v18
	v_add_f32_e32 v20, 1.0, v20
	s_delay_alu instid0(VALU_DEP_4) | instskip(SKIP_1) | instid1(VALU_DEP_2)
	v_subrev_co_ci_u32_e64 v15, s4, 0, v15, s4
	v_cmp_eq_f16_e64 s4, 0x7c00, v14
	v_sub_nc_u32_e32 v19, 0, v15
	v_cvt_f32_i32_e32 v15, v15
	s_delay_alu instid0(VALU_DEP_2) | instskip(NEXT) | instid1(VALU_DEP_1)
	v_ldexp_f32 v18, v18, v19
	v_dual_sub_f32 v16, v17, v16 :: v_dual_add_f32 v21, 1.0, v18
	s_delay_alu instid0(VALU_DEP_1) | instskip(SKIP_1) | instid1(VALU_DEP_3)
	v_add_f32_e32 v16, v16, v20
	v_add_f32_e32 v22, -1.0, v18
	v_add_f32_e32 v20, -1.0, v21
	s_delay_alu instid0(VALU_DEP_3) | instskip(NEXT) | instid1(VALU_DEP_2)
	v_ldexp_f32 v16, v16, v19
	v_dual_sub_f32 v19, v18, v20 :: v_dual_add_f32 v20, 1.0, v22
	s_delay_alu instid0(VALU_DEP_1) | instskip(NEXT) | instid1(VALU_DEP_1)
	v_dual_add_f32 v19, v16, v19 :: v_dual_sub_f32 v18, v18, v20
	v_add_f32_e32 v20, v21, v19
	s_delay_alu instid0(VALU_DEP_2) | instskip(NEXT) | instid1(VALU_DEP_2)
	v_add_f32_e32 v16, v16, v18
	v_rcp_f32_e32 v18, v20
	v_sub_f32_e32 v21, v20, v21
	s_delay_alu instid0(VALU_DEP_2) | instskip(NEXT) | instid1(VALU_DEP_2)
	v_add_f32_e32 v23, v22, v16
	v_sub_f32_e32 v19, v19, v21
	s_delay_alu instid0(VALU_DEP_2) | instskip(SKIP_3) | instid1(VALU_DEP_2)
	v_sub_f32_e32 v22, v23, v22
	s_waitcnt_depctr 0xfff
	v_mul_f32_e32 v24, v23, v18
	v_sub_f32_e32 v16, v16, v22
	v_mul_f32_e32 v25, v20, v24
	s_delay_alu instid0(VALU_DEP_1) | instskip(NEXT) | instid1(VALU_DEP_1)
	v_fma_f32 v21, v24, v20, -v25
	v_fmac_f32_e32 v21, v24, v19
	s_delay_alu instid0(VALU_DEP_1) | instskip(NEXT) | instid1(VALU_DEP_1)
	v_add_f32_e32 v26, v25, v21
	v_sub_f32_e32 v27, v23, v26
	v_sub_f32_e32 v25, v26, v25
	s_delay_alu instid0(VALU_DEP_2) | instskip(NEXT) | instid1(VALU_DEP_1)
	v_sub_f32_e32 v23, v23, v27
	v_dual_sub_f32 v21, v25, v21 :: v_dual_sub_f32 v22, v23, v26
	s_delay_alu instid0(VALU_DEP_1) | instskip(NEXT) | instid1(VALU_DEP_1)
	v_add_f32_e32 v16, v16, v22
	v_add_f32_e32 v16, v21, v16
	s_delay_alu instid0(VALU_DEP_1) | instskip(NEXT) | instid1(VALU_DEP_1)
	v_add_f32_e32 v21, v27, v16
	v_mul_f32_e32 v22, v18, v21
	s_delay_alu instid0(VALU_DEP_1) | instskip(NEXT) | instid1(VALU_DEP_1)
	v_dual_sub_f32 v26, v27, v21 :: v_dual_mul_f32 v23, v20, v22
	v_add_f32_e32 v16, v16, v26
	s_delay_alu instid0(VALU_DEP_2) | instskip(NEXT) | instid1(VALU_DEP_1)
	v_fma_f32 v20, v22, v20, -v23
	v_fmac_f32_e32 v20, v22, v19
	s_delay_alu instid0(VALU_DEP_1) | instskip(NEXT) | instid1(VALU_DEP_1)
	v_add_f32_e32 v19, v23, v20
	v_sub_f32_e32 v25, v21, v19
	v_sub_f32_e32 v23, v19, v23
	s_delay_alu instid0(VALU_DEP_2) | instskip(NEXT) | instid1(VALU_DEP_1)
	v_sub_f32_e32 v21, v21, v25
	v_sub_f32_e32 v19, v21, v19
	s_delay_alu instid0(VALU_DEP_1) | instskip(NEXT) | instid1(VALU_DEP_4)
	v_add_f32_e32 v16, v16, v19
	v_dual_add_f32 v19, v24, v22 :: v_dual_sub_f32 v20, v23, v20
	s_delay_alu instid0(VALU_DEP_1) | instskip(NEXT) | instid1(VALU_DEP_2)
	v_add_f32_e32 v16, v20, v16
	v_sub_f32_e32 v20, v19, v24
	s_delay_alu instid0(VALU_DEP_2) | instskip(NEXT) | instid1(VALU_DEP_2)
	v_add_f32_e32 v16, v25, v16
	v_sub_f32_e32 v20, v22, v20
	s_delay_alu instid0(VALU_DEP_2) | instskip(NEXT) | instid1(VALU_DEP_1)
	v_mul_f32_e32 v16, v18, v16
	v_add_f32_e32 v16, v20, v16
	s_delay_alu instid0(VALU_DEP_1) | instskip(NEXT) | instid1(VALU_DEP_1)
	v_add_f32_e32 v18, v19, v16
	v_mul_f32_e32 v20, v18, v18
	s_delay_alu instid0(VALU_DEP_1) | instskip(SKIP_1) | instid1(VALU_DEP_2)
	v_fmaak_f32 v21, s19, v20, 0x3ecc95a3
	v_mul_f32_e32 v22, v18, v20
	v_fmaak_f32 v20, v20, v21, 0x3f2aaada
	v_ldexp_f32 v21, v18, 1
	v_sub_f32_e32 v18, v18, v19
	s_delay_alu instid0(VALU_DEP_3) | instskip(SKIP_1) | instid1(VALU_DEP_2)
	v_mul_f32_e32 v20, v22, v20
	v_mul_f32_e32 v22, 0x3f317218, v15
	v_dual_sub_f32 v16, v16, v18 :: v_dual_add_f32 v19, v21, v20
	s_delay_alu instid0(VALU_DEP_1) | instskip(NEXT) | instid1(VALU_DEP_2)
	v_ldexp_f32 v16, v16, 1
	v_sub_f32_e32 v18, v19, v21
	s_delay_alu instid0(VALU_DEP_4) | instskip(NEXT) | instid1(VALU_DEP_1)
	v_fma_f32 v21, 0x3f317218, v15, -v22
	v_dual_sub_f32 v18, v20, v18 :: v_dual_fmac_f32 v21, 0xb102e308, v15
	s_delay_alu instid0(VALU_DEP_1) | instskip(NEXT) | instid1(VALU_DEP_1)
	v_dual_add_f32 v15, v16, v18 :: v_dual_add_f32 v16, v22, v21
	v_add_f32_e32 v18, v19, v15
	s_delay_alu instid0(VALU_DEP_2) | instskip(NEXT) | instid1(VALU_DEP_2)
	v_sub_f32_e32 v22, v16, v22
	v_dual_add_f32 v20, v16, v18 :: v_dual_sub_f32 v19, v18, v19
	s_delay_alu instid0(VALU_DEP_2) | instskip(NEXT) | instid1(VALU_DEP_2)
	v_sub_f32_e32 v21, v21, v22
	v_sub_f32_e32 v23, v20, v16
	s_delay_alu instid0(VALU_DEP_3) | instskip(NEXT) | instid1(VALU_DEP_2)
	v_sub_f32_e32 v15, v15, v19
	v_sub_f32_e32 v24, v20, v23
	;; [unrolled: 1-line block ×3, first 2 shown]
	s_delay_alu instid0(VALU_DEP_2) | instskip(NEXT) | instid1(VALU_DEP_1)
	v_dual_add_f32 v19, v21, v15 :: v_dual_sub_f32 v16, v16, v24
	v_add_f32_e32 v16, v18, v16
	s_delay_alu instid0(VALU_DEP_2) | instskip(NEXT) | instid1(VALU_DEP_2)
	v_sub_f32_e32 v18, v19, v21
	v_add_f32_e32 v16, v19, v16
	s_delay_alu instid0(VALU_DEP_2) | instskip(NEXT) | instid1(VALU_DEP_2)
	v_sub_f32_e32 v19, v19, v18
	v_dual_sub_f32 v15, v15, v18 :: v_dual_add_f32 v22, v20, v16
	s_delay_alu instid0(VALU_DEP_1) | instskip(NEXT) | instid1(VALU_DEP_1)
	v_dual_sub_f32 v18, v21, v19 :: v_dual_sub_f32 v19, v22, v20
	v_dual_add_f32 v15, v15, v18 :: v_dual_sub_f32 v16, v16, v19
	s_delay_alu instid0(VALU_DEP_1) | instskip(NEXT) | instid1(VALU_DEP_1)
	v_add_f32_e32 v15, v15, v16
	v_add_f32_e32 v15, v22, v15
	s_delay_alu instid0(VALU_DEP_1) | instskip(NEXT) | instid1(VALU_DEP_1)
	v_cvt_f16_f32_e32 v15, v15
	v_cndmask_b32_e64 v15, v15, v14, s4
	v_cmp_ngt_f16_e64 s4, -1.0, v14
	s_delay_alu instid0(VALU_DEP_1) | instskip(SKIP_1) | instid1(VALU_DEP_1)
	v_cndmask_b32_e64 v15, 0x7e00, v15, s4
	v_cmp_neq_f16_e64 s4, -1.0, v14
	v_cndmask_b32_e64 v15, 0xfc00, v15, s4
	v_cmp_gt_f32_e64 s4, 0x33800000, |v17|
	s_delay_alu instid0(VALU_DEP_1)
	v_cndmask_b32_e64 v14, v15, v14, s4
	global_store_b16 v[1:2], v14, off
	s_or_b32 exec_lo, exec_lo, s5
	s_and_saveexec_b32 s4, s3
	s_cbranch_execz .LBB212_13
.LBB212_17:                             ;   in Loop: Header=BB212_4 Depth=1
	s_waitcnt vmcnt(0)
	v_cvt_f32_f16_e32 v16, v13
	s_delay_alu instid0(VALU_DEP_1) | instskip(NEXT) | instid1(VALU_DEP_1)
	v_add_f32_e32 v17, 1.0, v16
	v_cvt_f64_f32_e32 v[14:15], v17
	s_delay_alu instid0(VALU_DEP_1) | instskip(SKIP_1) | instid1(VALU_DEP_1)
	v_frexp_exp_i32_f64_e32 v14, v[14:15]
	v_frexp_mant_f32_e32 v15, v17
	v_cmp_gt_f32_e64 s3, 0x3f2aaaab, v15
	v_add_f32_e32 v15, -1.0, v17
	s_delay_alu instid0(VALU_DEP_1) | instskip(NEXT) | instid1(VALU_DEP_3)
	v_sub_f32_e32 v19, v15, v17
	v_subrev_co_ci_u32_e64 v14, s3, 0, v14, s3
	v_cmp_eq_f16_e64 s3, 0x7c00, v13
	s_delay_alu instid0(VALU_DEP_2) | instskip(SKIP_1) | instid1(VALU_DEP_2)
	v_sub_nc_u32_e32 v18, 0, v14
	v_cvt_f32_i32_e32 v14, v14
	v_ldexp_f32 v17, v17, v18
	v_sub_f32_e32 v15, v16, v15
	s_delay_alu instid0(VALU_DEP_2) | instskip(NEXT) | instid1(VALU_DEP_1)
	v_dual_add_f32 v19, 1.0, v19 :: v_dual_add_f32 v20, 1.0, v17
	v_add_f32_e32 v15, v15, v19
	s_delay_alu instid0(VALU_DEP_1) | instskip(NEXT) | instid1(VALU_DEP_3)
	v_ldexp_f32 v15, v15, v18
	v_dual_add_f32 v18, -1.0, v17 :: v_dual_add_f32 v19, -1.0, v20
	s_delay_alu instid0(VALU_DEP_1) | instskip(NEXT) | instid1(VALU_DEP_2)
	v_add_f32_e32 v21, 1.0, v18
	v_sub_f32_e32 v19, v17, v19
	s_delay_alu instid0(VALU_DEP_2) | instskip(NEXT) | instid1(VALU_DEP_2)
	v_sub_f32_e32 v17, v17, v21
	v_add_f32_e32 v19, v15, v19
	s_delay_alu instid0(VALU_DEP_2) | instskip(NEXT) | instid1(VALU_DEP_2)
	v_add_f32_e32 v15, v15, v17
	v_add_f32_e32 v21, v20, v19
	s_delay_alu instid0(VALU_DEP_2) | instskip(NEXT) | instid1(VALU_DEP_2)
	v_add_f32_e32 v22, v18, v15
	v_rcp_f32_e32 v17, v21
	v_sub_f32_e32 v20, v21, v20
	s_delay_alu instid0(VALU_DEP_1) | instskip(NEXT) | instid1(VALU_DEP_1)
	v_dual_sub_f32 v18, v22, v18 :: v_dual_sub_f32 v19, v19, v20
	v_sub_f32_e32 v15, v15, v18
	s_waitcnt_depctr 0xfff
	v_mul_f32_e32 v23, v22, v17
	s_delay_alu instid0(VALU_DEP_1) | instskip(NEXT) | instid1(VALU_DEP_1)
	v_mul_f32_e32 v24, v21, v23
	v_fma_f32 v20, v23, v21, -v24
	s_delay_alu instid0(VALU_DEP_1) | instskip(NEXT) | instid1(VALU_DEP_1)
	v_fmac_f32_e32 v20, v23, v19
	v_add_f32_e32 v25, v24, v20
	s_delay_alu instid0(VALU_DEP_1) | instskip(SKIP_1) | instid1(VALU_DEP_2)
	v_sub_f32_e32 v26, v22, v25
	v_sub_f32_e32 v18, v25, v24
	;; [unrolled: 1-line block ×3, first 2 shown]
	s_delay_alu instid0(VALU_DEP_2) | instskip(NEXT) | instid1(VALU_DEP_2)
	v_sub_f32_e32 v18, v18, v20
	v_sub_f32_e32 v22, v22, v25
	s_delay_alu instid0(VALU_DEP_1) | instskip(NEXT) | instid1(VALU_DEP_1)
	v_add_f32_e32 v15, v15, v22
	v_add_f32_e32 v15, v18, v15
	s_delay_alu instid0(VALU_DEP_1) | instskip(NEXT) | instid1(VALU_DEP_1)
	v_add_f32_e32 v18, v26, v15
	v_mul_f32_e32 v20, v17, v18
	s_delay_alu instid0(VALU_DEP_1) | instskip(NEXT) | instid1(VALU_DEP_1)
	v_dual_sub_f32 v25, v26, v18 :: v_dual_mul_f32 v22, v21, v20
	v_fma_f32 v21, v20, v21, -v22
	s_delay_alu instid0(VALU_DEP_1) | instskip(NEXT) | instid1(VALU_DEP_1)
	v_fmac_f32_e32 v21, v20, v19
	v_add_f32_e32 v19, v22, v21
	s_delay_alu instid0(VALU_DEP_1) | instskip(SKIP_1) | instid1(VALU_DEP_2)
	v_sub_f32_e32 v24, v18, v19
	v_sub_f32_e32 v22, v19, v22
	v_dual_add_f32 v15, v15, v25 :: v_dual_sub_f32 v18, v18, v24
	s_delay_alu instid0(VALU_DEP_1) | instskip(NEXT) | instid1(VALU_DEP_1)
	v_sub_f32_e32 v18, v18, v19
	v_add_f32_e32 v15, v15, v18
	s_delay_alu instid0(VALU_DEP_4) | instskip(NEXT) | instid1(VALU_DEP_1)
	v_dual_add_f32 v18, v23, v20 :: v_dual_sub_f32 v19, v22, v21
	v_add_f32_e32 v15, v19, v15
	s_delay_alu instid0(VALU_DEP_2) | instskip(NEXT) | instid1(VALU_DEP_2)
	v_sub_f32_e32 v19, v18, v23
	v_add_f32_e32 v15, v24, v15
	s_delay_alu instid0(VALU_DEP_2) | instskip(NEXT) | instid1(VALU_DEP_2)
	v_sub_f32_e32 v19, v20, v19
	v_mul_f32_e32 v15, v17, v15
	s_delay_alu instid0(VALU_DEP_1) | instskip(NEXT) | instid1(VALU_DEP_1)
	v_add_f32_e32 v15, v19, v15
	v_add_f32_e32 v17, v18, v15
	s_delay_alu instid0(VALU_DEP_1) | instskip(NEXT) | instid1(VALU_DEP_1)
	v_mul_f32_e32 v19, v17, v17
	v_fmaak_f32 v20, s19, v19, 0x3ecc95a3
	v_mul_f32_e32 v21, v17, v19
	s_delay_alu instid0(VALU_DEP_2) | instskip(SKIP_2) | instid1(VALU_DEP_3)
	v_fmaak_f32 v19, v19, v20, 0x3f2aaada
	v_ldexp_f32 v20, v17, 1
	v_sub_f32_e32 v17, v17, v18
	v_mul_f32_e32 v19, v21, v19
	v_mul_f32_e32 v21, 0x3f317218, v14
	s_delay_alu instid0(VALU_DEP_2) | instskip(NEXT) | instid1(VALU_DEP_1)
	v_dual_sub_f32 v15, v15, v17 :: v_dual_add_f32 v18, v20, v19
	v_ldexp_f32 v15, v15, 1
	s_delay_alu instid0(VALU_DEP_2) | instskip(NEXT) | instid1(VALU_DEP_4)
	v_sub_f32_e32 v17, v18, v20
	v_fma_f32 v20, 0x3f317218, v14, -v21
	s_delay_alu instid0(VALU_DEP_1) | instskip(NEXT) | instid1(VALU_DEP_1)
	v_dual_sub_f32 v17, v19, v17 :: v_dual_fmac_f32 v20, 0xb102e308, v14
	v_dual_add_f32 v14, v15, v17 :: v_dual_add_f32 v15, v21, v20
	s_delay_alu instid0(VALU_DEP_1) | instskip(NEXT) | instid1(VALU_DEP_2)
	v_add_f32_e32 v17, v18, v14
	v_sub_f32_e32 v21, v15, v21
	s_delay_alu instid0(VALU_DEP_2) | instskip(NEXT) | instid1(VALU_DEP_2)
	v_dual_add_f32 v19, v15, v17 :: v_dual_sub_f32 v18, v17, v18
	v_sub_f32_e32 v20, v20, v21
	s_delay_alu instid0(VALU_DEP_2) | instskip(NEXT) | instid1(VALU_DEP_3)
	v_sub_f32_e32 v22, v19, v15
	v_sub_f32_e32 v14, v14, v18
	s_delay_alu instid0(VALU_DEP_2) | instskip(SKIP_1) | instid1(VALU_DEP_2)
	v_sub_f32_e32 v23, v19, v22
	v_sub_f32_e32 v17, v17, v22
	v_dual_add_f32 v18, v20, v14 :: v_dual_sub_f32 v15, v15, v23
	s_delay_alu instid0(VALU_DEP_1) | instskip(NEXT) | instid1(VALU_DEP_2)
	v_add_f32_e32 v15, v17, v15
	v_sub_f32_e32 v17, v18, v20
	s_delay_alu instid0(VALU_DEP_2) | instskip(NEXT) | instid1(VALU_DEP_2)
	v_add_f32_e32 v15, v18, v15
	v_sub_f32_e32 v18, v18, v17
	s_delay_alu instid0(VALU_DEP_2) | instskip(NEXT) | instid1(VALU_DEP_1)
	v_dual_sub_f32 v14, v14, v17 :: v_dual_add_f32 v21, v19, v15
	v_dual_sub_f32 v18, v20, v18 :: v_dual_sub_f32 v17, v21, v19
	s_delay_alu instid0(VALU_DEP_1) | instskip(NEXT) | instid1(VALU_DEP_1)
	v_dual_add_f32 v14, v14, v18 :: v_dual_sub_f32 v15, v15, v17
	v_add_f32_e32 v14, v14, v15
	s_delay_alu instid0(VALU_DEP_1) | instskip(NEXT) | instid1(VALU_DEP_1)
	v_add_f32_e32 v14, v21, v14
	v_cvt_f16_f32_e32 v14, v14
	s_delay_alu instid0(VALU_DEP_1) | instskip(SKIP_1) | instid1(VALU_DEP_1)
	v_cndmask_b32_e64 v14, v14, v13, s3
	v_cmp_ngt_f16_e64 s3, -1.0, v13
	v_cndmask_b32_e64 v14, 0x7e00, v14, s3
	v_cmp_neq_f16_e64 s3, -1.0, v13
	s_delay_alu instid0(VALU_DEP_1) | instskip(SKIP_1) | instid1(VALU_DEP_1)
	v_cndmask_b32_e64 v14, 0xfc00, v14, s3
	v_cmp_gt_f32_e64 s3, 0x33800000, |v16|
	v_cndmask_b32_e64 v13, v14, v13, s3
	global_store_b16 v[3:4], v13, off
	s_or_b32 exec_lo, exec_lo, s4
	s_and_saveexec_b32 s3, s2
	s_cbranch_execz .LBB212_14
.LBB212_18:                             ;   in Loop: Header=BB212_4 Depth=1
	s_waitcnt vmcnt(0)
	v_cvt_f32_f16_e32 v15, v12
	s_delay_alu instid0(VALU_DEP_1) | instskip(NEXT) | instid1(VALU_DEP_1)
	v_add_f32_e32 v16, 1.0, v15
	v_cvt_f64_f32_e32 v[13:14], v16
	s_delay_alu instid0(VALU_DEP_1) | instskip(SKIP_1) | instid1(VALU_DEP_1)
	v_frexp_exp_i32_f64_e32 v13, v[13:14]
	v_frexp_mant_f32_e32 v14, v16
	v_cmp_gt_f32_e64 s2, 0x3f2aaaab, v14
	v_add_f32_e32 v14, -1.0, v16
	s_delay_alu instid0(VALU_DEP_1) | instskip(NEXT) | instid1(VALU_DEP_3)
	v_sub_f32_e32 v18, v14, v16
	v_subrev_co_ci_u32_e64 v13, s2, 0, v13, s2
	v_cmp_eq_f16_e64 s2, 0x7c00, v12
	s_delay_alu instid0(VALU_DEP_2) | instskip(SKIP_1) | instid1(VALU_DEP_2)
	v_sub_nc_u32_e32 v17, 0, v13
	v_cvt_f32_i32_e32 v13, v13
	v_ldexp_f32 v16, v16, v17
	v_sub_f32_e32 v14, v15, v14
	s_delay_alu instid0(VALU_DEP_2) | instskip(NEXT) | instid1(VALU_DEP_1)
	v_dual_add_f32 v18, 1.0, v18 :: v_dual_add_f32 v19, 1.0, v16
	v_add_f32_e32 v14, v14, v18
	s_delay_alu instid0(VALU_DEP_1) | instskip(NEXT) | instid1(VALU_DEP_3)
	v_ldexp_f32 v14, v14, v17
	v_dual_add_f32 v17, -1.0, v16 :: v_dual_add_f32 v18, -1.0, v19
	s_delay_alu instid0(VALU_DEP_1) | instskip(NEXT) | instid1(VALU_DEP_2)
	v_add_f32_e32 v20, 1.0, v17
	v_sub_f32_e32 v18, v16, v18
	s_delay_alu instid0(VALU_DEP_2) | instskip(NEXT) | instid1(VALU_DEP_2)
	v_sub_f32_e32 v16, v16, v20
	v_add_f32_e32 v18, v14, v18
	s_delay_alu instid0(VALU_DEP_2) | instskip(NEXT) | instid1(VALU_DEP_2)
	v_add_f32_e32 v14, v14, v16
	v_add_f32_e32 v20, v19, v18
	s_delay_alu instid0(VALU_DEP_2) | instskip(NEXT) | instid1(VALU_DEP_2)
	v_add_f32_e32 v21, v17, v14
	v_rcp_f32_e32 v16, v20
	v_sub_f32_e32 v19, v20, v19
	s_delay_alu instid0(VALU_DEP_1) | instskip(NEXT) | instid1(VALU_DEP_1)
	v_dual_sub_f32 v17, v21, v17 :: v_dual_sub_f32 v18, v18, v19
	v_sub_f32_e32 v14, v14, v17
	s_waitcnt_depctr 0xfff
	v_mul_f32_e32 v22, v21, v16
	s_delay_alu instid0(VALU_DEP_1) | instskip(NEXT) | instid1(VALU_DEP_1)
	v_mul_f32_e32 v23, v20, v22
	v_fma_f32 v19, v22, v20, -v23
	s_delay_alu instid0(VALU_DEP_1) | instskip(NEXT) | instid1(VALU_DEP_1)
	v_fmac_f32_e32 v19, v22, v18
	v_add_f32_e32 v24, v23, v19
	s_delay_alu instid0(VALU_DEP_1) | instskip(SKIP_1) | instid1(VALU_DEP_2)
	v_sub_f32_e32 v25, v21, v24
	v_sub_f32_e32 v17, v24, v23
	;; [unrolled: 1-line block ×3, first 2 shown]
	s_delay_alu instid0(VALU_DEP_2) | instskip(NEXT) | instid1(VALU_DEP_2)
	v_sub_f32_e32 v17, v17, v19
	v_sub_f32_e32 v21, v21, v24
	s_delay_alu instid0(VALU_DEP_1) | instskip(NEXT) | instid1(VALU_DEP_1)
	v_add_f32_e32 v14, v14, v21
	v_add_f32_e32 v14, v17, v14
	s_delay_alu instid0(VALU_DEP_1) | instskip(NEXT) | instid1(VALU_DEP_1)
	v_add_f32_e32 v17, v25, v14
	v_mul_f32_e32 v19, v16, v17
	s_delay_alu instid0(VALU_DEP_1) | instskip(NEXT) | instid1(VALU_DEP_1)
	v_dual_sub_f32 v24, v25, v17 :: v_dual_mul_f32 v21, v20, v19
	v_fma_f32 v20, v19, v20, -v21
	s_delay_alu instid0(VALU_DEP_1) | instskip(NEXT) | instid1(VALU_DEP_1)
	v_fmac_f32_e32 v20, v19, v18
	v_add_f32_e32 v18, v21, v20
	s_delay_alu instid0(VALU_DEP_1) | instskip(SKIP_1) | instid1(VALU_DEP_2)
	v_sub_f32_e32 v23, v17, v18
	v_sub_f32_e32 v21, v18, v21
	v_dual_add_f32 v14, v14, v24 :: v_dual_sub_f32 v17, v17, v23
	s_delay_alu instid0(VALU_DEP_1) | instskip(NEXT) | instid1(VALU_DEP_1)
	v_sub_f32_e32 v17, v17, v18
	v_add_f32_e32 v14, v14, v17
	s_delay_alu instid0(VALU_DEP_4) | instskip(NEXT) | instid1(VALU_DEP_1)
	v_dual_add_f32 v17, v22, v19 :: v_dual_sub_f32 v18, v21, v20
	v_add_f32_e32 v14, v18, v14
	s_delay_alu instid0(VALU_DEP_2) | instskip(NEXT) | instid1(VALU_DEP_2)
	v_sub_f32_e32 v18, v17, v22
	v_add_f32_e32 v14, v23, v14
	s_delay_alu instid0(VALU_DEP_2) | instskip(NEXT) | instid1(VALU_DEP_2)
	v_sub_f32_e32 v18, v19, v18
	v_mul_f32_e32 v14, v16, v14
	s_delay_alu instid0(VALU_DEP_1) | instskip(NEXT) | instid1(VALU_DEP_1)
	v_add_f32_e32 v14, v18, v14
	v_add_f32_e32 v16, v17, v14
	s_delay_alu instid0(VALU_DEP_1) | instskip(NEXT) | instid1(VALU_DEP_1)
	v_mul_f32_e32 v18, v16, v16
	v_fmaak_f32 v19, s19, v18, 0x3ecc95a3
	v_mul_f32_e32 v20, v16, v18
	s_delay_alu instid0(VALU_DEP_2) | instskip(SKIP_2) | instid1(VALU_DEP_3)
	v_fmaak_f32 v18, v18, v19, 0x3f2aaada
	v_ldexp_f32 v19, v16, 1
	v_sub_f32_e32 v16, v16, v17
	v_mul_f32_e32 v18, v20, v18
	v_mul_f32_e32 v20, 0x3f317218, v13
	s_delay_alu instid0(VALU_DEP_2) | instskip(NEXT) | instid1(VALU_DEP_1)
	v_dual_sub_f32 v14, v14, v16 :: v_dual_add_f32 v17, v19, v18
	v_ldexp_f32 v14, v14, 1
	s_delay_alu instid0(VALU_DEP_2) | instskip(NEXT) | instid1(VALU_DEP_4)
	v_sub_f32_e32 v16, v17, v19
	v_fma_f32 v19, 0x3f317218, v13, -v20
	s_delay_alu instid0(VALU_DEP_1) | instskip(NEXT) | instid1(VALU_DEP_1)
	v_dual_sub_f32 v16, v18, v16 :: v_dual_fmac_f32 v19, 0xb102e308, v13
	v_dual_add_f32 v13, v14, v16 :: v_dual_add_f32 v14, v20, v19
	s_delay_alu instid0(VALU_DEP_1) | instskip(NEXT) | instid1(VALU_DEP_2)
	v_add_f32_e32 v16, v17, v13
	v_sub_f32_e32 v20, v14, v20
	s_delay_alu instid0(VALU_DEP_2) | instskip(NEXT) | instid1(VALU_DEP_2)
	v_dual_add_f32 v18, v14, v16 :: v_dual_sub_f32 v17, v16, v17
	v_sub_f32_e32 v19, v19, v20
	s_delay_alu instid0(VALU_DEP_2) | instskip(NEXT) | instid1(VALU_DEP_3)
	v_sub_f32_e32 v21, v18, v14
	v_sub_f32_e32 v13, v13, v17
	s_delay_alu instid0(VALU_DEP_2) | instskip(SKIP_1) | instid1(VALU_DEP_2)
	v_sub_f32_e32 v22, v18, v21
	v_sub_f32_e32 v16, v16, v21
	v_dual_add_f32 v17, v19, v13 :: v_dual_sub_f32 v14, v14, v22
	s_delay_alu instid0(VALU_DEP_1) | instskip(NEXT) | instid1(VALU_DEP_2)
	v_add_f32_e32 v14, v16, v14
	v_sub_f32_e32 v16, v17, v19
	s_delay_alu instid0(VALU_DEP_2) | instskip(NEXT) | instid1(VALU_DEP_2)
	v_add_f32_e32 v14, v17, v14
	v_sub_f32_e32 v17, v17, v16
	s_delay_alu instid0(VALU_DEP_2) | instskip(NEXT) | instid1(VALU_DEP_1)
	v_dual_sub_f32 v13, v13, v16 :: v_dual_add_f32 v20, v18, v14
	v_dual_sub_f32 v16, v19, v17 :: v_dual_sub_f32 v17, v20, v18
	s_delay_alu instid0(VALU_DEP_1) | instskip(NEXT) | instid1(VALU_DEP_1)
	v_dual_add_f32 v13, v13, v16 :: v_dual_sub_f32 v14, v14, v17
	v_add_f32_e32 v13, v13, v14
	s_delay_alu instid0(VALU_DEP_1) | instskip(NEXT) | instid1(VALU_DEP_1)
	v_add_f32_e32 v13, v20, v13
	v_cvt_f16_f32_e32 v13, v13
	s_delay_alu instid0(VALU_DEP_1) | instskip(SKIP_1) | instid1(VALU_DEP_1)
	v_cndmask_b32_e64 v13, v13, v12, s2
	v_cmp_ngt_f16_e64 s2, -1.0, v12
	v_cndmask_b32_e64 v13, 0x7e00, v13, s2
	v_cmp_neq_f16_e64 s2, -1.0, v12
	s_delay_alu instid0(VALU_DEP_1) | instskip(SKIP_1) | instid1(VALU_DEP_1)
	v_cndmask_b32_e64 v13, 0xfc00, v13, s2
	v_cmp_gt_f32_e64 s2, 0x33800000, |v15|
	v_cndmask_b32_e64 v14, v13, v12, s2
	v_add_co_u32 v12, s2, v1, s16
	s_delay_alu instid0(VALU_DEP_1)
	v_add_co_ci_u32_e64 v13, s2, 0, v2, s2
	global_store_b16 v[12:13], v14, off
	s_or_b32 exec_lo, exec_lo, s3
	s_and_saveexec_b32 s2, vcc_lo
	s_cbranch_execz .LBB212_3
.LBB212_19:                             ;   in Loop: Header=BB212_4 Depth=1
	s_waitcnt vmcnt(0)
	v_cvt_f32_f16_e32 v14, v11
	s_delay_alu instid0(VALU_DEP_1) | instskip(NEXT) | instid1(VALU_DEP_1)
	v_add_f32_e32 v15, 1.0, v14
	v_cvt_f64_f32_e32 v[12:13], v15
	s_delay_alu instid0(VALU_DEP_1) | instskip(SKIP_1) | instid1(VALU_DEP_1)
	v_frexp_exp_i32_f64_e32 v12, v[12:13]
	v_frexp_mant_f32_e32 v13, v15
	v_cmp_gt_f32_e32 vcc_lo, 0x3f2aaaab, v13
	v_add_f32_e32 v13, -1.0, v15
	s_delay_alu instid0(VALU_DEP_1) | instskip(SKIP_2) | instid1(VALU_DEP_2)
	v_sub_f32_e32 v17, v13, v15
	v_subrev_co_ci_u32_e32 v12, vcc_lo, 0, v12, vcc_lo
	v_cmp_eq_f16_e32 vcc_lo, 0x7c00, v11
	v_sub_nc_u32_e32 v16, 0, v12
	v_cvt_f32_i32_e32 v12, v12
	s_delay_alu instid0(VALU_DEP_2) | instskip(SKIP_1) | instid1(VALU_DEP_2)
	v_ldexp_f32 v15, v15, v16
	v_sub_f32_e32 v13, v14, v13
	v_dual_add_f32 v17, 1.0, v17 :: v_dual_add_f32 v18, 1.0, v15
	s_delay_alu instid0(VALU_DEP_1) | instskip(NEXT) | instid1(VALU_DEP_1)
	v_add_f32_e32 v13, v13, v17
	v_ldexp_f32 v13, v13, v16
	s_delay_alu instid0(VALU_DEP_3) | instskip(NEXT) | instid1(VALU_DEP_1)
	v_dual_add_f32 v16, -1.0, v15 :: v_dual_add_f32 v17, -1.0, v18
	v_add_f32_e32 v19, 1.0, v16
	s_delay_alu instid0(VALU_DEP_2) | instskip(NEXT) | instid1(VALU_DEP_2)
	v_sub_f32_e32 v17, v15, v17
	v_sub_f32_e32 v15, v15, v19
	s_delay_alu instid0(VALU_DEP_2) | instskip(NEXT) | instid1(VALU_DEP_2)
	v_add_f32_e32 v17, v13, v17
	v_add_f32_e32 v13, v13, v15
	s_delay_alu instid0(VALU_DEP_2) | instskip(NEXT) | instid1(VALU_DEP_2)
	v_add_f32_e32 v19, v18, v17
	v_add_f32_e32 v20, v16, v13
	s_delay_alu instid0(VALU_DEP_2) | instskip(SKIP_1) | instid1(VALU_DEP_1)
	v_rcp_f32_e32 v15, v19
	v_sub_f32_e32 v18, v19, v18
	v_dual_sub_f32 v16, v20, v16 :: v_dual_sub_f32 v17, v17, v18
	s_delay_alu instid0(VALU_DEP_1) | instskip(SKIP_2) | instid1(VALU_DEP_1)
	v_sub_f32_e32 v13, v13, v16
	s_waitcnt_depctr 0xfff
	v_mul_f32_e32 v21, v20, v15
	v_mul_f32_e32 v22, v19, v21
	s_delay_alu instid0(VALU_DEP_1) | instskip(NEXT) | instid1(VALU_DEP_1)
	v_fma_f32 v18, v21, v19, -v22
	v_fmac_f32_e32 v18, v21, v17
	s_delay_alu instid0(VALU_DEP_1) | instskip(NEXT) | instid1(VALU_DEP_1)
	v_add_f32_e32 v23, v22, v18
	v_sub_f32_e32 v24, v20, v23
	v_sub_f32_e32 v16, v23, v22
	s_delay_alu instid0(VALU_DEP_2) | instskip(NEXT) | instid1(VALU_DEP_2)
	v_sub_f32_e32 v20, v20, v24
	v_sub_f32_e32 v16, v16, v18
	s_delay_alu instid0(VALU_DEP_2) | instskip(NEXT) | instid1(VALU_DEP_1)
	v_sub_f32_e32 v20, v20, v23
	v_add_f32_e32 v13, v13, v20
	s_delay_alu instid0(VALU_DEP_1) | instskip(NEXT) | instid1(VALU_DEP_1)
	v_add_f32_e32 v13, v16, v13
	v_add_f32_e32 v16, v24, v13
	s_delay_alu instid0(VALU_DEP_1) | instskip(NEXT) | instid1(VALU_DEP_1)
	v_mul_f32_e32 v18, v15, v16
	v_dual_sub_f32 v23, v24, v16 :: v_dual_mul_f32 v20, v19, v18
	s_delay_alu instid0(VALU_DEP_1) | instskip(NEXT) | instid1(VALU_DEP_1)
	v_fma_f32 v19, v18, v19, -v20
	v_fmac_f32_e32 v19, v18, v17
	s_delay_alu instid0(VALU_DEP_1) | instskip(NEXT) | instid1(VALU_DEP_1)
	v_add_f32_e32 v17, v20, v19
	v_sub_f32_e32 v22, v16, v17
	v_sub_f32_e32 v20, v17, v20
	s_delay_alu instid0(VALU_DEP_2) | instskip(NEXT) | instid1(VALU_DEP_1)
	v_dual_add_f32 v13, v13, v23 :: v_dual_sub_f32 v16, v16, v22
	v_sub_f32_e32 v16, v16, v17
	s_delay_alu instid0(VALU_DEP_1) | instskip(NEXT) | instid1(VALU_DEP_4)
	v_add_f32_e32 v13, v13, v16
	v_dual_add_f32 v16, v21, v18 :: v_dual_sub_f32 v17, v20, v19
	s_delay_alu instid0(VALU_DEP_1) | instskip(NEXT) | instid1(VALU_DEP_2)
	v_add_f32_e32 v13, v17, v13
	v_sub_f32_e32 v17, v16, v21
	s_delay_alu instid0(VALU_DEP_2) | instskip(NEXT) | instid1(VALU_DEP_2)
	v_add_f32_e32 v13, v22, v13
	v_sub_f32_e32 v17, v18, v17
	s_delay_alu instid0(VALU_DEP_2) | instskip(NEXT) | instid1(VALU_DEP_1)
	v_mul_f32_e32 v13, v15, v13
	v_add_f32_e32 v13, v17, v13
	s_delay_alu instid0(VALU_DEP_1) | instskip(NEXT) | instid1(VALU_DEP_1)
	v_add_f32_e32 v15, v16, v13
	v_mul_f32_e32 v17, v15, v15
	s_delay_alu instid0(VALU_DEP_1) | instskip(SKIP_1) | instid1(VALU_DEP_2)
	v_fmaak_f32 v18, s19, v17, 0x3ecc95a3
	v_mul_f32_e32 v19, v15, v17
	v_fmaak_f32 v17, v17, v18, 0x3f2aaada
	v_ldexp_f32 v18, v15, 1
	v_sub_f32_e32 v15, v15, v16
	s_delay_alu instid0(VALU_DEP_3) | instskip(SKIP_1) | instid1(VALU_DEP_2)
	v_mul_f32_e32 v17, v19, v17
	v_mul_f32_e32 v19, 0x3f317218, v12
	v_dual_sub_f32 v13, v13, v15 :: v_dual_add_f32 v16, v18, v17
	s_delay_alu instid0(VALU_DEP_1) | instskip(NEXT) | instid1(VALU_DEP_2)
	v_ldexp_f32 v13, v13, 1
	v_sub_f32_e32 v15, v16, v18
	s_delay_alu instid0(VALU_DEP_4) | instskip(NEXT) | instid1(VALU_DEP_1)
	v_fma_f32 v18, 0x3f317218, v12, -v19
	v_dual_sub_f32 v15, v17, v15 :: v_dual_fmac_f32 v18, 0xb102e308, v12
	s_delay_alu instid0(VALU_DEP_1) | instskip(NEXT) | instid1(VALU_DEP_1)
	v_dual_add_f32 v12, v13, v15 :: v_dual_add_f32 v13, v19, v18
	v_add_f32_e32 v15, v16, v12
	s_delay_alu instid0(VALU_DEP_2) | instskip(NEXT) | instid1(VALU_DEP_2)
	v_sub_f32_e32 v19, v13, v19
	v_dual_add_f32 v17, v13, v15 :: v_dual_sub_f32 v16, v15, v16
	s_delay_alu instid0(VALU_DEP_2) | instskip(NEXT) | instid1(VALU_DEP_2)
	v_sub_f32_e32 v18, v18, v19
	v_sub_f32_e32 v20, v17, v13
	s_delay_alu instid0(VALU_DEP_3) | instskip(NEXT) | instid1(VALU_DEP_2)
	v_sub_f32_e32 v12, v12, v16
	v_sub_f32_e32 v21, v17, v20
	v_sub_f32_e32 v15, v15, v20
	s_delay_alu instid0(VALU_DEP_2) | instskip(NEXT) | instid1(VALU_DEP_1)
	v_dual_add_f32 v16, v18, v12 :: v_dual_sub_f32 v13, v13, v21
	v_add_f32_e32 v13, v15, v13
	s_delay_alu instid0(VALU_DEP_2) | instskip(NEXT) | instid1(VALU_DEP_2)
	v_sub_f32_e32 v15, v16, v18
	v_add_f32_e32 v13, v16, v13
	s_delay_alu instid0(VALU_DEP_2) | instskip(NEXT) | instid1(VALU_DEP_2)
	v_sub_f32_e32 v16, v16, v15
	v_dual_sub_f32 v12, v12, v15 :: v_dual_add_f32 v19, v17, v13
	s_delay_alu instid0(VALU_DEP_1) | instskip(NEXT) | instid1(VALU_DEP_1)
	v_dual_sub_f32 v15, v18, v16 :: v_dual_sub_f32 v16, v19, v17
	v_dual_add_f32 v12, v12, v15 :: v_dual_sub_f32 v13, v13, v16
	s_delay_alu instid0(VALU_DEP_1) | instskip(NEXT) | instid1(VALU_DEP_1)
	v_add_f32_e32 v12, v12, v13
	v_add_f32_e32 v12, v19, v12
	s_delay_alu instid0(VALU_DEP_1) | instskip(NEXT) | instid1(VALU_DEP_1)
	v_cvt_f16_f32_e32 v12, v12
	v_cndmask_b32_e32 v12, v12, v11, vcc_lo
	v_cmp_ngt_f16_e32 vcc_lo, -1.0, v11
	s_delay_alu instid0(VALU_DEP_2) | instskip(SKIP_1) | instid1(VALU_DEP_2)
	v_cndmask_b32_e32 v12, 0x7e00, v12, vcc_lo
	v_cmp_neq_f16_e32 vcc_lo, -1.0, v11
	v_cndmask_b32_e32 v12, 0xfc00, v12, vcc_lo
	v_cmp_gt_f32_e64 vcc_lo, 0x33800000, |v14|
	s_delay_alu instid0(VALU_DEP_2)
	v_cndmask_b32_e32 v13, v12, v11, vcc_lo
	v_add_co_u32 v11, vcc_lo, v1, s18
	v_add_co_ci_u32_e32 v12, vcc_lo, 0, v2, vcc_lo
	global_store_b16 v[11:12], v13, off
	s_branch .LBB212_3
.LBB212_20:
	s_cbranch_execz .LBB212_22
	s_branch .LBB212_25
.LBB212_21:
.LBB212_22:
	v_dual_mov_b32 v2, 0 :: v_dual_lshlrev_b32 v1, 2, v0
	s_mov_b32 s2, 0
	s_mov_b32 s3, exec_lo
	s_delay_alu instid0(VALU_DEP_1)
	v_cmpx_gt_i64_e64 s[6:7], v[1:2]
	s_cbranch_execz .LBB212_25
; %bb.23:
	s_load_b32 s0, s[0:1], 0xd3c
	v_lshlrev_b32_e32 v1, 3, v0
	s_mov_b32 s5, 0x3e9b6dac
	s_waitcnt lgkmcnt(0)
	s_and_b32 s0, s0, 0xffff
	s_delay_alu instid0(SALU_CYCLE_1) | instskip(SKIP_3) | instid1(VALU_DEP_1)
	s_lshl_b32 s3, s0, 2
	s_add_u32 s1, s8, s10
	s_addc_u32 s4, s9, s11
	v_add_co_u32 v3, s1, s1, v1
	v_add_co_ci_u32_e64 v4, null, s4, 0, s1
	v_add_lshl_u32 v1, v0, s0, 2
	s_delay_alu instid0(VALU_DEP_3) | instskip(NEXT) | instid1(VALU_DEP_3)
	v_add_co_u32 v3, vcc_lo, v3, 4
	v_add_co_ci_u32_e32 v4, vcc_lo, 0, v4, vcc_lo
	s_lshl_b32 s4, s0, 3
.LBB212_24:                             ; =>This Inner Loop Header: Depth=1
	global_load_b64 v[5:6], v[3:4], off offset:-4
	v_cmp_lt_u64_e64 s0, 0xffff, v[1:2]
	s_waitcnt vmcnt(0)
	v_cvt_f32_f16_e32 v7, v5
	v_cvt_f32_f16_e32 v10, v6
	v_lshrrev_b32_e32 v0, 16, v5
	v_lshrrev_b32_e32 v8, 16, v6
	s_delay_alu instid0(VALU_DEP_3) | instskip(NEXT) | instid1(VALU_DEP_3)
	v_dual_add_f32 v20, 1.0, v7 :: v_dual_add_f32 v21, 1.0, v10
	v_cvt_f32_f16_e32 v9, v0
	s_delay_alu instid0(VALU_DEP_3) | instskip(NEXT) | instid1(VALU_DEP_3)
	v_cvt_f32_f16_e32 v11, v8
	v_cvt_f64_f32_e32 v[12:13], v20
	s_delay_alu instid0(VALU_DEP_4) | instskip(NEXT) | instid1(VALU_DEP_3)
	v_cvt_f64_f32_e32 v[14:15], v21
	v_dual_add_f32 v22, 1.0, v9 :: v_dual_add_f32 v23, 1.0, v11
	s_delay_alu instid0(VALU_DEP_1) | instskip(NEXT) | instid1(VALU_DEP_2)
	v_cvt_f64_f32_e32 v[16:17], v22
	v_cvt_f64_f32_e32 v[18:19], v23
	v_frexp_mant_f32_e32 v26, v22
	v_frexp_mant_f32_e32 v29, v23
	v_dual_add_f32 v25, -1.0, v22 :: v_dual_add_f32 v28, -1.0, v23
	v_frexp_exp_i32_f64_e32 v12, v[12:13]
	v_frexp_exp_i32_f64_e32 v13, v[14:15]
	v_add_f32_e32 v15, -1.0, v20
	v_frexp_exp_i32_f64_e32 v14, v[16:17]
	v_frexp_exp_i32_f64_e32 v17, v[18:19]
	v_add_f32_e32 v18, -1.0, v21
	v_frexp_mant_f32_e32 v16, v20
	v_frexp_mant_f32_e32 v19, v21
	v_sub_f32_e32 v24, v15, v20
	v_sub_f32_e32 v15, v7, v15
	;; [unrolled: 1-line block ×3, first 2 shown]
	v_cmp_gt_f32_e32 vcc_lo, 0x3f2aaaab, v16
	v_sub_f32_e32 v30, v25, v22
	v_dual_add_f32 v24, 1.0, v24 :: v_dual_sub_f32 v25, v9, v25
	s_delay_alu instid0(VALU_DEP_4) | instskip(NEXT) | instid1(VALU_DEP_3)
	v_add_f32_e32 v27, 1.0, v27
	v_dual_sub_f32 v31, v28, v23 :: v_dual_add_f32 v30, 1.0, v30
	v_sub_f32_e32 v18, v10, v18
	v_sub_f32_e32 v28, v11, v28
	v_add_f32_e32 v15, v15, v24
	s_delay_alu instid0(VALU_DEP_3) | instskip(SKIP_2) | instid1(VALU_DEP_2)
	v_dual_add_f32 v25, v25, v30 :: v_dual_add_f32 v18, v18, v27
	v_subrev_co_ci_u32_e32 v12, vcc_lo, 0, v12, vcc_lo
	v_cmp_gt_f32_e32 vcc_lo, 0x3f2aaaab, v19
	v_sub_nc_u32_e32 v19, 0, v12
	v_cvt_f32_i32_e32 v12, v12
	v_subrev_co_ci_u32_e32 v13, vcc_lo, 0, v13, vcc_lo
	v_cmp_gt_f32_e32 vcc_lo, 0x3f2aaaab, v26
	v_add_f32_e32 v24, 1.0, v31
	v_ldexp_f32 v20, v20, v19
	v_ldexp_f32 v15, v15, v19
	v_mul_f32_e32 v19, 0x3f317218, v12
	v_subrev_co_ci_u32_e32 v14, vcc_lo, 0, v14, vcc_lo
	v_cmp_gt_f32_e32 vcc_lo, 0x3f2aaaab, v29
	v_add_f32_e32 v16, v28, v24
	v_sub_nc_u32_e32 v24, 0, v13
	v_cvt_f32_i32_e32 v13, v13
	v_sub_nc_u32_e32 v26, 0, v14
	v_subrev_co_ci_u32_e32 v17, vcc_lo, 0, v17, vcc_lo
	v_cvt_f32_i32_e32 v14, v14
	v_ldexp_f32 v21, v21, v24
	v_ldexp_f32 v18, v18, v24
	v_dual_mul_f32 v24, 0x3f317218, v13 :: v_dual_add_f32 v29, 1.0, v20
	v_sub_nc_u32_e32 v27, 0, v17
	v_cvt_f32_i32_e32 v17, v17
	v_ldexp_f32 v22, v22, v26
	v_ldexp_f32 v25, v25, v26
	v_dual_mul_f32 v26, 0x3f317218, v14 :: v_dual_add_f32 v35, -1.0, v29
	v_add_f32_e32 v28, -1.0, v20
	v_fma_f32 v30, 0x3f317218, v12, -v19
	v_add_f32_e32 v31, -1.0, v21
	v_fma_f32 v33, 0x3f317218, v13, -v24
	v_ldexp_f32 v23, v23, v27
	v_add_f32_e32 v32, 1.0, v21
	v_ldexp_f32 v16, v16, v27
	v_mul_f32_e32 v27, 0x3f317218, v17
	v_fma_f32 v37, 0x3f317218, v14, -v26
	v_dual_add_f32 v34, 1.0, v28 :: v_dual_fmac_f32 v33, 0xb102e308, v13
	v_dual_fmac_f32 v30, 0xb102e308, v12 :: v_dual_add_f32 v13, -1.0, v23
	s_delay_alu instid0(VALU_DEP_3)
	v_fmac_f32_e32 v37, 0xb102e308, v14
	v_dual_add_f32 v12, -1.0, v22 :: v_dual_add_f32 v39, -1.0, v32
	v_add_f32_e32 v36, 1.0, v22
	v_add_f32_e32 v38, 1.0, v31
	v_fma_f32 v41, 0x3f317218, v17, -v27
	v_sub_f32_e32 v34, v20, v34
	v_dual_sub_f32 v20, v20, v35 :: v_dual_add_f32 v35, v19, v30
	v_cmp_eq_f16_e32 vcc_lo, 0x7c00, v5
	s_delay_alu instid0(VALU_DEP_4) | instskip(SKIP_4) | instid1(VALU_DEP_3)
	v_dual_fmac_f32 v41, 0xb102e308, v17 :: v_dual_sub_f32 v14, v21, v38
	v_sub_f32_e32 v21, v21, v39
	v_dual_add_f32 v40, 1.0, v23 :: v_dual_add_f32 v43, -1.0, v36
	v_dual_add_f32 v38, v24, v33 :: v_dual_sub_f32 v19, v35, v19
	v_dual_add_f32 v39, 1.0, v13 :: v_dual_add_f32 v42, 1.0, v12
	v_dual_add_f32 v17, v15, v34 :: v_dual_add_f32 v44, -1.0, v40
	v_dual_add_f32 v15, v15, v20 :: v_dual_add_f32 v14, v18, v14
	v_add_f32_e32 v18, v18, v21
	s_delay_alu instid0(VALU_DEP_4) | instskip(SKIP_2) | instid1(VALU_DEP_3)
	v_dual_sub_f32 v21, v38, v24 :: v_dual_sub_f32 v24, v23, v39
	v_dual_add_f32 v39, v27, v41 :: v_dual_sub_f32 v20, v22, v42
	v_dual_sub_f32 v23, v23, v44 :: v_dual_sub_f32 v22, v22, v43
	v_sub_f32_e32 v21, v33, v21
	v_dual_add_f32 v34, v26, v37 :: v_dual_add_f32 v43, v29, v15
	v_dual_add_f32 v42, v28, v17 :: v_dual_sub_f32 v19, v30, v19
	s_delay_alu instid0(VALU_DEP_4) | instskip(NEXT) | instid1(VALU_DEP_3)
	v_add_f32_e32 v22, v25, v22
	v_dual_add_f32 v20, v25, v20 :: v_dual_sub_f32 v25, v34, v26
	v_add_f32_e32 v24, v16, v24
	s_delay_alu instid0(VALU_DEP_4) | instskip(NEXT) | instid1(VALU_DEP_4)
	v_dual_add_f32 v16, v16, v23 :: v_dual_sub_f32 v23, v42, v28
	v_add_f32_e32 v44, v36, v22
	v_sub_f32_e32 v28, v43, v29
	v_rcp_f32_e32 v29, v43
	v_dual_add_f32 v33, v12, v20 :: v_dual_add_f32 v26, v31, v14
	v_sub_f32_e32 v17, v17, v23
	v_sub_f32_e32 v23, v44, v36
	;; [unrolled: 1-line block ×3, first 2 shown]
	v_add_f32_e32 v47, v40, v16
	v_dual_add_f32 v30, v32, v18 :: v_dual_sub_f32 v31, v26, v31
	s_delay_alu instid0(TRANS32_DEP_1) | instskip(NEXT) | instid1(VALU_DEP_3)
	v_dual_sub_f32 v27, v39, v27 :: v_dual_mul_f32 v36, v42, v29
	v_sub_f32_e32 v40, v47, v40
	s_delay_alu instid0(VALU_DEP_3) | instskip(NEXT) | instid1(VALU_DEP_3)
	v_rcp_f32_e32 v45, v30
	v_sub_f32_e32 v14, v14, v31
	v_rcp_f32_e32 v31, v47
	v_mul_f32_e32 v48, v43, v36
	v_sub_f32_e32 v16, v16, v40
	s_delay_alu instid0(VALU_DEP_2) | instskip(NEXT) | instid1(VALU_DEP_1)
	v_fma_f32 v51, v36, v43, -v48
	v_dual_add_f32 v46, v13, v24 :: v_dual_fmac_f32 v51, v36, v15
	s_waitcnt_depctr 0xfff
	v_mul_f32_e32 v50, v46, v31
	v_sub_f32_e32 v32, v30, v32
	v_dual_sub_f32 v13, v46, v13 :: v_dual_sub_f32 v12, v33, v12
	v_add_f32_e32 v55, v48, v51
	s_delay_alu instid0(VALU_DEP_3) | instskip(NEXT) | instid1(VALU_DEP_3)
	v_dual_mul_f32 v53, v47, v50 :: v_dual_sub_f32 v18, v18, v32
	v_sub_f32_e32 v13, v24, v13
	s_delay_alu instid0(VALU_DEP_4) | instskip(NEXT) | instid1(VALU_DEP_4)
	v_sub_f32_e32 v12, v20, v12
	v_sub_f32_e32 v56, v42, v55
	s_delay_alu instid0(VALU_DEP_4) | instskip(NEXT) | instid1(VALU_DEP_2)
	v_fma_f32 v54, v50, v47, -v53
	v_sub_f32_e32 v42, v42, v56
	s_delay_alu instid0(VALU_DEP_2) | instskip(NEXT) | instid1(VALU_DEP_1)
	v_fmac_f32_e32 v54, v50, v16
	v_dual_mul_f32 v32, v26, v45 :: v_dual_add_f32 v59, v53, v54
	s_delay_alu instid0(VALU_DEP_1) | instskip(SKIP_2) | instid1(VALU_DEP_3)
	v_mul_f32_e32 v49, v30, v32
	v_rcp_f32_e32 v28, v44
	v_sub_f32_e32 v42, v42, v55
	v_dual_sub_f32 v22, v22, v23 :: v_dual_sub_f32 v53, v59, v53
	s_delay_alu instid0(VALU_DEP_3) | instskip(NEXT) | instid1(VALU_DEP_3)
	v_fma_f32 v52, v32, v30, -v49
	v_add_f32_e32 v17, v17, v42
	s_waitcnt_depctr 0xfff
	v_mul_f32_e32 v20, v33, v28
	s_delay_alu instid0(VALU_DEP_1) | instskip(NEXT) | instid1(VALU_DEP_1)
	v_mul_f32_e32 v23, v44, v20
	v_fma_f32 v40, v20, v44, -v23
	s_delay_alu instid0(VALU_DEP_1) | instskip(NEXT) | instid1(VALU_DEP_1)
	v_fmac_f32_e32 v40, v20, v22
	v_add_f32_e32 v57, v23, v40
	s_delay_alu instid0(VALU_DEP_1) | instskip(NEXT) | instid1(VALU_DEP_1)
	v_dual_sub_f32 v23, v57, v23 :: v_dual_sub_f32 v48, v55, v48
	v_dual_sub_f32 v48, v48, v51 :: v_dual_sub_f32 v51, v33, v57
	s_delay_alu instid0(VALU_DEP_1) | instskip(NEXT) | instid1(VALU_DEP_2)
	v_add_f32_e32 v17, v48, v17
	v_sub_f32_e32 v33, v33, v51
	s_delay_alu instid0(VALU_DEP_1) | instskip(NEXT) | instid1(VALU_DEP_1)
	v_dual_sub_f32 v33, v33, v57 :: v_dual_fmac_f32 v52, v32, v18
	v_dual_sub_f32 v23, v23, v40 :: v_dual_add_f32 v12, v12, v33
	s_delay_alu instid0(VALU_DEP_2) | instskip(NEXT) | instid1(VALU_DEP_1)
	v_add_f32_e32 v24, v49, v52
	v_dual_add_f32 v12, v23, v12 :: v_dual_sub_f32 v49, v24, v49
	v_sub_f32_e32 v58, v26, v24
	s_delay_alu instid0(VALU_DEP_2) | instskip(NEXT) | instid1(VALU_DEP_2)
	v_add_f32_e32 v40, v51, v12
	v_dual_sub_f32 v49, v49, v52 :: v_dual_sub_f32 v26, v26, v58
	s_delay_alu instid0(VALU_DEP_2) | instskip(NEXT) | instid1(VALU_DEP_2)
	v_dual_sub_f32 v52, v46, v59 :: v_dual_sub_f32 v51, v51, v40
	v_sub_f32_e32 v24, v26, v24
	s_delay_alu instid0(VALU_DEP_2) | instskip(NEXT) | instid1(VALU_DEP_2)
	v_sub_f32_e32 v26, v46, v52
	v_add_f32_e32 v14, v14, v24
	s_delay_alu instid0(VALU_DEP_2) | instskip(SKIP_1) | instid1(VALU_DEP_2)
	v_sub_f32_e32 v24, v26, v59
	v_dual_sub_f32 v26, v53, v54 :: v_dual_mul_f32 v53, v28, v40
	v_dual_add_f32 v13, v13, v24 :: v_dual_add_f32 v24, v56, v17
	s_delay_alu instid0(VALU_DEP_1) | instskip(SKIP_1) | instid1(VALU_DEP_2)
	v_dual_add_f32 v13, v26, v13 :: v_dual_mul_f32 v26, v29, v24
	v_dual_sub_f32 v33, v56, v24 :: v_dual_add_f32 v14, v49, v14
	v_mul_f32_e32 v49, v43, v26
	s_delay_alu instid0(VALU_DEP_2) | instskip(SKIP_2) | instid1(VALU_DEP_4)
	v_add_f32_e32 v17, v17, v33
	v_add_f32_e32 v33, v36, v26
	;; [unrolled: 1-line block ×3, first 2 shown]
	v_fma_f32 v43, v26, v43, -v49
	s_delay_alu instid0(VALU_DEP_3) | instskip(NEXT) | instid1(VALU_DEP_3)
	v_sub_f32_e32 v36, v33, v36
	v_mul_f32_e32 v55, v31, v48
	s_delay_alu instid0(VALU_DEP_3) | instskip(SKIP_1) | instid1(VALU_DEP_4)
	v_fmac_f32_e32 v43, v26, v15
	v_add_f32_e32 v23, v58, v14
	v_dual_sub_f32 v15, v26, v36 :: v_dual_mul_f32 v56, v44, v53
	s_delay_alu instid0(VALU_DEP_4) | instskip(NEXT) | instid1(VALU_DEP_4)
	v_mul_f32_e32 v57, v47, v55
	v_add_f32_e32 v36, v49, v43
	s_delay_alu instid0(VALU_DEP_4) | instskip(NEXT) | instid1(VALU_DEP_4)
	v_sub_f32_e32 v46, v58, v23
	v_fma_f32 v26, v53, v44, -v56
	s_delay_alu instid0(VALU_DEP_2) | instskip(NEXT) | instid1(VALU_DEP_2)
	v_add_f32_e32 v14, v14, v46
	v_fmac_f32_e32 v26, v53, v22
	s_delay_alu instid0(VALU_DEP_1) | instskip(SKIP_1) | instid1(VALU_DEP_1)
	v_add_f32_e32 v44, v56, v26
	v_mul_f32_e32 v42, v45, v23
	v_mul_f32_e32 v54, v30, v42
	s_delay_alu instid0(VALU_DEP_1) | instskip(NEXT) | instid1(VALU_DEP_1)
	v_fma_f32 v30, v42, v30, -v54
	v_fmac_f32_e32 v30, v42, v18
	v_fma_f32 v18, v55, v47, -v57
	s_delay_alu instid0(VALU_DEP_2) | instskip(NEXT) | instid1(VALU_DEP_2)
	v_add_f32_e32 v22, v54, v30
	v_fmac_f32_e32 v18, v55, v16
	s_delay_alu instid0(VALU_DEP_2) | instskip(SKIP_2) | instid1(VALU_DEP_3)
	v_dual_sub_f32 v16, v36, v49 :: v_dual_sub_f32 v47, v22, v54
	v_add_f32_e32 v12, v12, v51
	v_add_f32_e32 v51, v20, v53
	v_sub_f32_e32 v16, v16, v43
	v_sub_f32_e32 v43, v44, v56
	v_sub_f32_e32 v49, v23, v22
	v_add_f32_e32 v54, v57, v18
	v_sub_f32_e32 v20, v51, v20
	v_add_f32_e32 v46, v32, v42
	v_sub_f32_e32 v30, v47, v30
	v_sub_f32_e32 v23, v23, v49
	;; [unrolled: 1-line block ×5, first 2 shown]
	s_delay_alu instid0(VALU_DEP_3) | instskip(NEXT) | instid1(VALU_DEP_3)
	v_dual_sub_f32 v22, v23, v22 :: v_dual_sub_f32 v23, v48, v47
	v_add_f32_e32 v13, v13, v52
	s_delay_alu instid0(VALU_DEP_3) | instskip(SKIP_1) | instid1(VALU_DEP_4)
	v_sub_f32_e32 v32, v42, v32
	v_sub_f32_e32 v42, v24, v36
	v_add_f32_e32 v14, v14, v22
	v_sub_f32_e32 v22, v23, v54
	s_delay_alu instid0(VALU_DEP_3) | instskip(NEXT) | instid1(VALU_DEP_3)
	v_sub_f32_e32 v24, v24, v42
	v_add_f32_e32 v14, v30, v14
	s_delay_alu instid0(VALU_DEP_2) | instskip(SKIP_1) | instid1(VALU_DEP_3)
	v_dual_add_f32 v13, v13, v22 :: v_dual_sub_f32 v24, v24, v36
	v_sub_f32_e32 v36, v54, v57
	v_add_f32_e32 v14, v49, v14
	s_delay_alu instid0(VALU_DEP_3) | instskip(NEXT) | instid1(VALU_DEP_2)
	v_dual_add_f32 v17, v17, v24 :: v_dual_sub_f32 v24, v43, v26
	v_mul_f32_e32 v14, v45, v14
	s_delay_alu instid0(VALU_DEP_2) | instskip(NEXT) | instid1(VALU_DEP_1)
	v_add_f32_e32 v16, v16, v17
	v_dual_sub_f32 v17, v36, v18 :: v_dual_add_f32 v16, v42, v16
	s_delay_alu instid0(VALU_DEP_1) | instskip(SKIP_2) | instid1(VALU_DEP_3)
	v_add_f32_e32 v13, v17, v13
	v_sub_f32_e32 v17, v53, v20
	v_sub_f32_e32 v20, v37, v25
	v_dual_mul_f32 v16, v29, v16 :: v_dual_add_f32 v13, v47, v13
	s_delay_alu instid0(VALU_DEP_1) | instskip(NEXT) | instid1(VALU_DEP_2)
	v_add_f32_e32 v15, v15, v16
	v_dual_mul_f32 v13, v31, v13 :: v_dual_add_f32 v52, v50, v55
	s_delay_alu instid0(VALU_DEP_1) | instskip(NEXT) | instid1(VALU_DEP_1)
	v_sub_f32_e32 v18, v52, v50
	v_sub_f32_e32 v16, v55, v18
	s_delay_alu instid0(VALU_DEP_1) | instskip(NEXT) | instid1(VALU_DEP_1)
	v_dual_add_f32 v18, v33, v15 :: v_dual_add_f32 v13, v16, v13
	v_mul_f32_e32 v16, v18, v18
	v_sub_f32_e32 v22, v18, v33
	v_ldexp_f32 v23, v18, 1
	s_delay_alu instid0(VALU_DEP_3) | instskip(NEXT) | instid1(VALU_DEP_3)
	v_dual_add_f32 v29, v52, v13 :: v_dual_fmaak_f32 v30, s5, v16, 0x3ecc95a3
	v_dual_sub_f32 v15, v15, v22 :: v_dual_mul_f32 v18, v18, v16
	s_delay_alu instid0(VALU_DEP_2) | instskip(NEXT) | instid1(VALU_DEP_3)
	v_sub_f32_e32 v36, v29, v52
	v_fmaak_f32 v16, v16, v30, 0x3f2aaada
	v_ldexp_f32 v37, v29, 1
	s_delay_alu instid0(VALU_DEP_4) | instskip(NEXT) | instid1(VALU_DEP_4)
	v_ldexp_f32 v15, v15, 1
	v_sub_f32_e32 v13, v13, v36
	s_delay_alu instid0(VALU_DEP_4) | instskip(NEXT) | instid1(VALU_DEP_2)
	v_mul_f32_e32 v16, v18, v16
	v_ldexp_f32 v13, v13, 1
	v_sub_f32_e32 v56, v40, v44
	s_delay_alu instid0(VALU_DEP_1) | instskip(NEXT) | instid1(VALU_DEP_1)
	v_sub_f32_e32 v40, v40, v56
	v_sub_f32_e32 v26, v40, v44
	s_delay_alu instid0(VALU_DEP_1) | instskip(NEXT) | instid1(VALU_DEP_1)
	v_add_f32_e32 v12, v12, v26
	v_add_f32_e32 v12, v24, v12
	s_delay_alu instid0(VALU_DEP_1) | instskip(NEXT) | instid1(VALU_DEP_1)
	v_add_f32_e32 v12, v56, v12
	v_mul_f32_e32 v12, v28, v12
	s_delay_alu instid0(VALU_DEP_1) | instskip(NEXT) | instid1(VALU_DEP_1)
	v_add_f32_e32 v12, v17, v12
	v_add_f32_e32 v24, v51, v12
	s_delay_alu instid0(VALU_DEP_1) | instskip(SKIP_3) | instid1(VALU_DEP_3)
	v_sub_f32_e32 v31, v24, v51
	v_add_f32_e32 v14, v32, v14
	v_mul_f32_e32 v22, v24, v24
	v_ldexp_f32 v32, v24, 1
	v_dual_sub_f32 v12, v12, v31 :: v_dual_add_f32 v17, v46, v14
	s_delay_alu instid0(VALU_DEP_3) | instskip(SKIP_1) | instid1(VALU_DEP_3)
	v_fmaak_f32 v30, s5, v22, 0x3ecc95a3
	v_mul_f32_e32 v24, v24, v22
	v_ldexp_f32 v12, v12, 1
	s_delay_alu instid0(VALU_DEP_4) | instskip(SKIP_3) | instid1(VALU_DEP_3)
	v_mul_f32_e32 v25, v17, v17
	v_sub_f32_e32 v26, v17, v46
	v_ldexp_f32 v28, v17, 1
	v_fmaak_f32 v22, v22, v30, 0x3f2aaada
	v_dual_fmaak_f32 v33, s5, v25, 0x3ecc95a3 :: v_dual_sub_f32 v14, v14, v26
	v_mul_f32_e32 v26, v29, v29
	s_delay_alu instid0(VALU_DEP_3) | instskip(NEXT) | instid1(VALU_DEP_3)
	v_dual_mul_f32 v17, v17, v25 :: v_dual_mul_f32 v22, v24, v22
	v_fmaak_f32 v25, v25, v33, 0x3f2aaada
	s_delay_alu instid0(VALU_DEP_4) | instskip(NEXT) | instid1(VALU_DEP_4)
	v_ldexp_f32 v14, v14, 1
	v_fmaak_f32 v31, s5, v26, 0x3ecc95a3
	v_mul_f32_e32 v18, v29, v26
	s_delay_alu instid0(VALU_DEP_4) | instskip(NEXT) | instid1(VALU_DEP_3)
	v_mul_f32_e32 v17, v17, v25
	v_dual_fmaak_f32 v25, v26, v31, 0x3f2aaada :: v_dual_add_f32 v26, v23, v16
	s_delay_alu instid0(VALU_DEP_2) | instskip(NEXT) | instid1(VALU_DEP_2)
	v_add_f32_e32 v24, v28, v17
	v_mul_f32_e32 v18, v18, v25
	s_delay_alu instid0(VALU_DEP_3) | instskip(SKIP_1) | instid1(VALU_DEP_3)
	v_sub_f32_e32 v23, v26, v23
	v_add_f32_e32 v25, v32, v22
	v_dual_sub_f32 v28, v24, v28 :: v_dual_add_f32 v29, v37, v18
	s_delay_alu instid0(VALU_DEP_2) | instskip(NEXT) | instid1(VALU_DEP_2)
	v_dual_sub_f32 v16, v16, v23 :: v_dual_sub_f32 v23, v25, v32
	v_sub_f32_e32 v17, v17, v28
	s_delay_alu instid0(VALU_DEP_2) | instskip(NEXT) | instid1(VALU_DEP_3)
	v_dual_sub_f32 v28, v29, v37 :: v_dual_add_f32 v15, v15, v16
	v_sub_f32_e32 v16, v22, v23
	s_delay_alu instid0(VALU_DEP_3) | instskip(NEXT) | instid1(VALU_DEP_3)
	v_add_f32_e32 v14, v14, v17
	v_dual_sub_f32 v22, v41, v27 :: v_dual_sub_f32 v17, v18, v28
	s_delay_alu instid0(VALU_DEP_4) | instskip(NEXT) | instid1(VALU_DEP_2)
	v_add_f32_e32 v18, v26, v15
	v_dual_add_f32 v12, v12, v16 :: v_dual_add_f32 v13, v13, v17
	s_delay_alu instid0(VALU_DEP_2) | instskip(NEXT) | instid1(VALU_DEP_2)
	v_sub_f32_e32 v17, v18, v26
	v_dual_add_f32 v23, v35, v18 :: v_dual_add_f32 v26, v25, v12
	s_delay_alu instid0(VALU_DEP_3) | instskip(NEXT) | instid1(VALU_DEP_3)
	v_add_f32_e32 v28, v29, v13
	v_sub_f32_e32 v15, v15, v17
	s_delay_alu instid0(VALU_DEP_3) | instskip(NEXT) | instid1(VALU_DEP_4)
	v_sub_f32_e32 v17, v23, v35
	v_sub_f32_e32 v25, v26, v25
	s_delay_alu instid0(VALU_DEP_4) | instskip(SKIP_1) | instid1(VALU_DEP_4)
	v_dual_add_f32 v30, v34, v26 :: v_dual_sub_f32 v29, v28, v29
	v_add_f32_e32 v31, v39, v28
	v_sub_f32_e32 v32, v23, v17
	v_dual_sub_f32 v17, v18, v17 :: v_dual_add_f32 v18, v19, v15
	s_delay_alu instid0(VALU_DEP_4) | instskip(NEXT) | instid1(VALU_DEP_3)
	v_dual_sub_f32 v12, v12, v25 :: v_dual_sub_f32 v25, v30, v34
	v_dual_sub_f32 v32, v35, v32 :: v_dual_sub_f32 v13, v13, v29
	s_delay_alu instid0(VALU_DEP_3) | instskip(NEXT) | instid1(VALU_DEP_3)
	v_sub_f32_e32 v35, v18, v19
	v_dual_sub_f32 v29, v31, v39 :: v_dual_sub_f32 v36, v30, v25
	s_delay_alu instid0(VALU_DEP_3) | instskip(SKIP_1) | instid1(VALU_DEP_4)
	v_add_f32_e32 v17, v17, v32
	v_sub_f32_e32 v25, v26, v25
	v_sub_f32_e32 v32, v18, v35
	v_dual_sub_f32 v15, v15, v35 :: v_dual_add_f32 v26, v20, v12
	s_delay_alu instid0(VALU_DEP_4) | instskip(SKIP_1) | instid1(VALU_DEP_4)
	v_add_f32_e32 v17, v18, v17
	v_sub_f32_e32 v34, v34, v36
	v_dual_sub_f32 v19, v19, v32 :: v_dual_sub_f32 v28, v28, v29
	s_delay_alu instid0(VALU_DEP_2) | instskip(NEXT) | instid1(VALU_DEP_2)
	v_dual_sub_f32 v35, v26, v20 :: v_dual_add_f32 v18, v25, v34
	v_add_f32_e32 v15, v15, v19
	v_add_f32_e32 v19, v23, v17
	s_delay_alu instid0(VALU_DEP_3) | instskip(SKIP_1) | instid1(VALU_DEP_3)
	v_sub_f32_e32 v25, v26, v35
	v_sub_f32_e32 v12, v12, v35
	v_dual_add_f32 v18, v26, v18 :: v_dual_sub_f32 v23, v19, v23
	s_delay_alu instid0(VALU_DEP_1) | instskip(NEXT) | instid1(VALU_DEP_1)
	v_dual_sub_f32 v20, v20, v25 :: v_dual_add_f32 v25, v30, v18
	v_dual_sub_f32 v17, v17, v23 :: v_dual_add_f32 v12, v12, v20
	s_delay_alu instid0(VALU_DEP_1) | instskip(NEXT) | instid1(VALU_DEP_1)
	v_dual_sub_f32 v20, v25, v30 :: v_dual_add_f32 v15, v15, v17
	v_sub_f32_e32 v17, v18, v20
	s_delay_alu instid0(VALU_DEP_2) | instskip(NEXT) | instid1(VALU_DEP_2)
	v_dual_add_f32 v15, v19, v15 :: v_dual_add_f32 v16, v24, v14
	v_add_f32_e32 v12, v12, v17
	s_delay_alu instid0(VALU_DEP_2) | instskip(NEXT) | instid1(VALU_DEP_3)
	v_cvt_f16_f32_e32 v15, v15
	v_sub_f32_e32 v24, v16, v24
	v_add_f32_e32 v27, v38, v16
	s_delay_alu instid0(VALU_DEP_3) | instskip(NEXT) | instid1(VALU_DEP_3)
	v_dual_add_f32 v12, v25, v12 :: v_dual_cndmask_b32 v15, v15, v5
	v_sub_f32_e32 v14, v14, v24
	s_delay_alu instid0(VALU_DEP_3) | instskip(SKIP_1) | instid1(VALU_DEP_4)
	v_sub_f32_e32 v24, v27, v38
	v_cmp_eq_f16_e32 vcc_lo, 0x7c00, v6
	v_cvt_f16_f32_e32 v12, v12
	s_delay_alu instid0(VALU_DEP_3) | instskip(SKIP_1) | instid1(VALU_DEP_2)
	v_sub_f32_e32 v33, v27, v24
	v_sub_f32_e32 v16, v16, v24
	v_dual_add_f32 v24, v21, v14 :: v_dual_sub_f32 v33, v38, v33
	v_sub_f32_e32 v38, v31, v29
	s_delay_alu instid0(VALU_DEP_2) | instskip(SKIP_1) | instid1(VALU_DEP_4)
	v_sub_f32_e32 v37, v24, v21
	v_add_f32_e32 v29, v22, v13
	v_add_f32_e32 v16, v16, v33
	s_delay_alu instid0(VALU_DEP_3) | instskip(NEXT) | instid1(VALU_DEP_3)
	v_dual_sub_f32 v36, v39, v38 :: v_dual_sub_f32 v33, v24, v37
	v_dual_sub_f32 v14, v14, v37 :: v_dual_sub_f32 v37, v29, v22
	s_delay_alu instid0(VALU_DEP_3) | instskip(NEXT) | instid1(VALU_DEP_3)
	v_add_f32_e32 v16, v24, v16
	v_dual_add_f32 v24, v28, v36 :: v_dual_sub_f32 v21, v21, v33
	s_delay_alu instid0(VALU_DEP_3) | instskip(SKIP_1) | instid1(VALU_DEP_3)
	v_sub_f32_e32 v28, v29, v37
	v_sub_f32_e32 v13, v13, v37
	v_add_f32_e32 v24, v29, v24
	s_delay_alu instid0(VALU_DEP_4) | instskip(NEXT) | instid1(VALU_DEP_4)
	v_dual_add_f32 v14, v14, v21 :: v_dual_add_f32 v21, v27, v16
	v_sub_f32_e32 v22, v22, v28
	s_delay_alu instid0(VALU_DEP_2) | instskip(NEXT) | instid1(VALU_DEP_2)
	v_dual_sub_f32 v26, v21, v27 :: v_dual_add_f32 v27, v31, v24
	v_add_f32_e32 v13, v13, v22
	s_delay_alu instid0(VALU_DEP_2) | instskip(NEXT) | instid1(VALU_DEP_1)
	v_dual_sub_f32 v16, v16, v26 :: v_dual_sub_f32 v23, v27, v31
	v_add_f32_e32 v14, v14, v16
	s_delay_alu instid0(VALU_DEP_2) | instskip(NEXT) | instid1(VALU_DEP_2)
	v_sub_f32_e32 v16, v24, v23
	v_add_f32_e32 v14, v21, v14
	s_delay_alu instid0(VALU_DEP_2) | instskip(NEXT) | instid1(VALU_DEP_2)
	v_add_f32_e32 v13, v13, v16
	v_cvt_f16_f32_e32 v14, v14
	s_delay_alu instid0(VALU_DEP_1) | instskip(SKIP_1) | instid1(VALU_DEP_2)
	v_dual_add_f32 v13, v27, v13 :: v_dual_cndmask_b32 v14, v14, v6
	v_cmp_ngt_f16_e32 vcc_lo, -1.0, v5
	v_cvt_f16_f32_e32 v13, v13
	v_cndmask_b32_e32 v15, 0x7e00, v15, vcc_lo
	v_cmp_eq_f16_e32 vcc_lo, 0x7c00, v0
	v_cndmask_b32_e32 v12, v12, v0, vcc_lo
	v_cmp_ngt_f16_e32 vcc_lo, -1.0, v6
	v_cndmask_b32_e32 v14, 0x7e00, v14, vcc_lo
	v_cmp_eq_f16_e32 vcc_lo, 0x7c00, v8
	v_cndmask_b32_e32 v13, v13, v8, vcc_lo
	v_cmp_neq_f16_e32 vcc_lo, -1.0, v5
	v_cndmask_b32_e32 v15, 0xfc00, v15, vcc_lo
	v_cmp_ngt_f16_e32 vcc_lo, -1.0, v0
	v_cndmask_b32_e32 v12, 0x7e00, v12, vcc_lo
	v_cmp_ngt_f16_e32 vcc_lo, -1.0, v8
	v_cndmask_b32_e32 v13, 0x7e00, v13, vcc_lo
	v_cmp_neq_f16_e32 vcc_lo, -1.0, v6
	v_cndmask_b32_e32 v14, 0xfc00, v14, vcc_lo
	v_cmp_gt_f32_e64 vcc_lo, 0x33800000, |v7|
	v_cndmask_b32_e32 v5, v15, v5, vcc_lo
	v_cmp_neq_f16_e32 vcc_lo, -1.0, v8
	v_cndmask_b32_e32 v7, 0xfc00, v13, vcc_lo
	v_cmp_neq_f16_e32 vcc_lo, -1.0, v0
	v_cndmask_b32_e32 v12, 0xfc00, v12, vcc_lo
	v_cmp_gt_f32_e64 vcc_lo, 0x33800000, |v10|
	v_cndmask_b32_e32 v6, v14, v6, vcc_lo
	v_cmp_gt_f32_e64 vcc_lo, 0x33800000, |v11|
	;; [unrolled: 2-line block ×3, first 2 shown]
	s_delay_alu instid0(VALU_DEP_2) | instskip(SKIP_3) | instid1(VALU_DEP_1)
	v_perm_b32 v6, v7, v6, 0x5040100
	v_cndmask_b32_e32 v0, v12, v0, vcc_lo
	v_cmp_le_i64_e32 vcc_lo, s[6:7], v[1:2]
	v_add_co_u32 v1, s1, v1, s3
	v_add_co_ci_u32_e64 v2, s1, 0, v2, s1
	s_delay_alu instid0(VALU_DEP_4) | instskip(SKIP_1) | instid1(SALU_CYCLE_1)
	v_perm_b32 v5, v0, v5, 0x5040100
	s_or_b32 s0, vcc_lo, s0
	s_and_b32 s0, exec_lo, s0
	global_store_b64 v[3:4], v[5:6], off offset:-4
	v_add_co_u32 v3, vcc_lo, v3, s4
	v_add_co_ci_u32_e32 v4, vcc_lo, 0, v4, vcc_lo
	s_or_b32 s2, s0, s2
	s_delay_alu instid0(SALU_CYCLE_1)
	s_and_not1_b32 exec_lo, exec_lo, s2
	s_cbranch_execnz .LBB212_24
.LBB212_25:
	s_nop 0
	s_sendmsg sendmsg(MSG_DEALLOC_VGPRS)
	s_endpgm
	.section	.rodata,"a",@progbits
	.p2align	6, 0x0
	.amdhsa_kernel _ZN2at6native12_GLOBAL__N_125multi_tensor_apply_kernelINS1_18TensorListMetadataILi1EEENS1_14UnaryOpFunctorIN3c104HalfELi1ELi1ELi0EEEJNS0_5Log1pIfEEEEEvT_T0_DpT1_
		.amdhsa_group_segment_fixed_size 0
		.amdhsa_private_segment_fixed_size 0
		.amdhsa_kernarg_size 3632
		.amdhsa_user_sgpr_count 15
		.amdhsa_user_sgpr_dispatch_ptr 0
		.amdhsa_user_sgpr_queue_ptr 0
		.amdhsa_user_sgpr_kernarg_segment_ptr 1
		.amdhsa_user_sgpr_dispatch_id 0
		.amdhsa_user_sgpr_private_segment_size 0
		.amdhsa_wavefront_size32 1
		.amdhsa_uses_dynamic_stack 0
		.amdhsa_enable_private_segment 0
		.amdhsa_system_sgpr_workgroup_id_x 1
		.amdhsa_system_sgpr_workgroup_id_y 0
		.amdhsa_system_sgpr_workgroup_id_z 0
		.amdhsa_system_sgpr_workgroup_info 0
		.amdhsa_system_vgpr_workitem_id 0
		.amdhsa_next_free_vgpr 60
		.amdhsa_next_free_sgpr 21
		.amdhsa_reserve_vcc 1
		.amdhsa_float_round_mode_32 0
		.amdhsa_float_round_mode_16_64 0
		.amdhsa_float_denorm_mode_32 3
		.amdhsa_float_denorm_mode_16_64 3
		.amdhsa_dx10_clamp 1
		.amdhsa_ieee_mode 1
		.amdhsa_fp16_overflow 0
		.amdhsa_workgroup_processor_mode 1
		.amdhsa_memory_ordered 1
		.amdhsa_forward_progress 0
		.amdhsa_shared_vgpr_count 0
		.amdhsa_exception_fp_ieee_invalid_op 0
		.amdhsa_exception_fp_denorm_src 0
		.amdhsa_exception_fp_ieee_div_zero 0
		.amdhsa_exception_fp_ieee_overflow 0
		.amdhsa_exception_fp_ieee_underflow 0
		.amdhsa_exception_fp_ieee_inexact 0
		.amdhsa_exception_int_div_zero 0
	.end_amdhsa_kernel
	.section	.text._ZN2at6native12_GLOBAL__N_125multi_tensor_apply_kernelINS1_18TensorListMetadataILi1EEENS1_14UnaryOpFunctorIN3c104HalfELi1ELi1ELi0EEEJNS0_5Log1pIfEEEEEvT_T0_DpT1_,"axG",@progbits,_ZN2at6native12_GLOBAL__N_125multi_tensor_apply_kernelINS1_18TensorListMetadataILi1EEENS1_14UnaryOpFunctorIN3c104HalfELi1ELi1ELi0EEEJNS0_5Log1pIfEEEEEvT_T0_DpT1_,comdat
.Lfunc_end212:
	.size	_ZN2at6native12_GLOBAL__N_125multi_tensor_apply_kernelINS1_18TensorListMetadataILi1EEENS1_14UnaryOpFunctorIN3c104HalfELi1ELi1ELi0EEEJNS0_5Log1pIfEEEEEvT_T0_DpT1_, .Lfunc_end212-_ZN2at6native12_GLOBAL__N_125multi_tensor_apply_kernelINS1_18TensorListMetadataILi1EEENS1_14UnaryOpFunctorIN3c104HalfELi1ELi1ELi0EEEJNS0_5Log1pIfEEEEEvT_T0_DpT1_
                                        ; -- End function
	.section	.AMDGPU.csdata,"",@progbits
; Kernel info:
; codeLenInByte = 6504
; NumSgprs: 23
; NumVgprs: 60
; ScratchSize: 0
; MemoryBound: 0
; FloatMode: 240
; IeeeMode: 1
; LDSByteSize: 0 bytes/workgroup (compile time only)
; SGPRBlocks: 2
; VGPRBlocks: 7
; NumSGPRsForWavesPerEU: 23
; NumVGPRsForWavesPerEU: 60
; Occupancy: 16
; WaveLimiterHint : 0
; COMPUTE_PGM_RSRC2:SCRATCH_EN: 0
; COMPUTE_PGM_RSRC2:USER_SGPR: 15
; COMPUTE_PGM_RSRC2:TRAP_HANDLER: 0
; COMPUTE_PGM_RSRC2:TGID_X_EN: 1
; COMPUTE_PGM_RSRC2:TGID_Y_EN: 0
; COMPUTE_PGM_RSRC2:TGID_Z_EN: 0
; COMPUTE_PGM_RSRC2:TIDIG_COMP_CNT: 0
	.section	.text._ZN2at6native12_GLOBAL__N_125multi_tensor_apply_kernelINS1_18TensorListMetadataILi1EEENS1_14UnaryOpFunctorIN3c108BFloat16ELi1ELi1ELi0EEEJNS0_5Log1pIfEEEEEvT_T0_DpT1_,"axG",@progbits,_ZN2at6native12_GLOBAL__N_125multi_tensor_apply_kernelINS1_18TensorListMetadataILi1EEENS1_14UnaryOpFunctorIN3c108BFloat16ELi1ELi1ELi0EEEJNS0_5Log1pIfEEEEEvT_T0_DpT1_,comdat
	.globl	_ZN2at6native12_GLOBAL__N_125multi_tensor_apply_kernelINS1_18TensorListMetadataILi1EEENS1_14UnaryOpFunctorIN3c108BFloat16ELi1ELi1ELi0EEEJNS0_5Log1pIfEEEEEvT_T0_DpT1_ ; -- Begin function _ZN2at6native12_GLOBAL__N_125multi_tensor_apply_kernelINS1_18TensorListMetadataILi1EEENS1_14UnaryOpFunctorIN3c108BFloat16ELi1ELi1ELi0EEEJNS0_5Log1pIfEEEEEvT_T0_DpT1_
	.p2align	8
	.type	_ZN2at6native12_GLOBAL__N_125multi_tensor_apply_kernelINS1_18TensorListMetadataILi1EEENS1_14UnaryOpFunctorIN3c108BFloat16ELi1ELi1ELi0EEEJNS0_5Log1pIfEEEEEvT_T0_DpT1_,@function
_ZN2at6native12_GLOBAL__N_125multi_tensor_apply_kernelINS1_18TensorListMetadataILi1EEENS1_14UnaryOpFunctorIN3c108BFloat16ELi1ELi1ELi0EEEJNS0_5Log1pIfEEEEEvT_T0_DpT1_: ; @_ZN2at6native12_GLOBAL__N_125multi_tensor_apply_kernelINS1_18TensorListMetadataILi1EEENS1_14UnaryOpFunctorIN3c108BFloat16ELi1ELi1ELi0EEEJNS0_5Log1pIfEEEEEvT_T0_DpT1_
; %bb.0:
	v_mov_b32_e32 v1, s15
	s_add_u32 s2, s0, s15
	s_mul_hi_u32 s3, s15, 3
	s_mul_i32 s15, s15, 3
	s_addc_u32 s4, s1, 0
	global_load_u8 v1, v1, s[0:1] offset:1760
	s_add_u32 s2, s2, s15
	s_addc_u32 s3, s4, s3
	s_mov_b32 s13, 0
	s_load_b32 s2, s[2:3], 0x820
	s_waitcnt vmcnt(0)
	v_readfirstlane_b32 s5, v1
	s_delay_alu instid0(VALU_DEP_1)
	s_lshl_b32 s3, s5, 3
	s_clause 0x1
	s_load_b64 s[8:9], s[0:1], s3 offset:0x0
	s_load_b64 s[4:5], s[0:1], s3 offset:0x370
	s_waitcnt lgkmcnt(0)
	s_ashr_i32 s3, s2, 31
	s_delay_alu instid0(SALU_CYCLE_1)
	s_lshl_b64 s[10:11], s[2:3], 17
	s_lshl_b64 s[2:3], s[2:3], 16
	s_and_b32 s12, s8, 7
	s_sub_u32 s6, s4, s2
	s_subb_u32 s7, s5, s3
	s_and_b32 s2, s4, 3
	s_mov_b32 s3, s13
	s_delay_alu instid0(SALU_CYCLE_1) | instskip(NEXT) | instid1(SALU_CYCLE_1)
	s_or_b64 s[2:3], s[12:13], s[2:3]
	s_cmp_eq_u64 s[2:3], 0
	s_cbranch_scc1 .LBB213_21
; %bb.1:
	v_cmp_lt_i64_e64 s2, s[6:7], 1
	s_delay_alu instid0(VALU_DEP_1)
	s_and_b32 vcc_lo, exec_lo, s2
	s_cbranch_vccnz .LBB213_20
; %bb.2:
	s_load_b32 s2, s[0:1], 0xd3c
	v_cmp_gt_u64_e64 s3, 0x10000, s[6:7]
	v_lshlrev_b32_e32 v1, 1, v0
	s_mov_b32 s19, 0x3e9b6dac
	s_waitcnt lgkmcnt(0)
	s_and_b32 s2, s2, 0xffff
	s_delay_alu instid0(VALU_DEP_2)
	s_and_b32 s3, s3, exec_lo
	v_add_co_u32 v5, s5, v0, s2
	s_cselect_b32 s13, s7, 0
	s_cselect_b32 s12, s6, 0x10000
	s_lshl_b32 s3, s2, 1
	s_lshl_b32 s16, s2, 2
	v_lshlrev_b32_e32 v3, 1, v5
	v_add_co_ci_u32_e64 v6, null, 0, 0, s5
	s_add_u32 s5, s8, s10
	v_add_co_u32 v9, s3, s3, v0
	s_mul_i32 s4, s2, 3
	s_addc_u32 s14, s9, s11
	v_add_co_ci_u32_e64 v10, null, 0, 0, s3
	v_add_co_u32 v1, s3, s5, v1
	v_add_co_u32 v7, s4, s4, v0
	v_add_co_ci_u32_e64 v2, null, s14, 0, s3
	v_add_co_u32 v3, s3, s5, v3
	v_add_co_ci_u32_e64 v8, null, 0, 0, s4
	v_add_co_ci_u32_e64 v4, null, s14, 0, s3
	s_lshl_b32 s17, s2, 3
	s_mul_i32 s18, s2, 6
	s_mov_b64 s[14:15], 0
	s_branch .LBB213_4
.LBB213_3:                              ;   in Loop: Header=BB213_4 Depth=1
	s_or_b32 exec_lo, exec_lo, s2
	s_add_u32 s14, s14, s16
	s_addc_u32 s15, s15, 0
	v_add_co_u32 v1, vcc_lo, v1, s17
	v_cmp_lt_i64_e64 s2, s[14:15], s[6:7]
	v_cmp_gt_u64_e64 s3, 0x10000, s[14:15]
	v_add_co_ci_u32_e32 v2, vcc_lo, 0, v2, vcc_lo
	v_add_co_u32 v3, vcc_lo, v3, s17
	v_add_co_ci_u32_e32 v4, vcc_lo, 0, v4, vcc_lo
	s_delay_alu instid0(VALU_DEP_4) | instskip(NEXT) | instid1(SALU_CYCLE_1)
	s_and_b32 s2, s2, s3
	s_and_b32 vcc_lo, exec_lo, s2
	s_cbranch_vccz .LBB213_20
.LBB213_4:                              ; =>This Inner Loop Header: Depth=1
	s_waitcnt vmcnt(0)
	v_add_co_u32 v11, s2, v0, s14
	s_delay_alu instid0(VALU_DEP_1) | instskip(SKIP_1) | instid1(VALU_DEP_2)
	v_add_co_ci_u32_e64 v12, null, 0, s15, s2
	v_mov_b32_e32 v14, 0
	v_cmp_gt_u64_e64 s4, s[12:13], v[11:12]
	s_delay_alu instid0(VALU_DEP_1)
	s_and_saveexec_b32 s2, s4
	s_cbranch_execz .LBB213_6
; %bb.5:                                ;   in Loop: Header=BB213_4 Depth=1
	global_load_u16 v14, v[1:2], off
.LBB213_6:                              ;   in Loop: Header=BB213_4 Depth=1
	s_or_b32 exec_lo, exec_lo, s2
	v_add_co_u32 v11, vcc_lo, v5, s14
	v_add_co_ci_u32_e32 v12, vcc_lo, s15, v6, vcc_lo
	v_mov_b32_e32 v13, 0
	s_delay_alu instid0(VALU_DEP_2) | instskip(NEXT) | instid1(VALU_DEP_1)
	v_cmp_gt_u64_e64 s3, s[12:13], v[11:12]
	s_and_saveexec_b32 s2, s3
	s_cbranch_execz .LBB213_8
; %bb.7:                                ;   in Loop: Header=BB213_4 Depth=1
	global_load_u16 v13, v[3:4], off
.LBB213_8:                              ;   in Loop: Header=BB213_4 Depth=1
	s_or_b32 exec_lo, exec_lo, s2
	v_add_co_u32 v11, vcc_lo, v9, s14
	v_add_co_ci_u32_e32 v12, vcc_lo, s15, v10, vcc_lo
	s_delay_alu instid0(VALU_DEP_1) | instskip(SKIP_1) | instid1(VALU_DEP_2)
	v_cmp_gt_u64_e64 s2, s[12:13], v[11:12]
	v_dual_mov_b32 v11, 0 :: v_dual_mov_b32 v12, 0
	s_and_saveexec_b32 s5, s2
	s_cbranch_execz .LBB213_10
; %bb.9:                                ;   in Loop: Header=BB213_4 Depth=1
	v_add_co_u32 v15, vcc_lo, v1, s16
	v_add_co_ci_u32_e32 v16, vcc_lo, 0, v2, vcc_lo
	global_load_u16 v12, v[15:16], off
.LBB213_10:                             ;   in Loop: Header=BB213_4 Depth=1
	s_or_b32 exec_lo, exec_lo, s5
	v_add_co_u32 v15, vcc_lo, v7, s14
	v_add_co_ci_u32_e32 v16, vcc_lo, s15, v8, vcc_lo
	s_delay_alu instid0(VALU_DEP_1)
	v_cmp_gt_u64_e32 vcc_lo, s[12:13], v[15:16]
	s_and_saveexec_b32 s20, vcc_lo
	s_cbranch_execnz .LBB213_15
; %bb.11:                               ;   in Loop: Header=BB213_4 Depth=1
	s_or_b32 exec_lo, exec_lo, s20
	s_and_saveexec_b32 s5, s4
	s_cbranch_execnz .LBB213_16
.LBB213_12:                             ;   in Loop: Header=BB213_4 Depth=1
	s_or_b32 exec_lo, exec_lo, s5
	s_and_saveexec_b32 s4, s3
	s_cbranch_execnz .LBB213_17
.LBB213_13:                             ;   in Loop: Header=BB213_4 Depth=1
	s_or_b32 exec_lo, exec_lo, s4
	s_and_saveexec_b32 s3, s2
	s_cbranch_execnz .LBB213_18
.LBB213_14:                             ;   in Loop: Header=BB213_4 Depth=1
	s_or_b32 exec_lo, exec_lo, s3
	s_and_saveexec_b32 s2, vcc_lo
	s_cbranch_execz .LBB213_3
	s_branch .LBB213_19
.LBB213_15:                             ;   in Loop: Header=BB213_4 Depth=1
	v_add_co_u32 v15, s5, v1, s18
	s_delay_alu instid0(VALU_DEP_1)
	v_add_co_ci_u32_e64 v16, s5, 0, v2, s5
	global_load_u16 v11, v[15:16], off
	s_or_b32 exec_lo, exec_lo, s20
	s_and_saveexec_b32 s5, s4
	s_cbranch_execz .LBB213_12
.LBB213_16:                             ;   in Loop: Header=BB213_4 Depth=1
	s_waitcnt vmcnt(0)
	v_lshlrev_b32_e32 v16, 16, v14
	s_delay_alu instid0(VALU_DEP_1) | instskip(NEXT) | instid1(VALU_DEP_1)
	v_add_f32_e32 v17, 1.0, v16
	v_cvt_f64_f32_e32 v[14:15], v17
	s_delay_alu instid0(VALU_DEP_1) | instskip(SKIP_1) | instid1(VALU_DEP_1)
	v_frexp_exp_i32_f64_e32 v14, v[14:15]
	v_frexp_mant_f32_e32 v15, v17
	v_cmp_gt_f32_e64 s4, 0x3f2aaaab, v15
	v_add_f32_e32 v15, -1.0, v17
	s_delay_alu instid0(VALU_DEP_1) | instskip(NEXT) | instid1(VALU_DEP_1)
	v_sub_f32_e32 v19, v15, v17
	v_add_f32_e32 v19, 1.0, v19
	s_delay_alu instid0(VALU_DEP_4) | instskip(SKIP_1) | instid1(VALU_DEP_2)
	v_subrev_co_ci_u32_e64 v14, s4, 0, v14, s4
	v_cmp_eq_f32_e64 s4, 0x7f800000, v16
	v_sub_nc_u32_e32 v18, 0, v14
	v_cvt_f32_i32_e32 v14, v14
	s_delay_alu instid0(VALU_DEP_2) | instskip(NEXT) | instid1(VALU_DEP_1)
	v_ldexp_f32 v17, v17, v18
	v_dual_sub_f32 v15, v16, v15 :: v_dual_add_f32 v20, 1.0, v17
	s_delay_alu instid0(VALU_DEP_1) | instskip(NEXT) | instid1(VALU_DEP_2)
	v_add_f32_e32 v15, v15, v19
	v_add_f32_e32 v19, -1.0, v20
	v_add_f32_e32 v21, -1.0, v17
	s_delay_alu instid0(VALU_DEP_3) | instskip(NEXT) | instid1(VALU_DEP_2)
	v_ldexp_f32 v15, v15, v18
	v_dual_sub_f32 v18, v17, v19 :: v_dual_add_f32 v19, 1.0, v21
	s_delay_alu instid0(VALU_DEP_1) | instskip(NEXT) | instid1(VALU_DEP_1)
	v_dual_add_f32 v18, v15, v18 :: v_dual_sub_f32 v17, v17, v19
	v_add_f32_e32 v19, v20, v18
	s_delay_alu instid0(VALU_DEP_1) | instskip(NEXT) | instid1(VALU_DEP_3)
	v_sub_f32_e32 v20, v19, v20
	v_add_f32_e32 v15, v15, v17
	v_rcp_f32_e32 v17, v19
	s_delay_alu instid0(VALU_DEP_2) | instskip(NEXT) | instid1(VALU_DEP_2)
	v_sub_f32_e32 v18, v18, v20
	v_add_f32_e32 v22, v21, v15
	s_delay_alu instid0(VALU_DEP_1) | instskip(SKIP_2) | instid1(VALU_DEP_1)
	v_sub_f32_e32 v21, v22, v21
	s_waitcnt_depctr 0xfff
	v_mul_f32_e32 v23, v22, v17
	v_mul_f32_e32 v24, v19, v23
	s_delay_alu instid0(VALU_DEP_1) | instskip(NEXT) | instid1(VALU_DEP_1)
	v_fma_f32 v20, v23, v19, -v24
	v_fmac_f32_e32 v20, v23, v18
	s_delay_alu instid0(VALU_DEP_1) | instskip(NEXT) | instid1(VALU_DEP_1)
	v_add_f32_e32 v25, v24, v20
	v_sub_f32_e32 v26, v22, v25
	v_sub_f32_e32 v24, v25, v24
	s_delay_alu instid0(VALU_DEP_2) | instskip(NEXT) | instid1(VALU_DEP_2)
	v_sub_f32_e32 v22, v22, v26
	v_dual_sub_f32 v20, v24, v20 :: v_dual_sub_f32 v15, v15, v21
	s_delay_alu instid0(VALU_DEP_2) | instskip(NEXT) | instid1(VALU_DEP_1)
	v_sub_f32_e32 v21, v22, v25
	v_add_f32_e32 v15, v15, v21
	s_delay_alu instid0(VALU_DEP_1) | instskip(NEXT) | instid1(VALU_DEP_1)
	v_add_f32_e32 v15, v20, v15
	v_add_f32_e32 v20, v26, v15
	s_delay_alu instid0(VALU_DEP_1) | instskip(NEXT) | instid1(VALU_DEP_1)
	v_mul_f32_e32 v21, v17, v20
	v_dual_sub_f32 v25, v26, v20 :: v_dual_mul_f32 v22, v19, v21
	s_delay_alu instid0(VALU_DEP_1) | instskip(NEXT) | instid1(VALU_DEP_2)
	v_add_f32_e32 v15, v15, v25
	v_fma_f32 v19, v21, v19, -v22
	s_delay_alu instid0(VALU_DEP_1) | instskip(NEXT) | instid1(VALU_DEP_1)
	v_fmac_f32_e32 v19, v21, v18
	v_add_f32_e32 v18, v22, v19
	s_delay_alu instid0(VALU_DEP_1) | instskip(SKIP_1) | instid1(VALU_DEP_2)
	v_sub_f32_e32 v24, v20, v18
	v_sub_f32_e32 v22, v18, v22
	v_sub_f32_e32 v20, v20, v24
	s_delay_alu instid0(VALU_DEP_1) | instskip(NEXT) | instid1(VALU_DEP_1)
	v_sub_f32_e32 v18, v20, v18
	v_add_f32_e32 v15, v15, v18
	s_delay_alu instid0(VALU_DEP_4) | instskip(NEXT) | instid1(VALU_DEP_1)
	v_dual_add_f32 v18, v23, v21 :: v_dual_sub_f32 v19, v22, v19
	v_add_f32_e32 v15, v19, v15
	s_delay_alu instid0(VALU_DEP_2) | instskip(NEXT) | instid1(VALU_DEP_2)
	v_sub_f32_e32 v19, v18, v23
	v_add_f32_e32 v15, v24, v15
	s_delay_alu instid0(VALU_DEP_2) | instskip(NEXT) | instid1(VALU_DEP_2)
	v_sub_f32_e32 v19, v21, v19
	v_mul_f32_e32 v15, v17, v15
	s_delay_alu instid0(VALU_DEP_1) | instskip(NEXT) | instid1(VALU_DEP_1)
	v_add_f32_e32 v15, v19, v15
	v_add_f32_e32 v17, v18, v15
	s_delay_alu instid0(VALU_DEP_1) | instskip(NEXT) | instid1(VALU_DEP_1)
	v_mul_f32_e32 v19, v17, v17
	v_fmaak_f32 v20, s19, v19, 0x3ecc95a3
	v_mul_f32_e32 v21, v17, v19
	s_delay_alu instid0(VALU_DEP_2) | instskip(SKIP_2) | instid1(VALU_DEP_3)
	v_fmaak_f32 v19, v19, v20, 0x3f2aaada
	v_ldexp_f32 v20, v17, 1
	v_sub_f32_e32 v17, v17, v18
	v_mul_f32_e32 v19, v21, v19
	v_mul_f32_e32 v21, 0x3f317218, v14
	s_delay_alu instid0(VALU_DEP_2) | instskip(NEXT) | instid1(VALU_DEP_1)
	v_dual_sub_f32 v15, v15, v17 :: v_dual_add_f32 v18, v20, v19
	v_ldexp_f32 v15, v15, 1
	s_delay_alu instid0(VALU_DEP_2) | instskip(NEXT) | instid1(VALU_DEP_4)
	v_sub_f32_e32 v17, v18, v20
	v_fma_f32 v20, 0x3f317218, v14, -v21
	s_delay_alu instid0(VALU_DEP_1) | instskip(NEXT) | instid1(VALU_DEP_1)
	v_dual_sub_f32 v17, v19, v17 :: v_dual_fmac_f32 v20, 0xb102e308, v14
	v_dual_add_f32 v14, v15, v17 :: v_dual_add_f32 v15, v21, v20
	s_delay_alu instid0(VALU_DEP_1) | instskip(NEXT) | instid1(VALU_DEP_2)
	v_add_f32_e32 v17, v18, v14
	v_sub_f32_e32 v21, v15, v21
	s_delay_alu instid0(VALU_DEP_2) | instskip(NEXT) | instid1(VALU_DEP_2)
	v_dual_add_f32 v19, v15, v17 :: v_dual_sub_f32 v18, v17, v18
	v_sub_f32_e32 v20, v20, v21
	s_delay_alu instid0(VALU_DEP_2) | instskip(NEXT) | instid1(VALU_DEP_3)
	v_sub_f32_e32 v22, v19, v15
	v_sub_f32_e32 v14, v14, v18
	s_delay_alu instid0(VALU_DEP_2) | instskip(SKIP_1) | instid1(VALU_DEP_2)
	v_sub_f32_e32 v23, v19, v22
	v_sub_f32_e32 v17, v17, v22
	v_dual_add_f32 v18, v20, v14 :: v_dual_sub_f32 v15, v15, v23
	s_delay_alu instid0(VALU_DEP_1) | instskip(NEXT) | instid1(VALU_DEP_2)
	v_add_f32_e32 v15, v17, v15
	v_sub_f32_e32 v17, v18, v20
	s_delay_alu instid0(VALU_DEP_2) | instskip(NEXT) | instid1(VALU_DEP_2)
	v_add_f32_e32 v15, v18, v15
	v_sub_f32_e32 v18, v18, v17
	s_delay_alu instid0(VALU_DEP_2) | instskip(NEXT) | instid1(VALU_DEP_1)
	v_dual_sub_f32 v14, v14, v17 :: v_dual_add_f32 v21, v19, v15
	v_dual_sub_f32 v17, v20, v18 :: v_dual_sub_f32 v18, v21, v19
	s_delay_alu instid0(VALU_DEP_1) | instskip(NEXT) | instid1(VALU_DEP_1)
	v_dual_add_f32 v14, v14, v17 :: v_dual_sub_f32 v15, v15, v18
	v_add_f32_e32 v14, v14, v15
	s_delay_alu instid0(VALU_DEP_1) | instskip(NEXT) | instid1(VALU_DEP_1)
	v_add_f32_e32 v14, v21, v14
	v_cndmask_b32_e64 v14, v14, v16, s4
	v_cmp_ngt_f32_e64 s4, -1.0, v16
	s_delay_alu instid0(VALU_DEP_1) | instskip(SKIP_1) | instid1(VALU_DEP_1)
	v_cndmask_b32_e64 v14, 0x7fc00000, v14, s4
	v_cmp_neq_f32_e64 s4, -1.0, v16
	v_cndmask_b32_e64 v14, 0xff800000, v14, s4
	v_cmp_gt_f32_e64 s4, 0x33800000, |v16|
	s_delay_alu instid0(VALU_DEP_1) | instskip(NEXT) | instid1(VALU_DEP_1)
	v_cndmask_b32_e64 v14, v14, v16, s4
	v_bfe_u32 v15, v14, 16, 1
	v_cmp_o_f32_e64 s4, v14, v14
	s_delay_alu instid0(VALU_DEP_2) | instskip(NEXT) | instid1(VALU_DEP_1)
	v_add3_u32 v15, v14, v15, 0x7fff
	v_lshrrev_b32_e32 v15, 16, v15
	s_delay_alu instid0(VALU_DEP_1)
	v_cndmask_b32_e64 v14, 0x7fc0, v15, s4
	global_store_b16 v[1:2], v14, off
	s_or_b32 exec_lo, exec_lo, s5
	s_and_saveexec_b32 s4, s3
	s_cbranch_execz .LBB213_13
.LBB213_17:                             ;   in Loop: Header=BB213_4 Depth=1
	s_waitcnt vmcnt(0)
	v_lshlrev_b32_e32 v15, 16, v13
	s_delay_alu instid0(VALU_DEP_1) | instskip(NEXT) | instid1(VALU_DEP_1)
	v_add_f32_e32 v16, 1.0, v15
	v_cvt_f64_f32_e32 v[13:14], v16
	s_delay_alu instid0(VALU_DEP_1) | instskip(SKIP_1) | instid1(VALU_DEP_1)
	v_frexp_exp_i32_f64_e32 v13, v[13:14]
	v_frexp_mant_f32_e32 v14, v16
	v_cmp_gt_f32_e64 s3, 0x3f2aaaab, v14
	v_add_f32_e32 v14, -1.0, v16
	s_delay_alu instid0(VALU_DEP_1) | instskip(NEXT) | instid1(VALU_DEP_3)
	v_sub_f32_e32 v18, v14, v16
	v_subrev_co_ci_u32_e64 v13, s3, 0, v13, s3
	v_cmp_eq_f32_e64 s3, 0x7f800000, v15
	s_delay_alu instid0(VALU_DEP_2) | instskip(SKIP_1) | instid1(VALU_DEP_2)
	v_sub_nc_u32_e32 v17, 0, v13
	v_cvt_f32_i32_e32 v13, v13
	v_ldexp_f32 v16, v16, v17
	v_sub_f32_e32 v14, v15, v14
	s_delay_alu instid0(VALU_DEP_2) | instskip(NEXT) | instid1(VALU_DEP_1)
	v_dual_add_f32 v18, 1.0, v18 :: v_dual_add_f32 v19, 1.0, v16
	v_add_f32_e32 v14, v14, v18
	s_delay_alu instid0(VALU_DEP_2) | instskip(NEXT) | instid1(VALU_DEP_2)
	v_add_f32_e32 v18, -1.0, v19
	v_ldexp_f32 v14, v14, v17
	s_delay_alu instid0(VALU_DEP_2) | instskip(NEXT) | instid1(VALU_DEP_1)
	v_dual_add_f32 v17, -1.0, v16 :: v_dual_sub_f32 v18, v16, v18
	v_add_f32_e32 v20, 1.0, v17
	s_delay_alu instid0(VALU_DEP_2) | instskip(NEXT) | instid1(VALU_DEP_2)
	v_add_f32_e32 v18, v14, v18
	v_sub_f32_e32 v16, v16, v20
	s_delay_alu instid0(VALU_DEP_2) | instskip(NEXT) | instid1(VALU_DEP_2)
	v_add_f32_e32 v20, v19, v18
	v_add_f32_e32 v14, v14, v16
	s_delay_alu instid0(VALU_DEP_2) | instskip(SKIP_1) | instid1(VALU_DEP_1)
	v_rcp_f32_e32 v16, v20
	v_sub_f32_e32 v19, v20, v19
	v_dual_add_f32 v21, v17, v14 :: v_dual_sub_f32 v18, v18, v19
	s_delay_alu instid0(VALU_DEP_1) | instskip(SKIP_2) | instid1(VALU_DEP_1)
	v_sub_f32_e32 v17, v21, v17
	s_waitcnt_depctr 0xfff
	v_mul_f32_e32 v22, v21, v16
	v_dual_sub_f32 v14, v14, v17 :: v_dual_mul_f32 v23, v20, v22
	s_delay_alu instid0(VALU_DEP_1) | instskip(NEXT) | instid1(VALU_DEP_1)
	v_fma_f32 v19, v22, v20, -v23
	v_fmac_f32_e32 v19, v22, v18
	s_delay_alu instid0(VALU_DEP_1) | instskip(NEXT) | instid1(VALU_DEP_1)
	v_add_f32_e32 v24, v23, v19
	v_sub_f32_e32 v25, v21, v24
	v_sub_f32_e32 v17, v24, v23
	s_delay_alu instid0(VALU_DEP_2) | instskip(NEXT) | instid1(VALU_DEP_2)
	v_sub_f32_e32 v21, v21, v25
	v_sub_f32_e32 v17, v17, v19
	s_delay_alu instid0(VALU_DEP_2) | instskip(NEXT) | instid1(VALU_DEP_1)
	v_sub_f32_e32 v21, v21, v24
	v_add_f32_e32 v14, v14, v21
	s_delay_alu instid0(VALU_DEP_1) | instskip(NEXT) | instid1(VALU_DEP_1)
	v_add_f32_e32 v14, v17, v14
	v_add_f32_e32 v17, v25, v14
	s_delay_alu instid0(VALU_DEP_1) | instskip(NEXT) | instid1(VALU_DEP_1)
	v_mul_f32_e32 v19, v16, v17
	v_dual_sub_f32 v24, v25, v17 :: v_dual_mul_f32 v21, v20, v19
	s_delay_alu instid0(VALU_DEP_1) | instskip(NEXT) | instid1(VALU_DEP_1)
	v_fma_f32 v20, v19, v20, -v21
	v_fmac_f32_e32 v20, v19, v18
	s_delay_alu instid0(VALU_DEP_1) | instskip(NEXT) | instid1(VALU_DEP_1)
	v_add_f32_e32 v18, v21, v20
	v_sub_f32_e32 v23, v17, v18
	v_sub_f32_e32 v21, v18, v21
	s_delay_alu instid0(VALU_DEP_2) | instskip(NEXT) | instid1(VALU_DEP_1)
	v_dual_sub_f32 v17, v17, v23 :: v_dual_add_f32 v14, v14, v24
	v_sub_f32_e32 v17, v17, v18
	s_delay_alu instid0(VALU_DEP_1) | instskip(NEXT) | instid1(VALU_DEP_4)
	v_add_f32_e32 v14, v14, v17
	v_dual_add_f32 v17, v22, v19 :: v_dual_sub_f32 v18, v21, v20
	s_delay_alu instid0(VALU_DEP_1) | instskip(NEXT) | instid1(VALU_DEP_2)
	v_add_f32_e32 v14, v18, v14
	v_sub_f32_e32 v18, v17, v22
	s_delay_alu instid0(VALU_DEP_2) | instskip(NEXT) | instid1(VALU_DEP_2)
	v_add_f32_e32 v14, v23, v14
	v_sub_f32_e32 v18, v19, v18
	s_delay_alu instid0(VALU_DEP_2) | instskip(NEXT) | instid1(VALU_DEP_1)
	v_mul_f32_e32 v14, v16, v14
	v_add_f32_e32 v14, v18, v14
	s_delay_alu instid0(VALU_DEP_1) | instskip(NEXT) | instid1(VALU_DEP_1)
	v_add_f32_e32 v16, v17, v14
	v_mul_f32_e32 v18, v16, v16
	s_delay_alu instid0(VALU_DEP_1) | instskip(SKIP_1) | instid1(VALU_DEP_2)
	v_fmaak_f32 v19, s19, v18, 0x3ecc95a3
	v_mul_f32_e32 v20, v16, v18
	v_fmaak_f32 v18, v18, v19, 0x3f2aaada
	v_ldexp_f32 v19, v16, 1
	v_sub_f32_e32 v16, v16, v17
	s_delay_alu instid0(VALU_DEP_3) | instskip(SKIP_1) | instid1(VALU_DEP_2)
	v_mul_f32_e32 v18, v20, v18
	v_mul_f32_e32 v20, 0x3f317218, v13
	v_dual_sub_f32 v14, v14, v16 :: v_dual_add_f32 v17, v19, v18
	s_delay_alu instid0(VALU_DEP_1) | instskip(NEXT) | instid1(VALU_DEP_2)
	v_ldexp_f32 v14, v14, 1
	v_sub_f32_e32 v16, v17, v19
	s_delay_alu instid0(VALU_DEP_4) | instskip(NEXT) | instid1(VALU_DEP_1)
	v_fma_f32 v19, 0x3f317218, v13, -v20
	v_dual_sub_f32 v16, v18, v16 :: v_dual_fmac_f32 v19, 0xb102e308, v13
	s_delay_alu instid0(VALU_DEP_1) | instskip(NEXT) | instid1(VALU_DEP_1)
	v_dual_add_f32 v13, v14, v16 :: v_dual_add_f32 v14, v20, v19
	v_add_f32_e32 v16, v17, v13
	s_delay_alu instid0(VALU_DEP_2) | instskip(NEXT) | instid1(VALU_DEP_2)
	v_sub_f32_e32 v20, v14, v20
	v_dual_add_f32 v18, v14, v16 :: v_dual_sub_f32 v17, v16, v17
	s_delay_alu instid0(VALU_DEP_2) | instskip(NEXT) | instid1(VALU_DEP_2)
	v_sub_f32_e32 v19, v19, v20
	v_sub_f32_e32 v21, v18, v14
	s_delay_alu instid0(VALU_DEP_3) | instskip(NEXT) | instid1(VALU_DEP_2)
	v_sub_f32_e32 v13, v13, v17
	v_sub_f32_e32 v22, v18, v21
	;; [unrolled: 1-line block ×3, first 2 shown]
	s_delay_alu instid0(VALU_DEP_2) | instskip(NEXT) | instid1(VALU_DEP_1)
	v_dual_add_f32 v17, v19, v13 :: v_dual_sub_f32 v14, v14, v22
	v_add_f32_e32 v14, v16, v14
	s_delay_alu instid0(VALU_DEP_2) | instskip(NEXT) | instid1(VALU_DEP_2)
	v_sub_f32_e32 v16, v17, v19
	v_add_f32_e32 v14, v17, v14
	s_delay_alu instid0(VALU_DEP_2) | instskip(NEXT) | instid1(VALU_DEP_2)
	v_sub_f32_e32 v17, v17, v16
	v_dual_sub_f32 v13, v13, v16 :: v_dual_add_f32 v20, v18, v14
	s_delay_alu instid0(VALU_DEP_1) | instskip(NEXT) | instid1(VALU_DEP_1)
	v_dual_sub_f32 v17, v19, v17 :: v_dual_sub_f32 v16, v20, v18
	v_dual_add_f32 v13, v13, v17 :: v_dual_sub_f32 v14, v14, v16
	s_delay_alu instid0(VALU_DEP_1) | instskip(NEXT) | instid1(VALU_DEP_1)
	v_add_f32_e32 v13, v13, v14
	v_add_f32_e32 v13, v20, v13
	s_delay_alu instid0(VALU_DEP_1) | instskip(SKIP_1) | instid1(VALU_DEP_1)
	v_cndmask_b32_e64 v13, v13, v15, s3
	v_cmp_ngt_f32_e64 s3, -1.0, v15
	v_cndmask_b32_e64 v13, 0x7fc00000, v13, s3
	v_cmp_neq_f32_e64 s3, -1.0, v15
	s_delay_alu instid0(VALU_DEP_1) | instskip(SKIP_1) | instid1(VALU_DEP_1)
	v_cndmask_b32_e64 v13, 0xff800000, v13, s3
	v_cmp_gt_f32_e64 s3, 0x33800000, |v15|
	v_cndmask_b32_e64 v13, v13, v15, s3
	s_delay_alu instid0(VALU_DEP_1) | instskip(SKIP_1) | instid1(VALU_DEP_2)
	v_bfe_u32 v14, v13, 16, 1
	v_cmp_o_f32_e64 s3, v13, v13
	v_add3_u32 v14, v13, v14, 0x7fff
	s_delay_alu instid0(VALU_DEP_1) | instskip(NEXT) | instid1(VALU_DEP_1)
	v_lshrrev_b32_e32 v14, 16, v14
	v_cndmask_b32_e64 v13, 0x7fc0, v14, s3
	global_store_b16 v[3:4], v13, off
	s_or_b32 exec_lo, exec_lo, s4
	s_and_saveexec_b32 s3, s2
	s_cbranch_execz .LBB213_14
.LBB213_18:                             ;   in Loop: Header=BB213_4 Depth=1
	s_waitcnt vmcnt(0)
	v_lshlrev_b32_e32 v14, 16, v12
	s_delay_alu instid0(VALU_DEP_1) | instskip(NEXT) | instid1(VALU_DEP_1)
	v_add_f32_e32 v15, 1.0, v14
	v_cvt_f64_f32_e32 v[12:13], v15
	s_delay_alu instid0(VALU_DEP_1) | instskip(SKIP_1) | instid1(VALU_DEP_1)
	v_frexp_exp_i32_f64_e32 v12, v[12:13]
	v_frexp_mant_f32_e32 v13, v15
	v_cmp_gt_f32_e64 s2, 0x3f2aaaab, v13
	v_add_f32_e32 v13, -1.0, v15
	s_delay_alu instid0(VALU_DEP_1) | instskip(NEXT) | instid1(VALU_DEP_3)
	v_sub_f32_e32 v17, v13, v15
	v_subrev_co_ci_u32_e64 v12, s2, 0, v12, s2
	v_cmp_eq_f32_e64 s2, 0x7f800000, v14
	s_delay_alu instid0(VALU_DEP_2) | instskip(SKIP_1) | instid1(VALU_DEP_2)
	v_sub_nc_u32_e32 v16, 0, v12
	v_cvt_f32_i32_e32 v12, v12
	v_ldexp_f32 v15, v15, v16
	v_sub_f32_e32 v13, v14, v13
	s_delay_alu instid0(VALU_DEP_2) | instskip(NEXT) | instid1(VALU_DEP_1)
	v_dual_add_f32 v17, 1.0, v17 :: v_dual_add_f32 v18, 1.0, v15
	v_add_f32_e32 v13, v13, v17
	s_delay_alu instid0(VALU_DEP_2) | instskip(NEXT) | instid1(VALU_DEP_2)
	v_add_f32_e32 v17, -1.0, v18
	v_ldexp_f32 v13, v13, v16
	s_delay_alu instid0(VALU_DEP_2) | instskip(NEXT) | instid1(VALU_DEP_1)
	v_dual_add_f32 v16, -1.0, v15 :: v_dual_sub_f32 v17, v15, v17
	v_add_f32_e32 v19, 1.0, v16
	s_delay_alu instid0(VALU_DEP_2) | instskip(NEXT) | instid1(VALU_DEP_2)
	v_add_f32_e32 v17, v13, v17
	v_sub_f32_e32 v15, v15, v19
	s_delay_alu instid0(VALU_DEP_2) | instskip(NEXT) | instid1(VALU_DEP_2)
	v_add_f32_e32 v19, v18, v17
	v_add_f32_e32 v13, v13, v15
	s_delay_alu instid0(VALU_DEP_2) | instskip(SKIP_1) | instid1(VALU_DEP_1)
	v_rcp_f32_e32 v15, v19
	v_sub_f32_e32 v18, v19, v18
	v_dual_add_f32 v20, v16, v13 :: v_dual_sub_f32 v17, v17, v18
	s_delay_alu instid0(VALU_DEP_1) | instskip(SKIP_2) | instid1(VALU_DEP_1)
	v_sub_f32_e32 v16, v20, v16
	s_waitcnt_depctr 0xfff
	v_mul_f32_e32 v21, v20, v15
	v_dual_sub_f32 v13, v13, v16 :: v_dual_mul_f32 v22, v19, v21
	s_delay_alu instid0(VALU_DEP_1) | instskip(NEXT) | instid1(VALU_DEP_1)
	v_fma_f32 v18, v21, v19, -v22
	v_fmac_f32_e32 v18, v21, v17
	s_delay_alu instid0(VALU_DEP_1) | instskip(NEXT) | instid1(VALU_DEP_1)
	v_add_f32_e32 v23, v22, v18
	v_sub_f32_e32 v24, v20, v23
	v_sub_f32_e32 v16, v23, v22
	s_delay_alu instid0(VALU_DEP_2) | instskip(NEXT) | instid1(VALU_DEP_2)
	v_sub_f32_e32 v20, v20, v24
	v_sub_f32_e32 v16, v16, v18
	s_delay_alu instid0(VALU_DEP_2) | instskip(NEXT) | instid1(VALU_DEP_1)
	v_sub_f32_e32 v20, v20, v23
	v_add_f32_e32 v13, v13, v20
	s_delay_alu instid0(VALU_DEP_1) | instskip(NEXT) | instid1(VALU_DEP_1)
	v_add_f32_e32 v13, v16, v13
	v_add_f32_e32 v16, v24, v13
	s_delay_alu instid0(VALU_DEP_1) | instskip(NEXT) | instid1(VALU_DEP_1)
	v_mul_f32_e32 v18, v15, v16
	v_dual_sub_f32 v23, v24, v16 :: v_dual_mul_f32 v20, v19, v18
	s_delay_alu instid0(VALU_DEP_1) | instskip(NEXT) | instid1(VALU_DEP_1)
	v_fma_f32 v19, v18, v19, -v20
	v_fmac_f32_e32 v19, v18, v17
	s_delay_alu instid0(VALU_DEP_1) | instskip(NEXT) | instid1(VALU_DEP_1)
	v_add_f32_e32 v17, v20, v19
	v_sub_f32_e32 v22, v16, v17
	v_sub_f32_e32 v20, v17, v20
	s_delay_alu instid0(VALU_DEP_2) | instskip(NEXT) | instid1(VALU_DEP_1)
	v_dual_sub_f32 v16, v16, v22 :: v_dual_add_f32 v13, v13, v23
	v_sub_f32_e32 v16, v16, v17
	s_delay_alu instid0(VALU_DEP_1) | instskip(NEXT) | instid1(VALU_DEP_4)
	v_add_f32_e32 v13, v13, v16
	v_dual_add_f32 v16, v21, v18 :: v_dual_sub_f32 v17, v20, v19
	s_delay_alu instid0(VALU_DEP_1) | instskip(NEXT) | instid1(VALU_DEP_2)
	v_add_f32_e32 v13, v17, v13
	v_sub_f32_e32 v17, v16, v21
	s_delay_alu instid0(VALU_DEP_2) | instskip(NEXT) | instid1(VALU_DEP_2)
	v_add_f32_e32 v13, v22, v13
	v_sub_f32_e32 v17, v18, v17
	s_delay_alu instid0(VALU_DEP_2) | instskip(NEXT) | instid1(VALU_DEP_1)
	v_mul_f32_e32 v13, v15, v13
	v_add_f32_e32 v13, v17, v13
	s_delay_alu instid0(VALU_DEP_1) | instskip(NEXT) | instid1(VALU_DEP_1)
	v_add_f32_e32 v15, v16, v13
	v_mul_f32_e32 v17, v15, v15
	s_delay_alu instid0(VALU_DEP_1) | instskip(SKIP_1) | instid1(VALU_DEP_2)
	v_fmaak_f32 v18, s19, v17, 0x3ecc95a3
	v_mul_f32_e32 v19, v15, v17
	v_fmaak_f32 v17, v17, v18, 0x3f2aaada
	v_ldexp_f32 v18, v15, 1
	v_sub_f32_e32 v15, v15, v16
	s_delay_alu instid0(VALU_DEP_3) | instskip(SKIP_1) | instid1(VALU_DEP_2)
	v_mul_f32_e32 v17, v19, v17
	v_mul_f32_e32 v19, 0x3f317218, v12
	v_dual_sub_f32 v13, v13, v15 :: v_dual_add_f32 v16, v18, v17
	s_delay_alu instid0(VALU_DEP_1) | instskip(NEXT) | instid1(VALU_DEP_2)
	v_ldexp_f32 v13, v13, 1
	v_sub_f32_e32 v15, v16, v18
	s_delay_alu instid0(VALU_DEP_4) | instskip(NEXT) | instid1(VALU_DEP_1)
	v_fma_f32 v18, 0x3f317218, v12, -v19
	v_dual_sub_f32 v15, v17, v15 :: v_dual_fmac_f32 v18, 0xb102e308, v12
	s_delay_alu instid0(VALU_DEP_1) | instskip(NEXT) | instid1(VALU_DEP_1)
	v_dual_add_f32 v12, v13, v15 :: v_dual_add_f32 v13, v19, v18
	v_add_f32_e32 v15, v16, v12
	s_delay_alu instid0(VALU_DEP_2) | instskip(NEXT) | instid1(VALU_DEP_2)
	v_sub_f32_e32 v19, v13, v19
	v_dual_add_f32 v17, v13, v15 :: v_dual_sub_f32 v16, v15, v16
	s_delay_alu instid0(VALU_DEP_2) | instskip(NEXT) | instid1(VALU_DEP_2)
	v_sub_f32_e32 v18, v18, v19
	v_sub_f32_e32 v20, v17, v13
	s_delay_alu instid0(VALU_DEP_3) | instskip(NEXT) | instid1(VALU_DEP_2)
	v_sub_f32_e32 v12, v12, v16
	v_sub_f32_e32 v21, v17, v20
	;; [unrolled: 1-line block ×3, first 2 shown]
	s_delay_alu instid0(VALU_DEP_2) | instskip(NEXT) | instid1(VALU_DEP_1)
	v_dual_add_f32 v16, v18, v12 :: v_dual_sub_f32 v13, v13, v21
	v_add_f32_e32 v13, v15, v13
	s_delay_alu instid0(VALU_DEP_2) | instskip(NEXT) | instid1(VALU_DEP_2)
	v_sub_f32_e32 v15, v16, v18
	v_add_f32_e32 v13, v16, v13
	s_delay_alu instid0(VALU_DEP_2) | instskip(NEXT) | instid1(VALU_DEP_2)
	v_sub_f32_e32 v16, v16, v15
	v_dual_sub_f32 v12, v12, v15 :: v_dual_add_f32 v19, v17, v13
	s_delay_alu instid0(VALU_DEP_1) | instskip(NEXT) | instid1(VALU_DEP_1)
	v_dual_sub_f32 v15, v18, v16 :: v_dual_sub_f32 v16, v19, v17
	v_dual_add_f32 v12, v12, v15 :: v_dual_sub_f32 v13, v13, v16
	s_delay_alu instid0(VALU_DEP_1) | instskip(NEXT) | instid1(VALU_DEP_1)
	v_add_f32_e32 v12, v12, v13
	v_add_f32_e32 v12, v19, v12
	s_delay_alu instid0(VALU_DEP_1) | instskip(SKIP_1) | instid1(VALU_DEP_1)
	v_cndmask_b32_e64 v12, v12, v14, s2
	v_cmp_ngt_f32_e64 s2, -1.0, v14
	v_cndmask_b32_e64 v12, 0x7fc00000, v12, s2
	v_cmp_neq_f32_e64 s2, -1.0, v14
	s_delay_alu instid0(VALU_DEP_1) | instskip(SKIP_1) | instid1(VALU_DEP_1)
	v_cndmask_b32_e64 v12, 0xff800000, v12, s2
	v_cmp_gt_f32_e64 s2, 0x33800000, |v14|
	v_cndmask_b32_e64 v12, v12, v14, s2
	s_delay_alu instid0(VALU_DEP_1) | instskip(SKIP_1) | instid1(VALU_DEP_2)
	v_bfe_u32 v13, v12, 16, 1
	v_cmp_o_f32_e64 s2, v12, v12
	v_add3_u32 v13, v12, v13, 0x7fff
	s_delay_alu instid0(VALU_DEP_1) | instskip(NEXT) | instid1(VALU_DEP_1)
	v_lshrrev_b32_e32 v13, 16, v13
	v_cndmask_b32_e64 v14, 0x7fc0, v13, s2
	v_add_co_u32 v12, s2, v1, s16
	s_delay_alu instid0(VALU_DEP_1)
	v_add_co_ci_u32_e64 v13, s2, 0, v2, s2
	global_store_b16 v[12:13], v14, off
	s_or_b32 exec_lo, exec_lo, s3
	s_and_saveexec_b32 s2, vcc_lo
	s_cbranch_execz .LBB213_3
.LBB213_19:                             ;   in Loop: Header=BB213_4 Depth=1
	s_waitcnt vmcnt(0)
	v_lshlrev_b32_e32 v13, 16, v11
	s_delay_alu instid0(VALU_DEP_1) | instskip(NEXT) | instid1(VALU_DEP_1)
	v_add_f32_e32 v14, 1.0, v13
	v_cvt_f64_f32_e32 v[11:12], v14
	s_delay_alu instid0(VALU_DEP_1) | instskip(SKIP_1) | instid1(VALU_DEP_1)
	v_frexp_exp_i32_f64_e32 v11, v[11:12]
	v_frexp_mant_f32_e32 v12, v14
	v_cmp_gt_f32_e32 vcc_lo, 0x3f2aaaab, v12
	v_add_f32_e32 v12, -1.0, v14
	s_delay_alu instid0(VALU_DEP_1) | instskip(SKIP_2) | instid1(VALU_DEP_2)
	v_sub_f32_e32 v16, v12, v14
	v_subrev_co_ci_u32_e32 v11, vcc_lo, 0, v11, vcc_lo
	v_cmp_eq_f32_e32 vcc_lo, 0x7f800000, v13
	v_sub_nc_u32_e32 v15, 0, v11
	v_cvt_f32_i32_e32 v11, v11
	s_delay_alu instid0(VALU_DEP_2) | instskip(SKIP_1) | instid1(VALU_DEP_2)
	v_ldexp_f32 v14, v14, v15
	v_sub_f32_e32 v12, v13, v12
	v_dual_add_f32 v16, 1.0, v16 :: v_dual_add_f32 v17, 1.0, v14
	s_delay_alu instid0(VALU_DEP_1) | instskip(NEXT) | instid1(VALU_DEP_2)
	v_add_f32_e32 v12, v12, v16
	v_add_f32_e32 v16, -1.0, v17
	s_delay_alu instid0(VALU_DEP_2) | instskip(NEXT) | instid1(VALU_DEP_2)
	v_ldexp_f32 v12, v12, v15
	v_dual_add_f32 v15, -1.0, v14 :: v_dual_sub_f32 v16, v14, v16
	s_delay_alu instid0(VALU_DEP_1) | instskip(NEXT) | instid1(VALU_DEP_2)
	v_add_f32_e32 v18, 1.0, v15
	v_add_f32_e32 v16, v12, v16
	s_delay_alu instid0(VALU_DEP_2) | instskip(NEXT) | instid1(VALU_DEP_2)
	v_sub_f32_e32 v14, v14, v18
	v_add_f32_e32 v18, v17, v16
	s_delay_alu instid0(VALU_DEP_2) | instskip(NEXT) | instid1(VALU_DEP_2)
	v_add_f32_e32 v12, v12, v14
	v_rcp_f32_e32 v14, v18
	v_sub_f32_e32 v17, v18, v17
	s_delay_alu instid0(VALU_DEP_1) | instskip(NEXT) | instid1(VALU_DEP_1)
	v_dual_add_f32 v19, v15, v12 :: v_dual_sub_f32 v16, v16, v17
	v_sub_f32_e32 v15, v19, v15
	s_waitcnt_depctr 0xfff
	v_mul_f32_e32 v20, v19, v14
	s_delay_alu instid0(VALU_DEP_1) | instskip(NEXT) | instid1(VALU_DEP_1)
	v_dual_sub_f32 v12, v12, v15 :: v_dual_mul_f32 v21, v18, v20
	v_fma_f32 v17, v20, v18, -v21
	s_delay_alu instid0(VALU_DEP_1) | instskip(NEXT) | instid1(VALU_DEP_1)
	v_fmac_f32_e32 v17, v20, v16
	v_add_f32_e32 v22, v21, v17
	s_delay_alu instid0(VALU_DEP_1) | instskip(SKIP_1) | instid1(VALU_DEP_2)
	v_sub_f32_e32 v23, v19, v22
	v_sub_f32_e32 v15, v22, v21
	;; [unrolled: 1-line block ×3, first 2 shown]
	s_delay_alu instid0(VALU_DEP_2) | instskip(NEXT) | instid1(VALU_DEP_2)
	v_sub_f32_e32 v15, v15, v17
	v_sub_f32_e32 v19, v19, v22
	s_delay_alu instid0(VALU_DEP_1) | instskip(NEXT) | instid1(VALU_DEP_1)
	v_add_f32_e32 v12, v12, v19
	v_add_f32_e32 v12, v15, v12
	s_delay_alu instid0(VALU_DEP_1) | instskip(NEXT) | instid1(VALU_DEP_1)
	v_add_f32_e32 v15, v23, v12
	v_mul_f32_e32 v17, v14, v15
	s_delay_alu instid0(VALU_DEP_1) | instskip(NEXT) | instid1(VALU_DEP_1)
	v_dual_sub_f32 v22, v23, v15 :: v_dual_mul_f32 v19, v18, v17
	v_fma_f32 v18, v17, v18, -v19
	s_delay_alu instid0(VALU_DEP_1) | instskip(NEXT) | instid1(VALU_DEP_1)
	v_fmac_f32_e32 v18, v17, v16
	v_add_f32_e32 v16, v19, v18
	s_delay_alu instid0(VALU_DEP_1) | instskip(SKIP_1) | instid1(VALU_DEP_2)
	v_sub_f32_e32 v21, v15, v16
	v_sub_f32_e32 v19, v16, v19
	v_dual_sub_f32 v15, v15, v21 :: v_dual_add_f32 v12, v12, v22
	s_delay_alu instid0(VALU_DEP_1) | instskip(NEXT) | instid1(VALU_DEP_1)
	v_sub_f32_e32 v15, v15, v16
	v_add_f32_e32 v12, v12, v15
	s_delay_alu instid0(VALU_DEP_4) | instskip(NEXT) | instid1(VALU_DEP_1)
	v_dual_add_f32 v15, v20, v17 :: v_dual_sub_f32 v16, v19, v18
	v_add_f32_e32 v12, v16, v12
	s_delay_alu instid0(VALU_DEP_2) | instskip(NEXT) | instid1(VALU_DEP_2)
	v_sub_f32_e32 v16, v15, v20
	v_add_f32_e32 v12, v21, v12
	s_delay_alu instid0(VALU_DEP_2) | instskip(NEXT) | instid1(VALU_DEP_2)
	v_sub_f32_e32 v16, v17, v16
	v_mul_f32_e32 v12, v14, v12
	s_delay_alu instid0(VALU_DEP_1) | instskip(NEXT) | instid1(VALU_DEP_1)
	v_add_f32_e32 v12, v16, v12
	v_add_f32_e32 v14, v15, v12
	s_delay_alu instid0(VALU_DEP_1) | instskip(NEXT) | instid1(VALU_DEP_1)
	v_mul_f32_e32 v16, v14, v14
	v_fmaak_f32 v17, s19, v16, 0x3ecc95a3
	v_mul_f32_e32 v18, v14, v16
	s_delay_alu instid0(VALU_DEP_2) | instskip(SKIP_2) | instid1(VALU_DEP_3)
	v_fmaak_f32 v16, v16, v17, 0x3f2aaada
	v_ldexp_f32 v17, v14, 1
	v_sub_f32_e32 v14, v14, v15
	v_mul_f32_e32 v16, v18, v16
	v_mul_f32_e32 v18, 0x3f317218, v11
	s_delay_alu instid0(VALU_DEP_2) | instskip(NEXT) | instid1(VALU_DEP_1)
	v_dual_sub_f32 v12, v12, v14 :: v_dual_add_f32 v15, v17, v16
	v_ldexp_f32 v12, v12, 1
	s_delay_alu instid0(VALU_DEP_2) | instskip(NEXT) | instid1(VALU_DEP_4)
	v_sub_f32_e32 v14, v15, v17
	v_fma_f32 v17, 0x3f317218, v11, -v18
	s_delay_alu instid0(VALU_DEP_1) | instskip(NEXT) | instid1(VALU_DEP_1)
	v_dual_sub_f32 v14, v16, v14 :: v_dual_fmac_f32 v17, 0xb102e308, v11
	v_dual_add_f32 v11, v12, v14 :: v_dual_add_f32 v12, v18, v17
	s_delay_alu instid0(VALU_DEP_1) | instskip(NEXT) | instid1(VALU_DEP_2)
	v_add_f32_e32 v14, v15, v11
	v_sub_f32_e32 v18, v12, v18
	s_delay_alu instid0(VALU_DEP_2) | instskip(NEXT) | instid1(VALU_DEP_2)
	v_dual_add_f32 v16, v12, v14 :: v_dual_sub_f32 v15, v14, v15
	v_sub_f32_e32 v17, v17, v18
	s_delay_alu instid0(VALU_DEP_2) | instskip(NEXT) | instid1(VALU_DEP_3)
	v_sub_f32_e32 v19, v16, v12
	v_sub_f32_e32 v11, v11, v15
	s_delay_alu instid0(VALU_DEP_2) | instskip(SKIP_1) | instid1(VALU_DEP_2)
	v_sub_f32_e32 v20, v16, v19
	v_sub_f32_e32 v14, v14, v19
	v_dual_add_f32 v15, v17, v11 :: v_dual_sub_f32 v12, v12, v20
	s_delay_alu instid0(VALU_DEP_1) | instskip(NEXT) | instid1(VALU_DEP_2)
	v_add_f32_e32 v12, v14, v12
	v_sub_f32_e32 v14, v15, v17
	s_delay_alu instid0(VALU_DEP_2) | instskip(NEXT) | instid1(VALU_DEP_2)
	v_add_f32_e32 v12, v15, v12
	v_sub_f32_e32 v15, v15, v14
	s_delay_alu instid0(VALU_DEP_2) | instskip(NEXT) | instid1(VALU_DEP_1)
	v_dual_sub_f32 v11, v11, v14 :: v_dual_add_f32 v18, v16, v12
	v_dual_sub_f32 v14, v17, v15 :: v_dual_sub_f32 v15, v18, v16
	s_delay_alu instid0(VALU_DEP_1) | instskip(NEXT) | instid1(VALU_DEP_1)
	v_dual_add_f32 v11, v11, v14 :: v_dual_sub_f32 v12, v12, v15
	v_add_f32_e32 v11, v11, v12
	s_delay_alu instid0(VALU_DEP_1) | instskip(NEXT) | instid1(VALU_DEP_1)
	v_add_f32_e32 v11, v18, v11
	v_cndmask_b32_e32 v11, v11, v13, vcc_lo
	v_cmp_ngt_f32_e32 vcc_lo, -1.0, v13
	s_delay_alu instid0(VALU_DEP_2) | instskip(SKIP_1) | instid1(VALU_DEP_2)
	v_cndmask_b32_e32 v11, 0x7fc00000, v11, vcc_lo
	v_cmp_neq_f32_e32 vcc_lo, -1.0, v13
	v_cndmask_b32_e32 v11, 0xff800000, v11, vcc_lo
	v_cmp_gt_f32_e64 vcc_lo, 0x33800000, |v13|
	s_delay_alu instid0(VALU_DEP_2) | instskip(NEXT) | instid1(VALU_DEP_1)
	v_cndmask_b32_e32 v11, v11, v13, vcc_lo
	v_bfe_u32 v12, v11, 16, 1
	v_cmp_o_f32_e32 vcc_lo, v11, v11
	s_delay_alu instid0(VALU_DEP_2) | instskip(NEXT) | instid1(VALU_DEP_1)
	v_add3_u32 v12, v11, v12, 0x7fff
	v_lshrrev_b32_e32 v12, 16, v12
	s_delay_alu instid0(VALU_DEP_1)
	v_cndmask_b32_e32 v13, 0x7fc0, v12, vcc_lo
	v_add_co_u32 v11, vcc_lo, v1, s18
	v_add_co_ci_u32_e32 v12, vcc_lo, 0, v2, vcc_lo
	global_store_b16 v[11:12], v13, off
	s_branch .LBB213_3
.LBB213_20:
	s_cbranch_execz .LBB213_22
	s_branch .LBB213_25
.LBB213_21:
.LBB213_22:
	v_dual_mov_b32 v2, 0 :: v_dual_lshlrev_b32 v1, 2, v0
	s_mov_b32 s2, 0
	s_mov_b32 s3, exec_lo
	s_delay_alu instid0(VALU_DEP_1)
	v_cmpx_gt_i64_e64 s[6:7], v[1:2]
	s_cbranch_execz .LBB213_25
; %bb.23:
	s_load_b32 s0, s[0:1], 0xd3c
	v_lshlrev_b32_e32 v1, 3, v0
	s_mov_b32 s5, 0x3e9b6dac
	s_waitcnt lgkmcnt(0)
	s_and_b32 s0, s0, 0xffff
	s_add_u32 s1, s8, s10
	s_addc_u32 s3, s9, s11
	v_add_co_u32 v3, s1, s1, v1
	s_delay_alu instid0(VALU_DEP_1)
	v_add_co_ci_u32_e64 v4, null, s3, 0, s1
	v_add_lshl_u32 v1, v0, s0, 2
	s_lshl_b32 s3, s0, 3
	s_lshl_b32 s4, s0, 2
.LBB213_24:                             ; =>This Inner Loop Header: Depth=1
	global_load_b64 v[7:8], v[3:4], off
	v_cmp_lt_u64_e64 s0, 0xffff, v[1:2]
	s_waitcnt vmcnt(0)
	v_and_b32_e32 v6, 0xffff0000, v8
	s_delay_alu instid0(VALU_DEP_1) | instskip(NEXT) | instid1(VALU_DEP_1)
	v_dual_add_f32 v18, 1.0, v6 :: v_dual_lshlrev_b32 v5, 16, v7
	v_add_f32_e32 v16, 1.0, v5
	v_and_b32_e32 v0, 0xffff0000, v7
	v_alignbit_b32 v7, v8, v7, 16
	s_delay_alu instid0(VALU_DEP_4) | instskip(SKIP_1) | instid1(VALU_DEP_4)
	v_cvt_f64_f32_e32 v[12:13], v18
	v_frexp_mant_f32_e32 v21, v18
	v_add_f32_e32 v17, 1.0, v0
	v_cvt_f64_f32_e32 v[8:9], v16
	v_and_b32_e32 v7, 0xffff0000, v7
	s_delay_alu instid0(VALU_DEP_3) | instskip(NEXT) | instid1(VALU_DEP_2)
	v_cvt_f64_f32_e32 v[10:11], v17
	v_add_f32_e32 v19, 1.0, v7
	s_delay_alu instid0(VALU_DEP_1)
	v_cvt_f64_f32_e32 v[14:15], v19
	v_frexp_mant_f32_e32 v27, v19
	v_add_f32_e32 v23, -1.0, v19
	v_frexp_exp_i32_f64_e32 v8, v[8:9]
	v_frexp_exp_i32_f64_e32 v9, v[10:11]
	v_frexp_exp_i32_f64_e32 v10, v[12:13]
	v_frexp_mant_f32_e32 v12, v16
	v_dual_add_f32 v11, -1.0, v16 :: v_dual_add_f32 v20, -1.0, v18
	v_frexp_exp_i32_f64_e32 v13, v[14:15]
	s_delay_alu instid0(VALU_DEP_3) | instskip(SKIP_4) | instid1(VALU_DEP_3)
	v_cmp_gt_f32_e32 vcc_lo, 0x3f2aaaab, v12
	v_frexp_mant_f32_e32 v15, v17
	v_add_f32_e32 v14, -1.0, v17
	v_dual_sub_f32 v22, v11, v16 :: v_dual_sub_f32 v11, v5, v11
	v_dual_sub_f32 v25, v20, v18 :: v_dual_sub_f32 v20, v6, v20
	v_sub_f32_e32 v24, v14, v17
	s_delay_alu instid0(VALU_DEP_2) | instskip(SKIP_2) | instid1(VALU_DEP_2)
	v_dual_sub_f32 v14, v0, v14 :: v_dual_add_f32 v25, 1.0, v25
	v_subrev_co_ci_u32_e32 v8, vcc_lo, 0, v8, vcc_lo
	v_cmp_gt_f32_e32 vcc_lo, 0x3f2aaaab, v15
	v_sub_nc_u32_e32 v12, 0, v8
	v_cvt_f32_i32_e32 v8, v8
	v_subrev_co_ci_u32_e32 v9, vcc_lo, 0, v9, vcc_lo
	v_cmp_gt_f32_e32 vcc_lo, 0x3f2aaaab, v21
	s_delay_alu instid0(VALU_DEP_4) | instskip(SKIP_1) | instid1(VALU_DEP_4)
	v_ldexp_f32 v16, v16, v12
	v_add_f32_e32 v22, 1.0, v22
	v_sub_nc_u32_e32 v15, 0, v9
	v_cvt_f32_i32_e32 v9, v9
	v_subrev_co_ci_u32_e32 v10, vcc_lo, 0, v10, vcc_lo
	v_sub_f32_e32 v26, v23, v19
	v_sub_f32_e32 v23, v7, v23
	v_cmp_gt_f32_e32 vcc_lo, 0x3f2aaaab, v27
	s_delay_alu instid0(VALU_DEP_4) | instskip(SKIP_3) | instid1(VALU_DEP_4)
	v_sub_nc_u32_e32 v21, 0, v10
	v_cvt_f32_i32_e32 v10, v10
	v_ldexp_f32 v17, v17, v15
	v_subrev_co_ci_u32_e32 v13, vcc_lo, 0, v13, vcc_lo
	v_ldexp_f32 v18, v18, v21
	v_dual_add_f32 v20, v20, v25 :: v_dual_add_f32 v25, 1.0, v16
	v_dual_add_f32 v24, 1.0, v24 :: v_dual_add_f32 v11, v11, v22
	s_delay_alu instid0(VALU_DEP_3) | instskip(NEXT) | instid1(VALU_DEP_3)
	v_add_f32_e32 v31, 1.0, v18
	v_ldexp_f32 v20, v20, v21
	s_delay_alu instid0(VALU_DEP_3) | instskip(SKIP_3) | instid1(VALU_DEP_4)
	v_dual_mul_f32 v21, 0x3f317218, v10 :: v_dual_add_f32 v14, v14, v24
	v_add_f32_e32 v27, -1.0, v17
	v_ldexp_f32 v11, v11, v12
	v_dual_add_f32 v34, -1.0, v25 :: v_dual_add_f32 v39, -1.0, v31
	v_ldexp_f32 v14, v14, v15
	v_dual_mul_f32 v15, 0x3f317218, v9 :: v_dual_add_f32 v26, 1.0, v26
	v_fma_f32 v32, 0x3f317218, v10, -v21
	v_cmp_eq_f32_e32 vcc_lo, 0x7f800000, v5
	s_delay_alu instid0(VALU_DEP_3) | instskip(NEXT) | instid1(VALU_DEP_4)
	v_fma_f32 v29, 0x3f317218, v9, -v15
	v_add_f32_e32 v22, v23, v26
	v_sub_nc_u32_e32 v23, 0, v13
	v_cvt_f32_i32_e32 v13, v13
	s_delay_alu instid0(VALU_DEP_4) | instskip(SKIP_1) | instid1(VALU_DEP_4)
	v_dual_add_f32 v24, -1.0, v16 :: v_dual_fmac_f32 v29, 0xb102e308, v9
	v_add_f32_e32 v28, 1.0, v17
	v_ldexp_f32 v19, v19, v23
	v_mul_f32_e32 v12, 0x3f317218, v8
	v_ldexp_f32 v22, v22, v23
	v_mul_f32_e32 v23, 0x3f317218, v13
	v_add_f32_e32 v33, 1.0, v24
	v_add_f32_e32 v9, -1.0, v19
	v_fma_f32 v26, 0x3f317218, v8, -v12
	v_dual_add_f32 v30, -1.0, v18 :: v_dual_add_f32 v35, -1.0, v28
	v_add_f32_e32 v36, 1.0, v19
	v_fma_f32 v37, 0x3f317218, v13, -v23
	s_delay_alu instid0(VALU_DEP_4)
	v_fmac_f32_e32 v26, 0xb102e308, v8
	v_add_f32_e32 v8, 1.0, v27
	v_add_f32_e32 v38, 1.0, v30
	v_fmac_f32_e32 v32, 0xb102e308, v10
	v_sub_f32_e32 v10, v16, v33
	v_dual_sub_f32 v16, v16, v34 :: v_dual_fmac_f32 v37, 0xb102e308, v13
	v_sub_f32_e32 v8, v17, v8
	v_sub_f32_e32 v17, v17, v35
	v_add_f32_e32 v35, 1.0, v9
	v_dual_sub_f32 v13, v18, v38 :: v_dual_add_f32 v40, -1.0, v36
	v_add_f32_e32 v10, v11, v10
	v_dual_add_f32 v34, v15, v29 :: v_dual_add_f32 v33, v12, v26
	s_delay_alu instid0(VALU_DEP_3) | instskip(NEXT) | instid1(VALU_DEP_2)
	v_dual_add_f32 v13, v20, v13 :: v_dual_sub_f32 v18, v18, v39
	v_sub_f32_e32 v15, v34, v15
	v_add_f32_e32 v11, v11, v16
	v_add_f32_e32 v8, v14, v8
	v_dual_add_f32 v14, v14, v17 :: v_dual_sub_f32 v17, v19, v40
	v_sub_f32_e32 v12, v33, v12
	v_sub_f32_e32 v15, v29, v15
	s_delay_alu instid0(VALU_DEP_3) | instskip(SKIP_2) | instid1(VALU_DEP_3)
	v_dual_add_f32 v17, v22, v17 :: v_dual_sub_f32 v16, v19, v35
	v_dual_add_f32 v35, v25, v11 :: v_dual_add_f32 v18, v20, v18
	v_add_f32_e32 v19, v23, v37
	v_add_f32_e32 v43, v36, v17
	s_delay_alu instid0(VALU_DEP_3) | instskip(NEXT) | instid1(VALU_DEP_4)
	v_sub_f32_e32 v25, v35, v25
	v_dual_add_f32 v29, v31, v18 :: v_dual_add_f32 v38, v21, v32
	v_add_f32_e32 v39, v28, v14
	v_rcp_f32_e32 v40, v35
	s_delay_alu instid0(VALU_DEP_3) | instskip(NEXT) | instid1(VALU_DEP_3)
	v_dual_sub_f32 v12, v26, v12 :: v_dual_sub_f32 v11, v11, v25
	v_dual_sub_f32 v20, v38, v21 :: v_dual_sub_f32 v31, v29, v31
	v_add_f32_e32 v21, v24, v10
	v_rcp_f32_e32 v41, v39
	v_rcp_f32_e32 v44, v29
	s_delay_alu instid0(TRANS32_DEP_3) | instid1(VALU_DEP_1)
	v_mul_f32_e32 v25, v21, v40
	v_add_f32_e32 v16, v22, v16
	v_add_f32_e32 v22, v30, v13
	s_delay_alu instid0(VALU_DEP_2) | instskip(SKIP_1) | instid1(VALU_DEP_3)
	v_dual_mul_f32 v45, v35, v25 :: v_dual_add_f32 v42, v9, v16
	v_add_f32_e32 v26, v27, v8
	v_sub_f32_e32 v30, v22, v30
	s_delay_alu instid0(VALU_DEP_3) | instskip(NEXT) | instid1(VALU_DEP_3)
	v_dual_sub_f32 v9, v42, v9 :: v_dual_sub_f32 v24, v21, v24
	v_dual_sub_f32 v27, v26, v27 :: v_dual_sub_f32 v28, v39, v28
	s_delay_alu instid0(VALU_DEP_3) | instskip(NEXT) | instid1(VALU_DEP_3)
	v_sub_f32_e32 v13, v13, v30
	v_sub_f32_e32 v9, v16, v9
	s_delay_alu instid0(VALU_DEP_3) | instskip(NEXT) | instid1(VALU_DEP_4)
	v_dual_sub_f32 v8, v8, v27 :: v_dual_mul_f32 v27, v26, v41
	v_sub_f32_e32 v14, v14, v28
	s_delay_alu instid0(VALU_DEP_2) | instskip(SKIP_1) | instid1(VALU_DEP_1)
	v_mul_f32_e32 v30, v39, v27
	v_fma_f32 v48, v25, v35, -v45
	v_fmac_f32_e32 v48, v25, v11
	v_sub_f32_e32 v18, v18, v31
	s_delay_alu instid0(VALU_DEP_4)
	v_fma_f32 v31, v27, v39, -v30
	v_sub_f32_e32 v10, v10, v24
	v_rcp_f32_e32 v24, v43
	v_add_f32_e32 v51, v45, v48
	v_sub_f32_e32 v28, v43, v36
	v_dual_mul_f32 v36, v22, v44 :: v_dual_fmac_f32 v31, v27, v14
	s_delay_alu instid0(VALU_DEP_3) | instskip(SKIP_1) | instid1(VALU_DEP_3)
	v_sub_f32_e32 v45, v51, v45
	v_sub_f32_e32 v53, v21, v51
	v_mul_f32_e32 v47, v29, v36
	s_delay_alu instid0(VALU_DEP_4) | instskip(NEXT) | instid1(VALU_DEP_3)
	v_dual_sub_f32 v17, v17, v28 :: v_dual_add_f32 v16, v30, v31
	v_sub_f32_e32 v21, v21, v53
	s_delay_alu instid0(VALU_DEP_3) | instskip(NEXT) | instid1(VALU_DEP_2)
	v_fma_f32 v50, v36, v29, -v47
	v_dual_sub_f32 v30, v16, v30 :: v_dual_sub_f32 v21, v21, v51
	s_delay_alu instid0(VALU_DEP_2) | instskip(NEXT) | instid1(VALU_DEP_2)
	v_fmac_f32_e32 v50, v36, v18
	v_sub_f32_e32 v30, v30, v31
	s_delay_alu instid0(VALU_DEP_3) | instskip(NEXT) | instid1(VALU_DEP_3)
	v_add_f32_e32 v10, v10, v21
	v_add_f32_e32 v52, v47, v50
	s_delay_alu instid0(VALU_DEP_1) | instskip(NEXT) | instid1(VALU_DEP_1)
	v_dual_mul_f32 v46, v42, v24 :: v_dual_sub_f32 v47, v52, v47
	v_mul_f32_e32 v49, v43, v46
	s_delay_alu instid0(VALU_DEP_1) | instskip(NEXT) | instid1(VALU_DEP_1)
	v_fma_f32 v28, v46, v43, -v49
	v_fmac_f32_e32 v28, v46, v17
	s_delay_alu instid0(VALU_DEP_1) | instskip(SKIP_2) | instid1(VALU_DEP_3)
	v_add_f32_e32 v55, v49, v28
	v_sub_f32_e32 v21, v47, v50
	v_sub_f32_e32 v45, v45, v48
	;; [unrolled: 1-line block ×4, first 2 shown]
	s_delay_alu instid0(VALU_DEP_1) | instskip(NEXT) | instid1(VALU_DEP_1)
	v_sub_f32_e32 v22, v22, v56
	v_sub_f32_e32 v22, v22, v52
	s_delay_alu instid0(VALU_DEP_1) | instskip(NEXT) | instid1(VALU_DEP_1)
	v_dual_sub_f32 v54, v26, v16 :: v_dual_add_f32 v13, v13, v22
	v_sub_f32_e32 v26, v26, v54
	v_sub_f32_e32 v48, v55, v49
	s_delay_alu instid0(VALU_DEP_2) | instskip(SKIP_1) | instid1(VALU_DEP_3)
	v_dual_add_f32 v13, v21, v13 :: v_dual_sub_f32 v16, v26, v16
	v_sub_f32_e32 v26, v42, v31
	v_dual_sub_f32 v22, v48, v28 :: v_dual_sub_f32 v21, v19, v23
	s_delay_alu instid0(VALU_DEP_3) | instskip(NEXT) | instid1(VALU_DEP_3)
	v_add_f32_e32 v8, v8, v16
	v_sub_f32_e32 v16, v26, v55
	s_delay_alu instid0(VALU_DEP_1) | instskip(NEXT) | instid1(VALU_DEP_1)
	v_add_f32_e32 v9, v9, v16
	v_add_f32_e32 v9, v22, v9
	;; [unrolled: 1-line block ×3, first 2 shown]
	s_delay_alu instid0(VALU_DEP_1) | instskip(NEXT) | instid1(VALU_DEP_1)
	v_sub_f32_e32 v48, v56, v22
	v_add_f32_e32 v13, v13, v48
	s_delay_alu instid0(VALU_DEP_4) | instskip(NEXT) | instid1(VALU_DEP_1)
	v_dual_add_f32 v10, v45, v10 :: v_dual_add_f32 v45, v31, v9
	v_dual_mul_f32 v51, v24, v45 :: v_dual_add_f32 v8, v30, v8
	s_delay_alu instid0(VALU_DEP_2) | instskip(NEXT) | instid1(VALU_DEP_1)
	v_dual_add_f32 v16, v53, v10 :: v_dual_sub_f32 v31, v31, v45
	v_add_f32_e32 v9, v9, v31
	s_delay_alu instid0(VALU_DEP_2) | instskip(SKIP_2) | instid1(VALU_DEP_1)
	v_dual_add_f32 v31, v46, v51 :: v_dual_sub_f32 v28, v53, v16
	v_mul_f32_e32 v53, v43, v51
	v_add_f32_e32 v23, v54, v8
	v_dual_mul_f32 v47, v44, v22 :: v_dual_mul_f32 v30, v41, v23
	s_delay_alu instid0(VALU_DEP_1) | instskip(NEXT) | instid1(VALU_DEP_2)
	v_mul_f32_e32 v50, v39, v30
	v_mul_f32_e32 v52, v29, v47
	s_delay_alu instid0(VALU_DEP_2) | instskip(SKIP_1) | instid1(VALU_DEP_3)
	v_fma_f32 v39, v30, v39, -v50
	v_mul_f32_e32 v26, v40, v16
	v_fma_f32 v29, v47, v29, -v52
	v_sub_f32_e32 v42, v54, v23
	s_delay_alu instid0(VALU_DEP_4) | instskip(NEXT) | instid1(VALU_DEP_4)
	v_fmac_f32_e32 v39, v30, v14
	v_mul_f32_e32 v49, v35, v26
	s_delay_alu instid0(VALU_DEP_4) | instskip(SKIP_1) | instid1(VALU_DEP_3)
	v_fmac_f32_e32 v29, v47, v18
	v_fma_f32 v14, v51, v43, -v53
	v_fma_f32 v35, v26, v35, -v49
	s_delay_alu instid0(VALU_DEP_2) | instskip(NEXT) | instid1(VALU_DEP_4)
	v_fmac_f32_e32 v14, v51, v17
	v_add_f32_e32 v17, v52, v29
	s_delay_alu instid0(VALU_DEP_3) | instskip(SKIP_2) | instid1(VALU_DEP_4)
	v_fmac_f32_e32 v35, v26, v11
	v_add_f32_e32 v10, v10, v28
	v_add_f32_e32 v8, v8, v42
	v_sub_f32_e32 v54, v22, v17
	v_sub_f32_e32 v52, v17, v52
	v_add_f32_e32 v18, v49, v35
	v_add_f32_e32 v28, v25, v26
	s_delay_alu instid0(VALU_DEP_1) | instskip(NEXT) | instid1(VALU_DEP_1)
	v_dual_sub_f32 v22, v22, v54 :: v_dual_sub_f32 v25, v28, v25
	v_sub_f32_e32 v17, v22, v17
	s_delay_alu instid0(VALU_DEP_2) | instskip(NEXT) | instid1(VALU_DEP_2)
	v_dual_sub_f32 v11, v26, v25 :: v_dual_add_f32 v42, v27, v30
	v_dual_add_f32 v13, v13, v17 :: v_dual_add_f32 v26, v50, v39
	s_delay_alu instid0(VALU_DEP_2) | instskip(NEXT) | instid1(VALU_DEP_2)
	v_sub_f32_e32 v27, v42, v27
	v_sub_f32_e32 v43, v26, v50
	s_delay_alu instid0(VALU_DEP_2) | instskip(SKIP_1) | instid1(VALU_DEP_1)
	v_dual_add_f32 v50, v53, v14 :: v_dual_sub_f32 v25, v30, v27
	v_sub_f32_e32 v27, v18, v49
	v_sub_f32_e32 v27, v27, v35
	s_delay_alu instid0(VALU_DEP_4) | instskip(NEXT) | instid1(VALU_DEP_4)
	v_sub_f32_e32 v35, v43, v39
	v_dual_sub_f32 v39, v45, v50 :: v_dual_add_f32 v48, v36, v47
	s_delay_alu instid0(VALU_DEP_1) | instskip(NEXT) | instid1(VALU_DEP_1)
	v_dual_sub_f32 v49, v23, v26 :: v_dual_sub_f32 v36, v48, v36
	v_sub_f32_e32 v23, v23, v49
	s_delay_alu instid0(VALU_DEP_1) | instskip(NEXT) | instid1(VALU_DEP_1)
	v_dual_sub_f32 v23, v23, v26 :: v_dual_sub_f32 v26, v45, v39
	v_sub_f32_e32 v22, v26, v50
	s_delay_alu instid0(VALU_DEP_1) | instskip(SKIP_1) | instid1(VALU_DEP_1)
	v_add_f32_e32 v9, v9, v22
	v_sub_f32_e32 v30, v16, v18
	v_sub_f32_e32 v16, v16, v30
	s_delay_alu instid0(VALU_DEP_1) | instskip(SKIP_1) | instid1(VALU_DEP_1)
	v_sub_f32_e32 v16, v16, v18
	v_sub_f32_e32 v18, v50, v53
	;; [unrolled: 1-line block ×3, first 2 shown]
	s_delay_alu instid0(VALU_DEP_1) | instskip(NEXT) | instid1(VALU_DEP_1)
	v_add_f32_e32 v9, v14, v9
	v_dual_add_f32 v9, v39, v9 :: v_dual_add_f32 v10, v10, v16
	s_delay_alu instid0(VALU_DEP_1) | instskip(SKIP_1) | instid1(VALU_DEP_1)
	v_mul_f32_e32 v9, v24, v9
	v_add_f32_e32 v8, v8, v23
	v_add_f32_e32 v8, v35, v8
	s_delay_alu instid0(VALU_DEP_1) | instskip(NEXT) | instid1(VALU_DEP_1)
	v_add_f32_e32 v8, v49, v8
	v_mul_f32_e32 v8, v41, v8
	s_delay_alu instid0(VALU_DEP_1) | instskip(NEXT) | instid1(VALU_DEP_1)
	v_add_f32_e32 v8, v25, v8
	v_dual_sub_f32 v16, v52, v29 :: v_dual_add_f32 v17, v42, v8
	s_delay_alu instid0(VALU_DEP_1) | instskip(NEXT) | instid1(VALU_DEP_2)
	v_dual_add_f32 v10, v27, v10 :: v_dual_add_f32 v13, v16, v13
	v_dual_sub_f32 v16, v31, v46 :: v_dual_mul_f32 v23, v17, v17
	s_delay_alu instid0(VALU_DEP_2) | instskip(SKIP_2) | instid1(VALU_DEP_3)
	v_add_f32_e32 v10, v30, v10
	v_sub_f32_e32 v24, v17, v42
	v_ldexp_f32 v25, v17, 1
	v_dual_mul_f32 v17, v17, v23 :: v_dual_mul_f32 v10, v40, v10
	s_delay_alu instid0(VALU_DEP_1) | instskip(SKIP_2) | instid1(VALU_DEP_2)
	v_add_f32_e32 v10, v11, v10
	v_sub_f32_e32 v11, v51, v16
	v_add_f32_e32 v13, v54, v13
	v_add_f32_e32 v9, v11, v9
	s_delay_alu instid0(VALU_DEP_2) | instskip(NEXT) | instid1(VALU_DEP_2)
	v_mul_f32_e32 v13, v44, v13
	v_add_f32_e32 v26, v31, v9
	s_delay_alu instid0(VALU_DEP_1) | instskip(NEXT) | instid1(VALU_DEP_1)
	v_dual_sub_f32 v31, v26, v31 :: v_dual_sub_f32 v14, v47, v36
	v_sub_f32_e32 v9, v9, v31
	s_delay_alu instid0(VALU_DEP_2) | instskip(NEXT) | instid1(VALU_DEP_2)
	v_dual_add_f32 v13, v14, v13 :: v_dual_add_f32 v14, v28, v10
	v_ldexp_f32 v9, v9, 1
	s_delay_alu instid0(VALU_DEP_2) | instskip(NEXT) | instid1(VALU_DEP_3)
	v_add_f32_e32 v11, v48, v13
	v_ldexp_f32 v22, v14, 1
	v_sub_f32_e32 v16, v32, v20
	v_sub_f32_e32 v20, v14, v28
	s_delay_alu instid0(VALU_DEP_4) | instskip(SKIP_2) | instid1(VALU_DEP_4)
	v_dual_mul_f32 v18, v14, v14 :: v_dual_mul_f32 v27, v11, v11
	v_sub_f32_e32 v28, v11, v48
	v_ldexp_f32 v29, v11, 1
	v_sub_f32_e32 v10, v10, v20
	v_fmaak_f32 v20, s5, v23, 0x3ecc95a3
	v_fmaak_f32 v35, s5, v27, 0x3ecc95a3
	v_dual_mul_f32 v11, v11, v27 :: v_dual_fmaak_f32 v30, s5, v18, 0x3ecc95a3
	v_mul_f32_e32 v14, v14, v18
	s_delay_alu instid0(VALU_DEP_4) | instskip(NEXT) | instid1(VALU_DEP_4)
	v_fmaak_f32 v20, v23, v20, 0x3f2aaada
	v_fmaak_f32 v27, v27, v35, 0x3f2aaada
	v_ldexp_f32 v10, v10, 1
	s_delay_alu instid0(VALU_DEP_3) | instskip(NEXT) | instid1(VALU_DEP_3)
	v_dual_fmaak_f32 v18, v18, v30, 0x3f2aaada :: v_dual_mul_f32 v17, v17, v20
	v_dual_mul_f32 v11, v11, v27 :: v_dual_sub_f32 v8, v8, v24
	v_mul_f32_e32 v24, v26, v26
	s_delay_alu instid0(VALU_DEP_3) | instskip(NEXT) | instid1(VALU_DEP_3)
	v_mul_f32_e32 v14, v14, v18
	v_ldexp_f32 v8, v8, 1
	s_delay_alu instid0(VALU_DEP_3) | instskip(SKIP_1) | instid1(VALU_DEP_2)
	v_fmaak_f32 v23, s5, v24, 0x3ecc95a3
	v_mul_f32_e32 v18, v26, v24
	v_fmaak_f32 v20, v24, v23, 0x3f2aaada
	v_dual_add_f32 v24, v25, v17 :: v_dual_add_f32 v23, v22, v14
	s_delay_alu instid0(VALU_DEP_1) | instskip(SKIP_1) | instid1(VALU_DEP_2)
	v_dual_mul_f32 v18, v18, v20 :: v_dual_sub_f32 v25, v24, v25
	v_add_f32_e32 v20, v29, v11
	v_dual_sub_f32 v22, v23, v22 :: v_dual_sub_f32 v17, v17, v25
	s_delay_alu instid0(VALU_DEP_1) | instskip(NEXT) | instid1(VALU_DEP_2)
	v_dual_sub_f32 v27, v20, v29 :: v_dual_sub_f32 v14, v14, v22
	v_add_f32_e32 v8, v8, v17
	v_sub_f32_e32 v17, v37, v21
	v_sub_f32_e32 v13, v13, v28
	s_delay_alu instid0(VALU_DEP_4) | instskip(NEXT) | instid1(VALU_DEP_2)
	v_dual_sub_f32 v11, v11, v27 :: v_dual_add_f32 v10, v10, v14
	v_ldexp_f32 v13, v13, 1
	s_delay_alu instid0(VALU_DEP_1) | instskip(SKIP_1) | instid1(VALU_DEP_4)
	v_add_f32_e32 v11, v13, v11
	v_ldexp_f32 v32, v26, 1
	v_add_f32_e32 v13, v23, v10
	s_delay_alu instid0(VALU_DEP_1) | instskip(NEXT) | instid1(VALU_DEP_1)
	v_dual_add_f32 v26, v32, v18 :: v_dual_sub_f32 v21, v13, v23
	v_sub_f32_e32 v22, v26, v32
	s_delay_alu instid0(VALU_DEP_2) | instskip(NEXT) | instid1(VALU_DEP_2)
	v_sub_f32_e32 v10, v10, v21
	v_sub_f32_e32 v14, v18, v22
	v_add_f32_e32 v22, v33, v13
	s_delay_alu instid0(VALU_DEP_1) | instskip(NEXT) | instid1(VALU_DEP_1)
	v_sub_f32_e32 v21, v22, v33
	v_sub_f32_e32 v29, v22, v21
	;; [unrolled: 1-line block ×3, first 2 shown]
	v_add_f32_e32 v21, v12, v10
	s_delay_alu instid0(VALU_DEP_3) | instskip(NEXT) | instid1(VALU_DEP_2)
	v_sub_f32_e32 v29, v33, v29
	v_sub_f32_e32 v32, v21, v12
	s_delay_alu instid0(VALU_DEP_2) | instskip(SKIP_1) | instid1(VALU_DEP_3)
	v_add_f32_e32 v13, v13, v29
	v_dual_add_f32 v9, v9, v14 :: v_dual_add_f32 v14, v20, v11
	v_sub_f32_e32 v29, v21, v32
	s_delay_alu instid0(VALU_DEP_3) | instskip(NEXT) | instid1(VALU_DEP_3)
	v_add_f32_e32 v13, v21, v13
	v_add_f32_e32 v25, v26, v9
	s_delay_alu instid0(VALU_DEP_4) | instskip(NEXT) | instid1(VALU_DEP_4)
	v_sub_f32_e32 v20, v14, v20
	v_dual_add_f32 v27, v38, v14 :: v_dual_sub_f32 v12, v12, v29
	s_delay_alu instid0(VALU_DEP_3) | instskip(NEXT) | instid1(VALU_DEP_3)
	v_add_f32_e32 v28, v19, v25
	v_dual_sub_f32 v26, v25, v26 :: v_dual_sub_f32 v11, v11, v20
	s_delay_alu instid0(VALU_DEP_1) | instskip(NEXT) | instid1(VALU_DEP_4)
	v_sub_f32_e32 v9, v9, v26
	v_sub_f32_e32 v20, v27, v38
	s_delay_alu instid0(VALU_DEP_1) | instskip(SKIP_2) | instid1(VALU_DEP_3)
	v_sub_f32_e32 v31, v27, v20
	v_sub_f32_e32 v14, v14, v20
	v_add_f32_e32 v20, v16, v11
	v_dual_sub_f32 v31, v38, v31 :: v_dual_add_f32 v18, v24, v8
	s_delay_alu instid0(VALU_DEP_1) | instskip(NEXT) | instid1(VALU_DEP_2)
	v_dual_sub_f32 v35, v20, v16 :: v_dual_add_f32 v14, v14, v31
	v_sub_f32_e32 v23, v18, v24
	s_delay_alu instid0(VALU_DEP_2) | instskip(SKIP_1) | instid1(VALU_DEP_3)
	v_dual_add_f32 v24, v34, v18 :: v_dual_sub_f32 v11, v11, v35
	v_sub_f32_e32 v31, v20, v35
	v_sub_f32_e32 v8, v8, v23
	s_delay_alu instid0(VALU_DEP_3) | instskip(NEXT) | instid1(VALU_DEP_3)
	v_sub_f32_e32 v23, v24, v34
	v_sub_f32_e32 v16, v16, v31
	v_sub_f32_e32 v26, v28, v19
	s_delay_alu instid0(VALU_DEP_2) | instskip(NEXT) | instid1(VALU_DEP_2)
	v_dual_sub_f32 v30, v24, v23 :: v_dual_add_f32 v11, v11, v16
	v_sub_f32_e32 v25, v25, v26
	s_delay_alu instid0(VALU_DEP_2) | instskip(SKIP_1) | instid1(VALU_DEP_1)
	v_sub_f32_e32 v30, v34, v30
	v_sub_f32_e32 v34, v28, v26
	v_dual_add_f32 v26, v17, v9 :: v_dual_sub_f32 v19, v19, v34
	v_dual_sub_f32 v18, v18, v23 :: v_dual_add_f32 v23, v15, v8
	s_delay_alu instid0(VALU_DEP_1) | instskip(NEXT) | instid1(VALU_DEP_2)
	v_dual_add_f32 v19, v25, v19 :: v_dual_add_f32 v18, v18, v30
	v_sub_f32_e32 v33, v23, v15
	s_delay_alu instid0(VALU_DEP_2) | instskip(NEXT) | instid1(VALU_DEP_1)
	v_dual_add_f32 v19, v26, v19 :: v_dual_add_f32 v18, v23, v18
	v_dual_sub_f32 v30, v23, v33 :: v_dual_add_f32 v23, v28, v19
	s_delay_alu instid0(VALU_DEP_1) | instskip(SKIP_1) | instid1(VALU_DEP_2)
	v_dual_sub_f32 v15, v15, v30 :: v_dual_sub_f32 v10, v10, v32
	v_sub_f32_e32 v32, v26, v17
	v_add_f32_e32 v10, v10, v12
	s_delay_alu instid0(VALU_DEP_2) | instskip(SKIP_1) | instid1(VALU_DEP_2)
	v_dual_sub_f32 v21, v26, v32 :: v_dual_sub_f32 v8, v8, v33
	v_dual_add_f32 v12, v22, v13 :: v_dual_sub_f32 v9, v9, v32
	v_dual_sub_f32 v17, v17, v21 :: v_dual_add_f32 v8, v8, v15
	v_add_f32_e32 v15, v24, v18
	s_delay_alu instid0(VALU_DEP_3) | instskip(NEXT) | instid1(VALU_DEP_2)
	v_sub_f32_e32 v21, v12, v22
	v_dual_add_f32 v9, v9, v17 :: v_dual_sub_f32 v22, v15, v24
	s_delay_alu instid0(VALU_DEP_1) | instskip(SKIP_1) | instid1(VALU_DEP_2)
	v_dual_sub_f32 v13, v13, v21 :: v_dual_sub_f32 v16, v18, v22
	v_sub_f32_e32 v18, v23, v28
	v_add_f32_e32 v10, v10, v13
	s_delay_alu instid0(VALU_DEP_2) | instskip(NEXT) | instid1(VALU_DEP_2)
	v_dual_add_f32 v8, v8, v16 :: v_dual_sub_f32 v13, v19, v18
	v_add_f32_e32 v10, v12, v10
	s_delay_alu instid0(VALU_DEP_2) | instskip(NEXT) | instid1(VALU_DEP_2)
	v_dual_add_f32 v8, v15, v8 :: v_dual_add_f32 v9, v9, v13
	v_cndmask_b32_e32 v10, v10, v5, vcc_lo
	v_cmp_eq_f32_e32 vcc_lo, 0x7f800000, v0
	s_delay_alu instid0(VALU_DEP_3) | instskip(NEXT) | instid1(VALU_DEP_4)
	v_dual_add_f32 v9, v23, v9 :: v_dual_add_f32 v14, v20, v14
	v_cndmask_b32_e32 v8, v8, v0, vcc_lo
	v_cmp_eq_f32_e32 vcc_lo, 0x7f800000, v6
	s_delay_alu instid0(VALU_DEP_3) | instskip(NEXT) | instid1(VALU_DEP_1)
	v_add_f32_e32 v20, v27, v14
	v_sub_f32_e32 v24, v20, v27
	s_delay_alu instid0(VALU_DEP_1) | instskip(NEXT) | instid1(VALU_DEP_1)
	v_sub_f32_e32 v14, v14, v24
	v_add_f32_e32 v11, v11, v14
	s_delay_alu instid0(VALU_DEP_1) | instskip(NEXT) | instid1(VALU_DEP_1)
	v_add_f32_e32 v11, v20, v11
	v_cndmask_b32_e32 v11, v11, v6, vcc_lo
	v_cmp_ngt_f32_e32 vcc_lo, -1.0, v5
	v_cndmask_b32_e32 v10, 0x7fc00000, v10, vcc_lo
	v_cmp_ngt_f32_e32 vcc_lo, -1.0, v0
	v_cndmask_b32_e32 v8, 0x7fc00000, v8, vcc_lo
	v_cmp_eq_f32_e32 vcc_lo, 0x7f800000, v7
	v_cndmask_b32_e32 v9, v9, v7, vcc_lo
	v_cmp_ngt_f32_e32 vcc_lo, -1.0, v6
	v_cndmask_b32_e32 v11, 0x7fc00000, v11, vcc_lo
	v_cmp_neq_f32_e32 vcc_lo, -1.0, v5
	v_cndmask_b32_e32 v10, 0xff800000, v10, vcc_lo
	v_cmp_neq_f32_e32 vcc_lo, -1.0, v0
	v_cndmask_b32_e32 v8, 0xff800000, v8, vcc_lo
	v_cmp_ngt_f32_e32 vcc_lo, -1.0, v7
	v_cndmask_b32_e32 v9, 0x7fc00000, v9, vcc_lo
	v_cmp_neq_f32_e32 vcc_lo, -1.0, v6
	v_cndmask_b32_e32 v11, 0xff800000, v11, vcc_lo
	v_cmp_gt_f32_e64 vcc_lo, 0x33800000, |v5|
	v_cndmask_b32_e32 v5, v10, v5, vcc_lo
	v_cmp_neq_f32_e32 vcc_lo, -1.0, v7
	v_cndmask_b32_e32 v9, 0xff800000, v9, vcc_lo
	v_cmp_gt_f32_e64 vcc_lo, 0x33800000, |v0|
	v_cndmask_b32_e32 v0, v8, v0, vcc_lo
	v_cmp_gt_f32_e64 vcc_lo, 0x33800000, |v6|
	s_delay_alu instid0(VALU_DEP_2) | instskip(SKIP_2) | instid1(VALU_DEP_3)
	v_bfe_u32 v8, v0, 16, 1
	v_cndmask_b32_e32 v6, v11, v6, vcc_lo
	v_cmp_gt_f32_e64 vcc_lo, 0x33800000, |v7|
	v_add3_u32 v8, v0, v8, 0x7fff
	s_delay_alu instid0(VALU_DEP_3)
	v_bfe_u32 v10, v6, 16, 1
	v_cndmask_b32_e32 v7, v9, v7, vcc_lo
	v_bfe_u32 v9, v5, 16, 1
	v_cmp_o_f32_e32 vcc_lo, v0, v0
	v_and_b32_e32 v8, 0xffff0000, v8
	v_add3_u32 v10, v6, v10, 0x7fff
	v_bfe_u32 v11, v7, 16, 1
	v_add3_u32 v9, v5, v9, 0x7fff
	s_delay_alu instid0(VALU_DEP_4) | instskip(SKIP_1) | instid1(VALU_DEP_4)
	v_cndmask_b32_e32 v0, 0x7fc00000, v8, vcc_lo
	v_cmp_o_f32_e32 vcc_lo, v5, v5
	v_add3_u32 v11, v7, v11, 0x7fff
	s_delay_alu instid0(VALU_DEP_4) | instskip(SKIP_1) | instid1(VALU_DEP_3)
	v_lshrrev_b32_e32 v9, 16, v9
	v_and_b32_e32 v10, 0xffff0000, v10
	v_lshrrev_b32_e32 v11, 16, v11
	s_delay_alu instid0(VALU_DEP_3) | instskip(SKIP_1) | instid1(VALU_DEP_2)
	v_cndmask_b32_e32 v5, 0x7fc0, v9, vcc_lo
	v_cmp_o_f32_e32 vcc_lo, v6, v6
	v_or_b32_e32 v0, v5, v0
	v_cndmask_b32_e32 v6, 0x7fc00000, v10, vcc_lo
	v_cmp_o_f32_e32 vcc_lo, v7, v7
	s_delay_alu instid0(VALU_DEP_3) | instskip(SKIP_3) | instid1(VALU_DEP_1)
	v_or3_b32 v5, v0, 0, 0
	v_cndmask_b32_e32 v7, 0x7fc0, v11, vcc_lo
	v_cmp_le_i64_e32 vcc_lo, s[6:7], v[1:2]
	v_add_co_u32 v1, s1, v1, s4
	v_add_co_ci_u32_e64 v2, s1, 0, v2, s1
	s_delay_alu instid0(VALU_DEP_4) | instskip(SKIP_1) | instid1(SALU_CYCLE_1)
	v_or3_b32 v6, 0, v7, v6
	s_or_b32 s0, vcc_lo, s0
	s_and_b32 s0, exec_lo, s0
	global_store_b64 v[3:4], v[5:6], off
	v_add_co_u32 v3, vcc_lo, v3, s3
	v_add_co_ci_u32_e32 v4, vcc_lo, 0, v4, vcc_lo
	s_or_b32 s2, s0, s2
	s_delay_alu instid0(SALU_CYCLE_1)
	s_and_not1_b32 exec_lo, exec_lo, s2
	s_cbranch_execnz .LBB213_24
.LBB213_25:
	s_nop 0
	s_sendmsg sendmsg(MSG_DEALLOC_VGPRS)
	s_endpgm
	.section	.rodata,"a",@progbits
	.p2align	6, 0x0
	.amdhsa_kernel _ZN2at6native12_GLOBAL__N_125multi_tensor_apply_kernelINS1_18TensorListMetadataILi1EEENS1_14UnaryOpFunctorIN3c108BFloat16ELi1ELi1ELi0EEEJNS0_5Log1pIfEEEEEvT_T0_DpT1_
		.amdhsa_group_segment_fixed_size 0
		.amdhsa_private_segment_fixed_size 0
		.amdhsa_kernarg_size 3632
		.amdhsa_user_sgpr_count 15
		.amdhsa_user_sgpr_dispatch_ptr 0
		.amdhsa_user_sgpr_queue_ptr 0
		.amdhsa_user_sgpr_kernarg_segment_ptr 1
		.amdhsa_user_sgpr_dispatch_id 0
		.amdhsa_user_sgpr_private_segment_size 0
		.amdhsa_wavefront_size32 1
		.amdhsa_uses_dynamic_stack 0
		.amdhsa_enable_private_segment 0
		.amdhsa_system_sgpr_workgroup_id_x 1
		.amdhsa_system_sgpr_workgroup_id_y 0
		.amdhsa_system_sgpr_workgroup_id_z 0
		.amdhsa_system_sgpr_workgroup_info 0
		.amdhsa_system_vgpr_workitem_id 0
		.amdhsa_next_free_vgpr 57
		.amdhsa_next_free_sgpr 21
		.amdhsa_reserve_vcc 1
		.amdhsa_float_round_mode_32 0
		.amdhsa_float_round_mode_16_64 0
		.amdhsa_float_denorm_mode_32 3
		.amdhsa_float_denorm_mode_16_64 3
		.amdhsa_dx10_clamp 1
		.amdhsa_ieee_mode 1
		.amdhsa_fp16_overflow 0
		.amdhsa_workgroup_processor_mode 1
		.amdhsa_memory_ordered 1
		.amdhsa_forward_progress 0
		.amdhsa_shared_vgpr_count 0
		.amdhsa_exception_fp_ieee_invalid_op 0
		.amdhsa_exception_fp_denorm_src 0
		.amdhsa_exception_fp_ieee_div_zero 0
		.amdhsa_exception_fp_ieee_overflow 0
		.amdhsa_exception_fp_ieee_underflow 0
		.amdhsa_exception_fp_ieee_inexact 0
		.amdhsa_exception_int_div_zero 0
	.end_amdhsa_kernel
	.section	.text._ZN2at6native12_GLOBAL__N_125multi_tensor_apply_kernelINS1_18TensorListMetadataILi1EEENS1_14UnaryOpFunctorIN3c108BFloat16ELi1ELi1ELi0EEEJNS0_5Log1pIfEEEEEvT_T0_DpT1_,"axG",@progbits,_ZN2at6native12_GLOBAL__N_125multi_tensor_apply_kernelINS1_18TensorListMetadataILi1EEENS1_14UnaryOpFunctorIN3c108BFloat16ELi1ELi1ELi0EEEJNS0_5Log1pIfEEEEEvT_T0_DpT1_,comdat
.Lfunc_end213:
	.size	_ZN2at6native12_GLOBAL__N_125multi_tensor_apply_kernelINS1_18TensorListMetadataILi1EEENS1_14UnaryOpFunctorIN3c108BFloat16ELi1ELi1ELi0EEEJNS0_5Log1pIfEEEEEvT_T0_DpT1_, .Lfunc_end213-_ZN2at6native12_GLOBAL__N_125multi_tensor_apply_kernelINS1_18TensorListMetadataILi1EEENS1_14UnaryOpFunctorIN3c108BFloat16ELi1ELi1ELi0EEEJNS0_5Log1pIfEEEEEvT_T0_DpT1_
                                        ; -- End function
	.section	.AMDGPU.csdata,"",@progbits
; Kernel info:
; codeLenInByte = 6836
; NumSgprs: 23
; NumVgprs: 57
; ScratchSize: 0
; MemoryBound: 0
; FloatMode: 240
; IeeeMode: 1
; LDSByteSize: 0 bytes/workgroup (compile time only)
; SGPRBlocks: 2
; VGPRBlocks: 7
; NumSGPRsForWavesPerEU: 23
; NumVGPRsForWavesPerEU: 57
; Occupancy: 16
; WaveLimiterHint : 0
; COMPUTE_PGM_RSRC2:SCRATCH_EN: 0
; COMPUTE_PGM_RSRC2:USER_SGPR: 15
; COMPUTE_PGM_RSRC2:TRAP_HANDLER: 0
; COMPUTE_PGM_RSRC2:TGID_X_EN: 1
; COMPUTE_PGM_RSRC2:TGID_Y_EN: 0
; COMPUTE_PGM_RSRC2:TGID_Z_EN: 0
; COMPUTE_PGM_RSRC2:TIDIG_COMP_CNT: 0
	.section	.text._ZN2at6native12_GLOBAL__N_125multi_tensor_apply_kernelINS1_18TensorListMetadataILi2EEENS1_14UnaryOpFunctorIdLi2ELi1ELi1EEEJNS0_3CosIdEEEEEvT_T0_DpT1_,"axG",@progbits,_ZN2at6native12_GLOBAL__N_125multi_tensor_apply_kernelINS1_18TensorListMetadataILi2EEENS1_14UnaryOpFunctorIdLi2ELi1ELi1EEEJNS0_3CosIdEEEEEvT_T0_DpT1_,comdat
	.globl	_ZN2at6native12_GLOBAL__N_125multi_tensor_apply_kernelINS1_18TensorListMetadataILi2EEENS1_14UnaryOpFunctorIdLi2ELi1ELi1EEEJNS0_3CosIdEEEEEvT_T0_DpT1_ ; -- Begin function _ZN2at6native12_GLOBAL__N_125multi_tensor_apply_kernelINS1_18TensorListMetadataILi2EEENS1_14UnaryOpFunctorIdLi2ELi1ELi1EEEJNS0_3CosIdEEEEEvT_T0_DpT1_
	.p2align	8
	.type	_ZN2at6native12_GLOBAL__N_125multi_tensor_apply_kernelINS1_18TensorListMetadataILi2EEENS1_14UnaryOpFunctorIdLi2ELi1ELi1EEEJNS0_3CosIdEEEEEvT_T0_DpT1_,@function
_ZN2at6native12_GLOBAL__N_125multi_tensor_apply_kernelINS1_18TensorListMetadataILi2EEENS1_14UnaryOpFunctorIdLi2ELi1ELi1EEEJNS0_3CosIdEEEEEvT_T0_DpT1_: ; @_ZN2at6native12_GLOBAL__N_125multi_tensor_apply_kernelINS1_18TensorListMetadataILi2EEENS1_14UnaryOpFunctorIdLi2ELi1ELi1EEEJNS0_3CosIdEEEEEvT_T0_DpT1_
; %bb.0:
	v_mov_b32_e32 v1, s15
	s_add_u32 s2, s0, s15
	s_mul_hi_u32 s3, s15, 3
	s_mul_i32 s15, s15, 3
	s_addc_u32 s4, s1, 0
	global_load_u8 v1, v1, s[0:1] offset:1536
	s_add_u32 s2, s2, s15
	s_addc_u32 s3, s4, s3
	s_mov_b32 s7, 0
	s_load_b32 s2, s[2:3], 0x740
	s_mov_b32 s9, s7
	s_mov_b32 s11, s7
	s_waitcnt vmcnt(0)
	v_readfirstlane_b32 s5, v1
	s_delay_alu instid0(VALU_DEP_1)
	s_lshl_b32 s3, s5, 3
	s_clause 0x2
	s_load_b64 s[16:17], s[0:1], s3 offset:0x0
	s_load_b64 s[18:19], s[0:1], s3 offset:0x200
	;; [unrolled: 1-line block ×3, first 2 shown]
	s_waitcnt lgkmcnt(0)
	s_ashr_i32 s3, s2, 31
	s_delay_alu instid0(SALU_CYCLE_1) | instskip(NEXT) | instid1(SALU_CYCLE_1)
	s_lshl_b64 s[12:13], s[2:3], 19
	s_add_u32 s33, s16, s12
	s_addc_u32 s60, s17, s13
	s_and_b32 s6, s33, 31
	s_add_u32 s61, s18, s12
	s_addc_u32 s62, s19, s13
	s_and_b32 s8, s4, 3
	s_and_b32 s10, s61, 31
	s_or_b64 s[6:7], s[6:7], s[8:9]
	s_lshl_b64 s[2:3], s[2:3], 16
	s_or_b64 s[6:7], s[10:11], s[6:7]
	s_sub_u32 s14, s4, s2
	s_subb_u32 s15, s5, s3
	s_cmp_eq_u64 s[6:7], 0
	s_mov_b32 s2, -1
	s_cbranch_scc0 .LBB214_21
; %bb.1:
	v_mov_b32_e32 v9, 0
	v_lshlrev_b32_e32 v1, 2, v0
	s_mov_b32 s63, exec_lo
	s_delay_alu instid0(VALU_DEP_2) | instskip(NEXT) | instid1(VALU_DEP_1)
	v_mov_b32_e32 v2, v9
	v_cmpx_gt_i64_e64 s[14:15], v[1:2]
	s_cbranch_execz .LBB214_20
; %bb.2:
	s_load_b32 s2, s[0:1], 0xc5c
	v_dual_mov_b32 v12, v9 :: v_dual_lshlrev_b32 v29, 5, v0
	s_mov_b32 s22, 0x54442d18
	s_mov_b32 s28, 0x6dc9c883
	;; [unrolled: 1-line block ×17, first 2 shown]
	s_waitcnt lgkmcnt(0)
	s_and_b32 s2, s2, 0xffff
	s_mov_b32 s23, 0xbff921fb
	v_add_lshl_u32 v11, v0, s2, 2
	s_mov_b32 s25, 0x3c91a626
	s_mov_b32 s26, 0x33145c07
	s_mov_b32 s29, 0x3fe45f30
	s_mov_b32 s31, 0xbc91a626
	s_mov_b32 s35, 0xb97b839a
	s_mov_b32 s37, 0x3e21eeb6
	s_mov_b32 s39, 0xbda907db
	s_lshl_b32 s65, s2, 2
	s_lshl_b32 s66, s2, 5
	s_mov_b32 s41, 0xbe927e4f
	s_mov_b32 s43, 0x3efa01a0
	;; [unrolled: 1-line block ×11, first 2 shown]
	s_branch .LBB214_4
.LBB214_3:                              ;   in Loop: Header=BB214_4 Depth=1
	s_or_b32 exec_lo, exec_lo, s2
	v_mul_f64 v[34:35], v[21:22], v[21:22]
	v_mul_f64 v[36:37], v[17:18], v[17:18]
	;; [unrolled: 1-line block ×4, first 2 shown]
	v_mul_f64 v[68:69], v[23:24], 0.5
	v_mul_f64 v[80:81], v[19:20], 0.5
	;; [unrolled: 1-line block ×4, first 2 shown]
	v_cmp_class_f64_e64 s2, v[1:2], 0x1f8
	v_cmp_class_f64_e64 s4, v[7:8], 0x1f8
	;; [unrolled: 1-line block ×4, first 2 shown]
	v_and_b32_e32 v10, 1, v32
	v_lshlrev_b32_e32 v32, 30, v32
	v_cmp_lt_u64_e64 s10, 0xffff, v[11:12]
	s_delay_alu instid0(VALU_DEP_3) | instskip(NEXT) | instid1(VALU_DEP_3)
	v_cmp_eq_u32_e32 vcc_lo, 0, v10
	v_and_b32_e32 v3, 0x80000000, v32
	v_fma_f64 v[40:41], v[34:35], s[48:49], s[46:47]
	v_mul_f64 v[44:45], v[34:35], 0.5
	v_fma_f64 v[46:47], v[36:37], s[48:49], s[46:47]
	v_fma_f64 v[48:49], v[38:39], s[48:49], s[46:47]
	;; [unrolled: 1-line block ×4, first 2 shown]
	v_mul_f64 v[54:55], v[36:37], 0.5
	v_fma_f64 v[56:57], v[36:37], s[38:39], s[36:37]
	v_mul_f64 v[60:61], v[38:39], 0.5
	v_mul_f64 v[66:67], v[42:43], 0.5
	v_fma_f64 v[62:63], v[38:39], s[38:39], s[36:37]
	v_fma_f64 v[64:65], v[42:43], s[38:39], s[36:37]
	v_mul_f64 v[70:71], v[21:22], -v[34:35]
	v_mul_f64 v[86:87], v[17:18], -v[36:37]
	;; [unrolled: 1-line block ×4, first 2 shown]
	v_fma_f64 v[40:41], v[34:35], v[40:41], s[50:51]
	v_add_f64 v[58:59], -v[44:45], 1.0
	v_fma_f64 v[46:47], v[36:37], v[46:47], s[50:51]
	v_fma_f64 v[48:49], v[38:39], v[48:49], s[50:51]
	;; [unrolled: 1-line block ×4, first 2 shown]
	v_add_f64 v[72:73], -v[54:55], 1.0
	v_fma_f64 v[56:57], v[36:37], v[56:57], s[40:41]
	v_add_f64 v[76:77], -v[60:61], 1.0
	v_add_f64 v[78:79], -v[66:67], 1.0
	v_fma_f64 v[62:63], v[38:39], v[62:63], s[40:41]
	v_fma_f64 v[64:65], v[42:43], v[64:65], s[40:41]
	;; [unrolled: 1-line block ×3, first 2 shown]
	v_add_f64 v[74:75], -v[58:59], 1.0
	v_fma_f64 v[46:47], v[36:37], v[46:47], s[52:53]
	v_fma_f64 v[48:49], v[38:39], v[48:49], s[52:53]
	;; [unrolled: 1-line block ×4, first 2 shown]
	v_add_f64 v[92:93], -v[72:73], 1.0
	v_fma_f64 v[56:57], v[36:37], v[56:57], s[42:43]
	v_fma_f64 v[62:63], v[38:39], v[62:63], s[42:43]
	;; [unrolled: 1-line block ×4, first 2 shown]
	v_add_f64 v[44:45], v[74:75], -v[44:45]
	v_add_f64 v[74:75], -v[76:77], 1.0
	v_fma_f64 v[46:47], v[36:37], v[46:47], s[54:55]
	v_fma_f64 v[48:49], v[38:39], v[48:49], s[54:55]
	;; [unrolled: 1-line block ×5, first 2 shown]
	v_add_f64 v[54:55], v[92:93], -v[54:55]
	v_fma_f64 v[62:63], v[38:39], v[62:63], s[44:45]
	v_fma_f64 v[64:65], v[42:43], v[64:65], s[44:45]
	;; [unrolled: 1-line block ×3, first 2 shown]
	v_add_f64 v[68:69], -v[78:79], 1.0
	v_add_f64 v[60:61], v[74:75], -v[60:61]
	v_fma_f64 v[46:47], v[86:87], v[46:47], v[80:81]
	v_fma_f64 v[48:49], v[88:89], v[48:49], v[82:83]
	;; [unrolled: 1-line block ×4, first 2 shown]
	v_fma_f64 v[44:45], v[21:22], -v[23:24], v[44:45]
	v_mul_f64 v[74:75], v[36:37], v[36:37]
	v_mul_f64 v[80:81], v[38:39], v[38:39]
	v_mul_f64 v[82:83], v[42:43], v[42:43]
	v_fma_f64 v[23:24], v[34:35], v[40:41], -v[23:24]
	v_add_f64 v[66:67], v[68:69], -v[66:67]
	v_mul_f64 v[68:69], v[34:35], v[34:35]
	v_fma_f64 v[34:35], v[36:37], v[56:57], s[56:57]
	v_fma_f64 v[40:41], v[17:18], -v[19:20], v[54:55]
	v_fma_f64 v[19:20], v[36:37], v[46:47], -v[19:20]
	v_fma_f64 v[46:47], v[13:14], -v[15:16], v[60:61]
	v_fma_f64 v[15:16], v[38:39], v[48:49], -v[15:16]
	v_fma_f64 v[36:37], v[38:39], v[62:63], s[56:57]
	v_fma_f64 v[38:39], v[42:43], v[64:65], s[56:57]
	;; [unrolled: 1-line block ×3, first 2 shown]
	v_fma_f64 v[48:49], v[25:26], -v[27:28], v[66:67]
	v_fma_f64 v[27:28], v[42:43], v[50:51], -v[27:28]
	v_fma_f64 v[42:43], v[68:69], v[52:53], v[44:45]
	v_fma_f64 v[34:35], v[74:75], v[34:35], v[40:41]
	;; [unrolled: 1-line block ×5, first 2 shown]
	v_add_f64 v[21:22], v[21:22], -v[23:24]
	v_fma_f64 v[38:39], v[82:83], v[38:39], v[48:49]
	v_fma_f64 v[27:28], v[90:91], s[58:59], v[27:28]
	v_add_f64 v[40:41], v[58:59], v[42:43]
	v_add_f64 v[23:24], v[72:73], v[34:35]
	v_add_f64 v[17:18], v[17:18], -v[19:20]
	v_and_b32_e32 v34, 1, v33
	v_add_f64 v[13:14], v[13:14], -v[15:16]
	v_add_f64 v[19:20], v[76:77], v[36:37]
	v_lshlrev_b32_e32 v33, 30, v33
	s_delay_alu instid0(VALU_DEP_4)
	v_cmp_eq_u32_e64 s7, 0, v34
	v_xor_b32_e32 v1, 0x80000000, v22
	v_add_f64 v[15:16], v[78:79], v[38:39]
	v_add_f64 v[25:26], v[25:26], -v[27:28]
	v_dual_cndmask_b32 v10, v21, v40 :: v_dual_and_b32 v27, 1, v31
	v_and_b32_e32 v28, 1, v30
	v_lshlrev_b32_e32 v31, 30, v31
	v_lshlrev_b32_e32 v30, 30, v30
	s_delay_alu instid0(VALU_DEP_4)
	v_cmp_eq_u32_e64 s3, 0, v27
	v_xor_b32_e32 v5, 0x80000000, v18
	v_cndmask_b32_e32 v18, v1, v41, vcc_lo
	v_cmp_eq_u32_e64 s5, 0, v28
	v_xor_b32_e32 v14, 0x80000000, v14
	v_cndmask_b32_e64 v2, v17, v23, s3
	v_add_co_u32 v27, s9, s61, v29
	s_delay_alu instid0(VALU_DEP_4)
	v_cndmask_b32_e64 v8, v13, v19, s5
	v_add_co_ci_u32_e64 v28, null, s62, 0, s9
	v_cmp_le_i64_e64 s9, s[14:15], v[11:12]
	v_and_b32_e32 v4, 0x80000000, v31
	v_and_b32_e32 v13, 0x80000000, v30
	v_cndmask_b32_e64 v1, 0, v10, s2
	v_cndmask_b32_e64 v10, v5, v24, s3
	;; [unrolled: 1-line block ×5, first 2 shown]
	v_xor_b32_e32 v8, v18, v3
	v_xor_b32_e32 v4, v10, v4
	s_or_b32 s9, s9, s10
	v_xor_b32_e32 v10, v2, v13
	s_add_u32 s33, s33, s66
	v_add_co_u32 v11, s11, v11, s65
	s_addc_u32 s60, s60, 0
	s_add_u32 s61, s61, s66
	v_add_co_ci_u32_e64 v12, s11, 0, v12, s11
	s_addc_u32 s62, s62, 0
	v_cndmask_b32_e64 v2, 0x7ff80000, v8, s2
	v_xor_b32_e32 v17, 0x80000000, v26
	v_cndmask_b32_e64 v6, v25, v15, s7
	v_and_b32_e32 v15, 0x80000000, v33
	v_cndmask_b32_e64 v8, 0x7ff80000, v4, s4
	s_and_b32 s2, exec_lo, s9
	v_cndmask_b32_e64 v14, v17, v16, s7
	v_cndmask_b32_e64 v3, 0, v6, s8
	;; [unrolled: 1-line block ×3, first 2 shown]
	s_or_b32 s64, s2, s64
	s_delay_alu instid0(VALU_DEP_3) | instskip(NEXT) | instid1(VALU_DEP_1)
	v_xor_b32_e32 v13, v14, v15
	v_cndmask_b32_e64 v4, 0x7ff80000, v13, s8
	s_clause 0x1
	global_store_b128 v[27:28], v[5:8], off
	global_store_b128 v[27:28], v[1:4], off offset:16
	s_and_not1_b32 exec_lo, exec_lo, s64
	s_cbranch_execz .LBB214_20
.LBB214_4:                              ; =>This Inner Loop Header: Depth=1
	v_add_co_u32 v1, s2, s33, v29
	s_delay_alu instid0(VALU_DEP_1)
	v_add_co_ci_u32_e64 v2, null, s60, 0, s2
	s_mov_b32 s3, exec_lo
                                        ; implicit-def: $vgpr30
                                        ; implicit-def: $vgpr13_vgpr14
                                        ; implicit-def: $vgpr15_vgpr16
	s_clause 0x1
	global_load_b128 v[5:8], v[1:2], off
	global_load_b128 v[1:4], v[1:2], off offset:16
	s_waitcnt vmcnt(1)
	v_cmpx_ngt_f64_e64 0x41d00000, |v[5:6]|
	s_xor_b32 s3, exec_lo, s3
	s_cbranch_execz .LBB214_6
; %bb.5:                                ;   in Loop: Header=BB214_4 Depth=1
	v_ldexp_f64 v[13:14], |v[5:6]|, 0xffffff80
	v_cmp_le_f64_e64 vcc_lo, 0x7b000000, |v[5:6]|
	v_trig_preop_f64 v[15:16], |v[5:6]|, 0
	v_and_b32_e32 v10, 0x7fffffff, v6
	v_trig_preop_f64 v[17:18], |v[5:6]|, 1
	v_trig_preop_f64 v[27:28], |v[5:6]|, 2
	s_mov_b32 s20, s22
	s_mov_b32 s27, s25
	v_dual_cndmask_b32 v13, v5, v13 :: v_dual_cndmask_b32 v14, v10, v14
	s_delay_alu instid0(VALU_DEP_1) | instskip(NEXT) | instid1(VALU_DEP_4)
	v_mul_f64 v[19:20], v[15:16], v[13:14]
	v_mul_f64 v[21:22], v[17:18], v[13:14]
	s_delay_alu instid0(VALU_DEP_2) | instskip(NEXT) | instid1(VALU_DEP_2)
	v_fma_f64 v[15:16], v[15:16], v[13:14], -v[19:20]
	v_fma_f64 v[17:18], v[17:18], v[13:14], -v[21:22]
	s_delay_alu instid0(VALU_DEP_2) | instskip(NEXT) | instid1(VALU_DEP_1)
	v_add_f64 v[23:24], v[21:22], v[15:16]
	v_add_f64 v[25:26], v[23:24], -v[21:22]
	v_add_f64 v[32:33], v[19:20], v[23:24]
	s_delay_alu instid0(VALU_DEP_2) | instskip(SKIP_1) | instid1(VALU_DEP_3)
	v_add_f64 v[30:31], v[23:24], -v[25:26]
	v_add_f64 v[15:16], v[15:16], -v[25:26]
	v_ldexp_f64 v[25:26], v[32:33], -2
	v_add_f64 v[19:20], v[32:33], -v[19:20]
	s_delay_alu instid0(VALU_DEP_4) | instskip(NEXT) | instid1(VALU_DEP_3)
	v_add_f64 v[21:22], v[21:22], -v[30:31]
	v_cmp_neq_f64_e64 vcc_lo, 0x7ff00000, |v[25:26]|
	s_delay_alu instid0(VALU_DEP_3) | instskip(NEXT) | instid1(VALU_DEP_3)
	v_add_f64 v[19:20], v[23:24], -v[19:20]
	v_add_f64 v[15:16], v[15:16], v[21:22]
	v_fract_f64_e32 v[21:22], v[25:26]
	s_delay_alu instid0(VALU_DEP_1) | instskip(SKIP_1) | instid1(VALU_DEP_3)
	v_cndmask_b32_e32 v21, 0, v21, vcc_lo
	v_mul_f64 v[34:35], v[27:28], v[13:14]
	v_cndmask_b32_e32 v22, 0, v22, vcc_lo
	s_delay_alu instid0(VALU_DEP_1) | instskip(NEXT) | instid1(VALU_DEP_3)
	v_ldexp_f64 v[21:22], v[21:22], 2
	v_add_f64 v[30:31], v[34:35], v[17:18]
	v_fma_f64 v[13:14], v[27:28], v[13:14], -v[34:35]
	s_delay_alu instid0(VALU_DEP_2) | instskip(NEXT) | instid1(VALU_DEP_1)
	v_add_f64 v[23:24], v[30:31], v[15:16]
	v_add_f64 v[25:26], v[19:20], v[23:24]
	v_add_f64 v[36:37], v[23:24], -v[30:31]
	s_delay_alu instid0(VALU_DEP_2) | instskip(NEXT) | instid1(VALU_DEP_2)
	v_add_f64 v[32:33], v[25:26], v[21:22]
	v_add_f64 v[42:43], v[23:24], -v[36:37]
	v_add_f64 v[15:16], v[15:16], -v[36:37]
	;; [unrolled: 1-line block ×3, first 2 shown]
	s_delay_alu instid0(VALU_DEP_4) | instskip(SKIP_1) | instid1(VALU_DEP_3)
	v_cmp_gt_f64_e32 vcc_lo, 0, v[32:33]
	v_add_f64 v[32:33], v[30:31], -v[34:35]
	v_add_f64 v[19:20], v[23:24], -v[19:20]
	v_cndmask_b32_e64 v10, 0, 0x40100000, vcc_lo
	s_delay_alu instid0(VALU_DEP_3) | instskip(SKIP_2) | instid1(VALU_DEP_4)
	v_add_f64 v[40:41], v[30:31], -v[32:33]
	v_add_f64 v[17:18], v[17:18], -v[32:33]
	;; [unrolled: 1-line block ×3, first 2 shown]
	v_add_f64 v[21:22], v[21:22], v[9:10]
	s_delay_alu instid0(VALU_DEP_4) | instskip(NEXT) | instid1(VALU_DEP_3)
	v_add_f64 v[32:33], v[34:35], -v[40:41]
	v_add_f64 v[15:16], v[15:16], v[30:31]
	s_delay_alu instid0(VALU_DEP_3) | instskip(NEXT) | instid1(VALU_DEP_3)
	v_add_f64 v[38:39], v[25:26], v[21:22]
	v_add_f64 v[17:18], v[17:18], v[32:33]
	s_delay_alu instid0(VALU_DEP_2) | instskip(NEXT) | instid1(VALU_DEP_2)
	v_cvt_i32_f64_e32 v10, v[38:39]
	v_add_f64 v[15:16], v[17:18], v[15:16]
	s_delay_alu instid0(VALU_DEP_2) | instskip(NEXT) | instid1(VALU_DEP_2)
	v_cvt_f64_i32_e32 v[36:37], v10
	v_add_f64 v[13:14], v[13:14], v[15:16]
	s_delay_alu instid0(VALU_DEP_2) | instskip(NEXT) | instid1(VALU_DEP_2)
	v_add_f64 v[21:22], v[21:22], -v[36:37]
	v_add_f64 v[13:14], v[19:20], v[13:14]
	s_delay_alu instid0(VALU_DEP_2) | instskip(NEXT) | instid1(VALU_DEP_1)
	v_add_f64 v[17:18], v[25:26], v[21:22]
	v_add_f64 v[15:16], v[17:18], -v[21:22]
	v_cmp_le_f64_e32 vcc_lo, 0.5, v[17:18]
	s_delay_alu instid0(VALU_DEP_2) | instskip(SKIP_2) | instid1(VALU_DEP_3)
	v_add_f64 v[15:16], v[25:26], -v[15:16]
	v_add_co_ci_u32_e64 v30, s2, 0, v10, vcc_lo
	v_cndmask_b32_e64 v10, 0, 0x3ff00000, vcc_lo
	v_add_f64 v[13:14], v[13:14], v[15:16]
	s_delay_alu instid0(VALU_DEP_2) | instskip(NEXT) | instid1(VALU_DEP_1)
	v_add_f64 v[15:16], v[17:18], -v[9:10]
	v_add_f64 v[17:18], v[15:16], v[13:14]
	s_delay_alu instid0(VALU_DEP_1) | instskip(SKIP_1) | instid1(VALU_DEP_2)
	v_mul_f64 v[19:20], v[17:18], s[20:21]
	v_add_f64 v[15:16], v[17:18], -v[15:16]
	v_fma_f64 v[21:22], v[17:18], s[20:21], -v[19:20]
	s_delay_alu instid0(VALU_DEP_2) | instskip(NEXT) | instid1(VALU_DEP_2)
	v_add_f64 v[13:14], v[13:14], -v[15:16]
	v_fma_f64 v[15:16], v[17:18], s[26:27], v[21:22]
	s_delay_alu instid0(VALU_DEP_1) | instskip(NEXT) | instid1(VALU_DEP_1)
	v_fma_f64 v[15:16], v[13:14], s[20:21], v[15:16]
	v_add_f64 v[13:14], v[19:20], v[15:16]
	s_delay_alu instid0(VALU_DEP_1) | instskip(NEXT) | instid1(VALU_DEP_1)
	v_add_f64 v[17:18], v[13:14], -v[19:20]
	v_add_f64 v[15:16], v[15:16], -v[17:18]
.LBB214_6:                              ;   in Loop: Header=BB214_4 Depth=1
	s_and_not1_saveexec_b32 s2, s3
	s_cbranch_execz .LBB214_8
; %bb.7:                                ;   in Loop: Header=BB214_4 Depth=1
	v_mul_f64 v[13:14], |v[5:6]|, s[28:29]
	s_mov_b32 s24, s30
	s_delay_alu instid0(VALU_DEP_1) | instskip(NEXT) | instid1(VALU_DEP_1)
	v_rndne_f64_e32 v[17:18], v[13:14]
	v_fma_f64 v[13:14], v[17:18], s[22:23], |v[5:6]|
	v_mul_f64 v[15:16], v[17:18], s[30:31]
	v_cvt_i32_f64_e32 v30, v[17:18]
	s_delay_alu instid0(VALU_DEP_3) | instskip(NEXT) | instid1(VALU_DEP_3)
	v_fma_f64 v[21:22], v[17:18], s[30:31], v[13:14]
	v_add_f64 v[19:20], v[13:14], v[15:16]
	s_delay_alu instid0(VALU_DEP_1) | instskip(NEXT) | instid1(VALU_DEP_3)
	v_add_f64 v[13:14], v[13:14], -v[19:20]
	v_add_f64 v[19:20], v[19:20], -v[21:22]
	s_delay_alu instid0(VALU_DEP_2) | instskip(SKIP_1) | instid1(VALU_DEP_2)
	v_add_f64 v[13:14], v[13:14], v[15:16]
	v_fma_f64 v[15:16], v[17:18], s[24:25], v[15:16]
	v_add_f64 v[13:14], v[19:20], v[13:14]
	s_delay_alu instid0(VALU_DEP_1) | instskip(NEXT) | instid1(VALU_DEP_1)
	v_add_f64 v[13:14], v[13:14], -v[15:16]
	v_fma_f64 v[15:16], v[17:18], s[34:35], v[13:14]
	s_delay_alu instid0(VALU_DEP_1) | instskip(NEXT) | instid1(VALU_DEP_1)
	v_add_f64 v[13:14], v[21:22], v[15:16]
	v_add_f64 v[19:20], v[13:14], -v[21:22]
	s_delay_alu instid0(VALU_DEP_1)
	v_add_f64 v[15:16], v[15:16], -v[19:20]
.LBB214_8:                              ;   in Loop: Header=BB214_4 Depth=1
	s_or_b32 exec_lo, exec_lo, s2
	s_delay_alu instid0(SALU_CYCLE_1)
	s_mov_b32 s3, exec_lo
                                        ; implicit-def: $vgpr31
                                        ; implicit-def: $vgpr17_vgpr18
                                        ; implicit-def: $vgpr19_vgpr20
	v_cmpx_ngt_f64_e64 0x41d00000, |v[7:8]|
	s_xor_b32 s3, exec_lo, s3
	s_cbranch_execz .LBB214_10
; %bb.9:                                ;   in Loop: Header=BB214_4 Depth=1
	v_ldexp_f64 v[17:18], |v[7:8]|, 0xffffff80
	v_cmp_le_f64_e64 vcc_lo, 0x7b000000, |v[7:8]|
	v_trig_preop_f64 v[19:20], |v[7:8]|, 0
	v_and_b32_e32 v10, 0x7fffffff, v8
	v_trig_preop_f64 v[21:22], |v[7:8]|, 1
	v_trig_preop_f64 v[33:34], |v[7:8]|, 2
	s_mov_b32 s20, s22
	s_mov_b32 s27, s25
	v_dual_cndmask_b32 v17, v7, v17 :: v_dual_cndmask_b32 v18, v10, v18
	s_delay_alu instid0(VALU_DEP_1) | instskip(NEXT) | instid1(VALU_DEP_4)
	v_mul_f64 v[23:24], v[19:20], v[17:18]
	v_mul_f64 v[25:26], v[21:22], v[17:18]
	s_delay_alu instid0(VALU_DEP_2) | instskip(NEXT) | instid1(VALU_DEP_2)
	v_fma_f64 v[19:20], v[19:20], v[17:18], -v[23:24]
	v_fma_f64 v[21:22], v[21:22], v[17:18], -v[25:26]
	s_delay_alu instid0(VALU_DEP_2) | instskip(NEXT) | instid1(VALU_DEP_1)
	v_add_f64 v[27:28], v[25:26], v[19:20]
	v_add_f64 v[31:32], v[27:28], -v[25:26]
	v_add_f64 v[37:38], v[23:24], v[27:28]
	s_delay_alu instid0(VALU_DEP_2) | instskip(SKIP_1) | instid1(VALU_DEP_3)
	v_add_f64 v[35:36], v[27:28], -v[31:32]
	v_add_f64 v[19:20], v[19:20], -v[31:32]
	v_ldexp_f64 v[31:32], v[37:38], -2
	v_add_f64 v[23:24], v[37:38], -v[23:24]
	s_delay_alu instid0(VALU_DEP_4) | instskip(NEXT) | instid1(VALU_DEP_3)
	v_add_f64 v[25:26], v[25:26], -v[35:36]
	v_cmp_neq_f64_e64 vcc_lo, 0x7ff00000, |v[31:32]|
	s_delay_alu instid0(VALU_DEP_3) | instskip(NEXT) | instid1(VALU_DEP_3)
	v_add_f64 v[23:24], v[27:28], -v[23:24]
	v_add_f64 v[19:20], v[19:20], v[25:26]
	v_fract_f64_e32 v[25:26], v[31:32]
	s_delay_alu instid0(VALU_DEP_1) | instskip(SKIP_1) | instid1(VALU_DEP_3)
	v_cndmask_b32_e32 v25, 0, v25, vcc_lo
	v_mul_f64 v[39:40], v[33:34], v[17:18]
	v_cndmask_b32_e32 v26, 0, v26, vcc_lo
	s_delay_alu instid0(VALU_DEP_1) | instskip(NEXT) | instid1(VALU_DEP_3)
	v_ldexp_f64 v[25:26], v[25:26], 2
	v_add_f64 v[35:36], v[39:40], v[21:22]
	v_fma_f64 v[17:18], v[33:34], v[17:18], -v[39:40]
	s_delay_alu instid0(VALU_DEP_2) | instskip(NEXT) | instid1(VALU_DEP_1)
	v_add_f64 v[27:28], v[35:36], v[19:20]
	v_add_f64 v[31:32], v[23:24], v[27:28]
	v_add_f64 v[41:42], v[27:28], -v[35:36]
	s_delay_alu instid0(VALU_DEP_2) | instskip(NEXT) | instid1(VALU_DEP_2)
	v_add_f64 v[37:38], v[31:32], v[25:26]
	v_add_f64 v[47:48], v[27:28], -v[41:42]
	v_add_f64 v[19:20], v[19:20], -v[41:42]
	;; [unrolled: 1-line block ×3, first 2 shown]
	s_delay_alu instid0(VALU_DEP_4) | instskip(SKIP_1) | instid1(VALU_DEP_3)
	v_cmp_gt_f64_e32 vcc_lo, 0, v[37:38]
	v_add_f64 v[37:38], v[35:36], -v[39:40]
	v_add_f64 v[23:24], v[27:28], -v[23:24]
	v_cndmask_b32_e64 v10, 0, 0x40100000, vcc_lo
	s_delay_alu instid0(VALU_DEP_3) | instskip(SKIP_2) | instid1(VALU_DEP_4)
	v_add_f64 v[45:46], v[35:36], -v[37:38]
	v_add_f64 v[21:22], v[21:22], -v[37:38]
	;; [unrolled: 1-line block ×3, first 2 shown]
	v_add_f64 v[25:26], v[25:26], v[9:10]
	s_delay_alu instid0(VALU_DEP_4) | instskip(NEXT) | instid1(VALU_DEP_3)
	v_add_f64 v[37:38], v[39:40], -v[45:46]
	v_add_f64 v[19:20], v[19:20], v[35:36]
	s_delay_alu instid0(VALU_DEP_3) | instskip(NEXT) | instid1(VALU_DEP_3)
	v_add_f64 v[43:44], v[31:32], v[25:26]
	v_add_f64 v[21:22], v[21:22], v[37:38]
	s_delay_alu instid0(VALU_DEP_2) | instskip(NEXT) | instid1(VALU_DEP_2)
	v_cvt_i32_f64_e32 v10, v[43:44]
	v_add_f64 v[19:20], v[21:22], v[19:20]
	s_delay_alu instid0(VALU_DEP_2) | instskip(NEXT) | instid1(VALU_DEP_2)
	v_cvt_f64_i32_e32 v[41:42], v10
	v_add_f64 v[17:18], v[17:18], v[19:20]
	s_delay_alu instid0(VALU_DEP_2) | instskip(NEXT) | instid1(VALU_DEP_2)
	v_add_f64 v[25:26], v[25:26], -v[41:42]
	v_add_f64 v[17:18], v[23:24], v[17:18]
	s_delay_alu instid0(VALU_DEP_2) | instskip(NEXT) | instid1(VALU_DEP_1)
	v_add_f64 v[21:22], v[31:32], v[25:26]
	v_add_f64 v[19:20], v[21:22], -v[25:26]
	v_cmp_le_f64_e32 vcc_lo, 0.5, v[21:22]
	s_delay_alu instid0(VALU_DEP_2) | instskip(SKIP_2) | instid1(VALU_DEP_3)
	v_add_f64 v[19:20], v[31:32], -v[19:20]
	v_add_co_ci_u32_e64 v31, s2, 0, v10, vcc_lo
	v_cndmask_b32_e64 v10, 0, 0x3ff00000, vcc_lo
	v_add_f64 v[17:18], v[17:18], v[19:20]
	s_delay_alu instid0(VALU_DEP_2) | instskip(NEXT) | instid1(VALU_DEP_1)
	v_add_f64 v[19:20], v[21:22], -v[9:10]
	v_add_f64 v[21:22], v[19:20], v[17:18]
	s_delay_alu instid0(VALU_DEP_1) | instskip(SKIP_1) | instid1(VALU_DEP_2)
	v_mul_f64 v[23:24], v[21:22], s[20:21]
	v_add_f64 v[19:20], v[21:22], -v[19:20]
	v_fma_f64 v[25:26], v[21:22], s[20:21], -v[23:24]
	s_delay_alu instid0(VALU_DEP_2) | instskip(NEXT) | instid1(VALU_DEP_2)
	v_add_f64 v[17:18], v[17:18], -v[19:20]
	v_fma_f64 v[19:20], v[21:22], s[26:27], v[25:26]
	s_delay_alu instid0(VALU_DEP_1) | instskip(NEXT) | instid1(VALU_DEP_1)
	v_fma_f64 v[19:20], v[17:18], s[20:21], v[19:20]
	v_add_f64 v[17:18], v[23:24], v[19:20]
	s_delay_alu instid0(VALU_DEP_1) | instskip(NEXT) | instid1(VALU_DEP_1)
	v_add_f64 v[21:22], v[17:18], -v[23:24]
	v_add_f64 v[19:20], v[19:20], -v[21:22]
.LBB214_10:                             ;   in Loop: Header=BB214_4 Depth=1
	s_and_not1_saveexec_b32 s2, s3
	s_cbranch_execz .LBB214_12
; %bb.11:                               ;   in Loop: Header=BB214_4 Depth=1
	v_mul_f64 v[17:18], |v[7:8]|, s[28:29]
	s_mov_b32 s24, s30
	s_delay_alu instid0(VALU_DEP_1) | instskip(NEXT) | instid1(VALU_DEP_1)
	v_rndne_f64_e32 v[21:22], v[17:18]
	v_fma_f64 v[17:18], v[21:22], s[22:23], |v[7:8]|
	v_mul_f64 v[19:20], v[21:22], s[30:31]
	v_cvt_i32_f64_e32 v31, v[21:22]
	s_delay_alu instid0(VALU_DEP_3) | instskip(NEXT) | instid1(VALU_DEP_3)
	v_fma_f64 v[25:26], v[21:22], s[30:31], v[17:18]
	v_add_f64 v[23:24], v[17:18], v[19:20]
	s_delay_alu instid0(VALU_DEP_1) | instskip(NEXT) | instid1(VALU_DEP_3)
	v_add_f64 v[17:18], v[17:18], -v[23:24]
	v_add_f64 v[23:24], v[23:24], -v[25:26]
	s_delay_alu instid0(VALU_DEP_2) | instskip(SKIP_1) | instid1(VALU_DEP_2)
	v_add_f64 v[17:18], v[17:18], v[19:20]
	v_fma_f64 v[19:20], v[21:22], s[24:25], v[19:20]
	v_add_f64 v[17:18], v[23:24], v[17:18]
	s_delay_alu instid0(VALU_DEP_1) | instskip(NEXT) | instid1(VALU_DEP_1)
	v_add_f64 v[17:18], v[17:18], -v[19:20]
	v_fma_f64 v[19:20], v[21:22], s[34:35], v[17:18]
	s_delay_alu instid0(VALU_DEP_1) | instskip(NEXT) | instid1(VALU_DEP_1)
	v_add_f64 v[17:18], v[25:26], v[19:20]
	v_add_f64 v[23:24], v[17:18], -v[25:26]
	s_delay_alu instid0(VALU_DEP_1)
	v_add_f64 v[19:20], v[19:20], -v[23:24]
.LBB214_12:                             ;   in Loop: Header=BB214_4 Depth=1
	s_or_b32 exec_lo, exec_lo, s2
	s_delay_alu instid0(SALU_CYCLE_1)
	s_mov_b32 s3, exec_lo
                                        ; implicit-def: $vgpr32
                                        ; implicit-def: $vgpr21_vgpr22
                                        ; implicit-def: $vgpr23_vgpr24
	s_waitcnt vmcnt(0)
	v_cmpx_ngt_f64_e64 0x41d00000, |v[1:2]|
	s_xor_b32 s3, exec_lo, s3
	s_cbranch_execz .LBB214_14
; %bb.13:                               ;   in Loop: Header=BB214_4 Depth=1
	v_ldexp_f64 v[21:22], |v[1:2]|, 0xffffff80
	v_cmp_le_f64_e64 vcc_lo, 0x7b000000, |v[1:2]|
	v_trig_preop_f64 v[23:24], |v[1:2]|, 0
	v_and_b32_e32 v10, 0x7fffffff, v2
	v_trig_preop_f64 v[25:26], |v[1:2]|, 1
	v_trig_preop_f64 v[38:39], |v[1:2]|, 2
	s_mov_b32 s20, s22
	s_mov_b32 s27, s25
	v_dual_cndmask_b32 v21, v1, v21 :: v_dual_cndmask_b32 v22, v10, v22
	s_delay_alu instid0(VALU_DEP_1) | instskip(NEXT) | instid1(VALU_DEP_4)
	v_mul_f64 v[27:28], v[23:24], v[21:22]
	v_mul_f64 v[32:33], v[25:26], v[21:22]
	s_delay_alu instid0(VALU_DEP_2) | instskip(NEXT) | instid1(VALU_DEP_2)
	v_fma_f64 v[23:24], v[23:24], v[21:22], -v[27:28]
	v_fma_f64 v[25:26], v[25:26], v[21:22], -v[32:33]
	s_delay_alu instid0(VALU_DEP_2) | instskip(NEXT) | instid1(VALU_DEP_1)
	v_add_f64 v[34:35], v[32:33], v[23:24]
	v_add_f64 v[36:37], v[34:35], -v[32:33]
	v_add_f64 v[42:43], v[27:28], v[34:35]
	s_delay_alu instid0(VALU_DEP_2) | instskip(SKIP_1) | instid1(VALU_DEP_3)
	v_add_f64 v[40:41], v[34:35], -v[36:37]
	v_add_f64 v[23:24], v[23:24], -v[36:37]
	v_ldexp_f64 v[36:37], v[42:43], -2
	v_add_f64 v[27:28], v[42:43], -v[27:28]
	s_delay_alu instid0(VALU_DEP_4) | instskip(NEXT) | instid1(VALU_DEP_3)
	v_add_f64 v[32:33], v[32:33], -v[40:41]
	v_cmp_neq_f64_e64 vcc_lo, 0x7ff00000, |v[36:37]|
	s_delay_alu instid0(VALU_DEP_3) | instskip(NEXT) | instid1(VALU_DEP_3)
	v_add_f64 v[27:28], v[34:35], -v[27:28]
	v_add_f64 v[23:24], v[23:24], v[32:33]
	v_fract_f64_e32 v[32:33], v[36:37]
	s_delay_alu instid0(VALU_DEP_1) | instskip(SKIP_1) | instid1(VALU_DEP_3)
	v_cndmask_b32_e32 v33, 0, v33, vcc_lo
	v_mul_f64 v[44:45], v[38:39], v[21:22]
	v_cndmask_b32_e32 v32, 0, v32, vcc_lo
	s_delay_alu instid0(VALU_DEP_1) | instskip(NEXT) | instid1(VALU_DEP_3)
	v_ldexp_f64 v[32:33], v[32:33], 2
	v_add_f64 v[40:41], v[44:45], v[25:26]
	v_fma_f64 v[21:22], v[38:39], v[21:22], -v[44:45]
	s_delay_alu instid0(VALU_DEP_2) | instskip(NEXT) | instid1(VALU_DEP_1)
	v_add_f64 v[34:35], v[40:41], v[23:24]
	v_add_f64 v[36:37], v[27:28], v[34:35]
	v_add_f64 v[46:47], v[34:35], -v[40:41]
	s_delay_alu instid0(VALU_DEP_2) | instskip(NEXT) | instid1(VALU_DEP_2)
	v_add_f64 v[42:43], v[36:37], v[32:33]
	v_add_f64 v[52:53], v[34:35], -v[46:47]
	v_add_f64 v[23:24], v[23:24], -v[46:47]
	;; [unrolled: 1-line block ×3, first 2 shown]
	s_delay_alu instid0(VALU_DEP_4) | instskip(SKIP_1) | instid1(VALU_DEP_3)
	v_cmp_gt_f64_e32 vcc_lo, 0, v[42:43]
	v_add_f64 v[42:43], v[40:41], -v[44:45]
	v_add_f64 v[27:28], v[34:35], -v[27:28]
	v_cndmask_b32_e64 v10, 0, 0x40100000, vcc_lo
	s_delay_alu instid0(VALU_DEP_3) | instskip(SKIP_2) | instid1(VALU_DEP_4)
	v_add_f64 v[50:51], v[40:41], -v[42:43]
	v_add_f64 v[25:26], v[25:26], -v[42:43]
	;; [unrolled: 1-line block ×3, first 2 shown]
	v_add_f64 v[32:33], v[32:33], v[9:10]
	s_delay_alu instid0(VALU_DEP_4) | instskip(NEXT) | instid1(VALU_DEP_3)
	v_add_f64 v[42:43], v[44:45], -v[50:51]
	v_add_f64 v[23:24], v[23:24], v[40:41]
	s_delay_alu instid0(VALU_DEP_3) | instskip(NEXT) | instid1(VALU_DEP_3)
	v_add_f64 v[48:49], v[36:37], v[32:33]
	v_add_f64 v[25:26], v[25:26], v[42:43]
	s_delay_alu instid0(VALU_DEP_2) | instskip(NEXT) | instid1(VALU_DEP_2)
	v_cvt_i32_f64_e32 v10, v[48:49]
	v_add_f64 v[23:24], v[25:26], v[23:24]
	s_delay_alu instid0(VALU_DEP_2) | instskip(NEXT) | instid1(VALU_DEP_2)
	v_cvt_f64_i32_e32 v[46:47], v10
	v_add_f64 v[21:22], v[21:22], v[23:24]
	s_delay_alu instid0(VALU_DEP_2) | instskip(NEXT) | instid1(VALU_DEP_2)
	v_add_f64 v[32:33], v[32:33], -v[46:47]
	v_add_f64 v[21:22], v[27:28], v[21:22]
	s_delay_alu instid0(VALU_DEP_2) | instskip(NEXT) | instid1(VALU_DEP_1)
	v_add_f64 v[25:26], v[36:37], v[32:33]
	v_add_f64 v[23:24], v[25:26], -v[32:33]
	v_cmp_le_f64_e32 vcc_lo, 0.5, v[25:26]
	s_delay_alu instid0(VALU_DEP_2) | instskip(SKIP_2) | instid1(VALU_DEP_3)
	v_add_f64 v[23:24], v[36:37], -v[23:24]
	v_add_co_ci_u32_e64 v32, s2, 0, v10, vcc_lo
	v_cndmask_b32_e64 v10, 0, 0x3ff00000, vcc_lo
	v_add_f64 v[21:22], v[21:22], v[23:24]
	s_delay_alu instid0(VALU_DEP_2) | instskip(NEXT) | instid1(VALU_DEP_1)
	v_add_f64 v[23:24], v[25:26], -v[9:10]
	v_add_f64 v[25:26], v[23:24], v[21:22]
	s_delay_alu instid0(VALU_DEP_1) | instskip(SKIP_1) | instid1(VALU_DEP_2)
	v_mul_f64 v[27:28], v[25:26], s[20:21]
	v_add_f64 v[23:24], v[25:26], -v[23:24]
	v_fma_f64 v[33:34], v[25:26], s[20:21], -v[27:28]
	s_delay_alu instid0(VALU_DEP_2) | instskip(NEXT) | instid1(VALU_DEP_2)
	v_add_f64 v[21:22], v[21:22], -v[23:24]
	v_fma_f64 v[23:24], v[25:26], s[26:27], v[33:34]
	s_delay_alu instid0(VALU_DEP_1) | instskip(NEXT) | instid1(VALU_DEP_1)
	v_fma_f64 v[23:24], v[21:22], s[20:21], v[23:24]
	v_add_f64 v[21:22], v[27:28], v[23:24]
	s_delay_alu instid0(VALU_DEP_1) | instskip(NEXT) | instid1(VALU_DEP_1)
	v_add_f64 v[25:26], v[21:22], -v[27:28]
	v_add_f64 v[23:24], v[23:24], -v[25:26]
.LBB214_14:                             ;   in Loop: Header=BB214_4 Depth=1
	s_and_not1_saveexec_b32 s2, s3
	s_cbranch_execz .LBB214_16
; %bb.15:                               ;   in Loop: Header=BB214_4 Depth=1
	v_mul_f64 v[21:22], |v[1:2]|, s[28:29]
	s_mov_b32 s24, s30
	s_delay_alu instid0(VALU_DEP_1) | instskip(NEXT) | instid1(VALU_DEP_1)
	v_rndne_f64_e32 v[25:26], v[21:22]
	v_fma_f64 v[21:22], v[25:26], s[22:23], |v[1:2]|
	v_mul_f64 v[23:24], v[25:26], s[30:31]
	s_delay_alu instid0(VALU_DEP_2) | instskip(NEXT) | instid1(VALU_DEP_2)
	v_fma_f64 v[32:33], v[25:26], s[30:31], v[21:22]
	v_add_f64 v[27:28], v[21:22], v[23:24]
	s_delay_alu instid0(VALU_DEP_1) | instskip(NEXT) | instid1(VALU_DEP_3)
	v_add_f64 v[21:22], v[21:22], -v[27:28]
	v_add_f64 v[27:28], v[27:28], -v[32:33]
	s_delay_alu instid0(VALU_DEP_2) | instskip(SKIP_1) | instid1(VALU_DEP_2)
	v_add_f64 v[21:22], v[21:22], v[23:24]
	v_fma_f64 v[23:24], v[25:26], s[24:25], v[23:24]
	v_add_f64 v[21:22], v[27:28], v[21:22]
	s_delay_alu instid0(VALU_DEP_1) | instskip(NEXT) | instid1(VALU_DEP_1)
	v_add_f64 v[21:22], v[21:22], -v[23:24]
	v_fma_f64 v[23:24], v[25:26], s[34:35], v[21:22]
	s_delay_alu instid0(VALU_DEP_1) | instskip(NEXT) | instid1(VALU_DEP_1)
	v_add_f64 v[21:22], v[32:33], v[23:24]
	v_add_f64 v[27:28], v[21:22], -v[32:33]
	v_cvt_i32_f64_e32 v32, v[25:26]
	s_delay_alu instid0(VALU_DEP_2)
	v_add_f64 v[23:24], v[23:24], -v[27:28]
.LBB214_16:                             ;   in Loop: Header=BB214_4 Depth=1
	s_or_b32 exec_lo, exec_lo, s2
	s_delay_alu instid0(SALU_CYCLE_1)
	s_mov_b32 s3, exec_lo
                                        ; implicit-def: $vgpr33
                                        ; implicit-def: $vgpr25_vgpr26
                                        ; implicit-def: $vgpr27_vgpr28
	v_cmpx_ngt_f64_e64 0x41d00000, |v[3:4]|
	s_xor_b32 s3, exec_lo, s3
	s_cbranch_execz .LBB214_18
; %bb.17:                               ;   in Loop: Header=BB214_4 Depth=1
	v_ldexp_f64 v[25:26], |v[3:4]|, 0xffffff80
	v_cmp_le_f64_e64 vcc_lo, 0x7b000000, |v[3:4]|
	v_trig_preop_f64 v[27:28], |v[3:4]|, 0
	v_and_b32_e32 v10, 0x7fffffff, v4
	v_trig_preop_f64 v[33:34], |v[3:4]|, 1
	v_trig_preop_f64 v[43:44], |v[3:4]|, 2
	s_mov_b32 s20, s22
	s_mov_b32 s27, s25
	v_dual_cndmask_b32 v25, v3, v25 :: v_dual_cndmask_b32 v26, v10, v26
	s_delay_alu instid0(VALU_DEP_1) | instskip(NEXT) | instid1(VALU_DEP_4)
	v_mul_f64 v[35:36], v[27:28], v[25:26]
	v_mul_f64 v[37:38], v[33:34], v[25:26]
	s_delay_alu instid0(VALU_DEP_2) | instskip(NEXT) | instid1(VALU_DEP_2)
	v_fma_f64 v[27:28], v[27:28], v[25:26], -v[35:36]
	v_fma_f64 v[33:34], v[33:34], v[25:26], -v[37:38]
	s_delay_alu instid0(VALU_DEP_2) | instskip(NEXT) | instid1(VALU_DEP_1)
	v_add_f64 v[39:40], v[37:38], v[27:28]
	v_add_f64 v[41:42], v[39:40], -v[37:38]
	v_add_f64 v[47:48], v[35:36], v[39:40]
	s_delay_alu instid0(VALU_DEP_2) | instskip(SKIP_1) | instid1(VALU_DEP_3)
	v_add_f64 v[45:46], v[39:40], -v[41:42]
	v_add_f64 v[27:28], v[27:28], -v[41:42]
	v_ldexp_f64 v[41:42], v[47:48], -2
	v_add_f64 v[35:36], v[47:48], -v[35:36]
	s_delay_alu instid0(VALU_DEP_4) | instskip(NEXT) | instid1(VALU_DEP_3)
	v_add_f64 v[37:38], v[37:38], -v[45:46]
	v_cmp_neq_f64_e64 vcc_lo, 0x7ff00000, |v[41:42]|
	s_delay_alu instid0(VALU_DEP_3) | instskip(NEXT) | instid1(VALU_DEP_3)
	v_add_f64 v[35:36], v[39:40], -v[35:36]
	v_add_f64 v[27:28], v[27:28], v[37:38]
	v_fract_f64_e32 v[37:38], v[41:42]
	s_delay_alu instid0(VALU_DEP_1) | instskip(SKIP_1) | instid1(VALU_DEP_3)
	v_cndmask_b32_e32 v37, 0, v37, vcc_lo
	v_mul_f64 v[49:50], v[43:44], v[25:26]
	v_cndmask_b32_e32 v38, 0, v38, vcc_lo
	s_delay_alu instid0(VALU_DEP_1) | instskip(NEXT) | instid1(VALU_DEP_3)
	v_ldexp_f64 v[37:38], v[37:38], 2
	v_add_f64 v[45:46], v[49:50], v[33:34]
	v_fma_f64 v[25:26], v[43:44], v[25:26], -v[49:50]
	s_delay_alu instid0(VALU_DEP_2) | instskip(NEXT) | instid1(VALU_DEP_1)
	v_add_f64 v[39:40], v[45:46], v[27:28]
	v_add_f64 v[41:42], v[35:36], v[39:40]
	v_add_f64 v[51:52], v[39:40], -v[45:46]
	s_delay_alu instid0(VALU_DEP_2) | instskip(NEXT) | instid1(VALU_DEP_2)
	v_add_f64 v[47:48], v[41:42], v[37:38]
	v_add_f64 v[57:58], v[39:40], -v[51:52]
	v_add_f64 v[27:28], v[27:28], -v[51:52]
	;; [unrolled: 1-line block ×3, first 2 shown]
	s_delay_alu instid0(VALU_DEP_4) | instskip(SKIP_2) | instid1(VALU_DEP_2)
	v_cmp_gt_f64_e32 vcc_lo, 0, v[47:48]
	v_add_f64 v[47:48], v[45:46], -v[49:50]
	v_cndmask_b32_e64 v10, 0, 0x40100000, vcc_lo
	v_add_f64 v[55:56], v[45:46], -v[47:48]
	v_add_f64 v[33:34], v[33:34], -v[47:48]
	;; [unrolled: 1-line block ×3, first 2 shown]
	s_delay_alu instid0(VALU_DEP_4) | instskip(NEXT) | instid1(VALU_DEP_4)
	v_add_f64 v[37:38], v[37:38], v[9:10]
	v_add_f64 v[47:48], v[49:50], -v[55:56]
	s_delay_alu instid0(VALU_DEP_3) | instskip(NEXT) | instid1(VALU_DEP_3)
	v_add_f64 v[27:28], v[27:28], v[45:46]
	v_add_f64 v[53:54], v[41:42], v[37:38]
	s_delay_alu instid0(VALU_DEP_3) | instskip(NEXT) | instid1(VALU_DEP_2)
	v_add_f64 v[33:34], v[33:34], v[47:48]
	v_cvt_i32_f64_e32 v10, v[53:54]
	s_delay_alu instid0(VALU_DEP_2) | instskip(SKIP_1) | instid1(VALU_DEP_3)
	v_add_f64 v[27:28], v[33:34], v[27:28]
	v_add_f64 v[33:34], v[39:40], -v[35:36]
	v_cvt_f64_i32_e32 v[51:52], v10
	s_delay_alu instid0(VALU_DEP_3) | instskip(NEXT) | instid1(VALU_DEP_2)
	v_add_f64 v[25:26], v[25:26], v[27:28]
	v_add_f64 v[37:38], v[37:38], -v[51:52]
	s_delay_alu instid0(VALU_DEP_2) | instskip(NEXT) | instid1(VALU_DEP_2)
	v_add_f64 v[25:26], v[33:34], v[25:26]
	v_add_f64 v[43:44], v[41:42], v[37:38]
	s_delay_alu instid0(VALU_DEP_1) | instskip(SKIP_1) | instid1(VALU_DEP_2)
	v_add_f64 v[27:28], v[43:44], -v[37:38]
	v_cmp_le_f64_e32 vcc_lo, 0.5, v[43:44]
	v_add_f64 v[27:28], v[41:42], -v[27:28]
	v_add_co_ci_u32_e64 v33, s2, 0, v10, vcc_lo
	v_cndmask_b32_e64 v10, 0, 0x3ff00000, vcc_lo
	s_delay_alu instid0(VALU_DEP_3) | instskip(NEXT) | instid1(VALU_DEP_2)
	v_add_f64 v[25:26], v[25:26], v[27:28]
	v_add_f64 v[27:28], v[43:44], -v[9:10]
	s_delay_alu instid0(VALU_DEP_1) | instskip(NEXT) | instid1(VALU_DEP_1)
	v_add_f64 v[34:35], v[27:28], v[25:26]
	v_mul_f64 v[36:37], v[34:35], s[20:21]
	v_add_f64 v[27:28], v[34:35], -v[27:28]
	s_delay_alu instid0(VALU_DEP_2) | instskip(NEXT) | instid1(VALU_DEP_2)
	v_fma_f64 v[38:39], v[34:35], s[20:21], -v[36:37]
	v_add_f64 v[25:26], v[25:26], -v[27:28]
	s_delay_alu instid0(VALU_DEP_2) | instskip(NEXT) | instid1(VALU_DEP_1)
	v_fma_f64 v[27:28], v[34:35], s[26:27], v[38:39]
	v_fma_f64 v[27:28], v[25:26], s[20:21], v[27:28]
	s_delay_alu instid0(VALU_DEP_1) | instskip(NEXT) | instid1(VALU_DEP_1)
	v_add_f64 v[25:26], v[36:37], v[27:28]
	v_add_f64 v[34:35], v[25:26], -v[36:37]
	s_delay_alu instid0(VALU_DEP_1)
	v_add_f64 v[27:28], v[27:28], -v[34:35]
.LBB214_18:                             ;   in Loop: Header=BB214_4 Depth=1
	s_and_not1_saveexec_b32 s2, s3
	s_cbranch_execz .LBB214_3
; %bb.19:                               ;   in Loop: Header=BB214_4 Depth=1
	v_mul_f64 v[25:26], |v[3:4]|, s[28:29]
	s_mov_b32 s24, s30
	s_delay_alu instid0(VALU_DEP_1) | instskip(NEXT) | instid1(VALU_DEP_1)
	v_rndne_f64_e32 v[33:34], v[25:26]
	v_fma_f64 v[25:26], v[33:34], s[22:23], |v[3:4]|
	v_mul_f64 v[27:28], v[33:34], s[30:31]
	s_delay_alu instid0(VALU_DEP_2) | instskip(NEXT) | instid1(VALU_DEP_2)
	v_fma_f64 v[37:38], v[33:34], s[30:31], v[25:26]
	v_add_f64 v[35:36], v[25:26], v[27:28]
	s_delay_alu instid0(VALU_DEP_1) | instskip(NEXT) | instid1(VALU_DEP_3)
	v_add_f64 v[25:26], v[25:26], -v[35:36]
	v_add_f64 v[35:36], v[35:36], -v[37:38]
	s_delay_alu instid0(VALU_DEP_2) | instskip(SKIP_1) | instid1(VALU_DEP_2)
	v_add_f64 v[25:26], v[25:26], v[27:28]
	v_fma_f64 v[27:28], v[33:34], s[24:25], v[27:28]
	v_add_f64 v[25:26], v[35:36], v[25:26]
	s_delay_alu instid0(VALU_DEP_1) | instskip(NEXT) | instid1(VALU_DEP_1)
	v_add_f64 v[25:26], v[25:26], -v[27:28]
	v_fma_f64 v[27:28], v[33:34], s[34:35], v[25:26]
	v_cvt_i32_f64_e32 v33, v[33:34]
	s_delay_alu instid0(VALU_DEP_2) | instskip(NEXT) | instid1(VALU_DEP_1)
	v_add_f64 v[25:26], v[37:38], v[27:28]
	v_add_f64 v[35:36], v[25:26], -v[37:38]
	s_delay_alu instid0(VALU_DEP_1)
	v_add_f64 v[27:28], v[27:28], -v[35:36]
	s_branch .LBB214_3
.LBB214_20:
	s_or_b32 exec_lo, exec_lo, s63
	s_mov_b32 s2, 0
.LBB214_21:
	s_delay_alu instid0(SALU_CYCLE_1)
	s_and_not1_b32 vcc_lo, exec_lo, s2
	s_cbranch_vccnz .LBB214_57
; %bb.22:
	v_cmp_lt_i64_e64 s2, s[14:15], 1
	s_delay_alu instid0(VALU_DEP_1)
	s_and_b32 vcc_lo, exec_lo, s2
	s_cbranch_vccnz .LBB214_57
; %bb.23:
	s_load_b32 s0, s[0:1], 0xc5c
	v_dual_mov_b32 v1, 0 :: v_dual_lshlrev_b32 v2, 3, v0
	v_cmp_gt_u64_e64 s1, 0x10000, s[14:15]
	s_mov_b32 s10, 0x54442d18
	s_mov_b32 s20, 0x252049c0
	s_delay_alu instid0(VALU_DEP_2) | instskip(SKIP_1) | instid1(VALU_DEP_1)
	v_mov_b32_e32 v3, v1
	v_add_co_u32 v27, s2, s16, v2
	v_add_co_ci_u32_e64 v28, null, s17, 0, s2
	v_add_co_u32 v29, s2, s18, v2
	s_delay_alu instid0(VALU_DEP_1)
	v_add_co_ci_u32_e64 v30, null, s19, 0, s2
	s_mov_b32 s22, 0x9037ab78
	s_mov_b32 s24, 0x46cc5e42
	s_mov_b32 s26, 0xa17f65f6
	s_mov_b32 s28, 0x19f4ec90
	s_mov_b32 s30, 0x16c16967
	s_waitcnt lgkmcnt(0)
	s_and_b32 s0, s0, 0xffff
	s_and_b32 s1, s1, exec_lo
	v_mad_u64_u32 v[4:5], null, s0, 24, v[2:3]
	s_cselect_b32 s7, s15, 0
	s_cselect_b32 s6, s14, 0x10000
	s_lshl_b32 s3, s0, 4
	s_lshl_b32 s1, s0, 1
	v_add_co_u32 v2, s3, s3, v2
	s_delay_alu instid0(VALU_DEP_2) | instskip(NEXT) | instid1(VALU_DEP_3)
	v_add_co_u32 v31, vcc_lo, s16, v4
	v_add_co_ci_u32_e32 v32, vcc_lo, s17, v5, vcc_lo
	v_add_co_u32 v33, vcc_lo, s18, v4
	v_add_co_ci_u32_e64 v3, null, 0, 0, s3
	s_mul_i32 s2, s0, 3
	s_lshl_b32 s33, s0, 2
	s_lshl_b32 s52, s0, 5
	v_add_co_u32 v39, s0, v0, s0
	v_add_co_ci_u32_e32 v34, vcc_lo, s19, v5, vcc_lo
	v_add_co_u32 v37, vcc_lo, s16, v2
	v_add_co_ci_u32_e32 v38, vcc_lo, s17, v3, vcc_lo
	v_add_co_u32 v40, vcc_lo, s18, v2
	v_lshlrev_b32_e32 v2, 3, v39
	v_add_co_ci_u32_e64 v42, null, 0, 0, s0
	v_add_co_u32 v43, s0, s1, v0
	s_delay_alu instid0(VALU_DEP_1) | instskip(NEXT) | instid1(VALU_DEP_4)
	v_add_co_ci_u32_e64 v44, null, 0, 0, s0
	v_add_co_u32 v45, s0, s16, v2
	v_add_co_u32 v35, s2, s2, v0
	v_add_co_ci_u32_e64 v46, null, s17, 0, s0
	v_add_co_u32 v47, s0, s18, v2
	v_add_co_ci_u32_e64 v36, null, 0, 0, s2
	v_add_co_ci_u32_e32 v41, vcc_lo, s19, v3, vcc_lo
	v_add_co_ci_u32_e64 v48, null, s19, 0, s0
	s_mov_b32 s16, 0x6dc9c883
	s_mov_b32 s18, 0x33145c00
	;; [unrolled: 1-line block ×8, first 2 shown]
	s_mov_b64 s[8:9], 0
	s_mov_b32 s11, 0xbff921fb
	s_mov_b32 s17, 0x3fe45f30
	;; [unrolled: 1-line block ×19, first 2 shown]
	s_branch .LBB214_25
.LBB214_24:                             ;   in Loop: Header=BB214_25 Depth=1
	s_or_b32 exec_lo, exec_lo, s1
	v_add_co_u32 v27, vcc_lo, v27, s52
	v_add_co_ci_u32_e32 v28, vcc_lo, 0, v28, vcc_lo
	v_add_co_u32 v29, vcc_lo, v29, s52
	v_add_co_ci_u32_e32 v30, vcc_lo, 0, v30, vcc_lo
	v_add_co_u32 v31, vcc_lo, v31, s52
	v_add_co_ci_u32_e32 v32, vcc_lo, 0, v32, vcc_lo
	v_add_co_u32 v33, vcc_lo, v33, s52
	v_add_co_ci_u32_e32 v34, vcc_lo, 0, v34, vcc_lo
	v_add_co_u32 v37, vcc_lo, v37, s52
	v_add_co_ci_u32_e32 v38, vcc_lo, 0, v38, vcc_lo
	s_add_u32 s8, s8, s33
	v_add_co_u32 v40, vcc_lo, v40, s52
	s_addc_u32 s9, s9, 0
	v_add_co_ci_u32_e32 v41, vcc_lo, 0, v41, vcc_lo
	v_cmp_ge_i64_e64 s0, s[8:9], s[14:15]
	v_cmp_lt_u64_e64 s1, 0xffff, s[8:9]
	v_add_co_u32 v45, vcc_lo, v45, s52
	v_add_co_ci_u32_e32 v46, vcc_lo, 0, v46, vcc_lo
	v_add_co_u32 v47, vcc_lo, v47, s52
	v_add_co_ci_u32_e32 v48, vcc_lo, 0, v48, vcc_lo
	s_or_b32 s0, s0, s1
	s_delay_alu instid0(SALU_CYCLE_1)
	s_and_b32 vcc_lo, exec_lo, s0
	s_cbranch_vccnz .LBB214_57
.LBB214_25:                             ; =>This Inner Loop Header: Depth=1
	v_add_co_u32 v2, s0, v0, s8
	s_delay_alu instid0(VALU_DEP_1) | instskip(SKIP_2) | instid1(VALU_DEP_3)
	v_add_co_ci_u32_e64 v3, null, 0, s9, s0
	v_mov_b32_e32 v7, 0
	v_mov_b32_e32 v8, 0
	v_cmp_gt_u64_e64 s2, s[6:7], v[2:3]
	s_delay_alu instid0(VALU_DEP_2) | instskip(NEXT) | instid1(VALU_DEP_2)
	v_dual_mov_b32 v10, v8 :: v_dual_mov_b32 v9, v7
	s_and_saveexec_b32 s0, s2
	s_cbranch_execz .LBB214_27
; %bb.26:                               ;   in Loop: Header=BB214_25 Depth=1
	v_add_co_u32 v2, vcc_lo, v27, s12
	v_add_co_ci_u32_e32 v3, vcc_lo, s13, v28, vcc_lo
	global_load_b64 v[9:10], v[2:3], off
.LBB214_27:                             ;   in Loop: Header=BB214_25 Depth=1
	s_or_b32 exec_lo, exec_lo, s0
	v_add_co_u32 v2, vcc_lo, v39, s8
	v_add_co_ci_u32_e32 v3, vcc_lo, s9, v42, vcc_lo
	s_delay_alu instid0(VALU_DEP_1) | instskip(NEXT) | instid1(VALU_DEP_1)
	v_cmp_gt_u64_e64 s1, s[6:7], v[2:3]
	s_and_saveexec_b32 s0, s1
	s_cbranch_execz .LBB214_29
; %bb.28:                               ;   in Loop: Header=BB214_25 Depth=1
	v_add_co_u32 v2, vcc_lo, v45, s12
	v_add_co_ci_u32_e32 v3, vcc_lo, s13, v46, vcc_lo
	global_load_b64 v[7:8], v[2:3], off
.LBB214_29:                             ;   in Loop: Header=BB214_25 Depth=1
	s_or_b32 exec_lo, exec_lo, s0
	v_add_co_u32 v5, vcc_lo, v43, s8
	v_add_co_ci_u32_e32 v6, vcc_lo, s9, v44, vcc_lo
	v_mov_b32_e32 v3, 0
	v_mov_b32_e32 v4, 0
	s_delay_alu instid0(VALU_DEP_3) | instskip(NEXT) | instid1(VALU_DEP_2)
	v_cmp_gt_u64_e64 s0, s[6:7], v[5:6]
	v_dual_mov_b32 v6, v4 :: v_dual_mov_b32 v5, v3
	s_delay_alu instid0(VALU_DEP_2)
	s_and_saveexec_b32 s3, s0
	s_cbranch_execz .LBB214_31
; %bb.30:                               ;   in Loop: Header=BB214_25 Depth=1
	v_add_co_u32 v5, vcc_lo, v37, s12
	v_add_co_ci_u32_e32 v6, vcc_lo, s13, v38, vcc_lo
	global_load_b64 v[5:6], v[5:6], off
.LBB214_31:                             ;   in Loop: Header=BB214_25 Depth=1
	s_or_b32 exec_lo, exec_lo, s3
	v_add_co_u32 v11, vcc_lo, v35, s8
	v_add_co_ci_u32_e32 v12, vcc_lo, s9, v36, vcc_lo
	s_delay_alu instid0(VALU_DEP_1)
	v_cmp_gt_u64_e32 vcc_lo, s[6:7], v[11:12]
	s_and_saveexec_b32 s4, vcc_lo
	s_cbranch_execz .LBB214_33
; %bb.32:                               ;   in Loop: Header=BB214_25 Depth=1
	v_add_co_u32 v2, s3, v31, s12
	s_delay_alu instid0(VALU_DEP_1)
	v_add_co_ci_u32_e64 v3, s3, s13, v32, s3
	global_load_b64 v[3:4], v[2:3], off
.LBB214_33:                             ;   in Loop: Header=BB214_25 Depth=1
	s_or_b32 exec_lo, exec_lo, s4
                                        ; implicit-def: $vgpr49
                                        ; implicit-def: $vgpr11_vgpr12
                                        ; implicit-def: $vgpr13_vgpr14
	s_delay_alu instid0(SALU_CYCLE_1)
	s_mov_b32 s4, exec_lo
	s_waitcnt vmcnt(0)
	v_cmpx_ngt_f64_e64 0x41d00000, |v[9:10]|
	s_xor_b32 s46, exec_lo, s4
	s_cbranch_execz .LBB214_35
; %bb.34:                               ;   in Loop: Header=BB214_25 Depth=1
	v_ldexp_f64 v[11:12], |v[9:10]|, 0xffffff80
	v_cmp_le_f64_e64 s3, 0x7b000000, |v[9:10]|
	v_trig_preop_f64 v[13:14], |v[9:10]|, 0
	v_and_b32_e32 v2, 0x7fffffff, v10
	v_trig_preop_f64 v[15:16], |v[9:10]|, 1
	v_trig_preop_f64 v[25:26], |v[9:10]|, 2
	s_mov_b32 s49, s47
	s_delay_alu instid0(VALU_DEP_3) | instskip(SKIP_1) | instid1(VALU_DEP_1)
	v_cndmask_b32_e64 v12, v2, v12, s3
	v_cndmask_b32_e64 v11, v9, v11, s3
	v_mul_f64 v[17:18], v[13:14], v[11:12]
	v_mul_f64 v[19:20], v[15:16], v[11:12]
	;; [unrolled: 1-line block ×3, first 2 shown]
	s_delay_alu instid0(VALU_DEP_3) | instskip(NEXT) | instid1(VALU_DEP_3)
	v_fma_f64 v[13:14], v[13:14], v[11:12], -v[17:18]
	v_fma_f64 v[15:16], v[15:16], v[11:12], -v[19:20]
	s_delay_alu instid0(VALU_DEP_3) | instskip(NEXT) | instid1(VALU_DEP_3)
	v_fma_f64 v[11:12], v[25:26], v[11:12], -v[53:54]
	v_add_f64 v[21:22], v[19:20], v[13:14]
	s_delay_alu instid0(VALU_DEP_1) | instskip(SKIP_1) | instid1(VALU_DEP_2)
	v_add_f64 v[23:24], v[21:22], -v[19:20]
	v_add_f64 v[51:52], v[17:18], v[21:22]
	v_add_f64 v[49:50], v[21:22], -v[23:24]
	v_add_f64 v[13:14], v[13:14], -v[23:24]
	s_delay_alu instid0(VALU_DEP_3) | instskip(SKIP_1) | instid1(VALU_DEP_4)
	v_ldexp_f64 v[23:24], v[51:52], -2
	v_add_f64 v[17:18], v[51:52], -v[17:18]
	v_add_f64 v[19:20], v[19:20], -v[49:50]
	v_add_f64 v[49:50], v[53:54], v[15:16]
	s_delay_alu instid0(VALU_DEP_4) | instskip(NEXT) | instid1(VALU_DEP_4)
	v_cmp_neq_f64_e64 s3, 0x7ff00000, |v[23:24]|
	v_add_f64 v[17:18], v[21:22], -v[17:18]
	s_delay_alu instid0(VALU_DEP_4) | instskip(SKIP_1) | instid1(VALU_DEP_2)
	v_add_f64 v[13:14], v[13:14], v[19:20]
	v_fract_f64_e32 v[19:20], v[23:24]
	v_add_f64 v[21:22], v[49:50], v[13:14]
	s_delay_alu instid0(VALU_DEP_2) | instskip(NEXT) | instid1(VALU_DEP_3)
	v_cndmask_b32_e64 v20, 0, v20, s3
	v_cndmask_b32_e64 v19, 0, v19, s3
	s_delay_alu instid0(VALU_DEP_1) | instskip(NEXT) | instid1(VALU_DEP_4)
	v_ldexp_f64 v[19:20], v[19:20], 2
	v_add_f64 v[23:24], v[17:18], v[21:22]
	v_add_f64 v[55:56], v[21:22], -v[49:50]
	s_delay_alu instid0(VALU_DEP_2) | instskip(NEXT) | instid1(VALU_DEP_2)
	v_add_f64 v[51:52], v[23:24], v[19:20]
	v_add_f64 v[61:62], v[21:22], -v[55:56]
	v_add_f64 v[13:14], v[13:14], -v[55:56]
	;; [unrolled: 1-line block ×3, first 2 shown]
	s_delay_alu instid0(VALU_DEP_4) | instskip(SKIP_1) | instid1(VALU_DEP_3)
	v_cmp_gt_f64_e64 s3, 0, v[51:52]
	v_add_f64 v[51:52], v[49:50], -v[53:54]
	v_add_f64 v[17:18], v[21:22], -v[17:18]
	s_delay_alu instid0(VALU_DEP_3) | instskip(NEXT) | instid1(VALU_DEP_3)
	v_cndmask_b32_e64 v2, 0, 0x40100000, s3
	v_add_f64 v[59:60], v[49:50], -v[51:52]
	v_add_f64 v[15:16], v[15:16], -v[51:52]
	;; [unrolled: 1-line block ×3, first 2 shown]
	s_delay_alu instid0(VALU_DEP_4) | instskip(NEXT) | instid1(VALU_DEP_4)
	v_add_f64 v[19:20], v[19:20], v[1:2]
	v_add_f64 v[51:52], v[53:54], -v[59:60]
	s_delay_alu instid0(VALU_DEP_3) | instskip(NEXT) | instid1(VALU_DEP_3)
	v_add_f64 v[13:14], v[13:14], v[49:50]
	v_add_f64 v[57:58], v[23:24], v[19:20]
	s_delay_alu instid0(VALU_DEP_3) | instskip(NEXT) | instid1(VALU_DEP_2)
	v_add_f64 v[15:16], v[15:16], v[51:52]
	v_cvt_i32_f64_e32 v2, v[57:58]
	s_delay_alu instid0(VALU_DEP_2) | instskip(NEXT) | instid1(VALU_DEP_2)
	v_add_f64 v[13:14], v[15:16], v[13:14]
	v_cvt_f64_i32_e32 v[55:56], v2
	s_delay_alu instid0(VALU_DEP_2) | instskip(NEXT) | instid1(VALU_DEP_2)
	v_add_f64 v[11:12], v[11:12], v[13:14]
	v_add_f64 v[19:20], v[19:20], -v[55:56]
	s_delay_alu instid0(VALU_DEP_2) | instskip(NEXT) | instid1(VALU_DEP_2)
	v_add_f64 v[11:12], v[17:18], v[11:12]
	v_add_f64 v[15:16], v[23:24], v[19:20]
	s_delay_alu instid0(VALU_DEP_1) | instskip(SKIP_1) | instid1(VALU_DEP_2)
	v_add_f64 v[13:14], v[15:16], -v[19:20]
	v_cmp_le_f64_e64 s3, 0.5, v[15:16]
	v_add_f64 v[13:14], v[23:24], -v[13:14]
	s_delay_alu instid0(VALU_DEP_2) | instskip(SKIP_2) | instid1(VALU_DEP_3)
	v_add_co_ci_u32_e64 v49, s4, 0, v2, s3
	v_cndmask_b32_e64 v2, 0, 0x3ff00000, s3
	s_mov_b32 s4, s10
	v_add_f64 v[11:12], v[11:12], v[13:14]
	s_delay_alu instid0(VALU_DEP_2) | instskip(NEXT) | instid1(VALU_DEP_1)
	v_add_f64 v[13:14], v[15:16], -v[1:2]
	v_add_f64 v[15:16], v[13:14], v[11:12]
	s_delay_alu instid0(VALU_DEP_1) | instskip(SKIP_1) | instid1(VALU_DEP_2)
	v_mul_f64 v[17:18], v[15:16], s[4:5]
	v_add_f64 v[13:14], v[15:16], -v[13:14]
	v_fma_f64 v[19:20], v[15:16], s[4:5], -v[17:18]
	s_delay_alu instid0(VALU_DEP_2) | instskip(NEXT) | instid1(VALU_DEP_2)
	v_add_f64 v[11:12], v[11:12], -v[13:14]
	v_fma_f64 v[13:14], v[15:16], s[48:49], v[19:20]
	s_delay_alu instid0(VALU_DEP_1) | instskip(NEXT) | instid1(VALU_DEP_1)
	v_fma_f64 v[13:14], v[11:12], s[4:5], v[13:14]
	v_add_f64 v[11:12], v[17:18], v[13:14]
	s_delay_alu instid0(VALU_DEP_1) | instskip(NEXT) | instid1(VALU_DEP_1)
	v_add_f64 v[15:16], v[11:12], -v[17:18]
	v_add_f64 v[13:14], v[13:14], -v[15:16]
.LBB214_35:                             ;   in Loop: Header=BB214_25 Depth=1
	s_and_not1_saveexec_b32 s3, s46
	s_cbranch_execz .LBB214_37
; %bb.36:                               ;   in Loop: Header=BB214_25 Depth=1
	v_mul_f64 v[11:12], |v[9:10]|, s[16:17]
	s_mov_b32 s46, s18
	s_delay_alu instid0(VALU_DEP_1) | instskip(NEXT) | instid1(VALU_DEP_1)
	v_rndne_f64_e32 v[15:16], v[11:12]
	v_fma_f64 v[11:12], v[15:16], s[10:11], |v[9:10]|
	v_mul_f64 v[13:14], v[15:16], s[18:19]
	v_cvt_i32_f64_e32 v49, v[15:16]
	s_delay_alu instid0(VALU_DEP_3) | instskip(NEXT) | instid1(VALU_DEP_3)
	v_fma_f64 v[19:20], v[15:16], s[18:19], v[11:12]
	v_add_f64 v[17:18], v[11:12], v[13:14]
	s_delay_alu instid0(VALU_DEP_1) | instskip(NEXT) | instid1(VALU_DEP_3)
	v_add_f64 v[11:12], v[11:12], -v[17:18]
	v_add_f64 v[17:18], v[17:18], -v[19:20]
	s_delay_alu instid0(VALU_DEP_2) | instskip(SKIP_1) | instid1(VALU_DEP_2)
	v_add_f64 v[11:12], v[11:12], v[13:14]
	v_fma_f64 v[13:14], v[15:16], s[46:47], v[13:14]
	v_add_f64 v[11:12], v[17:18], v[11:12]
	s_delay_alu instid0(VALU_DEP_1) | instskip(NEXT) | instid1(VALU_DEP_1)
	v_add_f64 v[11:12], v[11:12], -v[13:14]
	v_fma_f64 v[13:14], v[15:16], s[20:21], v[11:12]
	s_delay_alu instid0(VALU_DEP_1) | instskip(NEXT) | instid1(VALU_DEP_1)
	v_add_f64 v[11:12], v[19:20], v[13:14]
	v_add_f64 v[17:18], v[11:12], -v[19:20]
	s_delay_alu instid0(VALU_DEP_1)
	v_add_f64 v[13:14], v[13:14], -v[17:18]
.LBB214_37:                             ;   in Loop: Header=BB214_25 Depth=1
	s_or_b32 exec_lo, exec_lo, s3
                                        ; implicit-def: $vgpr50
                                        ; implicit-def: $vgpr15_vgpr16
                                        ; implicit-def: $vgpr17_vgpr18
	s_delay_alu instid0(SALU_CYCLE_1)
	s_mov_b32 s4, exec_lo
	v_cmpx_ngt_f64_e64 0x41d00000, |v[7:8]|
	s_xor_b32 s46, exec_lo, s4
	s_cbranch_execz .LBB214_39
; %bb.38:                               ;   in Loop: Header=BB214_25 Depth=1
	v_ldexp_f64 v[15:16], |v[7:8]|, 0xffffff80
	v_cmp_le_f64_e64 s3, 0x7b000000, |v[7:8]|
	v_trig_preop_f64 v[17:18], |v[7:8]|, 0
	v_and_b32_e32 v2, 0x7fffffff, v8
	v_trig_preop_f64 v[19:20], |v[7:8]|, 1
	v_trig_preop_f64 v[52:53], |v[7:8]|, 2
	s_mov_b32 s49, s47
	s_delay_alu instid0(VALU_DEP_3) | instskip(SKIP_1) | instid1(VALU_DEP_1)
	v_cndmask_b32_e64 v16, v2, v16, s3
	v_cndmask_b32_e64 v15, v7, v15, s3
	v_mul_f64 v[21:22], v[17:18], v[15:16]
	v_mul_f64 v[23:24], v[19:20], v[15:16]
	;; [unrolled: 1-line block ×3, first 2 shown]
	s_delay_alu instid0(VALU_DEP_3) | instskip(NEXT) | instid1(VALU_DEP_3)
	v_fma_f64 v[17:18], v[17:18], v[15:16], -v[21:22]
	v_fma_f64 v[19:20], v[19:20], v[15:16], -v[23:24]
	s_delay_alu instid0(VALU_DEP_3) | instskip(NEXT) | instid1(VALU_DEP_3)
	v_fma_f64 v[15:16], v[52:53], v[15:16], -v[58:59]
	v_add_f64 v[25:26], v[23:24], v[17:18]
	s_delay_alu instid0(VALU_DEP_1) | instskip(SKIP_1) | instid1(VALU_DEP_2)
	v_add_f64 v[50:51], v[25:26], -v[23:24]
	v_add_f64 v[56:57], v[21:22], v[25:26]
	v_add_f64 v[54:55], v[25:26], -v[50:51]
	v_add_f64 v[17:18], v[17:18], -v[50:51]
	s_delay_alu instid0(VALU_DEP_3) | instskip(SKIP_1) | instid1(VALU_DEP_4)
	v_ldexp_f64 v[50:51], v[56:57], -2
	v_add_f64 v[21:22], v[56:57], -v[21:22]
	v_add_f64 v[23:24], v[23:24], -v[54:55]
	v_add_f64 v[54:55], v[58:59], v[19:20]
	s_delay_alu instid0(VALU_DEP_4) | instskip(NEXT) | instid1(VALU_DEP_4)
	v_cmp_neq_f64_e64 s3, 0x7ff00000, |v[50:51]|
	v_add_f64 v[21:22], v[25:26], -v[21:22]
	s_delay_alu instid0(VALU_DEP_4) | instskip(SKIP_1) | instid1(VALU_DEP_2)
	v_add_f64 v[17:18], v[17:18], v[23:24]
	v_fract_f64_e32 v[23:24], v[50:51]
	v_add_f64 v[25:26], v[54:55], v[17:18]
	s_delay_alu instid0(VALU_DEP_2) | instskip(NEXT) | instid1(VALU_DEP_3)
	v_cndmask_b32_e64 v24, 0, v24, s3
	v_cndmask_b32_e64 v23, 0, v23, s3
	s_delay_alu instid0(VALU_DEP_1) | instskip(NEXT) | instid1(VALU_DEP_4)
	v_ldexp_f64 v[23:24], v[23:24], 2
	v_add_f64 v[50:51], v[21:22], v[25:26]
	v_add_f64 v[60:61], v[25:26], -v[54:55]
	s_delay_alu instid0(VALU_DEP_2) | instskip(NEXT) | instid1(VALU_DEP_2)
	v_add_f64 v[56:57], v[50:51], v[23:24]
	v_add_f64 v[66:67], v[25:26], -v[60:61]
	v_add_f64 v[17:18], v[17:18], -v[60:61]
	;; [unrolled: 1-line block ×3, first 2 shown]
	s_delay_alu instid0(VALU_DEP_4) | instskip(SKIP_1) | instid1(VALU_DEP_3)
	v_cmp_gt_f64_e64 s3, 0, v[56:57]
	v_add_f64 v[56:57], v[54:55], -v[58:59]
	v_add_f64 v[21:22], v[25:26], -v[21:22]
	s_delay_alu instid0(VALU_DEP_3) | instskip(NEXT) | instid1(VALU_DEP_3)
	v_cndmask_b32_e64 v2, 0, 0x40100000, s3
	v_add_f64 v[64:65], v[54:55], -v[56:57]
	v_add_f64 v[19:20], v[19:20], -v[56:57]
	;; [unrolled: 1-line block ×3, first 2 shown]
	s_delay_alu instid0(VALU_DEP_4) | instskip(NEXT) | instid1(VALU_DEP_4)
	v_add_f64 v[23:24], v[23:24], v[1:2]
	v_add_f64 v[56:57], v[58:59], -v[64:65]
	s_delay_alu instid0(VALU_DEP_3) | instskip(NEXT) | instid1(VALU_DEP_3)
	v_add_f64 v[17:18], v[17:18], v[54:55]
	v_add_f64 v[62:63], v[50:51], v[23:24]
	s_delay_alu instid0(VALU_DEP_3) | instskip(NEXT) | instid1(VALU_DEP_2)
	v_add_f64 v[19:20], v[19:20], v[56:57]
	v_cvt_i32_f64_e32 v2, v[62:63]
	s_delay_alu instid0(VALU_DEP_2) | instskip(NEXT) | instid1(VALU_DEP_2)
	v_add_f64 v[17:18], v[19:20], v[17:18]
	v_cvt_f64_i32_e32 v[60:61], v2
	s_delay_alu instid0(VALU_DEP_2) | instskip(NEXT) | instid1(VALU_DEP_2)
	v_add_f64 v[15:16], v[15:16], v[17:18]
	v_add_f64 v[23:24], v[23:24], -v[60:61]
	s_delay_alu instid0(VALU_DEP_2) | instskip(NEXT) | instid1(VALU_DEP_2)
	v_add_f64 v[15:16], v[21:22], v[15:16]
	v_add_f64 v[19:20], v[50:51], v[23:24]
	s_delay_alu instid0(VALU_DEP_1) | instskip(SKIP_1) | instid1(VALU_DEP_2)
	v_add_f64 v[17:18], v[19:20], -v[23:24]
	v_cmp_le_f64_e64 s3, 0.5, v[19:20]
	v_add_f64 v[17:18], v[50:51], -v[17:18]
	s_delay_alu instid0(VALU_DEP_2) | instskip(SKIP_2) | instid1(VALU_DEP_3)
	v_add_co_ci_u32_e64 v50, s4, 0, v2, s3
	v_cndmask_b32_e64 v2, 0, 0x3ff00000, s3
	s_mov_b32 s4, s10
	v_add_f64 v[15:16], v[15:16], v[17:18]
	s_delay_alu instid0(VALU_DEP_2) | instskip(NEXT) | instid1(VALU_DEP_1)
	v_add_f64 v[17:18], v[19:20], -v[1:2]
	v_add_f64 v[19:20], v[17:18], v[15:16]
	s_delay_alu instid0(VALU_DEP_1) | instskip(SKIP_1) | instid1(VALU_DEP_2)
	v_mul_f64 v[21:22], v[19:20], s[4:5]
	v_add_f64 v[17:18], v[19:20], -v[17:18]
	v_fma_f64 v[23:24], v[19:20], s[4:5], -v[21:22]
	s_delay_alu instid0(VALU_DEP_2) | instskip(NEXT) | instid1(VALU_DEP_2)
	v_add_f64 v[15:16], v[15:16], -v[17:18]
	v_fma_f64 v[17:18], v[19:20], s[48:49], v[23:24]
	s_delay_alu instid0(VALU_DEP_1) | instskip(NEXT) | instid1(VALU_DEP_1)
	v_fma_f64 v[17:18], v[15:16], s[4:5], v[17:18]
	v_add_f64 v[15:16], v[21:22], v[17:18]
	s_delay_alu instid0(VALU_DEP_1) | instskip(NEXT) | instid1(VALU_DEP_1)
	v_add_f64 v[19:20], v[15:16], -v[21:22]
	v_add_f64 v[17:18], v[17:18], -v[19:20]
.LBB214_39:                             ;   in Loop: Header=BB214_25 Depth=1
	s_and_not1_saveexec_b32 s3, s46
	s_cbranch_execz .LBB214_41
; %bb.40:                               ;   in Loop: Header=BB214_25 Depth=1
	v_mul_f64 v[15:16], |v[7:8]|, s[16:17]
	s_mov_b32 s46, s18
	s_delay_alu instid0(VALU_DEP_1) | instskip(NEXT) | instid1(VALU_DEP_1)
	v_rndne_f64_e32 v[19:20], v[15:16]
	v_fma_f64 v[15:16], v[19:20], s[10:11], |v[7:8]|
	v_mul_f64 v[17:18], v[19:20], s[18:19]
	v_cvt_i32_f64_e32 v50, v[19:20]
	s_delay_alu instid0(VALU_DEP_3) | instskip(NEXT) | instid1(VALU_DEP_3)
	v_fma_f64 v[23:24], v[19:20], s[18:19], v[15:16]
	v_add_f64 v[21:22], v[15:16], v[17:18]
	s_delay_alu instid0(VALU_DEP_1) | instskip(NEXT) | instid1(VALU_DEP_3)
	v_add_f64 v[15:16], v[15:16], -v[21:22]
	v_add_f64 v[21:22], v[21:22], -v[23:24]
	s_delay_alu instid0(VALU_DEP_2) | instskip(SKIP_1) | instid1(VALU_DEP_2)
	v_add_f64 v[15:16], v[15:16], v[17:18]
	v_fma_f64 v[17:18], v[19:20], s[46:47], v[17:18]
	v_add_f64 v[15:16], v[21:22], v[15:16]
	s_delay_alu instid0(VALU_DEP_1) | instskip(NEXT) | instid1(VALU_DEP_1)
	v_add_f64 v[15:16], v[15:16], -v[17:18]
	v_fma_f64 v[17:18], v[19:20], s[20:21], v[15:16]
	s_delay_alu instid0(VALU_DEP_1) | instskip(NEXT) | instid1(VALU_DEP_1)
	v_add_f64 v[15:16], v[23:24], v[17:18]
	v_add_f64 v[21:22], v[15:16], -v[23:24]
	s_delay_alu instid0(VALU_DEP_1)
	v_add_f64 v[17:18], v[17:18], -v[21:22]
.LBB214_41:                             ;   in Loop: Header=BB214_25 Depth=1
	s_or_b32 exec_lo, exec_lo, s3
                                        ; implicit-def: $vgpr51
                                        ; implicit-def: $vgpr19_vgpr20
                                        ; implicit-def: $vgpr21_vgpr22
	s_delay_alu instid0(SALU_CYCLE_1)
	s_mov_b32 s4, exec_lo
	v_cmpx_ngt_f64_e64 0x41d00000, |v[5:6]|
	s_xor_b32 s46, exec_lo, s4
	s_cbranch_execz .LBB214_43
; %bb.42:                               ;   in Loop: Header=BB214_25 Depth=1
	v_ldexp_f64 v[19:20], |v[5:6]|, 0xffffff80
	v_cmp_le_f64_e64 s3, 0x7b000000, |v[5:6]|
	v_trig_preop_f64 v[21:22], |v[5:6]|, 0
	v_and_b32_e32 v2, 0x7fffffff, v6
	v_trig_preop_f64 v[23:24], |v[5:6]|, 1
	v_trig_preop_f64 v[57:58], |v[5:6]|, 2
	s_mov_b32 s49, s47
	s_delay_alu instid0(VALU_DEP_3) | instskip(SKIP_1) | instid1(VALU_DEP_1)
	v_cndmask_b32_e64 v20, v2, v20, s3
	v_cndmask_b32_e64 v19, v5, v19, s3
	v_mul_f64 v[25:26], v[21:22], v[19:20]
	v_mul_f64 v[51:52], v[23:24], v[19:20]
	;; [unrolled: 1-line block ×3, first 2 shown]
	s_delay_alu instid0(VALU_DEP_3) | instskip(NEXT) | instid1(VALU_DEP_3)
	v_fma_f64 v[21:22], v[21:22], v[19:20], -v[25:26]
	v_fma_f64 v[23:24], v[23:24], v[19:20], -v[51:52]
	s_delay_alu instid0(VALU_DEP_3) | instskip(NEXT) | instid1(VALU_DEP_3)
	v_fma_f64 v[19:20], v[57:58], v[19:20], -v[63:64]
	v_add_f64 v[53:54], v[51:52], v[21:22]
	s_delay_alu instid0(VALU_DEP_1) | instskip(SKIP_1) | instid1(VALU_DEP_2)
	v_add_f64 v[55:56], v[53:54], -v[51:52]
	v_add_f64 v[61:62], v[25:26], v[53:54]
	v_add_f64 v[59:60], v[53:54], -v[55:56]
	v_add_f64 v[21:22], v[21:22], -v[55:56]
	s_delay_alu instid0(VALU_DEP_3) | instskip(SKIP_1) | instid1(VALU_DEP_4)
	v_ldexp_f64 v[55:56], v[61:62], -2
	v_add_f64 v[25:26], v[61:62], -v[25:26]
	v_add_f64 v[51:52], v[51:52], -v[59:60]
	v_add_f64 v[59:60], v[63:64], v[23:24]
	s_delay_alu instid0(VALU_DEP_4) | instskip(NEXT) | instid1(VALU_DEP_4)
	v_cmp_neq_f64_e64 s3, 0x7ff00000, |v[55:56]|
	v_add_f64 v[25:26], v[53:54], -v[25:26]
	s_delay_alu instid0(VALU_DEP_4) | instskip(SKIP_1) | instid1(VALU_DEP_2)
	v_add_f64 v[21:22], v[21:22], v[51:52]
	v_fract_f64_e32 v[51:52], v[55:56]
	v_add_f64 v[53:54], v[59:60], v[21:22]
	s_delay_alu instid0(VALU_DEP_2) | instskip(NEXT) | instid1(VALU_DEP_3)
	v_cndmask_b32_e64 v52, 0, v52, s3
	v_cndmask_b32_e64 v51, 0, v51, s3
	s_delay_alu instid0(VALU_DEP_1) | instskip(NEXT) | instid1(VALU_DEP_4)
	v_ldexp_f64 v[51:52], v[51:52], 2
	v_add_f64 v[55:56], v[25:26], v[53:54]
	v_add_f64 v[65:66], v[53:54], -v[59:60]
	s_delay_alu instid0(VALU_DEP_2) | instskip(NEXT) | instid1(VALU_DEP_2)
	v_add_f64 v[61:62], v[55:56], v[51:52]
	v_add_f64 v[71:72], v[53:54], -v[65:66]
	v_add_f64 v[21:22], v[21:22], -v[65:66]
	;; [unrolled: 1-line block ×3, first 2 shown]
	s_delay_alu instid0(VALU_DEP_4) | instskip(SKIP_1) | instid1(VALU_DEP_3)
	v_cmp_gt_f64_e64 s3, 0, v[61:62]
	v_add_f64 v[61:62], v[59:60], -v[63:64]
	v_add_f64 v[25:26], v[53:54], -v[25:26]
	s_delay_alu instid0(VALU_DEP_3) | instskip(NEXT) | instid1(VALU_DEP_3)
	v_cndmask_b32_e64 v2, 0, 0x40100000, s3
	v_add_f64 v[69:70], v[59:60], -v[61:62]
	v_add_f64 v[23:24], v[23:24], -v[61:62]
	;; [unrolled: 1-line block ×3, first 2 shown]
	s_delay_alu instid0(VALU_DEP_4) | instskip(NEXT) | instid1(VALU_DEP_4)
	v_add_f64 v[51:52], v[51:52], v[1:2]
	v_add_f64 v[61:62], v[63:64], -v[69:70]
	s_delay_alu instid0(VALU_DEP_3) | instskip(NEXT) | instid1(VALU_DEP_3)
	v_add_f64 v[21:22], v[21:22], v[59:60]
	v_add_f64 v[67:68], v[55:56], v[51:52]
	s_delay_alu instid0(VALU_DEP_3) | instskip(NEXT) | instid1(VALU_DEP_2)
	v_add_f64 v[23:24], v[23:24], v[61:62]
	v_cvt_i32_f64_e32 v2, v[67:68]
	s_delay_alu instid0(VALU_DEP_2) | instskip(NEXT) | instid1(VALU_DEP_2)
	v_add_f64 v[21:22], v[23:24], v[21:22]
	v_cvt_f64_i32_e32 v[65:66], v2
	s_delay_alu instid0(VALU_DEP_2) | instskip(NEXT) | instid1(VALU_DEP_2)
	v_add_f64 v[19:20], v[19:20], v[21:22]
	v_add_f64 v[51:52], v[51:52], -v[65:66]
	s_delay_alu instid0(VALU_DEP_2) | instskip(NEXT) | instid1(VALU_DEP_2)
	v_add_f64 v[19:20], v[25:26], v[19:20]
	v_add_f64 v[23:24], v[55:56], v[51:52]
	s_delay_alu instid0(VALU_DEP_1) | instskip(SKIP_1) | instid1(VALU_DEP_2)
	v_add_f64 v[21:22], v[23:24], -v[51:52]
	v_cmp_le_f64_e64 s3, 0.5, v[23:24]
	v_add_f64 v[21:22], v[55:56], -v[21:22]
	s_delay_alu instid0(VALU_DEP_2) | instskip(SKIP_2) | instid1(VALU_DEP_3)
	v_add_co_ci_u32_e64 v51, s4, 0, v2, s3
	v_cndmask_b32_e64 v2, 0, 0x3ff00000, s3
	s_mov_b32 s4, s10
	v_add_f64 v[19:20], v[19:20], v[21:22]
	s_delay_alu instid0(VALU_DEP_2) | instskip(NEXT) | instid1(VALU_DEP_1)
	v_add_f64 v[21:22], v[23:24], -v[1:2]
	v_add_f64 v[23:24], v[21:22], v[19:20]
	s_delay_alu instid0(VALU_DEP_1) | instskip(SKIP_1) | instid1(VALU_DEP_2)
	v_mul_f64 v[25:26], v[23:24], s[4:5]
	v_add_f64 v[21:22], v[23:24], -v[21:22]
	v_fma_f64 v[52:53], v[23:24], s[4:5], -v[25:26]
	s_delay_alu instid0(VALU_DEP_2) | instskip(NEXT) | instid1(VALU_DEP_2)
	v_add_f64 v[19:20], v[19:20], -v[21:22]
	v_fma_f64 v[21:22], v[23:24], s[48:49], v[52:53]
	s_delay_alu instid0(VALU_DEP_1) | instskip(NEXT) | instid1(VALU_DEP_1)
	v_fma_f64 v[21:22], v[19:20], s[4:5], v[21:22]
	v_add_f64 v[19:20], v[25:26], v[21:22]
	s_delay_alu instid0(VALU_DEP_1) | instskip(NEXT) | instid1(VALU_DEP_1)
	v_add_f64 v[23:24], v[19:20], -v[25:26]
	v_add_f64 v[21:22], v[21:22], -v[23:24]
.LBB214_43:                             ;   in Loop: Header=BB214_25 Depth=1
	s_and_not1_saveexec_b32 s3, s46
	s_cbranch_execz .LBB214_45
; %bb.44:                               ;   in Loop: Header=BB214_25 Depth=1
	v_mul_f64 v[19:20], |v[5:6]|, s[16:17]
	s_mov_b32 s46, s18
	s_delay_alu instid0(VALU_DEP_1) | instskip(NEXT) | instid1(VALU_DEP_1)
	v_rndne_f64_e32 v[23:24], v[19:20]
	v_fma_f64 v[19:20], v[23:24], s[10:11], |v[5:6]|
	v_mul_f64 v[21:22], v[23:24], s[18:19]
	s_delay_alu instid0(VALU_DEP_2) | instskip(NEXT) | instid1(VALU_DEP_2)
	v_fma_f64 v[51:52], v[23:24], s[18:19], v[19:20]
	v_add_f64 v[25:26], v[19:20], v[21:22]
	s_delay_alu instid0(VALU_DEP_1) | instskip(NEXT) | instid1(VALU_DEP_3)
	v_add_f64 v[19:20], v[19:20], -v[25:26]
	v_add_f64 v[25:26], v[25:26], -v[51:52]
	s_delay_alu instid0(VALU_DEP_2) | instskip(SKIP_1) | instid1(VALU_DEP_2)
	v_add_f64 v[19:20], v[19:20], v[21:22]
	v_fma_f64 v[21:22], v[23:24], s[46:47], v[21:22]
	v_add_f64 v[19:20], v[25:26], v[19:20]
	s_delay_alu instid0(VALU_DEP_1) | instskip(NEXT) | instid1(VALU_DEP_1)
	v_add_f64 v[19:20], v[19:20], -v[21:22]
	v_fma_f64 v[21:22], v[23:24], s[20:21], v[19:20]
	s_delay_alu instid0(VALU_DEP_1) | instskip(NEXT) | instid1(VALU_DEP_1)
	v_add_f64 v[19:20], v[51:52], v[21:22]
	v_add_f64 v[25:26], v[19:20], -v[51:52]
	v_cvt_i32_f64_e32 v51, v[23:24]
	s_delay_alu instid0(VALU_DEP_2)
	v_add_f64 v[21:22], v[21:22], -v[25:26]
.LBB214_45:                             ;   in Loop: Header=BB214_25 Depth=1
	s_or_b32 exec_lo, exec_lo, s3
                                        ; implicit-def: $vgpr52
                                        ; implicit-def: $vgpr23_vgpr24
                                        ; implicit-def: $vgpr25_vgpr26
	s_delay_alu instid0(SALU_CYCLE_1)
	s_mov_b32 s4, exec_lo
	v_cmpx_ngt_f64_e64 0x41d00000, |v[3:4]|
	s_xor_b32 s46, exec_lo, s4
	s_cbranch_execnz .LBB214_51
; %bb.46:                               ;   in Loop: Header=BB214_25 Depth=1
	s_and_not1_saveexec_b32 s3, s46
	s_cbranch_execnz .LBB214_52
.LBB214_47:                             ;   in Loop: Header=BB214_25 Depth=1
	s_or_b32 exec_lo, exec_lo, s3
	s_and_saveexec_b32 s3, s2
	s_delay_alu instid0(SALU_CYCLE_1)
	s_xor_b32 s4, exec_lo, s3
	s_cbranch_execnz .LBB214_53
.LBB214_48:                             ;   in Loop: Header=BB214_25 Depth=1
	s_or_b32 exec_lo, exec_lo, s4
	s_and_saveexec_b32 s3, s1
	s_cbranch_execnz .LBB214_54
.LBB214_49:                             ;   in Loop: Header=BB214_25 Depth=1
	s_or_b32 exec_lo, exec_lo, s3
	s_and_saveexec_b32 s2, s0
	s_cbranch_execnz .LBB214_55
.LBB214_50:                             ;   in Loop: Header=BB214_25 Depth=1
	s_or_b32 exec_lo, exec_lo, s2
	s_and_saveexec_b32 s1, vcc_lo
	s_cbranch_execz .LBB214_24
	s_branch .LBB214_56
.LBB214_51:                             ;   in Loop: Header=BB214_25 Depth=1
	v_ldexp_f64 v[23:24], |v[3:4]|, 0xffffff80
	v_cmp_le_f64_e64 s3, 0x7b000000, |v[3:4]|
	v_trig_preop_f64 v[25:26], |v[3:4]|, 0
	v_and_b32_e32 v2, 0x7fffffff, v4
	v_trig_preop_f64 v[52:53], |v[3:4]|, 1
	v_trig_preop_f64 v[62:63], |v[3:4]|, 2
	s_mov_b32 s49, s47
	s_delay_alu instid0(VALU_DEP_3) | instskip(SKIP_1) | instid1(VALU_DEP_1)
	v_cndmask_b32_e64 v24, v2, v24, s3
	v_cndmask_b32_e64 v23, v3, v23, s3
	v_mul_f64 v[54:55], v[25:26], v[23:24]
	v_mul_f64 v[56:57], v[52:53], v[23:24]
	;; [unrolled: 1-line block ×3, first 2 shown]
	s_delay_alu instid0(VALU_DEP_3) | instskip(NEXT) | instid1(VALU_DEP_3)
	v_fma_f64 v[25:26], v[25:26], v[23:24], -v[54:55]
	v_fma_f64 v[52:53], v[52:53], v[23:24], -v[56:57]
	s_delay_alu instid0(VALU_DEP_3) | instskip(NEXT) | instid1(VALU_DEP_3)
	v_fma_f64 v[23:24], v[62:63], v[23:24], -v[68:69]
	v_add_f64 v[58:59], v[56:57], v[25:26]
	s_delay_alu instid0(VALU_DEP_1) | instskip(SKIP_1) | instid1(VALU_DEP_2)
	v_add_f64 v[60:61], v[58:59], -v[56:57]
	v_add_f64 v[66:67], v[54:55], v[58:59]
	v_add_f64 v[64:65], v[58:59], -v[60:61]
	v_add_f64 v[25:26], v[25:26], -v[60:61]
	s_delay_alu instid0(VALU_DEP_3) | instskip(SKIP_1) | instid1(VALU_DEP_4)
	v_ldexp_f64 v[60:61], v[66:67], -2
	v_add_f64 v[54:55], v[66:67], -v[54:55]
	v_add_f64 v[56:57], v[56:57], -v[64:65]
	v_add_f64 v[64:65], v[68:69], v[52:53]
	s_delay_alu instid0(VALU_DEP_4) | instskip(NEXT) | instid1(VALU_DEP_4)
	v_cmp_neq_f64_e64 s3, 0x7ff00000, |v[60:61]|
	v_add_f64 v[54:55], v[58:59], -v[54:55]
	s_delay_alu instid0(VALU_DEP_4) | instskip(SKIP_1) | instid1(VALU_DEP_2)
	v_add_f64 v[25:26], v[25:26], v[56:57]
	v_fract_f64_e32 v[56:57], v[60:61]
	v_add_f64 v[58:59], v[64:65], v[25:26]
	s_delay_alu instid0(VALU_DEP_2) | instskip(NEXT) | instid1(VALU_DEP_3)
	v_cndmask_b32_e64 v57, 0, v57, s3
	v_cndmask_b32_e64 v56, 0, v56, s3
	s_delay_alu instid0(VALU_DEP_1) | instskip(NEXT) | instid1(VALU_DEP_4)
	v_ldexp_f64 v[56:57], v[56:57], 2
	v_add_f64 v[60:61], v[54:55], v[58:59]
	v_add_f64 v[70:71], v[58:59], -v[64:65]
	s_delay_alu instid0(VALU_DEP_2) | instskip(NEXT) | instid1(VALU_DEP_2)
	v_add_f64 v[66:67], v[60:61], v[56:57]
	v_add_f64 v[76:77], v[58:59], -v[70:71]
	v_add_f64 v[25:26], v[25:26], -v[70:71]
	;; [unrolled: 1-line block ×3, first 2 shown]
	s_delay_alu instid0(VALU_DEP_4) | instskip(SKIP_1) | instid1(VALU_DEP_2)
	v_cmp_gt_f64_e64 s3, 0, v[66:67]
	v_add_f64 v[66:67], v[64:65], -v[68:69]
	v_cndmask_b32_e64 v2, 0, 0x40100000, s3
	s_delay_alu instid0(VALU_DEP_2) | instskip(SKIP_2) | instid1(VALU_DEP_4)
	v_add_f64 v[74:75], v[64:65], -v[66:67]
	v_add_f64 v[52:53], v[52:53], -v[66:67]
	;; [unrolled: 1-line block ×3, first 2 shown]
	v_add_f64 v[56:57], v[56:57], v[1:2]
	s_delay_alu instid0(VALU_DEP_4) | instskip(NEXT) | instid1(VALU_DEP_3)
	v_add_f64 v[66:67], v[68:69], -v[74:75]
	v_add_f64 v[25:26], v[25:26], v[64:65]
	s_delay_alu instid0(VALU_DEP_3) | instskip(NEXT) | instid1(VALU_DEP_3)
	v_add_f64 v[72:73], v[60:61], v[56:57]
	v_add_f64 v[52:53], v[52:53], v[66:67]
	s_delay_alu instid0(VALU_DEP_2) | instskip(NEXT) | instid1(VALU_DEP_2)
	v_cvt_i32_f64_e32 v2, v[72:73]
	v_add_f64 v[25:26], v[52:53], v[25:26]
	v_add_f64 v[52:53], v[58:59], -v[54:55]
	s_delay_alu instid0(VALU_DEP_3) | instskip(NEXT) | instid1(VALU_DEP_3)
	v_cvt_f64_i32_e32 v[70:71], v2
	v_add_f64 v[23:24], v[23:24], v[25:26]
	s_delay_alu instid0(VALU_DEP_2) | instskip(NEXT) | instid1(VALU_DEP_2)
	v_add_f64 v[56:57], v[56:57], -v[70:71]
	v_add_f64 v[23:24], v[52:53], v[23:24]
	s_delay_alu instid0(VALU_DEP_2) | instskip(NEXT) | instid1(VALU_DEP_1)
	v_add_f64 v[62:63], v[60:61], v[56:57]
	v_add_f64 v[25:26], v[62:63], -v[56:57]
	v_cmp_le_f64_e64 s3, 0.5, v[62:63]
	s_delay_alu instid0(VALU_DEP_2) | instskip(NEXT) | instid1(VALU_DEP_2)
	v_add_f64 v[25:26], v[60:61], -v[25:26]
	v_add_co_ci_u32_e64 v52, s4, 0, v2, s3
	v_cndmask_b32_e64 v2, 0, 0x3ff00000, s3
	s_mov_b32 s4, s10
	s_delay_alu instid0(VALU_DEP_3) | instskip(NEXT) | instid1(VALU_DEP_2)
	v_add_f64 v[23:24], v[23:24], v[25:26]
	v_add_f64 v[25:26], v[62:63], -v[1:2]
	s_delay_alu instid0(VALU_DEP_1) | instskip(NEXT) | instid1(VALU_DEP_1)
	v_add_f64 v[53:54], v[25:26], v[23:24]
	v_mul_f64 v[55:56], v[53:54], s[4:5]
	v_add_f64 v[25:26], v[53:54], -v[25:26]
	s_delay_alu instid0(VALU_DEP_2) | instskip(NEXT) | instid1(VALU_DEP_2)
	v_fma_f64 v[57:58], v[53:54], s[4:5], -v[55:56]
	v_add_f64 v[23:24], v[23:24], -v[25:26]
	s_delay_alu instid0(VALU_DEP_2) | instskip(NEXT) | instid1(VALU_DEP_1)
	v_fma_f64 v[25:26], v[53:54], s[48:49], v[57:58]
	v_fma_f64 v[25:26], v[23:24], s[4:5], v[25:26]
	s_delay_alu instid0(VALU_DEP_1) | instskip(NEXT) | instid1(VALU_DEP_1)
	v_add_f64 v[23:24], v[55:56], v[25:26]
	v_add_f64 v[53:54], v[23:24], -v[55:56]
	s_delay_alu instid0(VALU_DEP_1)
	v_add_f64 v[25:26], v[25:26], -v[53:54]
	s_and_not1_saveexec_b32 s3, s46
	s_cbranch_execz .LBB214_47
.LBB214_52:                             ;   in Loop: Header=BB214_25 Depth=1
	v_mul_f64 v[23:24], |v[3:4]|, s[16:17]
	s_mov_b32 s46, s18
	s_delay_alu instid0(VALU_DEP_1) | instskip(NEXT) | instid1(VALU_DEP_1)
	v_rndne_f64_e32 v[52:53], v[23:24]
	v_fma_f64 v[23:24], v[52:53], s[10:11], |v[3:4]|
	v_mul_f64 v[25:26], v[52:53], s[18:19]
	s_delay_alu instid0(VALU_DEP_2) | instskip(NEXT) | instid1(VALU_DEP_2)
	v_fma_f64 v[56:57], v[52:53], s[18:19], v[23:24]
	v_add_f64 v[54:55], v[23:24], v[25:26]
	s_delay_alu instid0(VALU_DEP_1) | instskip(NEXT) | instid1(VALU_DEP_3)
	v_add_f64 v[23:24], v[23:24], -v[54:55]
	v_add_f64 v[54:55], v[54:55], -v[56:57]
	s_delay_alu instid0(VALU_DEP_2) | instskip(SKIP_1) | instid1(VALU_DEP_2)
	v_add_f64 v[23:24], v[23:24], v[25:26]
	v_fma_f64 v[25:26], v[52:53], s[46:47], v[25:26]
	v_add_f64 v[23:24], v[54:55], v[23:24]
	s_delay_alu instid0(VALU_DEP_1) | instskip(NEXT) | instid1(VALU_DEP_1)
	v_add_f64 v[23:24], v[23:24], -v[25:26]
	v_fma_f64 v[25:26], v[52:53], s[20:21], v[23:24]
	v_cvt_i32_f64_e32 v52, v[52:53]
	s_delay_alu instid0(VALU_DEP_2) | instskip(NEXT) | instid1(VALU_DEP_1)
	v_add_f64 v[23:24], v[56:57], v[25:26]
	v_add_f64 v[54:55], v[23:24], -v[56:57]
	s_delay_alu instid0(VALU_DEP_1) | instskip(SKIP_2) | instid1(SALU_CYCLE_1)
	v_add_f64 v[25:26], v[25:26], -v[54:55]
	s_or_b32 exec_lo, exec_lo, s3
	s_and_saveexec_b32 s3, s2
	s_xor_b32 s4, exec_lo, s3
	s_cbranch_execz .LBB214_48
.LBB214_53:                             ;   in Loop: Header=BB214_25 Depth=1
	v_mul_f64 v[53:54], v[11:12], v[11:12]
	v_mul_f64 v[63:64], v[13:14], 0.5
	s_mov_b32 s50, s34
	v_cmp_class_f64_e64 s3, v[9:10], 0x1f8
	v_and_b32_e32 v2, 1, v49
	v_lshlrev_b32_e32 v9, 30, v49
	s_delay_alu instid0(VALU_DEP_2) | instskip(NEXT) | instid1(VALU_DEP_2)
	v_cmp_eq_u32_e64 s2, 0, v2
	v_and_b32_e32 v9, 0x80000000, v9
	v_fma_f64 v[55:56], v[53:54], s[38:39], s[36:37]
	v_mul_f64 v[59:60], v[53:54], 0.5
	v_fma_f64 v[57:58], v[53:54], s[24:25], s[22:23]
	v_mul_f64 v[65:66], v[11:12], -v[53:54]
	s_delay_alu instid0(VALU_DEP_4) | instskip(NEXT) | instid1(VALU_DEP_4)
	v_fma_f64 v[55:56], v[53:54], v[55:56], s[40:41]
	v_add_f64 v[61:62], -v[59:60], 1.0
	s_delay_alu instid0(VALU_DEP_4) | instskip(NEXT) | instid1(VALU_DEP_3)
	v_fma_f64 v[57:58], v[53:54], v[57:58], s[26:27]
	v_fma_f64 v[55:56], v[53:54], v[55:56], s[42:43]
	s_delay_alu instid0(VALU_DEP_3) | instskip(NEXT) | instid1(VALU_DEP_3)
	v_add_f64 v[67:68], -v[61:62], 1.0
	v_fma_f64 v[57:58], v[53:54], v[57:58], s[28:29]
	s_delay_alu instid0(VALU_DEP_3) | instskip(NEXT) | instid1(VALU_DEP_3)
	v_fma_f64 v[55:56], v[53:54], v[55:56], s[44:45]
	v_add_f64 v[59:60], v[67:68], -v[59:60]
	s_delay_alu instid0(VALU_DEP_3) | instskip(NEXT) | instid1(VALU_DEP_3)
	v_fma_f64 v[57:58], v[53:54], v[57:58], s[30:31]
	v_fma_f64 v[55:56], v[65:66], v[55:56], v[63:64]
	s_delay_alu instid0(VALU_DEP_3) | instskip(SKIP_1) | instid1(VALU_DEP_4)
	v_fma_f64 v[59:60], v[11:12], -v[13:14], v[59:60]
	v_mul_f64 v[63:64], v[53:54], v[53:54]
	v_fma_f64 v[57:58], v[53:54], v[57:58], s[34:35]
	s_delay_alu instid0(VALU_DEP_4) | instskip(NEXT) | instid1(VALU_DEP_2)
	v_fma_f64 v[13:14], v[53:54], v[55:56], -v[13:14]
	v_fma_f64 v[53:54], v[63:64], v[57:58], v[59:60]
	s_delay_alu instid0(VALU_DEP_2) | instskip(NEXT) | instid1(VALU_DEP_2)
	v_fma_f64 v[13:14], v[65:66], s[50:51], v[13:14]
	v_add_f64 v[53:54], v[61:62], v[53:54]
	s_delay_alu instid0(VALU_DEP_2) | instskip(NEXT) | instid1(VALU_DEP_1)
	v_add_f64 v[11:12], v[11:12], -v[13:14]
	v_xor_b32_e32 v10, 0x80000000, v12
	s_delay_alu instid0(VALU_DEP_2) | instskip(NEXT) | instid1(VALU_DEP_2)
	v_cndmask_b32_e64 v2, v11, v53, s2
	v_cndmask_b32_e64 v10, v10, v54, s2
	v_add_co_u32 v11, s2, v29, s12
	s_delay_alu instid0(VALU_DEP_1) | instskip(NEXT) | instid1(VALU_DEP_3)
	v_add_co_ci_u32_e64 v12, s2, s13, v30, s2
	v_xor_b32_e32 v10, v10, v9
	v_cndmask_b32_e64 v9, 0, v2, s3
	s_delay_alu instid0(VALU_DEP_2)
	v_cndmask_b32_e64 v10, 0x7ff80000, v10, s3
	global_store_b64 v[11:12], v[9:10], off
	s_or_b32 exec_lo, exec_lo, s4
	s_and_saveexec_b32 s3, s1
	s_cbranch_execz .LBB214_49
.LBB214_54:                             ;   in Loop: Header=BB214_25 Depth=1
	v_mul_f64 v[9:10], v[15:16], v[15:16]
	s_delay_alu instid0(VALU_DEP_4) | instskip(SKIP_4) | instid1(VALU_DEP_2)
	v_mul_f64 v[57:58], v[17:18], 0.5
	s_mov_b32 s50, s34
	v_cmp_class_f64_e64 s2, v[7:8], 0x1f8
	v_and_b32_e32 v2, 1, v50
	v_lshlrev_b32_e32 v7, 30, v50
	v_cmp_eq_u32_e64 s1, 0, v2
	s_delay_alu instid0(VALU_DEP_2) | instskip(SKIP_4) | instid1(VALU_DEP_4)
	v_and_b32_e32 v7, 0x80000000, v7
	v_fma_f64 v[11:12], v[9:10], s[38:39], s[36:37]
	v_fma_f64 v[13:14], v[9:10], s[24:25], s[22:23]
	v_mul_f64 v[53:54], v[9:10], 0.5
	v_mul_f64 v[59:60], v[15:16], -v[9:10]
	v_fma_f64 v[11:12], v[9:10], v[11:12], s[40:41]
	s_delay_alu instid0(VALU_DEP_4) | instskip(NEXT) | instid1(VALU_DEP_4)
	v_fma_f64 v[13:14], v[9:10], v[13:14], s[26:27]
	v_add_f64 v[55:56], -v[53:54], 1.0
	s_delay_alu instid0(VALU_DEP_3) | instskip(NEXT) | instid1(VALU_DEP_3)
	v_fma_f64 v[11:12], v[9:10], v[11:12], s[42:43]
	v_fma_f64 v[13:14], v[9:10], v[13:14], s[28:29]
	s_delay_alu instid0(VALU_DEP_3) | instskip(NEXT) | instid1(VALU_DEP_3)
	v_add_f64 v[61:62], -v[55:56], 1.0
	v_fma_f64 v[11:12], v[9:10], v[11:12], s[44:45]
	s_delay_alu instid0(VALU_DEP_3) | instskip(NEXT) | instid1(VALU_DEP_3)
	v_fma_f64 v[13:14], v[9:10], v[13:14], s[30:31]
	v_add_f64 v[53:54], v[61:62], -v[53:54]
	s_delay_alu instid0(VALU_DEP_3) | instskip(SKIP_1) | instid1(VALU_DEP_4)
	v_fma_f64 v[11:12], v[59:60], v[11:12], v[57:58]
	v_mul_f64 v[57:58], v[9:10], v[9:10]
	v_fma_f64 v[13:14], v[9:10], v[13:14], s[34:35]
	s_delay_alu instid0(VALU_DEP_4) | instskip(NEXT) | instid1(VALU_DEP_4)
	v_fma_f64 v[53:54], v[15:16], -v[17:18], v[53:54]
	v_fma_f64 v[9:10], v[9:10], v[11:12], -v[17:18]
	s_delay_alu instid0(VALU_DEP_2) | instskip(NEXT) | instid1(VALU_DEP_2)
	v_fma_f64 v[11:12], v[57:58], v[13:14], v[53:54]
	v_fma_f64 v[9:10], v[59:60], s[50:51], v[9:10]
	s_delay_alu instid0(VALU_DEP_2) | instskip(NEXT) | instid1(VALU_DEP_2)
	v_add_f64 v[11:12], v[55:56], v[11:12]
	v_add_f64 v[9:10], v[15:16], -v[9:10]
	s_delay_alu instid0(VALU_DEP_1) | instskip(NEXT) | instid1(VALU_DEP_2)
	v_xor_b32_e32 v8, 0x80000000, v10
	v_cndmask_b32_e64 v2, v9, v11, s1
	s_delay_alu instid0(VALU_DEP_2) | instskip(SKIP_1) | instid1(VALU_DEP_1)
	v_cndmask_b32_e64 v8, v8, v12, s1
	v_add_co_u32 v9, s1, v47, s12
	v_add_co_ci_u32_e64 v10, s1, s13, v48, s1
	s_delay_alu instid0(VALU_DEP_3) | instskip(SKIP_1) | instid1(VALU_DEP_2)
	v_xor_b32_e32 v8, v8, v7
	v_cndmask_b32_e64 v7, 0, v2, s2
	v_cndmask_b32_e64 v8, 0x7ff80000, v8, s2
	global_store_b64 v[9:10], v[7:8], off
	s_or_b32 exec_lo, exec_lo, s3
	s_and_saveexec_b32 s2, s0
	s_cbranch_execz .LBB214_50
.LBB214_55:                             ;   in Loop: Header=BB214_25 Depth=1
	v_mul_f64 v[7:8], v[19:20], v[19:20]
	s_delay_alu instid0(VALU_DEP_3) | instskip(SKIP_4) | instid1(VALU_DEP_2)
	v_mul_f64 v[17:18], v[21:22], 0.5
	s_mov_b32 s50, s34
	v_cmp_class_f64_e64 s1, v[5:6], 0x1f8
	v_and_b32_e32 v2, 1, v51
	v_lshlrev_b32_e32 v5, 30, v51
	v_cmp_eq_u32_e64 s0, 0, v2
	s_delay_alu instid0(VALU_DEP_2) | instskip(SKIP_4) | instid1(VALU_DEP_4)
	v_and_b32_e32 v5, 0x80000000, v5
	v_fma_f64 v[9:10], v[7:8], s[38:39], s[36:37]
	v_fma_f64 v[11:12], v[7:8], s[24:25], s[22:23]
	v_mul_f64 v[13:14], v[7:8], 0.5
	v_mul_f64 v[49:50], v[19:20], -v[7:8]
	v_fma_f64 v[9:10], v[7:8], v[9:10], s[40:41]
	s_delay_alu instid0(VALU_DEP_4) | instskip(NEXT) | instid1(VALU_DEP_4)
	v_fma_f64 v[11:12], v[7:8], v[11:12], s[26:27]
	v_add_f64 v[15:16], -v[13:14], 1.0
	s_delay_alu instid0(VALU_DEP_3) | instskip(NEXT) | instid1(VALU_DEP_3)
	v_fma_f64 v[9:10], v[7:8], v[9:10], s[42:43]
	v_fma_f64 v[11:12], v[7:8], v[11:12], s[28:29]
	s_delay_alu instid0(VALU_DEP_3) | instskip(NEXT) | instid1(VALU_DEP_3)
	v_add_f64 v[53:54], -v[15:16], 1.0
	v_fma_f64 v[9:10], v[7:8], v[9:10], s[44:45]
	s_delay_alu instid0(VALU_DEP_3) | instskip(NEXT) | instid1(VALU_DEP_3)
	v_fma_f64 v[11:12], v[7:8], v[11:12], s[30:31]
	v_add_f64 v[13:14], v[53:54], -v[13:14]
	s_delay_alu instid0(VALU_DEP_3) | instskip(SKIP_1) | instid1(VALU_DEP_4)
	v_fma_f64 v[9:10], v[49:50], v[9:10], v[17:18]
	v_mul_f64 v[17:18], v[7:8], v[7:8]
	v_fma_f64 v[11:12], v[7:8], v[11:12], s[34:35]
	s_delay_alu instid0(VALU_DEP_4) | instskip(NEXT) | instid1(VALU_DEP_4)
	v_fma_f64 v[13:14], v[19:20], -v[21:22], v[13:14]
	v_fma_f64 v[7:8], v[7:8], v[9:10], -v[21:22]
	s_delay_alu instid0(VALU_DEP_2) | instskip(NEXT) | instid1(VALU_DEP_2)
	v_fma_f64 v[9:10], v[17:18], v[11:12], v[13:14]
	v_fma_f64 v[7:8], v[49:50], s[50:51], v[7:8]
	s_delay_alu instid0(VALU_DEP_2) | instskip(NEXT) | instid1(VALU_DEP_2)
	v_add_f64 v[9:10], v[15:16], v[9:10]
	v_add_f64 v[7:8], v[19:20], -v[7:8]
	s_delay_alu instid0(VALU_DEP_1) | instskip(NEXT) | instid1(VALU_DEP_2)
	v_xor_b32_e32 v6, 0x80000000, v8
	v_cndmask_b32_e64 v2, v7, v9, s0
	s_delay_alu instid0(VALU_DEP_2) | instskip(SKIP_1) | instid1(VALU_DEP_1)
	v_cndmask_b32_e64 v6, v6, v10, s0
	v_add_co_u32 v7, s0, v40, s12
	v_add_co_ci_u32_e64 v8, s0, s13, v41, s0
	s_delay_alu instid0(VALU_DEP_3) | instskip(SKIP_1) | instid1(VALU_DEP_2)
	v_xor_b32_e32 v6, v6, v5
	v_cndmask_b32_e64 v5, 0, v2, s1
	v_cndmask_b32_e64 v6, 0x7ff80000, v6, s1
	global_store_b64 v[7:8], v[5:6], off
	s_or_b32 exec_lo, exec_lo, s2
	s_and_saveexec_b32 s1, vcc_lo
	s_cbranch_execz .LBB214_24
.LBB214_56:                             ;   in Loop: Header=BB214_25 Depth=1
	v_mul_f64 v[5:6], v[23:24], v[23:24]
	s_delay_alu instid0(VALU_DEP_2) | instskip(SKIP_4) | instid1(VALU_DEP_2)
	v_mul_f64 v[15:16], v[25:26], 0.5
	s_mov_b32 s50, s34
	v_cmp_class_f64_e64 s0, v[3:4], 0x1f8
	v_and_b32_e32 v2, 1, v52
	v_lshlrev_b32_e32 v3, 30, v52
	v_cmp_eq_u32_e32 vcc_lo, 0, v2
	v_fma_f64 v[7:8], v[5:6], s[38:39], s[36:37]
	v_fma_f64 v[9:10], v[5:6], s[24:25], s[22:23]
	v_mul_f64 v[11:12], v[5:6], 0.5
	v_mul_f64 v[17:18], v[23:24], -v[5:6]
	s_delay_alu instid0(VALU_DEP_4) | instskip(NEXT) | instid1(VALU_DEP_4)
	v_fma_f64 v[7:8], v[5:6], v[7:8], s[40:41]
	v_fma_f64 v[9:10], v[5:6], v[9:10], s[26:27]
	s_delay_alu instid0(VALU_DEP_4) | instskip(NEXT) | instid1(VALU_DEP_3)
	v_add_f64 v[13:14], -v[11:12], 1.0
	v_fma_f64 v[7:8], v[5:6], v[7:8], s[42:43]
	s_delay_alu instid0(VALU_DEP_3) | instskip(NEXT) | instid1(VALU_DEP_3)
	v_fma_f64 v[9:10], v[5:6], v[9:10], s[28:29]
	v_add_f64 v[19:20], -v[13:14], 1.0
	s_delay_alu instid0(VALU_DEP_3) | instskip(NEXT) | instid1(VALU_DEP_3)
	v_fma_f64 v[7:8], v[5:6], v[7:8], s[44:45]
	v_fma_f64 v[9:10], v[5:6], v[9:10], s[30:31]
	s_delay_alu instid0(VALU_DEP_3) | instskip(NEXT) | instid1(VALU_DEP_3)
	v_add_f64 v[11:12], v[19:20], -v[11:12]
	v_fma_f64 v[7:8], v[17:18], v[7:8], v[15:16]
	v_mul_f64 v[15:16], v[5:6], v[5:6]
	s_delay_alu instid0(VALU_DEP_4) | instskip(NEXT) | instid1(VALU_DEP_4)
	v_fma_f64 v[9:10], v[5:6], v[9:10], s[34:35]
	v_fma_f64 v[11:12], v[23:24], -v[25:26], v[11:12]
	s_delay_alu instid0(VALU_DEP_4) | instskip(NEXT) | instid1(VALU_DEP_2)
	v_fma_f64 v[5:6], v[5:6], v[7:8], -v[25:26]
	v_fma_f64 v[7:8], v[15:16], v[9:10], v[11:12]
	s_delay_alu instid0(VALU_DEP_2) | instskip(NEXT) | instid1(VALU_DEP_2)
	v_fma_f64 v[5:6], v[17:18], s[50:51], v[5:6]
	v_add_f64 v[7:8], v[13:14], v[7:8]
	s_delay_alu instid0(VALU_DEP_2) | instskip(NEXT) | instid1(VALU_DEP_1)
	v_add_f64 v[5:6], v[23:24], -v[5:6]
	v_cndmask_b32_e32 v2, v5, v7, vcc_lo
	s_delay_alu instid0(VALU_DEP_2) | instskip(SKIP_1) | instid1(VALU_DEP_3)
	v_xor_b32_e32 v4, 0x80000000, v6
	v_and_b32_e32 v3, 0x80000000, v3
	v_cndmask_b32_e64 v2, 0, v2, s0
	s_delay_alu instid0(VALU_DEP_3) | instskip(NEXT) | instid1(VALU_DEP_1)
	v_cndmask_b32_e32 v4, v4, v8, vcc_lo
	v_xor_b32_e32 v3, v4, v3
	v_add_co_u32 v4, vcc_lo, v33, s12
	v_add_co_ci_u32_e32 v5, vcc_lo, s13, v34, vcc_lo
	s_delay_alu instid0(VALU_DEP_3)
	v_cndmask_b32_e64 v3, 0x7ff80000, v3, s0
	global_store_b64 v[4:5], v[2:3], off
	s_branch .LBB214_24
.LBB214_57:
	s_nop 0
	s_sendmsg sendmsg(MSG_DEALLOC_VGPRS)
	s_endpgm
	.section	.rodata,"a",@progbits
	.p2align	6, 0x0
	.amdhsa_kernel _ZN2at6native12_GLOBAL__N_125multi_tensor_apply_kernelINS1_18TensorListMetadataILi2EEENS1_14UnaryOpFunctorIdLi2ELi1ELi1EEEJNS0_3CosIdEEEEEvT_T0_DpT1_
		.amdhsa_group_segment_fixed_size 0
		.amdhsa_private_segment_fixed_size 0
		.amdhsa_kernarg_size 3408
		.amdhsa_user_sgpr_count 15
		.amdhsa_user_sgpr_dispatch_ptr 0
		.amdhsa_user_sgpr_queue_ptr 0
		.amdhsa_user_sgpr_kernarg_segment_ptr 1
		.amdhsa_user_sgpr_dispatch_id 0
		.amdhsa_user_sgpr_private_segment_size 0
		.amdhsa_wavefront_size32 1
		.amdhsa_uses_dynamic_stack 0
		.amdhsa_enable_private_segment 0
		.amdhsa_system_sgpr_workgroup_id_x 1
		.amdhsa_system_sgpr_workgroup_id_y 0
		.amdhsa_system_sgpr_workgroup_id_z 0
		.amdhsa_system_sgpr_workgroup_info 0
		.amdhsa_system_vgpr_workitem_id 0
		.amdhsa_next_free_vgpr 94
		.amdhsa_next_free_sgpr 67
		.amdhsa_reserve_vcc 1
		.amdhsa_float_round_mode_32 0
		.amdhsa_float_round_mode_16_64 0
		.amdhsa_float_denorm_mode_32 3
		.amdhsa_float_denorm_mode_16_64 3
		.amdhsa_dx10_clamp 1
		.amdhsa_ieee_mode 1
		.amdhsa_fp16_overflow 0
		.amdhsa_workgroup_processor_mode 1
		.amdhsa_memory_ordered 1
		.amdhsa_forward_progress 0
		.amdhsa_shared_vgpr_count 0
		.amdhsa_exception_fp_ieee_invalid_op 0
		.amdhsa_exception_fp_denorm_src 0
		.amdhsa_exception_fp_ieee_div_zero 0
		.amdhsa_exception_fp_ieee_overflow 0
		.amdhsa_exception_fp_ieee_underflow 0
		.amdhsa_exception_fp_ieee_inexact 0
		.amdhsa_exception_int_div_zero 0
	.end_amdhsa_kernel
	.section	.text._ZN2at6native12_GLOBAL__N_125multi_tensor_apply_kernelINS1_18TensorListMetadataILi2EEENS1_14UnaryOpFunctorIdLi2ELi1ELi1EEEJNS0_3CosIdEEEEEvT_T0_DpT1_,"axG",@progbits,_ZN2at6native12_GLOBAL__N_125multi_tensor_apply_kernelINS1_18TensorListMetadataILi2EEENS1_14UnaryOpFunctorIdLi2ELi1ELi1EEEJNS0_3CosIdEEEEEvT_T0_DpT1_,comdat
.Lfunc_end214:
	.size	_ZN2at6native12_GLOBAL__N_125multi_tensor_apply_kernelINS1_18TensorListMetadataILi2EEENS1_14UnaryOpFunctorIdLi2ELi1ELi1EEEJNS0_3CosIdEEEEEvT_T0_DpT1_, .Lfunc_end214-_ZN2at6native12_GLOBAL__N_125multi_tensor_apply_kernelINS1_18TensorListMetadataILi2EEENS1_14UnaryOpFunctorIdLi2ELi1ELi1EEEJNS0_3CosIdEEEEEvT_T0_DpT1_
                                        ; -- End function
	.section	.AMDGPU.csdata,"",@progbits
; Kernel info:
; codeLenInByte = 11456
; NumSgprs: 69
; NumVgprs: 94
; ScratchSize: 0
; MemoryBound: 1
; FloatMode: 240
; IeeeMode: 1
; LDSByteSize: 0 bytes/workgroup (compile time only)
; SGPRBlocks: 8
; VGPRBlocks: 11
; NumSGPRsForWavesPerEU: 69
; NumVGPRsForWavesPerEU: 94
; Occupancy: 16
; WaveLimiterHint : 0
; COMPUTE_PGM_RSRC2:SCRATCH_EN: 0
; COMPUTE_PGM_RSRC2:USER_SGPR: 15
; COMPUTE_PGM_RSRC2:TRAP_HANDLER: 0
; COMPUTE_PGM_RSRC2:TGID_X_EN: 1
; COMPUTE_PGM_RSRC2:TGID_Y_EN: 0
; COMPUTE_PGM_RSRC2:TGID_Z_EN: 0
; COMPUTE_PGM_RSRC2:TIDIG_COMP_CNT: 0
	.section	.text._ZN2at6native12_GLOBAL__N_125multi_tensor_apply_kernelINS1_18TensorListMetadataILi2EEENS1_14UnaryOpFunctorIfLi2ELi1ELi1EEEJNS0_3CosIfEEEEEvT_T0_DpT1_,"axG",@progbits,_ZN2at6native12_GLOBAL__N_125multi_tensor_apply_kernelINS1_18TensorListMetadataILi2EEENS1_14UnaryOpFunctorIfLi2ELi1ELi1EEEJNS0_3CosIfEEEEEvT_T0_DpT1_,comdat
	.globl	_ZN2at6native12_GLOBAL__N_125multi_tensor_apply_kernelINS1_18TensorListMetadataILi2EEENS1_14UnaryOpFunctorIfLi2ELi1ELi1EEEJNS0_3CosIfEEEEEvT_T0_DpT1_ ; -- Begin function _ZN2at6native12_GLOBAL__N_125multi_tensor_apply_kernelINS1_18TensorListMetadataILi2EEENS1_14UnaryOpFunctorIfLi2ELi1ELi1EEEJNS0_3CosIfEEEEEvT_T0_DpT1_
	.p2align	8
	.type	_ZN2at6native12_GLOBAL__N_125multi_tensor_apply_kernelINS1_18TensorListMetadataILi2EEENS1_14UnaryOpFunctorIfLi2ELi1ELi1EEEJNS0_3CosIfEEEEEvT_T0_DpT1_,@function
_ZN2at6native12_GLOBAL__N_125multi_tensor_apply_kernelINS1_18TensorListMetadataILi2EEENS1_14UnaryOpFunctorIfLi2ELi1ELi1EEEJNS0_3CosIfEEEEEvT_T0_DpT1_: ; @_ZN2at6native12_GLOBAL__N_125multi_tensor_apply_kernelINS1_18TensorListMetadataILi2EEENS1_14UnaryOpFunctorIfLi2ELi1ELi1EEEJNS0_3CosIfEEEEEvT_T0_DpT1_
; %bb.0:
	v_mov_b32_e32 v1, s15
	s_add_u32 s2, s0, s15
	s_mul_hi_u32 s3, s15, 3
	s_mul_i32 s15, s15, 3
	s_addc_u32 s4, s1, 0
	global_load_u8 v1, v1, s[0:1] offset:1536
	s_add_u32 s2, s2, s15
	s_addc_u32 s3, s4, s3
	s_mov_b32 s19, 0
	s_load_b32 s2, s[2:3], 0x740
	s_mov_b32 s21, s19
	s_mov_b32 s23, s19
	s_waitcnt vmcnt(0)
	v_readfirstlane_b32 s5, v1
	s_delay_alu instid0(VALU_DEP_1)
	s_lshl_b32 s3, s5, 3
	s_clause 0x2
	s_load_b64 s[6:7], s[0:1], s3 offset:0x0
	s_load_b64 s[14:15], s[0:1], s3 offset:0x200
	;; [unrolled: 1-line block ×3, first 2 shown]
	s_waitcnt lgkmcnt(0)
	s_ashr_i32 s3, s2, 31
	s_delay_alu instid0(SALU_CYCLE_1) | instskip(NEXT) | instid1(SALU_CYCLE_1)
	s_lshl_b64 s[8:9], s[2:3], 18
	s_add_u32 s5, s6, s8
	s_addc_u32 s12, s7, s9
	s_and_b32 s18, s5, 15
	s_add_u32 s13, s14, s8
	s_addc_u32 s16, s15, s9
	s_and_b32 s20, s10, 3
	s_and_b32 s22, s13, 15
	s_or_b64 s[18:19], s[18:19], s[20:21]
	s_lshl_b64 s[2:3], s[2:3], 16
	s_or_b64 s[18:19], s[22:23], s[18:19]
	s_sub_u32 s10, s10, s2
	s_subb_u32 s11, s11, s3
	s_cmp_eq_u64 s[18:19], 0
	s_mov_b32 s2, -1
	s_cbranch_scc0 .LBB215_21
; %bb.1:
	v_dual_mov_b32 v6, 0 :: v_dual_lshlrev_b32 v5, 2, v0
	s_mov_b32 s17, exec_lo
	s_delay_alu instid0(VALU_DEP_1)
	v_cmpx_gt_i64_e64 s[10:11], v[5:6]
	s_cbranch_execz .LBB215_20
; %bb.2:
	s_load_b32 s2, s[0:1], 0xc5c
	s_mov_b32 s18, 0
	s_mov_b32 s21, 0x7fffff
	;; [unrolled: 1-line block ×4, first 2 shown]
	s_waitcnt lgkmcnt(0)
	s_and_b32 s2, s2, 0xffff
	s_delay_alu instid0(SALU_CYCLE_1) | instskip(SKIP_3) | instid1(VALU_DEP_2)
	v_add_lshl_u32 v5, v0, s2, 2
	v_dual_mov_b32 v8, v6 :: v_dual_lshlrev_b32 v9, 4, v0
	s_lshl_b32 s19, s2, 2
	s_lshl_b32 s20, s2, 4
	v_mov_b32_e32 v7, v5
	s_branch .LBB215_4
.LBB215_3:                              ;   in Loop: Header=BB215_4 Depth=1
	s_or_b32 exec_lo, exec_lo, s2
	v_dual_mul_f32 v17, v14, v14 :: v_dual_and_b32 v18, 1, v15
	v_mul_f32_e32 v19, v12, v12
	v_cmp_lt_u64_e64 s2, 0xffff, v[7:8]
	v_cmp_class_f32_e64 s3, v4, 0x1f8
	s_delay_alu instid0(VALU_DEP_4) | instskip(NEXT) | instid1(VALU_DEP_4)
	v_fmaak_f32 v20, s22, v17, 0x3c0881c4
	v_dual_fmaak_f32 v21, s23, v17, 0xbab64f3b :: v_dual_fmaak_f32 v24, s23, v19, 0xbab64f3b
	v_lshlrev_b32_e32 v15, 30, v15
	v_dual_fmaak_f32 v23, s22, v19, 0x3c0881c4 :: v_dual_and_b32 v22, 1, v13
	s_delay_alu instid0(VALU_DEP_4) | instskip(NEXT) | instid1(VALU_DEP_4)
	v_fmaak_f32 v20, v17, v20, 0xbe2aaa9d
	v_dual_fmaak_f32 v21, v17, v21, 0x3d2aabf7 :: v_dual_fmaak_f32 v24, v19, v24, 0x3d2aabf7
	v_mul_f32_e32 v25, v10, v10
	s_delay_alu instid0(VALU_DEP_4) | instskip(NEXT) | instid1(VALU_DEP_4)
	v_dual_fmaak_f32 v23, v19, v23, 0xbe2aaa9d :: v_dual_mul_f32 v26, v5, v5
	v_mul_f32_e32 v20, v17, v20
	s_delay_alu instid0(VALU_DEP_4) | instskip(NEXT) | instid1(VALU_DEP_3)
	v_dual_fmaak_f32 v21, v17, v21, 0xbf000004 :: v_dual_fmaak_f32 v24, v19, v24, 0xbf000004
	v_mul_f32_e32 v23, v19, v23
	v_cmp_eq_u32_e32 vcc_lo, 0, v18
	s_delay_alu instid0(VALU_DEP_4) | instskip(NEXT) | instid1(VALU_DEP_4)
	v_fmac_f32_e32 v14, v14, v20
	v_fma_f32 v17, v17, v21, 1.0
	v_and_b32_e32 v15, 0x80000000, v15
	v_fmac_f32_e32 v12, v12, v23
	v_fma_f32 v19, v19, v24, 1.0
	v_fmaak_f32 v18, s23, v25, 0xbab64f3b
	v_cndmask_b32_e64 v14, -v14, v17, vcc_lo
	v_fmaak_f32 v17, s22, v25, 0x3c0881c4
	v_cmp_eq_u32_e32 vcc_lo, 0, v22
	s_delay_alu instid0(VALU_DEP_3) | instskip(NEXT) | instid1(VALU_DEP_3)
	v_xor_b32_e32 v14, v15, v14
	v_fmaak_f32 v15, v25, v17, 0xbe2aaa9d
	v_cndmask_b32_e64 v12, -v12, v19, vcc_lo
	v_fmaak_f32 v17, s22, v26, 0x3c0881c4
	v_fmaak_f32 v19, s23, v26, 0xbab64f3b
	v_dual_fmaak_f32 v18, v25, v18, 0x3d2aabf7 :: v_dual_lshlrev_b32 v13, 30, v13
	s_delay_alu instid0(VALU_DEP_3) | instskip(NEXT) | instid1(VALU_DEP_3)
	v_fmaak_f32 v17, v26, v17, 0xbe2aaa9d
	v_fmaak_f32 v19, v26, v19, 0x3d2aabf7
	s_delay_alu instid0(VALU_DEP_3) | instskip(NEXT) | instid1(VALU_DEP_4)
	v_and_b32_e32 v13, 0x80000000, v13
	v_fmaak_f32 v18, v25, v18, 0xbf000004
	s_delay_alu instid0(VALU_DEP_2) | instskip(SKIP_1) | instid1(VALU_DEP_3)
	v_xor_b32_e32 v12, v13, v12
	v_mul_f32_e32 v13, v26, v17
	v_fma_f32 v17, v25, v18, 1.0
	v_and_b32_e32 v18, 1, v11
	v_mul_f32_e32 v15, v25, v15
	s_delay_alu instid0(VALU_DEP_4) | instskip(NEXT) | instid1(VALU_DEP_3)
	v_fmac_f32_e32 v5, v5, v13
	v_cmp_eq_u32_e32 vcc_lo, 0, v18
	s_delay_alu instid0(VALU_DEP_3) | instskip(SKIP_1) | instid1(VALU_DEP_2)
	v_fmac_f32_e32 v10, v10, v15
	v_fmaak_f32 v15, v26, v19, 0xbf000004
	v_cndmask_b32_e64 v10, -v10, v17, vcc_lo
	s_delay_alu instid0(VALU_DEP_2) | instskip(SKIP_2) | instid1(VALU_DEP_2)
	v_fma_f32 v13, v26, v15, 1.0
	v_and_b32_e32 v15, 1, v16
	v_lshlrev_b32_e32 v16, 30, v16
	v_cmp_eq_u32_e32 vcc_lo, 0, v15
	s_delay_alu instid0(VALU_DEP_4) | instskip(SKIP_1) | instid1(VALU_DEP_4)
	v_cndmask_b32_e64 v5, -v5, v13, vcc_lo
	v_cmp_class_f32_e64 vcc_lo, v3, 0x1f8
	v_and_b32_e32 v13, 0x80000000, v16
	v_cndmask_b32_e32 v3, 0x7fc00000, v14, vcc_lo
	v_cmp_class_f32_e64 vcc_lo, v2, 0x1f8
	v_lshlrev_b32_e32 v11, 30, v11
	s_delay_alu instid0(VALU_DEP_4) | instskip(SKIP_1) | instid1(VALU_DEP_3)
	v_xor_b32_e32 v5, v13, v5
	v_cndmask_b32_e32 v2, 0x7fc00000, v12, vcc_lo
	v_and_b32_e32 v11, 0x80000000, v11
	v_cmp_class_f32_e64 vcc_lo, v1, 0x1f8
	s_delay_alu instid0(VALU_DEP_4) | instskip(NEXT) | instid1(VALU_DEP_3)
	v_cndmask_b32_e64 v4, 0x7fc00000, v5, s3
	v_xor_b32_e32 v10, v11, v10
	s_delay_alu instid0(VALU_DEP_1) | instskip(SKIP_2) | instid1(VALU_DEP_1)
	v_cndmask_b32_e32 v1, 0x7fc00000, v10, vcc_lo
	v_cmp_le_i64_e32 vcc_lo, s[10:11], v[7:8]
	v_add_co_u32 v10, s3, s13, v9
	v_add_co_ci_u32_e64 v11, null, s16, 0, s3
	s_or_b32 s2, vcc_lo, s2
	s_add_u32 s5, s5, s20
	v_add_co_u32 v7, vcc_lo, v7, s19
	s_addc_u32 s12, s12, 0
	s_add_u32 s13, s13, s20
	v_add_co_ci_u32_e32 v8, vcc_lo, 0, v8, vcc_lo
	s_addc_u32 s16, s16, 0
	s_and_b32 s2, exec_lo, s2
	global_store_b128 v[10:11], v[1:4], off
	s_or_b32 s18, s2, s18
	s_delay_alu instid0(SALU_CYCLE_1)
	s_and_not1_b32 exec_lo, exec_lo, s18
	s_cbranch_execz .LBB215_20
.LBB215_4:                              ; =>This Inner Loop Header: Depth=1
	v_add_co_u32 v1, s2, s5, v9
	s_delay_alu instid0(VALU_DEP_1)
	v_add_co_ci_u32_e64 v2, null, s12, 0, s2
                                        ; implicit-def: $vgpr11
                                        ; implicit-def: $vgpr10
	s_mov_b32 s3, exec_lo
	global_load_b128 v[1:4], v[1:2], off
	s_waitcnt vmcnt(0)
	v_cmpx_ngt_f32_e64 0x48000000, |v1|
	s_xor_b32 s24, exec_lo, s3
	s_cbranch_execz .LBB215_6
; %bb.5:                                ;   in Loop: Header=BB215_4 Depth=1
	v_and_b32_e32 v15, 0x7fffffff, v1
	s_delay_alu instid0(VALU_DEP_1) | instskip(SKIP_1) | instid1(VALU_DEP_2)
	v_and_or_b32 v18, v15, s21, 0x800000
	v_lshrrev_b32_e32 v15, 23, v15
	v_mad_u64_u32 v[10:11], null, 0xfe5163ab, v18, 0
	s_delay_alu instid0(VALU_DEP_2) | instskip(NEXT) | instid1(VALU_DEP_1)
	v_add_nc_u32_e32 v16, 0xffffff88, v15
	v_cmp_lt_u32_e32 vcc_lo, 63, v16
	s_delay_alu instid0(VALU_DEP_3) | instskip(SKIP_1) | instid1(VALU_DEP_2)
	v_mov_b32_e32 v5, v11
	v_cndmask_b32_e64 v17, 0, 0xffffffc0, vcc_lo
	v_mad_u64_u32 v[11:12], null, 0x3c439041, v18, v[5:6]
	s_delay_alu instid0(VALU_DEP_2) | instskip(NEXT) | instid1(VALU_DEP_2)
	v_add_nc_u32_e32 v17, v17, v16
	v_mov_b32_e32 v5, v12
	s_delay_alu instid0(VALU_DEP_2) | instskip(NEXT) | instid1(VALU_DEP_2)
	v_cmp_lt_u32_e64 s2, 31, v17
	v_mad_u64_u32 v[12:13], null, 0xdb629599, v18, v[5:6]
	s_delay_alu instid0(VALU_DEP_2) | instskip(NEXT) | instid1(VALU_DEP_1)
	v_cndmask_b32_e64 v19, 0, 0xffffffe0, s2
	v_add_nc_u32_e32 v19, v19, v17
	s_delay_alu instid0(VALU_DEP_3) | instskip(NEXT) | instid1(VALU_DEP_2)
	v_dual_mov_b32 v5, v13 :: v_dual_cndmask_b32 v10, v12, v10
	v_cmp_lt_u32_e64 s3, 31, v19
	s_delay_alu instid0(VALU_DEP_2) | instskip(NEXT) | instid1(VALU_DEP_1)
	v_mad_u64_u32 v[13:14], null, 0xf534ddc0, v18, v[5:6]
	v_mov_b32_e32 v5, v14
	s_delay_alu instid0(VALU_DEP_2) | instskip(NEXT) | instid1(VALU_DEP_2)
	v_cndmask_b32_e32 v11, v13, v11, vcc_lo
	v_mad_u64_u32 v[14:15], null, 0xfc2757d1, v18, v[5:6]
	s_delay_alu instid0(VALU_DEP_2) | instskip(NEXT) | instid1(VALU_DEP_2)
	v_cndmask_b32_e64 v10, v11, v10, s2
	v_mov_b32_e32 v5, v15
	s_delay_alu instid0(VALU_DEP_1) | instskip(NEXT) | instid1(VALU_DEP_1)
	v_mad_u64_u32 v[15:16], null, 0x4e441529, v18, v[5:6]
	v_mov_b32_e32 v5, v16
	s_delay_alu instid0(VALU_DEP_1) | instskip(SKIP_1) | instid1(VALU_DEP_1)
	v_mad_u64_u32 v[16:17], null, 0xa2f9836e, v18, v[5:6]
	v_cndmask_b32_e64 v5, 0, 0xffffffe0, s3
	v_dual_cndmask_b32 v18, v15, v13 :: v_dual_add_nc_u32 v5, v5, v19
	s_delay_alu instid0(VALU_DEP_3) | instskip(SKIP_1) | instid1(VALU_DEP_3)
	v_dual_cndmask_b32 v16, v16, v14 :: v_dual_cndmask_b32 v15, v17, v15
	v_cndmask_b32_e32 v14, v14, v12, vcc_lo
	v_sub_nc_u32_e32 v17, 32, v5
	s_delay_alu instid0(VALU_DEP_3) | instskip(NEXT) | instid1(VALU_DEP_4)
	v_cndmask_b32_e64 v13, v16, v18, s2
	v_cndmask_b32_e64 v15, v15, v16, s2
	s_delay_alu instid0(VALU_DEP_4) | instskip(SKIP_2) | instid1(VALU_DEP_4)
	v_cndmask_b32_e64 v16, v18, v14, s2
	v_cndmask_b32_e64 v14, v14, v11, s2
	v_cmp_eq_u32_e64 s4, 0, v5
	v_cndmask_b32_e64 v15, v15, v13, s3
	s_delay_alu instid0(VALU_DEP_4) | instskip(NEXT) | instid1(VALU_DEP_4)
	v_cndmask_b32_e64 v13, v13, v16, s3
	v_cndmask_b32_e64 v16, v16, v14, s3
	v_cndmask_b32_e64 v10, v14, v10, s3
	s_delay_alu instid0(VALU_DEP_3) | instskip(NEXT) | instid1(VALU_DEP_3)
	v_alignbit_b32 v18, v15, v13, v17
	v_alignbit_b32 v19, v13, v16, v17
	s_delay_alu instid0(VALU_DEP_3) | instskip(NEXT) | instid1(VALU_DEP_3)
	v_alignbit_b32 v17, v16, v10, v17
	v_cndmask_b32_e64 v5, v18, v15, s4
	s_delay_alu instid0(VALU_DEP_3) | instskip(NEXT) | instid1(VALU_DEP_3)
	v_cndmask_b32_e64 v12, v19, v13, s4
	v_cndmask_b32_e64 v16, v17, v16, s4
	s_delay_alu instid0(VALU_DEP_3) | instskip(NEXT) | instid1(VALU_DEP_3)
	v_bfe_u32 v13, v5, 29, 1
	v_alignbit_b32 v11, v5, v12, 30
	s_delay_alu instid0(VALU_DEP_3) | instskip(SKIP_1) | instid1(VALU_DEP_4)
	v_alignbit_b32 v12, v12, v16, 30
	v_alignbit_b32 v10, v16, v10, 30
	v_sub_nc_u32_e32 v15, 0, v13
	s_delay_alu instid0(VALU_DEP_1) | instskip(SKIP_3) | instid1(VALU_DEP_4)
	v_xor_b32_e32 v14, v11, v15
	v_cmp_ne_u32_e32 vcc_lo, v11, v15
	v_xor_b32_e32 v12, v12, v15
	v_xor_b32_e32 v10, v10, v15
	v_clz_i32_u32_e32 v18, v14
	s_delay_alu instid0(VALU_DEP_1) | instskip(NEXT) | instid1(VALU_DEP_1)
	v_add_nc_u32_e32 v17, 1, v18
	v_cndmask_b32_e32 v11, 33, v17, vcc_lo
	s_delay_alu instid0(VALU_DEP_1) | instskip(NEXT) | instid1(VALU_DEP_1)
	v_sub_nc_u32_e32 v16, 32, v11
	v_alignbit_b32 v14, v14, v12, v16
	v_alignbit_b32 v10, v12, v10, v16
	v_lshrrev_b32_e32 v12, 29, v5
	v_lshrrev_b32_e32 v5, 30, v5
	s_delay_alu instid0(VALU_DEP_3) | instskip(NEXT) | instid1(VALU_DEP_3)
	v_alignbit_b32 v15, v14, v10, 9
	v_lshlrev_b32_e32 v12, 31, v12
	v_alignbit_b32 v14, v11, v14, 9
	s_delay_alu instid0(VALU_DEP_3) | instskip(NEXT) | instid1(VALU_DEP_2)
	v_clz_i32_u32_e32 v16, v15
	v_or_b32_e32 v14, v14, v12
	v_or_b32_e32 v12, 0x33800000, v12
	s_delay_alu instid0(VALU_DEP_3) | instskip(NEXT) | instid1(VALU_DEP_3)
	v_min_u32_e32 v16, 32, v16
	v_xor_b32_e32 v14, 1.0, v14
	s_delay_alu instid0(VALU_DEP_2) | instskip(SKIP_1) | instid1(VALU_DEP_3)
	v_sub_nc_u32_e32 v17, 31, v16
	v_add_lshl_u32 v11, v16, v11, 23
	v_mul_f32_e32 v16, 0x3fc90fda, v14
	s_delay_alu instid0(VALU_DEP_3) | instskip(NEXT) | instid1(VALU_DEP_3)
	v_alignbit_b32 v10, v15, v10, v17
	v_sub_nc_u32_e32 v11, v12, v11
	s_delay_alu instid0(VALU_DEP_3) | instskip(NEXT) | instid1(VALU_DEP_3)
	v_fma_f32 v12, 0x3fc90fda, v14, -v16
	v_lshrrev_b32_e32 v10, 9, v10
	s_delay_alu instid0(VALU_DEP_2) | instskip(NEXT) | instid1(VALU_DEP_2)
	v_fmac_f32_e32 v12, 0x33a22168, v14
	v_or_b32_e32 v10, v11, v10
	s_delay_alu instid0(VALU_DEP_1) | instskip(NEXT) | instid1(VALU_DEP_1)
	v_dual_fmac_f32 v12, 0x3fc90fda, v10 :: v_dual_add_nc_u32 v11, v13, v5
	v_add_f32_e32 v10, v16, v12
.LBB215_6:                              ;   in Loop: Header=BB215_4 Depth=1
	s_and_not1_saveexec_b32 s2, s24
; %bb.7:                                ;   in Loop: Header=BB215_4 Depth=1
	v_mul_f32_e64 v5, 0x3f22f983, |v1|
	s_delay_alu instid0(VALU_DEP_1) | instskip(NEXT) | instid1(VALU_DEP_1)
	v_rndne_f32_e32 v5, v5
	v_fma_f32 v10, 0xbfc90fda, v5, |v1|
	v_cvt_i32_f32_e32 v11, v5
	s_delay_alu instid0(VALU_DEP_2) | instskip(NEXT) | instid1(VALU_DEP_1)
	v_fmac_f32_e32 v10, 0xb3a22168, v5
	v_fmac_f32_e32 v10, 0xa7c234c4, v5
; %bb.8:                                ;   in Loop: Header=BB215_4 Depth=1
	s_or_b32 exec_lo, exec_lo, s2
                                        ; implicit-def: $vgpr13
                                        ; implicit-def: $vgpr12
	s_delay_alu instid0(SALU_CYCLE_1)
	s_mov_b32 s3, exec_lo
	v_cmpx_ngt_f32_e64 0x48000000, |v2|
	s_xor_b32 s24, exec_lo, s3
	s_cbranch_execz .LBB215_10
; %bb.9:                                ;   in Loop: Header=BB215_4 Depth=1
	v_and_b32_e32 v17, 0x7fffffff, v2
	s_delay_alu instid0(VALU_DEP_1) | instskip(SKIP_1) | instid1(VALU_DEP_2)
	v_and_or_b32 v20, v17, s21, 0x800000
	v_lshrrev_b32_e32 v17, 23, v17
	v_mad_u64_u32 v[12:13], null, 0xfe5163ab, v20, 0
	s_delay_alu instid0(VALU_DEP_2) | instskip(NEXT) | instid1(VALU_DEP_1)
	v_add_nc_u32_e32 v18, 0xffffff88, v17
	v_cmp_lt_u32_e32 vcc_lo, 63, v18
	s_delay_alu instid0(VALU_DEP_3) | instskip(SKIP_1) | instid1(VALU_DEP_2)
	v_mov_b32_e32 v5, v13
	v_cndmask_b32_e64 v19, 0, 0xffffffc0, vcc_lo
	v_mad_u64_u32 v[13:14], null, 0x3c439041, v20, v[5:6]
	s_delay_alu instid0(VALU_DEP_2) | instskip(NEXT) | instid1(VALU_DEP_2)
	v_add_nc_u32_e32 v19, v19, v18
	v_mov_b32_e32 v5, v14
	s_delay_alu instid0(VALU_DEP_2) | instskip(NEXT) | instid1(VALU_DEP_2)
	v_cmp_lt_u32_e64 s2, 31, v19
	v_mad_u64_u32 v[14:15], null, 0xdb629599, v20, v[5:6]
	s_delay_alu instid0(VALU_DEP_2) | instskip(NEXT) | instid1(VALU_DEP_1)
	v_cndmask_b32_e64 v21, 0, 0xffffffe0, s2
	v_add_nc_u32_e32 v21, v21, v19
	s_delay_alu instid0(VALU_DEP_3) | instskip(NEXT) | instid1(VALU_DEP_2)
	v_dual_mov_b32 v5, v15 :: v_dual_cndmask_b32 v12, v14, v12
	v_cmp_lt_u32_e64 s3, 31, v21
	s_delay_alu instid0(VALU_DEP_2) | instskip(NEXT) | instid1(VALU_DEP_1)
	v_mad_u64_u32 v[15:16], null, 0xf534ddc0, v20, v[5:6]
	v_mov_b32_e32 v5, v16
	s_delay_alu instid0(VALU_DEP_2) | instskip(NEXT) | instid1(VALU_DEP_2)
	v_cndmask_b32_e32 v13, v15, v13, vcc_lo
	v_mad_u64_u32 v[16:17], null, 0xfc2757d1, v20, v[5:6]
	s_delay_alu instid0(VALU_DEP_2) | instskip(NEXT) | instid1(VALU_DEP_2)
	v_cndmask_b32_e64 v12, v13, v12, s2
	v_mov_b32_e32 v5, v17
	s_delay_alu instid0(VALU_DEP_1) | instskip(NEXT) | instid1(VALU_DEP_1)
	v_mad_u64_u32 v[17:18], null, 0x4e441529, v20, v[5:6]
	v_mov_b32_e32 v5, v18
	s_delay_alu instid0(VALU_DEP_1) | instskip(SKIP_1) | instid1(VALU_DEP_4)
	v_mad_u64_u32 v[18:19], null, 0xa2f9836e, v20, v[5:6]
	v_cndmask_b32_e64 v5, 0, 0xffffffe0, s3
	v_cndmask_b32_e32 v20, v17, v15, vcc_lo
	s_delay_alu instid0(VALU_DEP_2) | instskip(NEXT) | instid1(VALU_DEP_4)
	v_dual_cndmask_b32 v18, v18, v16 :: v_dual_add_nc_u32 v5, v5, v21
	v_dual_cndmask_b32 v17, v19, v17 :: v_dual_cndmask_b32 v16, v16, v14
	s_delay_alu instid0(VALU_DEP_2) | instskip(NEXT) | instid1(VALU_DEP_3)
	v_sub_nc_u32_e32 v19, 32, v5
	v_cndmask_b32_e64 v15, v18, v20, s2
	s_delay_alu instid0(VALU_DEP_3) | instskip(NEXT) | instid1(VALU_DEP_4)
	v_cndmask_b32_e64 v17, v17, v18, s2
	v_cndmask_b32_e64 v18, v20, v16, s2
	;; [unrolled: 1-line block ×3, first 2 shown]
	v_cmp_eq_u32_e64 s4, 0, v5
	s_delay_alu instid0(VALU_DEP_4) | instskip(NEXT) | instid1(VALU_DEP_4)
	v_cndmask_b32_e64 v17, v17, v15, s3
	v_cndmask_b32_e64 v15, v15, v18, s3
	s_delay_alu instid0(VALU_DEP_4) | instskip(SKIP_1) | instid1(VALU_DEP_3)
	v_cndmask_b32_e64 v18, v18, v16, s3
	v_cndmask_b32_e64 v12, v16, v12, s3
	v_alignbit_b32 v20, v17, v15, v19
	s_delay_alu instid0(VALU_DEP_3) | instskip(NEXT) | instid1(VALU_DEP_3)
	v_alignbit_b32 v21, v15, v18, v19
	v_alignbit_b32 v19, v18, v12, v19
	s_delay_alu instid0(VALU_DEP_3) | instskip(NEXT) | instid1(VALU_DEP_3)
	v_cndmask_b32_e64 v5, v20, v17, s4
	v_cndmask_b32_e64 v14, v21, v15, s4
	s_delay_alu instid0(VALU_DEP_3) | instskip(NEXT) | instid1(VALU_DEP_3)
	v_cndmask_b32_e64 v18, v19, v18, s4
	v_bfe_u32 v15, v5, 29, 1
	s_delay_alu instid0(VALU_DEP_3) | instskip(NEXT) | instid1(VALU_DEP_3)
	v_alignbit_b32 v13, v5, v14, 30
	v_alignbit_b32 v14, v14, v18, 30
	;; [unrolled: 1-line block ×3, first 2 shown]
	s_delay_alu instid0(VALU_DEP_4) | instskip(NEXT) | instid1(VALU_DEP_1)
	v_sub_nc_u32_e32 v17, 0, v15
	v_xor_b32_e32 v16, v13, v17
	v_cmp_ne_u32_e32 vcc_lo, v13, v17
	v_xor_b32_e32 v14, v14, v17
	v_xor_b32_e32 v12, v12, v17
	s_delay_alu instid0(VALU_DEP_4) | instskip(NEXT) | instid1(VALU_DEP_1)
	v_clz_i32_u32_e32 v20, v16
	v_add_nc_u32_e32 v19, 1, v20
	s_delay_alu instid0(VALU_DEP_1) | instskip(NEXT) | instid1(VALU_DEP_1)
	v_cndmask_b32_e32 v13, 33, v19, vcc_lo
	v_sub_nc_u32_e32 v18, 32, v13
	s_delay_alu instid0(VALU_DEP_1) | instskip(SKIP_3) | instid1(VALU_DEP_3)
	v_alignbit_b32 v16, v16, v14, v18
	v_alignbit_b32 v12, v14, v12, v18
	v_lshrrev_b32_e32 v14, 29, v5
	v_lshrrev_b32_e32 v5, 30, v5
	v_alignbit_b32 v17, v16, v12, 9
	s_delay_alu instid0(VALU_DEP_3) | instskip(SKIP_1) | instid1(VALU_DEP_3)
	v_lshlrev_b32_e32 v14, 31, v14
	v_alignbit_b32 v16, v13, v16, 9
	v_clz_i32_u32_e32 v18, v17
	s_delay_alu instid0(VALU_DEP_2) | instskip(SKIP_1) | instid1(VALU_DEP_3)
	v_or_b32_e32 v16, v16, v14
	v_or_b32_e32 v14, 0x33800000, v14
	v_min_u32_e32 v18, 32, v18
	s_delay_alu instid0(VALU_DEP_3) | instskip(NEXT) | instid1(VALU_DEP_2)
	v_xor_b32_e32 v16, 1.0, v16
	v_sub_nc_u32_e32 v19, 31, v18
	v_add_lshl_u32 v13, v18, v13, 23
	s_delay_alu instid0(VALU_DEP_3) | instskip(NEXT) | instid1(VALU_DEP_3)
	v_mul_f32_e32 v18, 0x3fc90fda, v16
	v_alignbit_b32 v12, v17, v12, v19
	s_delay_alu instid0(VALU_DEP_3) | instskip(NEXT) | instid1(VALU_DEP_3)
	v_sub_nc_u32_e32 v13, v14, v13
	v_fma_f32 v14, 0x3fc90fda, v16, -v18
	s_delay_alu instid0(VALU_DEP_3) | instskip(NEXT) | instid1(VALU_DEP_2)
	v_lshrrev_b32_e32 v12, 9, v12
	v_fmac_f32_e32 v14, 0x33a22168, v16
	s_delay_alu instid0(VALU_DEP_2) | instskip(NEXT) | instid1(VALU_DEP_1)
	v_or_b32_e32 v12, v13, v12
	v_dual_fmac_f32 v14, 0x3fc90fda, v12 :: v_dual_add_nc_u32 v13, v15, v5
	s_delay_alu instid0(VALU_DEP_1)
	v_add_f32_e32 v12, v18, v14
.LBB215_10:                             ;   in Loop: Header=BB215_4 Depth=1
	s_and_not1_saveexec_b32 s2, s24
; %bb.11:                               ;   in Loop: Header=BB215_4 Depth=1
	v_mul_f32_e64 v5, 0x3f22f983, |v2|
	s_delay_alu instid0(VALU_DEP_1) | instskip(NEXT) | instid1(VALU_DEP_1)
	v_rndne_f32_e32 v5, v5
	v_fma_f32 v12, 0xbfc90fda, v5, |v2|
	v_cvt_i32_f32_e32 v13, v5
	s_delay_alu instid0(VALU_DEP_2) | instskip(NEXT) | instid1(VALU_DEP_1)
	v_fmac_f32_e32 v12, 0xb3a22168, v5
	v_fmac_f32_e32 v12, 0xa7c234c4, v5
; %bb.12:                               ;   in Loop: Header=BB215_4 Depth=1
	s_or_b32 exec_lo, exec_lo, s2
                                        ; implicit-def: $vgpr15
                                        ; implicit-def: $vgpr14
	s_delay_alu instid0(SALU_CYCLE_1)
	s_mov_b32 s3, exec_lo
	v_cmpx_ngt_f32_e64 0x48000000, |v3|
	s_xor_b32 s24, exec_lo, s3
	s_cbranch_execz .LBB215_14
; %bb.13:                               ;   in Loop: Header=BB215_4 Depth=1
	v_and_b32_e32 v19, 0x7fffffff, v3
	s_delay_alu instid0(VALU_DEP_1) | instskip(SKIP_1) | instid1(VALU_DEP_2)
	v_and_or_b32 v22, v19, s21, 0x800000
	v_lshrrev_b32_e32 v19, 23, v19
	v_mad_u64_u32 v[14:15], null, 0xfe5163ab, v22, 0
	s_delay_alu instid0(VALU_DEP_2) | instskip(NEXT) | instid1(VALU_DEP_1)
	v_add_nc_u32_e32 v20, 0xffffff88, v19
	v_cmp_lt_u32_e32 vcc_lo, 63, v20
	s_delay_alu instid0(VALU_DEP_3) | instskip(SKIP_1) | instid1(VALU_DEP_2)
	v_mov_b32_e32 v5, v15
	v_cndmask_b32_e64 v21, 0, 0xffffffc0, vcc_lo
	v_mad_u64_u32 v[15:16], null, 0x3c439041, v22, v[5:6]
	s_delay_alu instid0(VALU_DEP_2) | instskip(NEXT) | instid1(VALU_DEP_2)
	v_add_nc_u32_e32 v21, v21, v20
	v_mov_b32_e32 v5, v16
	s_delay_alu instid0(VALU_DEP_2) | instskip(NEXT) | instid1(VALU_DEP_2)
	v_cmp_lt_u32_e64 s2, 31, v21
	v_mad_u64_u32 v[16:17], null, 0xdb629599, v22, v[5:6]
	s_delay_alu instid0(VALU_DEP_2) | instskip(NEXT) | instid1(VALU_DEP_1)
	v_cndmask_b32_e64 v23, 0, 0xffffffe0, s2
	v_add_nc_u32_e32 v23, v23, v21
	s_delay_alu instid0(VALU_DEP_3) | instskip(NEXT) | instid1(VALU_DEP_2)
	v_dual_mov_b32 v5, v17 :: v_dual_cndmask_b32 v14, v16, v14
	v_cmp_lt_u32_e64 s3, 31, v23
	s_delay_alu instid0(VALU_DEP_2) | instskip(NEXT) | instid1(VALU_DEP_1)
	v_mad_u64_u32 v[17:18], null, 0xf534ddc0, v22, v[5:6]
	v_mov_b32_e32 v5, v18
	s_delay_alu instid0(VALU_DEP_2) | instskip(NEXT) | instid1(VALU_DEP_2)
	v_cndmask_b32_e32 v15, v17, v15, vcc_lo
	v_mad_u64_u32 v[18:19], null, 0xfc2757d1, v22, v[5:6]
	s_delay_alu instid0(VALU_DEP_2) | instskip(NEXT) | instid1(VALU_DEP_2)
	v_cndmask_b32_e64 v14, v15, v14, s2
	v_mov_b32_e32 v5, v19
	s_delay_alu instid0(VALU_DEP_1) | instskip(NEXT) | instid1(VALU_DEP_1)
	v_mad_u64_u32 v[19:20], null, 0x4e441529, v22, v[5:6]
	v_mov_b32_e32 v5, v20
	s_delay_alu instid0(VALU_DEP_1) | instskip(SKIP_1) | instid1(VALU_DEP_1)
	v_mad_u64_u32 v[20:21], null, 0xa2f9836e, v22, v[5:6]
	v_cndmask_b32_e64 v5, 0, 0xffffffe0, s3
	v_dual_cndmask_b32 v22, v19, v17 :: v_dual_add_nc_u32 v5, v5, v23
	s_delay_alu instid0(VALU_DEP_3) | instskip(SKIP_1) | instid1(VALU_DEP_3)
	v_dual_cndmask_b32 v20, v20, v18 :: v_dual_cndmask_b32 v19, v21, v19
	v_cndmask_b32_e32 v18, v18, v16, vcc_lo
	v_sub_nc_u32_e32 v21, 32, v5
	s_delay_alu instid0(VALU_DEP_3) | instskip(NEXT) | instid1(VALU_DEP_4)
	v_cndmask_b32_e64 v17, v20, v22, s2
	v_cndmask_b32_e64 v19, v19, v20, s2
	s_delay_alu instid0(VALU_DEP_4) | instskip(SKIP_2) | instid1(VALU_DEP_4)
	v_cndmask_b32_e64 v20, v22, v18, s2
	v_cndmask_b32_e64 v18, v18, v15, s2
	v_cmp_eq_u32_e64 s4, 0, v5
	v_cndmask_b32_e64 v19, v19, v17, s3
	s_delay_alu instid0(VALU_DEP_4) | instskip(NEXT) | instid1(VALU_DEP_4)
	v_cndmask_b32_e64 v17, v17, v20, s3
	v_cndmask_b32_e64 v20, v20, v18, s3
	;; [unrolled: 1-line block ×3, first 2 shown]
	s_delay_alu instid0(VALU_DEP_3) | instskip(NEXT) | instid1(VALU_DEP_3)
	v_alignbit_b32 v22, v19, v17, v21
	v_alignbit_b32 v23, v17, v20, v21
	s_delay_alu instid0(VALU_DEP_3) | instskip(NEXT) | instid1(VALU_DEP_3)
	v_alignbit_b32 v21, v20, v14, v21
	v_cndmask_b32_e64 v5, v22, v19, s4
	s_delay_alu instid0(VALU_DEP_3) | instskip(NEXT) | instid1(VALU_DEP_3)
	v_cndmask_b32_e64 v16, v23, v17, s4
	v_cndmask_b32_e64 v20, v21, v20, s4
	s_delay_alu instid0(VALU_DEP_3) | instskip(NEXT) | instid1(VALU_DEP_3)
	v_bfe_u32 v17, v5, 29, 1
	v_alignbit_b32 v15, v5, v16, 30
	s_delay_alu instid0(VALU_DEP_3) | instskip(SKIP_1) | instid1(VALU_DEP_4)
	v_alignbit_b32 v16, v16, v20, 30
	v_alignbit_b32 v14, v20, v14, 30
	v_sub_nc_u32_e32 v19, 0, v17
	s_delay_alu instid0(VALU_DEP_1) | instskip(SKIP_3) | instid1(VALU_DEP_4)
	v_xor_b32_e32 v18, v15, v19
	v_cmp_ne_u32_e32 vcc_lo, v15, v19
	v_xor_b32_e32 v16, v16, v19
	v_xor_b32_e32 v14, v14, v19
	v_clz_i32_u32_e32 v22, v18
	s_delay_alu instid0(VALU_DEP_1) | instskip(NEXT) | instid1(VALU_DEP_1)
	v_add_nc_u32_e32 v21, 1, v22
	v_cndmask_b32_e32 v15, 33, v21, vcc_lo
	s_delay_alu instid0(VALU_DEP_1) | instskip(NEXT) | instid1(VALU_DEP_1)
	v_sub_nc_u32_e32 v20, 32, v15
	v_alignbit_b32 v18, v18, v16, v20
	v_alignbit_b32 v14, v16, v14, v20
	v_lshrrev_b32_e32 v16, 29, v5
	v_lshrrev_b32_e32 v5, 30, v5
	s_delay_alu instid0(VALU_DEP_3) | instskip(NEXT) | instid1(VALU_DEP_3)
	v_alignbit_b32 v19, v18, v14, 9
	v_lshlrev_b32_e32 v16, 31, v16
	v_alignbit_b32 v18, v15, v18, 9
	s_delay_alu instid0(VALU_DEP_3) | instskip(NEXT) | instid1(VALU_DEP_2)
	v_clz_i32_u32_e32 v20, v19
	v_or_b32_e32 v18, v18, v16
	v_or_b32_e32 v16, 0x33800000, v16
	s_delay_alu instid0(VALU_DEP_3) | instskip(NEXT) | instid1(VALU_DEP_3)
	v_min_u32_e32 v20, 32, v20
	v_xor_b32_e32 v18, 1.0, v18
	s_delay_alu instid0(VALU_DEP_2) | instskip(SKIP_1) | instid1(VALU_DEP_3)
	v_sub_nc_u32_e32 v21, 31, v20
	v_add_lshl_u32 v15, v20, v15, 23
	v_mul_f32_e32 v20, 0x3fc90fda, v18
	s_delay_alu instid0(VALU_DEP_3) | instskip(NEXT) | instid1(VALU_DEP_3)
	v_alignbit_b32 v14, v19, v14, v21
	v_sub_nc_u32_e32 v15, v16, v15
	s_delay_alu instid0(VALU_DEP_3) | instskip(NEXT) | instid1(VALU_DEP_3)
	v_fma_f32 v16, 0x3fc90fda, v18, -v20
	v_lshrrev_b32_e32 v14, 9, v14
	s_delay_alu instid0(VALU_DEP_2) | instskip(NEXT) | instid1(VALU_DEP_2)
	v_fmac_f32_e32 v16, 0x33a22168, v18
	v_or_b32_e32 v14, v15, v14
	s_delay_alu instid0(VALU_DEP_1) | instskip(NEXT) | instid1(VALU_DEP_1)
	v_dual_fmac_f32 v16, 0x3fc90fda, v14 :: v_dual_add_nc_u32 v15, v17, v5
	v_add_f32_e32 v14, v20, v16
.LBB215_14:                             ;   in Loop: Header=BB215_4 Depth=1
	s_and_not1_saveexec_b32 s2, s24
; %bb.15:                               ;   in Loop: Header=BB215_4 Depth=1
	v_mul_f32_e64 v5, 0x3f22f983, |v3|
	s_delay_alu instid0(VALU_DEP_1) | instskip(NEXT) | instid1(VALU_DEP_1)
	v_rndne_f32_e32 v5, v5
	v_fma_f32 v14, 0xbfc90fda, v5, |v3|
	v_cvt_i32_f32_e32 v15, v5
	s_delay_alu instid0(VALU_DEP_2) | instskip(NEXT) | instid1(VALU_DEP_1)
	v_fmac_f32_e32 v14, 0xb3a22168, v5
	v_fmac_f32_e32 v14, 0xa7c234c4, v5
; %bb.16:                               ;   in Loop: Header=BB215_4 Depth=1
	s_or_b32 exec_lo, exec_lo, s2
                                        ; implicit-def: $vgpr16
                                        ; implicit-def: $vgpr5
	s_delay_alu instid0(SALU_CYCLE_1)
	s_mov_b32 s3, exec_lo
	v_cmpx_ngt_f32_e64 0x48000000, |v4|
	s_xor_b32 s24, exec_lo, s3
	s_cbranch_execz .LBB215_18
; %bb.17:                               ;   in Loop: Header=BB215_4 Depth=1
	v_and_b32_e32 v21, 0x7fffffff, v4
	s_delay_alu instid0(VALU_DEP_1) | instskip(SKIP_1) | instid1(VALU_DEP_2)
	v_and_or_b32 v24, v21, s21, 0x800000
	v_lshrrev_b32_e32 v21, 23, v21
	v_mad_u64_u32 v[16:17], null, 0xfe5163ab, v24, 0
	s_delay_alu instid0(VALU_DEP_2) | instskip(NEXT) | instid1(VALU_DEP_1)
	v_add_nc_u32_e32 v22, 0xffffff88, v21
	v_cmp_lt_u32_e32 vcc_lo, 63, v22
	s_delay_alu instid0(VALU_DEP_3) | instskip(SKIP_1) | instid1(VALU_DEP_2)
	v_mov_b32_e32 v5, v17
	v_cndmask_b32_e64 v23, 0, 0xffffffc0, vcc_lo
	v_mad_u64_u32 v[17:18], null, 0x3c439041, v24, v[5:6]
	s_delay_alu instid0(VALU_DEP_2) | instskip(NEXT) | instid1(VALU_DEP_2)
	v_add_nc_u32_e32 v23, v23, v22
	v_mov_b32_e32 v5, v18
	s_delay_alu instid0(VALU_DEP_2) | instskip(NEXT) | instid1(VALU_DEP_2)
	v_cmp_lt_u32_e64 s2, 31, v23
	v_mad_u64_u32 v[18:19], null, 0xdb629599, v24, v[5:6]
	s_delay_alu instid0(VALU_DEP_2) | instskip(NEXT) | instid1(VALU_DEP_1)
	v_cndmask_b32_e64 v25, 0, 0xffffffe0, s2
	v_add_nc_u32_e32 v25, v25, v23
	s_delay_alu instid0(VALU_DEP_3) | instskip(NEXT) | instid1(VALU_DEP_2)
	v_dual_mov_b32 v5, v19 :: v_dual_cndmask_b32 v16, v18, v16
	v_cmp_lt_u32_e64 s3, 31, v25
	s_delay_alu instid0(VALU_DEP_2) | instskip(NEXT) | instid1(VALU_DEP_1)
	v_mad_u64_u32 v[19:20], null, 0xf534ddc0, v24, v[5:6]
	v_mov_b32_e32 v5, v20
	s_delay_alu instid0(VALU_DEP_2) | instskip(NEXT) | instid1(VALU_DEP_2)
	v_cndmask_b32_e32 v17, v19, v17, vcc_lo
	v_mad_u64_u32 v[20:21], null, 0xfc2757d1, v24, v[5:6]
	s_delay_alu instid0(VALU_DEP_2) | instskip(NEXT) | instid1(VALU_DEP_2)
	v_cndmask_b32_e64 v16, v17, v16, s2
	v_mov_b32_e32 v5, v21
	s_delay_alu instid0(VALU_DEP_1) | instskip(NEXT) | instid1(VALU_DEP_1)
	v_mad_u64_u32 v[21:22], null, 0x4e441529, v24, v[5:6]
	v_mov_b32_e32 v5, v22
	s_delay_alu instid0(VALU_DEP_1) | instskip(SKIP_1) | instid1(VALU_DEP_4)
	v_mad_u64_u32 v[22:23], null, 0xa2f9836e, v24, v[5:6]
	v_cndmask_b32_e64 v5, 0, 0xffffffe0, s3
	v_cndmask_b32_e32 v24, v21, v19, vcc_lo
	s_delay_alu instid0(VALU_DEP_2) | instskip(NEXT) | instid1(VALU_DEP_4)
	v_dual_cndmask_b32 v22, v22, v20 :: v_dual_add_nc_u32 v5, v5, v25
	v_dual_cndmask_b32 v21, v23, v21 :: v_dual_cndmask_b32 v20, v20, v18
	s_delay_alu instid0(VALU_DEP_2) | instskip(NEXT) | instid1(VALU_DEP_3)
	v_sub_nc_u32_e32 v23, 32, v5
	v_cndmask_b32_e64 v19, v22, v24, s2
	s_delay_alu instid0(VALU_DEP_3) | instskip(NEXT) | instid1(VALU_DEP_4)
	v_cndmask_b32_e64 v21, v21, v22, s2
	v_cndmask_b32_e64 v22, v24, v20, s2
	;; [unrolled: 1-line block ×3, first 2 shown]
	v_cmp_eq_u32_e64 s4, 0, v5
	s_delay_alu instid0(VALU_DEP_4) | instskip(NEXT) | instid1(VALU_DEP_4)
	v_cndmask_b32_e64 v21, v21, v19, s3
	v_cndmask_b32_e64 v19, v19, v22, s3
	s_delay_alu instid0(VALU_DEP_4) | instskip(SKIP_1) | instid1(VALU_DEP_3)
	v_cndmask_b32_e64 v22, v22, v20, s3
	v_cndmask_b32_e64 v16, v20, v16, s3
	v_alignbit_b32 v24, v21, v19, v23
	s_delay_alu instid0(VALU_DEP_3) | instskip(NEXT) | instid1(VALU_DEP_3)
	v_alignbit_b32 v25, v19, v22, v23
	v_alignbit_b32 v23, v22, v16, v23
	s_delay_alu instid0(VALU_DEP_3) | instskip(NEXT) | instid1(VALU_DEP_3)
	v_cndmask_b32_e64 v5, v24, v21, s4
	v_cndmask_b32_e64 v18, v25, v19, s4
	s_delay_alu instid0(VALU_DEP_3) | instskip(NEXT) | instid1(VALU_DEP_3)
	v_cndmask_b32_e64 v22, v23, v22, s4
	v_bfe_u32 v19, v5, 29, 1
	s_delay_alu instid0(VALU_DEP_3) | instskip(NEXT) | instid1(VALU_DEP_3)
	v_alignbit_b32 v17, v5, v18, 30
	v_alignbit_b32 v18, v18, v22, 30
	;; [unrolled: 1-line block ×3, first 2 shown]
	s_delay_alu instid0(VALU_DEP_4) | instskip(NEXT) | instid1(VALU_DEP_1)
	v_sub_nc_u32_e32 v21, 0, v19
	v_xor_b32_e32 v20, v17, v21
	v_cmp_ne_u32_e32 vcc_lo, v17, v21
	v_xor_b32_e32 v18, v18, v21
	v_xor_b32_e32 v16, v16, v21
	s_delay_alu instid0(VALU_DEP_4) | instskip(NEXT) | instid1(VALU_DEP_1)
	v_clz_i32_u32_e32 v24, v20
	v_add_nc_u32_e32 v23, 1, v24
	s_delay_alu instid0(VALU_DEP_1) | instskip(NEXT) | instid1(VALU_DEP_1)
	v_cndmask_b32_e32 v17, 33, v23, vcc_lo
	v_sub_nc_u32_e32 v22, 32, v17
	s_delay_alu instid0(VALU_DEP_1) | instskip(SKIP_2) | instid1(VALU_DEP_2)
	v_alignbit_b32 v20, v20, v18, v22
	v_alignbit_b32 v16, v18, v16, v22
	v_lshrrev_b32_e32 v18, 29, v5
	v_alignbit_b32 v21, v20, v16, 9
	s_delay_alu instid0(VALU_DEP_2) | instskip(SKIP_1) | instid1(VALU_DEP_3)
	v_lshlrev_b32_e32 v18, 31, v18
	v_alignbit_b32 v20, v17, v20, 9
	v_clz_i32_u32_e32 v22, v21
	s_delay_alu instid0(VALU_DEP_2) | instskip(SKIP_1) | instid1(VALU_DEP_3)
	v_or_b32_e32 v20, v20, v18
	v_or_b32_e32 v18, 0x33800000, v18
	v_min_u32_e32 v22, 32, v22
	s_delay_alu instid0(VALU_DEP_3) | instskip(NEXT) | instid1(VALU_DEP_2)
	v_xor_b32_e32 v20, 1.0, v20
	v_sub_nc_u32_e32 v23, 31, v22
	v_add_lshl_u32 v17, v22, v17, 23
	s_delay_alu instid0(VALU_DEP_3) | instskip(NEXT) | instid1(VALU_DEP_3)
	v_mul_f32_e32 v22, 0x3fc90fda, v20
	v_alignbit_b32 v16, v21, v16, v23
	s_delay_alu instid0(VALU_DEP_3) | instskip(NEXT) | instid1(VALU_DEP_3)
	v_sub_nc_u32_e32 v17, v18, v17
	v_fma_f32 v18, 0x3fc90fda, v20, -v22
	s_delay_alu instid0(VALU_DEP_3) | instskip(NEXT) | instid1(VALU_DEP_2)
	v_lshrrev_b32_e32 v16, 9, v16
	v_fmac_f32_e32 v18, 0x33a22168, v20
	s_delay_alu instid0(VALU_DEP_2) | instskip(NEXT) | instid1(VALU_DEP_1)
	v_or_b32_e32 v16, v17, v16
	v_fmac_f32_e32 v18, 0x3fc90fda, v16
	v_lshrrev_b32_e32 v16, 30, v5
	s_delay_alu instid0(VALU_DEP_1)
	v_dual_add_f32 v5, v22, v18 :: v_dual_add_nc_u32 v16, v19, v16
.LBB215_18:                             ;   in Loop: Header=BB215_4 Depth=1
	s_and_not1_saveexec_b32 s2, s24
	s_cbranch_execz .LBB215_3
; %bb.19:                               ;   in Loop: Header=BB215_4 Depth=1
	v_mul_f32_e64 v5, 0x3f22f983, |v4|
	s_delay_alu instid0(VALU_DEP_1) | instskip(NEXT) | instid1(VALU_DEP_1)
	v_rndne_f32_e32 v16, v5
	v_fma_f32 v5, 0xbfc90fda, v16, |v4|
	s_delay_alu instid0(VALU_DEP_1) | instskip(NEXT) | instid1(VALU_DEP_1)
	v_fmac_f32_e32 v5, 0xb3a22168, v16
	v_fmac_f32_e32 v5, 0xa7c234c4, v16
	v_cvt_i32_f32_e32 v16, v16
	s_branch .LBB215_3
.LBB215_20:
	s_or_b32 exec_lo, exec_lo, s17
	s_mov_b32 s2, 0
.LBB215_21:
	s_delay_alu instid0(SALU_CYCLE_1)
	s_and_not1_b32 vcc_lo, exec_lo, s2
	s_cbranch_vccnz .LBB215_57
; %bb.22:
	v_cmp_lt_i64_e64 s2, s[10:11], 1
	s_delay_alu instid0(VALU_DEP_1)
	s_and_b32 vcc_lo, exec_lo, s2
	s_cbranch_vccnz .LBB215_57
; %bb.23:
	s_load_b32 s0, s[0:1], 0xc5c
	v_dual_mov_b32 v2, 0 :: v_dual_lshlrev_b32 v1, 2, v0
	v_cmp_gt_u64_e64 s1, 0x10000, s[10:11]
	s_mov_b32 s18, 0xb94c1982
	s_mov_b32 s19, 0x37d75334
	s_delay_alu instid0(VALU_DEP_2) | instskip(NEXT) | instid1(VALU_DEP_1)
	v_add_co_u32 v3, s2, s6, v1
	v_add_co_ci_u32_e64 v4, null, s7, 0, s2
	v_add_co_u32 v5, s2, s14, v1
	s_delay_alu instid0(VALU_DEP_1)
	v_add_co_ci_u32_e64 v6, null, s15, 0, s2
	s_waitcnt lgkmcnt(0)
	s_and_b32 s0, s0, 0xffff
	s_and_b32 s1, s1, exec_lo
	v_mad_u64_u32 v[9:10], null, s0, 12, v[1:2]
	s_cselect_b32 s13, s11, 0
	s_cselect_b32 s12, s10, 0x10000
	s_lshl_b32 s3, s0, 3
	s_lshl_b32 s1, s0, 1
	v_add_co_u32 v1, s3, s3, v1
	s_delay_alu instid0(VALU_DEP_2) | instskip(NEXT) | instid1(VALU_DEP_3)
	v_add_co_u32 v7, vcc_lo, s6, v9
	v_add_co_ci_u32_e32 v8, vcc_lo, s7, v10, vcc_lo
	v_add_co_u32 v9, vcc_lo, s14, v9
	v_add_co_ci_u32_e64 v17, null, 0, 0, s3
	s_mul_i32 s2, s0, 3
	s_lshl_b32 s16, s0, 2
	s_lshl_b32 s17, s0, 4
	v_add_co_u32 v15, s0, v0, s0
	v_add_co_ci_u32_e32 v10, vcc_lo, s15, v10, vcc_lo
	v_add_co_u32 v13, vcc_lo, s6, v1
	v_add_co_ci_u32_e32 v14, vcc_lo, s7, v17, vcc_lo
	v_add_co_u32 v16, vcc_lo, s14, v1
	v_lshlrev_b32_e32 v1, 2, v15
	v_add_co_ci_u32_e64 v18, null, 0, 0, s0
	v_add_co_u32 v19, s0, s1, v0
	s_delay_alu instid0(VALU_DEP_1) | instskip(NEXT) | instid1(VALU_DEP_4)
	v_add_co_ci_u32_e64 v20, null, 0, 0, s0
	v_add_co_u32 v21, s0, s6, v1
	v_add_co_u32 v11, s2, s2, v0
	v_add_co_ci_u32_e64 v22, null, s7, 0, s0
	v_add_co_u32 v23, s0, s14, v1
	v_add_co_ci_u32_e64 v12, null, 0, 0, s2
	v_add_co_ci_u32_e32 v17, vcc_lo, s15, v17, vcc_lo
	v_add_co_ci_u32_e64 v24, null, s15, 0, s0
	s_mov_b64 s[14:15], 0
	s_mov_b32 s7, 0x7fffff
	s_branch .LBB215_25
.LBB215_24:                             ;   in Loop: Header=BB215_25 Depth=1
	s_or_b32 exec_lo, exec_lo, s0
	v_add_co_u32 v3, vcc_lo, v3, s17
	v_add_co_ci_u32_e32 v4, vcc_lo, 0, v4, vcc_lo
	v_add_co_u32 v5, vcc_lo, v5, s17
	v_add_co_ci_u32_e32 v6, vcc_lo, 0, v6, vcc_lo
	;; [unrolled: 2-line block ×5, first 2 shown]
	s_add_u32 s14, s14, s16
	v_add_co_u32 v16, vcc_lo, v16, s17
	s_addc_u32 s15, s15, 0
	v_add_co_ci_u32_e32 v17, vcc_lo, 0, v17, vcc_lo
	v_cmp_ge_i64_e64 s0, s[14:15], s[10:11]
	v_cmp_lt_u64_e64 s1, 0xffff, s[14:15]
	v_add_co_u32 v21, vcc_lo, v21, s17
	v_add_co_ci_u32_e32 v22, vcc_lo, 0, v22, vcc_lo
	v_add_co_u32 v23, vcc_lo, v23, s17
	v_add_co_ci_u32_e32 v24, vcc_lo, 0, v24, vcc_lo
	s_or_b32 s0, s0, s1
	s_delay_alu instid0(SALU_CYCLE_1)
	s_and_b32 vcc_lo, exec_lo, s0
	s_cbranch_vccnz .LBB215_57
.LBB215_25:                             ; =>This Inner Loop Header: Depth=1
	v_add_co_u32 v25, s0, v0, s14
	s_delay_alu instid0(VALU_DEP_1) | instskip(SKIP_1) | instid1(VALU_DEP_2)
	v_add_co_ci_u32_e64 v26, null, 0, s15, s0
	v_mov_b32_e32 v28, 0
	v_cmp_gt_u64_e64 s2, s[12:13], v[25:26]
	s_delay_alu instid0(VALU_DEP_1)
	s_and_saveexec_b32 s0, s2
	s_cbranch_execz .LBB215_27
; %bb.26:                               ;   in Loop: Header=BB215_25 Depth=1
	v_add_co_u32 v25, vcc_lo, v3, s8
	v_add_co_ci_u32_e32 v26, vcc_lo, s9, v4, vcc_lo
	global_load_b32 v28, v[25:26], off
.LBB215_27:                             ;   in Loop: Header=BB215_25 Depth=1
	s_or_b32 exec_lo, exec_lo, s0
	v_add_co_u32 v25, vcc_lo, v15, s14
	v_add_co_ci_u32_e32 v26, vcc_lo, s15, v18, vcc_lo
	v_mov_b32_e32 v27, 0
	s_delay_alu instid0(VALU_DEP_2) | instskip(NEXT) | instid1(VALU_DEP_1)
	v_cmp_gt_u64_e64 s1, s[12:13], v[25:26]
	s_and_saveexec_b32 s0, s1
	s_cbranch_execz .LBB215_29
; %bb.28:                               ;   in Loop: Header=BB215_25 Depth=1
	v_add_co_u32 v25, vcc_lo, v21, s8
	v_add_co_ci_u32_e32 v26, vcc_lo, s9, v22, vcc_lo
	global_load_b32 v27, v[25:26], off
.LBB215_29:                             ;   in Loop: Header=BB215_25 Depth=1
	s_or_b32 exec_lo, exec_lo, s0
	v_add_co_u32 v25, vcc_lo, v19, s14
	v_add_co_ci_u32_e32 v26, vcc_lo, s15, v20, vcc_lo
	s_delay_alu instid0(VALU_DEP_1) | instskip(SKIP_1) | instid1(VALU_DEP_2)
	v_cmp_gt_u64_e64 s0, s[12:13], v[25:26]
	v_dual_mov_b32 v25, 0 :: v_dual_mov_b32 v26, 0
	s_and_saveexec_b32 s3, s0
	s_cbranch_execz .LBB215_31
; %bb.30:                               ;   in Loop: Header=BB215_25 Depth=1
	v_add_co_u32 v29, vcc_lo, v13, s8
	v_add_co_ci_u32_e32 v30, vcc_lo, s9, v14, vcc_lo
	global_load_b32 v26, v[29:30], off
.LBB215_31:                             ;   in Loop: Header=BB215_25 Depth=1
	s_or_b32 exec_lo, exec_lo, s3
	v_add_co_u32 v29, vcc_lo, v11, s14
	v_add_co_ci_u32_e32 v30, vcc_lo, s15, v12, vcc_lo
	s_delay_alu instid0(VALU_DEP_1)
	v_cmp_gt_u64_e32 vcc_lo, s[12:13], v[29:30]
	s_and_saveexec_b32 s4, vcc_lo
	s_cbranch_execz .LBB215_33
; %bb.32:                               ;   in Loop: Header=BB215_25 Depth=1
	v_add_co_u32 v29, s3, v7, s8
	s_delay_alu instid0(VALU_DEP_1)
	v_add_co_ci_u32_e64 v30, s3, s9, v8, s3
	global_load_b32 v25, v[29:30], off
.LBB215_33:                             ;   in Loop: Header=BB215_25 Depth=1
	s_or_b32 exec_lo, exec_lo, s4
                                        ; implicit-def: $vgpr30
                                        ; implicit-def: $vgpr29
	s_delay_alu instid0(SALU_CYCLE_1)
	s_mov_b32 s4, exec_lo
	s_waitcnt vmcnt(0)
	v_cmpx_ngt_f32_e64 0x48000000, |v28|
	s_xor_b32 s20, exec_lo, s4
	s_cbranch_execz .LBB215_35
; %bb.34:                               ;   in Loop: Header=BB215_25 Depth=1
	v_and_b32_e32 v34, 0x7fffffff, v28
	s_delay_alu instid0(VALU_DEP_1) | instskip(NEXT) | instid1(VALU_DEP_1)
	v_and_or_b32 v37, v34, s7, 0x800000
	v_mad_u64_u32 v[29:30], null, 0xfe5163ab, v37, 0
	s_delay_alu instid0(VALU_DEP_1) | instskip(SKIP_1) | instid1(VALU_DEP_2)
	v_mov_b32_e32 v1, v30
	v_lshrrev_b32_e32 v34, 23, v34
	v_mad_u64_u32 v[30:31], null, 0x3c439041, v37, v[1:2]
	s_delay_alu instid0(VALU_DEP_2) | instskip(NEXT) | instid1(VALU_DEP_1)
	v_add_nc_u32_e32 v35, 0xffffff88, v34
	v_cmp_lt_u32_e64 s3, 63, v35
	s_delay_alu instid0(VALU_DEP_1) | instskip(NEXT) | instid1(VALU_DEP_1)
	v_cndmask_b32_e64 v36, 0, 0xffffffc0, s3
	v_dual_mov_b32 v1, v31 :: v_dual_add_nc_u32 v36, v36, v35
	s_delay_alu instid0(VALU_DEP_1) | instskip(NEXT) | instid1(VALU_DEP_2)
	v_mad_u64_u32 v[31:32], null, 0xdb629599, v37, v[1:2]
	v_cmp_lt_u32_e64 s4, 31, v36
	s_delay_alu instid0(VALU_DEP_2) | instskip(NEXT) | instid1(VALU_DEP_2)
	v_cndmask_b32_e64 v29, v31, v29, s3
	v_cndmask_b32_e64 v38, 0, 0xffffffe0, s4
	s_delay_alu instid0(VALU_DEP_1) | instskip(NEXT) | instid1(VALU_DEP_1)
	v_dual_mov_b32 v1, v32 :: v_dual_add_nc_u32 v38, v38, v36
	v_mad_u64_u32 v[32:33], null, 0xf534ddc0, v37, v[1:2]
	s_delay_alu instid0(VALU_DEP_2) | instskip(NEXT) | instid1(VALU_DEP_2)
	v_cmp_lt_u32_e64 s5, 31, v38
	v_mov_b32_e32 v1, v33
	s_delay_alu instid0(VALU_DEP_3) | instskip(NEXT) | instid1(VALU_DEP_2)
	v_cndmask_b32_e64 v30, v32, v30, s3
	v_mad_u64_u32 v[33:34], null, 0xfc2757d1, v37, v[1:2]
	s_delay_alu instid0(VALU_DEP_2) | instskip(NEXT) | instid1(VALU_DEP_2)
	v_cndmask_b32_e64 v29, v30, v29, s4
	v_mov_b32_e32 v1, v34
	s_delay_alu instid0(VALU_DEP_1) | instskip(NEXT) | instid1(VALU_DEP_1)
	v_mad_u64_u32 v[34:35], null, 0x4e441529, v37, v[1:2]
	v_mov_b32_e32 v1, v35
	s_delay_alu instid0(VALU_DEP_1) | instskip(SKIP_1) | instid1(VALU_DEP_4)
	v_mad_u64_u32 v[35:36], null, 0xa2f9836e, v37, v[1:2]
	v_cndmask_b32_e64 v1, 0, 0xffffffe0, s5
	v_cndmask_b32_e64 v37, v34, v32, s3
	s_delay_alu instid0(VALU_DEP_2) | instskip(NEXT) | instid1(VALU_DEP_4)
	v_add_nc_u32_e32 v1, v1, v38
	v_cndmask_b32_e64 v35, v35, v33, s3
	v_cndmask_b32_e64 v34, v36, v34, s3
	;; [unrolled: 1-line block ×3, first 2 shown]
	s_delay_alu instid0(VALU_DEP_4) | instskip(NEXT) | instid1(VALU_DEP_4)
	v_sub_nc_u32_e32 v36, 32, v1
	v_cndmask_b32_e64 v32, v35, v37, s4
	s_delay_alu instid0(VALU_DEP_4) | instskip(NEXT) | instid1(VALU_DEP_4)
	v_cndmask_b32_e64 v34, v34, v35, s4
	v_cndmask_b32_e64 v35, v37, v33, s4
	;; [unrolled: 1-line block ×3, first 2 shown]
	v_cmp_eq_u32_e64 s6, 0, v1
	s_delay_alu instid0(VALU_DEP_4) | instskip(NEXT) | instid1(VALU_DEP_4)
	v_cndmask_b32_e64 v34, v34, v32, s5
	v_cndmask_b32_e64 v32, v32, v35, s5
	s_delay_alu instid0(VALU_DEP_4) | instskip(SKIP_1) | instid1(VALU_DEP_3)
	v_cndmask_b32_e64 v35, v35, v33, s5
	v_cndmask_b32_e64 v29, v33, v29, s5
	v_alignbit_b32 v37, v34, v32, v36
	s_delay_alu instid0(VALU_DEP_3) | instskip(NEXT) | instid1(VALU_DEP_3)
	v_alignbit_b32 v38, v32, v35, v36
	v_alignbit_b32 v36, v35, v29, v36
	s_delay_alu instid0(VALU_DEP_3) | instskip(NEXT) | instid1(VALU_DEP_3)
	v_cndmask_b32_e64 v1, v37, v34, s6
	v_cndmask_b32_e64 v31, v38, v32, s6
	s_delay_alu instid0(VALU_DEP_3) | instskip(NEXT) | instid1(VALU_DEP_3)
	v_cndmask_b32_e64 v35, v36, v35, s6
	v_bfe_u32 v32, v1, 29, 1
	s_delay_alu instid0(VALU_DEP_3) | instskip(NEXT) | instid1(VALU_DEP_3)
	v_alignbit_b32 v30, v1, v31, 30
	v_alignbit_b32 v31, v31, v35, 30
	;; [unrolled: 1-line block ×3, first 2 shown]
	s_delay_alu instid0(VALU_DEP_4) | instskip(NEXT) | instid1(VALU_DEP_1)
	v_sub_nc_u32_e32 v34, 0, v32
	v_xor_b32_e32 v33, v30, v34
	v_cmp_ne_u32_e64 s3, v30, v34
	v_xor_b32_e32 v31, v31, v34
	v_xor_b32_e32 v29, v29, v34
	s_delay_alu instid0(VALU_DEP_4) | instskip(NEXT) | instid1(VALU_DEP_1)
	v_clz_i32_u32_e32 v37, v33
	v_add_nc_u32_e32 v36, 1, v37
	s_delay_alu instid0(VALU_DEP_1) | instskip(NEXT) | instid1(VALU_DEP_1)
	v_cndmask_b32_e64 v30, 33, v36, s3
	v_sub_nc_u32_e32 v35, 32, v30
	s_delay_alu instid0(VALU_DEP_1) | instskip(SKIP_3) | instid1(VALU_DEP_3)
	v_alignbit_b32 v33, v33, v31, v35
	v_alignbit_b32 v29, v31, v29, v35
	v_lshrrev_b32_e32 v31, 29, v1
	v_lshrrev_b32_e32 v1, 30, v1
	v_alignbit_b32 v34, v33, v29, 9
	s_delay_alu instid0(VALU_DEP_3) | instskip(SKIP_1) | instid1(VALU_DEP_3)
	v_lshlrev_b32_e32 v31, 31, v31
	v_alignbit_b32 v33, v30, v33, 9
	v_clz_i32_u32_e32 v35, v34
	s_delay_alu instid0(VALU_DEP_2) | instskip(SKIP_1) | instid1(VALU_DEP_3)
	v_or_b32_e32 v33, v33, v31
	v_or_b32_e32 v31, 0x33800000, v31
	v_min_u32_e32 v35, 32, v35
	s_delay_alu instid0(VALU_DEP_3) | instskip(NEXT) | instid1(VALU_DEP_2)
	v_xor_b32_e32 v33, 1.0, v33
	v_sub_nc_u32_e32 v36, 31, v35
	v_add_lshl_u32 v30, v35, v30, 23
	s_delay_alu instid0(VALU_DEP_3) | instskip(NEXT) | instid1(VALU_DEP_3)
	v_mul_f32_e32 v35, 0x3fc90fda, v33
	v_alignbit_b32 v29, v34, v29, v36
	s_delay_alu instid0(VALU_DEP_3) | instskip(NEXT) | instid1(VALU_DEP_3)
	v_sub_nc_u32_e32 v30, v31, v30
	v_fma_f32 v31, 0x3fc90fda, v33, -v35
	s_delay_alu instid0(VALU_DEP_3) | instskip(NEXT) | instid1(VALU_DEP_2)
	v_lshrrev_b32_e32 v29, 9, v29
	v_fmac_f32_e32 v31, 0x33a22168, v33
	s_delay_alu instid0(VALU_DEP_2) | instskip(SKIP_1) | instid1(VALU_DEP_2)
	v_or_b32_e32 v29, v30, v29
	v_add_nc_u32_e32 v30, v32, v1
	v_fmac_f32_e32 v31, 0x3fc90fda, v29
	s_delay_alu instid0(VALU_DEP_1)
	v_add_f32_e32 v29, v35, v31
.LBB215_35:                             ;   in Loop: Header=BB215_25 Depth=1
	s_and_not1_saveexec_b32 s3, s20
; %bb.36:                               ;   in Loop: Header=BB215_25 Depth=1
	v_mul_f32_e64 v1, 0x3f22f983, |v28|
	s_delay_alu instid0(VALU_DEP_1) | instskip(NEXT) | instid1(VALU_DEP_1)
	v_rndne_f32_e32 v1, v1
	v_fma_f32 v29, 0xbfc90fda, v1, |v28|
	v_cvt_i32_f32_e32 v30, v1
	s_delay_alu instid0(VALU_DEP_2) | instskip(NEXT) | instid1(VALU_DEP_1)
	v_fmac_f32_e32 v29, 0xb3a22168, v1
	v_fmac_f32_e32 v29, 0xa7c234c4, v1
; %bb.37:                               ;   in Loop: Header=BB215_25 Depth=1
	s_or_b32 exec_lo, exec_lo, s3
                                        ; implicit-def: $vgpr32
                                        ; implicit-def: $vgpr31
	s_delay_alu instid0(SALU_CYCLE_1)
	s_mov_b32 s4, exec_lo
	v_cmpx_ngt_f32_e64 0x48000000, |v27|
	s_xor_b32 s20, exec_lo, s4
	s_cbranch_execz .LBB215_39
; %bb.38:                               ;   in Loop: Header=BB215_25 Depth=1
	v_and_b32_e32 v36, 0x7fffffff, v27
	s_delay_alu instid0(VALU_DEP_1) | instskip(NEXT) | instid1(VALU_DEP_1)
	v_and_or_b32 v39, v36, s7, 0x800000
	v_mad_u64_u32 v[31:32], null, 0xfe5163ab, v39, 0
	s_delay_alu instid0(VALU_DEP_1) | instskip(SKIP_1) | instid1(VALU_DEP_2)
	v_mov_b32_e32 v1, v32
	v_lshrrev_b32_e32 v36, 23, v36
	v_mad_u64_u32 v[32:33], null, 0x3c439041, v39, v[1:2]
	s_delay_alu instid0(VALU_DEP_2) | instskip(NEXT) | instid1(VALU_DEP_1)
	v_add_nc_u32_e32 v37, 0xffffff88, v36
	v_cmp_lt_u32_e64 s3, 63, v37
	s_delay_alu instid0(VALU_DEP_1) | instskip(NEXT) | instid1(VALU_DEP_1)
	v_cndmask_b32_e64 v38, 0, 0xffffffc0, s3
	v_dual_mov_b32 v1, v33 :: v_dual_add_nc_u32 v38, v38, v37
	s_delay_alu instid0(VALU_DEP_1) | instskip(NEXT) | instid1(VALU_DEP_2)
	v_mad_u64_u32 v[33:34], null, 0xdb629599, v39, v[1:2]
	v_cmp_lt_u32_e64 s4, 31, v38
	s_delay_alu instid0(VALU_DEP_2) | instskip(NEXT) | instid1(VALU_DEP_2)
	v_cndmask_b32_e64 v31, v33, v31, s3
	v_cndmask_b32_e64 v40, 0, 0xffffffe0, s4
	s_delay_alu instid0(VALU_DEP_1) | instskip(NEXT) | instid1(VALU_DEP_1)
	v_dual_mov_b32 v1, v34 :: v_dual_add_nc_u32 v40, v40, v38
	v_mad_u64_u32 v[34:35], null, 0xf534ddc0, v39, v[1:2]
	s_delay_alu instid0(VALU_DEP_2) | instskip(NEXT) | instid1(VALU_DEP_2)
	v_cmp_lt_u32_e64 s5, 31, v40
	v_mov_b32_e32 v1, v35
	s_delay_alu instid0(VALU_DEP_3) | instskip(NEXT) | instid1(VALU_DEP_2)
	v_cndmask_b32_e64 v32, v34, v32, s3
	v_mad_u64_u32 v[35:36], null, 0xfc2757d1, v39, v[1:2]
	s_delay_alu instid0(VALU_DEP_2) | instskip(NEXT) | instid1(VALU_DEP_2)
	v_cndmask_b32_e64 v31, v32, v31, s4
	v_mov_b32_e32 v1, v36
	s_delay_alu instid0(VALU_DEP_1) | instskip(NEXT) | instid1(VALU_DEP_1)
	v_mad_u64_u32 v[36:37], null, 0x4e441529, v39, v[1:2]
	v_mov_b32_e32 v1, v37
	s_delay_alu instid0(VALU_DEP_1) | instskip(SKIP_1) | instid1(VALU_DEP_4)
	v_mad_u64_u32 v[37:38], null, 0xa2f9836e, v39, v[1:2]
	v_cndmask_b32_e64 v1, 0, 0xffffffe0, s5
	v_cndmask_b32_e64 v39, v36, v34, s3
	s_delay_alu instid0(VALU_DEP_2) | instskip(NEXT) | instid1(VALU_DEP_4)
	v_add_nc_u32_e32 v1, v1, v40
	v_cndmask_b32_e64 v37, v37, v35, s3
	v_cndmask_b32_e64 v36, v38, v36, s3
	;; [unrolled: 1-line block ×3, first 2 shown]
	s_delay_alu instid0(VALU_DEP_4) | instskip(NEXT) | instid1(VALU_DEP_4)
	v_sub_nc_u32_e32 v38, 32, v1
	v_cndmask_b32_e64 v34, v37, v39, s4
	s_delay_alu instid0(VALU_DEP_4) | instskip(NEXT) | instid1(VALU_DEP_4)
	v_cndmask_b32_e64 v36, v36, v37, s4
	v_cndmask_b32_e64 v37, v39, v35, s4
	;; [unrolled: 1-line block ×3, first 2 shown]
	v_cmp_eq_u32_e64 s6, 0, v1
	s_delay_alu instid0(VALU_DEP_4) | instskip(NEXT) | instid1(VALU_DEP_4)
	v_cndmask_b32_e64 v36, v36, v34, s5
	v_cndmask_b32_e64 v34, v34, v37, s5
	s_delay_alu instid0(VALU_DEP_4) | instskip(SKIP_1) | instid1(VALU_DEP_3)
	v_cndmask_b32_e64 v37, v37, v35, s5
	v_cndmask_b32_e64 v31, v35, v31, s5
	v_alignbit_b32 v39, v36, v34, v38
	s_delay_alu instid0(VALU_DEP_3) | instskip(NEXT) | instid1(VALU_DEP_3)
	v_alignbit_b32 v40, v34, v37, v38
	v_alignbit_b32 v38, v37, v31, v38
	s_delay_alu instid0(VALU_DEP_3) | instskip(NEXT) | instid1(VALU_DEP_3)
	v_cndmask_b32_e64 v1, v39, v36, s6
	v_cndmask_b32_e64 v33, v40, v34, s6
	s_delay_alu instid0(VALU_DEP_3) | instskip(NEXT) | instid1(VALU_DEP_3)
	v_cndmask_b32_e64 v37, v38, v37, s6
	v_bfe_u32 v34, v1, 29, 1
	s_delay_alu instid0(VALU_DEP_3) | instskip(NEXT) | instid1(VALU_DEP_3)
	v_alignbit_b32 v32, v1, v33, 30
	v_alignbit_b32 v33, v33, v37, 30
	;; [unrolled: 1-line block ×3, first 2 shown]
	s_delay_alu instid0(VALU_DEP_4) | instskip(NEXT) | instid1(VALU_DEP_1)
	v_sub_nc_u32_e32 v36, 0, v34
	v_xor_b32_e32 v35, v32, v36
	v_cmp_ne_u32_e64 s3, v32, v36
	v_xor_b32_e32 v33, v33, v36
	v_xor_b32_e32 v31, v31, v36
	s_delay_alu instid0(VALU_DEP_4) | instskip(NEXT) | instid1(VALU_DEP_1)
	v_clz_i32_u32_e32 v39, v35
	v_add_nc_u32_e32 v38, 1, v39
	s_delay_alu instid0(VALU_DEP_1) | instskip(NEXT) | instid1(VALU_DEP_1)
	v_cndmask_b32_e64 v32, 33, v38, s3
	v_sub_nc_u32_e32 v37, 32, v32
	s_delay_alu instid0(VALU_DEP_1) | instskip(SKIP_3) | instid1(VALU_DEP_3)
	v_alignbit_b32 v35, v35, v33, v37
	v_alignbit_b32 v31, v33, v31, v37
	v_lshrrev_b32_e32 v33, 29, v1
	v_lshrrev_b32_e32 v1, 30, v1
	v_alignbit_b32 v36, v35, v31, 9
	s_delay_alu instid0(VALU_DEP_3) | instskip(SKIP_1) | instid1(VALU_DEP_3)
	v_lshlrev_b32_e32 v33, 31, v33
	v_alignbit_b32 v35, v32, v35, 9
	v_clz_i32_u32_e32 v37, v36
	s_delay_alu instid0(VALU_DEP_2) | instskip(SKIP_1) | instid1(VALU_DEP_3)
	v_or_b32_e32 v35, v35, v33
	v_or_b32_e32 v33, 0x33800000, v33
	v_min_u32_e32 v37, 32, v37
	s_delay_alu instid0(VALU_DEP_3) | instskip(NEXT) | instid1(VALU_DEP_2)
	v_xor_b32_e32 v35, 1.0, v35
	v_sub_nc_u32_e32 v38, 31, v37
	v_add_lshl_u32 v32, v37, v32, 23
	s_delay_alu instid0(VALU_DEP_3) | instskip(NEXT) | instid1(VALU_DEP_3)
	v_mul_f32_e32 v37, 0x3fc90fda, v35
	v_alignbit_b32 v31, v36, v31, v38
	s_delay_alu instid0(VALU_DEP_3) | instskip(NEXT) | instid1(VALU_DEP_2)
	v_sub_nc_u32_e32 v32, v33, v32
	v_lshrrev_b32_e32 v31, 9, v31
	s_delay_alu instid0(VALU_DEP_1) | instskip(SKIP_2) | instid1(VALU_DEP_1)
	v_or_b32_e32 v31, v32, v31
	v_add_nc_u32_e32 v32, v34, v1
	v_fma_f32 v33, 0x3fc90fda, v35, -v37
	v_fmac_f32_e32 v33, 0x33a22168, v35
	s_delay_alu instid0(VALU_DEP_1) | instskip(NEXT) | instid1(VALU_DEP_1)
	v_fmac_f32_e32 v33, 0x3fc90fda, v31
	v_add_f32_e32 v31, v37, v33
.LBB215_39:                             ;   in Loop: Header=BB215_25 Depth=1
	s_and_not1_saveexec_b32 s3, s20
; %bb.40:                               ;   in Loop: Header=BB215_25 Depth=1
	v_mul_f32_e64 v1, 0x3f22f983, |v27|
	s_delay_alu instid0(VALU_DEP_1) | instskip(NEXT) | instid1(VALU_DEP_1)
	v_rndne_f32_e32 v1, v1
	v_fma_f32 v31, 0xbfc90fda, v1, |v27|
	v_cvt_i32_f32_e32 v32, v1
	s_delay_alu instid0(VALU_DEP_2) | instskip(NEXT) | instid1(VALU_DEP_1)
	v_fmac_f32_e32 v31, 0xb3a22168, v1
	v_fmac_f32_e32 v31, 0xa7c234c4, v1
; %bb.41:                               ;   in Loop: Header=BB215_25 Depth=1
	s_or_b32 exec_lo, exec_lo, s3
                                        ; implicit-def: $vgpr34
                                        ; implicit-def: $vgpr33
	s_delay_alu instid0(SALU_CYCLE_1)
	s_mov_b32 s4, exec_lo
	v_cmpx_ngt_f32_e64 0x48000000, |v26|
	s_xor_b32 s20, exec_lo, s4
	s_cbranch_execz .LBB215_43
; %bb.42:                               ;   in Loop: Header=BB215_25 Depth=1
	v_and_b32_e32 v38, 0x7fffffff, v26
	s_delay_alu instid0(VALU_DEP_1) | instskip(NEXT) | instid1(VALU_DEP_1)
	v_and_or_b32 v41, v38, s7, 0x800000
	v_mad_u64_u32 v[33:34], null, 0xfe5163ab, v41, 0
	s_delay_alu instid0(VALU_DEP_1) | instskip(SKIP_1) | instid1(VALU_DEP_2)
	v_mov_b32_e32 v1, v34
	v_lshrrev_b32_e32 v38, 23, v38
	v_mad_u64_u32 v[34:35], null, 0x3c439041, v41, v[1:2]
	s_delay_alu instid0(VALU_DEP_2) | instskip(NEXT) | instid1(VALU_DEP_1)
	v_add_nc_u32_e32 v39, 0xffffff88, v38
	v_cmp_lt_u32_e64 s3, 63, v39
	s_delay_alu instid0(VALU_DEP_1) | instskip(NEXT) | instid1(VALU_DEP_1)
	v_cndmask_b32_e64 v40, 0, 0xffffffc0, s3
	v_dual_mov_b32 v1, v35 :: v_dual_add_nc_u32 v40, v40, v39
	s_delay_alu instid0(VALU_DEP_1) | instskip(NEXT) | instid1(VALU_DEP_2)
	v_mad_u64_u32 v[35:36], null, 0xdb629599, v41, v[1:2]
	v_cmp_lt_u32_e64 s4, 31, v40
	s_delay_alu instid0(VALU_DEP_2) | instskip(NEXT) | instid1(VALU_DEP_2)
	v_cndmask_b32_e64 v33, v35, v33, s3
	v_cndmask_b32_e64 v42, 0, 0xffffffe0, s4
	s_delay_alu instid0(VALU_DEP_1) | instskip(NEXT) | instid1(VALU_DEP_1)
	v_dual_mov_b32 v1, v36 :: v_dual_add_nc_u32 v42, v42, v40
	v_mad_u64_u32 v[36:37], null, 0xf534ddc0, v41, v[1:2]
	s_delay_alu instid0(VALU_DEP_2) | instskip(NEXT) | instid1(VALU_DEP_2)
	v_cmp_lt_u32_e64 s5, 31, v42
	v_mov_b32_e32 v1, v37
	s_delay_alu instid0(VALU_DEP_3) | instskip(NEXT) | instid1(VALU_DEP_2)
	v_cndmask_b32_e64 v34, v36, v34, s3
	v_mad_u64_u32 v[37:38], null, 0xfc2757d1, v41, v[1:2]
	s_delay_alu instid0(VALU_DEP_2) | instskip(NEXT) | instid1(VALU_DEP_2)
	v_cndmask_b32_e64 v33, v34, v33, s4
	v_mov_b32_e32 v1, v38
	s_delay_alu instid0(VALU_DEP_1) | instskip(NEXT) | instid1(VALU_DEP_1)
	v_mad_u64_u32 v[38:39], null, 0x4e441529, v41, v[1:2]
	v_mov_b32_e32 v1, v39
	s_delay_alu instid0(VALU_DEP_1) | instskip(SKIP_1) | instid1(VALU_DEP_4)
	v_mad_u64_u32 v[39:40], null, 0xa2f9836e, v41, v[1:2]
	v_cndmask_b32_e64 v1, 0, 0xffffffe0, s5
	v_cndmask_b32_e64 v41, v38, v36, s3
	s_delay_alu instid0(VALU_DEP_2) | instskip(NEXT) | instid1(VALU_DEP_4)
	v_add_nc_u32_e32 v1, v1, v42
	v_cndmask_b32_e64 v39, v39, v37, s3
	v_cndmask_b32_e64 v38, v40, v38, s3
	;; [unrolled: 1-line block ×3, first 2 shown]
	s_delay_alu instid0(VALU_DEP_4) | instskip(NEXT) | instid1(VALU_DEP_4)
	v_sub_nc_u32_e32 v40, 32, v1
	v_cndmask_b32_e64 v36, v39, v41, s4
	s_delay_alu instid0(VALU_DEP_4) | instskip(NEXT) | instid1(VALU_DEP_4)
	v_cndmask_b32_e64 v38, v38, v39, s4
	v_cndmask_b32_e64 v39, v41, v37, s4
	;; [unrolled: 1-line block ×3, first 2 shown]
	v_cmp_eq_u32_e64 s6, 0, v1
	s_delay_alu instid0(VALU_DEP_4) | instskip(NEXT) | instid1(VALU_DEP_4)
	v_cndmask_b32_e64 v38, v38, v36, s5
	v_cndmask_b32_e64 v36, v36, v39, s5
	s_delay_alu instid0(VALU_DEP_4) | instskip(SKIP_1) | instid1(VALU_DEP_3)
	v_cndmask_b32_e64 v39, v39, v37, s5
	v_cndmask_b32_e64 v33, v37, v33, s5
	v_alignbit_b32 v41, v38, v36, v40
	s_delay_alu instid0(VALU_DEP_3) | instskip(NEXT) | instid1(VALU_DEP_3)
	v_alignbit_b32 v42, v36, v39, v40
	v_alignbit_b32 v40, v39, v33, v40
	s_delay_alu instid0(VALU_DEP_3) | instskip(NEXT) | instid1(VALU_DEP_3)
	v_cndmask_b32_e64 v1, v41, v38, s6
	v_cndmask_b32_e64 v35, v42, v36, s6
	s_delay_alu instid0(VALU_DEP_3) | instskip(NEXT) | instid1(VALU_DEP_3)
	v_cndmask_b32_e64 v39, v40, v39, s6
	v_bfe_u32 v36, v1, 29, 1
	s_delay_alu instid0(VALU_DEP_3) | instskip(NEXT) | instid1(VALU_DEP_3)
	v_alignbit_b32 v34, v1, v35, 30
	v_alignbit_b32 v35, v35, v39, 30
	;; [unrolled: 1-line block ×3, first 2 shown]
	s_delay_alu instid0(VALU_DEP_4) | instskip(NEXT) | instid1(VALU_DEP_1)
	v_sub_nc_u32_e32 v38, 0, v36
	v_xor_b32_e32 v37, v34, v38
	v_cmp_ne_u32_e64 s3, v34, v38
	v_xor_b32_e32 v35, v35, v38
	v_xor_b32_e32 v33, v33, v38
	s_delay_alu instid0(VALU_DEP_4) | instskip(NEXT) | instid1(VALU_DEP_1)
	v_clz_i32_u32_e32 v41, v37
	v_add_nc_u32_e32 v40, 1, v41
	s_delay_alu instid0(VALU_DEP_1) | instskip(NEXT) | instid1(VALU_DEP_1)
	v_cndmask_b32_e64 v34, 33, v40, s3
	v_sub_nc_u32_e32 v39, 32, v34
	s_delay_alu instid0(VALU_DEP_1) | instskip(SKIP_3) | instid1(VALU_DEP_3)
	v_alignbit_b32 v37, v37, v35, v39
	v_alignbit_b32 v33, v35, v33, v39
	v_lshrrev_b32_e32 v35, 29, v1
	v_lshrrev_b32_e32 v1, 30, v1
	v_alignbit_b32 v38, v37, v33, 9
	s_delay_alu instid0(VALU_DEP_3) | instskip(SKIP_1) | instid1(VALU_DEP_3)
	v_lshlrev_b32_e32 v35, 31, v35
	v_alignbit_b32 v37, v34, v37, 9
	v_clz_i32_u32_e32 v39, v38
	s_delay_alu instid0(VALU_DEP_2) | instskip(SKIP_1) | instid1(VALU_DEP_3)
	v_or_b32_e32 v37, v37, v35
	v_or_b32_e32 v35, 0x33800000, v35
	v_min_u32_e32 v39, 32, v39
	s_delay_alu instid0(VALU_DEP_3) | instskip(NEXT) | instid1(VALU_DEP_2)
	v_xor_b32_e32 v37, 1.0, v37
	v_sub_nc_u32_e32 v40, 31, v39
	v_add_lshl_u32 v34, v39, v34, 23
	s_delay_alu instid0(VALU_DEP_3) | instskip(NEXT) | instid1(VALU_DEP_3)
	v_mul_f32_e32 v39, 0x3fc90fda, v37
	v_alignbit_b32 v33, v38, v33, v40
	s_delay_alu instid0(VALU_DEP_3) | instskip(NEXT) | instid1(VALU_DEP_3)
	v_sub_nc_u32_e32 v34, v35, v34
	v_fma_f32 v35, 0x3fc90fda, v37, -v39
	s_delay_alu instid0(VALU_DEP_3) | instskip(NEXT) | instid1(VALU_DEP_2)
	v_lshrrev_b32_e32 v33, 9, v33
	v_fmac_f32_e32 v35, 0x33a22168, v37
	s_delay_alu instid0(VALU_DEP_2) | instskip(SKIP_1) | instid1(VALU_DEP_2)
	v_or_b32_e32 v33, v34, v33
	v_add_nc_u32_e32 v34, v36, v1
	v_fmac_f32_e32 v35, 0x3fc90fda, v33
	s_delay_alu instid0(VALU_DEP_1)
	v_add_f32_e32 v33, v39, v35
.LBB215_43:                             ;   in Loop: Header=BB215_25 Depth=1
	s_and_not1_saveexec_b32 s3, s20
; %bb.44:                               ;   in Loop: Header=BB215_25 Depth=1
	v_mul_f32_e64 v1, 0x3f22f983, |v26|
	s_delay_alu instid0(VALU_DEP_1) | instskip(NEXT) | instid1(VALU_DEP_1)
	v_rndne_f32_e32 v1, v1
	v_fma_f32 v33, 0xbfc90fda, v1, |v26|
	v_cvt_i32_f32_e32 v34, v1
	s_delay_alu instid0(VALU_DEP_2) | instskip(NEXT) | instid1(VALU_DEP_1)
	v_fmac_f32_e32 v33, 0xb3a22168, v1
	v_fmac_f32_e32 v33, 0xa7c234c4, v1
; %bb.45:                               ;   in Loop: Header=BB215_25 Depth=1
	s_or_b32 exec_lo, exec_lo, s3
                                        ; implicit-def: $vgpr35
                                        ; implicit-def: $vgpr1
	s_delay_alu instid0(SALU_CYCLE_1)
	s_mov_b32 s4, exec_lo
	v_cmpx_ngt_f32_e64 0x48000000, |v25|
	s_xor_b32 s20, exec_lo, s4
	s_cbranch_execnz .LBB215_51
; %bb.46:                               ;   in Loop: Header=BB215_25 Depth=1
	s_and_not1_saveexec_b32 s3, s20
	s_cbranch_execnz .LBB215_52
.LBB215_47:                             ;   in Loop: Header=BB215_25 Depth=1
	s_or_b32 exec_lo, exec_lo, s3
	s_and_saveexec_b32 s3, s2
	s_delay_alu instid0(SALU_CYCLE_1)
	s_xor_b32 s3, exec_lo, s3
	s_cbranch_execnz .LBB215_53
.LBB215_48:                             ;   in Loop: Header=BB215_25 Depth=1
	s_or_b32 exec_lo, exec_lo, s3
	s_and_saveexec_b32 s2, s1
	s_cbranch_execnz .LBB215_54
.LBB215_49:                             ;   in Loop: Header=BB215_25 Depth=1
	s_or_b32 exec_lo, exec_lo, s2
	s_and_saveexec_b32 s1, s0
	s_cbranch_execnz .LBB215_55
.LBB215_50:                             ;   in Loop: Header=BB215_25 Depth=1
	s_or_b32 exec_lo, exec_lo, s1
	s_and_saveexec_b32 s0, vcc_lo
	s_cbranch_execz .LBB215_24
	s_branch .LBB215_56
.LBB215_51:                             ;   in Loop: Header=BB215_25 Depth=1
	v_and_b32_e32 v40, 0x7fffffff, v25
	s_delay_alu instid0(VALU_DEP_1) | instskip(NEXT) | instid1(VALU_DEP_1)
	v_and_or_b32 v43, v40, s7, 0x800000
	v_mad_u64_u32 v[35:36], null, 0xfe5163ab, v43, 0
	s_delay_alu instid0(VALU_DEP_1) | instskip(SKIP_1) | instid1(VALU_DEP_2)
	v_mov_b32_e32 v1, v36
	v_lshrrev_b32_e32 v40, 23, v40
	v_mad_u64_u32 v[36:37], null, 0x3c439041, v43, v[1:2]
	s_delay_alu instid0(VALU_DEP_2) | instskip(NEXT) | instid1(VALU_DEP_1)
	v_add_nc_u32_e32 v41, 0xffffff88, v40
	v_cmp_lt_u32_e64 s3, 63, v41
	s_delay_alu instid0(VALU_DEP_1) | instskip(NEXT) | instid1(VALU_DEP_1)
	v_cndmask_b32_e64 v42, 0, 0xffffffc0, s3
	v_dual_mov_b32 v1, v37 :: v_dual_add_nc_u32 v42, v42, v41
	s_delay_alu instid0(VALU_DEP_1) | instskip(NEXT) | instid1(VALU_DEP_2)
	v_mad_u64_u32 v[37:38], null, 0xdb629599, v43, v[1:2]
	v_cmp_lt_u32_e64 s4, 31, v42
	s_delay_alu instid0(VALU_DEP_2) | instskip(NEXT) | instid1(VALU_DEP_2)
	v_cndmask_b32_e64 v35, v37, v35, s3
	v_cndmask_b32_e64 v44, 0, 0xffffffe0, s4
	s_delay_alu instid0(VALU_DEP_1) | instskip(NEXT) | instid1(VALU_DEP_1)
	v_dual_mov_b32 v1, v38 :: v_dual_add_nc_u32 v44, v44, v42
	v_mad_u64_u32 v[38:39], null, 0xf534ddc0, v43, v[1:2]
	s_delay_alu instid0(VALU_DEP_2) | instskip(NEXT) | instid1(VALU_DEP_2)
	v_cmp_lt_u32_e64 s5, 31, v44
	v_mov_b32_e32 v1, v39
	s_delay_alu instid0(VALU_DEP_3) | instskip(NEXT) | instid1(VALU_DEP_2)
	v_cndmask_b32_e64 v36, v38, v36, s3
	v_mad_u64_u32 v[39:40], null, 0xfc2757d1, v43, v[1:2]
	s_delay_alu instid0(VALU_DEP_2) | instskip(NEXT) | instid1(VALU_DEP_2)
	v_cndmask_b32_e64 v35, v36, v35, s4
	v_mov_b32_e32 v1, v40
	s_delay_alu instid0(VALU_DEP_1) | instskip(NEXT) | instid1(VALU_DEP_1)
	v_mad_u64_u32 v[40:41], null, 0x4e441529, v43, v[1:2]
	v_mov_b32_e32 v1, v41
	s_delay_alu instid0(VALU_DEP_1) | instskip(SKIP_1) | instid1(VALU_DEP_4)
	v_mad_u64_u32 v[41:42], null, 0xa2f9836e, v43, v[1:2]
	v_cndmask_b32_e64 v1, 0, 0xffffffe0, s5
	v_cndmask_b32_e64 v43, v40, v38, s3
	s_delay_alu instid0(VALU_DEP_2) | instskip(NEXT) | instid1(VALU_DEP_4)
	v_add_nc_u32_e32 v1, v1, v44
	v_cndmask_b32_e64 v41, v41, v39, s3
	v_cndmask_b32_e64 v40, v42, v40, s3
	;; [unrolled: 1-line block ×3, first 2 shown]
	s_delay_alu instid0(VALU_DEP_4) | instskip(NEXT) | instid1(VALU_DEP_4)
	v_sub_nc_u32_e32 v42, 32, v1
	v_cndmask_b32_e64 v38, v41, v43, s4
	s_delay_alu instid0(VALU_DEP_4) | instskip(NEXT) | instid1(VALU_DEP_4)
	v_cndmask_b32_e64 v40, v40, v41, s4
	v_cndmask_b32_e64 v41, v43, v39, s4
	;; [unrolled: 1-line block ×3, first 2 shown]
	v_cmp_eq_u32_e64 s6, 0, v1
	s_delay_alu instid0(VALU_DEP_4) | instskip(NEXT) | instid1(VALU_DEP_4)
	v_cndmask_b32_e64 v40, v40, v38, s5
	v_cndmask_b32_e64 v38, v38, v41, s5
	s_delay_alu instid0(VALU_DEP_4) | instskip(SKIP_1) | instid1(VALU_DEP_3)
	v_cndmask_b32_e64 v41, v41, v39, s5
	v_cndmask_b32_e64 v35, v39, v35, s5
	v_alignbit_b32 v43, v40, v38, v42
	s_delay_alu instid0(VALU_DEP_3) | instskip(NEXT) | instid1(VALU_DEP_3)
	v_alignbit_b32 v44, v38, v41, v42
	v_alignbit_b32 v42, v41, v35, v42
	s_delay_alu instid0(VALU_DEP_3) | instskip(NEXT) | instid1(VALU_DEP_3)
	v_cndmask_b32_e64 v1, v43, v40, s6
	v_cndmask_b32_e64 v37, v44, v38, s6
	s_delay_alu instid0(VALU_DEP_3) | instskip(NEXT) | instid1(VALU_DEP_3)
	v_cndmask_b32_e64 v41, v42, v41, s6
	v_bfe_u32 v38, v1, 29, 1
	s_delay_alu instid0(VALU_DEP_3) | instskip(NEXT) | instid1(VALU_DEP_3)
	v_alignbit_b32 v36, v1, v37, 30
	v_alignbit_b32 v37, v37, v41, 30
	;; [unrolled: 1-line block ×3, first 2 shown]
	s_delay_alu instid0(VALU_DEP_4) | instskip(NEXT) | instid1(VALU_DEP_1)
	v_sub_nc_u32_e32 v40, 0, v38
	v_xor_b32_e32 v39, v36, v40
	v_cmp_ne_u32_e64 s3, v36, v40
	v_xor_b32_e32 v37, v37, v40
	v_xor_b32_e32 v35, v35, v40
	s_delay_alu instid0(VALU_DEP_4) | instskip(NEXT) | instid1(VALU_DEP_1)
	v_clz_i32_u32_e32 v43, v39
	v_add_nc_u32_e32 v42, 1, v43
	s_delay_alu instid0(VALU_DEP_1) | instskip(NEXT) | instid1(VALU_DEP_1)
	v_cndmask_b32_e64 v36, 33, v42, s3
	v_sub_nc_u32_e32 v41, 32, v36
	s_delay_alu instid0(VALU_DEP_1) | instskip(SKIP_2) | instid1(VALU_DEP_2)
	v_alignbit_b32 v39, v39, v37, v41
	v_alignbit_b32 v35, v37, v35, v41
	v_lshrrev_b32_e32 v37, 29, v1
	v_alignbit_b32 v40, v39, v35, 9
	s_delay_alu instid0(VALU_DEP_2) | instskip(SKIP_1) | instid1(VALU_DEP_3)
	v_lshlrev_b32_e32 v37, 31, v37
	v_alignbit_b32 v39, v36, v39, 9
	v_clz_i32_u32_e32 v41, v40
	s_delay_alu instid0(VALU_DEP_2) | instskip(SKIP_1) | instid1(VALU_DEP_3)
	v_or_b32_e32 v39, v39, v37
	v_or_b32_e32 v37, 0x33800000, v37
	v_min_u32_e32 v41, 32, v41
	s_delay_alu instid0(VALU_DEP_3) | instskip(NEXT) | instid1(VALU_DEP_2)
	v_xor_b32_e32 v39, 1.0, v39
	v_sub_nc_u32_e32 v42, 31, v41
	v_add_lshl_u32 v36, v41, v36, 23
	s_delay_alu instid0(VALU_DEP_3) | instskip(NEXT) | instid1(VALU_DEP_3)
	v_mul_f32_e32 v41, 0x3fc90fda, v39
	v_alignbit_b32 v35, v40, v35, v42
	s_delay_alu instid0(VALU_DEP_3) | instskip(NEXT) | instid1(VALU_DEP_3)
	v_sub_nc_u32_e32 v36, v37, v36
	v_fma_f32 v37, 0x3fc90fda, v39, -v41
	s_delay_alu instid0(VALU_DEP_3) | instskip(NEXT) | instid1(VALU_DEP_2)
	v_lshrrev_b32_e32 v35, 9, v35
	v_fmac_f32_e32 v37, 0x33a22168, v39
	s_delay_alu instid0(VALU_DEP_2) | instskip(NEXT) | instid1(VALU_DEP_1)
	v_or_b32_e32 v35, v36, v35
	v_fmac_f32_e32 v37, 0x3fc90fda, v35
	v_lshrrev_b32_e32 v35, 30, v1
	s_delay_alu instid0(VALU_DEP_2) | instskip(NEXT) | instid1(VALU_DEP_2)
	v_add_f32_e32 v1, v41, v37
	v_add_nc_u32_e32 v35, v38, v35
	s_and_not1_saveexec_b32 s3, s20
	s_cbranch_execz .LBB215_47
.LBB215_52:                             ;   in Loop: Header=BB215_25 Depth=1
	v_mul_f32_e64 v1, 0x3f22f983, |v25|
	s_delay_alu instid0(VALU_DEP_1) | instskip(NEXT) | instid1(VALU_DEP_1)
	v_rndne_f32_e32 v35, v1
	v_fma_f32 v1, 0xbfc90fda, v35, |v25|
	s_delay_alu instid0(VALU_DEP_1) | instskip(NEXT) | instid1(VALU_DEP_1)
	v_fmac_f32_e32 v1, 0xb3a22168, v35
	v_fmac_f32_e32 v1, 0xa7c234c4, v35
	v_cvt_i32_f32_e32 v35, v35
	s_or_b32 exec_lo, exec_lo, s3
	s_and_saveexec_b32 s3, s2
	s_delay_alu instid0(SALU_CYCLE_1)
	s_xor_b32 s3, exec_lo, s3
	s_cbranch_execz .LBB215_48
.LBB215_53:                             ;   in Loop: Header=BB215_25 Depth=1
	v_dual_mul_f32 v36, v29, v29 :: v_dual_and_b32 v39, 1, v30
	s_delay_alu instid0(VALU_DEP_1) | instskip(NEXT) | instid1(VALU_DEP_2)
	v_dual_fmaak_f32 v37, s18, v36, 0x3c0881c4 :: v_dual_lshlrev_b32 v30, 30, v30
	v_cmp_eq_u32_e64 s2, 0, v39
	s_delay_alu instid0(VALU_DEP_2) | instskip(NEXT) | instid1(VALU_DEP_3)
	v_and_b32_e32 v30, 0x80000000, v30
	v_fmaak_f32 v37, v36, v37, 0xbe2aaa9d
	s_delay_alu instid0(VALU_DEP_1) | instskip(NEXT) | instid1(VALU_DEP_1)
	v_dual_fmaak_f32 v38, s19, v36, 0xbab64f3b :: v_dual_mul_f32 v37, v36, v37
	v_dual_fmaak_f32 v38, v36, v38, 0x3d2aabf7 :: v_dual_fmac_f32 v29, v29, v37
	s_delay_alu instid0(VALU_DEP_1) | instskip(NEXT) | instid1(VALU_DEP_1)
	v_fmaak_f32 v38, v36, v38, 0xbf000004
	v_fma_f32 v36, v36, v38, 1.0
	s_delay_alu instid0(VALU_DEP_1) | instskip(SKIP_1) | instid1(VALU_DEP_2)
	v_cndmask_b32_e64 v29, -v29, v36, s2
	v_cmp_class_f32_e64 s2, v28, 0x1f8
	v_xor_b32_e32 v29, v30, v29
	s_delay_alu instid0(VALU_DEP_1) | instskip(SKIP_1) | instid1(VALU_DEP_1)
	v_cndmask_b32_e64 v30, 0x7fc00000, v29, s2
	v_add_co_u32 v28, s2, v5, s8
	v_add_co_ci_u32_e64 v29, s2, s9, v6, s2
	global_store_b32 v[28:29], v30, off
	s_or_b32 exec_lo, exec_lo, s3
	s_and_saveexec_b32 s2, s1
	s_cbranch_execz .LBB215_49
.LBB215_54:                             ;   in Loop: Header=BB215_25 Depth=1
	v_and_b32_e32 v36, 1, v32
	v_lshlrev_b32_e32 v32, 30, v32
	v_mul_f32_e32 v28, v31, v31
	s_delay_alu instid0(VALU_DEP_1) | instskip(NEXT) | instid1(VALU_DEP_1)
	v_fmaak_f32 v29, s18, v28, 0x3c0881c4
	v_fmaak_f32 v29, v28, v29, 0xbe2aaa9d
	s_delay_alu instid0(VALU_DEP_1) | instskip(NEXT) | instid1(VALU_DEP_1)
	v_mul_f32_e32 v29, v28, v29
	v_fmac_f32_e32 v31, v31, v29
	v_and_b32_e32 v29, 0x80000000, v32
	v_fmaak_f32 v30, s19, v28, 0xbab64f3b
	v_cmp_eq_u32_e64 s1, 0, v36
	s_delay_alu instid0(VALU_DEP_2) | instskip(NEXT) | instid1(VALU_DEP_1)
	v_fmaak_f32 v30, v28, v30, 0x3d2aabf7
	v_fmaak_f32 v30, v28, v30, 0xbf000004
	s_delay_alu instid0(VALU_DEP_1) | instskip(NEXT) | instid1(VALU_DEP_1)
	v_fma_f32 v28, v28, v30, 1.0
	v_cndmask_b32_e64 v28, -v31, v28, s1
	v_cmp_class_f32_e64 s1, v27, 0x1f8
	s_delay_alu instid0(VALU_DEP_2) | instskip(NEXT) | instid1(VALU_DEP_1)
	v_xor_b32_e32 v28, v29, v28
	v_cndmask_b32_e64 v29, 0x7fc00000, v28, s1
	v_add_co_u32 v27, s1, v23, s8
	s_delay_alu instid0(VALU_DEP_1)
	v_add_co_ci_u32_e64 v28, s1, s9, v24, s1
	global_store_b32 v[27:28], v29, off
	s_or_b32 exec_lo, exec_lo, s2
	s_and_saveexec_b32 s1, s0
	s_cbranch_execz .LBB215_50
.LBB215_55:                             ;   in Loop: Header=BB215_25 Depth=1
	v_dual_mul_f32 v27, v33, v33 :: v_dual_and_b32 v30, 1, v34
	s_delay_alu instid0(VALU_DEP_1) | instskip(NEXT) | instid1(VALU_DEP_2)
	v_dual_fmaak_f32 v28, s18, v27, 0x3c0881c4 :: v_dual_lshlrev_b32 v31, 30, v34
	v_cmp_eq_u32_e64 s0, 0, v30
	s_delay_alu instid0(VALU_DEP_2) | instskip(NEXT) | instid1(VALU_DEP_1)
	v_fmaak_f32 v28, v27, v28, 0xbe2aaa9d
	v_dual_fmaak_f32 v29, s19, v27, 0xbab64f3b :: v_dual_mul_f32 v28, v27, v28
	s_delay_alu instid0(VALU_DEP_1) | instskip(NEXT) | instid1(VALU_DEP_2)
	v_fmaak_f32 v29, v27, v29, 0x3d2aabf7
	v_dual_fmac_f32 v33, v33, v28 :: v_dual_and_b32 v28, 0x80000000, v31
	s_delay_alu instid0(VALU_DEP_2) | instskip(NEXT) | instid1(VALU_DEP_1)
	v_fmaak_f32 v29, v27, v29, 0xbf000004
	v_fma_f32 v27, v27, v29, 1.0
	s_delay_alu instid0(VALU_DEP_1) | instskip(SKIP_1) | instid1(VALU_DEP_2)
	v_cndmask_b32_e64 v27, -v33, v27, s0
	v_cmp_class_f32_e64 s0, v26, 0x1f8
	v_xor_b32_e32 v27, v28, v27
	s_delay_alu instid0(VALU_DEP_1) | instskip(SKIP_1) | instid1(VALU_DEP_1)
	v_cndmask_b32_e64 v28, 0x7fc00000, v27, s0
	v_add_co_u32 v26, s0, v16, s8
	v_add_co_ci_u32_e64 v27, s0, s9, v17, s0
	global_store_b32 v[26:27], v28, off
	s_or_b32 exec_lo, exec_lo, s1
	s_and_saveexec_b32 s0, vcc_lo
	s_cbranch_execz .LBB215_24
.LBB215_56:                             ;   in Loop: Header=BB215_25 Depth=1
	v_dual_mul_f32 v26, v1, v1 :: v_dual_and_b32 v29, 1, v35
	s_delay_alu instid0(VALU_DEP_1) | instskip(NEXT) | instid1(VALU_DEP_2)
	v_dual_fmaak_f32 v27, s18, v26, 0x3c0881c4 :: v_dual_lshlrev_b32 v30, 30, v35
	v_cmp_eq_u32_e32 vcc_lo, 0, v29
	s_delay_alu instid0(VALU_DEP_2) | instskip(NEXT) | instid1(VALU_DEP_1)
	v_fmaak_f32 v27, v26, v27, 0xbe2aaa9d
	v_dual_fmaak_f32 v28, s19, v26, 0xbab64f3b :: v_dual_mul_f32 v27, v26, v27
	s_delay_alu instid0(VALU_DEP_1) | instskip(NEXT) | instid1(VALU_DEP_1)
	v_dual_fmaak_f32 v28, v26, v28, 0x3d2aabf7 :: v_dual_fmac_f32 v1, v1, v27
	v_fmaak_f32 v28, v26, v28, 0xbf000004
	v_and_b32_e32 v27, 0x80000000, v30
	s_delay_alu instid0(VALU_DEP_2) | instskip(NEXT) | instid1(VALU_DEP_1)
	v_fma_f32 v26, v26, v28, 1.0
	v_cndmask_b32_e64 v1, -v1, v26, vcc_lo
	v_cmp_class_f32_e64 vcc_lo, v25, 0x1f8
	s_delay_alu instid0(VALU_DEP_2) | instskip(NEXT) | instid1(VALU_DEP_1)
	v_xor_b32_e32 v1, v27, v1
	v_cndmask_b32_e32 v1, 0x7fc00000, v1, vcc_lo
	v_add_co_u32 v25, vcc_lo, v9, s8
	v_add_co_ci_u32_e32 v26, vcc_lo, s9, v10, vcc_lo
	global_store_b32 v[25:26], v1, off
	s_branch .LBB215_24
.LBB215_57:
	s_nop 0
	s_sendmsg sendmsg(MSG_DEALLOC_VGPRS)
	s_endpgm
	.section	.rodata,"a",@progbits
	.p2align	6, 0x0
	.amdhsa_kernel _ZN2at6native12_GLOBAL__N_125multi_tensor_apply_kernelINS1_18TensorListMetadataILi2EEENS1_14UnaryOpFunctorIfLi2ELi1ELi1EEEJNS0_3CosIfEEEEEvT_T0_DpT1_
		.amdhsa_group_segment_fixed_size 0
		.amdhsa_private_segment_fixed_size 0
		.amdhsa_kernarg_size 3408
		.amdhsa_user_sgpr_count 15
		.amdhsa_user_sgpr_dispatch_ptr 0
		.amdhsa_user_sgpr_queue_ptr 0
		.amdhsa_user_sgpr_kernarg_segment_ptr 1
		.amdhsa_user_sgpr_dispatch_id 0
		.amdhsa_user_sgpr_private_segment_size 0
		.amdhsa_wavefront_size32 1
		.amdhsa_uses_dynamic_stack 0
		.amdhsa_enable_private_segment 0
		.amdhsa_system_sgpr_workgroup_id_x 1
		.amdhsa_system_sgpr_workgroup_id_y 0
		.amdhsa_system_sgpr_workgroup_id_z 0
		.amdhsa_system_sgpr_workgroup_info 0
		.amdhsa_system_vgpr_workitem_id 0
		.amdhsa_next_free_vgpr 45
		.amdhsa_next_free_sgpr 25
		.amdhsa_reserve_vcc 1
		.amdhsa_float_round_mode_32 0
		.amdhsa_float_round_mode_16_64 0
		.amdhsa_float_denorm_mode_32 3
		.amdhsa_float_denorm_mode_16_64 3
		.amdhsa_dx10_clamp 1
		.amdhsa_ieee_mode 1
		.amdhsa_fp16_overflow 0
		.amdhsa_workgroup_processor_mode 1
		.amdhsa_memory_ordered 1
		.amdhsa_forward_progress 0
		.amdhsa_shared_vgpr_count 0
		.amdhsa_exception_fp_ieee_invalid_op 0
		.amdhsa_exception_fp_denorm_src 0
		.amdhsa_exception_fp_ieee_div_zero 0
		.amdhsa_exception_fp_ieee_overflow 0
		.amdhsa_exception_fp_ieee_underflow 0
		.amdhsa_exception_fp_ieee_inexact 0
		.amdhsa_exception_int_div_zero 0
	.end_amdhsa_kernel
	.section	.text._ZN2at6native12_GLOBAL__N_125multi_tensor_apply_kernelINS1_18TensorListMetadataILi2EEENS1_14UnaryOpFunctorIfLi2ELi1ELi1EEEJNS0_3CosIfEEEEEvT_T0_DpT1_,"axG",@progbits,_ZN2at6native12_GLOBAL__N_125multi_tensor_apply_kernelINS1_18TensorListMetadataILi2EEENS1_14UnaryOpFunctorIfLi2ELi1ELi1EEEJNS0_3CosIfEEEEEvT_T0_DpT1_,comdat
.Lfunc_end215:
	.size	_ZN2at6native12_GLOBAL__N_125multi_tensor_apply_kernelINS1_18TensorListMetadataILi2EEENS1_14UnaryOpFunctorIfLi2ELi1ELi1EEEJNS0_3CosIfEEEEEvT_T0_DpT1_, .Lfunc_end215-_ZN2at6native12_GLOBAL__N_125multi_tensor_apply_kernelINS1_18TensorListMetadataILi2EEENS1_14UnaryOpFunctorIfLi2ELi1ELi1EEEJNS0_3CosIfEEEEEvT_T0_DpT1_
                                        ; -- End function
	.section	.AMDGPU.csdata,"",@progbits
; Kernel info:
; codeLenInByte = 9000
; NumSgprs: 27
; NumVgprs: 45
; ScratchSize: 0
; MemoryBound: 0
; FloatMode: 240
; IeeeMode: 1
; LDSByteSize: 0 bytes/workgroup (compile time only)
; SGPRBlocks: 3
; VGPRBlocks: 5
; NumSGPRsForWavesPerEU: 27
; NumVGPRsForWavesPerEU: 45
; Occupancy: 16
; WaveLimiterHint : 0
; COMPUTE_PGM_RSRC2:SCRATCH_EN: 0
; COMPUTE_PGM_RSRC2:USER_SGPR: 15
; COMPUTE_PGM_RSRC2:TRAP_HANDLER: 0
; COMPUTE_PGM_RSRC2:TGID_X_EN: 1
; COMPUTE_PGM_RSRC2:TGID_Y_EN: 0
; COMPUTE_PGM_RSRC2:TGID_Z_EN: 0
; COMPUTE_PGM_RSRC2:TIDIG_COMP_CNT: 0
	.section	.text._ZN2at6native12_GLOBAL__N_125multi_tensor_apply_kernelINS1_18TensorListMetadataILi2EEENS1_14UnaryOpFunctorIN3c107complexIdEELi2ELi1ELi1EEEJNS0_3CosIS8_EEEEEvT_T0_DpT1_,"axG",@progbits,_ZN2at6native12_GLOBAL__N_125multi_tensor_apply_kernelINS1_18TensorListMetadataILi2EEENS1_14UnaryOpFunctorIN3c107complexIdEELi2ELi1ELi1EEEJNS0_3CosIS8_EEEEEvT_T0_DpT1_,comdat
	.globl	_ZN2at6native12_GLOBAL__N_125multi_tensor_apply_kernelINS1_18TensorListMetadataILi2EEENS1_14UnaryOpFunctorIN3c107complexIdEELi2ELi1ELi1EEEJNS0_3CosIS8_EEEEEvT_T0_DpT1_ ; -- Begin function _ZN2at6native12_GLOBAL__N_125multi_tensor_apply_kernelINS1_18TensorListMetadataILi2EEENS1_14UnaryOpFunctorIN3c107complexIdEELi2ELi1ELi1EEEJNS0_3CosIS8_EEEEEvT_T0_DpT1_
	.p2align	8
	.type	_ZN2at6native12_GLOBAL__N_125multi_tensor_apply_kernelINS1_18TensorListMetadataILi2EEENS1_14UnaryOpFunctorIN3c107complexIdEELi2ELi1ELi1EEEJNS0_3CosIS8_EEEEEvT_T0_DpT1_,@function
_ZN2at6native12_GLOBAL__N_125multi_tensor_apply_kernelINS1_18TensorListMetadataILi2EEENS1_14UnaryOpFunctorIN3c107complexIdEELi2ELi1ELi1EEEJNS0_3CosIS8_EEEEEvT_T0_DpT1_: ; @_ZN2at6native12_GLOBAL__N_125multi_tensor_apply_kernelINS1_18TensorListMetadataILi2EEENS1_14UnaryOpFunctorIN3c107complexIdEELi2ELi1ELi1EEEJNS0_3CosIS8_EEEEEvT_T0_DpT1_
; %bb.0:
	v_mov_b32_e32 v60, v0
	v_mov_b32_e32 v0, s15
	s_mov_b64 s[18:19], s[0:1]
	s_mov_b32 s5, 0
	s_mov_b32 s32, 0
	;; [unrolled: 1-line block ×3, first 2 shown]
	global_load_u8 v0, v0, s[0:1] offset:1536
	s_add_u32 s0, s18, s15
	s_mul_hi_u32 s1, s15, 3
	s_mul_i32 s15, s15, 3
	s_addc_u32 s2, s19, 0
	s_add_u32 s0, s0, s15
	s_addc_u32 s1, s2, s1
	s_mov_b32 s9, s5
	s_load_b32 s0, s[0:1], 0x740
	s_waitcnt vmcnt(0)
	v_readfirstlane_b32 s3, v0
	s_delay_alu instid0(VALU_DEP_1)
	s_lshl_b32 s1, s3, 3
	s_clause 0x2
	s_load_b64 s[20:21], s[18:19], s1 offset:0x0
	s_load_b64 s[34:35], s[18:19], s1 offset:0x200
	;; [unrolled: 1-line block ×3, first 2 shown]
	s_waitcnt lgkmcnt(0)
	s_ashr_i32 s1, s0, 31
	s_delay_alu instid0(SALU_CYCLE_1) | instskip(NEXT) | instid1(SALU_CYCLE_1)
	s_lshl_b64 s[22:23], s[0:1], 20
	s_add_u32 s26, s20, s22
	s_addc_u32 s27, s21, s23
	s_add_u32 s28, s34, s22
	s_addc_u32 s29, s35, s23
	s_and_b32 s6, s26, 63
	s_and_b32 s8, s2, 3
	;; [unrolled: 1-line block ×3, first 2 shown]
	s_or_b64 s[6:7], s[6:7], s[8:9]
	s_lshl_b64 s[0:1], s[0:1], 16
	s_or_b64 s[4:5], s[4:5], s[6:7]
	s_sub_u32 s24, s2, s0
	s_subb_u32 s25, s3, s1
	s_cmp_eq_u64 s[4:5], 0
	s_mov_b32 s0, -1
	s_cbranch_scc0 .LBB216_5
; %bb.1:
	v_dual_mov_b32 v62, 0 :: v_dual_lshlrev_b32 v61, 2, v60
	s_mov_b32 s33, exec_lo
	s_delay_alu instid0(VALU_DEP_1)
	v_cmpx_gt_i64_e64 s[24:25], v[61:62]
	s_cbranch_execz .LBB216_4
; %bb.2:
	s_load_b32 s0, s[18:19], 0xc5c
	v_lshlrev_b32_e32 v63, 6, v60
	s_mov_b32 s36, 0
	s_waitcnt lgkmcnt(0)
	s_and_b32 s0, s0, 0xffff
	s_delay_alu instid0(SALU_CYCLE_1)
	v_add_lshl_u32 v61, v60, s0, 2
	s_lshl_b32 s37, s0, 2
	s_lshl_b32 s38, s0, 6
.LBB216_3:                              ; =>This Inner Loop Header: Depth=1
	v_add_co_u32 v0, s0, s26, v63
	s_delay_alu instid0(VALU_DEP_1)
	v_add_co_ci_u32_e64 v1, null, s27, 0, s0
	s_getpc_b64 s[40:41]
	s_add_u32 s40, s40, _ZN6thrust23THRUST_200600_302600_NS6detail7complex5ccoshERKNS0_7complexIdEE@rel32@lo+4
	s_addc_u32 s41, s41, _ZN6thrust23THRUST_200600_302600_NS6detail7complex5ccoshERKNS0_7complexIdEE@rel32@hi+12
	s_clause 0x3
	global_load_b128 v[2:5], v[0:1], off
	global_load_b128 v[40:43], v[0:1], off offset:16
	global_load_b128 v[44:47], v[0:1], off offset:48
	;; [unrolled: 1-line block ×3, first 2 shown]
	s_waitcnt vmcnt(3)
	v_xor_b32_e32 v1, 0x80000000, v5
	v_mov_b32_e32 v0, v4
	s_swappc_b64 s[30:31], s[40:41]
	s_delay_alu instid0(VALU_DEP_1)
	v_dual_mov_b32 v72, v0 :: v_dual_mov_b32 v73, v1
	v_dual_mov_b32 v74, v2 :: v_dual_mov_b32 v75, v3
	v_xor_b32_e32 v1, 0x80000000, v43
	v_dual_mov_b32 v0, v42 :: v_dual_mov_b32 v3, v41
	v_mov_b32_e32 v2, v40
	s_swappc_b64 s[30:31], s[40:41]
	s_delay_alu instid0(VALU_DEP_2) | instskip(NEXT) | instid1(VALU_DEP_2)
	v_dual_mov_b32 v40, v0 :: v_dual_mov_b32 v41, v1
	v_dual_mov_b32 v42, v2 :: v_dual_mov_b32 v43, v3
	v_xor_b32_e32 v1, 0x80000000, v59
	v_dual_mov_b32 v0, v58 :: v_dual_mov_b32 v3, v57
	v_mov_b32_e32 v2, v56
	s_swappc_b64 s[30:31], s[40:41]
	s_delay_alu instid0(VALU_DEP_2) | instskip(NEXT) | instid1(VALU_DEP_2)
	v_dual_mov_b32 v56, v0 :: v_dual_mov_b32 v57, v1
	v_dual_mov_b32 v58, v2 :: v_dual_mov_b32 v59, v3
	v_xor_b32_e32 v1, 0x80000000, v47
	v_dual_mov_b32 v0, v46 :: v_dual_mov_b32 v3, v45
	v_mov_b32_e32 v2, v44
	s_swappc_b64 s[30:31], s[40:41]
	v_add_co_u32 v4, s0, s28, v63
	s_delay_alu instid0(VALU_DEP_1) | instskip(SKIP_3) | instid1(VALU_DEP_1)
	v_add_co_ci_u32_e64 v5, null, s29, 0, s0
	v_cmp_le_i64_e32 vcc_lo, s[24:25], v[61:62]
	v_cmp_lt_u64_e64 s0, 0xffff, v[61:62]
	v_add_co_u32 v61, s1, v61, s37
	v_add_co_ci_u32_e64 v62, s1, 0, v62, s1
	s_clause 0x1
	global_store_b128 v[4:5], v[72:75], off
	global_store_b128 v[4:5], v[40:43], off offset:16
	s_or_b32 s0, vcc_lo, s0
	s_add_u32 s26, s26, s38
	s_addc_u32 s27, s27, 0
	s_add_u32 s28, s28, s38
	s_addc_u32 s29, s29, 0
	s_and_b32 s0, exec_lo, s0
	s_clause 0x1
	global_store_b128 v[4:5], v[56:59], off offset:32
	global_store_b128 v[4:5], v[0:3], off offset:48
	s_or_b32 s36, s0, s36
	s_delay_alu instid0(SALU_CYCLE_1)
	s_and_not1_b32 exec_lo, exec_lo, s36
	s_cbranch_execnz .LBB216_3
.LBB216_4:
	s_or_b32 exec_lo, exec_lo, s33
	s_mov_b32 s0, 0
.LBB216_5:
	s_delay_alu instid0(SALU_CYCLE_1)
	s_and_not1_b32 vcc_lo, exec_lo, s0
	s_cbranch_vccnz .LBB216_25
; %bb.6:
	v_cmp_lt_i64_e64 s0, s[24:25], 1
	s_delay_alu instid0(VALU_DEP_1)
	s_and_b32 vcc_lo, exec_lo, s0
	s_cbranch_vccnz .LBB216_25
; %bb.7:
	s_load_b32 s0, s[18:19], 0xc5c
	v_mov_b32_e32 v61, 0
	v_lshl_or_b32 v0, v60, 4, 8
	v_cmp_gt_u64_e64 s1, 0x10000, s[24:25]
	s_mov_b32 s27, 0
	s_delay_alu instid0(VALU_DEP_3) | instskip(NEXT) | instid1(VALU_DEP_3)
	v_mov_b32_e32 v1, v61
	v_add_co_u32 v62, s2, s20, v0
	s_delay_alu instid0(VALU_DEP_1) | instskip(SKIP_1) | instid1(VALU_DEP_1)
	v_add_co_ci_u32_e64 v63, null, s21, 0, s2
	v_add_co_u32 v72, s2, s34, v0
	v_add_co_ci_u32_e64 v73, null, s35, 0, s2
	s_waitcnt lgkmcnt(0)
	s_and_b32 s33, s0, 0xffff
	s_and_b32 s0, s1, exec_lo
	v_add_lshl_u32 v4, v60, s33, 4
	v_mad_u64_u32 v[2:3], null, s33, 48, v[0:1]
	s_cselect_b32 s29, s25, 0
	s_cselect_b32 s28, s24, 0x10000
	s_delay_alu instid0(VALU_DEP_2) | instskip(NEXT) | instid1(VALU_DEP_1)
	v_add_co_u32 v74, s0, s34, v4
	v_add_co_ci_u32_e64 v75, null, s35, 0, s0
	v_add_co_u32 v78, s0, s20, v4
	s_delay_alu instid0(VALU_DEP_1)
	v_add_co_ci_u32_e64 v79, null, s21, 0, s0
	s_lshl_b32 s0, s33, 5
	v_add_co_u32 v76, vcc_lo, s20, v2
	v_add_co_u32 v0, s0, v0, s0
	v_add_co_ci_u32_e32 v77, vcc_lo, s21, v3, vcc_lo
	v_add_co_ci_u32_e64 v1, null, 0, 0, s0
	v_add_co_u32 v84, vcc_lo, s34, v2
	v_add_co_ci_u32_e32 v85, vcc_lo, s35, v3, vcc_lo
	v_add_co_u32 v86, vcc_lo, s20, v0
	s_delay_alu instid0(VALU_DEP_4)
	v_add_co_ci_u32_e32 v87, vcc_lo, s21, v1, vcc_lo
	v_add_co_u32 v88, vcc_lo, s34, v0
	v_add_co_ci_u32_e32 v89, vcc_lo, s35, v1, vcc_lo
	s_lshl_b32 s26, s33, 2
	s_lshl_b32 s36, s33, 1
	s_mul_i32 s37, s33, 3
	s_lshl_b32 s21, s33, 6
	s_mov_b64 s[34:35], s[26:27]
	s_branch .LBB216_9
.LBB216_8:                              ;   in Loop: Header=BB216_9 Depth=1
	s_or_b32 exec_lo, exec_lo, s19
	v_add_co_u32 v60, vcc_lo, v60, s26
	v_add_co_ci_u32_e32 v61, vcc_lo, 0, v61, vcc_lo
	v_add_co_u32 v62, vcc_lo, v62, s21
	v_add_co_ci_u32_e32 v63, vcc_lo, 0, v63, vcc_lo
	;; [unrolled: 2-line block ×7, first 2 shown]
	v_cmp_ge_i64_e64 s0, s[34:35], s[24:25]
	v_cmp_lt_u64_e64 s1, 0xffff, s[34:35]
	v_add_co_u32 v86, vcc_lo, v86, s21
	v_add_co_ci_u32_e32 v87, vcc_lo, 0, v87, vcc_lo
	v_add_co_u32 v88, vcc_lo, v88, s21
	v_add_co_ci_u32_e32 v89, vcc_lo, 0, v89, vcc_lo
	s_or_b32 s0, s0, s1
	s_add_u32 s34, s34, s26
	s_addc_u32 s35, s35, 0
	s_and_b32 vcc_lo, exec_lo, s0
	s_cbranch_vccnz .LBB216_25
.LBB216_9:                              ; =>This Inner Loop Header: Depth=1
	s_waitcnt vmcnt(0)
	v_mov_b32_e32 v46, 0
	v_mov_b32_e32 v47, 0
	v_cmp_gt_u64_e32 vcc_lo, s[28:29], v[60:61]
	s_delay_alu instid0(VALU_DEP_3) | instskip(NEXT) | instid1(VALU_DEP_3)
	v_mov_b32_e32 v4, v46
	v_dual_mov_b32 v2, v46 :: v_dual_mov_b32 v3, v47
	v_mov_b32_e32 v5, v47
	s_and_saveexec_b32 s1, vcc_lo
	s_cbranch_execz .LBB216_11
; %bb.10:                               ;   in Loop: Header=BB216_9 Depth=1
	v_add_co_u32 v0, s0, v62, s22
	s_delay_alu instid0(VALU_DEP_1)
	v_add_co_ci_u32_e64 v1, s0, s23, v63, s0
	global_load_b128 v[2:5], v[0:1], off offset:-8
.LBB216_11:                             ;   in Loop: Header=BB216_9 Depth=1
	s_or_b32 exec_lo, exec_lo, s1
	v_add_co_u32 v0, s0, s33, v60
	s_delay_alu instid0(VALU_DEP_1) | instskip(SKIP_1) | instid1(VALU_DEP_2)
	v_add_co_ci_u32_e64 v1, s0, 0, v61, s0
	v_dual_mov_b32 v44, v46 :: v_dual_mov_b32 v45, v47
	v_cmp_gt_u64_e64 s20, s[28:29], v[0:1]
	s_delay_alu instid0(VALU_DEP_1)
	s_and_saveexec_b32 s1, s20
	s_cbranch_execz .LBB216_13
; %bb.12:                               ;   in Loop: Header=BB216_9 Depth=1
	v_add_co_u32 v0, s0, v78, s22
	s_delay_alu instid0(VALU_DEP_1)
	v_add_co_ci_u32_e64 v1, s0, s23, v79, s0
	global_load_b128 v[44:47], v[0:1], off
.LBB216_13:                             ;   in Loop: Header=BB216_9 Depth=1
	s_or_b32 exec_lo, exec_lo, s1
	v_add_co_u32 v0, s0, s36, v60
	s_delay_alu instid0(VALU_DEP_1) | instskip(SKIP_2) | instid1(VALU_DEP_3)
	v_add_co_ci_u32_e64 v1, s0, 0, v61, s0
	v_mov_b32_e32 v42, 0
	v_mov_b32_e32 v43, 0
	v_cmp_gt_u64_e64 s19, s[28:29], v[0:1]
	s_delay_alu instid0(VALU_DEP_2) | instskip(SKIP_1) | instid1(VALU_DEP_3)
	v_dual_mov_b32 v59, v43 :: v_dual_mov_b32 v58, v42
	v_dual_mov_b32 v57, v43 :: v_dual_mov_b32 v56, v42
	s_and_saveexec_b32 s1, s19
	s_cbranch_execz .LBB216_15
; %bb.14:                               ;   in Loop: Header=BB216_9 Depth=1
	v_add_co_u32 v0, s0, v86, s22
	s_delay_alu instid0(VALU_DEP_1)
	v_add_co_ci_u32_e64 v1, s0, s23, v87, s0
	global_load_b128 v[56:59], v[0:1], off offset:-8
.LBB216_15:                             ;   in Loop: Header=BB216_9 Depth=1
	s_or_b32 exec_lo, exec_lo, s1
	v_add_co_u32 v0, s0, s37, v60
	s_delay_alu instid0(VALU_DEP_1) | instskip(SKIP_1) | instid1(VALU_DEP_2)
	v_add_co_ci_u32_e64 v1, s0, 0, v61, s0
	v_dual_mov_b32 v40, v42 :: v_dual_mov_b32 v41, v43
	v_cmp_gt_u64_e64 s18, s[28:29], v[0:1]
	s_delay_alu instid0(VALU_DEP_1)
	s_and_saveexec_b32 s1, s18
	s_cbranch_execnz .LBB216_20
; %bb.16:                               ;   in Loop: Header=BB216_9 Depth=1
	s_or_b32 exec_lo, exec_lo, s1
	s_and_saveexec_b32 s27, vcc_lo
	s_cbranch_execnz .LBB216_21
.LBB216_17:                             ;   in Loop: Header=BB216_9 Depth=1
	s_or_b32 exec_lo, exec_lo, s27
	s_and_saveexec_b32 s27, s20
	s_cbranch_execnz .LBB216_22
.LBB216_18:                             ;   in Loop: Header=BB216_9 Depth=1
	s_or_b32 exec_lo, exec_lo, s27
	s_and_saveexec_b32 s20, s19
	s_cbranch_execnz .LBB216_23
.LBB216_19:                             ;   in Loop: Header=BB216_9 Depth=1
	s_or_b32 exec_lo, exec_lo, s20
	s_and_saveexec_b32 s19, s18
	s_cbranch_execz .LBB216_8
	s_branch .LBB216_24
.LBB216_20:                             ;   in Loop: Header=BB216_9 Depth=1
	v_add_co_u32 v0, s0, v76, s22
	s_delay_alu instid0(VALU_DEP_1)
	v_add_co_ci_u32_e64 v1, s0, s23, v77, s0
	global_load_b128 v[40:43], v[0:1], off offset:-8
	s_or_b32 exec_lo, exec_lo, s1
	s_and_saveexec_b32 s27, vcc_lo
	s_cbranch_execz .LBB216_17
.LBB216_21:                             ;   in Loop: Header=BB216_9 Depth=1
	s_waitcnt vmcnt(0)
	v_xor_b32_e32 v1, 0x80000000, v5
	v_mov_b32_e32 v0, v4
	s_getpc_b64 s[0:1]
	s_add_u32 s0, s0, _ZN6thrust23THRUST_200600_302600_NS6detail7complex5ccoshERKNS0_7complexIdEE@rel32@lo+4
	s_addc_u32 s1, s1, _ZN6thrust23THRUST_200600_302600_NS6detail7complex5ccoshERKNS0_7complexIdEE@rel32@hi+12
	s_delay_alu instid0(SALU_CYCLE_1)
	s_swappc_b64 s[30:31], s[0:1]
	v_add_co_u32 v4, vcc_lo, v72, s22
	v_add_co_ci_u32_e32 v5, vcc_lo, s23, v73, vcc_lo
	global_store_b128 v[4:5], v[0:3], off offset:-8
	s_or_b32 exec_lo, exec_lo, s27
	s_and_saveexec_b32 s27, s20
	s_cbranch_execz .LBB216_18
.LBB216_22:                             ;   in Loop: Header=BB216_9 Depth=1
	s_waitcnt vmcnt(0)
	v_xor_b32_e32 v1, 0x80000000, v47
	v_dual_mov_b32 v0, v46 :: v_dual_mov_b32 v3, v45
	v_mov_b32_e32 v2, v44
	s_getpc_b64 s[0:1]
	s_add_u32 s0, s0, _ZN6thrust23THRUST_200600_302600_NS6detail7complex5ccoshERKNS0_7complexIdEE@rel32@lo+4
	s_addc_u32 s1, s1, _ZN6thrust23THRUST_200600_302600_NS6detail7complex5ccoshERKNS0_7complexIdEE@rel32@hi+12
	s_delay_alu instid0(SALU_CYCLE_1)
	s_swappc_b64 s[30:31], s[0:1]
	v_add_co_u32 v4, vcc_lo, v74, s22
	v_add_co_ci_u32_e32 v5, vcc_lo, s23, v75, vcc_lo
	global_store_b128 v[4:5], v[0:3], off
	s_or_b32 exec_lo, exec_lo, s27
	s_and_saveexec_b32 s20, s19
	s_cbranch_execz .LBB216_19
.LBB216_23:                             ;   in Loop: Header=BB216_9 Depth=1
	s_waitcnt vmcnt(0)
	v_xor_b32_e32 v1, 0x80000000, v59
	v_dual_mov_b32 v0, v58 :: v_dual_mov_b32 v3, v57
	v_mov_b32_e32 v2, v56
	s_getpc_b64 s[0:1]
	s_add_u32 s0, s0, _ZN6thrust23THRUST_200600_302600_NS6detail7complex5ccoshERKNS0_7complexIdEE@rel32@lo+4
	s_addc_u32 s1, s1, _ZN6thrust23THRUST_200600_302600_NS6detail7complex5ccoshERKNS0_7complexIdEE@rel32@hi+12
	s_delay_alu instid0(SALU_CYCLE_1)
	s_swappc_b64 s[30:31], s[0:1]
	v_add_co_u32 v4, vcc_lo, v88, s22
	v_add_co_ci_u32_e32 v5, vcc_lo, s23, v89, vcc_lo
	global_store_b128 v[4:5], v[0:3], off offset:-8
	s_or_b32 exec_lo, exec_lo, s20
	s_and_saveexec_b32 s19, s18
	s_cbranch_execz .LBB216_8
.LBB216_24:                             ;   in Loop: Header=BB216_9 Depth=1
	s_waitcnt vmcnt(0)
	v_xor_b32_e32 v1, 0x80000000, v43
	v_dual_mov_b32 v0, v42 :: v_dual_mov_b32 v3, v41
	v_mov_b32_e32 v2, v40
	s_getpc_b64 s[0:1]
	s_add_u32 s0, s0, _ZN6thrust23THRUST_200600_302600_NS6detail7complex5ccoshERKNS0_7complexIdEE@rel32@lo+4
	s_addc_u32 s1, s1, _ZN6thrust23THRUST_200600_302600_NS6detail7complex5ccoshERKNS0_7complexIdEE@rel32@hi+12
	s_delay_alu instid0(SALU_CYCLE_1)
	s_swappc_b64 s[30:31], s[0:1]
	v_add_co_u32 v4, vcc_lo, v84, s22
	v_add_co_ci_u32_e32 v5, vcc_lo, s23, v85, vcc_lo
	global_store_b128 v[4:5], v[0:3], off offset:-8
	s_branch .LBB216_8
.LBB216_25:
	s_endpgm
	.section	.rodata,"a",@progbits
	.p2align	6, 0x0
	.amdhsa_kernel _ZN2at6native12_GLOBAL__N_125multi_tensor_apply_kernelINS1_18TensorListMetadataILi2EEENS1_14UnaryOpFunctorIN3c107complexIdEELi2ELi1ELi1EEEJNS0_3CosIS8_EEEEEvT_T0_DpT1_
		.amdhsa_group_segment_fixed_size 0
		.amdhsa_private_segment_fixed_size 0
		.amdhsa_kernarg_size 3408
		.amdhsa_user_sgpr_count 15
		.amdhsa_user_sgpr_dispatch_ptr 0
		.amdhsa_user_sgpr_queue_ptr 0
		.amdhsa_user_sgpr_kernarg_segment_ptr 1
		.amdhsa_user_sgpr_dispatch_id 0
		.amdhsa_user_sgpr_private_segment_size 0
		.amdhsa_wavefront_size32 1
		.amdhsa_uses_dynamic_stack 0
		.amdhsa_enable_private_segment 0
		.amdhsa_system_sgpr_workgroup_id_x 1
		.amdhsa_system_sgpr_workgroup_id_y 0
		.amdhsa_system_sgpr_workgroup_id_z 0
		.amdhsa_system_sgpr_workgroup_info 0
		.amdhsa_system_vgpr_workitem_id 0
		.amdhsa_next_free_vgpr 90
		.amdhsa_next_free_sgpr 42
		.amdhsa_reserve_vcc 1
		.amdhsa_float_round_mode_32 0
		.amdhsa_float_round_mode_16_64 0
		.amdhsa_float_denorm_mode_32 3
		.amdhsa_float_denorm_mode_16_64 3
		.amdhsa_dx10_clamp 1
		.amdhsa_ieee_mode 1
		.amdhsa_fp16_overflow 0
		.amdhsa_workgroup_processor_mode 1
		.amdhsa_memory_ordered 1
		.amdhsa_forward_progress 0
		.amdhsa_shared_vgpr_count 0
		.amdhsa_exception_fp_ieee_invalid_op 0
		.amdhsa_exception_fp_denorm_src 0
		.amdhsa_exception_fp_ieee_div_zero 0
		.amdhsa_exception_fp_ieee_overflow 0
		.amdhsa_exception_fp_ieee_underflow 0
		.amdhsa_exception_fp_ieee_inexact 0
		.amdhsa_exception_int_div_zero 0
	.end_amdhsa_kernel
	.section	.text._ZN2at6native12_GLOBAL__N_125multi_tensor_apply_kernelINS1_18TensorListMetadataILi2EEENS1_14UnaryOpFunctorIN3c107complexIdEELi2ELi1ELi1EEEJNS0_3CosIS8_EEEEEvT_T0_DpT1_,"axG",@progbits,_ZN2at6native12_GLOBAL__N_125multi_tensor_apply_kernelINS1_18TensorListMetadataILi2EEENS1_14UnaryOpFunctorIN3c107complexIdEELi2ELi1ELi1EEEJNS0_3CosIS8_EEEEEvT_T0_DpT1_,comdat
.Lfunc_end216:
	.size	_ZN2at6native12_GLOBAL__N_125multi_tensor_apply_kernelINS1_18TensorListMetadataILi2EEENS1_14UnaryOpFunctorIN3c107complexIdEELi2ELi1ELi1EEEJNS0_3CosIS8_EEEEEvT_T0_DpT1_, .Lfunc_end216-_ZN2at6native12_GLOBAL__N_125multi_tensor_apply_kernelINS1_18TensorListMetadataILi2EEENS1_14UnaryOpFunctorIN3c107complexIdEELi2ELi1ELi1EEEJNS0_3CosIS8_EEEEEvT_T0_DpT1_
                                        ; -- End function
	.section	.AMDGPU.csdata,"",@progbits
; Kernel info:
; codeLenInByte = 1792
; NumSgprs: 44
; NumVgprs: 90
; ScratchSize: 0
; MemoryBound: 1
; FloatMode: 240
; IeeeMode: 1
; LDSByteSize: 0 bytes/workgroup (compile time only)
; SGPRBlocks: 5
; VGPRBlocks: 11
; NumSGPRsForWavesPerEU: 44
; NumVGPRsForWavesPerEU: 90
; Occupancy: 16
; WaveLimiterHint : 0
; COMPUTE_PGM_RSRC2:SCRATCH_EN: 0
; COMPUTE_PGM_RSRC2:USER_SGPR: 15
; COMPUTE_PGM_RSRC2:TRAP_HANDLER: 0
; COMPUTE_PGM_RSRC2:TGID_X_EN: 1
; COMPUTE_PGM_RSRC2:TGID_Y_EN: 0
; COMPUTE_PGM_RSRC2:TGID_Z_EN: 0
; COMPUTE_PGM_RSRC2:TIDIG_COMP_CNT: 0
	.section	.text._ZN2at6native12_GLOBAL__N_125multi_tensor_apply_kernelINS1_18TensorListMetadataILi2EEENS1_14UnaryOpFunctorIN3c107complexIfEELi2ELi1ELi1EEEJNS0_3CosIS8_EEEEEvT_T0_DpT1_,"axG",@progbits,_ZN2at6native12_GLOBAL__N_125multi_tensor_apply_kernelINS1_18TensorListMetadataILi2EEENS1_14UnaryOpFunctorIN3c107complexIfEELi2ELi1ELi1EEEJNS0_3CosIS8_EEEEEvT_T0_DpT1_,comdat
	.globl	_ZN2at6native12_GLOBAL__N_125multi_tensor_apply_kernelINS1_18TensorListMetadataILi2EEENS1_14UnaryOpFunctorIN3c107complexIfEELi2ELi1ELi1EEEJNS0_3CosIS8_EEEEEvT_T0_DpT1_ ; -- Begin function _ZN2at6native12_GLOBAL__N_125multi_tensor_apply_kernelINS1_18TensorListMetadataILi2EEENS1_14UnaryOpFunctorIN3c107complexIfEELi2ELi1ELi1EEEJNS0_3CosIS8_EEEEEvT_T0_DpT1_
	.p2align	8
	.type	_ZN2at6native12_GLOBAL__N_125multi_tensor_apply_kernelINS1_18TensorListMetadataILi2EEENS1_14UnaryOpFunctorIN3c107complexIfEELi2ELi1ELi1EEEJNS0_3CosIS8_EEEEEvT_T0_DpT1_,@function
_ZN2at6native12_GLOBAL__N_125multi_tensor_apply_kernelINS1_18TensorListMetadataILi2EEENS1_14UnaryOpFunctorIN3c107complexIfEELi2ELi1ELi1EEEJNS0_3CosIS8_EEEEEvT_T0_DpT1_: ; @_ZN2at6native12_GLOBAL__N_125multi_tensor_apply_kernelINS1_18TensorListMetadataILi2EEENS1_14UnaryOpFunctorIN3c107complexIfEELi2ELi1ELi1EEEJNS0_3CosIS8_EEEEEvT_T0_DpT1_
; %bb.0:
	v_dual_mov_b32 v21, v0 :: v_dual_mov_b32 v0, s15
	s_mov_b64 s[12:13], s[0:1]
	s_mov_b32 s5, 0
	s_mov_b32 s32, 0
	;; [unrolled: 1-line block ×3, first 2 shown]
	global_load_u8 v0, v0, s[0:1] offset:1536
	s_add_u32 s0, s12, s15
	s_mul_hi_u32 s1, s15, 3
	s_mul_i32 s15, s15, 3
	s_addc_u32 s2, s13, 0
	s_add_u32 s0, s0, s15
	s_addc_u32 s1, s2, s1
	s_mov_b32 s9, s5
	s_load_b32 s0, s[0:1], 0x740
	s_waitcnt vmcnt(0)
	v_readfirstlane_b32 s3, v0
	s_delay_alu instid0(VALU_DEP_1)
	s_lshl_b32 s1, s3, 3
	s_clause 0x2
	s_load_b64 s[22:23], s[12:13], s1 offset:0x0
	s_load_b64 s[24:25], s[12:13], s1 offset:0x200
	;; [unrolled: 1-line block ×3, first 2 shown]
	s_waitcnt lgkmcnt(0)
	s_ashr_i32 s1, s0, 31
	s_delay_alu instid0(SALU_CYCLE_1) | instskip(NEXT) | instid1(SALU_CYCLE_1)
	s_lshl_b64 s[14:15], s[0:1], 19
	s_add_u32 s11, s22, s14
	s_addc_u32 s18, s23, s15
	s_add_u32 s19, s24, s14
	s_addc_u32 s20, s25, s15
	s_and_b32 s6, s11, 31
	s_and_b32 s8, s2, 3
	;; [unrolled: 1-line block ×3, first 2 shown]
	s_or_b64 s[6:7], s[6:7], s[8:9]
	s_lshl_b64 s[0:1], s[0:1], 16
	s_or_b64 s[4:5], s[4:5], s[6:7]
	s_sub_u32 s16, s2, s0
	s_subb_u32 s17, s3, s1
	s_cmp_eq_u64 s[4:5], 0
	s_mov_b32 s0, -1
	s_cbranch_scc0 .LBB217_5
; %bb.1:
	v_dual_mov_b32 v31, 0 :: v_dual_lshlrev_b32 v30, 2, v21
	s_mov_b32 s21, exec_lo
	s_delay_alu instid0(VALU_DEP_1)
	v_cmpx_gt_i64_e64 s[16:17], v[30:31]
	s_cbranch_execz .LBB217_4
; %bb.2:
	s_load_b32 s0, s[12:13], 0xc5c
	v_lshlrev_b32_e32 v32, 5, v21
	s_mov_b32 s26, 0
	s_waitcnt lgkmcnt(0)
	s_and_b32 s0, s0, 0xffff
	s_delay_alu instid0(SALU_CYCLE_1)
	v_add_lshl_u32 v30, v21, s0, 2
	s_lshl_b32 s27, s0, 2
	s_lshl_b32 s28, s0, 5
.LBB217_3:                              ; =>This Inner Loop Header: Depth=1
	v_add_co_u32 v0, s0, s11, v32
	s_delay_alu instid0(VALU_DEP_1)
	v_add_co_ci_u32_e64 v1, null, s18, 0, s0
	s_getpc_b64 s[34:35]
	s_add_u32 s34, s34, _ZN6thrust23THRUST_200600_302600_NS6detail7complex6ccoshfERKNS0_7complexIfEE@rel32@lo+4
	s_addc_u32 s35, s35, _ZN6thrust23THRUST_200600_302600_NS6detail7complex6ccoshfERKNS0_7complexIfEE@rel32@hi+12
	s_clause 0x1
	global_load_b128 v[22:25], v[0:1], off
	global_load_b128 v[26:29], v[0:1], off offset:16
	s_waitcnt vmcnt(1)
	v_xor_b32_e32 v0, 0x80000000, v23
	v_mov_b32_e32 v1, v22
	s_swappc_b64 s[30:31], s[34:35]
	s_delay_alu instid0(VALU_DEP_1) | instskip(SKIP_3) | instid1(VALU_DEP_1)
	v_dual_mov_b32 v22, v0 :: v_dual_mov_b32 v23, v1
	v_xor_b32_e32 v0, 0x80000000, v25
	v_mov_b32_e32 v1, v24
	s_swappc_b64 s[30:31], s[34:35]
	v_dual_mov_b32 v24, v0 :: v_dual_mov_b32 v25, v1
	v_xor_b32_e32 v0, 0x80000000, v27
	v_mov_b32_e32 v1, v26
	s_swappc_b64 s[30:31], s[34:35]
	s_delay_alu instid0(VALU_DEP_1)
	v_dual_mov_b32 v26, v0 :: v_dual_mov_b32 v27, v1
	v_xor_b32_e32 v0, 0x80000000, v29
	v_mov_b32_e32 v1, v28
	s_swappc_b64 s[30:31], s[34:35]
	v_cmp_le_i64_e32 vcc_lo, s[16:17], v[30:31]
	v_cmp_lt_u64_e64 s0, 0xffff, v[30:31]
	s_delay_alu instid0(VALU_DEP_3) | instskip(SKIP_1) | instid1(VALU_DEP_1)
	v_dual_mov_b32 v28, v0 :: v_dual_mov_b32 v29, v1
	v_add_co_u32 v0, s1, s19, v32
	v_add_co_ci_u32_e64 v1, null, s20, 0, s1
	s_delay_alu instid0(VALU_DEP_4)
	s_or_b32 s0, vcc_lo, s0
	s_add_u32 s11, s11, s28
	v_add_co_u32 v30, s1, v30, s27
	s_addc_u32 s18, s18, 0
	s_add_u32 s19, s19, s28
	v_add_co_ci_u32_e64 v31, s1, 0, v31, s1
	s_addc_u32 s20, s20, 0
	s_and_b32 s0, exec_lo, s0
	s_clause 0x1
	global_store_b128 v[0:1], v[22:25], off
	global_store_b128 v[0:1], v[26:29], off offset:16
	s_or_b32 s26, s0, s26
	s_delay_alu instid0(SALU_CYCLE_1)
	s_and_not1_b32 exec_lo, exec_lo, s26
	s_cbranch_execnz .LBB217_3
.LBB217_4:
	s_or_b32 exec_lo, exec_lo, s21
	s_mov_b32 s0, 0
.LBB217_5:
	s_delay_alu instid0(SALU_CYCLE_1)
	s_and_not1_b32 vcc_lo, exec_lo, s0
	s_cbranch_vccnz .LBB217_25
; %bb.6:
	v_cmp_lt_i64_e64 s0, s[16:17], 1
	s_delay_alu instid0(VALU_DEP_1)
	s_and_b32 vcc_lo, exec_lo, s0
	s_cbranch_vccnz .LBB217_25
; %bb.7:
	s_load_b32 s0, s[12:13], 0xc5c
	v_mov_b32_e32 v22, 0
	v_lshl_or_b32 v0, v21, 3, 4
	v_cmp_gt_u64_e64 s1, 0x10000, s[16:17]
	s_mov_b32 s19, 0
	s_delay_alu instid0(VALU_DEP_3) | instskip(NEXT) | instid1(VALU_DEP_3)
	v_mov_b32_e32 v1, v22
	v_add_co_u32 v29, s2, s22, v0
	s_delay_alu instid0(VALU_DEP_1) | instskip(SKIP_1) | instid1(VALU_DEP_1)
	v_add_co_ci_u32_e64 v30, null, s23, 0, s2
	v_add_co_u32 v31, s2, s24, v0
	v_add_co_ci_u32_e64 v32, null, s25, 0, s2
	s_waitcnt lgkmcnt(0)
	s_and_b32 s26, s0, 0xffff
	s_and_b32 s0, s1, exec_lo
	v_add_lshl_u32 v4, v21, s26, 3
	v_mad_u64_u32 v[2:3], null, s26, 24, v[0:1]
	s_cselect_b32 s21, s17, 0
	s_cselect_b32 s20, s16, 0x10000
	s_delay_alu instid0(VALU_DEP_2) | instskip(NEXT) | instid1(VALU_DEP_1)
	v_add_co_u32 v33, s0, s24, v4
	v_add_co_ci_u32_e64 v34, null, s25, 0, s0
	v_add_co_u32 v37, s0, s22, v4
	s_delay_alu instid0(VALU_DEP_1)
	v_add_co_ci_u32_e64 v38, null, s23, 0, s0
	s_lshl_b32 s0, s26, 4
	v_add_co_u32 v35, vcc_lo, s22, v2
	v_add_co_u32 v0, s0, v0, s0
	v_add_co_ci_u32_e32 v36, vcc_lo, s23, v3, vcc_lo
	v_add_co_ci_u32_e64 v1, null, 0, 0, s0
	v_add_co_u32 v39, vcc_lo, s24, v2
	v_add_co_ci_u32_e32 v40, vcc_lo, s25, v3, vcc_lo
	v_add_co_u32 v41, vcc_lo, s22, v0
	s_delay_alu instid0(VALU_DEP_4)
	v_add_co_ci_u32_e32 v42, vcc_lo, s23, v1, vcc_lo
	v_add_co_u32 v43, vcc_lo, s24, v0
	v_add_co_ci_u32_e32 v44, vcc_lo, s25, v1, vcc_lo
	s_lshl_b32 s18, s26, 2
	s_lshl_b32 s27, s26, 1
	s_mul_i32 s28, s26, 3
	s_lshl_b32 s24, s26, 5
	s_mov_b64 s[22:23], s[18:19]
	s_branch .LBB217_9
.LBB217_8:                              ;   in Loop: Header=BB217_9 Depth=1
	s_or_b32 exec_lo, exec_lo, s12
	v_add_co_u32 v21, vcc_lo, v21, s18
	v_add_co_ci_u32_e32 v22, vcc_lo, 0, v22, vcc_lo
	v_add_co_u32 v29, vcc_lo, v29, s24
	v_add_co_ci_u32_e32 v30, vcc_lo, 0, v30, vcc_lo
	;; [unrolled: 2-line block ×7, first 2 shown]
	v_cmp_ge_i64_e64 s0, s[22:23], s[16:17]
	v_cmp_lt_u64_e64 s1, 0xffff, s[22:23]
	v_add_co_u32 v41, vcc_lo, v41, s24
	v_add_co_ci_u32_e32 v42, vcc_lo, 0, v42, vcc_lo
	v_add_co_u32 v43, vcc_lo, v43, s24
	v_add_co_ci_u32_e32 v44, vcc_lo, 0, v44, vcc_lo
	s_or_b32 s0, s0, s1
	s_add_u32 s22, s22, s18
	s_addc_u32 s23, s23, 0
	s_and_b32 vcc_lo, exec_lo, s0
	s_cbranch_vccnz .LBB217_25
.LBB217_9:                              ; =>This Inner Loop Header: Depth=1
	v_cmp_gt_u64_e32 vcc_lo, s[20:21], v[21:22]
	s_waitcnt vmcnt(0)
	v_dual_mov_b32 v2, 0 :: v_dual_mov_b32 v1, 0
	s_and_saveexec_b32 s1, vcc_lo
	s_cbranch_execz .LBB217_11
; %bb.10:                               ;   in Loop: Header=BB217_9 Depth=1
	v_add_co_u32 v0, s0, v29, s14
	s_delay_alu instid0(VALU_DEP_1)
	v_add_co_ci_u32_e64 v1, s0, s15, v30, s0
	global_load_b64 v[1:2], v[0:1], off offset:-4
.LBB217_11:                             ;   in Loop: Header=BB217_9 Depth=1
	s_or_b32 exec_lo, exec_lo, s1
	v_add_co_u32 v3, s0, s26, v21
	s_delay_alu instid0(VALU_DEP_1) | instskip(SKIP_2) | instid1(VALU_DEP_3)
	v_add_co_ci_u32_e64 v4, s0, 0, v22, s0
	v_dual_mov_b32 v24, 0 :: v_dual_mov_b32 v27, 0
	v_mov_b32_e32 v28, 0
	v_cmp_gt_u64_e64 s13, s[20:21], v[3:4]
	s_delay_alu instid0(VALU_DEP_1)
	s_and_saveexec_b32 s1, s13
	s_cbranch_execz .LBB217_13
; %bb.12:                               ;   in Loop: Header=BB217_9 Depth=1
	v_add_co_u32 v3, s0, v37, s14
	s_delay_alu instid0(VALU_DEP_1)
	v_add_co_ci_u32_e64 v4, s0, s15, v38, s0
	global_load_b64 v[27:28], v[3:4], off
.LBB217_13:                             ;   in Loop: Header=BB217_9 Depth=1
	s_or_b32 exec_lo, exec_lo, s1
	v_add_co_u32 v3, s0, s27, v21
	s_delay_alu instid0(VALU_DEP_1) | instskip(SKIP_1) | instid1(VALU_DEP_2)
	v_add_co_ci_u32_e64 v4, s0, 0, v22, s0
	v_mov_b32_e32 v23, 0
	v_cmp_gt_u64_e64 s12, s[20:21], v[3:4]
	s_delay_alu instid0(VALU_DEP_1)
	s_and_saveexec_b32 s1, s12
	s_cbranch_execz .LBB217_15
; %bb.14:                               ;   in Loop: Header=BB217_9 Depth=1
	v_add_co_u32 v3, s0, v41, s14
	s_delay_alu instid0(VALU_DEP_1)
	v_add_co_ci_u32_e64 v4, s0, s15, v42, s0
	global_load_b64 v[23:24], v[3:4], off offset:-4
.LBB217_15:                             ;   in Loop: Header=BB217_9 Depth=1
	s_or_b32 exec_lo, exec_lo, s1
	v_add_co_u32 v3, s0, s28, v21
	s_delay_alu instid0(VALU_DEP_1) | instskip(SKIP_1) | instid1(VALU_DEP_2)
	v_add_co_ci_u32_e64 v4, s0, 0, v22, s0
	v_dual_mov_b32 v26, 0 :: v_dual_mov_b32 v25, 0
	v_cmp_gt_u64_e64 s11, s[20:21], v[3:4]
	s_delay_alu instid0(VALU_DEP_1)
	s_and_saveexec_b32 s1, s11
	s_cbranch_execnz .LBB217_20
; %bb.16:                               ;   in Loop: Header=BB217_9 Depth=1
	s_or_b32 exec_lo, exec_lo, s1
	s_and_saveexec_b32 s19, vcc_lo
	s_cbranch_execnz .LBB217_21
.LBB217_17:                             ;   in Loop: Header=BB217_9 Depth=1
	s_or_b32 exec_lo, exec_lo, s19
	s_and_saveexec_b32 s19, s13
	s_cbranch_execnz .LBB217_22
.LBB217_18:                             ;   in Loop: Header=BB217_9 Depth=1
	s_or_b32 exec_lo, exec_lo, s19
	s_and_saveexec_b32 s13, s12
	s_cbranch_execnz .LBB217_23
.LBB217_19:                             ;   in Loop: Header=BB217_9 Depth=1
	s_or_b32 exec_lo, exec_lo, s13
	s_and_saveexec_b32 s12, s11
	s_cbranch_execz .LBB217_8
	s_branch .LBB217_24
.LBB217_20:                             ;   in Loop: Header=BB217_9 Depth=1
	v_add_co_u32 v3, s0, v35, s14
	s_delay_alu instid0(VALU_DEP_1)
	v_add_co_ci_u32_e64 v4, s0, s15, v36, s0
	global_load_b64 v[25:26], v[3:4], off offset:-4
	s_or_b32 exec_lo, exec_lo, s1
	s_and_saveexec_b32 s19, vcc_lo
	s_cbranch_execz .LBB217_17
.LBB217_21:                             ;   in Loop: Header=BB217_9 Depth=1
	s_waitcnt vmcnt(0)
	v_xor_b32_e32 v0, 0x80000000, v2
	s_getpc_b64 s[0:1]
	s_add_u32 s0, s0, _ZN6thrust23THRUST_200600_302600_NS6detail7complex6ccoshfERKNS0_7complexIfEE@rel32@lo+4
	s_addc_u32 s1, s1, _ZN6thrust23THRUST_200600_302600_NS6detail7complex6ccoshfERKNS0_7complexIfEE@rel32@hi+12
	s_delay_alu instid0(SALU_CYCLE_1)
	s_swappc_b64 s[30:31], s[0:1]
	v_add_co_u32 v2, vcc_lo, v31, s14
	v_add_co_ci_u32_e32 v3, vcc_lo, s15, v32, vcc_lo
	global_store_b64 v[2:3], v[0:1], off offset:-4
	s_or_b32 exec_lo, exec_lo, s19
	s_and_saveexec_b32 s19, s13
	s_cbranch_execz .LBB217_18
.LBB217_22:                             ;   in Loop: Header=BB217_9 Depth=1
	s_waitcnt vmcnt(0)
	v_xor_b32_e32 v0, 0x80000000, v28
	v_mov_b32_e32 v1, v27
	s_getpc_b64 s[0:1]
	s_add_u32 s0, s0, _ZN6thrust23THRUST_200600_302600_NS6detail7complex6ccoshfERKNS0_7complexIfEE@rel32@lo+4
	s_addc_u32 s1, s1, _ZN6thrust23THRUST_200600_302600_NS6detail7complex6ccoshfERKNS0_7complexIfEE@rel32@hi+12
	s_delay_alu instid0(SALU_CYCLE_1)
	s_swappc_b64 s[30:31], s[0:1]
	v_add_co_u32 v2, vcc_lo, v33, s14
	v_add_co_ci_u32_e32 v3, vcc_lo, s15, v34, vcc_lo
	global_store_b64 v[2:3], v[0:1], off
	s_or_b32 exec_lo, exec_lo, s19
	s_and_saveexec_b32 s13, s12
	s_cbranch_execz .LBB217_19
.LBB217_23:                             ;   in Loop: Header=BB217_9 Depth=1
	s_waitcnt vmcnt(0)
	v_xor_b32_e32 v0, 0x80000000, v24
	v_mov_b32_e32 v1, v23
	s_getpc_b64 s[0:1]
	s_add_u32 s0, s0, _ZN6thrust23THRUST_200600_302600_NS6detail7complex6ccoshfERKNS0_7complexIfEE@rel32@lo+4
	s_addc_u32 s1, s1, _ZN6thrust23THRUST_200600_302600_NS6detail7complex6ccoshfERKNS0_7complexIfEE@rel32@hi+12
	s_delay_alu instid0(SALU_CYCLE_1)
	s_swappc_b64 s[30:31], s[0:1]
	v_add_co_u32 v2, vcc_lo, v43, s14
	v_add_co_ci_u32_e32 v3, vcc_lo, s15, v44, vcc_lo
	global_store_b64 v[2:3], v[0:1], off offset:-4
	s_or_b32 exec_lo, exec_lo, s13
	s_and_saveexec_b32 s12, s11
	s_cbranch_execz .LBB217_8
.LBB217_24:                             ;   in Loop: Header=BB217_9 Depth=1
	s_waitcnt vmcnt(0)
	v_xor_b32_e32 v0, 0x80000000, v26
	v_mov_b32_e32 v1, v25
	s_getpc_b64 s[0:1]
	s_add_u32 s0, s0, _ZN6thrust23THRUST_200600_302600_NS6detail7complex6ccoshfERKNS0_7complexIfEE@rel32@lo+4
	s_addc_u32 s1, s1, _ZN6thrust23THRUST_200600_302600_NS6detail7complex6ccoshfERKNS0_7complexIfEE@rel32@hi+12
	s_delay_alu instid0(SALU_CYCLE_1)
	s_swappc_b64 s[30:31], s[0:1]
	v_add_co_u32 v2, vcc_lo, v39, s14
	v_add_co_ci_u32_e32 v3, vcc_lo, s15, v40, vcc_lo
	global_store_b64 v[2:3], v[0:1], off offset:-4
	s_branch .LBB217_8
.LBB217_25:
	s_endpgm
	.section	.rodata,"a",@progbits
	.p2align	6, 0x0
	.amdhsa_kernel _ZN2at6native12_GLOBAL__N_125multi_tensor_apply_kernelINS1_18TensorListMetadataILi2EEENS1_14UnaryOpFunctorIN3c107complexIfEELi2ELi1ELi1EEEJNS0_3CosIS8_EEEEEvT_T0_DpT1_
		.amdhsa_group_segment_fixed_size 0
		.amdhsa_private_segment_fixed_size 0
		.amdhsa_kernarg_size 3408
		.amdhsa_user_sgpr_count 15
		.amdhsa_user_sgpr_dispatch_ptr 0
		.amdhsa_user_sgpr_queue_ptr 0
		.amdhsa_user_sgpr_kernarg_segment_ptr 1
		.amdhsa_user_sgpr_dispatch_id 0
		.amdhsa_user_sgpr_private_segment_size 0
		.amdhsa_wavefront_size32 1
		.amdhsa_uses_dynamic_stack 0
		.amdhsa_enable_private_segment 0
		.amdhsa_system_sgpr_workgroup_id_x 1
		.amdhsa_system_sgpr_workgroup_id_y 0
		.amdhsa_system_sgpr_workgroup_id_z 0
		.amdhsa_system_sgpr_workgroup_info 0
		.amdhsa_system_vgpr_workitem_id 0
		.amdhsa_next_free_vgpr 45
		.amdhsa_next_free_sgpr 36
		.amdhsa_reserve_vcc 1
		.amdhsa_float_round_mode_32 0
		.amdhsa_float_round_mode_16_64 0
		.amdhsa_float_denorm_mode_32 3
		.amdhsa_float_denorm_mode_16_64 3
		.amdhsa_dx10_clamp 1
		.amdhsa_ieee_mode 1
		.amdhsa_fp16_overflow 0
		.amdhsa_workgroup_processor_mode 1
		.amdhsa_memory_ordered 1
		.amdhsa_forward_progress 0
		.amdhsa_shared_vgpr_count 0
		.amdhsa_exception_fp_ieee_invalid_op 0
		.amdhsa_exception_fp_denorm_src 0
		.amdhsa_exception_fp_ieee_div_zero 0
		.amdhsa_exception_fp_ieee_overflow 0
		.amdhsa_exception_fp_ieee_underflow 0
		.amdhsa_exception_fp_ieee_inexact 0
		.amdhsa_exception_int_div_zero 0
	.end_amdhsa_kernel
	.section	.text._ZN2at6native12_GLOBAL__N_125multi_tensor_apply_kernelINS1_18TensorListMetadataILi2EEENS1_14UnaryOpFunctorIN3c107complexIfEELi2ELi1ELi1EEEJNS0_3CosIS8_EEEEEvT_T0_DpT1_,"axG",@progbits,_ZN2at6native12_GLOBAL__N_125multi_tensor_apply_kernelINS1_18TensorListMetadataILi2EEENS1_14UnaryOpFunctorIN3c107complexIfEELi2ELi1ELi1EEEJNS0_3CosIS8_EEEEEvT_T0_DpT1_,comdat
.Lfunc_end217:
	.size	_ZN2at6native12_GLOBAL__N_125multi_tensor_apply_kernelINS1_18TensorListMetadataILi2EEENS1_14UnaryOpFunctorIN3c107complexIfEELi2ELi1ELi1EEEJNS0_3CosIS8_EEEEEvT_T0_DpT1_, .Lfunc_end217-_ZN2at6native12_GLOBAL__N_125multi_tensor_apply_kernelINS1_18TensorListMetadataILi2EEENS1_14UnaryOpFunctorIN3c107complexIfEELi2ELi1ELi1EEEJNS0_3CosIS8_EEEEEvT_T0_DpT1_
                                        ; -- End function
	.section	.AMDGPU.csdata,"",@progbits
; Kernel info:
; codeLenInByte = 1652
; NumSgprs: 38
; NumVgprs: 45
; ScratchSize: 0
; MemoryBound: 0
; FloatMode: 240
; IeeeMode: 1
; LDSByteSize: 0 bytes/workgroup (compile time only)
; SGPRBlocks: 4
; VGPRBlocks: 5
; NumSGPRsForWavesPerEU: 38
; NumVGPRsForWavesPerEU: 45
; Occupancy: 16
; WaveLimiterHint : 0
; COMPUTE_PGM_RSRC2:SCRATCH_EN: 0
; COMPUTE_PGM_RSRC2:USER_SGPR: 15
; COMPUTE_PGM_RSRC2:TRAP_HANDLER: 0
; COMPUTE_PGM_RSRC2:TGID_X_EN: 1
; COMPUTE_PGM_RSRC2:TGID_Y_EN: 0
; COMPUTE_PGM_RSRC2:TGID_Z_EN: 0
; COMPUTE_PGM_RSRC2:TIDIG_COMP_CNT: 0
	.section	.text._ZN2at6native12_GLOBAL__N_125multi_tensor_apply_kernelINS1_18TensorListMetadataILi2EEENS1_14UnaryOpFunctorIN3c104HalfELi2ELi1ELi1EEEJNS0_3CosIfEEEEEvT_T0_DpT1_,"axG",@progbits,_ZN2at6native12_GLOBAL__N_125multi_tensor_apply_kernelINS1_18TensorListMetadataILi2EEENS1_14UnaryOpFunctorIN3c104HalfELi2ELi1ELi1EEEJNS0_3CosIfEEEEEvT_T0_DpT1_,comdat
	.globl	_ZN2at6native12_GLOBAL__N_125multi_tensor_apply_kernelINS1_18TensorListMetadataILi2EEENS1_14UnaryOpFunctorIN3c104HalfELi2ELi1ELi1EEEJNS0_3CosIfEEEEEvT_T0_DpT1_ ; -- Begin function _ZN2at6native12_GLOBAL__N_125multi_tensor_apply_kernelINS1_18TensorListMetadataILi2EEENS1_14UnaryOpFunctorIN3c104HalfELi2ELi1ELi1EEEJNS0_3CosIfEEEEEvT_T0_DpT1_
	.p2align	8
	.type	_ZN2at6native12_GLOBAL__N_125multi_tensor_apply_kernelINS1_18TensorListMetadataILi2EEENS1_14UnaryOpFunctorIN3c104HalfELi2ELi1ELi1EEEJNS0_3CosIfEEEEEvT_T0_DpT1_,@function
_ZN2at6native12_GLOBAL__N_125multi_tensor_apply_kernelINS1_18TensorListMetadataILi2EEENS1_14UnaryOpFunctorIN3c104HalfELi2ELi1ELi1EEEJNS0_3CosIfEEEEEvT_T0_DpT1_: ; @_ZN2at6native12_GLOBAL__N_125multi_tensor_apply_kernelINS1_18TensorListMetadataILi2EEENS1_14UnaryOpFunctorIN3c104HalfELi2ELi1ELi1EEEJNS0_3CosIfEEEEEvT_T0_DpT1_
; %bb.0:
	v_mov_b32_e32 v1, s15
	s_add_u32 s2, s0, s15
	s_mul_hi_u32 s3, s15, 3
	s_mul_i32 s15, s15, 3
	s_addc_u32 s4, s1, 0
	global_load_u8 v1, v1, s[0:1] offset:1536
	s_add_u32 s2, s2, s15
	s_addc_u32 s3, s4, s3
	s_mov_b32 s19, 0
	s_load_b32 s2, s[2:3], 0x740
	s_mov_b32 s21, s19
	s_mov_b32 s23, s19
	s_waitcnt vmcnt(0)
	v_readfirstlane_b32 s5, v1
	s_delay_alu instid0(VALU_DEP_1)
	s_lshl_b32 s3, s5, 3
	s_clause 0x2
	s_load_b64 s[6:7], s[0:1], s3 offset:0x0
	s_load_b64 s[14:15], s[0:1], s3 offset:0x200
	;; [unrolled: 1-line block ×3, first 2 shown]
	s_waitcnt lgkmcnt(0)
	s_ashr_i32 s3, s2, 31
	s_delay_alu instid0(SALU_CYCLE_1) | instskip(NEXT) | instid1(SALU_CYCLE_1)
	s_lshl_b64 s[8:9], s[2:3], 17
	s_add_u32 s5, s6, s8
	s_addc_u32 s12, s7, s9
	s_and_b32 s18, s5, 7
	s_add_u32 s13, s14, s8
	s_addc_u32 s16, s15, s9
	s_and_b32 s20, s10, 3
	s_and_b32 s22, s13, 7
	s_or_b64 s[18:19], s[18:19], s[20:21]
	s_lshl_b64 s[2:3], s[2:3], 16
	s_or_b64 s[18:19], s[22:23], s[18:19]
	s_sub_u32 s10, s10, s2
	s_subb_u32 s11, s11, s3
	s_cmp_eq_u64 s[18:19], 0
	s_mov_b32 s2, -1
	s_cbranch_scc0 .LBB218_21
; %bb.1:
	v_dual_mov_b32 v2, 0 :: v_dual_lshlrev_b32 v1, 2, v0
	s_mov_b32 s17, exec_lo
	s_delay_alu instid0(VALU_DEP_1)
	v_cmpx_gt_i64_e64 s[10:11], v[1:2]
	s_cbranch_execz .LBB218_20
; %bb.2:
	s_load_b32 s2, s[0:1], 0xc5c
	s_mov_b32 s18, 0
	s_mov_b32 s21, 0x7fffff
	;; [unrolled: 1-line block ×4, first 2 shown]
	s_waitcnt lgkmcnt(0)
	s_and_b32 s2, s2, 0xffff
	s_delay_alu instid0(SALU_CYCLE_1) | instskip(SKIP_3) | instid1(VALU_DEP_2)
	v_add_lshl_u32 v1, v0, s2, 2
	v_dual_mov_b32 v4, v2 :: v_dual_lshlrev_b32 v7, 3, v0
	s_lshl_b32 s19, s2, 2
	s_lshl_b32 s20, s2, 3
	v_mov_b32_e32 v3, v1
	s_branch .LBB218_4
.LBB218_3:                              ;   in Loop: Header=BB218_4 Depth=1
	s_or_b32 exec_lo, exec_lo, s2
	v_dual_mul_f32 v17, v13, v13 :: v_dual_and_b32 v18, 1, v15
	v_mul_f32_e32 v19, v11, v11
	v_cmp_lt_u64_e64 s2, 0xffff, v[3:4]
	v_and_b32_e32 v22, 1, v12
	s_delay_alu instid0(VALU_DEP_4) | instskip(SKIP_3) | instid1(VALU_DEP_4)
	v_fmaak_f32 v20, s22, v17, 0x3c0881c4
	v_fmaak_f32 v21, s23, v17, 0xbab64f3b
	v_lshlrev_b32_e32 v15, 30, v15
	v_dual_fmaak_f32 v24, s23, v19, 0xbab64f3b :: v_dual_mul_f32 v25, v8, v8
	v_fmaak_f32 v20, v17, v20, 0xbe2aaa9d
	v_fmaak_f32 v23, s22, v19, 0x3c0881c4
	s_delay_alu instid0(VALU_DEP_3) | instskip(SKIP_1) | instid1(VALU_DEP_3)
	v_dual_fmaak_f32 v21, v17, v21, 0x3d2aabf7 :: v_dual_fmaak_f32 v24, v19, v24, 0x3d2aabf7
	v_cmp_eq_u32_e32 vcc_lo, 0, v18
	v_dual_mul_f32 v20, v17, v20 :: v_dual_fmaak_f32 v23, v19, v23, 0xbe2aaa9d
	s_delay_alu instid0(VALU_DEP_3) | instskip(NEXT) | instid1(VALU_DEP_4)
	v_dual_mul_f32 v26, v16, v16 :: v_dual_fmaak_f32 v21, v17, v21, 0xbf000004
	v_fmaak_f32 v24, v19, v24, 0xbf000004
	s_delay_alu instid0(VALU_DEP_3) | instskip(NEXT) | instid1(VALU_DEP_4)
	v_fmac_f32_e32 v13, v13, v20
	v_dual_mul_f32 v23, v19, v23 :: v_dual_fmaak_f32 v18, s23, v25, 0xbab64f3b
	s_delay_alu instid0(VALU_DEP_4) | instskip(SKIP_2) | instid1(VALU_DEP_4)
	v_fma_f32 v17, v17, v21, 1.0
	v_and_b32_e32 v15, 0x80000000, v15
	v_fma_f32 v19, v19, v24, 1.0
	v_dual_fmac_f32 v11, v11, v23 :: v_dual_fmaak_f32 v18, v25, v18, 0x3d2aabf7
	s_delay_alu instid0(VALU_DEP_4) | instskip(SKIP_2) | instid1(VALU_DEP_3)
	v_cndmask_b32_e64 v13, -v13, v17, vcc_lo
	v_dual_fmaak_f32 v17, s22, v25, 0x3c0881c4 :: v_dual_lshlrev_b32 v12, 30, v12
	v_cmp_eq_u32_e32 vcc_lo, 0, v22
	v_xor_b32_e32 v13, v15, v13
	s_delay_alu instid0(VALU_DEP_3) | instskip(SKIP_3) | instid1(VALU_DEP_4)
	v_fmaak_f32 v15, v25, v17, 0xbe2aaa9d
	v_fmaak_f32 v17, s22, v26, 0x3c0881c4
	v_cndmask_b32_e64 v11, -v11, v19, vcc_lo
	v_fmaak_f32 v19, s23, v26, 0xbab64f3b
	v_dual_mul_f32 v15, v25, v15 :: v_dual_and_b32 v12, 0x80000000, v12
	s_delay_alu instid0(VALU_DEP_4) | instskip(SKIP_1) | instid1(VALU_DEP_4)
	v_fmaak_f32 v17, v26, v17, 0xbe2aaa9d
	v_fmaak_f32 v18, v25, v18, 0xbf000004
	;; [unrolled: 1-line block ×3, first 2 shown]
	s_delay_alu instid0(VALU_DEP_4) | instskip(NEXT) | instid1(VALU_DEP_4)
	v_xor_b32_e32 v11, v12, v11
	v_dual_fmac_f32 v8, v8, v15 :: v_dual_mul_f32 v15, v26, v17
	s_delay_alu instid0(VALU_DEP_4) | instskip(NEXT) | instid1(VALU_DEP_4)
	v_fma_f32 v18, v25, v18, 1.0
	v_fmaak_f32 v17, v26, v19, 0xbf000004
	v_and_b32_e32 v19, 1, v9
	s_delay_alu instid0(VALU_DEP_4) | instskip(SKIP_1) | instid1(VALU_DEP_4)
	v_dual_fmac_f32 v16, v16, v15 :: v_dual_lshlrev_b32 v9, 30, v9
	v_cvt_f16_f32_e32 v12, v13
	v_fma_f32 v15, v26, v17, 1.0
	v_and_b32_e32 v17, 1, v1
	v_cmp_eq_u32_e32 vcc_lo, 0, v19
	v_lshlrev_b32_e32 v1, 30, v1
	v_and_b32_e32 v9, 0x80000000, v9
	v_cndmask_b32_e64 v8, -v8, v18, vcc_lo
	v_cmp_eq_u32_e32 vcc_lo, 0, v17
	s_delay_alu instid0(VALU_DEP_4) | instskip(NEXT) | instid1(VALU_DEP_3)
	v_and_b32_e32 v1, 0x80000000, v1
	v_xor_b32_e32 v8, v9, v8
	v_cndmask_b32_e64 v15, -v16, v15, vcc_lo
	v_cmp_class_f16_e64 vcc_lo, v6, 0x1f8
	v_cvt_f16_f32_e32 v9, v11
	s_delay_alu instid0(VALU_DEP_4) | instskip(NEXT) | instid1(VALU_DEP_4)
	v_cvt_f16_f32_e32 v6, v8
	v_xor_b32_e32 v1, v1, v15
	v_cndmask_b32_e32 v11, 0x7e00, v12, vcc_lo
	v_cmp_class_f16_e64 vcc_lo, v10, 0x1f8
	s_delay_alu instid0(VALU_DEP_3)
	v_cvt_f16_f32_e32 v1, v1
	v_cndmask_b32_e32 v8, 0x7e00, v9, vcc_lo
	v_cmp_class_f16_e64 vcc_lo, v5, 0x1f8
	v_add_co_u32 v5, s3, s13, v7
	v_cndmask_b32_e32 v10, 0x7e00, v6, vcc_lo
	v_cmp_class_f16_e64 vcc_lo, v14, 0x1f8
	v_add_co_ci_u32_e64 v6, null, s16, 0, s3
	s_delay_alu instid0(VALU_DEP_3) | instskip(SKIP_2) | instid1(VALU_DEP_2)
	v_pack_b32_f16 v8, v10, v8
	v_cndmask_b32_e32 v1, 0x7e00, v1, vcc_lo
	v_cmp_le_i64_e32 vcc_lo, s[10:11], v[3:4]
	v_pack_b32_f16 v9, v11, v1
	s_or_b32 s2, vcc_lo, s2
	s_add_u32 s5, s5, s20
	v_add_co_u32 v3, vcc_lo, v3, s19
	s_addc_u32 s12, s12, 0
	s_add_u32 s13, s13, s20
	v_add_co_ci_u32_e32 v4, vcc_lo, 0, v4, vcc_lo
	s_addc_u32 s16, s16, 0
	s_and_b32 s2, exec_lo, s2
	global_store_b64 v[5:6], v[8:9], off
	s_or_b32 s18, s2, s18
	s_delay_alu instid0(SALU_CYCLE_1)
	s_and_not1_b32 exec_lo, exec_lo, s18
	s_cbranch_execz .LBB218_20
.LBB218_4:                              ; =>This Inner Loop Header: Depth=1
	v_add_co_u32 v5, s2, s5, v7
	s_delay_alu instid0(VALU_DEP_1) | instskip(SKIP_4) | instid1(VALU_DEP_1)
	v_add_co_ci_u32_e64 v6, null, s12, 0, s2
                                        ; implicit-def: $vgpr9
	s_mov_b32 s2, exec_lo
	global_load_b64 v[5:6], v[5:6], off
	s_waitcnt vmcnt(0)
	v_cvt_f32_f16_e64 v8, |v5|
	v_cmpx_ngt_f32_e32 0x48000000, v8
	s_xor_b32 s24, exec_lo, s2
	s_cbranch_execz .LBB218_6
; %bb.5:                                ;   in Loop: Header=BB218_4 Depth=1
	v_and_or_b32 v17, v8, s21, 0x800000
	v_lshrrev_b32_e32 v8, 23, v8
	s_delay_alu instid0(VALU_DEP_2) | instskip(NEXT) | instid1(VALU_DEP_2)
	v_mad_u64_u32 v[9:10], null, 0xfe5163ab, v17, 0
	v_add_nc_u32_e32 v8, 0xffffff88, v8
	s_delay_alu instid0(VALU_DEP_1) | instskip(NEXT) | instid1(VALU_DEP_3)
	v_cmp_lt_u32_e32 vcc_lo, 63, v8
	v_mov_b32_e32 v1, v10
	v_cndmask_b32_e64 v15, 0, 0xffffffc0, vcc_lo
	s_delay_alu instid0(VALU_DEP_2) | instskip(NEXT) | instid1(VALU_DEP_2)
	v_mad_u64_u32 v[10:11], null, 0x3c439041, v17, v[1:2]
	v_add_nc_u32_e32 v8, v15, v8
	s_delay_alu instid0(VALU_DEP_1) | instskip(NEXT) | instid1(VALU_DEP_1)
	v_cmp_lt_u32_e64 s2, 31, v8
	v_cndmask_b32_e64 v16, 0, 0xffffffe0, s2
	s_delay_alu instid0(VALU_DEP_1) | instskip(NEXT) | instid1(VALU_DEP_1)
	v_dual_mov_b32 v1, v11 :: v_dual_add_nc_u32 v8, v16, v8
	v_mad_u64_u32 v[11:12], null, 0xdb629599, v17, v[1:2]
	s_delay_alu instid0(VALU_DEP_2) | instskip(NEXT) | instid1(VALU_DEP_2)
	v_cmp_lt_u32_e64 s3, 31, v8
	v_mov_b32_e32 v1, v12
	s_delay_alu instid0(VALU_DEP_3) | instskip(NEXT) | instid1(VALU_DEP_2)
	v_cndmask_b32_e32 v9, v11, v9, vcc_lo
	v_mad_u64_u32 v[12:13], null, 0xf534ddc0, v17, v[1:2]
	s_delay_alu instid0(VALU_DEP_1) | instskip(NEXT) | instid1(VALU_DEP_1)
	v_mov_b32_e32 v1, v13
	v_mad_u64_u32 v[13:14], null, 0xfc2757d1, v17, v[1:2]
	s_delay_alu instid0(VALU_DEP_1) | instskip(NEXT) | instid1(VALU_DEP_1)
	v_mov_b32_e32 v1, v14
	;; [unrolled: 3-line block ×3, first 2 shown]
	v_mad_u64_u32 v[15:16], null, 0xa2f9836e, v17, v[1:2]
	v_cndmask_b32_e64 v1, 0, 0xffffffe0, s3
	s_delay_alu instid0(VALU_DEP_4) | instskip(NEXT) | instid1(VALU_DEP_2)
	v_cndmask_b32_e32 v17, v14, v12, vcc_lo
	v_dual_cndmask_b32 v8, v12, v10 :: v_dual_add_nc_u32 v1, v1, v8
	s_delay_alu instid0(VALU_DEP_4) | instskip(SKIP_1) | instid1(VALU_DEP_3)
	v_dual_cndmask_b32 v15, v15, v13 :: v_dual_cndmask_b32 v14, v16, v14
	v_cndmask_b32_e32 v13, v13, v11, vcc_lo
	v_cmp_eq_u32_e64 s4, 0, v1
	s_delay_alu instid0(VALU_DEP_3) | instskip(NEXT) | instid1(VALU_DEP_4)
	v_cndmask_b32_e64 v10, v15, v17, s2
	v_cndmask_b32_e64 v12, v14, v15, s2
	s_delay_alu instid0(VALU_DEP_4)
	v_cndmask_b32_e64 v14, v17, v13, s2
	v_sub_nc_u32_e32 v15, 32, v1
	v_cndmask_b32_e64 v13, v13, v8, s2
	v_cndmask_b32_e64 v8, v8, v9, s2
	;; [unrolled: 1-line block ×4, first 2 shown]
	s_delay_alu instid0(VALU_DEP_4) | instskip(NEXT) | instid1(VALU_DEP_4)
	v_cndmask_b32_e64 v14, v14, v13, s3
	v_cndmask_b32_e64 v8, v13, v8, s3
	s_delay_alu instid0(VALU_DEP_3) | instskip(NEXT) | instid1(VALU_DEP_3)
	v_alignbit_b32 v16, v12, v10, v15
	v_alignbit_b32 v17, v10, v14, v15
	s_delay_alu instid0(VALU_DEP_3) | instskip(NEXT) | instid1(VALU_DEP_3)
	v_alignbit_b32 v15, v14, v8, v15
	v_cndmask_b32_e64 v1, v16, v12, s4
	s_delay_alu instid0(VALU_DEP_3) | instskip(NEXT) | instid1(VALU_DEP_3)
	v_cndmask_b32_e64 v10, v17, v10, s4
	v_cndmask_b32_e64 v14, v15, v14, s4
	s_delay_alu instid0(VALU_DEP_3) | instskip(NEXT) | instid1(VALU_DEP_3)
	v_bfe_u32 v11, v1, 29, 1
	v_alignbit_b32 v9, v1, v10, 30
	s_delay_alu instid0(VALU_DEP_3) | instskip(SKIP_1) | instid1(VALU_DEP_4)
	v_alignbit_b32 v10, v10, v14, 30
	v_alignbit_b32 v8, v14, v8, 30
	v_sub_nc_u32_e32 v12, 0, v11
	s_delay_alu instid0(VALU_DEP_1) | instskip(SKIP_3) | instid1(VALU_DEP_4)
	v_xor_b32_e32 v13, v9, v12
	v_cmp_ne_u32_e32 vcc_lo, v9, v12
	v_xor_b32_e32 v10, v10, v12
	v_xor_b32_e32 v8, v8, v12
	v_clz_i32_u32_e32 v16, v13
	s_delay_alu instid0(VALU_DEP_1) | instskip(NEXT) | instid1(VALU_DEP_1)
	v_add_nc_u32_e32 v15, 1, v16
	v_cndmask_b32_e32 v9, 33, v15, vcc_lo
	s_delay_alu instid0(VALU_DEP_1) | instskip(NEXT) | instid1(VALU_DEP_1)
	v_sub_nc_u32_e32 v14, 32, v9
	v_alignbit_b32 v12, v13, v10, v14
	v_alignbit_b32 v8, v10, v8, v14
	v_lshrrev_b32_e32 v10, 29, v1
	v_lshrrev_b32_e32 v1, 30, v1
	s_delay_alu instid0(VALU_DEP_3) | instskip(NEXT) | instid1(VALU_DEP_3)
	v_alignbit_b32 v13, v12, v8, 9
	v_lshlrev_b32_e32 v10, 31, v10
	v_alignbit_b32 v12, v9, v12, 9
	s_delay_alu instid0(VALU_DEP_3) | instskip(NEXT) | instid1(VALU_DEP_2)
	v_clz_i32_u32_e32 v14, v13
	v_or_b32_e32 v12, v12, v10
	v_or_b32_e32 v10, 0x33800000, v10
	s_delay_alu instid0(VALU_DEP_3) | instskip(NEXT) | instid1(VALU_DEP_3)
	v_min_u32_e32 v14, 32, v14
	v_xor_b32_e32 v12, 1.0, v12
	s_delay_alu instid0(VALU_DEP_2) | instskip(SKIP_1) | instid1(VALU_DEP_3)
	v_sub_nc_u32_e32 v15, 31, v14
	v_add_lshl_u32 v9, v14, v9, 23
	v_mul_f32_e32 v14, 0x3fc90fda, v12
	s_delay_alu instid0(VALU_DEP_3) | instskip(NEXT) | instid1(VALU_DEP_3)
	v_alignbit_b32 v8, v13, v8, v15
	v_sub_nc_u32_e32 v9, v10, v9
	s_delay_alu instid0(VALU_DEP_3) | instskip(NEXT) | instid1(VALU_DEP_3)
	v_fma_f32 v10, 0x3fc90fda, v12, -v14
	v_lshrrev_b32_e32 v8, 9, v8
	s_delay_alu instid0(VALU_DEP_2) | instskip(NEXT) | instid1(VALU_DEP_2)
	v_fmac_f32_e32 v10, 0x33a22168, v12
	v_or_b32_e32 v8, v9, v8
	s_delay_alu instid0(VALU_DEP_1) | instskip(NEXT) | instid1(VALU_DEP_1)
	v_dual_fmac_f32 v10, 0x3fc90fda, v8 :: v_dual_add_nc_u32 v9, v11, v1
	v_add_f32_e32 v8, v14, v10
.LBB218_6:                              ;   in Loop: Header=BB218_4 Depth=1
	s_and_not1_saveexec_b32 s2, s24
; %bb.7:                                ;   in Loop: Header=BB218_4 Depth=1
	s_delay_alu instid0(VALU_DEP_1) | instskip(NEXT) | instid1(VALU_DEP_1)
	v_mul_f32_e32 v1, 0x3f22f983, v8
	v_rndne_f32_e32 v1, v1
	s_delay_alu instid0(VALU_DEP_1) | instskip(SKIP_1) | instid1(VALU_DEP_2)
	v_fmac_f32_e32 v8, 0xbfc90fda, v1
	v_cvt_i32_f32_e32 v9, v1
	v_fmac_f32_e32 v8, 0xb3a22168, v1
	s_delay_alu instid0(VALU_DEP_1)
	v_fmac_f32_e32 v8, 0xa7c234c4, v1
; %bb.8:                                ;   in Loop: Header=BB218_4 Depth=1
	s_or_b32 exec_lo, exec_lo, s2
	v_lshrrev_b32_e32 v10, 16, v5
                                        ; implicit-def: $vgpr12
	s_mov_b32 s2, exec_lo
	s_delay_alu instid0(VALU_DEP_1) | instskip(NEXT) | instid1(VALU_DEP_1)
	v_cvt_f32_f16_e64 v11, |v10|
	v_cmpx_ngt_f32_e32 0x48000000, v11
	s_xor_b32 s24, exec_lo, s2
	s_cbranch_execz .LBB218_10
; %bb.9:                                ;   in Loop: Header=BB218_4 Depth=1
	v_and_or_b32 v20, v11, s21, 0x800000
	v_lshrrev_b32_e32 v11, 23, v11
	s_delay_alu instid0(VALU_DEP_2) | instskip(NEXT) | instid1(VALU_DEP_2)
	v_mad_u64_u32 v[12:13], null, 0xfe5163ab, v20, 0
	v_add_nc_u32_e32 v11, 0xffffff88, v11
	s_delay_alu instid0(VALU_DEP_1) | instskip(NEXT) | instid1(VALU_DEP_3)
	v_cmp_lt_u32_e32 vcc_lo, 63, v11
	v_mov_b32_e32 v1, v13
	v_cndmask_b32_e64 v18, 0, 0xffffffc0, vcc_lo
	s_delay_alu instid0(VALU_DEP_2) | instskip(NEXT) | instid1(VALU_DEP_2)
	v_mad_u64_u32 v[13:14], null, 0x3c439041, v20, v[1:2]
	v_add_nc_u32_e32 v11, v18, v11
	s_delay_alu instid0(VALU_DEP_2) | instskip(NEXT) | instid1(VALU_DEP_2)
	v_mov_b32_e32 v1, v14
	v_cmp_lt_u32_e64 s2, 31, v11
	s_delay_alu instid0(VALU_DEP_2) | instskip(NEXT) | instid1(VALU_DEP_2)
	v_mad_u64_u32 v[14:15], null, 0xdb629599, v20, v[1:2]
	v_cndmask_b32_e64 v19, 0, 0xffffffe0, s2
	s_delay_alu instid0(VALU_DEP_1) | instskip(NEXT) | instid1(VALU_DEP_3)
	v_add_nc_u32_e32 v11, v19, v11
	v_dual_mov_b32 v1, v15 :: v_dual_cndmask_b32 v12, v14, v12
	s_delay_alu instid0(VALU_DEP_2) | instskip(NEXT) | instid1(VALU_DEP_2)
	v_cmp_lt_u32_e64 s3, 31, v11
	v_mad_u64_u32 v[15:16], null, 0xf534ddc0, v20, v[1:2]
	s_delay_alu instid0(VALU_DEP_1) | instskip(NEXT) | instid1(VALU_DEP_1)
	v_mov_b32_e32 v1, v16
	v_mad_u64_u32 v[16:17], null, 0xfc2757d1, v20, v[1:2]
	s_delay_alu instid0(VALU_DEP_1) | instskip(NEXT) | instid1(VALU_DEP_1)
	v_mov_b32_e32 v1, v17
	;; [unrolled: 3-line block ×3, first 2 shown]
	v_mad_u64_u32 v[18:19], null, 0xa2f9836e, v20, v[1:2]
	v_cndmask_b32_e64 v1, 0, 0xffffffe0, s3
	s_delay_alu instid0(VALU_DEP_4) | instskip(NEXT) | instid1(VALU_DEP_2)
	v_cndmask_b32_e32 v20, v17, v15, vcc_lo
	v_dual_cndmask_b32 v18, v18, v16 :: v_dual_add_nc_u32 v1, v1, v11
	s_delay_alu instid0(VALU_DEP_4) | instskip(SKIP_1) | instid1(VALU_DEP_3)
	v_dual_cndmask_b32 v17, v19, v17 :: v_dual_cndmask_b32 v16, v16, v14
	v_cndmask_b32_e32 v11, v15, v13, vcc_lo
	v_cmp_eq_u32_e64 s4, 0, v1
	s_delay_alu instid0(VALU_DEP_4) | instskip(NEXT) | instid1(VALU_DEP_4)
	v_cndmask_b32_e64 v13, v18, v20, s2
	v_cndmask_b32_e64 v15, v17, v18, s2
	;; [unrolled: 1-line block ×3, first 2 shown]
	v_sub_nc_u32_e32 v18, 32, v1
	v_cndmask_b32_e64 v16, v16, v11, s2
	v_cndmask_b32_e64 v11, v11, v12, s2
	;; [unrolled: 1-line block ×4, first 2 shown]
	s_delay_alu instid0(VALU_DEP_4) | instskip(NEXT) | instid1(VALU_DEP_4)
	v_cndmask_b32_e64 v17, v17, v16, s3
	v_cndmask_b32_e64 v11, v16, v11, s3
	s_delay_alu instid0(VALU_DEP_3) | instskip(NEXT) | instid1(VALU_DEP_3)
	v_alignbit_b32 v19, v15, v13, v18
	v_alignbit_b32 v20, v13, v17, v18
	s_delay_alu instid0(VALU_DEP_3) | instskip(NEXT) | instid1(VALU_DEP_3)
	v_alignbit_b32 v18, v17, v11, v18
	v_cndmask_b32_e64 v1, v19, v15, s4
	s_delay_alu instid0(VALU_DEP_3) | instskip(NEXT) | instid1(VALU_DEP_3)
	v_cndmask_b32_e64 v13, v20, v13, s4
	v_cndmask_b32_e64 v17, v18, v17, s4
	s_delay_alu instid0(VALU_DEP_3) | instskip(NEXT) | instid1(VALU_DEP_3)
	v_bfe_u32 v14, v1, 29, 1
	v_alignbit_b32 v12, v1, v13, 30
	s_delay_alu instid0(VALU_DEP_3) | instskip(SKIP_1) | instid1(VALU_DEP_4)
	v_alignbit_b32 v13, v13, v17, 30
	v_alignbit_b32 v11, v17, v11, 30
	v_sub_nc_u32_e32 v15, 0, v14
	s_delay_alu instid0(VALU_DEP_1) | instskip(SKIP_3) | instid1(VALU_DEP_4)
	v_xor_b32_e32 v16, v12, v15
	v_cmp_ne_u32_e32 vcc_lo, v12, v15
	v_xor_b32_e32 v13, v13, v15
	v_xor_b32_e32 v11, v11, v15
	v_clz_i32_u32_e32 v19, v16
	s_delay_alu instid0(VALU_DEP_1) | instskip(NEXT) | instid1(VALU_DEP_1)
	v_add_nc_u32_e32 v18, 1, v19
	v_cndmask_b32_e32 v12, 33, v18, vcc_lo
	s_delay_alu instid0(VALU_DEP_1) | instskip(NEXT) | instid1(VALU_DEP_1)
	v_sub_nc_u32_e32 v17, 32, v12
	v_alignbit_b32 v15, v16, v13, v17
	v_alignbit_b32 v11, v13, v11, v17
	v_lshrrev_b32_e32 v13, 29, v1
	v_lshrrev_b32_e32 v1, 30, v1
	s_delay_alu instid0(VALU_DEP_3) | instskip(NEXT) | instid1(VALU_DEP_3)
	v_alignbit_b32 v16, v15, v11, 9
	v_lshlrev_b32_e32 v13, 31, v13
	v_alignbit_b32 v15, v12, v15, 9
	s_delay_alu instid0(VALU_DEP_3) | instskip(NEXT) | instid1(VALU_DEP_2)
	v_clz_i32_u32_e32 v17, v16
	v_or_b32_e32 v15, v15, v13
	v_or_b32_e32 v13, 0x33800000, v13
	s_delay_alu instid0(VALU_DEP_3) | instskip(NEXT) | instid1(VALU_DEP_3)
	v_min_u32_e32 v17, 32, v17
	v_xor_b32_e32 v15, 1.0, v15
	s_delay_alu instid0(VALU_DEP_2) | instskip(SKIP_1) | instid1(VALU_DEP_3)
	v_sub_nc_u32_e32 v18, 31, v17
	v_add_lshl_u32 v12, v17, v12, 23
	v_mul_f32_e32 v17, 0x3fc90fda, v15
	s_delay_alu instid0(VALU_DEP_3) | instskip(NEXT) | instid1(VALU_DEP_3)
	v_alignbit_b32 v11, v16, v11, v18
	v_sub_nc_u32_e32 v12, v13, v12
	s_delay_alu instid0(VALU_DEP_2) | instskip(NEXT) | instid1(VALU_DEP_1)
	v_lshrrev_b32_e32 v11, 9, v11
	v_or_b32_e32 v11, v12, v11
	v_add_nc_u32_e32 v12, v14, v1
	v_fma_f32 v13, 0x3fc90fda, v15, -v17
	s_delay_alu instid0(VALU_DEP_1) | instskip(NEXT) | instid1(VALU_DEP_1)
	v_fmac_f32_e32 v13, 0x33a22168, v15
	v_fmac_f32_e32 v13, 0x3fc90fda, v11
	s_delay_alu instid0(VALU_DEP_1)
	v_add_f32_e32 v11, v17, v13
.LBB218_10:                             ;   in Loop: Header=BB218_4 Depth=1
	s_and_not1_saveexec_b32 s2, s24
; %bb.11:                               ;   in Loop: Header=BB218_4 Depth=1
	s_delay_alu instid0(VALU_DEP_1) | instskip(NEXT) | instid1(VALU_DEP_1)
	v_mul_f32_e32 v1, 0x3f22f983, v11
	v_rndne_f32_e32 v1, v1
	s_delay_alu instid0(VALU_DEP_1) | instskip(SKIP_1) | instid1(VALU_DEP_2)
	v_fmac_f32_e32 v11, 0xbfc90fda, v1
	v_cvt_i32_f32_e32 v12, v1
	v_fmac_f32_e32 v11, 0xb3a22168, v1
	s_delay_alu instid0(VALU_DEP_1)
	v_fmac_f32_e32 v11, 0xa7c234c4, v1
; %bb.12:                               ;   in Loop: Header=BB218_4 Depth=1
	s_or_b32 exec_lo, exec_lo, s2
	v_cvt_f32_f16_e64 v13, |v6|
                                        ; implicit-def: $vgpr15
	s_mov_b32 s2, exec_lo
	s_delay_alu instid0(VALU_DEP_1)
	v_cmpx_ngt_f32_e32 0x48000000, v13
	s_xor_b32 s24, exec_lo, s2
	s_cbranch_execz .LBB218_14
; %bb.13:                               ;   in Loop: Header=BB218_4 Depth=1
	v_and_or_b32 v22, v13, s21, 0x800000
	v_lshrrev_b32_e32 v13, 23, v13
	s_delay_alu instid0(VALU_DEP_2) | instskip(NEXT) | instid1(VALU_DEP_2)
	v_mad_u64_u32 v[14:15], null, 0xfe5163ab, v22, 0
	v_add_nc_u32_e32 v13, 0xffffff88, v13
	s_delay_alu instid0(VALU_DEP_1) | instskip(NEXT) | instid1(VALU_DEP_3)
	v_cmp_lt_u32_e32 vcc_lo, 63, v13
	v_mov_b32_e32 v1, v15
	v_cndmask_b32_e64 v20, 0, 0xffffffc0, vcc_lo
	s_delay_alu instid0(VALU_DEP_2) | instskip(NEXT) | instid1(VALU_DEP_2)
	v_mad_u64_u32 v[15:16], null, 0x3c439041, v22, v[1:2]
	v_add_nc_u32_e32 v13, v20, v13
	s_delay_alu instid0(VALU_DEP_2) | instskip(NEXT) | instid1(VALU_DEP_2)
	v_mov_b32_e32 v1, v16
	v_cmp_lt_u32_e64 s2, 31, v13
	s_delay_alu instid0(VALU_DEP_2) | instskip(NEXT) | instid1(VALU_DEP_2)
	v_mad_u64_u32 v[16:17], null, 0xdb629599, v22, v[1:2]
	v_cndmask_b32_e64 v21, 0, 0xffffffe0, s2
	s_delay_alu instid0(VALU_DEP_1) | instskip(NEXT) | instid1(VALU_DEP_3)
	v_add_nc_u32_e32 v13, v21, v13
	v_dual_mov_b32 v1, v17 :: v_dual_cndmask_b32 v14, v16, v14
	s_delay_alu instid0(VALU_DEP_2) | instskip(NEXT) | instid1(VALU_DEP_2)
	v_cmp_lt_u32_e64 s3, 31, v13
	v_mad_u64_u32 v[17:18], null, 0xf534ddc0, v22, v[1:2]
	s_delay_alu instid0(VALU_DEP_1) | instskip(NEXT) | instid1(VALU_DEP_1)
	v_mov_b32_e32 v1, v18
	v_mad_u64_u32 v[18:19], null, 0xfc2757d1, v22, v[1:2]
	s_delay_alu instid0(VALU_DEP_1) | instskip(NEXT) | instid1(VALU_DEP_1)
	v_mov_b32_e32 v1, v19
	;; [unrolled: 3-line block ×3, first 2 shown]
	v_mad_u64_u32 v[20:21], null, 0xa2f9836e, v22, v[1:2]
	v_cndmask_b32_e64 v1, 0, 0xffffffe0, s3
	s_delay_alu instid0(VALU_DEP_4) | instskip(NEXT) | instid1(VALU_DEP_2)
	v_cndmask_b32_e32 v22, v19, v17, vcc_lo
	v_dual_cndmask_b32 v20, v20, v18 :: v_dual_add_nc_u32 v1, v1, v13
	s_delay_alu instid0(VALU_DEP_4) | instskip(SKIP_1) | instid1(VALU_DEP_3)
	v_dual_cndmask_b32 v19, v21, v19 :: v_dual_cndmask_b32 v18, v18, v16
	v_cndmask_b32_e32 v13, v17, v15, vcc_lo
	v_cmp_eq_u32_e64 s4, 0, v1
	s_delay_alu instid0(VALU_DEP_4) | instskip(NEXT) | instid1(VALU_DEP_4)
	v_cndmask_b32_e64 v15, v20, v22, s2
	v_cndmask_b32_e64 v17, v19, v20, s2
	;; [unrolled: 1-line block ×3, first 2 shown]
	v_sub_nc_u32_e32 v20, 32, v1
	v_cndmask_b32_e64 v18, v18, v13, s2
	v_cndmask_b32_e64 v13, v13, v14, s2
	v_cndmask_b32_e64 v17, v17, v15, s3
	v_cndmask_b32_e64 v15, v15, v19, s3
	s_delay_alu instid0(VALU_DEP_4) | instskip(NEXT) | instid1(VALU_DEP_4)
	v_cndmask_b32_e64 v19, v19, v18, s3
	v_cndmask_b32_e64 v13, v18, v13, s3
	s_delay_alu instid0(VALU_DEP_3) | instskip(NEXT) | instid1(VALU_DEP_3)
	v_alignbit_b32 v21, v17, v15, v20
	v_alignbit_b32 v22, v15, v19, v20
	s_delay_alu instid0(VALU_DEP_3) | instskip(NEXT) | instid1(VALU_DEP_3)
	v_alignbit_b32 v20, v19, v13, v20
	v_cndmask_b32_e64 v1, v21, v17, s4
	s_delay_alu instid0(VALU_DEP_3) | instskip(NEXT) | instid1(VALU_DEP_3)
	v_cndmask_b32_e64 v15, v22, v15, s4
	v_cndmask_b32_e64 v19, v20, v19, s4
	s_delay_alu instid0(VALU_DEP_3) | instskip(NEXT) | instid1(VALU_DEP_3)
	v_bfe_u32 v16, v1, 29, 1
	v_alignbit_b32 v14, v1, v15, 30
	s_delay_alu instid0(VALU_DEP_3) | instskip(SKIP_1) | instid1(VALU_DEP_4)
	v_alignbit_b32 v15, v15, v19, 30
	v_alignbit_b32 v13, v19, v13, 30
	v_sub_nc_u32_e32 v17, 0, v16
	s_delay_alu instid0(VALU_DEP_1) | instskip(SKIP_3) | instid1(VALU_DEP_4)
	v_xor_b32_e32 v18, v14, v17
	v_cmp_ne_u32_e32 vcc_lo, v14, v17
	v_xor_b32_e32 v15, v15, v17
	v_xor_b32_e32 v13, v13, v17
	v_clz_i32_u32_e32 v21, v18
	s_delay_alu instid0(VALU_DEP_1) | instskip(NEXT) | instid1(VALU_DEP_1)
	v_add_nc_u32_e32 v20, 1, v21
	v_cndmask_b32_e32 v14, 33, v20, vcc_lo
	s_delay_alu instid0(VALU_DEP_1) | instskip(NEXT) | instid1(VALU_DEP_1)
	v_sub_nc_u32_e32 v19, 32, v14
	v_alignbit_b32 v17, v18, v15, v19
	v_alignbit_b32 v13, v15, v13, v19
	v_lshrrev_b32_e32 v15, 29, v1
	v_lshrrev_b32_e32 v1, 30, v1
	s_delay_alu instid0(VALU_DEP_3) | instskip(NEXT) | instid1(VALU_DEP_3)
	v_alignbit_b32 v18, v17, v13, 9
	v_lshlrev_b32_e32 v15, 31, v15
	v_alignbit_b32 v17, v14, v17, 9
	s_delay_alu instid0(VALU_DEP_3) | instskip(NEXT) | instid1(VALU_DEP_2)
	v_clz_i32_u32_e32 v19, v18
	v_or_b32_e32 v17, v17, v15
	v_or_b32_e32 v15, 0x33800000, v15
	s_delay_alu instid0(VALU_DEP_3) | instskip(NEXT) | instid1(VALU_DEP_3)
	v_min_u32_e32 v19, 32, v19
	v_xor_b32_e32 v17, 1.0, v17
	s_delay_alu instid0(VALU_DEP_2) | instskip(SKIP_1) | instid1(VALU_DEP_3)
	v_sub_nc_u32_e32 v20, 31, v19
	v_add_lshl_u32 v14, v19, v14, 23
	v_mul_f32_e32 v19, 0x3fc90fda, v17
	s_delay_alu instid0(VALU_DEP_3) | instskip(NEXT) | instid1(VALU_DEP_3)
	v_alignbit_b32 v13, v18, v13, v20
	v_sub_nc_u32_e32 v14, v15, v14
	s_delay_alu instid0(VALU_DEP_3) | instskip(NEXT) | instid1(VALU_DEP_3)
	v_fma_f32 v15, 0x3fc90fda, v17, -v19
	v_lshrrev_b32_e32 v13, 9, v13
	s_delay_alu instid0(VALU_DEP_2) | instskip(NEXT) | instid1(VALU_DEP_2)
	v_fmac_f32_e32 v15, 0x33a22168, v17
	v_or_b32_e32 v13, v14, v13
	s_delay_alu instid0(VALU_DEP_1) | instskip(NEXT) | instid1(VALU_DEP_1)
	v_fmac_f32_e32 v15, 0x3fc90fda, v13
	v_add_f32_e32 v13, v19, v15
	v_add_nc_u32_e32 v15, v16, v1
.LBB218_14:                             ;   in Loop: Header=BB218_4 Depth=1
	s_and_not1_saveexec_b32 s2, s24
; %bb.15:                               ;   in Loop: Header=BB218_4 Depth=1
	s_delay_alu instid0(VALU_DEP_2) | instskip(NEXT) | instid1(VALU_DEP_1)
	v_mul_f32_e32 v1, 0x3f22f983, v13
	v_rndne_f32_e32 v1, v1
	s_delay_alu instid0(VALU_DEP_1) | instskip(SKIP_1) | instid1(VALU_DEP_2)
	v_fmac_f32_e32 v13, 0xbfc90fda, v1
	v_cvt_i32_f32_e32 v15, v1
	v_fmac_f32_e32 v13, 0xb3a22168, v1
	s_delay_alu instid0(VALU_DEP_1)
	v_fmac_f32_e32 v13, 0xa7c234c4, v1
; %bb.16:                               ;   in Loop: Header=BB218_4 Depth=1
	s_or_b32 exec_lo, exec_lo, s2
	v_lshrrev_b32_e32 v14, 16, v6
                                        ; implicit-def: $vgpr1
	s_mov_b32 s2, exec_lo
	s_delay_alu instid0(VALU_DEP_1) | instskip(NEXT) | instid1(VALU_DEP_1)
	v_cvt_f32_f16_e64 v16, |v14|
	v_cmpx_ngt_f32_e32 0x48000000, v16
	s_xor_b32 s24, exec_lo, s2
	s_cbranch_execz .LBB218_18
; %bb.17:                               ;   in Loop: Header=BB218_4 Depth=1
	v_and_or_b32 v25, v16, s21, 0x800000
	v_lshrrev_b32_e32 v16, 23, v16
	s_delay_alu instid0(VALU_DEP_2) | instskip(NEXT) | instid1(VALU_DEP_2)
	v_mad_u64_u32 v[17:18], null, 0xfe5163ab, v25, 0
	v_add_nc_u32_e32 v16, 0xffffff88, v16
	s_delay_alu instid0(VALU_DEP_1) | instskip(NEXT) | instid1(VALU_DEP_3)
	v_cmp_lt_u32_e32 vcc_lo, 63, v16
	v_mov_b32_e32 v1, v18
	v_cndmask_b32_e64 v23, 0, 0xffffffc0, vcc_lo
	s_delay_alu instid0(VALU_DEP_2) | instskip(NEXT) | instid1(VALU_DEP_2)
	v_mad_u64_u32 v[18:19], null, 0x3c439041, v25, v[1:2]
	v_add_nc_u32_e32 v16, v23, v16
	s_delay_alu instid0(VALU_DEP_1) | instskip(NEXT) | instid1(VALU_DEP_1)
	v_cmp_lt_u32_e64 s2, 31, v16
	v_cndmask_b32_e64 v24, 0, 0xffffffe0, s2
	s_delay_alu instid0(VALU_DEP_1) | instskip(NEXT) | instid1(VALU_DEP_1)
	v_dual_mov_b32 v1, v19 :: v_dual_add_nc_u32 v16, v24, v16
	v_mad_u64_u32 v[19:20], null, 0xdb629599, v25, v[1:2]
	s_delay_alu instid0(VALU_DEP_2) | instskip(NEXT) | instid1(VALU_DEP_2)
	v_cmp_lt_u32_e64 s3, 31, v16
	v_mov_b32_e32 v1, v20
	s_delay_alu instid0(VALU_DEP_3) | instskip(NEXT) | instid1(VALU_DEP_2)
	v_cndmask_b32_e32 v17, v19, v17, vcc_lo
	v_mad_u64_u32 v[20:21], null, 0xf534ddc0, v25, v[1:2]
	s_delay_alu instid0(VALU_DEP_1) | instskip(NEXT) | instid1(VALU_DEP_1)
	v_mov_b32_e32 v1, v21
	v_mad_u64_u32 v[21:22], null, 0xfc2757d1, v25, v[1:2]
	s_delay_alu instid0(VALU_DEP_1) | instskip(NEXT) | instid1(VALU_DEP_1)
	v_mov_b32_e32 v1, v22
	;; [unrolled: 3-line block ×3, first 2 shown]
	v_mad_u64_u32 v[23:24], null, 0xa2f9836e, v25, v[1:2]
	v_cndmask_b32_e64 v1, 0, 0xffffffe0, s3
	s_delay_alu instid0(VALU_DEP_4) | instskip(NEXT) | instid1(VALU_DEP_2)
	v_cndmask_b32_e32 v25, v22, v20, vcc_lo
	v_dual_cndmask_b32 v16, v20, v18 :: v_dual_add_nc_u32 v1, v1, v16
	s_delay_alu instid0(VALU_DEP_4) | instskip(SKIP_1) | instid1(VALU_DEP_3)
	v_dual_cndmask_b32 v23, v23, v21 :: v_dual_cndmask_b32 v22, v24, v22
	v_cndmask_b32_e32 v21, v21, v19, vcc_lo
	v_cmp_eq_u32_e64 s4, 0, v1
	s_delay_alu instid0(VALU_DEP_3) | instskip(NEXT) | instid1(VALU_DEP_4)
	v_cndmask_b32_e64 v18, v23, v25, s2
	v_cndmask_b32_e64 v20, v22, v23, s2
	s_delay_alu instid0(VALU_DEP_4)
	v_cndmask_b32_e64 v22, v25, v21, s2
	v_sub_nc_u32_e32 v23, 32, v1
	v_cndmask_b32_e64 v21, v21, v16, s2
	v_cndmask_b32_e64 v16, v16, v17, s2
	;; [unrolled: 1-line block ×4, first 2 shown]
	s_delay_alu instid0(VALU_DEP_4) | instskip(NEXT) | instid1(VALU_DEP_4)
	v_cndmask_b32_e64 v22, v22, v21, s3
	v_cndmask_b32_e64 v16, v21, v16, s3
	s_delay_alu instid0(VALU_DEP_3) | instskip(NEXT) | instid1(VALU_DEP_3)
	v_alignbit_b32 v24, v20, v18, v23
	v_alignbit_b32 v25, v18, v22, v23
	s_delay_alu instid0(VALU_DEP_3) | instskip(NEXT) | instid1(VALU_DEP_3)
	v_alignbit_b32 v23, v22, v16, v23
	v_cndmask_b32_e64 v1, v24, v20, s4
	s_delay_alu instid0(VALU_DEP_3) | instskip(NEXT) | instid1(VALU_DEP_3)
	v_cndmask_b32_e64 v18, v25, v18, s4
	v_cndmask_b32_e64 v22, v23, v22, s4
	s_delay_alu instid0(VALU_DEP_3) | instskip(NEXT) | instid1(VALU_DEP_3)
	v_bfe_u32 v19, v1, 29, 1
	v_alignbit_b32 v17, v1, v18, 30
	s_delay_alu instid0(VALU_DEP_3) | instskip(SKIP_1) | instid1(VALU_DEP_4)
	v_alignbit_b32 v18, v18, v22, 30
	v_alignbit_b32 v16, v22, v16, 30
	v_sub_nc_u32_e32 v20, 0, v19
	s_delay_alu instid0(VALU_DEP_1) | instskip(SKIP_3) | instid1(VALU_DEP_4)
	v_xor_b32_e32 v21, v17, v20
	v_cmp_ne_u32_e32 vcc_lo, v17, v20
	v_xor_b32_e32 v18, v18, v20
	v_xor_b32_e32 v16, v16, v20
	v_clz_i32_u32_e32 v24, v21
	s_delay_alu instid0(VALU_DEP_1) | instskip(NEXT) | instid1(VALU_DEP_1)
	v_add_nc_u32_e32 v23, 1, v24
	v_cndmask_b32_e32 v17, 33, v23, vcc_lo
	s_delay_alu instid0(VALU_DEP_1) | instskip(NEXT) | instid1(VALU_DEP_1)
	v_sub_nc_u32_e32 v22, 32, v17
	v_alignbit_b32 v20, v21, v18, v22
	v_alignbit_b32 v16, v18, v16, v22
	v_lshrrev_b32_e32 v18, 29, v1
	v_lshrrev_b32_e32 v1, 30, v1
	s_delay_alu instid0(VALU_DEP_3) | instskip(NEXT) | instid1(VALU_DEP_3)
	v_alignbit_b32 v21, v20, v16, 9
	v_lshlrev_b32_e32 v18, 31, v18
	v_alignbit_b32 v20, v17, v20, 9
	s_delay_alu instid0(VALU_DEP_4) | instskip(NEXT) | instid1(VALU_DEP_4)
	v_add_nc_u32_e32 v1, v19, v1
	v_clz_i32_u32_e32 v22, v21
	s_delay_alu instid0(VALU_DEP_3) | instskip(SKIP_1) | instid1(VALU_DEP_3)
	v_or_b32_e32 v20, v20, v18
	v_or_b32_e32 v18, 0x33800000, v18
	v_min_u32_e32 v22, 32, v22
	s_delay_alu instid0(VALU_DEP_3) | instskip(NEXT) | instid1(VALU_DEP_2)
	v_xor_b32_e32 v20, 1.0, v20
	v_sub_nc_u32_e32 v23, 31, v22
	v_add_lshl_u32 v17, v22, v17, 23
	s_delay_alu instid0(VALU_DEP_3) | instskip(NEXT) | instid1(VALU_DEP_3)
	v_mul_f32_e32 v22, 0x3fc90fda, v20
	v_alignbit_b32 v16, v21, v16, v23
	s_delay_alu instid0(VALU_DEP_3) | instskip(NEXT) | instid1(VALU_DEP_3)
	v_sub_nc_u32_e32 v17, v18, v17
	v_fma_f32 v18, 0x3fc90fda, v20, -v22
	s_delay_alu instid0(VALU_DEP_3) | instskip(NEXT) | instid1(VALU_DEP_2)
	v_lshrrev_b32_e32 v16, 9, v16
	v_fmac_f32_e32 v18, 0x33a22168, v20
	s_delay_alu instid0(VALU_DEP_2) | instskip(NEXT) | instid1(VALU_DEP_1)
	v_or_b32_e32 v16, v17, v16
	v_fmac_f32_e32 v18, 0x3fc90fda, v16
	s_delay_alu instid0(VALU_DEP_1)
	v_add_f32_e32 v16, v22, v18
.LBB218_18:                             ;   in Loop: Header=BB218_4 Depth=1
	s_and_not1_saveexec_b32 s2, s24
	s_cbranch_execz .LBB218_3
; %bb.19:                               ;   in Loop: Header=BB218_4 Depth=1
	s_delay_alu instid0(VALU_DEP_1) | instskip(NEXT) | instid1(VALU_DEP_1)
	v_mul_f32_e32 v1, 0x3f22f983, v16
	v_rndne_f32_e32 v1, v1
	s_delay_alu instid0(VALU_DEP_1) | instskip(NEXT) | instid1(VALU_DEP_1)
	v_fmac_f32_e32 v16, 0xbfc90fda, v1
	v_fmac_f32_e32 v16, 0xb3a22168, v1
	s_delay_alu instid0(VALU_DEP_1)
	v_fmac_f32_e32 v16, 0xa7c234c4, v1
	v_cvt_i32_f32_e32 v1, v1
	s_branch .LBB218_3
.LBB218_20:
	s_or_b32 exec_lo, exec_lo, s17
	s_mov_b32 s2, 0
.LBB218_21:
	s_delay_alu instid0(SALU_CYCLE_1)
	s_and_not1_b32 vcc_lo, exec_lo, s2
	s_cbranch_vccnz .LBB218_57
; %bb.22:
	v_cmp_lt_i64_e64 s2, s[10:11], 1
	s_delay_alu instid0(VALU_DEP_1)
	s_and_b32 vcc_lo, exec_lo, s2
	s_cbranch_vccnz .LBB218_57
; %bb.23:
	s_load_b32 s0, s[0:1], 0xc5c
	v_dual_mov_b32 v2, 0 :: v_dual_lshlrev_b32 v1, 1, v0
	v_cmp_gt_u64_e64 s1, 0x10000, s[10:11]
	s_mov_b32 s18, 0xb94c1982
	s_mov_b32 s19, 0x37d75334
	s_delay_alu instid0(VALU_DEP_2) | instskip(NEXT) | instid1(VALU_DEP_1)
	v_add_co_u32 v3, s2, s6, v1
	v_add_co_ci_u32_e64 v4, null, s7, 0, s2
	v_add_co_u32 v5, s2, s14, v1
	s_delay_alu instid0(VALU_DEP_1)
	v_add_co_ci_u32_e64 v6, null, s15, 0, s2
	s_waitcnt lgkmcnt(0)
	s_and_b32 s0, s0, 0xffff
	s_and_b32 s1, s1, exec_lo
	v_mad_u64_u32 v[9:10], null, s0, 6, v[1:2]
	s_cselect_b32 s13, s11, 0
	s_cselect_b32 s12, s10, 0x10000
	s_lshl_b32 s16, s0, 2
	s_lshl_b32 s1, s0, 1
	v_add_co_u32 v1, s3, s16, v1
	s_delay_alu instid0(VALU_DEP_2) | instskip(NEXT) | instid1(VALU_DEP_3)
	v_add_co_u32 v7, vcc_lo, s6, v9
	v_add_co_ci_u32_e32 v8, vcc_lo, s7, v10, vcc_lo
	v_add_co_u32 v9, vcc_lo, s14, v9
	v_add_co_ci_u32_e64 v17, null, 0, 0, s3
	s_mul_i32 s2, s0, 3
	s_lshl_b32 s17, s0, 3
	v_add_co_u32 v15, s0, v0, s0
	v_add_co_ci_u32_e32 v10, vcc_lo, s15, v10, vcc_lo
	v_add_co_u32 v13, vcc_lo, s6, v1
	v_add_co_ci_u32_e32 v14, vcc_lo, s7, v17, vcc_lo
	v_add_co_u32 v16, vcc_lo, s14, v1
	v_lshlrev_b32_e32 v1, 1, v15
	v_add_co_ci_u32_e64 v18, null, 0, 0, s0
	v_add_co_u32 v19, s0, s1, v0
	s_delay_alu instid0(VALU_DEP_1) | instskip(NEXT) | instid1(VALU_DEP_4)
	v_add_co_ci_u32_e64 v20, null, 0, 0, s0
	v_add_co_u32 v21, s0, s6, v1
	v_add_co_u32 v11, s2, s2, v0
	v_add_co_ci_u32_e64 v22, null, s7, 0, s0
	v_add_co_u32 v23, s0, s14, v1
	v_add_co_ci_u32_e64 v12, null, 0, 0, s2
	v_add_co_ci_u32_e32 v17, vcc_lo, s15, v17, vcc_lo
	v_add_co_ci_u32_e64 v24, null, s15, 0, s0
	s_mov_b64 s[14:15], 0
	s_mov_b32 s7, 0x7fffff
	s_branch .LBB218_25
.LBB218_24:                             ;   in Loop: Header=BB218_25 Depth=1
	s_or_b32 exec_lo, exec_lo, s0
	v_add_co_u32 v3, vcc_lo, v3, s17
	v_add_co_ci_u32_e32 v4, vcc_lo, 0, v4, vcc_lo
	v_add_co_u32 v5, vcc_lo, v5, s17
	v_add_co_ci_u32_e32 v6, vcc_lo, 0, v6, vcc_lo
	;; [unrolled: 2-line block ×5, first 2 shown]
	s_add_u32 s14, s14, s16
	v_add_co_u32 v16, vcc_lo, v16, s17
	s_addc_u32 s15, s15, 0
	v_add_co_ci_u32_e32 v17, vcc_lo, 0, v17, vcc_lo
	v_cmp_ge_i64_e64 s0, s[14:15], s[10:11]
	v_cmp_lt_u64_e64 s1, 0xffff, s[14:15]
	v_add_co_u32 v21, vcc_lo, v21, s17
	v_add_co_ci_u32_e32 v22, vcc_lo, 0, v22, vcc_lo
	v_add_co_u32 v23, vcc_lo, v23, s17
	v_add_co_ci_u32_e32 v24, vcc_lo, 0, v24, vcc_lo
	s_or_b32 s0, s0, s1
	s_delay_alu instid0(SALU_CYCLE_1)
	s_and_b32 vcc_lo, exec_lo, s0
	s_cbranch_vccnz .LBB218_57
.LBB218_25:                             ; =>This Inner Loop Header: Depth=1
	v_add_co_u32 v25, s0, v0, s14
	s_delay_alu instid0(VALU_DEP_1) | instskip(SKIP_1) | instid1(VALU_DEP_2)
	v_add_co_ci_u32_e64 v26, null, 0, s15, s0
	v_mov_b32_e32 v28, 0
	v_cmp_gt_u64_e64 s2, s[12:13], v[25:26]
	s_delay_alu instid0(VALU_DEP_1)
	s_and_saveexec_b32 s0, s2
	s_cbranch_execz .LBB218_27
; %bb.26:                               ;   in Loop: Header=BB218_25 Depth=1
	v_add_co_u32 v25, vcc_lo, v3, s8
	v_add_co_ci_u32_e32 v26, vcc_lo, s9, v4, vcc_lo
	global_load_u16 v28, v[25:26], off
.LBB218_27:                             ;   in Loop: Header=BB218_25 Depth=1
	s_or_b32 exec_lo, exec_lo, s0
	v_add_co_u32 v25, vcc_lo, v15, s14
	v_add_co_ci_u32_e32 v26, vcc_lo, s15, v18, vcc_lo
	v_mov_b32_e32 v27, 0
	s_delay_alu instid0(VALU_DEP_2) | instskip(NEXT) | instid1(VALU_DEP_1)
	v_cmp_gt_u64_e64 s1, s[12:13], v[25:26]
	s_and_saveexec_b32 s0, s1
	s_cbranch_execz .LBB218_29
; %bb.28:                               ;   in Loop: Header=BB218_25 Depth=1
	v_add_co_u32 v25, vcc_lo, v21, s8
	v_add_co_ci_u32_e32 v26, vcc_lo, s9, v22, vcc_lo
	global_load_u16 v27, v[25:26], off
.LBB218_29:                             ;   in Loop: Header=BB218_25 Depth=1
	s_or_b32 exec_lo, exec_lo, s0
	v_add_co_u32 v25, vcc_lo, v19, s14
	v_add_co_ci_u32_e32 v26, vcc_lo, s15, v20, vcc_lo
	s_delay_alu instid0(VALU_DEP_1) | instskip(SKIP_1) | instid1(VALU_DEP_2)
	v_cmp_gt_u64_e64 s0, s[12:13], v[25:26]
	v_dual_mov_b32 v25, 0 :: v_dual_mov_b32 v26, 0
	s_and_saveexec_b32 s3, s0
	s_cbranch_execz .LBB218_31
; %bb.30:                               ;   in Loop: Header=BB218_25 Depth=1
	v_add_co_u32 v29, vcc_lo, v13, s8
	v_add_co_ci_u32_e32 v30, vcc_lo, s9, v14, vcc_lo
	global_load_u16 v26, v[29:30], off
.LBB218_31:                             ;   in Loop: Header=BB218_25 Depth=1
	s_or_b32 exec_lo, exec_lo, s3
	v_add_co_u32 v29, vcc_lo, v11, s14
	v_add_co_ci_u32_e32 v30, vcc_lo, s15, v12, vcc_lo
	s_delay_alu instid0(VALU_DEP_1)
	v_cmp_gt_u64_e32 vcc_lo, s[12:13], v[29:30]
	s_and_saveexec_b32 s4, vcc_lo
	s_cbranch_execz .LBB218_33
; %bb.32:                               ;   in Loop: Header=BB218_25 Depth=1
	v_add_co_u32 v29, s3, v7, s8
	s_delay_alu instid0(VALU_DEP_1)
	v_add_co_ci_u32_e64 v30, s3, s9, v8, s3
	global_load_u16 v25, v[29:30], off
.LBB218_33:                             ;   in Loop: Header=BB218_25 Depth=1
	s_or_b32 exec_lo, exec_lo, s4
	s_waitcnt vmcnt(0)
	v_cvt_f32_f16_e64 v29, |v28|
                                        ; implicit-def: $vgpr30
	s_mov_b32 s4, exec_lo
	s_delay_alu instid0(VALU_DEP_1)
	v_cmpx_ngt_f32_e32 0x48000000, v29
	s_xor_b32 s20, exec_lo, s4
	s_cbranch_execz .LBB218_35
; %bb.34:                               ;   in Loop: Header=BB218_25 Depth=1
	v_and_or_b32 v38, v29, s7, 0x800000
	v_lshrrev_b32_e32 v29, 23, v29
	s_delay_alu instid0(VALU_DEP_2) | instskip(NEXT) | instid1(VALU_DEP_2)
	v_mad_u64_u32 v[30:31], null, 0xfe5163ab, v38, 0
	v_add_nc_u32_e32 v29, 0xffffff88, v29
	s_delay_alu instid0(VALU_DEP_1) | instskip(NEXT) | instid1(VALU_DEP_3)
	v_cmp_lt_u32_e64 s3, 63, v29
	v_mov_b32_e32 v1, v31
	s_delay_alu instid0(VALU_DEP_2) | instskip(NEXT) | instid1(VALU_DEP_2)
	v_cndmask_b32_e64 v36, 0, 0xffffffc0, s3
	v_mad_u64_u32 v[31:32], null, 0x3c439041, v38, v[1:2]
	s_delay_alu instid0(VALU_DEP_2) | instskip(NEXT) | instid1(VALU_DEP_2)
	v_add_nc_u32_e32 v29, v36, v29
	v_mov_b32_e32 v1, v32
	s_delay_alu instid0(VALU_DEP_2) | instskip(NEXT) | instid1(VALU_DEP_2)
	v_cmp_lt_u32_e64 s4, 31, v29
	v_mad_u64_u32 v[32:33], null, 0xdb629599, v38, v[1:2]
	s_delay_alu instid0(VALU_DEP_2) | instskip(NEXT) | instid1(VALU_DEP_1)
	v_cndmask_b32_e64 v37, 0, 0xffffffe0, s4
	v_add_nc_u32_e32 v29, v37, v29
	s_delay_alu instid0(VALU_DEP_3) | instskip(NEXT) | instid1(VALU_DEP_4)
	v_mov_b32_e32 v1, v33
	v_cndmask_b32_e64 v30, v32, v30, s3
	s_delay_alu instid0(VALU_DEP_3) | instskip(NEXT) | instid1(VALU_DEP_3)
	v_cmp_lt_u32_e64 s5, 31, v29
	v_mad_u64_u32 v[33:34], null, 0xf534ddc0, v38, v[1:2]
	s_delay_alu instid0(VALU_DEP_1) | instskip(NEXT) | instid1(VALU_DEP_1)
	v_mov_b32_e32 v1, v34
	v_mad_u64_u32 v[34:35], null, 0xfc2757d1, v38, v[1:2]
	s_delay_alu instid0(VALU_DEP_1) | instskip(NEXT) | instid1(VALU_DEP_1)
	v_mov_b32_e32 v1, v35
	;; [unrolled: 3-line block ×3, first 2 shown]
	v_mad_u64_u32 v[36:37], null, 0xa2f9836e, v38, v[1:2]
	v_cndmask_b32_e64 v1, 0, 0xffffffe0, s5
	s_delay_alu instid0(VALU_DEP_4) | instskip(NEXT) | instid1(VALU_DEP_2)
	v_cndmask_b32_e64 v38, v35, v33, s3
	v_add_nc_u32_e32 v1, v1, v29
	s_delay_alu instid0(VALU_DEP_4)
	v_cndmask_b32_e64 v36, v36, v34, s3
	v_cndmask_b32_e64 v35, v37, v35, s3
	;; [unrolled: 1-line block ×4, first 2 shown]
	v_cmp_eq_u32_e64 s6, 0, v1
	v_cndmask_b32_e64 v31, v36, v38, s4
	v_cndmask_b32_e64 v33, v35, v36, s4
	;; [unrolled: 1-line block ×3, first 2 shown]
	v_sub_nc_u32_e32 v36, 32, v1
	v_cndmask_b32_e64 v34, v34, v29, s4
	v_cndmask_b32_e64 v29, v29, v30, s4
	;; [unrolled: 1-line block ×4, first 2 shown]
	s_delay_alu instid0(VALU_DEP_4) | instskip(NEXT) | instid1(VALU_DEP_4)
	v_cndmask_b32_e64 v35, v35, v34, s5
	v_cndmask_b32_e64 v29, v34, v29, s5
	s_delay_alu instid0(VALU_DEP_3) | instskip(NEXT) | instid1(VALU_DEP_3)
	v_alignbit_b32 v37, v33, v31, v36
	v_alignbit_b32 v38, v31, v35, v36
	s_delay_alu instid0(VALU_DEP_3) | instskip(NEXT) | instid1(VALU_DEP_3)
	v_alignbit_b32 v36, v35, v29, v36
	v_cndmask_b32_e64 v1, v37, v33, s6
	s_delay_alu instid0(VALU_DEP_3) | instskip(NEXT) | instid1(VALU_DEP_3)
	v_cndmask_b32_e64 v31, v38, v31, s6
	v_cndmask_b32_e64 v35, v36, v35, s6
	s_delay_alu instid0(VALU_DEP_3) | instskip(NEXT) | instid1(VALU_DEP_3)
	v_bfe_u32 v32, v1, 29, 1
	v_alignbit_b32 v30, v1, v31, 30
	s_delay_alu instid0(VALU_DEP_3) | instskip(SKIP_1) | instid1(VALU_DEP_4)
	v_alignbit_b32 v31, v31, v35, 30
	v_alignbit_b32 v29, v35, v29, 30
	v_sub_nc_u32_e32 v33, 0, v32
	s_delay_alu instid0(VALU_DEP_1) | instskip(SKIP_3) | instid1(VALU_DEP_4)
	v_xor_b32_e32 v34, v30, v33
	v_cmp_ne_u32_e64 s3, v30, v33
	v_xor_b32_e32 v31, v31, v33
	v_xor_b32_e32 v29, v29, v33
	v_clz_i32_u32_e32 v37, v34
	s_delay_alu instid0(VALU_DEP_1) | instskip(NEXT) | instid1(VALU_DEP_1)
	v_add_nc_u32_e32 v36, 1, v37
	v_cndmask_b32_e64 v30, 33, v36, s3
	s_delay_alu instid0(VALU_DEP_1) | instskip(NEXT) | instid1(VALU_DEP_1)
	v_sub_nc_u32_e32 v35, 32, v30
	v_alignbit_b32 v33, v34, v31, v35
	v_alignbit_b32 v29, v31, v29, v35
	v_lshrrev_b32_e32 v31, 29, v1
	v_lshrrev_b32_e32 v1, 30, v1
	s_delay_alu instid0(VALU_DEP_3) | instskip(NEXT) | instid1(VALU_DEP_3)
	v_alignbit_b32 v34, v33, v29, 9
	v_lshlrev_b32_e32 v31, 31, v31
	v_alignbit_b32 v33, v30, v33, 9
	s_delay_alu instid0(VALU_DEP_3) | instskip(NEXT) | instid1(VALU_DEP_2)
	v_clz_i32_u32_e32 v35, v34
	v_or_b32_e32 v33, v33, v31
	v_or_b32_e32 v31, 0x33800000, v31
	s_delay_alu instid0(VALU_DEP_3) | instskip(NEXT) | instid1(VALU_DEP_3)
	v_min_u32_e32 v35, 32, v35
	v_xor_b32_e32 v33, 1.0, v33
	s_delay_alu instid0(VALU_DEP_2) | instskip(SKIP_1) | instid1(VALU_DEP_3)
	v_sub_nc_u32_e32 v36, 31, v35
	v_add_lshl_u32 v30, v35, v30, 23
	v_mul_f32_e32 v35, 0x3fc90fda, v33
	s_delay_alu instid0(VALU_DEP_3) | instskip(NEXT) | instid1(VALU_DEP_3)
	v_alignbit_b32 v29, v34, v29, v36
	v_sub_nc_u32_e32 v30, v31, v30
	s_delay_alu instid0(VALU_DEP_3) | instskip(NEXT) | instid1(VALU_DEP_3)
	v_fma_f32 v31, 0x3fc90fda, v33, -v35
	v_lshrrev_b32_e32 v29, 9, v29
	s_delay_alu instid0(VALU_DEP_2) | instskip(NEXT) | instid1(VALU_DEP_2)
	v_fmac_f32_e32 v31, 0x33a22168, v33
	v_or_b32_e32 v29, v30, v29
	v_add_nc_u32_e32 v30, v32, v1
	s_delay_alu instid0(VALU_DEP_2) | instskip(NEXT) | instid1(VALU_DEP_1)
	v_fmac_f32_e32 v31, 0x3fc90fda, v29
	v_add_f32_e32 v29, v35, v31
.LBB218_35:                             ;   in Loop: Header=BB218_25 Depth=1
	s_and_not1_saveexec_b32 s3, s20
; %bb.36:                               ;   in Loop: Header=BB218_25 Depth=1
	s_delay_alu instid0(VALU_DEP_1) | instskip(NEXT) | instid1(VALU_DEP_1)
	v_mul_f32_e32 v1, 0x3f22f983, v29
	v_rndne_f32_e32 v1, v1
	s_delay_alu instid0(VALU_DEP_1) | instskip(SKIP_1) | instid1(VALU_DEP_2)
	v_fmac_f32_e32 v29, 0xbfc90fda, v1
	v_cvt_i32_f32_e32 v30, v1
	v_fmac_f32_e32 v29, 0xb3a22168, v1
	s_delay_alu instid0(VALU_DEP_1)
	v_fmac_f32_e32 v29, 0xa7c234c4, v1
; %bb.37:                               ;   in Loop: Header=BB218_25 Depth=1
	s_or_b32 exec_lo, exec_lo, s3
	v_cvt_f32_f16_e64 v31, |v27|
                                        ; implicit-def: $vgpr32
	s_mov_b32 s4, exec_lo
	s_delay_alu instid0(VALU_DEP_1)
	v_cmpx_ngt_f32_e32 0x48000000, v31
	s_xor_b32 s20, exec_lo, s4
	s_cbranch_execz .LBB218_39
; %bb.38:                               ;   in Loop: Header=BB218_25 Depth=1
	v_and_or_b32 v40, v31, s7, 0x800000
	v_lshrrev_b32_e32 v31, 23, v31
	s_delay_alu instid0(VALU_DEP_2) | instskip(NEXT) | instid1(VALU_DEP_2)
	v_mad_u64_u32 v[32:33], null, 0xfe5163ab, v40, 0
	v_add_nc_u32_e32 v31, 0xffffff88, v31
	s_delay_alu instid0(VALU_DEP_1) | instskip(NEXT) | instid1(VALU_DEP_3)
	v_cmp_lt_u32_e64 s3, 63, v31
	v_mov_b32_e32 v1, v33
	s_delay_alu instid0(VALU_DEP_2) | instskip(NEXT) | instid1(VALU_DEP_2)
	v_cndmask_b32_e64 v38, 0, 0xffffffc0, s3
	v_mad_u64_u32 v[33:34], null, 0x3c439041, v40, v[1:2]
	s_delay_alu instid0(VALU_DEP_2) | instskip(NEXT) | instid1(VALU_DEP_2)
	v_add_nc_u32_e32 v31, v38, v31
	v_mov_b32_e32 v1, v34
	s_delay_alu instid0(VALU_DEP_2) | instskip(NEXT) | instid1(VALU_DEP_2)
	v_cmp_lt_u32_e64 s4, 31, v31
	v_mad_u64_u32 v[34:35], null, 0xdb629599, v40, v[1:2]
	s_delay_alu instid0(VALU_DEP_2) | instskip(NEXT) | instid1(VALU_DEP_1)
	v_cndmask_b32_e64 v39, 0, 0xffffffe0, s4
	v_add_nc_u32_e32 v31, v39, v31
	s_delay_alu instid0(VALU_DEP_3) | instskip(NEXT) | instid1(VALU_DEP_4)
	v_mov_b32_e32 v1, v35
	v_cndmask_b32_e64 v32, v34, v32, s3
	s_delay_alu instid0(VALU_DEP_3) | instskip(NEXT) | instid1(VALU_DEP_3)
	v_cmp_lt_u32_e64 s5, 31, v31
	v_mad_u64_u32 v[35:36], null, 0xf534ddc0, v40, v[1:2]
	s_delay_alu instid0(VALU_DEP_1) | instskip(NEXT) | instid1(VALU_DEP_1)
	v_mov_b32_e32 v1, v36
	v_mad_u64_u32 v[36:37], null, 0xfc2757d1, v40, v[1:2]
	s_delay_alu instid0(VALU_DEP_1) | instskip(NEXT) | instid1(VALU_DEP_1)
	v_mov_b32_e32 v1, v37
	;; [unrolled: 3-line block ×3, first 2 shown]
	v_mad_u64_u32 v[38:39], null, 0xa2f9836e, v40, v[1:2]
	v_cndmask_b32_e64 v1, 0, 0xffffffe0, s5
	s_delay_alu instid0(VALU_DEP_4) | instskip(NEXT) | instid1(VALU_DEP_2)
	v_cndmask_b32_e64 v40, v37, v35, s3
	v_add_nc_u32_e32 v1, v1, v31
	s_delay_alu instid0(VALU_DEP_4)
	v_cndmask_b32_e64 v38, v38, v36, s3
	v_cndmask_b32_e64 v37, v39, v37, s3
	v_cndmask_b32_e64 v36, v36, v34, s3
	v_cndmask_b32_e64 v31, v35, v33, s3
	v_cmp_eq_u32_e64 s6, 0, v1
	v_cndmask_b32_e64 v33, v38, v40, s4
	v_cndmask_b32_e64 v35, v37, v38, s4
	;; [unrolled: 1-line block ×3, first 2 shown]
	v_sub_nc_u32_e32 v38, 32, v1
	v_cndmask_b32_e64 v36, v36, v31, s4
	v_cndmask_b32_e64 v31, v31, v32, s4
	;; [unrolled: 1-line block ×4, first 2 shown]
	s_delay_alu instid0(VALU_DEP_4) | instskip(NEXT) | instid1(VALU_DEP_4)
	v_cndmask_b32_e64 v37, v37, v36, s5
	v_cndmask_b32_e64 v31, v36, v31, s5
	s_delay_alu instid0(VALU_DEP_3) | instskip(NEXT) | instid1(VALU_DEP_3)
	v_alignbit_b32 v39, v35, v33, v38
	v_alignbit_b32 v40, v33, v37, v38
	s_delay_alu instid0(VALU_DEP_3) | instskip(NEXT) | instid1(VALU_DEP_3)
	v_alignbit_b32 v38, v37, v31, v38
	v_cndmask_b32_e64 v1, v39, v35, s6
	s_delay_alu instid0(VALU_DEP_3) | instskip(NEXT) | instid1(VALU_DEP_3)
	v_cndmask_b32_e64 v33, v40, v33, s6
	v_cndmask_b32_e64 v37, v38, v37, s6
	s_delay_alu instid0(VALU_DEP_3) | instskip(NEXT) | instid1(VALU_DEP_3)
	v_bfe_u32 v34, v1, 29, 1
	v_alignbit_b32 v32, v1, v33, 30
	s_delay_alu instid0(VALU_DEP_3) | instskip(SKIP_1) | instid1(VALU_DEP_4)
	v_alignbit_b32 v33, v33, v37, 30
	v_alignbit_b32 v31, v37, v31, 30
	v_sub_nc_u32_e32 v35, 0, v34
	s_delay_alu instid0(VALU_DEP_1) | instskip(SKIP_3) | instid1(VALU_DEP_4)
	v_xor_b32_e32 v36, v32, v35
	v_cmp_ne_u32_e64 s3, v32, v35
	v_xor_b32_e32 v33, v33, v35
	v_xor_b32_e32 v31, v31, v35
	v_clz_i32_u32_e32 v39, v36
	s_delay_alu instid0(VALU_DEP_1) | instskip(NEXT) | instid1(VALU_DEP_1)
	v_add_nc_u32_e32 v38, 1, v39
	v_cndmask_b32_e64 v32, 33, v38, s3
	s_delay_alu instid0(VALU_DEP_1) | instskip(NEXT) | instid1(VALU_DEP_1)
	v_sub_nc_u32_e32 v37, 32, v32
	v_alignbit_b32 v35, v36, v33, v37
	v_alignbit_b32 v31, v33, v31, v37
	v_lshrrev_b32_e32 v33, 29, v1
	v_lshrrev_b32_e32 v1, 30, v1
	s_delay_alu instid0(VALU_DEP_3) | instskip(NEXT) | instid1(VALU_DEP_3)
	v_alignbit_b32 v36, v35, v31, 9
	v_lshlrev_b32_e32 v33, 31, v33
	v_alignbit_b32 v35, v32, v35, 9
	s_delay_alu instid0(VALU_DEP_3) | instskip(NEXT) | instid1(VALU_DEP_2)
	v_clz_i32_u32_e32 v37, v36
	v_or_b32_e32 v35, v35, v33
	v_or_b32_e32 v33, 0x33800000, v33
	s_delay_alu instid0(VALU_DEP_3) | instskip(NEXT) | instid1(VALU_DEP_3)
	v_min_u32_e32 v37, 32, v37
	v_xor_b32_e32 v35, 1.0, v35
	s_delay_alu instid0(VALU_DEP_2) | instskip(SKIP_1) | instid1(VALU_DEP_3)
	v_sub_nc_u32_e32 v38, 31, v37
	v_add_lshl_u32 v32, v37, v32, 23
	v_mul_f32_e32 v37, 0x3fc90fda, v35
	s_delay_alu instid0(VALU_DEP_3) | instskip(NEXT) | instid1(VALU_DEP_3)
	v_alignbit_b32 v31, v36, v31, v38
	v_sub_nc_u32_e32 v32, v33, v32
	s_delay_alu instid0(VALU_DEP_2) | instskip(NEXT) | instid1(VALU_DEP_1)
	v_lshrrev_b32_e32 v31, 9, v31
	v_or_b32_e32 v31, v32, v31
	v_add_nc_u32_e32 v32, v34, v1
	v_fma_f32 v33, 0x3fc90fda, v35, -v37
	s_delay_alu instid0(VALU_DEP_1) | instskip(NEXT) | instid1(VALU_DEP_1)
	v_fmac_f32_e32 v33, 0x33a22168, v35
	v_fmac_f32_e32 v33, 0x3fc90fda, v31
	s_delay_alu instid0(VALU_DEP_1)
	v_add_f32_e32 v31, v37, v33
.LBB218_39:                             ;   in Loop: Header=BB218_25 Depth=1
	s_and_not1_saveexec_b32 s3, s20
; %bb.40:                               ;   in Loop: Header=BB218_25 Depth=1
	s_delay_alu instid0(VALU_DEP_1) | instskip(NEXT) | instid1(VALU_DEP_1)
	v_mul_f32_e32 v1, 0x3f22f983, v31
	v_rndne_f32_e32 v1, v1
	s_delay_alu instid0(VALU_DEP_1) | instskip(SKIP_1) | instid1(VALU_DEP_2)
	v_fmac_f32_e32 v31, 0xbfc90fda, v1
	v_cvt_i32_f32_e32 v32, v1
	v_fmac_f32_e32 v31, 0xb3a22168, v1
	s_delay_alu instid0(VALU_DEP_1)
	v_fmac_f32_e32 v31, 0xa7c234c4, v1
; %bb.41:                               ;   in Loop: Header=BB218_25 Depth=1
	s_or_b32 exec_lo, exec_lo, s3
	v_cvt_f32_f16_e64 v33, |v26|
                                        ; implicit-def: $vgpr34
	s_mov_b32 s4, exec_lo
	s_delay_alu instid0(VALU_DEP_1)
	v_cmpx_ngt_f32_e32 0x48000000, v33
	s_xor_b32 s20, exec_lo, s4
	s_cbranch_execz .LBB218_43
; %bb.42:                               ;   in Loop: Header=BB218_25 Depth=1
	v_and_or_b32 v42, v33, s7, 0x800000
	v_lshrrev_b32_e32 v33, 23, v33
	s_delay_alu instid0(VALU_DEP_2) | instskip(NEXT) | instid1(VALU_DEP_2)
	v_mad_u64_u32 v[34:35], null, 0xfe5163ab, v42, 0
	v_add_nc_u32_e32 v33, 0xffffff88, v33
	s_delay_alu instid0(VALU_DEP_1) | instskip(NEXT) | instid1(VALU_DEP_3)
	v_cmp_lt_u32_e64 s3, 63, v33
	v_mov_b32_e32 v1, v35
	s_delay_alu instid0(VALU_DEP_2) | instskip(NEXT) | instid1(VALU_DEP_2)
	v_cndmask_b32_e64 v40, 0, 0xffffffc0, s3
	v_mad_u64_u32 v[35:36], null, 0x3c439041, v42, v[1:2]
	s_delay_alu instid0(VALU_DEP_2) | instskip(NEXT) | instid1(VALU_DEP_2)
	v_add_nc_u32_e32 v33, v40, v33
	v_mov_b32_e32 v1, v36
	s_delay_alu instid0(VALU_DEP_2) | instskip(NEXT) | instid1(VALU_DEP_2)
	v_cmp_lt_u32_e64 s4, 31, v33
	v_mad_u64_u32 v[36:37], null, 0xdb629599, v42, v[1:2]
	s_delay_alu instid0(VALU_DEP_2) | instskip(NEXT) | instid1(VALU_DEP_1)
	v_cndmask_b32_e64 v41, 0, 0xffffffe0, s4
	v_add_nc_u32_e32 v33, v41, v33
	s_delay_alu instid0(VALU_DEP_3) | instskip(NEXT) | instid1(VALU_DEP_4)
	v_mov_b32_e32 v1, v37
	v_cndmask_b32_e64 v34, v36, v34, s3
	s_delay_alu instid0(VALU_DEP_3) | instskip(NEXT) | instid1(VALU_DEP_3)
	v_cmp_lt_u32_e64 s5, 31, v33
	v_mad_u64_u32 v[37:38], null, 0xf534ddc0, v42, v[1:2]
	s_delay_alu instid0(VALU_DEP_1) | instskip(NEXT) | instid1(VALU_DEP_1)
	v_mov_b32_e32 v1, v38
	v_mad_u64_u32 v[38:39], null, 0xfc2757d1, v42, v[1:2]
	s_delay_alu instid0(VALU_DEP_1) | instskip(NEXT) | instid1(VALU_DEP_1)
	v_mov_b32_e32 v1, v39
	;; [unrolled: 3-line block ×3, first 2 shown]
	v_mad_u64_u32 v[40:41], null, 0xa2f9836e, v42, v[1:2]
	v_cndmask_b32_e64 v1, 0, 0xffffffe0, s5
	s_delay_alu instid0(VALU_DEP_4) | instskip(NEXT) | instid1(VALU_DEP_2)
	v_cndmask_b32_e64 v42, v39, v37, s3
	v_add_nc_u32_e32 v1, v1, v33
	s_delay_alu instid0(VALU_DEP_4)
	v_cndmask_b32_e64 v40, v40, v38, s3
	v_cndmask_b32_e64 v39, v41, v39, s3
	;; [unrolled: 1-line block ×4, first 2 shown]
	v_cmp_eq_u32_e64 s6, 0, v1
	v_cndmask_b32_e64 v35, v40, v42, s4
	v_cndmask_b32_e64 v37, v39, v40, s4
	;; [unrolled: 1-line block ×3, first 2 shown]
	v_sub_nc_u32_e32 v40, 32, v1
	v_cndmask_b32_e64 v38, v38, v33, s4
	v_cndmask_b32_e64 v33, v33, v34, s4
	v_cndmask_b32_e64 v37, v37, v35, s5
	v_cndmask_b32_e64 v35, v35, v39, s5
	s_delay_alu instid0(VALU_DEP_4) | instskip(NEXT) | instid1(VALU_DEP_4)
	v_cndmask_b32_e64 v39, v39, v38, s5
	v_cndmask_b32_e64 v33, v38, v33, s5
	s_delay_alu instid0(VALU_DEP_3) | instskip(NEXT) | instid1(VALU_DEP_3)
	v_alignbit_b32 v41, v37, v35, v40
	v_alignbit_b32 v42, v35, v39, v40
	s_delay_alu instid0(VALU_DEP_3) | instskip(NEXT) | instid1(VALU_DEP_3)
	v_alignbit_b32 v40, v39, v33, v40
	v_cndmask_b32_e64 v1, v41, v37, s6
	s_delay_alu instid0(VALU_DEP_3) | instskip(NEXT) | instid1(VALU_DEP_3)
	v_cndmask_b32_e64 v35, v42, v35, s6
	v_cndmask_b32_e64 v39, v40, v39, s6
	s_delay_alu instid0(VALU_DEP_3) | instskip(NEXT) | instid1(VALU_DEP_3)
	v_bfe_u32 v36, v1, 29, 1
	v_alignbit_b32 v34, v1, v35, 30
	s_delay_alu instid0(VALU_DEP_3) | instskip(SKIP_1) | instid1(VALU_DEP_4)
	v_alignbit_b32 v35, v35, v39, 30
	v_alignbit_b32 v33, v39, v33, 30
	v_sub_nc_u32_e32 v37, 0, v36
	s_delay_alu instid0(VALU_DEP_1) | instskip(SKIP_3) | instid1(VALU_DEP_4)
	v_xor_b32_e32 v38, v34, v37
	v_cmp_ne_u32_e64 s3, v34, v37
	v_xor_b32_e32 v35, v35, v37
	v_xor_b32_e32 v33, v33, v37
	v_clz_i32_u32_e32 v41, v38
	s_delay_alu instid0(VALU_DEP_1) | instskip(NEXT) | instid1(VALU_DEP_1)
	v_add_nc_u32_e32 v40, 1, v41
	v_cndmask_b32_e64 v34, 33, v40, s3
	s_delay_alu instid0(VALU_DEP_1) | instskip(NEXT) | instid1(VALU_DEP_1)
	v_sub_nc_u32_e32 v39, 32, v34
	v_alignbit_b32 v37, v38, v35, v39
	v_alignbit_b32 v33, v35, v33, v39
	v_lshrrev_b32_e32 v35, 29, v1
	v_lshrrev_b32_e32 v1, 30, v1
	s_delay_alu instid0(VALU_DEP_3) | instskip(NEXT) | instid1(VALU_DEP_3)
	v_alignbit_b32 v38, v37, v33, 9
	v_lshlrev_b32_e32 v35, 31, v35
	v_alignbit_b32 v37, v34, v37, 9
	s_delay_alu instid0(VALU_DEP_3) | instskip(NEXT) | instid1(VALU_DEP_2)
	v_clz_i32_u32_e32 v39, v38
	v_or_b32_e32 v37, v37, v35
	v_or_b32_e32 v35, 0x33800000, v35
	s_delay_alu instid0(VALU_DEP_3) | instskip(NEXT) | instid1(VALU_DEP_3)
	v_min_u32_e32 v39, 32, v39
	v_xor_b32_e32 v37, 1.0, v37
	s_delay_alu instid0(VALU_DEP_2) | instskip(SKIP_1) | instid1(VALU_DEP_3)
	v_sub_nc_u32_e32 v40, 31, v39
	v_add_lshl_u32 v34, v39, v34, 23
	v_mul_f32_e32 v39, 0x3fc90fda, v37
	s_delay_alu instid0(VALU_DEP_3) | instskip(NEXT) | instid1(VALU_DEP_3)
	v_alignbit_b32 v33, v38, v33, v40
	v_sub_nc_u32_e32 v34, v35, v34
	s_delay_alu instid0(VALU_DEP_3) | instskip(NEXT) | instid1(VALU_DEP_3)
	v_fma_f32 v35, 0x3fc90fda, v37, -v39
	v_lshrrev_b32_e32 v33, 9, v33
	s_delay_alu instid0(VALU_DEP_2) | instskip(NEXT) | instid1(VALU_DEP_2)
	v_fmac_f32_e32 v35, 0x33a22168, v37
	v_or_b32_e32 v33, v34, v33
	v_add_nc_u32_e32 v34, v36, v1
	s_delay_alu instid0(VALU_DEP_2) | instskip(NEXT) | instid1(VALU_DEP_1)
	v_fmac_f32_e32 v35, 0x3fc90fda, v33
	v_add_f32_e32 v33, v39, v35
.LBB218_43:                             ;   in Loop: Header=BB218_25 Depth=1
	s_and_not1_saveexec_b32 s3, s20
; %bb.44:                               ;   in Loop: Header=BB218_25 Depth=1
	s_delay_alu instid0(VALU_DEP_1) | instskip(NEXT) | instid1(VALU_DEP_1)
	v_mul_f32_e32 v1, 0x3f22f983, v33
	v_rndne_f32_e32 v1, v1
	s_delay_alu instid0(VALU_DEP_1) | instskip(SKIP_1) | instid1(VALU_DEP_2)
	v_fmac_f32_e32 v33, 0xbfc90fda, v1
	v_cvt_i32_f32_e32 v34, v1
	v_fmac_f32_e32 v33, 0xb3a22168, v1
	s_delay_alu instid0(VALU_DEP_1)
	v_fmac_f32_e32 v33, 0xa7c234c4, v1
; %bb.45:                               ;   in Loop: Header=BB218_25 Depth=1
	s_or_b32 exec_lo, exec_lo, s3
	v_cvt_f32_f16_e64 v35, |v25|
                                        ; implicit-def: $vgpr1
	s_mov_b32 s4, exec_lo
	s_delay_alu instid0(VALU_DEP_1)
	v_cmpx_ngt_f32_e32 0x48000000, v35
	s_xor_b32 s20, exec_lo, s4
	s_cbranch_execnz .LBB218_51
; %bb.46:                               ;   in Loop: Header=BB218_25 Depth=1
	s_and_not1_saveexec_b32 s3, s20
	s_cbranch_execnz .LBB218_52
.LBB218_47:                             ;   in Loop: Header=BB218_25 Depth=1
	s_or_b32 exec_lo, exec_lo, s3
	s_and_saveexec_b32 s3, s2
	s_delay_alu instid0(SALU_CYCLE_1)
	s_xor_b32 s3, exec_lo, s3
	s_cbranch_execnz .LBB218_53
.LBB218_48:                             ;   in Loop: Header=BB218_25 Depth=1
	s_or_b32 exec_lo, exec_lo, s3
	s_and_saveexec_b32 s2, s1
	s_cbranch_execnz .LBB218_54
.LBB218_49:                             ;   in Loop: Header=BB218_25 Depth=1
	s_or_b32 exec_lo, exec_lo, s2
	s_and_saveexec_b32 s1, s0
	s_cbranch_execnz .LBB218_55
.LBB218_50:                             ;   in Loop: Header=BB218_25 Depth=1
	s_or_b32 exec_lo, exec_lo, s1
	s_and_saveexec_b32 s0, vcc_lo
	s_cbranch_execz .LBB218_24
	s_branch .LBB218_56
.LBB218_51:                             ;   in Loop: Header=BB218_25 Depth=1
	v_and_or_b32 v44, v35, s7, 0x800000
	v_lshrrev_b32_e32 v35, 23, v35
	s_delay_alu instid0(VALU_DEP_2) | instskip(NEXT) | instid1(VALU_DEP_2)
	v_mad_u64_u32 v[36:37], null, 0xfe5163ab, v44, 0
	v_add_nc_u32_e32 v35, 0xffffff88, v35
	s_delay_alu instid0(VALU_DEP_1) | instskip(NEXT) | instid1(VALU_DEP_3)
	v_cmp_lt_u32_e64 s3, 63, v35
	v_mov_b32_e32 v1, v37
	s_delay_alu instid0(VALU_DEP_2) | instskip(NEXT) | instid1(VALU_DEP_2)
	v_cndmask_b32_e64 v42, 0, 0xffffffc0, s3
	v_mad_u64_u32 v[37:38], null, 0x3c439041, v44, v[1:2]
	s_delay_alu instid0(VALU_DEP_2) | instskip(NEXT) | instid1(VALU_DEP_2)
	v_add_nc_u32_e32 v35, v42, v35
	v_mov_b32_e32 v1, v38
	s_delay_alu instid0(VALU_DEP_2) | instskip(NEXT) | instid1(VALU_DEP_2)
	v_cmp_lt_u32_e64 s4, 31, v35
	v_mad_u64_u32 v[38:39], null, 0xdb629599, v44, v[1:2]
	s_delay_alu instid0(VALU_DEP_2) | instskip(NEXT) | instid1(VALU_DEP_1)
	v_cndmask_b32_e64 v43, 0, 0xffffffe0, s4
	v_add_nc_u32_e32 v35, v43, v35
	s_delay_alu instid0(VALU_DEP_3) | instskip(NEXT) | instid1(VALU_DEP_4)
	v_mov_b32_e32 v1, v39
	v_cndmask_b32_e64 v36, v38, v36, s3
	s_delay_alu instid0(VALU_DEP_3) | instskip(NEXT) | instid1(VALU_DEP_3)
	v_cmp_lt_u32_e64 s5, 31, v35
	v_mad_u64_u32 v[39:40], null, 0xf534ddc0, v44, v[1:2]
	s_delay_alu instid0(VALU_DEP_1) | instskip(NEXT) | instid1(VALU_DEP_1)
	v_mov_b32_e32 v1, v40
	v_mad_u64_u32 v[40:41], null, 0xfc2757d1, v44, v[1:2]
	s_delay_alu instid0(VALU_DEP_1) | instskip(NEXT) | instid1(VALU_DEP_1)
	v_mov_b32_e32 v1, v41
	;; [unrolled: 3-line block ×3, first 2 shown]
	v_mad_u64_u32 v[42:43], null, 0xa2f9836e, v44, v[1:2]
	v_cndmask_b32_e64 v1, 0, 0xffffffe0, s5
	s_delay_alu instid0(VALU_DEP_4) | instskip(NEXT) | instid1(VALU_DEP_2)
	v_cndmask_b32_e64 v44, v41, v39, s3
	v_add_nc_u32_e32 v1, v1, v35
	s_delay_alu instid0(VALU_DEP_4)
	v_cndmask_b32_e64 v42, v42, v40, s3
	v_cndmask_b32_e64 v41, v43, v41, s3
	;; [unrolled: 1-line block ×4, first 2 shown]
	v_cmp_eq_u32_e64 s6, 0, v1
	v_cndmask_b32_e64 v37, v42, v44, s4
	v_cndmask_b32_e64 v39, v41, v42, s4
	;; [unrolled: 1-line block ×3, first 2 shown]
	v_sub_nc_u32_e32 v42, 32, v1
	v_cndmask_b32_e64 v40, v40, v35, s4
	v_cndmask_b32_e64 v35, v35, v36, s4
	;; [unrolled: 1-line block ×4, first 2 shown]
	s_delay_alu instid0(VALU_DEP_4) | instskip(NEXT) | instid1(VALU_DEP_4)
	v_cndmask_b32_e64 v41, v41, v40, s5
	v_cndmask_b32_e64 v35, v40, v35, s5
	s_delay_alu instid0(VALU_DEP_3) | instskip(NEXT) | instid1(VALU_DEP_3)
	v_alignbit_b32 v43, v39, v37, v42
	v_alignbit_b32 v44, v37, v41, v42
	s_delay_alu instid0(VALU_DEP_3) | instskip(NEXT) | instid1(VALU_DEP_3)
	v_alignbit_b32 v42, v41, v35, v42
	v_cndmask_b32_e64 v1, v43, v39, s6
	s_delay_alu instid0(VALU_DEP_3) | instskip(NEXT) | instid1(VALU_DEP_3)
	v_cndmask_b32_e64 v37, v44, v37, s6
	v_cndmask_b32_e64 v41, v42, v41, s6
	s_delay_alu instid0(VALU_DEP_3) | instskip(NEXT) | instid1(VALU_DEP_3)
	v_bfe_u32 v38, v1, 29, 1
	v_alignbit_b32 v36, v1, v37, 30
	s_delay_alu instid0(VALU_DEP_3) | instskip(SKIP_1) | instid1(VALU_DEP_4)
	v_alignbit_b32 v37, v37, v41, 30
	v_alignbit_b32 v35, v41, v35, 30
	v_sub_nc_u32_e32 v39, 0, v38
	s_delay_alu instid0(VALU_DEP_1) | instskip(SKIP_3) | instid1(VALU_DEP_4)
	v_xor_b32_e32 v40, v36, v39
	v_cmp_ne_u32_e64 s3, v36, v39
	v_xor_b32_e32 v37, v37, v39
	v_xor_b32_e32 v35, v35, v39
	v_clz_i32_u32_e32 v43, v40
	s_delay_alu instid0(VALU_DEP_1) | instskip(NEXT) | instid1(VALU_DEP_1)
	v_add_nc_u32_e32 v42, 1, v43
	v_cndmask_b32_e64 v36, 33, v42, s3
	s_delay_alu instid0(VALU_DEP_1) | instskip(NEXT) | instid1(VALU_DEP_1)
	v_sub_nc_u32_e32 v41, 32, v36
	v_alignbit_b32 v39, v40, v37, v41
	v_alignbit_b32 v35, v37, v35, v41
	v_lshrrev_b32_e32 v37, 29, v1
	v_lshrrev_b32_e32 v1, 30, v1
	s_delay_alu instid0(VALU_DEP_3) | instskip(NEXT) | instid1(VALU_DEP_3)
	v_alignbit_b32 v40, v39, v35, 9
	v_lshlrev_b32_e32 v37, 31, v37
	v_alignbit_b32 v39, v36, v39, 9
	s_delay_alu instid0(VALU_DEP_4) | instskip(NEXT) | instid1(VALU_DEP_4)
	v_add_nc_u32_e32 v1, v38, v1
	v_clz_i32_u32_e32 v41, v40
	s_delay_alu instid0(VALU_DEP_3) | instskip(SKIP_1) | instid1(VALU_DEP_3)
	v_or_b32_e32 v39, v39, v37
	v_or_b32_e32 v37, 0x33800000, v37
	v_min_u32_e32 v41, 32, v41
	s_delay_alu instid0(VALU_DEP_3) | instskip(NEXT) | instid1(VALU_DEP_2)
	v_xor_b32_e32 v39, 1.0, v39
	v_sub_nc_u32_e32 v42, 31, v41
	v_add_lshl_u32 v36, v41, v36, 23
	s_delay_alu instid0(VALU_DEP_3) | instskip(NEXT) | instid1(VALU_DEP_3)
	v_mul_f32_e32 v41, 0x3fc90fda, v39
	v_alignbit_b32 v35, v40, v35, v42
	s_delay_alu instid0(VALU_DEP_3) | instskip(NEXT) | instid1(VALU_DEP_3)
	v_sub_nc_u32_e32 v36, v37, v36
	v_fma_f32 v37, 0x3fc90fda, v39, -v41
	s_delay_alu instid0(VALU_DEP_3) | instskip(NEXT) | instid1(VALU_DEP_2)
	v_lshrrev_b32_e32 v35, 9, v35
	v_fmac_f32_e32 v37, 0x33a22168, v39
	s_delay_alu instid0(VALU_DEP_2) | instskip(NEXT) | instid1(VALU_DEP_1)
	v_or_b32_e32 v35, v36, v35
	v_fmac_f32_e32 v37, 0x3fc90fda, v35
	s_delay_alu instid0(VALU_DEP_1)
	v_add_f32_e32 v35, v41, v37
	s_and_not1_saveexec_b32 s3, s20
	s_cbranch_execz .LBB218_47
.LBB218_52:                             ;   in Loop: Header=BB218_25 Depth=1
	s_delay_alu instid0(VALU_DEP_1) | instskip(NEXT) | instid1(VALU_DEP_1)
	v_mul_f32_e32 v1, 0x3f22f983, v35
	v_rndne_f32_e32 v1, v1
	s_delay_alu instid0(VALU_DEP_1) | instskip(NEXT) | instid1(VALU_DEP_1)
	v_fmac_f32_e32 v35, 0xbfc90fda, v1
	v_fmac_f32_e32 v35, 0xb3a22168, v1
	s_delay_alu instid0(VALU_DEP_1) | instskip(SKIP_3) | instid1(SALU_CYCLE_1)
	v_fmac_f32_e32 v35, 0xa7c234c4, v1
	v_cvt_i32_f32_e32 v1, v1
	s_or_b32 exec_lo, exec_lo, s3
	s_and_saveexec_b32 s3, s2
	s_xor_b32 s3, exec_lo, s3
	s_cbranch_execz .LBB218_48
.LBB218_53:                             ;   in Loop: Header=BB218_25 Depth=1
	v_dual_mul_f32 v36, v29, v29 :: v_dual_and_b32 v39, 1, v30
	s_delay_alu instid0(VALU_DEP_1) | instskip(NEXT) | instid1(VALU_DEP_2)
	v_dual_fmaak_f32 v37, s18, v36, 0x3c0881c4 :: v_dual_lshlrev_b32 v30, 30, v30
	v_cmp_eq_u32_e64 s2, 0, v39
	s_delay_alu instid0(VALU_DEP_2) | instskip(NEXT) | instid1(VALU_DEP_3)
	v_and_b32_e32 v30, 0x80000000, v30
	v_fmaak_f32 v37, v36, v37, 0xbe2aaa9d
	s_delay_alu instid0(VALU_DEP_1) | instskip(NEXT) | instid1(VALU_DEP_1)
	v_dual_fmaak_f32 v38, s19, v36, 0xbab64f3b :: v_dual_mul_f32 v37, v36, v37
	v_dual_fmaak_f32 v38, v36, v38, 0x3d2aabf7 :: v_dual_fmac_f32 v29, v29, v37
	s_delay_alu instid0(VALU_DEP_1) | instskip(NEXT) | instid1(VALU_DEP_1)
	v_fmaak_f32 v38, v36, v38, 0xbf000004
	v_fma_f32 v36, v36, v38, 1.0
	s_delay_alu instid0(VALU_DEP_1) | instskip(SKIP_1) | instid1(VALU_DEP_2)
	v_cndmask_b32_e64 v29, -v29, v36, s2
	v_cmp_class_f16_e64 s2, v28, 0x1f8
	v_xor_b32_e32 v29, v30, v29
	s_delay_alu instid0(VALU_DEP_1) | instskip(NEXT) | instid1(VALU_DEP_1)
	v_cvt_f16_f32_e32 v29, v29
	v_cndmask_b32_e64 v30, 0x7e00, v29, s2
	v_add_co_u32 v28, s2, v5, s8
	s_delay_alu instid0(VALU_DEP_1)
	v_add_co_ci_u32_e64 v29, s2, s9, v6, s2
	global_store_b16 v[28:29], v30, off
	s_or_b32 exec_lo, exec_lo, s3
	s_and_saveexec_b32 s2, s1
	s_cbranch_execz .LBB218_49
.LBB218_54:                             ;   in Loop: Header=BB218_25 Depth=1
	v_and_b32_e32 v36, 1, v32
	v_lshlrev_b32_e32 v32, 30, v32
	v_mul_f32_e32 v28, v31, v31
	s_delay_alu instid0(VALU_DEP_1) | instskip(NEXT) | instid1(VALU_DEP_1)
	v_fmaak_f32 v29, s18, v28, 0x3c0881c4
	v_fmaak_f32 v29, v28, v29, 0xbe2aaa9d
	s_delay_alu instid0(VALU_DEP_1) | instskip(NEXT) | instid1(VALU_DEP_1)
	v_mul_f32_e32 v29, v28, v29
	v_fmac_f32_e32 v31, v31, v29
	v_and_b32_e32 v29, 0x80000000, v32
	v_fmaak_f32 v30, s19, v28, 0xbab64f3b
	v_cmp_eq_u32_e64 s1, 0, v36
	s_delay_alu instid0(VALU_DEP_2) | instskip(NEXT) | instid1(VALU_DEP_1)
	v_fmaak_f32 v30, v28, v30, 0x3d2aabf7
	v_fmaak_f32 v30, v28, v30, 0xbf000004
	s_delay_alu instid0(VALU_DEP_1) | instskip(NEXT) | instid1(VALU_DEP_1)
	v_fma_f32 v28, v28, v30, 1.0
	v_cndmask_b32_e64 v28, -v31, v28, s1
	v_cmp_class_f16_e64 s1, v27, 0x1f8
	s_delay_alu instid0(VALU_DEP_2) | instskip(NEXT) | instid1(VALU_DEP_1)
	v_xor_b32_e32 v28, v29, v28
	v_cvt_f16_f32_e32 v28, v28
	s_delay_alu instid0(VALU_DEP_1) | instskip(SKIP_1) | instid1(VALU_DEP_1)
	v_cndmask_b32_e64 v29, 0x7e00, v28, s1
	v_add_co_u32 v27, s1, v23, s8
	v_add_co_ci_u32_e64 v28, s1, s9, v24, s1
	global_store_b16 v[27:28], v29, off
	s_or_b32 exec_lo, exec_lo, s2
	s_and_saveexec_b32 s1, s0
	s_cbranch_execz .LBB218_50
.LBB218_55:                             ;   in Loop: Header=BB218_25 Depth=1
	v_dual_mul_f32 v27, v33, v33 :: v_dual_and_b32 v30, 1, v34
	s_delay_alu instid0(VALU_DEP_1) | instskip(NEXT) | instid1(VALU_DEP_2)
	v_dual_fmaak_f32 v28, s18, v27, 0x3c0881c4 :: v_dual_lshlrev_b32 v31, 30, v34
	v_cmp_eq_u32_e64 s0, 0, v30
	s_delay_alu instid0(VALU_DEP_2) | instskip(NEXT) | instid1(VALU_DEP_1)
	v_fmaak_f32 v28, v27, v28, 0xbe2aaa9d
	v_dual_fmaak_f32 v29, s19, v27, 0xbab64f3b :: v_dual_mul_f32 v28, v27, v28
	s_delay_alu instid0(VALU_DEP_1) | instskip(NEXT) | instid1(VALU_DEP_2)
	v_fmaak_f32 v29, v27, v29, 0x3d2aabf7
	v_dual_fmac_f32 v33, v33, v28 :: v_dual_and_b32 v28, 0x80000000, v31
	s_delay_alu instid0(VALU_DEP_2) | instskip(NEXT) | instid1(VALU_DEP_1)
	v_fmaak_f32 v29, v27, v29, 0xbf000004
	v_fma_f32 v27, v27, v29, 1.0
	s_delay_alu instid0(VALU_DEP_1) | instskip(SKIP_1) | instid1(VALU_DEP_2)
	v_cndmask_b32_e64 v27, -v33, v27, s0
	v_cmp_class_f16_e64 s0, v26, 0x1f8
	v_xor_b32_e32 v27, v28, v27
	s_delay_alu instid0(VALU_DEP_1) | instskip(NEXT) | instid1(VALU_DEP_1)
	v_cvt_f16_f32_e32 v27, v27
	v_cndmask_b32_e64 v28, 0x7e00, v27, s0
	v_add_co_u32 v26, s0, v16, s8
	s_delay_alu instid0(VALU_DEP_1)
	v_add_co_ci_u32_e64 v27, s0, s9, v17, s0
	global_store_b16 v[26:27], v28, off
	s_or_b32 exec_lo, exec_lo, s1
	s_and_saveexec_b32 s0, vcc_lo
	s_cbranch_execz .LBB218_24
.LBB218_56:                             ;   in Loop: Header=BB218_25 Depth=1
	v_dual_mul_f32 v26, v35, v35 :: v_dual_and_b32 v29, 1, v1
	v_lshlrev_b32_e32 v1, 30, v1
	s_delay_alu instid0(VALU_DEP_2) | instskip(NEXT) | instid1(VALU_DEP_3)
	v_fmaak_f32 v27, s18, v26, 0x3c0881c4
	v_cmp_eq_u32_e32 vcc_lo, 0, v29
	s_delay_alu instid0(VALU_DEP_3) | instskip(NEXT) | instid1(VALU_DEP_3)
	v_and_b32_e32 v1, 0x80000000, v1
	v_fmaak_f32 v27, v26, v27, 0xbe2aaa9d
	s_delay_alu instid0(VALU_DEP_1) | instskip(NEXT) | instid1(VALU_DEP_1)
	v_dual_fmaak_f32 v28, s19, v26, 0xbab64f3b :: v_dual_mul_f32 v27, v26, v27
	v_dual_fmaak_f32 v28, v26, v28, 0x3d2aabf7 :: v_dual_fmac_f32 v35, v35, v27
	s_delay_alu instid0(VALU_DEP_1) | instskip(NEXT) | instid1(VALU_DEP_1)
	v_fmaak_f32 v28, v26, v28, 0xbf000004
	v_fma_f32 v26, v26, v28, 1.0
	s_delay_alu instid0(VALU_DEP_1) | instskip(SKIP_1) | instid1(VALU_DEP_2)
	v_cndmask_b32_e64 v26, -v35, v26, vcc_lo
	v_cmp_class_f16_e64 vcc_lo, v25, 0x1f8
	v_xor_b32_e32 v1, v1, v26
	s_delay_alu instid0(VALU_DEP_1) | instskip(NEXT) | instid1(VALU_DEP_1)
	v_cvt_f16_f32_e32 v1, v1
	v_cndmask_b32_e32 v1, 0x7e00, v1, vcc_lo
	v_add_co_u32 v25, vcc_lo, v9, s8
	v_add_co_ci_u32_e32 v26, vcc_lo, s9, v10, vcc_lo
	global_store_b16 v[25:26], v1, off
	s_branch .LBB218_24
.LBB218_57:
	s_nop 0
	s_sendmsg sendmsg(MSG_DEALLOC_VGPRS)
	s_endpgm
	.section	.rodata,"a",@progbits
	.p2align	6, 0x0
	.amdhsa_kernel _ZN2at6native12_GLOBAL__N_125multi_tensor_apply_kernelINS1_18TensorListMetadataILi2EEENS1_14UnaryOpFunctorIN3c104HalfELi2ELi1ELi1EEEJNS0_3CosIfEEEEEvT_T0_DpT1_
		.amdhsa_group_segment_fixed_size 0
		.amdhsa_private_segment_fixed_size 0
		.amdhsa_kernarg_size 3408
		.amdhsa_user_sgpr_count 15
		.amdhsa_user_sgpr_dispatch_ptr 0
		.amdhsa_user_sgpr_queue_ptr 0
		.amdhsa_user_sgpr_kernarg_segment_ptr 1
		.amdhsa_user_sgpr_dispatch_id 0
		.amdhsa_user_sgpr_private_segment_size 0
		.amdhsa_wavefront_size32 1
		.amdhsa_uses_dynamic_stack 0
		.amdhsa_enable_private_segment 0
		.amdhsa_system_sgpr_workgroup_id_x 1
		.amdhsa_system_sgpr_workgroup_id_y 0
		.amdhsa_system_sgpr_workgroup_id_z 0
		.amdhsa_system_sgpr_workgroup_info 0
		.amdhsa_system_vgpr_workitem_id 0
		.amdhsa_next_free_vgpr 45
		.amdhsa_next_free_sgpr 25
		.amdhsa_reserve_vcc 1
		.amdhsa_float_round_mode_32 0
		.amdhsa_float_round_mode_16_64 0
		.amdhsa_float_denorm_mode_32 3
		.amdhsa_float_denorm_mode_16_64 3
		.amdhsa_dx10_clamp 1
		.amdhsa_ieee_mode 1
		.amdhsa_fp16_overflow 0
		.amdhsa_workgroup_processor_mode 1
		.amdhsa_memory_ordered 1
		.amdhsa_forward_progress 0
		.amdhsa_shared_vgpr_count 0
		.amdhsa_exception_fp_ieee_invalid_op 0
		.amdhsa_exception_fp_denorm_src 0
		.amdhsa_exception_fp_ieee_div_zero 0
		.amdhsa_exception_fp_ieee_overflow 0
		.amdhsa_exception_fp_ieee_underflow 0
		.amdhsa_exception_fp_ieee_inexact 0
		.amdhsa_exception_int_div_zero 0
	.end_amdhsa_kernel
	.section	.text._ZN2at6native12_GLOBAL__N_125multi_tensor_apply_kernelINS1_18TensorListMetadataILi2EEENS1_14UnaryOpFunctorIN3c104HalfELi2ELi1ELi1EEEJNS0_3CosIfEEEEEvT_T0_DpT1_,"axG",@progbits,_ZN2at6native12_GLOBAL__N_125multi_tensor_apply_kernelINS1_18TensorListMetadataILi2EEENS1_14UnaryOpFunctorIN3c104HalfELi2ELi1ELi1EEEJNS0_3CosIfEEEEEvT_T0_DpT1_,comdat
.Lfunc_end218:
	.size	_ZN2at6native12_GLOBAL__N_125multi_tensor_apply_kernelINS1_18TensorListMetadataILi2EEENS1_14UnaryOpFunctorIN3c104HalfELi2ELi1ELi1EEEJNS0_3CosIfEEEEEvT_T0_DpT1_, .Lfunc_end218-_ZN2at6native12_GLOBAL__N_125multi_tensor_apply_kernelINS1_18TensorListMetadataILi2EEENS1_14UnaryOpFunctorIN3c104HalfELi2ELi1ELi1EEEJNS0_3CosIfEEEEEvT_T0_DpT1_
                                        ; -- End function
	.section	.AMDGPU.csdata,"",@progbits
; Kernel info:
; codeLenInByte = 8928
; NumSgprs: 27
; NumVgprs: 45
; ScratchSize: 0
; MemoryBound: 0
; FloatMode: 240
; IeeeMode: 1
; LDSByteSize: 0 bytes/workgroup (compile time only)
; SGPRBlocks: 3
; VGPRBlocks: 5
; NumSGPRsForWavesPerEU: 27
; NumVGPRsForWavesPerEU: 45
; Occupancy: 16
; WaveLimiterHint : 0
; COMPUTE_PGM_RSRC2:SCRATCH_EN: 0
; COMPUTE_PGM_RSRC2:USER_SGPR: 15
; COMPUTE_PGM_RSRC2:TRAP_HANDLER: 0
; COMPUTE_PGM_RSRC2:TGID_X_EN: 1
; COMPUTE_PGM_RSRC2:TGID_Y_EN: 0
; COMPUTE_PGM_RSRC2:TGID_Z_EN: 0
; COMPUTE_PGM_RSRC2:TIDIG_COMP_CNT: 0
	.section	.text._ZN2at6native12_GLOBAL__N_125multi_tensor_apply_kernelINS1_18TensorListMetadataILi2EEENS1_14UnaryOpFunctorIN3c108BFloat16ELi2ELi1ELi1EEEJNS0_3CosIfEEEEEvT_T0_DpT1_,"axG",@progbits,_ZN2at6native12_GLOBAL__N_125multi_tensor_apply_kernelINS1_18TensorListMetadataILi2EEENS1_14UnaryOpFunctorIN3c108BFloat16ELi2ELi1ELi1EEEJNS0_3CosIfEEEEEvT_T0_DpT1_,comdat
	.globl	_ZN2at6native12_GLOBAL__N_125multi_tensor_apply_kernelINS1_18TensorListMetadataILi2EEENS1_14UnaryOpFunctorIN3c108BFloat16ELi2ELi1ELi1EEEJNS0_3CosIfEEEEEvT_T0_DpT1_ ; -- Begin function _ZN2at6native12_GLOBAL__N_125multi_tensor_apply_kernelINS1_18TensorListMetadataILi2EEENS1_14UnaryOpFunctorIN3c108BFloat16ELi2ELi1ELi1EEEJNS0_3CosIfEEEEEvT_T0_DpT1_
	.p2align	8
	.type	_ZN2at6native12_GLOBAL__N_125multi_tensor_apply_kernelINS1_18TensorListMetadataILi2EEENS1_14UnaryOpFunctorIN3c108BFloat16ELi2ELi1ELi1EEEJNS0_3CosIfEEEEEvT_T0_DpT1_,@function
_ZN2at6native12_GLOBAL__N_125multi_tensor_apply_kernelINS1_18TensorListMetadataILi2EEENS1_14UnaryOpFunctorIN3c108BFloat16ELi2ELi1ELi1EEEJNS0_3CosIfEEEEEvT_T0_DpT1_: ; @_ZN2at6native12_GLOBAL__N_125multi_tensor_apply_kernelINS1_18TensorListMetadataILi2EEENS1_14UnaryOpFunctorIN3c108BFloat16ELi2ELi1ELi1EEEJNS0_3CosIfEEEEEvT_T0_DpT1_
; %bb.0:
	v_mov_b32_e32 v1, s15
	s_add_u32 s2, s0, s15
	s_mul_hi_u32 s3, s15, 3
	s_mul_i32 s15, s15, 3
	s_addc_u32 s4, s1, 0
	global_load_u8 v1, v1, s[0:1] offset:1536
	s_add_u32 s2, s2, s15
	s_addc_u32 s3, s4, s3
	s_mov_b32 s11, 0
	s_load_b32 s2, s[2:3], 0x740
	s_mov_b32 s17, s11
	s_mov_b32 s13, s11
	s_waitcnt vmcnt(0)
	v_readfirstlane_b32 s5, v1
	s_delay_alu instid0(VALU_DEP_1)
	s_lshl_b32 s3, s5, 3
	s_clause 0x2
	s_load_b64 s[6:7], s[0:1], s3 offset:0x0
	s_load_b64 s[14:15], s[0:1], s3 offset:0x200
	;; [unrolled: 1-line block ×3, first 2 shown]
	s_waitcnt lgkmcnt(0)
	s_ashr_i32 s3, s2, 31
	s_delay_alu instid0(SALU_CYCLE_1) | instskip(SKIP_4) | instid1(SALU_CYCLE_1)
	s_lshl_b64 s[8:9], s[2:3], 17
	s_lshl_b64 s[2:3], s[2:3], 16
	s_and_b32 s10, s6, 7
	s_and_b32 s12, s14, 7
	;; [unrolled: 1-line block ×3, first 2 shown]
	s_or_b64 s[10:11], s[10:11], s[16:17]
	s_delay_alu instid0(SALU_CYCLE_1)
	s_or_b64 s[12:13], s[12:13], s[10:11]
	s_sub_u32 s10, s4, s2
	s_subb_u32 s11, s5, s3
	s_cmp_eq_u64 s[12:13], 0
	s_mov_b32 s2, -1
	s_cbranch_scc0 .LBB219_21
; %bb.1:
	v_dual_mov_b32 v2, 0 :: v_dual_lshlrev_b32 v1, 2, v0
	s_mov_b32 s5, exec_lo
	s_delay_alu instid0(VALU_DEP_1)
	v_cmpx_gt_i64_e64 s[10:11], v[1:2]
	s_cbranch_execz .LBB219_20
; %bb.2:
	s_load_b32 s2, s[0:1], 0xc5c
	v_lshlrev_b32_e32 v3, 3, v0
	s_mov_b32 s12, 0
	s_mov_b32 s17, 0x7fffff
	s_mov_b32 s18, 0xb94c1982
	s_mov_b32 s19, 0x37d75334
	v_add_co_u32 v7, s3, s8, v3
	s_delay_alu instid0(VALU_DEP_1) | instskip(SKIP_2) | instid1(SALU_CYCLE_1)
	v_add_co_ci_u32_e64 v8, null, s9, 0, s3
	s_waitcnt lgkmcnt(0)
	s_and_b32 s2, s2, 0xffff
	v_add_lshl_u32 v1, v0, s2, 2
	v_mov_b32_e32 v4, v2
	s_lshl_b32 s13, s2, 3
	s_lshl_b32 s16, s2, 2
	s_delay_alu instid0(VALU_DEP_2)
	v_mov_b32_e32 v3, v1
	s_branch .LBB219_4
.LBB219_3:                              ;   in Loop: Header=BB219_4 Depth=1
	s_or_b32 exec_lo, exec_lo, s2
	v_dual_mul_f32 v18, v15, v15 :: v_dual_and_b32 v19, 1, v16
	v_dual_mul_f32 v20, v14, v14 :: v_dual_and_b32 v23, 1, v13
	s_delay_alu instid0(VALU_DEP_2) | instskip(NEXT) | instid1(VALU_DEP_2)
	v_dual_fmaak_f32 v21, s18, v18, 0x3c0881c4 :: v_dual_lshlrev_b32 v16, 30, v16
	v_dual_fmaak_f32 v22, s19, v18, 0xbab64f3b :: v_dual_fmaak_f32 v25, s19, v20, 0xbab64f3b
	v_dual_mul_f32 v26, v10, v10 :: v_dual_mul_f32 v27, v1, v1
	s_delay_alu instid0(VALU_DEP_3) | instskip(SKIP_1) | instid1(VALU_DEP_4)
	v_fmaak_f32 v21, v18, v21, 0xbe2aaa9d
	v_fmaak_f32 v24, s18, v20, 0x3c0881c4
	v_dual_fmaak_f32 v22, v18, v22, 0x3d2aabf7 :: v_dual_fmaak_f32 v25, v20, v25, 0x3d2aabf7
	v_cmp_eq_u32_e32 vcc_lo, 0, v19
	s_delay_alu instid0(VALU_DEP_3) | instskip(NEXT) | instid1(VALU_DEP_3)
	v_dual_mul_f32 v21, v18, v21 :: v_dual_fmaak_f32 v24, v20, v24, 0xbe2aaa9d
	v_dual_fmaak_f32 v22, v18, v22, 0xbf000004 :: v_dual_fmaak_f32 v25, v20, v25, 0xbf000004
	s_delay_alu instid0(VALU_DEP_2) | instskip(NEXT) | instid1(VALU_DEP_3)
	v_dual_fmac_f32 v15, v15, v21 :: v_dual_and_b32 v16, 0x80000000, v16
	v_mul_f32_e32 v24, v20, v24
	s_delay_alu instid0(VALU_DEP_3) | instskip(NEXT) | instid1(VALU_DEP_4)
	v_fma_f32 v18, v18, v22, 1.0
	v_fma_f32 v20, v20, v25, 1.0
	v_cmp_lt_u64_e64 s2, 0xffff, v[3:4]
	s_delay_alu instid0(VALU_DEP_4) | instskip(NEXT) | instid1(VALU_DEP_4)
	v_dual_fmaak_f32 v19, s19, v26, 0xbab64f3b :: v_dual_fmac_f32 v14, v14, v24
	v_cndmask_b32_e64 v15, -v15, v18, vcc_lo
	v_dual_fmaak_f32 v18, s18, v26, 0x3c0881c4 :: v_dual_lshlrev_b32 v13, 30, v13
	v_cmp_eq_u32_e32 vcc_lo, 0, v23
	s_delay_alu instid0(VALU_DEP_3) | instskip(NEXT) | instid1(VALU_DEP_3)
	v_xor_b32_e32 v15, v16, v15
	v_fmaak_f32 v16, v26, v18, 0xbe2aaa9d
	v_fmaak_f32 v18, s18, v27, 0x3c0881c4
	v_cndmask_b32_e64 v14, -v14, v20, vcc_lo
	v_fmaak_f32 v20, s19, v27, 0xbab64f3b
	v_fmaak_f32 v19, v26, v19, 0x3d2aabf7
	v_dual_mul_f32 v16, v26, v16 :: v_dual_and_b32 v13, 0x80000000, v13
	v_fmaak_f32 v18, v27, v18, 0xbe2aaa9d
	s_delay_alu instid0(VALU_DEP_4) | instskip(NEXT) | instid1(VALU_DEP_4)
	v_fmaak_f32 v20, v27, v20, 0x3d2aabf7
	v_fmaak_f32 v19, v26, v19, 0xbf000004
	s_delay_alu instid0(VALU_DEP_4)
	v_fmac_f32_e32 v10, v10, v16
	v_xor_b32_e32 v13, v13, v14
	v_mul_f32_e32 v16, v27, v18
	v_fmaak_f32 v18, v27, v20, 0xbf000004
	v_and_b32_e32 v20, 1, v11
	v_fma_f32 v19, v26, v19, 1.0
	v_lshlrev_b32_e32 v11, 30, v11
	v_fmac_f32_e32 v1, v1, v16
	v_fma_f32 v16, v27, v18, 1.0
	v_and_b32_e32 v18, 1, v17
	v_cmp_eq_u32_e32 vcc_lo, 0, v20
	v_and_b32_e32 v11, 0x80000000, v11
	v_lshlrev_b32_e32 v17, 30, v17
	v_cndmask_b32_e64 v10, -v10, v19, vcc_lo
	v_cmp_eq_u32_e32 vcc_lo, 0, v18
	s_delay_alu instid0(VALU_DEP_2)
	v_xor_b32_e32 v10, v11, v10
	v_cndmask_b32_e64 v1, -v1, v16, vcc_lo
	v_cmp_class_f32_e64 vcc_lo, v5, 0x1f8
	v_and_b32_e32 v16, 0x80000000, v17
	v_cndmask_b32_e32 v5, 0x7fc00000, v15, vcc_lo
	v_cmp_class_f32_e64 vcc_lo, v12, 0x1f8
	s_delay_alu instid0(VALU_DEP_3) | instskip(SKIP_4) | instid1(VALU_DEP_4)
	v_xor_b32_e32 v1, v16, v1
	v_cndmask_b32_e32 v11, 0x7fc00000, v13, vcc_lo
	v_cmp_class_f32_e64 vcc_lo, v9, 0x1f8
	v_cndmask_b32_e32 v9, 0x7fc00000, v10, vcc_lo
	v_cmp_class_f32_e64 vcc_lo, v6, 0x1f8
	v_bfe_u32 v6, v11, 16, 1
	v_bfe_u32 v10, v5, 16, 1
	s_delay_alu instid0(VALU_DEP_4) | instskip(SKIP_1) | instid1(VALU_DEP_4)
	v_bfe_u32 v12, v9, 16, 1
	v_cndmask_b32_e32 v1, 0x7fc00000, v1, vcc_lo
	v_add3_u32 v6, v11, v6, 0x7fff
	v_cmp_o_f32_e32 vcc_lo, v11, v11
	v_add3_u32 v10, v5, v10, 0x7fff
	v_add3_u32 v12, v9, v12, 0x7fff
	v_bfe_u32 v13, v1, 16, 1
	v_and_b32_e32 v6, 0xffff0000, v6
	s_delay_alu instid0(VALU_DEP_4) | instskip(NEXT) | instid1(VALU_DEP_4)
	v_lshrrev_b32_e32 v10, 16, v10
	v_lshrrev_b32_e32 v12, 16, v12
	s_delay_alu instid0(VALU_DEP_4) | instskip(NEXT) | instid1(VALU_DEP_4)
	v_add3_u32 v13, v1, v13, 0x7fff
	v_cndmask_b32_e32 v6, 0x7fc00000, v6, vcc_lo
	v_cmp_o_f32_e32 vcc_lo, v9, v9
	s_delay_alu instid0(VALU_DEP_3) | instskip(SKIP_2) | instid1(VALU_DEP_2)
	v_and_b32_e32 v13, 0xffff0000, v13
	v_cndmask_b32_e32 v9, 0x7fc0, v12, vcc_lo
	v_cmp_o_f32_e32 vcc_lo, v1, v1
	v_or_b32_e32 v9, v6, v9
	s_delay_alu instid0(VALU_DEP_4) | instskip(SKIP_2) | instid1(VALU_DEP_1)
	v_cndmask_b32_e32 v1, 0x7fc00000, v13, vcc_lo
	v_cmp_o_f32_e32 vcc_lo, v5, v5
	v_add_co_u32 v5, s3, s14, v7
	v_add_co_ci_u32_e64 v6, s3, s15, v8, s3
	v_cndmask_b32_e32 v10, 0x7fc0, v10, vcc_lo
	v_cmp_le_i64_e32 vcc_lo, s[10:11], v[3:4]
	v_or3_b32 v9, v9, 0, 0
	s_delay_alu instid0(VALU_DEP_3)
	v_or3_b32 v10, 0, v10, v1
	s_or_b32 s2, vcc_lo, s2
	v_add_co_u32 v7, vcc_lo, v7, s13
	v_add_co_ci_u32_e32 v8, vcc_lo, 0, v8, vcc_lo
	v_add_co_u32 v3, vcc_lo, v3, s16
	v_add_co_ci_u32_e32 v4, vcc_lo, 0, v4, vcc_lo
	s_and_b32 s2, exec_lo, s2
	global_store_b64 v[5:6], v[9:10], off
	s_or_b32 s12, s2, s12
	s_delay_alu instid0(SALU_CYCLE_1)
	s_and_not1_b32 exec_lo, exec_lo, s12
	s_cbranch_execz .LBB219_20
.LBB219_4:                              ; =>This Inner Loop Header: Depth=1
	v_add_co_u32 v5, vcc_lo, s6, v7
	v_add_co_ci_u32_e32 v6, vcc_lo, s7, v8, vcc_lo
                                        ; implicit-def: $vgpr11
                                        ; implicit-def: $vgpr10
	s_mov_b32 s3, exec_lo
	global_load_b64 v[5:6], v[5:6], off
	s_waitcnt vmcnt(0)
	v_lshlrev_b32_e32 v9, 16, v5
	s_delay_alu instid0(VALU_DEP_1)
	v_cmpx_ngt_f32_e64 0x48000000, |v9|
	s_xor_b32 s20, exec_lo, s3
	s_cbranch_execz .LBB219_6
; %bb.5:                                ;   in Loop: Header=BB219_4 Depth=1
	v_and_b32_e32 v15, 0x7fffffff, v9
	s_delay_alu instid0(VALU_DEP_1) | instskip(SKIP_1) | instid1(VALU_DEP_2)
	v_and_or_b32 v18, v15, s17, 0x800000
	v_lshrrev_b32_e32 v15, 23, v15
	v_mad_u64_u32 v[10:11], null, 0xfe5163ab, v18, 0
	s_delay_alu instid0(VALU_DEP_2) | instskip(NEXT) | instid1(VALU_DEP_1)
	v_add_nc_u32_e32 v16, 0xffffff88, v15
	v_cmp_lt_u32_e32 vcc_lo, 63, v16
	s_delay_alu instid0(VALU_DEP_3) | instskip(SKIP_1) | instid1(VALU_DEP_2)
	v_mov_b32_e32 v1, v11
	v_cndmask_b32_e64 v17, 0, 0xffffffc0, vcc_lo
	v_mad_u64_u32 v[11:12], null, 0x3c439041, v18, v[1:2]
	s_delay_alu instid0(VALU_DEP_2) | instskip(NEXT) | instid1(VALU_DEP_2)
	v_add_nc_u32_e32 v17, v17, v16
	v_mov_b32_e32 v1, v12
	s_delay_alu instid0(VALU_DEP_2) | instskip(NEXT) | instid1(VALU_DEP_2)
	v_cmp_lt_u32_e64 s2, 31, v17
	v_mad_u64_u32 v[12:13], null, 0xdb629599, v18, v[1:2]
	s_delay_alu instid0(VALU_DEP_2) | instskip(NEXT) | instid1(VALU_DEP_1)
	v_cndmask_b32_e64 v19, 0, 0xffffffe0, s2
	v_add_nc_u32_e32 v19, v19, v17
	s_delay_alu instid0(VALU_DEP_3) | instskip(NEXT) | instid1(VALU_DEP_2)
	v_dual_mov_b32 v1, v13 :: v_dual_cndmask_b32 v10, v12, v10
	v_cmp_lt_u32_e64 s3, 31, v19
	s_delay_alu instid0(VALU_DEP_2) | instskip(NEXT) | instid1(VALU_DEP_1)
	v_mad_u64_u32 v[13:14], null, 0xf534ddc0, v18, v[1:2]
	v_mov_b32_e32 v1, v14
	s_delay_alu instid0(VALU_DEP_2) | instskip(NEXT) | instid1(VALU_DEP_2)
	v_cndmask_b32_e32 v11, v13, v11, vcc_lo
	v_mad_u64_u32 v[14:15], null, 0xfc2757d1, v18, v[1:2]
	s_delay_alu instid0(VALU_DEP_2) | instskip(NEXT) | instid1(VALU_DEP_2)
	v_cndmask_b32_e64 v10, v11, v10, s2
	v_mov_b32_e32 v1, v15
	s_delay_alu instid0(VALU_DEP_1) | instskip(NEXT) | instid1(VALU_DEP_1)
	v_mad_u64_u32 v[15:16], null, 0x4e441529, v18, v[1:2]
	v_mov_b32_e32 v1, v16
	s_delay_alu instid0(VALU_DEP_1) | instskip(SKIP_1) | instid1(VALU_DEP_1)
	v_mad_u64_u32 v[16:17], null, 0xa2f9836e, v18, v[1:2]
	v_cndmask_b32_e64 v1, 0, 0xffffffe0, s3
	v_dual_cndmask_b32 v18, v15, v13 :: v_dual_add_nc_u32 v1, v1, v19
	s_delay_alu instid0(VALU_DEP_3) | instskip(SKIP_1) | instid1(VALU_DEP_3)
	v_dual_cndmask_b32 v16, v16, v14 :: v_dual_cndmask_b32 v15, v17, v15
	v_cndmask_b32_e32 v14, v14, v12, vcc_lo
	v_sub_nc_u32_e32 v17, 32, v1
	s_delay_alu instid0(VALU_DEP_3) | instskip(NEXT) | instid1(VALU_DEP_4)
	v_cndmask_b32_e64 v13, v16, v18, s2
	v_cndmask_b32_e64 v15, v15, v16, s2
	s_delay_alu instid0(VALU_DEP_4) | instskip(SKIP_2) | instid1(VALU_DEP_4)
	v_cndmask_b32_e64 v16, v18, v14, s2
	v_cndmask_b32_e64 v14, v14, v11, s2
	v_cmp_eq_u32_e64 s4, 0, v1
	v_cndmask_b32_e64 v15, v15, v13, s3
	s_delay_alu instid0(VALU_DEP_4) | instskip(NEXT) | instid1(VALU_DEP_4)
	v_cndmask_b32_e64 v13, v13, v16, s3
	v_cndmask_b32_e64 v16, v16, v14, s3
	;; [unrolled: 1-line block ×3, first 2 shown]
	s_delay_alu instid0(VALU_DEP_3) | instskip(NEXT) | instid1(VALU_DEP_3)
	v_alignbit_b32 v18, v15, v13, v17
	v_alignbit_b32 v19, v13, v16, v17
	s_delay_alu instid0(VALU_DEP_3) | instskip(NEXT) | instid1(VALU_DEP_3)
	v_alignbit_b32 v17, v16, v10, v17
	v_cndmask_b32_e64 v1, v18, v15, s4
	s_delay_alu instid0(VALU_DEP_3) | instskip(NEXT) | instid1(VALU_DEP_3)
	v_cndmask_b32_e64 v12, v19, v13, s4
	v_cndmask_b32_e64 v16, v17, v16, s4
	s_delay_alu instid0(VALU_DEP_3) | instskip(NEXT) | instid1(VALU_DEP_3)
	v_bfe_u32 v13, v1, 29, 1
	v_alignbit_b32 v11, v1, v12, 30
	s_delay_alu instid0(VALU_DEP_3) | instskip(SKIP_1) | instid1(VALU_DEP_4)
	v_alignbit_b32 v12, v12, v16, 30
	v_alignbit_b32 v10, v16, v10, 30
	v_sub_nc_u32_e32 v15, 0, v13
	s_delay_alu instid0(VALU_DEP_1) | instskip(SKIP_3) | instid1(VALU_DEP_4)
	v_xor_b32_e32 v14, v11, v15
	v_cmp_ne_u32_e32 vcc_lo, v11, v15
	v_xor_b32_e32 v12, v12, v15
	v_xor_b32_e32 v10, v10, v15
	v_clz_i32_u32_e32 v18, v14
	s_delay_alu instid0(VALU_DEP_1) | instskip(NEXT) | instid1(VALU_DEP_1)
	v_add_nc_u32_e32 v17, 1, v18
	v_cndmask_b32_e32 v11, 33, v17, vcc_lo
	s_delay_alu instid0(VALU_DEP_1) | instskip(NEXT) | instid1(VALU_DEP_1)
	v_sub_nc_u32_e32 v16, 32, v11
	v_alignbit_b32 v14, v14, v12, v16
	v_alignbit_b32 v10, v12, v10, v16
	v_lshrrev_b32_e32 v12, 29, v1
	v_lshrrev_b32_e32 v1, 30, v1
	s_delay_alu instid0(VALU_DEP_3) | instskip(NEXT) | instid1(VALU_DEP_3)
	v_alignbit_b32 v15, v14, v10, 9
	v_lshlrev_b32_e32 v12, 31, v12
	v_alignbit_b32 v14, v11, v14, 9
	s_delay_alu instid0(VALU_DEP_3) | instskip(NEXT) | instid1(VALU_DEP_2)
	v_clz_i32_u32_e32 v16, v15
	v_or_b32_e32 v14, v14, v12
	v_or_b32_e32 v12, 0x33800000, v12
	s_delay_alu instid0(VALU_DEP_3) | instskip(NEXT) | instid1(VALU_DEP_3)
	v_min_u32_e32 v16, 32, v16
	v_xor_b32_e32 v14, 1.0, v14
	s_delay_alu instid0(VALU_DEP_2) | instskip(SKIP_1) | instid1(VALU_DEP_3)
	v_sub_nc_u32_e32 v17, 31, v16
	v_add_lshl_u32 v11, v16, v11, 23
	v_mul_f32_e32 v16, 0x3fc90fda, v14
	s_delay_alu instid0(VALU_DEP_3) | instskip(NEXT) | instid1(VALU_DEP_3)
	v_alignbit_b32 v10, v15, v10, v17
	v_sub_nc_u32_e32 v11, v12, v11
	s_delay_alu instid0(VALU_DEP_3) | instskip(NEXT) | instid1(VALU_DEP_3)
	v_fma_f32 v12, 0x3fc90fda, v14, -v16
	v_lshrrev_b32_e32 v10, 9, v10
	s_delay_alu instid0(VALU_DEP_2) | instskip(NEXT) | instid1(VALU_DEP_2)
	v_fmac_f32_e32 v12, 0x33a22168, v14
	v_or_b32_e32 v10, v11, v10
	s_delay_alu instid0(VALU_DEP_1) | instskip(NEXT) | instid1(VALU_DEP_1)
	v_dual_fmac_f32 v12, 0x3fc90fda, v10 :: v_dual_add_nc_u32 v11, v13, v1
	v_add_f32_e32 v10, v16, v12
.LBB219_6:                              ;   in Loop: Header=BB219_4 Depth=1
	s_and_not1_saveexec_b32 s2, s20
; %bb.7:                                ;   in Loop: Header=BB219_4 Depth=1
	v_mul_f32_e64 v1, 0x3f22f983, |v9|
	s_delay_alu instid0(VALU_DEP_1) | instskip(NEXT) | instid1(VALU_DEP_1)
	v_rndne_f32_e32 v1, v1
	v_fma_f32 v10, 0xbfc90fda, v1, |v9|
	v_cvt_i32_f32_e32 v11, v1
	s_delay_alu instid0(VALU_DEP_2) | instskip(NEXT) | instid1(VALU_DEP_1)
	v_fmac_f32_e32 v10, 0xb3a22168, v1
	v_fmac_f32_e32 v10, 0xa7c234c4, v1
; %bb.8:                                ;   in Loop: Header=BB219_4 Depth=1
	s_or_b32 exec_lo, exec_lo, s2
	v_and_b32_e32 v12, 0xffff0000, v5
                                        ; implicit-def: $vgpr13
                                        ; implicit-def: $vgpr14
	s_mov_b32 s3, exec_lo
	s_delay_alu instid0(VALU_DEP_1)
	v_cmpx_ngt_f32_e64 0x48000000, |v12|
	s_xor_b32 s20, exec_lo, s3
	s_cbranch_execz .LBB219_10
; %bb.9:                                ;   in Loop: Header=BB219_4 Depth=1
	v_and_b32_e32 v18, 0x7fffffff, v12
	s_delay_alu instid0(VALU_DEP_1) | instskip(NEXT) | instid1(VALU_DEP_1)
	v_and_or_b32 v21, v18, s17, 0x800000
	v_mad_u64_u32 v[13:14], null, 0xfe5163ab, v21, 0
	s_delay_alu instid0(VALU_DEP_1) | instskip(SKIP_1) | instid1(VALU_DEP_2)
	v_mov_b32_e32 v1, v14
	v_lshrrev_b32_e32 v18, 23, v18
	v_mad_u64_u32 v[14:15], null, 0x3c439041, v21, v[1:2]
	s_delay_alu instid0(VALU_DEP_2) | instskip(NEXT) | instid1(VALU_DEP_1)
	v_add_nc_u32_e32 v19, 0xffffff88, v18
	v_cmp_lt_u32_e32 vcc_lo, 63, v19
	v_cndmask_b32_e64 v20, 0, 0xffffffc0, vcc_lo
	s_delay_alu instid0(VALU_DEP_1) | instskip(NEXT) | instid1(VALU_DEP_1)
	v_dual_mov_b32 v1, v15 :: v_dual_add_nc_u32 v20, v20, v19
	v_mad_u64_u32 v[15:16], null, 0xdb629599, v21, v[1:2]
	s_delay_alu instid0(VALU_DEP_2) | instskip(NEXT) | instid1(VALU_DEP_2)
	v_cmp_lt_u32_e64 s2, 31, v20
	v_cndmask_b32_e32 v13, v15, v13, vcc_lo
	s_delay_alu instid0(VALU_DEP_2) | instskip(NEXT) | instid1(VALU_DEP_1)
	v_cndmask_b32_e64 v22, 0, 0xffffffe0, s2
	v_dual_mov_b32 v1, v16 :: v_dual_add_nc_u32 v22, v22, v20
	s_delay_alu instid0(VALU_DEP_1) | instskip(NEXT) | instid1(VALU_DEP_2)
	v_mad_u64_u32 v[16:17], null, 0xf534ddc0, v21, v[1:2]
	v_cmp_lt_u32_e64 s3, 31, v22
	s_delay_alu instid0(VALU_DEP_2) | instskip(NEXT) | instid1(VALU_DEP_1)
	v_dual_mov_b32 v1, v17 :: v_dual_cndmask_b32 v14, v16, v14
	v_mad_u64_u32 v[17:18], null, 0xfc2757d1, v21, v[1:2]
	s_delay_alu instid0(VALU_DEP_2) | instskip(NEXT) | instid1(VALU_DEP_2)
	v_cndmask_b32_e64 v13, v14, v13, s2
	v_mov_b32_e32 v1, v18
	s_delay_alu instid0(VALU_DEP_1) | instskip(NEXT) | instid1(VALU_DEP_1)
	v_mad_u64_u32 v[18:19], null, 0x4e441529, v21, v[1:2]
	v_mov_b32_e32 v1, v19
	s_delay_alu instid0(VALU_DEP_1) | instskip(SKIP_1) | instid1(VALU_DEP_4)
	v_mad_u64_u32 v[19:20], null, 0xa2f9836e, v21, v[1:2]
	v_cndmask_b32_e64 v1, 0, 0xffffffe0, s3
	v_cndmask_b32_e32 v21, v18, v16, vcc_lo
	s_delay_alu instid0(VALU_DEP_2) | instskip(NEXT) | instid1(VALU_DEP_4)
	v_add_nc_u32_e32 v1, v1, v22
	v_dual_cndmask_b32 v19, v19, v17 :: v_dual_cndmask_b32 v18, v20, v18
	v_cndmask_b32_e32 v17, v17, v15, vcc_lo
	s_delay_alu instid0(VALU_DEP_3) | instskip(NEXT) | instid1(VALU_DEP_3)
	v_sub_nc_u32_e32 v20, 32, v1
	v_cndmask_b32_e64 v16, v19, v21, s2
	s_delay_alu instid0(VALU_DEP_4) | instskip(NEXT) | instid1(VALU_DEP_4)
	v_cndmask_b32_e64 v18, v18, v19, s2
	v_cndmask_b32_e64 v19, v21, v17, s2
	;; [unrolled: 1-line block ×3, first 2 shown]
	v_cmp_eq_u32_e64 s4, 0, v1
	s_delay_alu instid0(VALU_DEP_4) | instskip(NEXT) | instid1(VALU_DEP_4)
	v_cndmask_b32_e64 v18, v18, v16, s3
	v_cndmask_b32_e64 v16, v16, v19, s3
	s_delay_alu instid0(VALU_DEP_4) | instskip(SKIP_1) | instid1(VALU_DEP_3)
	v_cndmask_b32_e64 v19, v19, v17, s3
	v_cndmask_b32_e64 v13, v17, v13, s3
	v_alignbit_b32 v21, v18, v16, v20
	s_delay_alu instid0(VALU_DEP_3) | instskip(NEXT) | instid1(VALU_DEP_3)
	v_alignbit_b32 v22, v16, v19, v20
	v_alignbit_b32 v20, v19, v13, v20
	s_delay_alu instid0(VALU_DEP_3) | instskip(NEXT) | instid1(VALU_DEP_3)
	v_cndmask_b32_e64 v1, v21, v18, s4
	v_cndmask_b32_e64 v15, v22, v16, s4
	s_delay_alu instid0(VALU_DEP_3) | instskip(NEXT) | instid1(VALU_DEP_3)
	v_cndmask_b32_e64 v19, v20, v19, s4
	v_bfe_u32 v16, v1, 29, 1
	s_delay_alu instid0(VALU_DEP_3) | instskip(NEXT) | instid1(VALU_DEP_3)
	v_alignbit_b32 v14, v1, v15, 30
	v_alignbit_b32 v15, v15, v19, 30
	;; [unrolled: 1-line block ×3, first 2 shown]
	s_delay_alu instid0(VALU_DEP_4) | instskip(NEXT) | instid1(VALU_DEP_1)
	v_sub_nc_u32_e32 v18, 0, v16
	v_xor_b32_e32 v17, v14, v18
	v_cmp_ne_u32_e32 vcc_lo, v14, v18
	v_xor_b32_e32 v15, v15, v18
	v_xor_b32_e32 v13, v13, v18
	s_delay_alu instid0(VALU_DEP_4) | instskip(NEXT) | instid1(VALU_DEP_1)
	v_clz_i32_u32_e32 v21, v17
	v_add_nc_u32_e32 v20, 1, v21
	s_delay_alu instid0(VALU_DEP_1) | instskip(NEXT) | instid1(VALU_DEP_1)
	v_cndmask_b32_e32 v14, 33, v20, vcc_lo
	v_sub_nc_u32_e32 v19, 32, v14
	s_delay_alu instid0(VALU_DEP_1) | instskip(SKIP_3) | instid1(VALU_DEP_3)
	v_alignbit_b32 v17, v17, v15, v19
	v_alignbit_b32 v13, v15, v13, v19
	v_lshrrev_b32_e32 v15, 29, v1
	v_lshrrev_b32_e32 v1, 30, v1
	v_alignbit_b32 v18, v17, v13, 9
	s_delay_alu instid0(VALU_DEP_3) | instskip(SKIP_1) | instid1(VALU_DEP_3)
	v_lshlrev_b32_e32 v15, 31, v15
	v_alignbit_b32 v17, v14, v17, 9
	v_clz_i32_u32_e32 v19, v18
	s_delay_alu instid0(VALU_DEP_2) | instskip(SKIP_1) | instid1(VALU_DEP_3)
	v_or_b32_e32 v17, v17, v15
	v_or_b32_e32 v15, 0x33800000, v15
	v_min_u32_e32 v19, 32, v19
	s_delay_alu instid0(VALU_DEP_3) | instskip(NEXT) | instid1(VALU_DEP_2)
	v_xor_b32_e32 v17, 1.0, v17
	v_sub_nc_u32_e32 v20, 31, v19
	v_add_lshl_u32 v14, v19, v14, 23
	s_delay_alu instid0(VALU_DEP_3) | instskip(NEXT) | instid1(VALU_DEP_3)
	v_mul_f32_e32 v19, 0x3fc90fda, v17
	v_alignbit_b32 v13, v18, v13, v20
	s_delay_alu instid0(VALU_DEP_3) | instskip(NEXT) | instid1(VALU_DEP_3)
	v_sub_nc_u32_e32 v14, v15, v14
	v_fma_f32 v15, 0x3fc90fda, v17, -v19
	s_delay_alu instid0(VALU_DEP_3) | instskip(NEXT) | instid1(VALU_DEP_2)
	v_lshrrev_b32_e32 v13, 9, v13
	v_fmac_f32_e32 v15, 0x33a22168, v17
	s_delay_alu instid0(VALU_DEP_2) | instskip(NEXT) | instid1(VALU_DEP_1)
	v_or_b32_e32 v13, v14, v13
	v_fmac_f32_e32 v15, 0x3fc90fda, v13
	s_delay_alu instid0(VALU_DEP_1)
	v_dual_add_f32 v14, v19, v15 :: v_dual_add_nc_u32 v13, v16, v1
.LBB219_10:                             ;   in Loop: Header=BB219_4 Depth=1
	s_and_not1_saveexec_b32 s2, s20
; %bb.11:                               ;   in Loop: Header=BB219_4 Depth=1
	v_mul_f32_e64 v1, 0x3f22f983, |v12|
	s_delay_alu instid0(VALU_DEP_1) | instskip(NEXT) | instid1(VALU_DEP_1)
	v_rndne_f32_e32 v1, v1
	v_fma_f32 v14, 0xbfc90fda, v1, |v12|
	v_cvt_i32_f32_e32 v13, v1
	s_delay_alu instid0(VALU_DEP_2) | instskip(NEXT) | instid1(VALU_DEP_1)
	v_fmac_f32_e32 v14, 0xb3a22168, v1
	v_fmac_f32_e32 v14, 0xa7c234c4, v1
; %bb.12:                               ;   in Loop: Header=BB219_4 Depth=1
	s_or_b32 exec_lo, exec_lo, s2
	v_alignbit_b32 v1, v6, v5, 16
                                        ; implicit-def: $vgpr16
                                        ; implicit-def: $vgpr15
	s_mov_b32 s3, exec_lo
	s_delay_alu instid0(VALU_DEP_1) | instskip(NEXT) | instid1(VALU_DEP_1)
	v_and_b32_e32 v5, 0xffff0000, v1
	v_cmpx_ngt_f32_e64 0x48000000, |v5|
	s_xor_b32 s20, exec_lo, s3
	s_cbranch_execz .LBB219_14
; %bb.13:                               ;   in Loop: Header=BB219_4 Depth=1
	v_and_b32_e32 v20, 0x7fffffff, v5
	s_delay_alu instid0(VALU_DEP_1) | instskip(NEXT) | instid1(VALU_DEP_1)
	v_and_or_b32 v23, v20, s17, 0x800000
	v_mad_u64_u32 v[15:16], null, 0xfe5163ab, v23, 0
	s_delay_alu instid0(VALU_DEP_1) | instskip(SKIP_1) | instid1(VALU_DEP_2)
	v_mov_b32_e32 v1, v16
	v_lshrrev_b32_e32 v20, 23, v20
	v_mad_u64_u32 v[16:17], null, 0x3c439041, v23, v[1:2]
	s_delay_alu instid0(VALU_DEP_2) | instskip(NEXT) | instid1(VALU_DEP_1)
	v_add_nc_u32_e32 v21, 0xffffff88, v20
	v_cmp_lt_u32_e32 vcc_lo, 63, v21
	v_cndmask_b32_e64 v22, 0, 0xffffffc0, vcc_lo
	s_delay_alu instid0(VALU_DEP_1) | instskip(NEXT) | instid1(VALU_DEP_1)
	v_dual_mov_b32 v1, v17 :: v_dual_add_nc_u32 v22, v22, v21
	v_mad_u64_u32 v[17:18], null, 0xdb629599, v23, v[1:2]
	s_delay_alu instid0(VALU_DEP_2) | instskip(NEXT) | instid1(VALU_DEP_2)
	v_cmp_lt_u32_e64 s2, 31, v22
	v_cndmask_b32_e32 v15, v17, v15, vcc_lo
	s_delay_alu instid0(VALU_DEP_2) | instskip(NEXT) | instid1(VALU_DEP_1)
	v_cndmask_b32_e64 v24, 0, 0xffffffe0, s2
	v_dual_mov_b32 v1, v18 :: v_dual_add_nc_u32 v24, v24, v22
	s_delay_alu instid0(VALU_DEP_1) | instskip(NEXT) | instid1(VALU_DEP_2)
	v_mad_u64_u32 v[18:19], null, 0xf534ddc0, v23, v[1:2]
	v_cmp_lt_u32_e64 s3, 31, v24
	s_delay_alu instid0(VALU_DEP_2) | instskip(NEXT) | instid1(VALU_DEP_1)
	v_dual_mov_b32 v1, v19 :: v_dual_cndmask_b32 v16, v18, v16
	v_mad_u64_u32 v[19:20], null, 0xfc2757d1, v23, v[1:2]
	s_delay_alu instid0(VALU_DEP_2) | instskip(NEXT) | instid1(VALU_DEP_2)
	v_cndmask_b32_e64 v15, v16, v15, s2
	v_mov_b32_e32 v1, v20
	s_delay_alu instid0(VALU_DEP_1) | instskip(NEXT) | instid1(VALU_DEP_1)
	v_mad_u64_u32 v[20:21], null, 0x4e441529, v23, v[1:2]
	v_mov_b32_e32 v1, v21
	s_delay_alu instid0(VALU_DEP_1) | instskip(SKIP_1) | instid1(VALU_DEP_4)
	v_mad_u64_u32 v[21:22], null, 0xa2f9836e, v23, v[1:2]
	v_cndmask_b32_e64 v1, 0, 0xffffffe0, s3
	v_cndmask_b32_e32 v23, v20, v18, vcc_lo
	s_delay_alu instid0(VALU_DEP_2) | instskip(NEXT) | instid1(VALU_DEP_4)
	v_add_nc_u32_e32 v1, v1, v24
	v_dual_cndmask_b32 v21, v21, v19 :: v_dual_cndmask_b32 v20, v22, v20
	v_cndmask_b32_e32 v19, v19, v17, vcc_lo
	s_delay_alu instid0(VALU_DEP_3) | instskip(NEXT) | instid1(VALU_DEP_3)
	v_sub_nc_u32_e32 v22, 32, v1
	v_cndmask_b32_e64 v18, v21, v23, s2
	s_delay_alu instid0(VALU_DEP_4) | instskip(NEXT) | instid1(VALU_DEP_4)
	v_cndmask_b32_e64 v20, v20, v21, s2
	v_cndmask_b32_e64 v21, v23, v19, s2
	v_cndmask_b32_e64 v19, v19, v16, s2
	v_cmp_eq_u32_e64 s4, 0, v1
	s_delay_alu instid0(VALU_DEP_4) | instskip(NEXT) | instid1(VALU_DEP_4)
	v_cndmask_b32_e64 v20, v20, v18, s3
	v_cndmask_b32_e64 v18, v18, v21, s3
	s_delay_alu instid0(VALU_DEP_4) | instskip(SKIP_1) | instid1(VALU_DEP_3)
	v_cndmask_b32_e64 v21, v21, v19, s3
	v_cndmask_b32_e64 v15, v19, v15, s3
	v_alignbit_b32 v23, v20, v18, v22
	s_delay_alu instid0(VALU_DEP_3) | instskip(NEXT) | instid1(VALU_DEP_3)
	v_alignbit_b32 v24, v18, v21, v22
	v_alignbit_b32 v22, v21, v15, v22
	s_delay_alu instid0(VALU_DEP_3) | instskip(NEXT) | instid1(VALU_DEP_3)
	v_cndmask_b32_e64 v1, v23, v20, s4
	v_cndmask_b32_e64 v17, v24, v18, s4
	s_delay_alu instid0(VALU_DEP_3) | instskip(NEXT) | instid1(VALU_DEP_3)
	v_cndmask_b32_e64 v21, v22, v21, s4
	v_bfe_u32 v18, v1, 29, 1
	s_delay_alu instid0(VALU_DEP_3) | instskip(NEXT) | instid1(VALU_DEP_3)
	v_alignbit_b32 v16, v1, v17, 30
	v_alignbit_b32 v17, v17, v21, 30
	;; [unrolled: 1-line block ×3, first 2 shown]
	s_delay_alu instid0(VALU_DEP_4) | instskip(NEXT) | instid1(VALU_DEP_1)
	v_sub_nc_u32_e32 v20, 0, v18
	v_xor_b32_e32 v19, v16, v20
	v_cmp_ne_u32_e32 vcc_lo, v16, v20
	v_xor_b32_e32 v17, v17, v20
	v_xor_b32_e32 v15, v15, v20
	s_delay_alu instid0(VALU_DEP_4) | instskip(NEXT) | instid1(VALU_DEP_1)
	v_clz_i32_u32_e32 v23, v19
	v_add_nc_u32_e32 v22, 1, v23
	s_delay_alu instid0(VALU_DEP_1) | instskip(NEXT) | instid1(VALU_DEP_1)
	v_cndmask_b32_e32 v16, 33, v22, vcc_lo
	v_sub_nc_u32_e32 v21, 32, v16
	s_delay_alu instid0(VALU_DEP_1) | instskip(SKIP_3) | instid1(VALU_DEP_3)
	v_alignbit_b32 v19, v19, v17, v21
	v_alignbit_b32 v15, v17, v15, v21
	v_lshrrev_b32_e32 v17, 29, v1
	v_lshrrev_b32_e32 v1, 30, v1
	v_alignbit_b32 v20, v19, v15, 9
	s_delay_alu instid0(VALU_DEP_3) | instskip(SKIP_1) | instid1(VALU_DEP_3)
	v_lshlrev_b32_e32 v17, 31, v17
	v_alignbit_b32 v19, v16, v19, 9
	v_clz_i32_u32_e32 v21, v20
	s_delay_alu instid0(VALU_DEP_2) | instskip(SKIP_1) | instid1(VALU_DEP_3)
	v_or_b32_e32 v19, v19, v17
	v_or_b32_e32 v17, 0x33800000, v17
	v_min_u32_e32 v21, 32, v21
	s_delay_alu instid0(VALU_DEP_3) | instskip(NEXT) | instid1(VALU_DEP_2)
	v_xor_b32_e32 v19, 1.0, v19
	v_sub_nc_u32_e32 v22, 31, v21
	v_add_lshl_u32 v16, v21, v16, 23
	s_delay_alu instid0(VALU_DEP_3) | instskip(NEXT) | instid1(VALU_DEP_3)
	v_mul_f32_e32 v21, 0x3fc90fda, v19
	v_alignbit_b32 v15, v20, v15, v22
	s_delay_alu instid0(VALU_DEP_3) | instskip(NEXT) | instid1(VALU_DEP_3)
	v_sub_nc_u32_e32 v16, v17, v16
	v_fma_f32 v17, 0x3fc90fda, v19, -v21
	s_delay_alu instid0(VALU_DEP_3) | instskip(NEXT) | instid1(VALU_DEP_2)
	v_lshrrev_b32_e32 v15, 9, v15
	v_fmac_f32_e32 v17, 0x33a22168, v19
	s_delay_alu instid0(VALU_DEP_2) | instskip(NEXT) | instid1(VALU_DEP_1)
	v_or_b32_e32 v15, v16, v15
	v_dual_fmac_f32 v17, 0x3fc90fda, v15 :: v_dual_add_nc_u32 v16, v18, v1
	s_delay_alu instid0(VALU_DEP_1)
	v_add_f32_e32 v15, v21, v17
.LBB219_14:                             ;   in Loop: Header=BB219_4 Depth=1
	s_and_not1_saveexec_b32 s2, s20
; %bb.15:                               ;   in Loop: Header=BB219_4 Depth=1
	v_mul_f32_e64 v1, 0x3f22f983, |v5|
	s_delay_alu instid0(VALU_DEP_1) | instskip(NEXT) | instid1(VALU_DEP_1)
	v_rndne_f32_e32 v1, v1
	v_fma_f32 v15, 0xbfc90fda, v1, |v5|
	v_cvt_i32_f32_e32 v16, v1
	s_delay_alu instid0(VALU_DEP_2) | instskip(NEXT) | instid1(VALU_DEP_1)
	v_fmac_f32_e32 v15, 0xb3a22168, v1
	v_fmac_f32_e32 v15, 0xa7c234c4, v1
; %bb.16:                               ;   in Loop: Header=BB219_4 Depth=1
	s_or_b32 exec_lo, exec_lo, s2
	v_and_b32_e32 v6, 0xffff0000, v6
                                        ; implicit-def: $vgpr17
                                        ; implicit-def: $vgpr1
	s_mov_b32 s3, exec_lo
	s_delay_alu instid0(VALU_DEP_1)
	v_cmpx_ngt_f32_e64 0x48000000, |v6|
	s_xor_b32 s20, exec_lo, s3
	s_cbranch_execz .LBB219_18
; %bb.17:                               ;   in Loop: Header=BB219_4 Depth=1
	v_and_b32_e32 v22, 0x7fffffff, v6
	s_delay_alu instid0(VALU_DEP_1) | instskip(NEXT) | instid1(VALU_DEP_1)
	v_and_or_b32 v25, v22, s17, 0x800000
	v_mad_u64_u32 v[17:18], null, 0xfe5163ab, v25, 0
	s_delay_alu instid0(VALU_DEP_1) | instskip(SKIP_1) | instid1(VALU_DEP_2)
	v_mov_b32_e32 v1, v18
	v_lshrrev_b32_e32 v22, 23, v22
	v_mad_u64_u32 v[18:19], null, 0x3c439041, v25, v[1:2]
	s_delay_alu instid0(VALU_DEP_2) | instskip(NEXT) | instid1(VALU_DEP_1)
	v_add_nc_u32_e32 v23, 0xffffff88, v22
	v_cmp_lt_u32_e32 vcc_lo, 63, v23
	v_cndmask_b32_e64 v24, 0, 0xffffffc0, vcc_lo
	s_delay_alu instid0(VALU_DEP_1) | instskip(NEXT) | instid1(VALU_DEP_1)
	v_dual_mov_b32 v1, v19 :: v_dual_add_nc_u32 v24, v24, v23
	v_mad_u64_u32 v[19:20], null, 0xdb629599, v25, v[1:2]
	s_delay_alu instid0(VALU_DEP_2) | instskip(NEXT) | instid1(VALU_DEP_2)
	v_cmp_lt_u32_e64 s2, 31, v24
	v_cndmask_b32_e32 v17, v19, v17, vcc_lo
	s_delay_alu instid0(VALU_DEP_2) | instskip(NEXT) | instid1(VALU_DEP_1)
	v_cndmask_b32_e64 v26, 0, 0xffffffe0, s2
	v_dual_mov_b32 v1, v20 :: v_dual_add_nc_u32 v26, v26, v24
	s_delay_alu instid0(VALU_DEP_1) | instskip(NEXT) | instid1(VALU_DEP_2)
	v_mad_u64_u32 v[20:21], null, 0xf534ddc0, v25, v[1:2]
	v_cmp_lt_u32_e64 s3, 31, v26
	s_delay_alu instid0(VALU_DEP_2) | instskip(NEXT) | instid1(VALU_DEP_1)
	v_dual_mov_b32 v1, v21 :: v_dual_cndmask_b32 v18, v20, v18
	v_mad_u64_u32 v[21:22], null, 0xfc2757d1, v25, v[1:2]
	s_delay_alu instid0(VALU_DEP_2) | instskip(NEXT) | instid1(VALU_DEP_2)
	v_cndmask_b32_e64 v17, v18, v17, s2
	v_mov_b32_e32 v1, v22
	s_delay_alu instid0(VALU_DEP_1) | instskip(NEXT) | instid1(VALU_DEP_1)
	v_mad_u64_u32 v[22:23], null, 0x4e441529, v25, v[1:2]
	v_mov_b32_e32 v1, v23
	s_delay_alu instid0(VALU_DEP_1) | instskip(SKIP_1) | instid1(VALU_DEP_4)
	v_mad_u64_u32 v[23:24], null, 0xa2f9836e, v25, v[1:2]
	v_cndmask_b32_e64 v1, 0, 0xffffffe0, s3
	v_cndmask_b32_e32 v25, v22, v20, vcc_lo
	s_delay_alu instid0(VALU_DEP_2) | instskip(NEXT) | instid1(VALU_DEP_4)
	v_add_nc_u32_e32 v1, v1, v26
	v_dual_cndmask_b32 v23, v23, v21 :: v_dual_cndmask_b32 v22, v24, v22
	v_cndmask_b32_e32 v21, v21, v19, vcc_lo
	s_delay_alu instid0(VALU_DEP_3) | instskip(NEXT) | instid1(VALU_DEP_3)
	v_sub_nc_u32_e32 v24, 32, v1
	v_cndmask_b32_e64 v20, v23, v25, s2
	s_delay_alu instid0(VALU_DEP_4) | instskip(NEXT) | instid1(VALU_DEP_4)
	v_cndmask_b32_e64 v22, v22, v23, s2
	v_cndmask_b32_e64 v23, v25, v21, s2
	;; [unrolled: 1-line block ×3, first 2 shown]
	v_cmp_eq_u32_e64 s4, 0, v1
	s_delay_alu instid0(VALU_DEP_4) | instskip(NEXT) | instid1(VALU_DEP_4)
	v_cndmask_b32_e64 v22, v22, v20, s3
	v_cndmask_b32_e64 v20, v20, v23, s3
	s_delay_alu instid0(VALU_DEP_4) | instskip(SKIP_1) | instid1(VALU_DEP_3)
	v_cndmask_b32_e64 v23, v23, v21, s3
	v_cndmask_b32_e64 v17, v21, v17, s3
	v_alignbit_b32 v25, v22, v20, v24
	s_delay_alu instid0(VALU_DEP_3) | instskip(NEXT) | instid1(VALU_DEP_3)
	v_alignbit_b32 v26, v20, v23, v24
	v_alignbit_b32 v24, v23, v17, v24
	s_delay_alu instid0(VALU_DEP_3) | instskip(NEXT) | instid1(VALU_DEP_3)
	v_cndmask_b32_e64 v1, v25, v22, s4
	v_cndmask_b32_e64 v19, v26, v20, s4
	s_delay_alu instid0(VALU_DEP_3) | instskip(NEXT) | instid1(VALU_DEP_3)
	v_cndmask_b32_e64 v23, v24, v23, s4
	v_bfe_u32 v20, v1, 29, 1
	s_delay_alu instid0(VALU_DEP_3) | instskip(NEXT) | instid1(VALU_DEP_3)
	v_alignbit_b32 v18, v1, v19, 30
	v_alignbit_b32 v19, v19, v23, 30
	;; [unrolled: 1-line block ×3, first 2 shown]
	s_delay_alu instid0(VALU_DEP_4) | instskip(NEXT) | instid1(VALU_DEP_1)
	v_sub_nc_u32_e32 v22, 0, v20
	v_xor_b32_e32 v21, v18, v22
	v_cmp_ne_u32_e32 vcc_lo, v18, v22
	v_xor_b32_e32 v19, v19, v22
	v_xor_b32_e32 v17, v17, v22
	s_delay_alu instid0(VALU_DEP_4) | instskip(NEXT) | instid1(VALU_DEP_1)
	v_clz_i32_u32_e32 v25, v21
	v_add_nc_u32_e32 v24, 1, v25
	s_delay_alu instid0(VALU_DEP_1) | instskip(NEXT) | instid1(VALU_DEP_1)
	v_cndmask_b32_e32 v18, 33, v24, vcc_lo
	v_sub_nc_u32_e32 v23, 32, v18
	s_delay_alu instid0(VALU_DEP_1) | instskip(SKIP_2) | instid1(VALU_DEP_2)
	v_alignbit_b32 v21, v21, v19, v23
	v_alignbit_b32 v17, v19, v17, v23
	v_lshrrev_b32_e32 v19, 29, v1
	v_alignbit_b32 v22, v21, v17, 9
	s_delay_alu instid0(VALU_DEP_2) | instskip(SKIP_1) | instid1(VALU_DEP_3)
	v_lshlrev_b32_e32 v19, 31, v19
	v_alignbit_b32 v21, v18, v21, 9
	v_clz_i32_u32_e32 v23, v22
	s_delay_alu instid0(VALU_DEP_2) | instskip(SKIP_1) | instid1(VALU_DEP_3)
	v_or_b32_e32 v21, v21, v19
	v_or_b32_e32 v19, 0x33800000, v19
	v_min_u32_e32 v23, 32, v23
	s_delay_alu instid0(VALU_DEP_3) | instskip(NEXT) | instid1(VALU_DEP_2)
	v_xor_b32_e32 v21, 1.0, v21
	v_sub_nc_u32_e32 v24, 31, v23
	v_add_lshl_u32 v18, v23, v18, 23
	s_delay_alu instid0(VALU_DEP_3) | instskip(NEXT) | instid1(VALU_DEP_3)
	v_mul_f32_e32 v23, 0x3fc90fda, v21
	v_alignbit_b32 v17, v22, v17, v24
	s_delay_alu instid0(VALU_DEP_3) | instskip(NEXT) | instid1(VALU_DEP_3)
	v_sub_nc_u32_e32 v18, v19, v18
	v_fma_f32 v19, 0x3fc90fda, v21, -v23
	s_delay_alu instid0(VALU_DEP_3) | instskip(NEXT) | instid1(VALU_DEP_2)
	v_lshrrev_b32_e32 v17, 9, v17
	v_fmac_f32_e32 v19, 0x33a22168, v21
	s_delay_alu instid0(VALU_DEP_2) | instskip(NEXT) | instid1(VALU_DEP_1)
	v_or_b32_e32 v17, v18, v17
	v_fmac_f32_e32 v19, 0x3fc90fda, v17
	v_lshrrev_b32_e32 v17, 30, v1
	s_delay_alu instid0(VALU_DEP_2) | instskip(NEXT) | instid1(VALU_DEP_2)
	v_add_f32_e32 v1, v23, v19
	v_add_nc_u32_e32 v17, v20, v17
.LBB219_18:                             ;   in Loop: Header=BB219_4 Depth=1
	s_and_not1_saveexec_b32 s2, s20
	s_cbranch_execz .LBB219_3
; %bb.19:                               ;   in Loop: Header=BB219_4 Depth=1
	v_mul_f32_e64 v1, 0x3f22f983, |v6|
	s_delay_alu instid0(VALU_DEP_1) | instskip(NEXT) | instid1(VALU_DEP_1)
	v_rndne_f32_e32 v17, v1
	v_fma_f32 v1, 0xbfc90fda, v17, |v6|
	s_delay_alu instid0(VALU_DEP_1) | instskip(NEXT) | instid1(VALU_DEP_1)
	v_fmac_f32_e32 v1, 0xb3a22168, v17
	v_fmac_f32_e32 v1, 0xa7c234c4, v17
	v_cvt_i32_f32_e32 v17, v17
	s_branch .LBB219_3
.LBB219_20:
	s_or_b32 exec_lo, exec_lo, s5
	s_mov_b32 s2, 0
.LBB219_21:
	s_delay_alu instid0(SALU_CYCLE_1)
	s_and_not1_b32 vcc_lo, exec_lo, s2
	s_cbranch_vccnz .LBB219_57
; %bb.22:
	v_cmp_lt_i64_e64 s2, s[10:11], 1
	s_delay_alu instid0(VALU_DEP_1)
	s_and_b32 vcc_lo, exec_lo, s2
	s_cbranch_vccnz .LBB219_57
; %bb.23:
	s_load_b32 s0, s[0:1], 0xc5c
	v_dual_mov_b32 v2, 0 :: v_dual_lshlrev_b32 v1, 1, v0
	v_cmp_gt_u64_e64 s1, 0x10000, s[10:11]
	s_mov_b32 s18, 0xb94c1982
	s_mov_b32 s19, 0x37d75334
	s_delay_alu instid0(VALU_DEP_2) | instskip(NEXT) | instid1(VALU_DEP_1)
	v_add_co_u32 v3, s2, s6, v1
	v_add_co_ci_u32_e64 v4, null, s7, 0, s2
	v_add_co_u32 v5, s2, s14, v1
	s_delay_alu instid0(VALU_DEP_1)
	v_add_co_ci_u32_e64 v6, null, s15, 0, s2
	s_waitcnt lgkmcnt(0)
	s_and_b32 s0, s0, 0xffff
	s_and_b32 s1, s1, exec_lo
	v_mad_u64_u32 v[9:10], null, s0, 6, v[1:2]
	s_cselect_b32 s13, s11, 0
	s_cselect_b32 s12, s10, 0x10000
	s_lshl_b32 s16, s0, 2
	s_lshl_b32 s1, s0, 1
	v_add_co_u32 v1, s3, s16, v1
	s_delay_alu instid0(VALU_DEP_2) | instskip(NEXT) | instid1(VALU_DEP_3)
	v_add_co_u32 v7, vcc_lo, s6, v9
	v_add_co_ci_u32_e32 v8, vcc_lo, s7, v10, vcc_lo
	v_add_co_u32 v9, vcc_lo, s14, v9
	v_add_co_ci_u32_e64 v17, null, 0, 0, s3
	s_mul_i32 s2, s0, 3
	s_lshl_b32 s17, s0, 3
	v_add_co_u32 v15, s0, v0, s0
	v_add_co_ci_u32_e32 v10, vcc_lo, s15, v10, vcc_lo
	v_add_co_u32 v13, vcc_lo, s6, v1
	v_add_co_ci_u32_e32 v14, vcc_lo, s7, v17, vcc_lo
	v_add_co_u32 v16, vcc_lo, s14, v1
	v_lshlrev_b32_e32 v1, 1, v15
	v_add_co_ci_u32_e64 v18, null, 0, 0, s0
	v_add_co_u32 v19, s0, s1, v0
	s_delay_alu instid0(VALU_DEP_1) | instskip(NEXT) | instid1(VALU_DEP_4)
	v_add_co_ci_u32_e64 v20, null, 0, 0, s0
	v_add_co_u32 v21, s0, s6, v1
	v_add_co_u32 v11, s2, s2, v0
	v_add_co_ci_u32_e64 v22, null, s7, 0, s0
	v_add_co_u32 v23, s0, s14, v1
	v_add_co_ci_u32_e64 v12, null, 0, 0, s2
	v_add_co_ci_u32_e32 v17, vcc_lo, s15, v17, vcc_lo
	v_add_co_ci_u32_e64 v24, null, s15, 0, s0
	s_mov_b64 s[14:15], 0
	s_mov_b32 s7, 0x7fffff
	s_branch .LBB219_25
.LBB219_24:                             ;   in Loop: Header=BB219_25 Depth=1
	s_or_b32 exec_lo, exec_lo, s0
	v_add_co_u32 v3, vcc_lo, v3, s17
	v_add_co_ci_u32_e32 v4, vcc_lo, 0, v4, vcc_lo
	v_add_co_u32 v5, vcc_lo, v5, s17
	v_add_co_ci_u32_e32 v6, vcc_lo, 0, v6, vcc_lo
	;; [unrolled: 2-line block ×5, first 2 shown]
	s_add_u32 s14, s14, s16
	v_add_co_u32 v16, vcc_lo, v16, s17
	s_addc_u32 s15, s15, 0
	v_add_co_ci_u32_e32 v17, vcc_lo, 0, v17, vcc_lo
	v_cmp_ge_i64_e64 s0, s[14:15], s[10:11]
	v_cmp_lt_u64_e64 s1, 0xffff, s[14:15]
	v_add_co_u32 v21, vcc_lo, v21, s17
	v_add_co_ci_u32_e32 v22, vcc_lo, 0, v22, vcc_lo
	v_add_co_u32 v23, vcc_lo, v23, s17
	v_add_co_ci_u32_e32 v24, vcc_lo, 0, v24, vcc_lo
	s_or_b32 s0, s0, s1
	s_delay_alu instid0(SALU_CYCLE_1)
	s_and_b32 vcc_lo, exec_lo, s0
	s_cbranch_vccnz .LBB219_57
.LBB219_25:                             ; =>This Inner Loop Header: Depth=1
	v_add_co_u32 v25, s0, v0, s14
	s_delay_alu instid0(VALU_DEP_1) | instskip(SKIP_1) | instid1(VALU_DEP_2)
	v_add_co_ci_u32_e64 v26, null, 0, s15, s0
	v_mov_b32_e32 v1, 0
	v_cmp_gt_u64_e64 s2, s[12:13], v[25:26]
	s_delay_alu instid0(VALU_DEP_1)
	s_and_saveexec_b32 s0, s2
	s_cbranch_execz .LBB219_27
; %bb.26:                               ;   in Loop: Header=BB219_25 Depth=1
	v_add_co_u32 v25, vcc_lo, v3, s8
	v_add_co_ci_u32_e32 v26, vcc_lo, s9, v4, vcc_lo
	global_load_u16 v1, v[25:26], off
.LBB219_27:                             ;   in Loop: Header=BB219_25 Depth=1
	s_or_b32 exec_lo, exec_lo, s0
	v_add_co_u32 v25, vcc_lo, v15, s14
	v_add_co_ci_u32_e32 v26, vcc_lo, s15, v18, vcc_lo
	s_delay_alu instid0(VALU_DEP_1) | instskip(SKIP_1) | instid1(VALU_DEP_2)
	v_cmp_gt_u64_e64 s1, s[12:13], v[25:26]
	v_mov_b32_e32 v26, 0
	s_and_saveexec_b32 s0, s1
	s_cbranch_execz .LBB219_29
; %bb.28:                               ;   in Loop: Header=BB219_25 Depth=1
	v_add_co_u32 v25, vcc_lo, v21, s8
	v_add_co_ci_u32_e32 v26, vcc_lo, s9, v22, vcc_lo
	global_load_u16 v26, v[25:26], off
.LBB219_29:                             ;   in Loop: Header=BB219_25 Depth=1
	s_or_b32 exec_lo, exec_lo, s0
	v_add_co_u32 v27, vcc_lo, v19, s14
	v_add_co_ci_u32_e32 v28, vcc_lo, s15, v20, vcc_lo
	v_dual_mov_b32 v29, 0 :: v_dual_mov_b32 v30, 0
	s_delay_alu instid0(VALU_DEP_2) | instskip(NEXT) | instid1(VALU_DEP_1)
	v_cmp_gt_u64_e64 s0, s[12:13], v[27:28]
	s_and_saveexec_b32 s3, s0
	s_cbranch_execz .LBB219_31
; %bb.30:                               ;   in Loop: Header=BB219_25 Depth=1
	v_add_co_u32 v27, vcc_lo, v13, s8
	v_add_co_ci_u32_e32 v28, vcc_lo, s9, v14, vcc_lo
	global_load_u16 v30, v[27:28], off
.LBB219_31:                             ;   in Loop: Header=BB219_25 Depth=1
	s_or_b32 exec_lo, exec_lo, s3
	v_add_co_u32 v27, vcc_lo, v11, s14
	v_add_co_ci_u32_e32 v28, vcc_lo, s15, v12, vcc_lo
	s_delay_alu instid0(VALU_DEP_1)
	v_cmp_gt_u64_e32 vcc_lo, s[12:13], v[27:28]
	s_and_saveexec_b32 s4, vcc_lo
	s_cbranch_execz .LBB219_33
; %bb.32:                               ;   in Loop: Header=BB219_25 Depth=1
	v_add_co_u32 v27, s3, v7, s8
	s_delay_alu instid0(VALU_DEP_1)
	v_add_co_ci_u32_e64 v28, s3, s9, v8, s3
	global_load_u16 v29, v[27:28], off
.LBB219_33:                             ;   in Loop: Header=BB219_25 Depth=1
	s_or_b32 exec_lo, exec_lo, s4
	s_waitcnt vmcnt(0)
	v_lshlrev_b32_e32 v25, 16, v1
                                        ; implicit-def: $vgpr28
                                        ; implicit-def: $vgpr27
	s_mov_b32 s4, exec_lo
	s_delay_alu instid0(VALU_DEP_1)
	v_cmpx_ngt_f32_e64 0x48000000, |v25|
	s_xor_b32 s20, exec_lo, s4
	s_cbranch_execz .LBB219_35
; %bb.34:                               ;   in Loop: Header=BB219_25 Depth=1
	v_and_b32_e32 v35, 0x7fffffff, v25
	s_delay_alu instid0(VALU_DEP_1) | instskip(NEXT) | instid1(VALU_DEP_1)
	v_and_or_b32 v38, v35, s7, 0x800000
	v_mad_u64_u32 v[27:28], null, 0xfe5163ab, v38, 0
	s_delay_alu instid0(VALU_DEP_1) | instskip(SKIP_1) | instid1(VALU_DEP_1)
	v_mov_b32_e32 v1, v28
	v_lshrrev_b32_e32 v28, 23, v35
	v_add_nc_u32_e32 v28, 0xffffff88, v28
	s_delay_alu instid0(VALU_DEP_3) | instskip(NEXT) | instid1(VALU_DEP_2)
	v_mad_u64_u32 v[31:32], null, 0x3c439041, v38, v[1:2]
	v_cmp_lt_u32_e64 s3, 63, v28
	s_delay_alu instid0(VALU_DEP_1) | instskip(NEXT) | instid1(VALU_DEP_1)
	v_cndmask_b32_e64 v36, 0, 0xffffffc0, s3
	v_add_nc_u32_e32 v28, v36, v28
	s_delay_alu instid0(VALU_DEP_1) | instskip(NEXT) | instid1(VALU_DEP_1)
	v_cmp_lt_u32_e64 s4, 31, v28
	v_cndmask_b32_e64 v37, 0, 0xffffffe0, s4
	s_delay_alu instid0(VALU_DEP_1) | instskip(NEXT) | instid1(VALU_DEP_1)
	v_dual_mov_b32 v1, v32 :: v_dual_add_nc_u32 v28, v37, v28
	v_mad_u64_u32 v[32:33], null, 0xdb629599, v38, v[1:2]
	s_delay_alu instid0(VALU_DEP_2) | instskip(NEXT) | instid1(VALU_DEP_2)
	v_cmp_lt_u32_e64 s5, 31, v28
	v_mov_b32_e32 v1, v33
	s_delay_alu instid0(VALU_DEP_3) | instskip(NEXT) | instid1(VALU_DEP_2)
	v_cndmask_b32_e64 v27, v32, v27, s3
	v_mad_u64_u32 v[33:34], null, 0xf534ddc0, v38, v[1:2]
	s_delay_alu instid0(VALU_DEP_1) | instskip(NEXT) | instid1(VALU_DEP_1)
	v_mov_b32_e32 v1, v34
	v_mad_u64_u32 v[34:35], null, 0xfc2757d1, v38, v[1:2]
	s_delay_alu instid0(VALU_DEP_1) | instskip(NEXT) | instid1(VALU_DEP_1)
	v_mov_b32_e32 v1, v35
	;; [unrolled: 3-line block ×3, first 2 shown]
	v_mad_u64_u32 v[36:37], null, 0xa2f9836e, v38, v[1:2]
	v_cndmask_b32_e64 v1, 0, 0xffffffe0, s5
	s_delay_alu instid0(VALU_DEP_4) | instskip(NEXT) | instid1(VALU_DEP_2)
	v_cndmask_b32_e64 v38, v35, v33, s3
	v_add_nc_u32_e32 v1, v1, v28
	s_delay_alu instid0(VALU_DEP_4)
	v_cndmask_b32_e64 v36, v36, v34, s3
	v_cndmask_b32_e64 v35, v37, v35, s3
	;; [unrolled: 1-line block ×4, first 2 shown]
	v_cmp_eq_u32_e64 s6, 0, v1
	v_cndmask_b32_e64 v31, v36, v38, s4
	v_cndmask_b32_e64 v33, v35, v36, s4
	;; [unrolled: 1-line block ×3, first 2 shown]
	v_sub_nc_u32_e32 v36, 32, v1
	v_cndmask_b32_e64 v34, v34, v28, s4
	v_cndmask_b32_e64 v27, v28, v27, s4
	;; [unrolled: 1-line block ×4, first 2 shown]
	s_delay_alu instid0(VALU_DEP_4) | instskip(NEXT) | instid1(VALU_DEP_4)
	v_cndmask_b32_e64 v35, v35, v34, s5
	v_cndmask_b32_e64 v27, v34, v27, s5
	s_delay_alu instid0(VALU_DEP_3) | instskip(NEXT) | instid1(VALU_DEP_3)
	v_alignbit_b32 v37, v33, v31, v36
	v_alignbit_b32 v38, v31, v35, v36
	s_delay_alu instid0(VALU_DEP_3) | instskip(NEXT) | instid1(VALU_DEP_3)
	v_alignbit_b32 v36, v35, v27, v36
	v_cndmask_b32_e64 v1, v37, v33, s6
	s_delay_alu instid0(VALU_DEP_3) | instskip(NEXT) | instid1(VALU_DEP_3)
	v_cndmask_b32_e64 v31, v38, v31, s6
	v_cndmask_b32_e64 v35, v36, v35, s6
	s_delay_alu instid0(VALU_DEP_3) | instskip(NEXT) | instid1(VALU_DEP_3)
	v_bfe_u32 v32, v1, 29, 1
	v_alignbit_b32 v28, v1, v31, 30
	s_delay_alu instid0(VALU_DEP_3) | instskip(SKIP_1) | instid1(VALU_DEP_4)
	v_alignbit_b32 v31, v31, v35, 30
	v_alignbit_b32 v27, v35, v27, 30
	v_sub_nc_u32_e32 v33, 0, v32
	s_delay_alu instid0(VALU_DEP_1) | instskip(SKIP_3) | instid1(VALU_DEP_4)
	v_xor_b32_e32 v34, v28, v33
	v_cmp_ne_u32_e64 s3, v28, v33
	v_xor_b32_e32 v31, v31, v33
	v_xor_b32_e32 v27, v27, v33
	v_clz_i32_u32_e32 v37, v34
	s_delay_alu instid0(VALU_DEP_1) | instskip(NEXT) | instid1(VALU_DEP_1)
	v_add_nc_u32_e32 v36, 1, v37
	v_cndmask_b32_e64 v28, 33, v36, s3
	s_delay_alu instid0(VALU_DEP_1) | instskip(NEXT) | instid1(VALU_DEP_1)
	v_sub_nc_u32_e32 v35, 32, v28
	v_alignbit_b32 v33, v34, v31, v35
	v_alignbit_b32 v27, v31, v27, v35
	v_lshrrev_b32_e32 v31, 29, v1
	v_lshrrev_b32_e32 v1, 30, v1
	s_delay_alu instid0(VALU_DEP_3) | instskip(NEXT) | instid1(VALU_DEP_3)
	v_alignbit_b32 v34, v33, v27, 9
	v_lshlrev_b32_e32 v31, 31, v31
	v_alignbit_b32 v33, v28, v33, 9
	s_delay_alu instid0(VALU_DEP_3) | instskip(NEXT) | instid1(VALU_DEP_2)
	v_clz_i32_u32_e32 v35, v34
	v_or_b32_e32 v33, v33, v31
	v_or_b32_e32 v31, 0x33800000, v31
	s_delay_alu instid0(VALU_DEP_3) | instskip(NEXT) | instid1(VALU_DEP_3)
	v_min_u32_e32 v35, 32, v35
	v_xor_b32_e32 v33, 1.0, v33
	s_delay_alu instid0(VALU_DEP_2) | instskip(SKIP_1) | instid1(VALU_DEP_3)
	v_sub_nc_u32_e32 v36, 31, v35
	v_add_lshl_u32 v28, v35, v28, 23
	v_mul_f32_e32 v35, 0x3fc90fda, v33
	s_delay_alu instid0(VALU_DEP_3) | instskip(NEXT) | instid1(VALU_DEP_3)
	v_alignbit_b32 v27, v34, v27, v36
	v_sub_nc_u32_e32 v28, v31, v28
	s_delay_alu instid0(VALU_DEP_3) | instskip(NEXT) | instid1(VALU_DEP_3)
	v_fma_f32 v31, 0x3fc90fda, v33, -v35
	v_lshrrev_b32_e32 v27, 9, v27
	s_delay_alu instid0(VALU_DEP_2) | instskip(NEXT) | instid1(VALU_DEP_2)
	v_fmac_f32_e32 v31, 0x33a22168, v33
	v_or_b32_e32 v27, v28, v27
	s_delay_alu instid0(VALU_DEP_1) | instskip(NEXT) | instid1(VALU_DEP_1)
	v_dual_fmac_f32 v31, 0x3fc90fda, v27 :: v_dual_add_nc_u32 v28, v32, v1
	v_add_f32_e32 v27, v35, v31
.LBB219_35:                             ;   in Loop: Header=BB219_25 Depth=1
	s_and_not1_saveexec_b32 s3, s20
; %bb.36:                               ;   in Loop: Header=BB219_25 Depth=1
	v_mul_f32_e64 v1, 0x3f22f983, |v25|
	s_delay_alu instid0(VALU_DEP_1) | instskip(NEXT) | instid1(VALU_DEP_1)
	v_rndne_f32_e32 v1, v1
	v_fma_f32 v27, 0xbfc90fda, v1, |v25|
	v_cvt_i32_f32_e32 v28, v1
	s_delay_alu instid0(VALU_DEP_2) | instskip(NEXT) | instid1(VALU_DEP_1)
	v_fmac_f32_e32 v27, 0xb3a22168, v1
	v_fmac_f32_e32 v27, 0xa7c234c4, v1
; %bb.37:                               ;   in Loop: Header=BB219_25 Depth=1
	s_or_b32 exec_lo, exec_lo, s3
	v_lshlrev_b32_e32 v26, 16, v26
                                        ; implicit-def: $vgpr32
                                        ; implicit-def: $vgpr31
	s_mov_b32 s4, exec_lo
	s_delay_alu instid0(VALU_DEP_1)
	v_cmpx_ngt_f32_e64 0x48000000, |v26|
	s_xor_b32 s20, exec_lo, s4
	s_cbranch_execz .LBB219_39
; %bb.38:                               ;   in Loop: Header=BB219_25 Depth=1
	v_and_b32_e32 v36, 0x7fffffff, v26
	s_delay_alu instid0(VALU_DEP_1) | instskip(NEXT) | instid1(VALU_DEP_1)
	v_and_or_b32 v39, v36, s7, 0x800000
	v_mad_u64_u32 v[31:32], null, 0xfe5163ab, v39, 0
	s_delay_alu instid0(VALU_DEP_1) | instskip(SKIP_1) | instid1(VALU_DEP_2)
	v_mov_b32_e32 v1, v32
	v_lshrrev_b32_e32 v36, 23, v36
	v_mad_u64_u32 v[32:33], null, 0x3c439041, v39, v[1:2]
	s_delay_alu instid0(VALU_DEP_2) | instskip(NEXT) | instid1(VALU_DEP_1)
	v_add_nc_u32_e32 v37, 0xffffff88, v36
	v_cmp_lt_u32_e64 s3, 63, v37
	s_delay_alu instid0(VALU_DEP_1) | instskip(NEXT) | instid1(VALU_DEP_1)
	v_cndmask_b32_e64 v38, 0, 0xffffffc0, s3
	v_dual_mov_b32 v1, v33 :: v_dual_add_nc_u32 v38, v38, v37
	s_delay_alu instid0(VALU_DEP_1) | instskip(NEXT) | instid1(VALU_DEP_2)
	v_mad_u64_u32 v[33:34], null, 0xdb629599, v39, v[1:2]
	v_cmp_lt_u32_e64 s4, 31, v38
	s_delay_alu instid0(VALU_DEP_2) | instskip(NEXT) | instid1(VALU_DEP_2)
	v_cndmask_b32_e64 v31, v33, v31, s3
	v_cndmask_b32_e64 v40, 0, 0xffffffe0, s4
	s_delay_alu instid0(VALU_DEP_1) | instskip(NEXT) | instid1(VALU_DEP_1)
	v_dual_mov_b32 v1, v34 :: v_dual_add_nc_u32 v40, v40, v38
	v_mad_u64_u32 v[34:35], null, 0xf534ddc0, v39, v[1:2]
	s_delay_alu instid0(VALU_DEP_2) | instskip(NEXT) | instid1(VALU_DEP_2)
	v_cmp_lt_u32_e64 s5, 31, v40
	v_mov_b32_e32 v1, v35
	s_delay_alu instid0(VALU_DEP_3) | instskip(NEXT) | instid1(VALU_DEP_2)
	v_cndmask_b32_e64 v32, v34, v32, s3
	v_mad_u64_u32 v[35:36], null, 0xfc2757d1, v39, v[1:2]
	s_delay_alu instid0(VALU_DEP_2) | instskip(NEXT) | instid1(VALU_DEP_2)
	v_cndmask_b32_e64 v31, v32, v31, s4
	v_mov_b32_e32 v1, v36
	s_delay_alu instid0(VALU_DEP_1) | instskip(NEXT) | instid1(VALU_DEP_1)
	v_mad_u64_u32 v[36:37], null, 0x4e441529, v39, v[1:2]
	v_mov_b32_e32 v1, v37
	s_delay_alu instid0(VALU_DEP_1) | instskip(SKIP_1) | instid1(VALU_DEP_4)
	v_mad_u64_u32 v[37:38], null, 0xa2f9836e, v39, v[1:2]
	v_cndmask_b32_e64 v1, 0, 0xffffffe0, s5
	v_cndmask_b32_e64 v39, v36, v34, s3
	s_delay_alu instid0(VALU_DEP_2) | instskip(NEXT) | instid1(VALU_DEP_4)
	v_add_nc_u32_e32 v1, v1, v40
	v_cndmask_b32_e64 v37, v37, v35, s3
	v_cndmask_b32_e64 v36, v38, v36, s3
	;; [unrolled: 1-line block ×3, first 2 shown]
	s_delay_alu instid0(VALU_DEP_4) | instskip(NEXT) | instid1(VALU_DEP_4)
	v_sub_nc_u32_e32 v38, 32, v1
	v_cndmask_b32_e64 v34, v37, v39, s4
	s_delay_alu instid0(VALU_DEP_4) | instskip(NEXT) | instid1(VALU_DEP_4)
	v_cndmask_b32_e64 v36, v36, v37, s4
	v_cndmask_b32_e64 v37, v39, v35, s4
	;; [unrolled: 1-line block ×3, first 2 shown]
	v_cmp_eq_u32_e64 s6, 0, v1
	s_delay_alu instid0(VALU_DEP_4) | instskip(NEXT) | instid1(VALU_DEP_4)
	v_cndmask_b32_e64 v36, v36, v34, s5
	v_cndmask_b32_e64 v34, v34, v37, s5
	s_delay_alu instid0(VALU_DEP_4) | instskip(SKIP_1) | instid1(VALU_DEP_3)
	v_cndmask_b32_e64 v37, v37, v35, s5
	v_cndmask_b32_e64 v31, v35, v31, s5
	v_alignbit_b32 v39, v36, v34, v38
	s_delay_alu instid0(VALU_DEP_3) | instskip(NEXT) | instid1(VALU_DEP_3)
	v_alignbit_b32 v40, v34, v37, v38
	v_alignbit_b32 v38, v37, v31, v38
	s_delay_alu instid0(VALU_DEP_3) | instskip(NEXT) | instid1(VALU_DEP_3)
	v_cndmask_b32_e64 v1, v39, v36, s6
	v_cndmask_b32_e64 v33, v40, v34, s6
	s_delay_alu instid0(VALU_DEP_3) | instskip(NEXT) | instid1(VALU_DEP_3)
	v_cndmask_b32_e64 v37, v38, v37, s6
	v_bfe_u32 v34, v1, 29, 1
	s_delay_alu instid0(VALU_DEP_3) | instskip(NEXT) | instid1(VALU_DEP_3)
	v_alignbit_b32 v32, v1, v33, 30
	v_alignbit_b32 v33, v33, v37, 30
	v_alignbit_b32 v31, v37, v31, 30
	s_delay_alu instid0(VALU_DEP_4) | instskip(NEXT) | instid1(VALU_DEP_1)
	v_sub_nc_u32_e32 v36, 0, v34
	v_xor_b32_e32 v35, v32, v36
	v_cmp_ne_u32_e64 s3, v32, v36
	v_xor_b32_e32 v33, v33, v36
	v_xor_b32_e32 v31, v31, v36
	s_delay_alu instid0(VALU_DEP_4) | instskip(NEXT) | instid1(VALU_DEP_1)
	v_clz_i32_u32_e32 v39, v35
	v_add_nc_u32_e32 v38, 1, v39
	s_delay_alu instid0(VALU_DEP_1) | instskip(NEXT) | instid1(VALU_DEP_1)
	v_cndmask_b32_e64 v32, 33, v38, s3
	v_sub_nc_u32_e32 v37, 32, v32
	s_delay_alu instid0(VALU_DEP_1) | instskip(SKIP_3) | instid1(VALU_DEP_3)
	v_alignbit_b32 v35, v35, v33, v37
	v_alignbit_b32 v31, v33, v31, v37
	v_lshrrev_b32_e32 v33, 29, v1
	v_lshrrev_b32_e32 v1, 30, v1
	v_alignbit_b32 v36, v35, v31, 9
	s_delay_alu instid0(VALU_DEP_3) | instskip(SKIP_1) | instid1(VALU_DEP_3)
	v_lshlrev_b32_e32 v33, 31, v33
	v_alignbit_b32 v35, v32, v35, 9
	v_clz_i32_u32_e32 v37, v36
	s_delay_alu instid0(VALU_DEP_2) | instskip(SKIP_1) | instid1(VALU_DEP_3)
	v_or_b32_e32 v35, v35, v33
	v_or_b32_e32 v33, 0x33800000, v33
	v_min_u32_e32 v37, 32, v37
	s_delay_alu instid0(VALU_DEP_3) | instskip(NEXT) | instid1(VALU_DEP_2)
	v_xor_b32_e32 v35, 1.0, v35
	v_sub_nc_u32_e32 v38, 31, v37
	v_add_lshl_u32 v32, v37, v32, 23
	s_delay_alu instid0(VALU_DEP_3) | instskip(NEXT) | instid1(VALU_DEP_3)
	v_mul_f32_e32 v37, 0x3fc90fda, v35
	v_alignbit_b32 v31, v36, v31, v38
	s_delay_alu instid0(VALU_DEP_3) | instskip(NEXT) | instid1(VALU_DEP_2)
	v_sub_nc_u32_e32 v32, v33, v32
	v_lshrrev_b32_e32 v31, 9, v31
	s_delay_alu instid0(VALU_DEP_1) | instskip(SKIP_2) | instid1(VALU_DEP_1)
	v_or_b32_e32 v31, v32, v31
	v_add_nc_u32_e32 v32, v34, v1
	v_fma_f32 v33, 0x3fc90fda, v35, -v37
	v_fmac_f32_e32 v33, 0x33a22168, v35
	s_delay_alu instid0(VALU_DEP_1) | instskip(NEXT) | instid1(VALU_DEP_1)
	v_fmac_f32_e32 v33, 0x3fc90fda, v31
	v_add_f32_e32 v31, v37, v33
.LBB219_39:                             ;   in Loop: Header=BB219_25 Depth=1
	s_and_not1_saveexec_b32 s3, s20
; %bb.40:                               ;   in Loop: Header=BB219_25 Depth=1
	v_mul_f32_e64 v1, 0x3f22f983, |v26|
	s_delay_alu instid0(VALU_DEP_1) | instskip(NEXT) | instid1(VALU_DEP_1)
	v_rndne_f32_e32 v1, v1
	v_fma_f32 v31, 0xbfc90fda, v1, |v26|
	v_cvt_i32_f32_e32 v32, v1
	s_delay_alu instid0(VALU_DEP_2) | instskip(NEXT) | instid1(VALU_DEP_1)
	v_fmac_f32_e32 v31, 0xb3a22168, v1
	v_fmac_f32_e32 v31, 0xa7c234c4, v1
; %bb.41:                               ;   in Loop: Header=BB219_25 Depth=1
	s_or_b32 exec_lo, exec_lo, s3
	v_lshlrev_b32_e32 v30, 16, v30
                                        ; implicit-def: $vgpr34
                                        ; implicit-def: $vgpr33
	s_mov_b32 s4, exec_lo
	s_delay_alu instid0(VALU_DEP_1)
	v_cmpx_ngt_f32_e64 0x48000000, |v30|
	s_xor_b32 s20, exec_lo, s4
	s_cbranch_execz .LBB219_43
; %bb.42:                               ;   in Loop: Header=BB219_25 Depth=1
	v_and_b32_e32 v38, 0x7fffffff, v30
	s_delay_alu instid0(VALU_DEP_1) | instskip(NEXT) | instid1(VALU_DEP_1)
	v_and_or_b32 v41, v38, s7, 0x800000
	v_mad_u64_u32 v[33:34], null, 0xfe5163ab, v41, 0
	s_delay_alu instid0(VALU_DEP_1) | instskip(SKIP_1) | instid1(VALU_DEP_2)
	v_mov_b32_e32 v1, v34
	v_lshrrev_b32_e32 v38, 23, v38
	v_mad_u64_u32 v[34:35], null, 0x3c439041, v41, v[1:2]
	s_delay_alu instid0(VALU_DEP_2) | instskip(NEXT) | instid1(VALU_DEP_1)
	v_add_nc_u32_e32 v39, 0xffffff88, v38
	v_cmp_lt_u32_e64 s3, 63, v39
	s_delay_alu instid0(VALU_DEP_1) | instskip(NEXT) | instid1(VALU_DEP_1)
	v_cndmask_b32_e64 v40, 0, 0xffffffc0, s3
	v_dual_mov_b32 v1, v35 :: v_dual_add_nc_u32 v40, v40, v39
	s_delay_alu instid0(VALU_DEP_1) | instskip(NEXT) | instid1(VALU_DEP_2)
	v_mad_u64_u32 v[35:36], null, 0xdb629599, v41, v[1:2]
	v_cmp_lt_u32_e64 s4, 31, v40
	s_delay_alu instid0(VALU_DEP_2) | instskip(NEXT) | instid1(VALU_DEP_2)
	v_cndmask_b32_e64 v33, v35, v33, s3
	v_cndmask_b32_e64 v42, 0, 0xffffffe0, s4
	s_delay_alu instid0(VALU_DEP_1) | instskip(NEXT) | instid1(VALU_DEP_1)
	v_dual_mov_b32 v1, v36 :: v_dual_add_nc_u32 v42, v42, v40
	v_mad_u64_u32 v[36:37], null, 0xf534ddc0, v41, v[1:2]
	s_delay_alu instid0(VALU_DEP_2) | instskip(NEXT) | instid1(VALU_DEP_2)
	v_cmp_lt_u32_e64 s5, 31, v42
	v_mov_b32_e32 v1, v37
	s_delay_alu instid0(VALU_DEP_3) | instskip(NEXT) | instid1(VALU_DEP_2)
	v_cndmask_b32_e64 v34, v36, v34, s3
	v_mad_u64_u32 v[37:38], null, 0xfc2757d1, v41, v[1:2]
	s_delay_alu instid0(VALU_DEP_2) | instskip(NEXT) | instid1(VALU_DEP_2)
	v_cndmask_b32_e64 v33, v34, v33, s4
	v_mov_b32_e32 v1, v38
	s_delay_alu instid0(VALU_DEP_1) | instskip(NEXT) | instid1(VALU_DEP_1)
	v_mad_u64_u32 v[38:39], null, 0x4e441529, v41, v[1:2]
	v_mov_b32_e32 v1, v39
	s_delay_alu instid0(VALU_DEP_1) | instskip(SKIP_1) | instid1(VALU_DEP_4)
	v_mad_u64_u32 v[39:40], null, 0xa2f9836e, v41, v[1:2]
	v_cndmask_b32_e64 v1, 0, 0xffffffe0, s5
	v_cndmask_b32_e64 v41, v38, v36, s3
	s_delay_alu instid0(VALU_DEP_2) | instskip(NEXT) | instid1(VALU_DEP_4)
	v_add_nc_u32_e32 v1, v1, v42
	v_cndmask_b32_e64 v39, v39, v37, s3
	v_cndmask_b32_e64 v38, v40, v38, s3
	v_cndmask_b32_e64 v37, v37, v35, s3
	s_delay_alu instid0(VALU_DEP_4) | instskip(NEXT) | instid1(VALU_DEP_4)
	v_sub_nc_u32_e32 v40, 32, v1
	v_cndmask_b32_e64 v36, v39, v41, s4
	s_delay_alu instid0(VALU_DEP_4) | instskip(NEXT) | instid1(VALU_DEP_4)
	v_cndmask_b32_e64 v38, v38, v39, s4
	v_cndmask_b32_e64 v39, v41, v37, s4
	;; [unrolled: 1-line block ×3, first 2 shown]
	v_cmp_eq_u32_e64 s6, 0, v1
	s_delay_alu instid0(VALU_DEP_4) | instskip(NEXT) | instid1(VALU_DEP_4)
	v_cndmask_b32_e64 v38, v38, v36, s5
	v_cndmask_b32_e64 v36, v36, v39, s5
	s_delay_alu instid0(VALU_DEP_4) | instskip(SKIP_1) | instid1(VALU_DEP_3)
	v_cndmask_b32_e64 v39, v39, v37, s5
	v_cndmask_b32_e64 v33, v37, v33, s5
	v_alignbit_b32 v41, v38, v36, v40
	s_delay_alu instid0(VALU_DEP_3) | instskip(NEXT) | instid1(VALU_DEP_3)
	v_alignbit_b32 v42, v36, v39, v40
	v_alignbit_b32 v40, v39, v33, v40
	s_delay_alu instid0(VALU_DEP_3) | instskip(NEXT) | instid1(VALU_DEP_3)
	v_cndmask_b32_e64 v1, v41, v38, s6
	v_cndmask_b32_e64 v35, v42, v36, s6
	s_delay_alu instid0(VALU_DEP_3) | instskip(NEXT) | instid1(VALU_DEP_3)
	v_cndmask_b32_e64 v39, v40, v39, s6
	v_bfe_u32 v36, v1, 29, 1
	s_delay_alu instid0(VALU_DEP_3) | instskip(NEXT) | instid1(VALU_DEP_3)
	v_alignbit_b32 v34, v1, v35, 30
	v_alignbit_b32 v35, v35, v39, 30
	;; [unrolled: 1-line block ×3, first 2 shown]
	s_delay_alu instid0(VALU_DEP_4) | instskip(NEXT) | instid1(VALU_DEP_1)
	v_sub_nc_u32_e32 v38, 0, v36
	v_xor_b32_e32 v37, v34, v38
	v_cmp_ne_u32_e64 s3, v34, v38
	v_xor_b32_e32 v35, v35, v38
	v_xor_b32_e32 v33, v33, v38
	s_delay_alu instid0(VALU_DEP_4) | instskip(NEXT) | instid1(VALU_DEP_1)
	v_clz_i32_u32_e32 v41, v37
	v_add_nc_u32_e32 v40, 1, v41
	s_delay_alu instid0(VALU_DEP_1) | instskip(NEXT) | instid1(VALU_DEP_1)
	v_cndmask_b32_e64 v34, 33, v40, s3
	v_sub_nc_u32_e32 v39, 32, v34
	s_delay_alu instid0(VALU_DEP_1) | instskip(SKIP_3) | instid1(VALU_DEP_3)
	v_alignbit_b32 v37, v37, v35, v39
	v_alignbit_b32 v33, v35, v33, v39
	v_lshrrev_b32_e32 v35, 29, v1
	v_lshrrev_b32_e32 v1, 30, v1
	v_alignbit_b32 v38, v37, v33, 9
	s_delay_alu instid0(VALU_DEP_3) | instskip(SKIP_1) | instid1(VALU_DEP_3)
	v_lshlrev_b32_e32 v35, 31, v35
	v_alignbit_b32 v37, v34, v37, 9
	v_clz_i32_u32_e32 v39, v38
	s_delay_alu instid0(VALU_DEP_2) | instskip(SKIP_1) | instid1(VALU_DEP_3)
	v_or_b32_e32 v37, v37, v35
	v_or_b32_e32 v35, 0x33800000, v35
	v_min_u32_e32 v39, 32, v39
	s_delay_alu instid0(VALU_DEP_3) | instskip(NEXT) | instid1(VALU_DEP_2)
	v_xor_b32_e32 v37, 1.0, v37
	v_sub_nc_u32_e32 v40, 31, v39
	v_add_lshl_u32 v34, v39, v34, 23
	s_delay_alu instid0(VALU_DEP_3) | instskip(NEXT) | instid1(VALU_DEP_3)
	v_mul_f32_e32 v39, 0x3fc90fda, v37
	v_alignbit_b32 v33, v38, v33, v40
	s_delay_alu instid0(VALU_DEP_3) | instskip(NEXT) | instid1(VALU_DEP_3)
	v_sub_nc_u32_e32 v34, v35, v34
	v_fma_f32 v35, 0x3fc90fda, v37, -v39
	s_delay_alu instid0(VALU_DEP_3) | instskip(NEXT) | instid1(VALU_DEP_2)
	v_lshrrev_b32_e32 v33, 9, v33
	v_fmac_f32_e32 v35, 0x33a22168, v37
	s_delay_alu instid0(VALU_DEP_2) | instskip(SKIP_1) | instid1(VALU_DEP_2)
	v_or_b32_e32 v33, v34, v33
	v_add_nc_u32_e32 v34, v36, v1
	v_fmac_f32_e32 v35, 0x3fc90fda, v33
	s_delay_alu instid0(VALU_DEP_1)
	v_add_f32_e32 v33, v39, v35
.LBB219_43:                             ;   in Loop: Header=BB219_25 Depth=1
	s_and_not1_saveexec_b32 s3, s20
; %bb.44:                               ;   in Loop: Header=BB219_25 Depth=1
	v_mul_f32_e64 v1, 0x3f22f983, |v30|
	s_delay_alu instid0(VALU_DEP_1) | instskip(NEXT) | instid1(VALU_DEP_1)
	v_rndne_f32_e32 v1, v1
	v_fma_f32 v33, 0xbfc90fda, v1, |v30|
	v_cvt_i32_f32_e32 v34, v1
	s_delay_alu instid0(VALU_DEP_2) | instskip(NEXT) | instid1(VALU_DEP_1)
	v_fmac_f32_e32 v33, 0xb3a22168, v1
	v_fmac_f32_e32 v33, 0xa7c234c4, v1
; %bb.45:                               ;   in Loop: Header=BB219_25 Depth=1
	s_or_b32 exec_lo, exec_lo, s3
	v_lshlrev_b32_e32 v29, 16, v29
                                        ; implicit-def: $vgpr35
                                        ; implicit-def: $vgpr1
	s_mov_b32 s4, exec_lo
	s_delay_alu instid0(VALU_DEP_1)
	v_cmpx_ngt_f32_e64 0x48000000, |v29|
	s_xor_b32 s20, exec_lo, s4
	s_cbranch_execnz .LBB219_51
; %bb.46:                               ;   in Loop: Header=BB219_25 Depth=1
	s_and_not1_saveexec_b32 s3, s20
	s_cbranch_execnz .LBB219_52
.LBB219_47:                             ;   in Loop: Header=BB219_25 Depth=1
	s_or_b32 exec_lo, exec_lo, s3
	s_and_saveexec_b32 s3, s2
	s_delay_alu instid0(SALU_CYCLE_1)
	s_xor_b32 s3, exec_lo, s3
	s_cbranch_execnz .LBB219_53
.LBB219_48:                             ;   in Loop: Header=BB219_25 Depth=1
	s_or_b32 exec_lo, exec_lo, s3
	s_and_saveexec_b32 s2, s1
	s_cbranch_execnz .LBB219_54
.LBB219_49:                             ;   in Loop: Header=BB219_25 Depth=1
	s_or_b32 exec_lo, exec_lo, s2
	s_and_saveexec_b32 s1, s0
	s_cbranch_execnz .LBB219_55
.LBB219_50:                             ;   in Loop: Header=BB219_25 Depth=1
	s_or_b32 exec_lo, exec_lo, s1
	s_and_saveexec_b32 s0, vcc_lo
	s_cbranch_execz .LBB219_24
	s_branch .LBB219_56
.LBB219_51:                             ;   in Loop: Header=BB219_25 Depth=1
	v_and_b32_e32 v40, 0x7fffffff, v29
	s_delay_alu instid0(VALU_DEP_1) | instskip(NEXT) | instid1(VALU_DEP_1)
	v_and_or_b32 v43, v40, s7, 0x800000
	v_mad_u64_u32 v[35:36], null, 0xfe5163ab, v43, 0
	s_delay_alu instid0(VALU_DEP_1) | instskip(SKIP_1) | instid1(VALU_DEP_2)
	v_mov_b32_e32 v1, v36
	v_lshrrev_b32_e32 v40, 23, v40
	v_mad_u64_u32 v[36:37], null, 0x3c439041, v43, v[1:2]
	s_delay_alu instid0(VALU_DEP_2) | instskip(NEXT) | instid1(VALU_DEP_1)
	v_add_nc_u32_e32 v41, 0xffffff88, v40
	v_cmp_lt_u32_e64 s3, 63, v41
	s_delay_alu instid0(VALU_DEP_1) | instskip(NEXT) | instid1(VALU_DEP_1)
	v_cndmask_b32_e64 v42, 0, 0xffffffc0, s3
	v_dual_mov_b32 v1, v37 :: v_dual_add_nc_u32 v42, v42, v41
	s_delay_alu instid0(VALU_DEP_1) | instskip(NEXT) | instid1(VALU_DEP_2)
	v_mad_u64_u32 v[37:38], null, 0xdb629599, v43, v[1:2]
	v_cmp_lt_u32_e64 s4, 31, v42
	s_delay_alu instid0(VALU_DEP_2) | instskip(NEXT) | instid1(VALU_DEP_2)
	v_cndmask_b32_e64 v35, v37, v35, s3
	v_cndmask_b32_e64 v44, 0, 0xffffffe0, s4
	s_delay_alu instid0(VALU_DEP_1) | instskip(NEXT) | instid1(VALU_DEP_1)
	v_dual_mov_b32 v1, v38 :: v_dual_add_nc_u32 v44, v44, v42
	v_mad_u64_u32 v[38:39], null, 0xf534ddc0, v43, v[1:2]
	s_delay_alu instid0(VALU_DEP_2) | instskip(NEXT) | instid1(VALU_DEP_2)
	v_cmp_lt_u32_e64 s5, 31, v44
	v_mov_b32_e32 v1, v39
	s_delay_alu instid0(VALU_DEP_3) | instskip(NEXT) | instid1(VALU_DEP_2)
	v_cndmask_b32_e64 v36, v38, v36, s3
	v_mad_u64_u32 v[39:40], null, 0xfc2757d1, v43, v[1:2]
	s_delay_alu instid0(VALU_DEP_2) | instskip(NEXT) | instid1(VALU_DEP_2)
	v_cndmask_b32_e64 v35, v36, v35, s4
	v_mov_b32_e32 v1, v40
	s_delay_alu instid0(VALU_DEP_1) | instskip(NEXT) | instid1(VALU_DEP_1)
	v_mad_u64_u32 v[40:41], null, 0x4e441529, v43, v[1:2]
	v_mov_b32_e32 v1, v41
	s_delay_alu instid0(VALU_DEP_1) | instskip(SKIP_1) | instid1(VALU_DEP_4)
	v_mad_u64_u32 v[41:42], null, 0xa2f9836e, v43, v[1:2]
	v_cndmask_b32_e64 v1, 0, 0xffffffe0, s5
	v_cndmask_b32_e64 v43, v40, v38, s3
	s_delay_alu instid0(VALU_DEP_2) | instskip(NEXT) | instid1(VALU_DEP_4)
	v_add_nc_u32_e32 v1, v1, v44
	v_cndmask_b32_e64 v41, v41, v39, s3
	v_cndmask_b32_e64 v40, v42, v40, s3
	;; [unrolled: 1-line block ×3, first 2 shown]
	s_delay_alu instid0(VALU_DEP_4) | instskip(NEXT) | instid1(VALU_DEP_4)
	v_sub_nc_u32_e32 v42, 32, v1
	v_cndmask_b32_e64 v38, v41, v43, s4
	s_delay_alu instid0(VALU_DEP_4) | instskip(NEXT) | instid1(VALU_DEP_4)
	v_cndmask_b32_e64 v40, v40, v41, s4
	v_cndmask_b32_e64 v41, v43, v39, s4
	;; [unrolled: 1-line block ×3, first 2 shown]
	v_cmp_eq_u32_e64 s6, 0, v1
	s_delay_alu instid0(VALU_DEP_4) | instskip(NEXT) | instid1(VALU_DEP_4)
	v_cndmask_b32_e64 v40, v40, v38, s5
	v_cndmask_b32_e64 v38, v38, v41, s5
	s_delay_alu instid0(VALU_DEP_4) | instskip(SKIP_1) | instid1(VALU_DEP_3)
	v_cndmask_b32_e64 v41, v41, v39, s5
	v_cndmask_b32_e64 v35, v39, v35, s5
	v_alignbit_b32 v43, v40, v38, v42
	s_delay_alu instid0(VALU_DEP_3) | instskip(NEXT) | instid1(VALU_DEP_3)
	v_alignbit_b32 v44, v38, v41, v42
	v_alignbit_b32 v42, v41, v35, v42
	s_delay_alu instid0(VALU_DEP_3) | instskip(NEXT) | instid1(VALU_DEP_3)
	v_cndmask_b32_e64 v1, v43, v40, s6
	v_cndmask_b32_e64 v37, v44, v38, s6
	s_delay_alu instid0(VALU_DEP_3) | instskip(NEXT) | instid1(VALU_DEP_3)
	v_cndmask_b32_e64 v41, v42, v41, s6
	v_bfe_u32 v38, v1, 29, 1
	s_delay_alu instid0(VALU_DEP_3) | instskip(NEXT) | instid1(VALU_DEP_3)
	v_alignbit_b32 v36, v1, v37, 30
	v_alignbit_b32 v37, v37, v41, 30
	v_alignbit_b32 v35, v41, v35, 30
	s_delay_alu instid0(VALU_DEP_4) | instskip(NEXT) | instid1(VALU_DEP_1)
	v_sub_nc_u32_e32 v40, 0, v38
	v_xor_b32_e32 v39, v36, v40
	v_cmp_ne_u32_e64 s3, v36, v40
	v_xor_b32_e32 v37, v37, v40
	v_xor_b32_e32 v35, v35, v40
	s_delay_alu instid0(VALU_DEP_4) | instskip(NEXT) | instid1(VALU_DEP_1)
	v_clz_i32_u32_e32 v43, v39
	v_add_nc_u32_e32 v42, 1, v43
	s_delay_alu instid0(VALU_DEP_1) | instskip(NEXT) | instid1(VALU_DEP_1)
	v_cndmask_b32_e64 v36, 33, v42, s3
	v_sub_nc_u32_e32 v41, 32, v36
	s_delay_alu instid0(VALU_DEP_1) | instskip(SKIP_2) | instid1(VALU_DEP_2)
	v_alignbit_b32 v39, v39, v37, v41
	v_alignbit_b32 v35, v37, v35, v41
	v_lshrrev_b32_e32 v37, 29, v1
	v_alignbit_b32 v40, v39, v35, 9
	s_delay_alu instid0(VALU_DEP_2) | instskip(SKIP_1) | instid1(VALU_DEP_3)
	v_lshlrev_b32_e32 v37, 31, v37
	v_alignbit_b32 v39, v36, v39, 9
	v_clz_i32_u32_e32 v41, v40
	s_delay_alu instid0(VALU_DEP_2) | instskip(SKIP_1) | instid1(VALU_DEP_3)
	v_or_b32_e32 v39, v39, v37
	v_or_b32_e32 v37, 0x33800000, v37
	v_min_u32_e32 v41, 32, v41
	s_delay_alu instid0(VALU_DEP_3) | instskip(NEXT) | instid1(VALU_DEP_2)
	v_xor_b32_e32 v39, 1.0, v39
	v_sub_nc_u32_e32 v42, 31, v41
	v_add_lshl_u32 v36, v41, v36, 23
	s_delay_alu instid0(VALU_DEP_3) | instskip(NEXT) | instid1(VALU_DEP_3)
	v_mul_f32_e32 v41, 0x3fc90fda, v39
	v_alignbit_b32 v35, v40, v35, v42
	s_delay_alu instid0(VALU_DEP_3) | instskip(NEXT) | instid1(VALU_DEP_3)
	v_sub_nc_u32_e32 v36, v37, v36
	v_fma_f32 v37, 0x3fc90fda, v39, -v41
	s_delay_alu instid0(VALU_DEP_3) | instskip(NEXT) | instid1(VALU_DEP_2)
	v_lshrrev_b32_e32 v35, 9, v35
	v_fmac_f32_e32 v37, 0x33a22168, v39
	s_delay_alu instid0(VALU_DEP_2) | instskip(NEXT) | instid1(VALU_DEP_1)
	v_or_b32_e32 v35, v36, v35
	v_fmac_f32_e32 v37, 0x3fc90fda, v35
	v_lshrrev_b32_e32 v35, 30, v1
	s_delay_alu instid0(VALU_DEP_2) | instskip(NEXT) | instid1(VALU_DEP_2)
	v_add_f32_e32 v1, v41, v37
	v_add_nc_u32_e32 v35, v38, v35
	s_and_not1_saveexec_b32 s3, s20
	s_cbranch_execz .LBB219_47
.LBB219_52:                             ;   in Loop: Header=BB219_25 Depth=1
	v_mul_f32_e64 v1, 0x3f22f983, |v29|
	s_delay_alu instid0(VALU_DEP_1) | instskip(NEXT) | instid1(VALU_DEP_1)
	v_rndne_f32_e32 v35, v1
	v_fma_f32 v1, 0xbfc90fda, v35, |v29|
	s_delay_alu instid0(VALU_DEP_1) | instskip(NEXT) | instid1(VALU_DEP_1)
	v_fmac_f32_e32 v1, 0xb3a22168, v35
	v_fmac_f32_e32 v1, 0xa7c234c4, v35
	v_cvt_i32_f32_e32 v35, v35
	s_or_b32 exec_lo, exec_lo, s3
	s_and_saveexec_b32 s3, s2
	s_delay_alu instid0(SALU_CYCLE_1)
	s_xor_b32 s3, exec_lo, s3
	s_cbranch_execz .LBB219_48
.LBB219_53:                             ;   in Loop: Header=BB219_25 Depth=1
	v_dual_mul_f32 v36, v27, v27 :: v_dual_and_b32 v39, 1, v28
	v_lshlrev_b32_e32 v28, 30, v28
	s_delay_alu instid0(VALU_DEP_2) | instskip(NEXT) | instid1(VALU_DEP_3)
	v_fmaak_f32 v37, s18, v36, 0x3c0881c4
	v_cmp_eq_u32_e64 s2, 0, v39
	s_delay_alu instid0(VALU_DEP_3) | instskip(NEXT) | instid1(VALU_DEP_3)
	v_and_b32_e32 v28, 0x80000000, v28
	v_fmaak_f32 v37, v36, v37, 0xbe2aaa9d
	s_delay_alu instid0(VALU_DEP_1) | instskip(NEXT) | instid1(VALU_DEP_1)
	v_dual_fmaak_f32 v38, s19, v36, 0xbab64f3b :: v_dual_mul_f32 v37, v36, v37
	v_dual_fmaak_f32 v38, v36, v38, 0x3d2aabf7 :: v_dual_fmac_f32 v27, v27, v37
	s_delay_alu instid0(VALU_DEP_1) | instskip(NEXT) | instid1(VALU_DEP_1)
	v_fmaak_f32 v38, v36, v38, 0xbf000004
	v_fma_f32 v36, v36, v38, 1.0
	s_delay_alu instid0(VALU_DEP_1) | instskip(SKIP_1) | instid1(VALU_DEP_2)
	v_cndmask_b32_e64 v27, -v27, v36, s2
	v_cmp_class_f32_e64 s2, v25, 0x1f8
	v_xor_b32_e32 v27, v28, v27
	s_delay_alu instid0(VALU_DEP_1) | instskip(NEXT) | instid1(VALU_DEP_1)
	v_cndmask_b32_e64 v25, 0x7fc00000, v27, s2
	v_bfe_u32 v27, v25, 16, 1
	v_cmp_o_f32_e64 s2, v25, v25
	s_delay_alu instid0(VALU_DEP_2) | instskip(NEXT) | instid1(VALU_DEP_1)
	v_add3_u32 v27, v25, v27, 0x7fff
	v_lshrrev_b32_e32 v27, 16, v27
	s_delay_alu instid0(VALU_DEP_1) | instskip(SKIP_1) | instid1(VALU_DEP_1)
	v_cndmask_b32_e64 v25, 0x7fc0, v27, s2
	v_add_co_u32 v27, s2, v5, s8
	v_add_co_ci_u32_e64 v28, s2, s9, v6, s2
	global_store_b16 v[27:28], v25, off
	s_or_b32 exec_lo, exec_lo, s3
	s_and_saveexec_b32 s2, s1
	s_cbranch_execz .LBB219_49
.LBB219_54:                             ;   in Loop: Header=BB219_25 Depth=1
	v_dual_mul_f32 v25, v31, v31 :: v_dual_and_b32 v36, 1, v32
	s_delay_alu instid0(VALU_DEP_1) | instskip(NEXT) | instid1(VALU_DEP_2)
	v_dual_fmaak_f32 v27, s18, v25, 0x3c0881c4 :: v_dual_lshlrev_b32 v32, 30, v32
	v_cmp_eq_u32_e64 s1, 0, v36
	s_delay_alu instid0(VALU_DEP_2) | instskip(NEXT) | instid1(VALU_DEP_1)
	v_fmaak_f32 v27, v25, v27, 0xbe2aaa9d
	v_dual_fmaak_f32 v28, s19, v25, 0xbab64f3b :: v_dual_mul_f32 v27, v25, v27
	s_delay_alu instid0(VALU_DEP_1) | instskip(NEXT) | instid1(VALU_DEP_1)
	v_dual_fmaak_f32 v28, v25, v28, 0x3d2aabf7 :: v_dual_fmac_f32 v31, v31, v27
	v_fmaak_f32 v28, v25, v28, 0xbf000004
	v_and_b32_e32 v27, 0x80000000, v32
	s_delay_alu instid0(VALU_DEP_2) | instskip(NEXT) | instid1(VALU_DEP_1)
	v_fma_f32 v25, v25, v28, 1.0
	v_cndmask_b32_e64 v25, -v31, v25, s1
	v_cmp_class_f32_e64 s1, v26, 0x1f8
	s_delay_alu instid0(VALU_DEP_2) | instskip(NEXT) | instid1(VALU_DEP_1)
	v_xor_b32_e32 v25, v27, v25
	v_cndmask_b32_e64 v25, 0x7fc00000, v25, s1
	s_delay_alu instid0(VALU_DEP_1) | instskip(SKIP_1) | instid1(VALU_DEP_2)
	v_bfe_u32 v26, v25, 16, 1
	v_cmp_o_f32_e64 s1, v25, v25
	v_add3_u32 v26, v25, v26, 0x7fff
	s_delay_alu instid0(VALU_DEP_1) | instskip(NEXT) | instid1(VALU_DEP_1)
	v_lshrrev_b32_e32 v26, 16, v26
	v_cndmask_b32_e64 v27, 0x7fc0, v26, s1
	v_add_co_u32 v25, s1, v23, s8
	s_delay_alu instid0(VALU_DEP_1)
	v_add_co_ci_u32_e64 v26, s1, s9, v24, s1
	global_store_b16 v[25:26], v27, off
	s_or_b32 exec_lo, exec_lo, s2
	s_and_saveexec_b32 s1, s0
	s_cbranch_execz .LBB219_50
.LBB219_55:                             ;   in Loop: Header=BB219_25 Depth=1
	v_dual_mul_f32 v25, v33, v33 :: v_dual_and_b32 v28, 1, v34
	s_delay_alu instid0(VALU_DEP_1) | instskip(NEXT) | instid1(VALU_DEP_2)
	v_dual_fmaak_f32 v26, s18, v25, 0x3c0881c4 :: v_dual_lshlrev_b32 v31, 30, v34
	v_cmp_eq_u32_e64 s0, 0, v28
	s_delay_alu instid0(VALU_DEP_2) | instskip(NEXT) | instid1(VALU_DEP_1)
	v_fmaak_f32 v26, v25, v26, 0xbe2aaa9d
	v_dual_fmaak_f32 v27, s19, v25, 0xbab64f3b :: v_dual_mul_f32 v26, v25, v26
	s_delay_alu instid0(VALU_DEP_1) | instskip(NEXT) | instid1(VALU_DEP_2)
	v_fmaak_f32 v27, v25, v27, 0x3d2aabf7
	v_dual_fmac_f32 v33, v33, v26 :: v_dual_and_b32 v26, 0x80000000, v31
	s_delay_alu instid0(VALU_DEP_2) | instskip(NEXT) | instid1(VALU_DEP_1)
	v_fmaak_f32 v27, v25, v27, 0xbf000004
	v_fma_f32 v25, v25, v27, 1.0
	s_delay_alu instid0(VALU_DEP_1) | instskip(SKIP_1) | instid1(VALU_DEP_2)
	v_cndmask_b32_e64 v25, -v33, v25, s0
	v_cmp_class_f32_e64 s0, v30, 0x1f8
	v_xor_b32_e32 v25, v26, v25
	s_delay_alu instid0(VALU_DEP_1) | instskip(NEXT) | instid1(VALU_DEP_1)
	v_cndmask_b32_e64 v25, 0x7fc00000, v25, s0
	v_bfe_u32 v26, v25, 16, 1
	v_cmp_o_f32_e64 s0, v25, v25
	s_delay_alu instid0(VALU_DEP_2) | instskip(NEXT) | instid1(VALU_DEP_1)
	v_add3_u32 v26, v25, v26, 0x7fff
	v_lshrrev_b32_e32 v26, 16, v26
	s_delay_alu instid0(VALU_DEP_1) | instskip(SKIP_1) | instid1(VALU_DEP_1)
	v_cndmask_b32_e64 v27, 0x7fc0, v26, s0
	v_add_co_u32 v25, s0, v16, s8
	v_add_co_ci_u32_e64 v26, s0, s9, v17, s0
	global_store_b16 v[25:26], v27, off
	s_or_b32 exec_lo, exec_lo, s1
	s_and_saveexec_b32 s0, vcc_lo
	s_cbranch_execz .LBB219_24
.LBB219_56:                             ;   in Loop: Header=BB219_25 Depth=1
	v_dual_mul_f32 v25, v1, v1 :: v_dual_and_b32 v28, 1, v35
	s_delay_alu instid0(VALU_DEP_1) | instskip(NEXT) | instid1(VALU_DEP_2)
	v_fmaak_f32 v26, s18, v25, 0x3c0881c4
	v_cmp_eq_u32_e32 vcc_lo, 0, v28
	s_delay_alu instid0(VALU_DEP_2) | instskip(NEXT) | instid1(VALU_DEP_1)
	v_fmaak_f32 v26, v25, v26, 0xbe2aaa9d
	v_dual_fmaak_f32 v27, s19, v25, 0xbab64f3b :: v_dual_mul_f32 v26, v25, v26
	s_delay_alu instid0(VALU_DEP_1) | instskip(NEXT) | instid1(VALU_DEP_2)
	v_fmaak_f32 v27, v25, v27, 0x3d2aabf7
	v_dual_fmac_f32 v1, v1, v26 :: v_dual_lshlrev_b32 v30, 30, v35
	s_delay_alu instid0(VALU_DEP_2) | instskip(NEXT) | instid1(VALU_DEP_2)
	v_fmaak_f32 v27, v25, v27, 0xbf000004
	v_and_b32_e32 v26, 0x80000000, v30
	s_delay_alu instid0(VALU_DEP_2) | instskip(NEXT) | instid1(VALU_DEP_1)
	v_fma_f32 v25, v25, v27, 1.0
	v_cndmask_b32_e64 v1, -v1, v25, vcc_lo
	v_cmp_class_f32_e64 vcc_lo, v29, 0x1f8
	s_delay_alu instid0(VALU_DEP_2) | instskip(NEXT) | instid1(VALU_DEP_1)
	v_xor_b32_e32 v1, v26, v1
	v_cndmask_b32_e32 v1, 0x7fc00000, v1, vcc_lo
	s_delay_alu instid0(VALU_DEP_1) | instskip(SKIP_1) | instid1(VALU_DEP_2)
	v_bfe_u32 v25, v1, 16, 1
	v_cmp_o_f32_e32 vcc_lo, v1, v1
	v_add3_u32 v25, v1, v25, 0x7fff
	s_delay_alu instid0(VALU_DEP_1) | instskip(NEXT) | instid1(VALU_DEP_1)
	v_lshrrev_b32_e32 v25, 16, v25
	v_cndmask_b32_e32 v1, 0x7fc0, v25, vcc_lo
	v_add_co_u32 v25, vcc_lo, v9, s8
	v_add_co_ci_u32_e32 v26, vcc_lo, s9, v10, vcc_lo
	global_store_b16 v[25:26], v1, off
	s_branch .LBB219_24
.LBB219_57:
	s_nop 0
	s_sendmsg sendmsg(MSG_DEALLOC_VGPRS)
	s_endpgm
	.section	.rodata,"a",@progbits
	.p2align	6, 0x0
	.amdhsa_kernel _ZN2at6native12_GLOBAL__N_125multi_tensor_apply_kernelINS1_18TensorListMetadataILi2EEENS1_14UnaryOpFunctorIN3c108BFloat16ELi2ELi1ELi1EEEJNS0_3CosIfEEEEEvT_T0_DpT1_
		.amdhsa_group_segment_fixed_size 0
		.amdhsa_private_segment_fixed_size 0
		.amdhsa_kernarg_size 3408
		.amdhsa_user_sgpr_count 15
		.amdhsa_user_sgpr_dispatch_ptr 0
		.amdhsa_user_sgpr_queue_ptr 0
		.amdhsa_user_sgpr_kernarg_segment_ptr 1
		.amdhsa_user_sgpr_dispatch_id 0
		.amdhsa_user_sgpr_private_segment_size 0
		.amdhsa_wavefront_size32 1
		.amdhsa_uses_dynamic_stack 0
		.amdhsa_enable_private_segment 0
		.amdhsa_system_sgpr_workgroup_id_x 1
		.amdhsa_system_sgpr_workgroup_id_y 0
		.amdhsa_system_sgpr_workgroup_id_z 0
		.amdhsa_system_sgpr_workgroup_info 0
		.amdhsa_system_vgpr_workitem_id 0
		.amdhsa_next_free_vgpr 45
		.amdhsa_next_free_sgpr 21
		.amdhsa_reserve_vcc 1
		.amdhsa_float_round_mode_32 0
		.amdhsa_float_round_mode_16_64 0
		.amdhsa_float_denorm_mode_32 3
		.amdhsa_float_denorm_mode_16_64 3
		.amdhsa_dx10_clamp 1
		.amdhsa_ieee_mode 1
		.amdhsa_fp16_overflow 0
		.amdhsa_workgroup_processor_mode 1
		.amdhsa_memory_ordered 1
		.amdhsa_forward_progress 0
		.amdhsa_shared_vgpr_count 0
		.amdhsa_exception_fp_ieee_invalid_op 0
		.amdhsa_exception_fp_denorm_src 0
		.amdhsa_exception_fp_ieee_div_zero 0
		.amdhsa_exception_fp_ieee_overflow 0
		.amdhsa_exception_fp_ieee_underflow 0
		.amdhsa_exception_fp_ieee_inexact 0
		.amdhsa_exception_int_div_zero 0
	.end_amdhsa_kernel
	.section	.text._ZN2at6native12_GLOBAL__N_125multi_tensor_apply_kernelINS1_18TensorListMetadataILi2EEENS1_14UnaryOpFunctorIN3c108BFloat16ELi2ELi1ELi1EEEJNS0_3CosIfEEEEEvT_T0_DpT1_,"axG",@progbits,_ZN2at6native12_GLOBAL__N_125multi_tensor_apply_kernelINS1_18TensorListMetadataILi2EEENS1_14UnaryOpFunctorIN3c108BFloat16ELi2ELi1ELi1EEEJNS0_3CosIfEEEEEvT_T0_DpT1_,comdat
.Lfunc_end219:
	.size	_ZN2at6native12_GLOBAL__N_125multi_tensor_apply_kernelINS1_18TensorListMetadataILi2EEENS1_14UnaryOpFunctorIN3c108BFloat16ELi2ELi1ELi1EEEJNS0_3CosIfEEEEEvT_T0_DpT1_, .Lfunc_end219-_ZN2at6native12_GLOBAL__N_125multi_tensor_apply_kernelINS1_18TensorListMetadataILi2EEENS1_14UnaryOpFunctorIN3c108BFloat16ELi2ELi1ELi1EEEJNS0_3CosIfEEEEEvT_T0_DpT1_
                                        ; -- End function
	.section	.AMDGPU.csdata,"",@progbits
; Kernel info:
; codeLenInByte = 9404
; NumSgprs: 23
; NumVgprs: 45
; ScratchSize: 0
; MemoryBound: 0
; FloatMode: 240
; IeeeMode: 1
; LDSByteSize: 0 bytes/workgroup (compile time only)
; SGPRBlocks: 2
; VGPRBlocks: 5
; NumSGPRsForWavesPerEU: 23
; NumVGPRsForWavesPerEU: 45
; Occupancy: 16
; WaveLimiterHint : 0
; COMPUTE_PGM_RSRC2:SCRATCH_EN: 0
; COMPUTE_PGM_RSRC2:USER_SGPR: 15
; COMPUTE_PGM_RSRC2:TRAP_HANDLER: 0
; COMPUTE_PGM_RSRC2:TGID_X_EN: 1
; COMPUTE_PGM_RSRC2:TGID_Y_EN: 0
; COMPUTE_PGM_RSRC2:TGID_Z_EN: 0
; COMPUTE_PGM_RSRC2:TIDIG_COMP_CNT: 0
	.section	.text._ZN2at6native12_GLOBAL__N_125multi_tensor_apply_kernelINS1_18TensorListMetadataILi1EEENS1_14UnaryOpFunctorIdLi1ELi1ELi0EEEJNS0_3CosIdEEEEEvT_T0_DpT1_,"axG",@progbits,_ZN2at6native12_GLOBAL__N_125multi_tensor_apply_kernelINS1_18TensorListMetadataILi1EEENS1_14UnaryOpFunctorIdLi1ELi1ELi0EEEJNS0_3CosIdEEEEEvT_T0_DpT1_,comdat
	.globl	_ZN2at6native12_GLOBAL__N_125multi_tensor_apply_kernelINS1_18TensorListMetadataILi1EEENS1_14UnaryOpFunctorIdLi1ELi1ELi0EEEJNS0_3CosIdEEEEEvT_T0_DpT1_ ; -- Begin function _ZN2at6native12_GLOBAL__N_125multi_tensor_apply_kernelINS1_18TensorListMetadataILi1EEENS1_14UnaryOpFunctorIdLi1ELi1ELi0EEEJNS0_3CosIdEEEEEvT_T0_DpT1_
	.p2align	8
	.type	_ZN2at6native12_GLOBAL__N_125multi_tensor_apply_kernelINS1_18TensorListMetadataILi1EEENS1_14UnaryOpFunctorIdLi1ELi1ELi0EEEJNS0_3CosIdEEEEEvT_T0_DpT1_,@function
_ZN2at6native12_GLOBAL__N_125multi_tensor_apply_kernelINS1_18TensorListMetadataILi1EEENS1_14UnaryOpFunctorIdLi1ELi1ELi0EEEJNS0_3CosIdEEEEEvT_T0_DpT1_: ; @_ZN2at6native12_GLOBAL__N_125multi_tensor_apply_kernelINS1_18TensorListMetadataILi1EEENS1_14UnaryOpFunctorIdLi1ELi1ELi0EEEJNS0_3CosIdEEEEEvT_T0_DpT1_
; %bb.0:
	v_mov_b32_e32 v1, s15
	s_add_u32 s2, s0, s15
	s_mul_hi_u32 s3, s15, 3
	s_mul_i32 s15, s15, 3
	s_addc_u32 s4, s1, 0
	global_load_u8 v1, v1, s[0:1] offset:1760
	s_add_u32 s2, s2, s15
	s_addc_u32 s3, s4, s3
	s_mov_b32 s7, 0
	s_load_b32 s2, s[2:3], 0x820
	s_waitcnt vmcnt(0)
	v_readfirstlane_b32 s5, v1
	s_delay_alu instid0(VALU_DEP_1)
	s_lshl_b32 s3, s5, 3
	s_clause 0x1
	s_load_b64 s[8:9], s[0:1], s3 offset:0x0
	s_load_b64 s[4:5], s[0:1], s3 offset:0x370
	s_waitcnt lgkmcnt(0)
	s_ashr_i32 s3, s2, 31
	s_delay_alu instid0(SALU_CYCLE_1)
	s_lshl_b64 s[12:13], s[2:3], 19
	s_lshl_b64 s[2:3], s[2:3], 16
	s_and_b32 s6, s8, 31
	s_sub_u32 s10, s4, s2
	s_subb_u32 s11, s5, s3
	s_and_b32 s2, s4, 3
	s_mov_b32 s3, s7
	s_delay_alu instid0(SALU_CYCLE_1) | instskip(NEXT) | instid1(SALU_CYCLE_1)
	s_or_b64 s[2:3], s[6:7], s[2:3]
	s_cmp_eq_u64 s[2:3], 0
	s_cbranch_scc1 .LBB220_37
; %bb.1:
	v_cmp_lt_i64_e64 s2, s[10:11], 1
	s_delay_alu instid0(VALU_DEP_1)
	s_and_b32 vcc_lo, exec_lo, s2
	s_cbranch_vccnz .LBB220_36
; %bb.2:
	s_load_b32 s2, s[0:1], 0xd3c
	v_cmp_gt_u64_e64 s3, 0x10000, s[10:11]
	v_dual_mov_b32 v1, 0 :: v_dual_lshlrev_b32 v2, 3, v0
	s_mov_b32 s18, 0x54442d18
	s_mov_b32 s20, 0x6dc9c883
	;; [unrolled: 1-line block ×15, first 2 shown]
	s_mov_b64 s[16:17], 0
	s_waitcnt lgkmcnt(0)
	s_and_b32 s2, s2, 0xffff
	s_and_b32 s3, s3, exec_lo
	v_add_co_u32 v31, s5, v0, s2
	s_cselect_b32 s15, s11, 0
	s_cselect_b32 s14, s10, 0x10000
	s_lshl_b32 s3, s2, 1
	s_lshl_b32 s33, s2, 2
	s_add_u32 s6, s8, s12
	s_mul_i32 s4, s2, 3
	s_mul_i32 s56, s2, 24
	s_addc_u32 s7, s9, s13
	s_lshl_b32 s57, s2, 5
	s_lshl_b32 s58, s2, 4
	v_add_co_u32 v3, s2, s6, v2
	v_lshlrev_b32_e32 v2, 3, v31
	v_add_co_ci_u32_e64 v4, null, s7, 0, s2
	v_add_co_u32 v35, s2, s3, v0
	v_add_co_u32 v32, s4, s4, v0
	v_add_co_ci_u32_e64 v36, null, 0, 0, s2
	v_add_co_u32 v5, s2, s6, v2
	v_add_co_ci_u32_e64 v33, null, 0, 0, s4
	v_add_co_ci_u32_e64 v34, null, 0, 0, s5
	;; [unrolled: 1-line block ×3, first 2 shown]
	s_mov_b32 s19, 0xbff921fb
	s_mov_b32 s21, 0x3fe45f30
	;; [unrolled: 1-line block ×19, first 2 shown]
	s_branch .LBB220_4
.LBB220_3:                              ;   in Loop: Header=BB220_4 Depth=1
	s_or_b32 exec_lo, exec_lo, s3
	s_add_u32 s16, s16, s33
	s_addc_u32 s17, s17, 0
	v_add_co_u32 v3, vcc_lo, v3, s57
	v_cmp_ge_i64_e64 s2, s[16:17], s[10:11]
	v_cmp_lt_u64_e64 s3, 0xffff, s[16:17]
	v_add_co_ci_u32_e32 v4, vcc_lo, 0, v4, vcc_lo
	v_add_co_u32 v5, vcc_lo, v5, s57
	v_add_co_ci_u32_e32 v6, vcc_lo, 0, v6, vcc_lo
	s_delay_alu instid0(VALU_DEP_4) | instskip(NEXT) | instid1(SALU_CYCLE_1)
	s_or_b32 s2, s2, s3
	s_and_b32 vcc_lo, exec_lo, s2
	s_cbranch_vccnz .LBB220_36
.LBB220_4:                              ; =>This Inner Loop Header: Depth=1
	v_add_co_u32 v7, s2, v0, s16
	s_delay_alu instid0(VALU_DEP_1) | instskip(SKIP_2) | instid1(VALU_DEP_3)
	v_add_co_ci_u32_e64 v8, null, 0, s17, s2
	v_mov_b32_e32 v11, 0
	v_mov_b32_e32 v12, 0
	v_cmp_gt_u64_e64 s4, s[14:15], v[7:8]
	s_delay_alu instid0(VALU_DEP_2) | instskip(NEXT) | instid1(VALU_DEP_2)
	v_dual_mov_b32 v14, v12 :: v_dual_mov_b32 v13, v11
	s_and_saveexec_b32 s2, s4
	s_cbranch_execz .LBB220_6
; %bb.5:                                ;   in Loop: Header=BB220_4 Depth=1
	global_load_b64 v[13:14], v[3:4], off
.LBB220_6:                              ;   in Loop: Header=BB220_4 Depth=1
	s_or_b32 exec_lo, exec_lo, s2
	v_add_co_u32 v7, vcc_lo, v31, s16
	v_add_co_ci_u32_e32 v8, vcc_lo, s17, v34, vcc_lo
	s_delay_alu instid0(VALU_DEP_1) | instskip(NEXT) | instid1(VALU_DEP_1)
	v_cmp_gt_u64_e64 s3, s[14:15], v[7:8]
	s_and_saveexec_b32 s2, s3
	s_cbranch_execz .LBB220_8
; %bb.7:                                ;   in Loop: Header=BB220_4 Depth=1
	global_load_b64 v[11:12], v[5:6], off
.LBB220_8:                              ;   in Loop: Header=BB220_4 Depth=1
	s_or_b32 exec_lo, exec_lo, s2
	v_add_co_u32 v9, vcc_lo, v35, s16
	v_add_co_ci_u32_e32 v10, vcc_lo, s17, v36, vcc_lo
	v_mov_b32_e32 v7, 0
	v_mov_b32_e32 v8, 0
	s_delay_alu instid0(VALU_DEP_3) | instskip(NEXT) | instid1(VALU_DEP_2)
	v_cmp_gt_u64_e64 s2, s[14:15], v[9:10]
	v_dual_mov_b32 v10, v8 :: v_dual_mov_b32 v9, v7
	s_delay_alu instid0(VALU_DEP_2)
	s_and_saveexec_b32 s5, s2
	s_cbranch_execz .LBB220_10
; %bb.9:                                ;   in Loop: Header=BB220_4 Depth=1
	v_add_co_u32 v9, vcc_lo, v3, s58
	v_add_co_ci_u32_e32 v10, vcc_lo, 0, v4, vcc_lo
	global_load_b64 v[9:10], v[9:10], off
.LBB220_10:                             ;   in Loop: Header=BB220_4 Depth=1
	s_or_b32 exec_lo, exec_lo, s5
	v_add_co_u32 v15, vcc_lo, v32, s16
	v_add_co_ci_u32_e32 v16, vcc_lo, s17, v33, vcc_lo
	s_delay_alu instid0(VALU_DEP_1)
	v_cmp_gt_u64_e32 vcc_lo, s[14:15], v[15:16]
	s_and_saveexec_b32 s6, vcc_lo
	s_cbranch_execz .LBB220_12
; %bb.11:                               ;   in Loop: Header=BB220_4 Depth=1
	v_add_co_u32 v7, s5, v3, s56
	s_delay_alu instid0(VALU_DEP_1)
	v_add_co_ci_u32_e64 v8, s5, 0, v4, s5
	global_load_b64 v[7:8], v[7:8], off
.LBB220_12:                             ;   in Loop: Header=BB220_4 Depth=1
	s_or_b32 exec_lo, exec_lo, s6
                                        ; implicit-def: $vgpr37
                                        ; implicit-def: $vgpr15_vgpr16
                                        ; implicit-def: $vgpr17_vgpr18
	s_delay_alu instid0(SALU_CYCLE_1)
	s_mov_b32 s6, exec_lo
	s_waitcnt vmcnt(0)
	v_cmpx_ngt_f64_e64 0x41d00000, |v[13:14]|
	s_xor_b32 s50, exec_lo, s6
	s_cbranch_execz .LBB220_14
; %bb.13:                               ;   in Loop: Header=BB220_4 Depth=1
	v_ldexp_f64 v[15:16], |v[13:14]|, 0xffffff80
	v_cmp_le_f64_e64 s5, 0x7b000000, |v[13:14]|
	v_trig_preop_f64 v[17:18], |v[13:14]|, 0
	v_and_b32_e32 v2, 0x7fffffff, v14
	v_trig_preop_f64 v[19:20], |v[13:14]|, 1
	v_trig_preop_f64 v[29:30], |v[13:14]|, 2
	s_mov_b32 s53, s51
	s_delay_alu instid0(VALU_DEP_3) | instskip(SKIP_1) | instid1(VALU_DEP_1)
	v_cndmask_b32_e64 v16, v2, v16, s5
	v_cndmask_b32_e64 v15, v13, v15, s5
	v_mul_f64 v[21:22], v[17:18], v[15:16]
	v_mul_f64 v[23:24], v[19:20], v[15:16]
	;; [unrolled: 1-line block ×3, first 2 shown]
	s_delay_alu instid0(VALU_DEP_3) | instskip(NEXT) | instid1(VALU_DEP_3)
	v_fma_f64 v[17:18], v[17:18], v[15:16], -v[21:22]
	v_fma_f64 v[19:20], v[19:20], v[15:16], -v[23:24]
	s_delay_alu instid0(VALU_DEP_3) | instskip(NEXT) | instid1(VALU_DEP_3)
	v_fma_f64 v[15:16], v[29:30], v[15:16], -v[41:42]
	v_add_f64 v[25:26], v[23:24], v[17:18]
	s_delay_alu instid0(VALU_DEP_1) | instskip(SKIP_1) | instid1(VALU_DEP_2)
	v_add_f64 v[27:28], v[25:26], -v[23:24]
	v_add_f64 v[39:40], v[21:22], v[25:26]
	v_add_f64 v[37:38], v[25:26], -v[27:28]
	v_add_f64 v[17:18], v[17:18], -v[27:28]
	s_delay_alu instid0(VALU_DEP_3) | instskip(SKIP_1) | instid1(VALU_DEP_4)
	v_ldexp_f64 v[27:28], v[39:40], -2
	v_add_f64 v[21:22], v[39:40], -v[21:22]
	v_add_f64 v[23:24], v[23:24], -v[37:38]
	v_add_f64 v[37:38], v[41:42], v[19:20]
	s_delay_alu instid0(VALU_DEP_4) | instskip(NEXT) | instid1(VALU_DEP_4)
	v_cmp_neq_f64_e64 s5, 0x7ff00000, |v[27:28]|
	v_add_f64 v[21:22], v[25:26], -v[21:22]
	s_delay_alu instid0(VALU_DEP_4) | instskip(SKIP_1) | instid1(VALU_DEP_2)
	v_add_f64 v[17:18], v[17:18], v[23:24]
	v_fract_f64_e32 v[23:24], v[27:28]
	v_add_f64 v[25:26], v[37:38], v[17:18]
	s_delay_alu instid0(VALU_DEP_2) | instskip(NEXT) | instid1(VALU_DEP_3)
	v_cndmask_b32_e64 v24, 0, v24, s5
	v_cndmask_b32_e64 v23, 0, v23, s5
	s_delay_alu instid0(VALU_DEP_1) | instskip(NEXT) | instid1(VALU_DEP_4)
	v_ldexp_f64 v[23:24], v[23:24], 2
	v_add_f64 v[27:28], v[21:22], v[25:26]
	v_add_f64 v[43:44], v[25:26], -v[37:38]
	s_delay_alu instid0(VALU_DEP_2) | instskip(NEXT) | instid1(VALU_DEP_2)
	v_add_f64 v[39:40], v[27:28], v[23:24]
	v_add_f64 v[49:50], v[25:26], -v[43:44]
	v_add_f64 v[17:18], v[17:18], -v[43:44]
	;; [unrolled: 1-line block ×3, first 2 shown]
	s_delay_alu instid0(VALU_DEP_4) | instskip(SKIP_1) | instid1(VALU_DEP_3)
	v_cmp_gt_f64_e64 s5, 0, v[39:40]
	v_add_f64 v[39:40], v[37:38], -v[41:42]
	v_add_f64 v[21:22], v[25:26], -v[21:22]
	s_delay_alu instid0(VALU_DEP_3) | instskip(NEXT) | instid1(VALU_DEP_3)
	v_cndmask_b32_e64 v2, 0, 0x40100000, s5
	v_add_f64 v[47:48], v[37:38], -v[39:40]
	v_add_f64 v[19:20], v[19:20], -v[39:40]
	;; [unrolled: 1-line block ×3, first 2 shown]
	s_delay_alu instid0(VALU_DEP_4) | instskip(NEXT) | instid1(VALU_DEP_4)
	v_add_f64 v[23:24], v[23:24], v[1:2]
	v_add_f64 v[39:40], v[41:42], -v[47:48]
	s_delay_alu instid0(VALU_DEP_3) | instskip(NEXT) | instid1(VALU_DEP_3)
	v_add_f64 v[17:18], v[17:18], v[37:38]
	v_add_f64 v[45:46], v[27:28], v[23:24]
	s_delay_alu instid0(VALU_DEP_3) | instskip(NEXT) | instid1(VALU_DEP_2)
	v_add_f64 v[19:20], v[19:20], v[39:40]
	v_cvt_i32_f64_e32 v2, v[45:46]
	s_delay_alu instid0(VALU_DEP_2) | instskip(NEXT) | instid1(VALU_DEP_2)
	v_add_f64 v[17:18], v[19:20], v[17:18]
	v_cvt_f64_i32_e32 v[43:44], v2
	s_delay_alu instid0(VALU_DEP_2) | instskip(NEXT) | instid1(VALU_DEP_2)
	v_add_f64 v[15:16], v[15:16], v[17:18]
	v_add_f64 v[23:24], v[23:24], -v[43:44]
	s_delay_alu instid0(VALU_DEP_2) | instskip(NEXT) | instid1(VALU_DEP_2)
	v_add_f64 v[15:16], v[21:22], v[15:16]
	v_add_f64 v[19:20], v[27:28], v[23:24]
	s_delay_alu instid0(VALU_DEP_1) | instskip(SKIP_1) | instid1(VALU_DEP_2)
	v_add_f64 v[17:18], v[19:20], -v[23:24]
	v_cmp_le_f64_e64 s5, 0.5, v[19:20]
	v_add_f64 v[17:18], v[27:28], -v[17:18]
	s_delay_alu instid0(VALU_DEP_2) | instskip(SKIP_2) | instid1(VALU_DEP_3)
	v_add_co_ci_u32_e64 v37, s6, 0, v2, s5
	v_cndmask_b32_e64 v2, 0, 0x3ff00000, s5
	s_mov_b32 s6, s18
	v_add_f64 v[15:16], v[15:16], v[17:18]
	s_delay_alu instid0(VALU_DEP_2) | instskip(NEXT) | instid1(VALU_DEP_1)
	v_add_f64 v[17:18], v[19:20], -v[1:2]
	v_add_f64 v[19:20], v[17:18], v[15:16]
	s_delay_alu instid0(VALU_DEP_1) | instskip(SKIP_1) | instid1(VALU_DEP_2)
	v_mul_f64 v[21:22], v[19:20], s[6:7]
	v_add_f64 v[17:18], v[19:20], -v[17:18]
	v_fma_f64 v[23:24], v[19:20], s[6:7], -v[21:22]
	s_delay_alu instid0(VALU_DEP_2) | instskip(NEXT) | instid1(VALU_DEP_2)
	v_add_f64 v[15:16], v[15:16], -v[17:18]
	v_fma_f64 v[17:18], v[19:20], s[52:53], v[23:24]
	s_delay_alu instid0(VALU_DEP_1) | instskip(NEXT) | instid1(VALU_DEP_1)
	v_fma_f64 v[17:18], v[15:16], s[6:7], v[17:18]
	v_add_f64 v[15:16], v[21:22], v[17:18]
	s_delay_alu instid0(VALU_DEP_1) | instskip(NEXT) | instid1(VALU_DEP_1)
	v_add_f64 v[19:20], v[15:16], -v[21:22]
	v_add_f64 v[17:18], v[17:18], -v[19:20]
.LBB220_14:                             ;   in Loop: Header=BB220_4 Depth=1
	s_and_not1_saveexec_b32 s5, s50
	s_cbranch_execz .LBB220_16
; %bb.15:                               ;   in Loop: Header=BB220_4 Depth=1
	v_mul_f64 v[15:16], |v[13:14]|, s[20:21]
	s_mov_b32 s50, s22
	s_delay_alu instid0(VALU_DEP_1) | instskip(NEXT) | instid1(VALU_DEP_1)
	v_rndne_f64_e32 v[19:20], v[15:16]
	v_fma_f64 v[15:16], v[19:20], s[18:19], |v[13:14]|
	v_mul_f64 v[17:18], v[19:20], s[22:23]
	v_cvt_i32_f64_e32 v37, v[19:20]
	s_delay_alu instid0(VALU_DEP_3) | instskip(NEXT) | instid1(VALU_DEP_3)
	v_fma_f64 v[23:24], v[19:20], s[22:23], v[15:16]
	v_add_f64 v[21:22], v[15:16], v[17:18]
	s_delay_alu instid0(VALU_DEP_1) | instskip(NEXT) | instid1(VALU_DEP_3)
	v_add_f64 v[15:16], v[15:16], -v[21:22]
	v_add_f64 v[21:22], v[21:22], -v[23:24]
	s_delay_alu instid0(VALU_DEP_2) | instskip(SKIP_1) | instid1(VALU_DEP_2)
	v_add_f64 v[15:16], v[15:16], v[17:18]
	v_fma_f64 v[17:18], v[19:20], s[50:51], v[17:18]
	v_add_f64 v[15:16], v[21:22], v[15:16]
	s_delay_alu instid0(VALU_DEP_1) | instskip(NEXT) | instid1(VALU_DEP_1)
	v_add_f64 v[15:16], v[15:16], -v[17:18]
	v_fma_f64 v[17:18], v[19:20], s[24:25], v[15:16]
	s_delay_alu instid0(VALU_DEP_1) | instskip(NEXT) | instid1(VALU_DEP_1)
	v_add_f64 v[15:16], v[23:24], v[17:18]
	v_add_f64 v[21:22], v[15:16], -v[23:24]
	s_delay_alu instid0(VALU_DEP_1)
	v_add_f64 v[17:18], v[17:18], -v[21:22]
.LBB220_16:                             ;   in Loop: Header=BB220_4 Depth=1
	s_or_b32 exec_lo, exec_lo, s5
                                        ; implicit-def: $vgpr38
                                        ; implicit-def: $vgpr19_vgpr20
                                        ; implicit-def: $vgpr21_vgpr22
	s_delay_alu instid0(SALU_CYCLE_1)
	s_mov_b32 s6, exec_lo
	v_cmpx_ngt_f64_e64 0x41d00000, |v[11:12]|
	s_xor_b32 s50, exec_lo, s6
	s_cbranch_execz .LBB220_18
; %bb.17:                               ;   in Loop: Header=BB220_4 Depth=1
	v_ldexp_f64 v[19:20], |v[11:12]|, 0xffffff80
	v_cmp_le_f64_e64 s5, 0x7b000000, |v[11:12]|
	v_trig_preop_f64 v[21:22], |v[11:12]|, 0
	v_and_b32_e32 v2, 0x7fffffff, v12
	v_trig_preop_f64 v[23:24], |v[11:12]|, 1
	v_trig_preop_f64 v[40:41], |v[11:12]|, 2
	s_mov_b32 s53, s51
	s_delay_alu instid0(VALU_DEP_3) | instskip(SKIP_1) | instid1(VALU_DEP_1)
	v_cndmask_b32_e64 v20, v2, v20, s5
	v_cndmask_b32_e64 v19, v11, v19, s5
	v_mul_f64 v[25:26], v[21:22], v[19:20]
	v_mul_f64 v[27:28], v[23:24], v[19:20]
	;; [unrolled: 1-line block ×3, first 2 shown]
	s_delay_alu instid0(VALU_DEP_3) | instskip(NEXT) | instid1(VALU_DEP_3)
	v_fma_f64 v[21:22], v[21:22], v[19:20], -v[25:26]
	v_fma_f64 v[23:24], v[23:24], v[19:20], -v[27:28]
	s_delay_alu instid0(VALU_DEP_3) | instskip(NEXT) | instid1(VALU_DEP_3)
	v_fma_f64 v[19:20], v[40:41], v[19:20], -v[46:47]
	v_add_f64 v[29:30], v[27:28], v[21:22]
	s_delay_alu instid0(VALU_DEP_1) | instskip(SKIP_1) | instid1(VALU_DEP_2)
	v_add_f64 v[38:39], v[29:30], -v[27:28]
	v_add_f64 v[44:45], v[25:26], v[29:30]
	v_add_f64 v[42:43], v[29:30], -v[38:39]
	v_add_f64 v[21:22], v[21:22], -v[38:39]
	s_delay_alu instid0(VALU_DEP_3) | instskip(SKIP_1) | instid1(VALU_DEP_4)
	v_ldexp_f64 v[38:39], v[44:45], -2
	v_add_f64 v[25:26], v[44:45], -v[25:26]
	v_add_f64 v[27:28], v[27:28], -v[42:43]
	v_add_f64 v[42:43], v[46:47], v[23:24]
	s_delay_alu instid0(VALU_DEP_4) | instskip(NEXT) | instid1(VALU_DEP_4)
	v_cmp_neq_f64_e64 s5, 0x7ff00000, |v[38:39]|
	v_add_f64 v[25:26], v[29:30], -v[25:26]
	s_delay_alu instid0(VALU_DEP_4) | instskip(SKIP_1) | instid1(VALU_DEP_2)
	v_add_f64 v[21:22], v[21:22], v[27:28]
	v_fract_f64_e32 v[27:28], v[38:39]
	v_add_f64 v[29:30], v[42:43], v[21:22]
	s_delay_alu instid0(VALU_DEP_2) | instskip(NEXT) | instid1(VALU_DEP_3)
	v_cndmask_b32_e64 v28, 0, v28, s5
	v_cndmask_b32_e64 v27, 0, v27, s5
	s_delay_alu instid0(VALU_DEP_1) | instskip(NEXT) | instid1(VALU_DEP_4)
	v_ldexp_f64 v[27:28], v[27:28], 2
	v_add_f64 v[38:39], v[25:26], v[29:30]
	v_add_f64 v[48:49], v[29:30], -v[42:43]
	s_delay_alu instid0(VALU_DEP_2) | instskip(NEXT) | instid1(VALU_DEP_2)
	v_add_f64 v[44:45], v[38:39], v[27:28]
	v_add_f64 v[54:55], v[29:30], -v[48:49]
	v_add_f64 v[21:22], v[21:22], -v[48:49]
	;; [unrolled: 1-line block ×3, first 2 shown]
	s_delay_alu instid0(VALU_DEP_4) | instskip(SKIP_1) | instid1(VALU_DEP_3)
	v_cmp_gt_f64_e64 s5, 0, v[44:45]
	v_add_f64 v[44:45], v[42:43], -v[46:47]
	v_add_f64 v[25:26], v[29:30], -v[25:26]
	s_delay_alu instid0(VALU_DEP_3) | instskip(NEXT) | instid1(VALU_DEP_3)
	v_cndmask_b32_e64 v2, 0, 0x40100000, s5
	v_add_f64 v[52:53], v[42:43], -v[44:45]
	v_add_f64 v[23:24], v[23:24], -v[44:45]
	v_add_f64 v[42:43], v[42:43], -v[54:55]
	s_delay_alu instid0(VALU_DEP_4) | instskip(NEXT) | instid1(VALU_DEP_4)
	v_add_f64 v[27:28], v[27:28], v[1:2]
	v_add_f64 v[44:45], v[46:47], -v[52:53]
	s_delay_alu instid0(VALU_DEP_3) | instskip(NEXT) | instid1(VALU_DEP_3)
	v_add_f64 v[21:22], v[21:22], v[42:43]
	v_add_f64 v[50:51], v[38:39], v[27:28]
	s_delay_alu instid0(VALU_DEP_3) | instskip(NEXT) | instid1(VALU_DEP_2)
	v_add_f64 v[23:24], v[23:24], v[44:45]
	v_cvt_i32_f64_e32 v2, v[50:51]
	s_delay_alu instid0(VALU_DEP_2) | instskip(NEXT) | instid1(VALU_DEP_2)
	v_add_f64 v[21:22], v[23:24], v[21:22]
	v_cvt_f64_i32_e32 v[48:49], v2
	s_delay_alu instid0(VALU_DEP_2) | instskip(NEXT) | instid1(VALU_DEP_2)
	v_add_f64 v[19:20], v[19:20], v[21:22]
	v_add_f64 v[27:28], v[27:28], -v[48:49]
	s_delay_alu instid0(VALU_DEP_2) | instskip(NEXT) | instid1(VALU_DEP_2)
	v_add_f64 v[19:20], v[25:26], v[19:20]
	v_add_f64 v[23:24], v[38:39], v[27:28]
	s_delay_alu instid0(VALU_DEP_1) | instskip(SKIP_1) | instid1(VALU_DEP_2)
	v_add_f64 v[21:22], v[23:24], -v[27:28]
	v_cmp_le_f64_e64 s5, 0.5, v[23:24]
	v_add_f64 v[21:22], v[38:39], -v[21:22]
	s_delay_alu instid0(VALU_DEP_2) | instskip(SKIP_2) | instid1(VALU_DEP_3)
	v_add_co_ci_u32_e64 v38, s6, 0, v2, s5
	v_cndmask_b32_e64 v2, 0, 0x3ff00000, s5
	s_mov_b32 s6, s18
	v_add_f64 v[19:20], v[19:20], v[21:22]
	s_delay_alu instid0(VALU_DEP_2) | instskip(NEXT) | instid1(VALU_DEP_1)
	v_add_f64 v[21:22], v[23:24], -v[1:2]
	v_add_f64 v[23:24], v[21:22], v[19:20]
	s_delay_alu instid0(VALU_DEP_1) | instskip(SKIP_1) | instid1(VALU_DEP_2)
	v_mul_f64 v[25:26], v[23:24], s[6:7]
	v_add_f64 v[21:22], v[23:24], -v[21:22]
	v_fma_f64 v[27:28], v[23:24], s[6:7], -v[25:26]
	s_delay_alu instid0(VALU_DEP_2) | instskip(NEXT) | instid1(VALU_DEP_2)
	v_add_f64 v[19:20], v[19:20], -v[21:22]
	v_fma_f64 v[21:22], v[23:24], s[52:53], v[27:28]
	s_delay_alu instid0(VALU_DEP_1) | instskip(NEXT) | instid1(VALU_DEP_1)
	v_fma_f64 v[21:22], v[19:20], s[6:7], v[21:22]
	v_add_f64 v[19:20], v[25:26], v[21:22]
	s_delay_alu instid0(VALU_DEP_1) | instskip(NEXT) | instid1(VALU_DEP_1)
	v_add_f64 v[23:24], v[19:20], -v[25:26]
	v_add_f64 v[21:22], v[21:22], -v[23:24]
.LBB220_18:                             ;   in Loop: Header=BB220_4 Depth=1
	s_and_not1_saveexec_b32 s5, s50
	s_cbranch_execz .LBB220_20
; %bb.19:                               ;   in Loop: Header=BB220_4 Depth=1
	v_mul_f64 v[19:20], |v[11:12]|, s[20:21]
	s_mov_b32 s50, s22
	s_delay_alu instid0(VALU_DEP_1) | instskip(NEXT) | instid1(VALU_DEP_1)
	v_rndne_f64_e32 v[23:24], v[19:20]
	v_fma_f64 v[19:20], v[23:24], s[18:19], |v[11:12]|
	v_mul_f64 v[21:22], v[23:24], s[22:23]
	v_cvt_i32_f64_e32 v38, v[23:24]
	s_delay_alu instid0(VALU_DEP_3) | instskip(NEXT) | instid1(VALU_DEP_3)
	v_fma_f64 v[27:28], v[23:24], s[22:23], v[19:20]
	v_add_f64 v[25:26], v[19:20], v[21:22]
	s_delay_alu instid0(VALU_DEP_1) | instskip(NEXT) | instid1(VALU_DEP_3)
	v_add_f64 v[19:20], v[19:20], -v[25:26]
	v_add_f64 v[25:26], v[25:26], -v[27:28]
	s_delay_alu instid0(VALU_DEP_2) | instskip(SKIP_1) | instid1(VALU_DEP_2)
	v_add_f64 v[19:20], v[19:20], v[21:22]
	v_fma_f64 v[21:22], v[23:24], s[50:51], v[21:22]
	v_add_f64 v[19:20], v[25:26], v[19:20]
	s_delay_alu instid0(VALU_DEP_1) | instskip(NEXT) | instid1(VALU_DEP_1)
	v_add_f64 v[19:20], v[19:20], -v[21:22]
	v_fma_f64 v[21:22], v[23:24], s[24:25], v[19:20]
	s_delay_alu instid0(VALU_DEP_1) | instskip(NEXT) | instid1(VALU_DEP_1)
	v_add_f64 v[19:20], v[27:28], v[21:22]
	v_add_f64 v[25:26], v[19:20], -v[27:28]
	s_delay_alu instid0(VALU_DEP_1)
	v_add_f64 v[21:22], v[21:22], -v[25:26]
.LBB220_20:                             ;   in Loop: Header=BB220_4 Depth=1
	s_or_b32 exec_lo, exec_lo, s5
                                        ; implicit-def: $vgpr39
                                        ; implicit-def: $vgpr23_vgpr24
                                        ; implicit-def: $vgpr25_vgpr26
	s_delay_alu instid0(SALU_CYCLE_1)
	s_mov_b32 s6, exec_lo
	v_cmpx_ngt_f64_e64 0x41d00000, |v[9:10]|
	s_xor_b32 s50, exec_lo, s6
	s_cbranch_execz .LBB220_22
; %bb.21:                               ;   in Loop: Header=BB220_4 Depth=1
	v_ldexp_f64 v[23:24], |v[9:10]|, 0xffffff80
	v_cmp_le_f64_e64 s5, 0x7b000000, |v[9:10]|
	v_trig_preop_f64 v[25:26], |v[9:10]|, 0
	v_and_b32_e32 v2, 0x7fffffff, v10
	v_trig_preop_f64 v[27:28], |v[9:10]|, 1
	v_trig_preop_f64 v[45:46], |v[9:10]|, 2
	s_mov_b32 s53, s51
	s_delay_alu instid0(VALU_DEP_3) | instskip(SKIP_1) | instid1(VALU_DEP_1)
	v_cndmask_b32_e64 v24, v2, v24, s5
	v_cndmask_b32_e64 v23, v9, v23, s5
	v_mul_f64 v[29:30], v[25:26], v[23:24]
	v_mul_f64 v[39:40], v[27:28], v[23:24]
	;; [unrolled: 1-line block ×3, first 2 shown]
	s_delay_alu instid0(VALU_DEP_3) | instskip(NEXT) | instid1(VALU_DEP_3)
	v_fma_f64 v[25:26], v[25:26], v[23:24], -v[29:30]
	v_fma_f64 v[27:28], v[27:28], v[23:24], -v[39:40]
	s_delay_alu instid0(VALU_DEP_3) | instskip(NEXT) | instid1(VALU_DEP_3)
	v_fma_f64 v[23:24], v[45:46], v[23:24], -v[51:52]
	v_add_f64 v[41:42], v[39:40], v[25:26]
	s_delay_alu instid0(VALU_DEP_1) | instskip(SKIP_1) | instid1(VALU_DEP_2)
	v_add_f64 v[43:44], v[41:42], -v[39:40]
	v_add_f64 v[49:50], v[29:30], v[41:42]
	v_add_f64 v[47:48], v[41:42], -v[43:44]
	v_add_f64 v[25:26], v[25:26], -v[43:44]
	s_delay_alu instid0(VALU_DEP_3) | instskip(SKIP_1) | instid1(VALU_DEP_4)
	v_ldexp_f64 v[43:44], v[49:50], -2
	v_add_f64 v[29:30], v[49:50], -v[29:30]
	v_add_f64 v[39:40], v[39:40], -v[47:48]
	v_add_f64 v[47:48], v[51:52], v[27:28]
	s_delay_alu instid0(VALU_DEP_4) | instskip(NEXT) | instid1(VALU_DEP_4)
	v_cmp_neq_f64_e64 s5, 0x7ff00000, |v[43:44]|
	v_add_f64 v[29:30], v[41:42], -v[29:30]
	s_delay_alu instid0(VALU_DEP_4) | instskip(SKIP_1) | instid1(VALU_DEP_2)
	v_add_f64 v[25:26], v[25:26], v[39:40]
	v_fract_f64_e32 v[39:40], v[43:44]
	v_add_f64 v[41:42], v[47:48], v[25:26]
	s_delay_alu instid0(VALU_DEP_2) | instskip(NEXT) | instid1(VALU_DEP_3)
	v_cndmask_b32_e64 v40, 0, v40, s5
	v_cndmask_b32_e64 v39, 0, v39, s5
	s_delay_alu instid0(VALU_DEP_1) | instskip(NEXT) | instid1(VALU_DEP_4)
	v_ldexp_f64 v[39:40], v[39:40], 2
	v_add_f64 v[43:44], v[29:30], v[41:42]
	v_add_f64 v[53:54], v[41:42], -v[47:48]
	s_delay_alu instid0(VALU_DEP_2) | instskip(NEXT) | instid1(VALU_DEP_2)
	v_add_f64 v[49:50], v[43:44], v[39:40]
	v_add_f64 v[59:60], v[41:42], -v[53:54]
	v_add_f64 v[25:26], v[25:26], -v[53:54]
	v_add_f64 v[29:30], v[43:44], -v[29:30]
	s_delay_alu instid0(VALU_DEP_4) | instskip(SKIP_1) | instid1(VALU_DEP_3)
	v_cmp_gt_f64_e64 s5, 0, v[49:50]
	v_add_f64 v[49:50], v[47:48], -v[51:52]
	v_add_f64 v[29:30], v[41:42], -v[29:30]
	s_delay_alu instid0(VALU_DEP_3) | instskip(NEXT) | instid1(VALU_DEP_3)
	v_cndmask_b32_e64 v2, 0, 0x40100000, s5
	v_add_f64 v[57:58], v[47:48], -v[49:50]
	v_add_f64 v[27:28], v[27:28], -v[49:50]
	;; [unrolled: 1-line block ×3, first 2 shown]
	s_delay_alu instid0(VALU_DEP_4) | instskip(NEXT) | instid1(VALU_DEP_4)
	v_add_f64 v[39:40], v[39:40], v[1:2]
	v_add_f64 v[49:50], v[51:52], -v[57:58]
	s_delay_alu instid0(VALU_DEP_3) | instskip(NEXT) | instid1(VALU_DEP_3)
	v_add_f64 v[25:26], v[25:26], v[47:48]
	v_add_f64 v[55:56], v[43:44], v[39:40]
	s_delay_alu instid0(VALU_DEP_3) | instskip(NEXT) | instid1(VALU_DEP_2)
	v_add_f64 v[27:28], v[27:28], v[49:50]
	v_cvt_i32_f64_e32 v2, v[55:56]
	s_delay_alu instid0(VALU_DEP_2) | instskip(NEXT) | instid1(VALU_DEP_2)
	v_add_f64 v[25:26], v[27:28], v[25:26]
	v_cvt_f64_i32_e32 v[53:54], v2
	s_delay_alu instid0(VALU_DEP_2) | instskip(NEXT) | instid1(VALU_DEP_2)
	v_add_f64 v[23:24], v[23:24], v[25:26]
	v_add_f64 v[39:40], v[39:40], -v[53:54]
	s_delay_alu instid0(VALU_DEP_2) | instskip(NEXT) | instid1(VALU_DEP_2)
	v_add_f64 v[23:24], v[29:30], v[23:24]
	v_add_f64 v[27:28], v[43:44], v[39:40]
	s_delay_alu instid0(VALU_DEP_1) | instskip(SKIP_1) | instid1(VALU_DEP_2)
	v_add_f64 v[25:26], v[27:28], -v[39:40]
	v_cmp_le_f64_e64 s5, 0.5, v[27:28]
	v_add_f64 v[25:26], v[43:44], -v[25:26]
	s_delay_alu instid0(VALU_DEP_2) | instskip(SKIP_2) | instid1(VALU_DEP_3)
	v_add_co_ci_u32_e64 v39, s6, 0, v2, s5
	v_cndmask_b32_e64 v2, 0, 0x3ff00000, s5
	s_mov_b32 s6, s18
	v_add_f64 v[23:24], v[23:24], v[25:26]
	s_delay_alu instid0(VALU_DEP_2) | instskip(NEXT) | instid1(VALU_DEP_1)
	v_add_f64 v[25:26], v[27:28], -v[1:2]
	v_add_f64 v[27:28], v[25:26], v[23:24]
	s_delay_alu instid0(VALU_DEP_1) | instskip(SKIP_1) | instid1(VALU_DEP_2)
	v_mul_f64 v[29:30], v[27:28], s[6:7]
	v_add_f64 v[25:26], v[27:28], -v[25:26]
	v_fma_f64 v[40:41], v[27:28], s[6:7], -v[29:30]
	s_delay_alu instid0(VALU_DEP_2) | instskip(NEXT) | instid1(VALU_DEP_2)
	v_add_f64 v[23:24], v[23:24], -v[25:26]
	v_fma_f64 v[25:26], v[27:28], s[52:53], v[40:41]
	s_delay_alu instid0(VALU_DEP_1) | instskip(NEXT) | instid1(VALU_DEP_1)
	v_fma_f64 v[25:26], v[23:24], s[6:7], v[25:26]
	v_add_f64 v[23:24], v[29:30], v[25:26]
	s_delay_alu instid0(VALU_DEP_1) | instskip(NEXT) | instid1(VALU_DEP_1)
	v_add_f64 v[27:28], v[23:24], -v[29:30]
	v_add_f64 v[25:26], v[25:26], -v[27:28]
.LBB220_22:                             ;   in Loop: Header=BB220_4 Depth=1
	s_and_not1_saveexec_b32 s5, s50
	s_cbranch_execz .LBB220_24
; %bb.23:                               ;   in Loop: Header=BB220_4 Depth=1
	v_mul_f64 v[23:24], |v[9:10]|, s[20:21]
	s_mov_b32 s50, s22
	s_delay_alu instid0(VALU_DEP_1) | instskip(NEXT) | instid1(VALU_DEP_1)
	v_rndne_f64_e32 v[27:28], v[23:24]
	v_fma_f64 v[23:24], v[27:28], s[18:19], |v[9:10]|
	v_mul_f64 v[25:26], v[27:28], s[22:23]
	s_delay_alu instid0(VALU_DEP_2) | instskip(NEXT) | instid1(VALU_DEP_2)
	v_fma_f64 v[39:40], v[27:28], s[22:23], v[23:24]
	v_add_f64 v[29:30], v[23:24], v[25:26]
	s_delay_alu instid0(VALU_DEP_1) | instskip(NEXT) | instid1(VALU_DEP_3)
	v_add_f64 v[23:24], v[23:24], -v[29:30]
	v_add_f64 v[29:30], v[29:30], -v[39:40]
	s_delay_alu instid0(VALU_DEP_2) | instskip(SKIP_1) | instid1(VALU_DEP_2)
	v_add_f64 v[23:24], v[23:24], v[25:26]
	v_fma_f64 v[25:26], v[27:28], s[50:51], v[25:26]
	v_add_f64 v[23:24], v[29:30], v[23:24]
	s_delay_alu instid0(VALU_DEP_1) | instskip(NEXT) | instid1(VALU_DEP_1)
	v_add_f64 v[23:24], v[23:24], -v[25:26]
	v_fma_f64 v[25:26], v[27:28], s[24:25], v[23:24]
	s_delay_alu instid0(VALU_DEP_1) | instskip(NEXT) | instid1(VALU_DEP_1)
	v_add_f64 v[23:24], v[39:40], v[25:26]
	v_add_f64 v[29:30], v[23:24], -v[39:40]
	v_cvt_i32_f64_e32 v39, v[27:28]
	s_delay_alu instid0(VALU_DEP_2)
	v_add_f64 v[25:26], v[25:26], -v[29:30]
.LBB220_24:                             ;   in Loop: Header=BB220_4 Depth=1
	s_or_b32 exec_lo, exec_lo, s5
                                        ; implicit-def: $vgpr40
                                        ; implicit-def: $vgpr27_vgpr28
                                        ; implicit-def: $vgpr29_vgpr30
	s_delay_alu instid0(SALU_CYCLE_1)
	s_mov_b32 s6, exec_lo
	v_cmpx_ngt_f64_e64 0x41d00000, |v[7:8]|
	s_xor_b32 s50, exec_lo, s6
	s_cbranch_execnz .LBB220_30
; %bb.25:                               ;   in Loop: Header=BB220_4 Depth=1
	s_and_not1_saveexec_b32 s5, s50
	s_cbranch_execnz .LBB220_31
.LBB220_26:                             ;   in Loop: Header=BB220_4 Depth=1
	s_or_b32 exec_lo, exec_lo, s5
	s_and_saveexec_b32 s5, s4
	s_delay_alu instid0(SALU_CYCLE_1)
	s_xor_b32 s6, exec_lo, s5
	s_cbranch_execnz .LBB220_32
.LBB220_27:                             ;   in Loop: Header=BB220_4 Depth=1
	s_or_b32 exec_lo, exec_lo, s6
	s_and_saveexec_b32 s5, s3
	s_cbranch_execnz .LBB220_33
.LBB220_28:                             ;   in Loop: Header=BB220_4 Depth=1
	s_or_b32 exec_lo, exec_lo, s5
	s_and_saveexec_b32 s4, s2
	s_cbranch_execnz .LBB220_34
.LBB220_29:                             ;   in Loop: Header=BB220_4 Depth=1
	s_or_b32 exec_lo, exec_lo, s4
	s_and_saveexec_b32 s3, vcc_lo
	s_cbranch_execz .LBB220_3
	s_branch .LBB220_35
.LBB220_30:                             ;   in Loop: Header=BB220_4 Depth=1
	v_ldexp_f64 v[27:28], |v[7:8]|, 0xffffff80
	v_cmp_le_f64_e64 s5, 0x7b000000, |v[7:8]|
	v_trig_preop_f64 v[29:30], |v[7:8]|, 0
	v_and_b32_e32 v2, 0x7fffffff, v8
	v_trig_preop_f64 v[40:41], |v[7:8]|, 1
	v_trig_preop_f64 v[50:51], |v[7:8]|, 2
	s_mov_b32 s53, s51
	s_delay_alu instid0(VALU_DEP_3) | instskip(SKIP_1) | instid1(VALU_DEP_1)
	v_cndmask_b32_e64 v28, v2, v28, s5
	v_cndmask_b32_e64 v27, v7, v27, s5
	v_mul_f64 v[42:43], v[29:30], v[27:28]
	v_mul_f64 v[44:45], v[40:41], v[27:28]
	;; [unrolled: 1-line block ×3, first 2 shown]
	s_delay_alu instid0(VALU_DEP_3) | instskip(NEXT) | instid1(VALU_DEP_3)
	v_fma_f64 v[29:30], v[29:30], v[27:28], -v[42:43]
	v_fma_f64 v[40:41], v[40:41], v[27:28], -v[44:45]
	s_delay_alu instid0(VALU_DEP_3) | instskip(NEXT) | instid1(VALU_DEP_3)
	v_fma_f64 v[27:28], v[50:51], v[27:28], -v[56:57]
	v_add_f64 v[46:47], v[44:45], v[29:30]
	s_delay_alu instid0(VALU_DEP_1) | instskip(SKIP_1) | instid1(VALU_DEP_2)
	v_add_f64 v[48:49], v[46:47], -v[44:45]
	v_add_f64 v[54:55], v[42:43], v[46:47]
	v_add_f64 v[52:53], v[46:47], -v[48:49]
	v_add_f64 v[29:30], v[29:30], -v[48:49]
	s_delay_alu instid0(VALU_DEP_3) | instskip(SKIP_1) | instid1(VALU_DEP_4)
	v_ldexp_f64 v[48:49], v[54:55], -2
	v_add_f64 v[42:43], v[54:55], -v[42:43]
	v_add_f64 v[44:45], v[44:45], -v[52:53]
	v_add_f64 v[52:53], v[56:57], v[40:41]
	s_delay_alu instid0(VALU_DEP_4) | instskip(NEXT) | instid1(VALU_DEP_4)
	v_cmp_neq_f64_e64 s5, 0x7ff00000, |v[48:49]|
	v_add_f64 v[42:43], v[46:47], -v[42:43]
	s_delay_alu instid0(VALU_DEP_4) | instskip(SKIP_1) | instid1(VALU_DEP_2)
	v_add_f64 v[29:30], v[29:30], v[44:45]
	v_fract_f64_e32 v[44:45], v[48:49]
	v_add_f64 v[46:47], v[52:53], v[29:30]
	s_delay_alu instid0(VALU_DEP_2) | instskip(NEXT) | instid1(VALU_DEP_3)
	v_cndmask_b32_e64 v45, 0, v45, s5
	v_cndmask_b32_e64 v44, 0, v44, s5
	s_delay_alu instid0(VALU_DEP_1) | instskip(NEXT) | instid1(VALU_DEP_4)
	v_ldexp_f64 v[44:45], v[44:45], 2
	v_add_f64 v[48:49], v[42:43], v[46:47]
	v_add_f64 v[58:59], v[46:47], -v[52:53]
	s_delay_alu instid0(VALU_DEP_2) | instskip(NEXT) | instid1(VALU_DEP_2)
	v_add_f64 v[54:55], v[48:49], v[44:45]
	v_add_f64 v[64:65], v[46:47], -v[58:59]
	v_add_f64 v[29:30], v[29:30], -v[58:59]
	;; [unrolled: 1-line block ×3, first 2 shown]
	s_delay_alu instid0(VALU_DEP_4) | instskip(SKIP_1) | instid1(VALU_DEP_2)
	v_cmp_gt_f64_e64 s5, 0, v[54:55]
	v_add_f64 v[54:55], v[52:53], -v[56:57]
	v_cndmask_b32_e64 v2, 0, 0x40100000, s5
	s_delay_alu instid0(VALU_DEP_2) | instskip(SKIP_2) | instid1(VALU_DEP_4)
	v_add_f64 v[62:63], v[52:53], -v[54:55]
	v_add_f64 v[40:41], v[40:41], -v[54:55]
	v_add_f64 v[52:53], v[52:53], -v[64:65]
	v_add_f64 v[44:45], v[44:45], v[1:2]
	s_delay_alu instid0(VALU_DEP_4) | instskip(NEXT) | instid1(VALU_DEP_3)
	v_add_f64 v[54:55], v[56:57], -v[62:63]
	v_add_f64 v[29:30], v[29:30], v[52:53]
	s_delay_alu instid0(VALU_DEP_3) | instskip(NEXT) | instid1(VALU_DEP_3)
	v_add_f64 v[60:61], v[48:49], v[44:45]
	v_add_f64 v[40:41], v[40:41], v[54:55]
	s_delay_alu instid0(VALU_DEP_2) | instskip(NEXT) | instid1(VALU_DEP_2)
	v_cvt_i32_f64_e32 v2, v[60:61]
	v_add_f64 v[29:30], v[40:41], v[29:30]
	v_add_f64 v[40:41], v[46:47], -v[42:43]
	s_delay_alu instid0(VALU_DEP_3) | instskip(NEXT) | instid1(VALU_DEP_3)
	v_cvt_f64_i32_e32 v[58:59], v2
	v_add_f64 v[27:28], v[27:28], v[29:30]
	s_delay_alu instid0(VALU_DEP_2) | instskip(NEXT) | instid1(VALU_DEP_2)
	v_add_f64 v[44:45], v[44:45], -v[58:59]
	v_add_f64 v[27:28], v[40:41], v[27:28]
	s_delay_alu instid0(VALU_DEP_2) | instskip(NEXT) | instid1(VALU_DEP_1)
	v_add_f64 v[50:51], v[48:49], v[44:45]
	v_add_f64 v[29:30], v[50:51], -v[44:45]
	v_cmp_le_f64_e64 s5, 0.5, v[50:51]
	s_delay_alu instid0(VALU_DEP_2) | instskip(NEXT) | instid1(VALU_DEP_2)
	v_add_f64 v[29:30], v[48:49], -v[29:30]
	v_add_co_ci_u32_e64 v40, s6, 0, v2, s5
	v_cndmask_b32_e64 v2, 0, 0x3ff00000, s5
	s_mov_b32 s6, s18
	s_delay_alu instid0(VALU_DEP_3) | instskip(NEXT) | instid1(VALU_DEP_2)
	v_add_f64 v[27:28], v[27:28], v[29:30]
	v_add_f64 v[29:30], v[50:51], -v[1:2]
	s_delay_alu instid0(VALU_DEP_1) | instskip(NEXT) | instid1(VALU_DEP_1)
	v_add_f64 v[41:42], v[29:30], v[27:28]
	v_mul_f64 v[43:44], v[41:42], s[6:7]
	v_add_f64 v[29:30], v[41:42], -v[29:30]
	s_delay_alu instid0(VALU_DEP_2) | instskip(NEXT) | instid1(VALU_DEP_2)
	v_fma_f64 v[45:46], v[41:42], s[6:7], -v[43:44]
	v_add_f64 v[27:28], v[27:28], -v[29:30]
	s_delay_alu instid0(VALU_DEP_2) | instskip(NEXT) | instid1(VALU_DEP_1)
	v_fma_f64 v[29:30], v[41:42], s[52:53], v[45:46]
	v_fma_f64 v[29:30], v[27:28], s[6:7], v[29:30]
	s_delay_alu instid0(VALU_DEP_1) | instskip(NEXT) | instid1(VALU_DEP_1)
	v_add_f64 v[27:28], v[43:44], v[29:30]
	v_add_f64 v[41:42], v[27:28], -v[43:44]
	s_delay_alu instid0(VALU_DEP_1)
	v_add_f64 v[29:30], v[29:30], -v[41:42]
	s_and_not1_saveexec_b32 s5, s50
	s_cbranch_execz .LBB220_26
.LBB220_31:                             ;   in Loop: Header=BB220_4 Depth=1
	v_mul_f64 v[27:28], |v[7:8]|, s[20:21]
	s_mov_b32 s50, s22
	s_delay_alu instid0(VALU_DEP_1) | instskip(NEXT) | instid1(VALU_DEP_1)
	v_rndne_f64_e32 v[40:41], v[27:28]
	v_fma_f64 v[27:28], v[40:41], s[18:19], |v[7:8]|
	v_mul_f64 v[29:30], v[40:41], s[22:23]
	s_delay_alu instid0(VALU_DEP_2) | instskip(NEXT) | instid1(VALU_DEP_2)
	v_fma_f64 v[44:45], v[40:41], s[22:23], v[27:28]
	v_add_f64 v[42:43], v[27:28], v[29:30]
	s_delay_alu instid0(VALU_DEP_1) | instskip(NEXT) | instid1(VALU_DEP_3)
	v_add_f64 v[27:28], v[27:28], -v[42:43]
	v_add_f64 v[42:43], v[42:43], -v[44:45]
	s_delay_alu instid0(VALU_DEP_2) | instskip(SKIP_1) | instid1(VALU_DEP_2)
	v_add_f64 v[27:28], v[27:28], v[29:30]
	v_fma_f64 v[29:30], v[40:41], s[50:51], v[29:30]
	v_add_f64 v[27:28], v[42:43], v[27:28]
	s_delay_alu instid0(VALU_DEP_1) | instskip(NEXT) | instid1(VALU_DEP_1)
	v_add_f64 v[27:28], v[27:28], -v[29:30]
	v_fma_f64 v[29:30], v[40:41], s[24:25], v[27:28]
	v_cvt_i32_f64_e32 v40, v[40:41]
	s_delay_alu instid0(VALU_DEP_2) | instskip(NEXT) | instid1(VALU_DEP_1)
	v_add_f64 v[27:28], v[44:45], v[29:30]
	v_add_f64 v[42:43], v[27:28], -v[44:45]
	s_delay_alu instid0(VALU_DEP_1) | instskip(SKIP_2) | instid1(SALU_CYCLE_1)
	v_add_f64 v[29:30], v[29:30], -v[42:43]
	s_or_b32 exec_lo, exec_lo, s5
	s_and_saveexec_b32 s5, s4
	s_xor_b32 s6, exec_lo, s5
	s_cbranch_execz .LBB220_27
.LBB220_32:                             ;   in Loop: Header=BB220_4 Depth=1
	v_mul_f64 v[41:42], v[15:16], v[15:16]
	v_mul_f64 v[51:52], v[17:18], 0.5
	s_mov_b32 s54, s38
	v_cmp_class_f64_e64 s5, v[13:14], 0x1f8
	v_and_b32_e32 v2, 1, v37
	v_lshlrev_b32_e32 v14, 30, v37
	s_delay_alu instid0(VALU_DEP_2) | instskip(NEXT) | instid1(VALU_DEP_2)
	v_cmp_eq_u32_e64 s4, 0, v2
	v_and_b32_e32 v14, 0x80000000, v14
	v_fma_f64 v[43:44], v[41:42], s[42:43], s[40:41]
	v_mul_f64 v[47:48], v[41:42], 0.5
	v_fma_f64 v[45:46], v[41:42], s[28:29], s[26:27]
	v_mul_f64 v[53:54], v[15:16], -v[41:42]
	s_delay_alu instid0(VALU_DEP_4) | instskip(NEXT) | instid1(VALU_DEP_4)
	v_fma_f64 v[43:44], v[41:42], v[43:44], s[44:45]
	v_add_f64 v[49:50], -v[47:48], 1.0
	s_delay_alu instid0(VALU_DEP_4) | instskip(NEXT) | instid1(VALU_DEP_3)
	v_fma_f64 v[45:46], v[41:42], v[45:46], s[30:31]
	v_fma_f64 v[43:44], v[41:42], v[43:44], s[46:47]
	s_delay_alu instid0(VALU_DEP_3) | instskip(NEXT) | instid1(VALU_DEP_3)
	v_add_f64 v[55:56], -v[49:50], 1.0
	v_fma_f64 v[45:46], v[41:42], v[45:46], s[34:35]
	s_delay_alu instid0(VALU_DEP_3) | instskip(NEXT) | instid1(VALU_DEP_3)
	v_fma_f64 v[43:44], v[41:42], v[43:44], s[48:49]
	v_add_f64 v[47:48], v[55:56], -v[47:48]
	s_delay_alu instid0(VALU_DEP_3) | instskip(NEXT) | instid1(VALU_DEP_3)
	v_fma_f64 v[45:46], v[41:42], v[45:46], s[36:37]
	v_fma_f64 v[43:44], v[53:54], v[43:44], v[51:52]
	s_delay_alu instid0(VALU_DEP_3) | instskip(SKIP_1) | instid1(VALU_DEP_4)
	v_fma_f64 v[47:48], v[15:16], -v[17:18], v[47:48]
	v_mul_f64 v[51:52], v[41:42], v[41:42]
	v_fma_f64 v[45:46], v[41:42], v[45:46], s[38:39]
	s_delay_alu instid0(VALU_DEP_4) | instskip(NEXT) | instid1(VALU_DEP_2)
	v_fma_f64 v[17:18], v[41:42], v[43:44], -v[17:18]
	v_fma_f64 v[41:42], v[51:52], v[45:46], v[47:48]
	s_delay_alu instid0(VALU_DEP_2) | instskip(NEXT) | instid1(VALU_DEP_2)
	v_fma_f64 v[17:18], v[53:54], s[54:55], v[17:18]
	v_add_f64 v[41:42], v[49:50], v[41:42]
	s_delay_alu instid0(VALU_DEP_2) | instskip(NEXT) | instid1(VALU_DEP_1)
	v_add_f64 v[15:16], v[15:16], -v[17:18]
	v_xor_b32_e32 v13, 0x80000000, v16
	s_delay_alu instid0(VALU_DEP_2) | instskip(NEXT) | instid1(VALU_DEP_2)
	v_cndmask_b32_e64 v2, v15, v41, s4
	v_cndmask_b32_e64 v13, v13, v42, s4
	s_delay_alu instid0(VALU_DEP_1) | instskip(NEXT) | instid1(VALU_DEP_3)
	v_xor_b32_e32 v14, v13, v14
	v_cndmask_b32_e64 v13, 0, v2, s5
	s_delay_alu instid0(VALU_DEP_2)
	v_cndmask_b32_e64 v14, 0x7ff80000, v14, s5
	global_store_b64 v[3:4], v[13:14], off
	s_or_b32 exec_lo, exec_lo, s6
	s_and_saveexec_b32 s5, s3
	s_cbranch_execz .LBB220_28
.LBB220_33:                             ;   in Loop: Header=BB220_4 Depth=1
	v_mul_f64 v[13:14], v[19:20], v[19:20]
	s_delay_alu instid0(VALU_DEP_4) | instskip(SKIP_4) | instid1(VALU_DEP_2)
	v_mul_f64 v[45:46], v[21:22], 0.5
	s_mov_b32 s54, s38
	v_cmp_class_f64_e64 s4, v[11:12], 0x1f8
	v_and_b32_e32 v2, 1, v38
	v_lshlrev_b32_e32 v12, 30, v38
	v_cmp_eq_u32_e64 s3, 0, v2
	s_delay_alu instid0(VALU_DEP_2) | instskip(SKIP_4) | instid1(VALU_DEP_4)
	v_and_b32_e32 v12, 0x80000000, v12
	v_fma_f64 v[15:16], v[13:14], s[42:43], s[40:41]
	v_fma_f64 v[17:18], v[13:14], s[28:29], s[26:27]
	v_mul_f64 v[41:42], v[13:14], 0.5
	v_mul_f64 v[47:48], v[19:20], -v[13:14]
	v_fma_f64 v[15:16], v[13:14], v[15:16], s[44:45]
	s_delay_alu instid0(VALU_DEP_4) | instskip(NEXT) | instid1(VALU_DEP_4)
	v_fma_f64 v[17:18], v[13:14], v[17:18], s[30:31]
	v_add_f64 v[43:44], -v[41:42], 1.0
	s_delay_alu instid0(VALU_DEP_3) | instskip(NEXT) | instid1(VALU_DEP_3)
	v_fma_f64 v[15:16], v[13:14], v[15:16], s[46:47]
	v_fma_f64 v[17:18], v[13:14], v[17:18], s[34:35]
	s_delay_alu instid0(VALU_DEP_3) | instskip(NEXT) | instid1(VALU_DEP_3)
	v_add_f64 v[49:50], -v[43:44], 1.0
	v_fma_f64 v[15:16], v[13:14], v[15:16], s[48:49]
	s_delay_alu instid0(VALU_DEP_3) | instskip(NEXT) | instid1(VALU_DEP_3)
	v_fma_f64 v[17:18], v[13:14], v[17:18], s[36:37]
	v_add_f64 v[41:42], v[49:50], -v[41:42]
	s_delay_alu instid0(VALU_DEP_3) | instskip(SKIP_1) | instid1(VALU_DEP_4)
	v_fma_f64 v[15:16], v[47:48], v[15:16], v[45:46]
	v_mul_f64 v[45:46], v[13:14], v[13:14]
	v_fma_f64 v[17:18], v[13:14], v[17:18], s[38:39]
	s_delay_alu instid0(VALU_DEP_4) | instskip(NEXT) | instid1(VALU_DEP_4)
	v_fma_f64 v[41:42], v[19:20], -v[21:22], v[41:42]
	v_fma_f64 v[13:14], v[13:14], v[15:16], -v[21:22]
	s_delay_alu instid0(VALU_DEP_2) | instskip(NEXT) | instid1(VALU_DEP_2)
	v_fma_f64 v[15:16], v[45:46], v[17:18], v[41:42]
	v_fma_f64 v[13:14], v[47:48], s[54:55], v[13:14]
	s_delay_alu instid0(VALU_DEP_2) | instskip(NEXT) | instid1(VALU_DEP_2)
	v_add_f64 v[15:16], v[43:44], v[15:16]
	v_add_f64 v[13:14], v[19:20], -v[13:14]
	s_delay_alu instid0(VALU_DEP_1) | instskip(NEXT) | instid1(VALU_DEP_2)
	v_xor_b32_e32 v11, 0x80000000, v14
	v_cndmask_b32_e64 v2, v13, v15, s3
	s_delay_alu instid0(VALU_DEP_2) | instskip(NEXT) | instid1(VALU_DEP_1)
	v_cndmask_b32_e64 v11, v11, v16, s3
	v_xor_b32_e32 v12, v11, v12
	s_delay_alu instid0(VALU_DEP_3) | instskip(NEXT) | instid1(VALU_DEP_2)
	v_cndmask_b32_e64 v11, 0, v2, s4
	v_cndmask_b32_e64 v12, 0x7ff80000, v12, s4
	global_store_b64 v[5:6], v[11:12], off
	s_or_b32 exec_lo, exec_lo, s5
	s_and_saveexec_b32 s4, s2
	s_cbranch_execz .LBB220_29
.LBB220_34:                             ;   in Loop: Header=BB220_4 Depth=1
	v_mul_f64 v[11:12], v[23:24], v[23:24]
	s_delay_alu instid0(VALU_DEP_3) | instskip(SKIP_4) | instid1(VALU_DEP_2)
	v_mul_f64 v[21:22], v[25:26], 0.5
	s_mov_b32 s54, s38
	v_cmp_class_f64_e64 s3, v[9:10], 0x1f8
	v_and_b32_e32 v2, 1, v39
	v_lshlrev_b32_e32 v9, 30, v39
	v_cmp_eq_u32_e64 s2, 0, v2
	s_delay_alu instid0(VALU_DEP_2) | instskip(SKIP_4) | instid1(VALU_DEP_4)
	v_and_b32_e32 v9, 0x80000000, v9
	v_fma_f64 v[13:14], v[11:12], s[42:43], s[40:41]
	v_fma_f64 v[15:16], v[11:12], s[28:29], s[26:27]
	v_mul_f64 v[17:18], v[11:12], 0.5
	v_mul_f64 v[37:38], v[23:24], -v[11:12]
	v_fma_f64 v[13:14], v[11:12], v[13:14], s[44:45]
	s_delay_alu instid0(VALU_DEP_4) | instskip(NEXT) | instid1(VALU_DEP_4)
	v_fma_f64 v[15:16], v[11:12], v[15:16], s[30:31]
	v_add_f64 v[19:20], -v[17:18], 1.0
	s_delay_alu instid0(VALU_DEP_3) | instskip(NEXT) | instid1(VALU_DEP_3)
	v_fma_f64 v[13:14], v[11:12], v[13:14], s[46:47]
	v_fma_f64 v[15:16], v[11:12], v[15:16], s[34:35]
	s_delay_alu instid0(VALU_DEP_3) | instskip(NEXT) | instid1(VALU_DEP_3)
	v_add_f64 v[41:42], -v[19:20], 1.0
	v_fma_f64 v[13:14], v[11:12], v[13:14], s[48:49]
	s_delay_alu instid0(VALU_DEP_3) | instskip(NEXT) | instid1(VALU_DEP_3)
	v_fma_f64 v[15:16], v[11:12], v[15:16], s[36:37]
	v_add_f64 v[17:18], v[41:42], -v[17:18]
	s_delay_alu instid0(VALU_DEP_3) | instskip(SKIP_1) | instid1(VALU_DEP_4)
	v_fma_f64 v[13:14], v[37:38], v[13:14], v[21:22]
	v_mul_f64 v[21:22], v[11:12], v[11:12]
	v_fma_f64 v[15:16], v[11:12], v[15:16], s[38:39]
	s_delay_alu instid0(VALU_DEP_4) | instskip(NEXT) | instid1(VALU_DEP_4)
	v_fma_f64 v[17:18], v[23:24], -v[25:26], v[17:18]
	v_fma_f64 v[11:12], v[11:12], v[13:14], -v[25:26]
	s_delay_alu instid0(VALU_DEP_2) | instskip(NEXT) | instid1(VALU_DEP_2)
	v_fma_f64 v[13:14], v[21:22], v[15:16], v[17:18]
	v_fma_f64 v[11:12], v[37:38], s[54:55], v[11:12]
	s_delay_alu instid0(VALU_DEP_2) | instskip(NEXT) | instid1(VALU_DEP_2)
	v_add_f64 v[13:14], v[19:20], v[13:14]
	v_add_f64 v[11:12], v[23:24], -v[11:12]
	s_delay_alu instid0(VALU_DEP_1) | instskip(NEXT) | instid1(VALU_DEP_2)
	v_xor_b32_e32 v10, 0x80000000, v12
	v_cndmask_b32_e64 v2, v11, v13, s2
	s_delay_alu instid0(VALU_DEP_2) | instskip(SKIP_1) | instid1(VALU_DEP_1)
	v_cndmask_b32_e64 v10, v10, v14, s2
	v_add_co_u32 v11, s2, v3, s58
	v_add_co_ci_u32_e64 v12, s2, 0, v4, s2
	s_delay_alu instid0(VALU_DEP_3) | instskip(SKIP_1) | instid1(VALU_DEP_2)
	v_xor_b32_e32 v10, v10, v9
	v_cndmask_b32_e64 v9, 0, v2, s3
	v_cndmask_b32_e64 v10, 0x7ff80000, v10, s3
	global_store_b64 v[11:12], v[9:10], off
	s_or_b32 exec_lo, exec_lo, s4
	s_and_saveexec_b32 s3, vcc_lo
	s_cbranch_execz .LBB220_3
.LBB220_35:                             ;   in Loop: Header=BB220_4 Depth=1
	v_mul_f64 v[9:10], v[27:28], v[27:28]
	s_delay_alu instid0(VALU_DEP_2) | instskip(SKIP_4) | instid1(VALU_DEP_2)
	v_mul_f64 v[19:20], v[29:30], 0.5
	s_mov_b32 s54, s38
	v_cmp_class_f64_e64 s2, v[7:8], 0x1f8
	v_and_b32_e32 v2, 1, v40
	v_lshlrev_b32_e32 v7, 30, v40
	v_cmp_eq_u32_e32 vcc_lo, 0, v2
	v_fma_f64 v[11:12], v[9:10], s[42:43], s[40:41]
	v_fma_f64 v[13:14], v[9:10], s[28:29], s[26:27]
	v_mul_f64 v[15:16], v[9:10], 0.5
	v_mul_f64 v[21:22], v[27:28], -v[9:10]
	s_delay_alu instid0(VALU_DEP_4) | instskip(NEXT) | instid1(VALU_DEP_4)
	v_fma_f64 v[11:12], v[9:10], v[11:12], s[44:45]
	v_fma_f64 v[13:14], v[9:10], v[13:14], s[30:31]
	s_delay_alu instid0(VALU_DEP_4) | instskip(NEXT) | instid1(VALU_DEP_3)
	v_add_f64 v[17:18], -v[15:16], 1.0
	v_fma_f64 v[11:12], v[9:10], v[11:12], s[46:47]
	s_delay_alu instid0(VALU_DEP_3) | instskip(NEXT) | instid1(VALU_DEP_3)
	v_fma_f64 v[13:14], v[9:10], v[13:14], s[34:35]
	v_add_f64 v[23:24], -v[17:18], 1.0
	s_delay_alu instid0(VALU_DEP_3) | instskip(NEXT) | instid1(VALU_DEP_3)
	v_fma_f64 v[11:12], v[9:10], v[11:12], s[48:49]
	v_fma_f64 v[13:14], v[9:10], v[13:14], s[36:37]
	s_delay_alu instid0(VALU_DEP_3) | instskip(NEXT) | instid1(VALU_DEP_3)
	v_add_f64 v[15:16], v[23:24], -v[15:16]
	v_fma_f64 v[11:12], v[21:22], v[11:12], v[19:20]
	v_mul_f64 v[19:20], v[9:10], v[9:10]
	s_delay_alu instid0(VALU_DEP_4) | instskip(NEXT) | instid1(VALU_DEP_4)
	v_fma_f64 v[13:14], v[9:10], v[13:14], s[38:39]
	v_fma_f64 v[15:16], v[27:28], -v[29:30], v[15:16]
	s_delay_alu instid0(VALU_DEP_4) | instskip(NEXT) | instid1(VALU_DEP_2)
	v_fma_f64 v[9:10], v[9:10], v[11:12], -v[29:30]
	v_fma_f64 v[11:12], v[19:20], v[13:14], v[15:16]
	s_delay_alu instid0(VALU_DEP_2) | instskip(NEXT) | instid1(VALU_DEP_2)
	v_fma_f64 v[9:10], v[21:22], s[54:55], v[9:10]
	v_add_f64 v[11:12], v[17:18], v[11:12]
	s_delay_alu instid0(VALU_DEP_2) | instskip(NEXT) | instid1(VALU_DEP_1)
	v_add_f64 v[9:10], v[27:28], -v[9:10]
	v_cndmask_b32_e32 v2, v9, v11, vcc_lo
	s_delay_alu instid0(VALU_DEP_2) | instskip(NEXT) | instid1(VALU_DEP_1)
	v_xor_b32_e32 v8, 0x80000000, v10
	v_dual_cndmask_b32 v8, v8, v12 :: v_dual_and_b32 v7, 0x80000000, v7
	v_add_co_u32 v9, vcc_lo, v3, s56
	v_add_co_ci_u32_e32 v10, vcc_lo, 0, v4, vcc_lo
	s_delay_alu instid0(VALU_DEP_3) | instskip(SKIP_1) | instid1(VALU_DEP_2)
	v_xor_b32_e32 v8, v8, v7
	v_cndmask_b32_e64 v7, 0, v2, s2
	v_cndmask_b32_e64 v8, 0x7ff80000, v8, s2
	global_store_b64 v[9:10], v[7:8], off
	s_branch .LBB220_3
.LBB220_36:
	s_cbranch_execz .LBB220_38
	s_branch .LBB220_57
.LBB220_37:
.LBB220_38:
	v_dual_mov_b32 v8, 0 :: v_dual_lshlrev_b32 v1, 2, v0
	s_mov_b32 s33, 0
	s_mov_b32 s2, exec_lo
	s_delay_alu instid0(VALU_DEP_1) | instskip(NEXT) | instid1(VALU_DEP_1)
	v_mov_b32_e32 v2, v8
	v_cmpx_gt_i64_e64 s[10:11], v[1:2]
	s_cbranch_execz .LBB220_57
; %bb.39:
	s_load_b32 s0, s[0:1], 0xd3c
	v_lshlrev_b32_e32 v1, 5, v0
	v_mov_b32_e32 v11, v8
	s_mov_b32 s16, 0x54442d18
	s_mov_b32 s22, 0x6dc9c883
	;; [unrolled: 1-line block ×17, first 2 shown]
	s_waitcnt lgkmcnt(0)
	s_and_b32 s0, s0, 0xffff
	s_mov_b32 s20, 0x33145c07
	s_lshl_b32 s52, s0, 2
	s_add_u32 s1, s8, s12
	v_add_lshl_u32 v10, v0, s0, 2
	s_addc_u32 s2, s9, s13
	v_add_co_u32 v0, s1, s1, v1
	s_delay_alu instid0(VALU_DEP_1) | instskip(SKIP_1) | instid1(VALU_DEP_2)
	v_add_co_ci_u32_e64 v1, null, s2, 0, s1
	s_mov_b32 s12, 0xa17f65f6
	v_add_co_u32 v12, vcc_lo, v0, 16
	s_delay_alu instid0(VALU_DEP_2)
	v_add_co_ci_u32_e32 v13, vcc_lo, 0, v1, vcc_lo
	s_mov_b32 s23, 0x3fe45f30
	s_mov_b32 s25, 0xbc91a626
	;; [unrolled: 1-line block ×5, first 2 shown]
	s_lshl_b32 s9, s0, 5
	s_mov_b32 s13, 0xbe927e4f
	s_mov_b32 s35, 0x3efa01a0
	s_mov_b32 s37, 0xbf56c16c
	s_mov_b32 s39, 0xbe5ae600
	s_mov_b32 s41, 0x3de5e0b2
	s_mov_b32 s43, 0x3ec71de3
	s_mov_b32 s45, 0xbf2a01a0
	s_mov_b32 s47, 0x3f811111
	s_mov_b32 s49, 0x3fa55555
	s_mov_b32 s51, 0xbfc55555
	s_mov_b32 s50, s48
	s_branch .LBB220_41
.LBB220_40:                             ;   in Loop: Header=BB220_41 Depth=1
	s_or_b32 exec_lo, exec_lo, s0
	v_mul_f64 v[34:35], v[22:23], v[22:23]
	v_mul_f64 v[36:37], v[18:19], v[18:19]
	;; [unrolled: 1-line block ×4, first 2 shown]
	v_mul_f64 v[68:69], v[24:25], 0.5
	v_mul_f64 v[80:81], v[20:21], 0.5
	;; [unrolled: 1-line block ×4, first 2 shown]
	v_cmp_class_f64_e64 s0, v[0:1], 0x1f8
	v_cmp_class_f64_e64 s2, v[6:7], 0x1f8
	;; [unrolled: 1-line block ×4, first 2 shown]
	v_and_b32_e32 v9, 1, v32
	v_lshlrev_b32_e32 v0, 30, v32
	v_lshlrev_b32_e32 v4, 30, v33
	;; [unrolled: 1-line block ×3, first 2 shown]
	v_cmp_le_i64_e64 s7, s[10:11], v[10:11]
	v_cmp_eq_u32_e32 vcc_lo, 0, v9
	v_cmp_lt_u64_e64 s8, 0xffff, v[10:11]
	s_delay_alu instid0(VALU_DEP_4)
	v_and_b32_e32 v3, 0x80000000, v3
	v_fma_f64 v[40:41], v[34:35], s[40:41], s[38:39]
	v_mul_f64 v[44:45], v[34:35], 0.5
	v_fma_f64 v[46:47], v[36:37], s[40:41], s[38:39]
	v_fma_f64 v[48:49], v[38:39], s[40:41], s[38:39]
	v_fma_f64 v[50:51], v[42:43], s[40:41], s[38:39]
	v_fma_f64 v[52:53], v[34:35], s[30:31], s[28:29]
	v_mul_f64 v[54:55], v[36:37], 0.5
	v_fma_f64 v[56:57], v[36:37], s[30:31], s[28:29]
	v_mul_f64 v[60:61], v[38:39], 0.5
	v_fma_f64 v[62:63], v[38:39], s[30:31], s[28:29]
	v_fma_f64 v[64:65], v[42:43], s[30:31], s[28:29]
	v_mul_f64 v[66:67], v[42:43], 0.5
	v_mul_f64 v[70:71], v[22:23], -v[34:35]
	v_mul_f64 v[86:87], v[18:19], -v[36:37]
	;; [unrolled: 1-line block ×4, first 2 shown]
	v_fma_f64 v[40:41], v[34:35], v[40:41], s[42:43]
	v_add_f64 v[58:59], -v[44:45], 1.0
	v_fma_f64 v[46:47], v[36:37], v[46:47], s[42:43]
	v_fma_f64 v[48:49], v[38:39], v[48:49], s[42:43]
	;; [unrolled: 1-line block ×4, first 2 shown]
	v_add_f64 v[72:73], -v[54:55], 1.0
	v_fma_f64 v[56:57], v[36:37], v[56:57], s[12:13]
	v_add_f64 v[76:77], -v[60:61], 1.0
	v_fma_f64 v[62:63], v[38:39], v[62:63], s[12:13]
	v_fma_f64 v[64:65], v[42:43], v[64:65], s[12:13]
	v_add_f64 v[78:79], -v[66:67], 1.0
	v_fma_f64 v[40:41], v[34:35], v[40:41], s[44:45]
	v_add_f64 v[74:75], -v[58:59], 1.0
	v_fma_f64 v[46:47], v[36:37], v[46:47], s[44:45]
	v_fma_f64 v[48:49], v[38:39], v[48:49], s[44:45]
	;; [unrolled: 1-line block ×4, first 2 shown]
	v_add_f64 v[92:93], -v[72:73], 1.0
	v_fma_f64 v[56:57], v[36:37], v[56:57], s[34:35]
	v_fma_f64 v[62:63], v[38:39], v[62:63], s[34:35]
	;; [unrolled: 1-line block ×4, first 2 shown]
	v_add_f64 v[44:45], v[74:75], -v[44:45]
	v_add_f64 v[74:75], -v[76:77], 1.0
	v_fma_f64 v[46:47], v[36:37], v[46:47], s[46:47]
	v_fma_f64 v[48:49], v[38:39], v[48:49], s[46:47]
	;; [unrolled: 1-line block ×5, first 2 shown]
	v_add_f64 v[54:55], v[92:93], -v[54:55]
	v_fma_f64 v[62:63], v[38:39], v[62:63], s[36:37]
	v_fma_f64 v[64:65], v[42:43], v[64:65], s[36:37]
	v_fma_f64 v[40:41], v[70:71], v[40:41], v[68:69]
	v_add_f64 v[68:69], -v[78:79], 1.0
	v_add_f64 v[60:61], v[74:75], -v[60:61]
	v_fma_f64 v[46:47], v[86:87], v[46:47], v[80:81]
	v_fma_f64 v[48:49], v[88:89], v[48:49], v[82:83]
	;; [unrolled: 1-line block ×4, first 2 shown]
	v_fma_f64 v[44:45], v[22:23], -v[24:25], v[44:45]
	v_mul_f64 v[74:75], v[36:37], v[36:37]
	v_mul_f64 v[80:81], v[38:39], v[38:39]
	;; [unrolled: 1-line block ×3, first 2 shown]
	v_fma_f64 v[24:25], v[34:35], v[40:41], -v[24:25]
	v_add_f64 v[66:67], v[68:69], -v[66:67]
	v_mul_f64 v[68:69], v[34:35], v[34:35]
	v_fma_f64 v[34:35], v[36:37], v[56:57], s[48:49]
	v_fma_f64 v[40:41], v[18:19], -v[20:21], v[54:55]
	v_fma_f64 v[20:21], v[36:37], v[46:47], -v[20:21]
	v_fma_f64 v[36:37], v[38:39], v[62:63], s[48:49]
	v_fma_f64 v[46:47], v[14:15], -v[16:17], v[60:61]
	v_fma_f64 v[16:17], v[38:39], v[48:49], -v[16:17]
	v_fma_f64 v[38:39], v[42:43], v[64:65], s[48:49]
	v_fma_f64 v[24:25], v[70:71], s[50:51], v[24:25]
	v_fma_f64 v[48:49], v[26:27], -v[28:29], v[66:67]
	v_fma_f64 v[28:29], v[42:43], v[50:51], -v[28:29]
	v_fma_f64 v[42:43], v[68:69], v[52:53], v[44:45]
	v_fma_f64 v[34:35], v[74:75], v[34:35], v[40:41]
	;; [unrolled: 1-line block ×5, first 2 shown]
	v_add_f64 v[22:23], v[22:23], -v[24:25]
	v_fma_f64 v[38:39], v[82:83], v[38:39], v[48:49]
	v_fma_f64 v[28:29], v[90:91], s[50:51], v[28:29]
	v_add_f64 v[40:41], v[58:59], v[42:43]
	v_add_f64 v[24:25], v[72:73], v[34:35]
	v_add_f64 v[18:19], v[18:19], -v[20:21]
	v_and_b32_e32 v34, 1, v33
	v_add_f64 v[20:21], v[76:77], v[36:37]
	v_add_f64 v[14:15], v[14:15], -v[16:17]
	s_delay_alu instid0(VALU_DEP_3) | instskip(SKIP_4) | instid1(VALU_DEP_2)
	v_cmp_eq_u32_e64 s5, 0, v34
	v_add_f64 v[16:17], v[78:79], v[38:39]
	v_add_f64 v[26:27], v[26:27], -v[28:29]
	v_dual_cndmask_b32 v9, v22, v40 :: v_dual_and_b32 v28, 1, v31
	v_and_b32_e32 v29, 1, v30
	v_cmp_eq_u32_e64 s1, 0, v28
	v_xor_b32_e32 v15, 0x80000000, v15
	s_delay_alu instid0(VALU_DEP_3) | instskip(NEXT) | instid1(VALU_DEP_3)
	v_cmp_eq_u32_e64 s3, 0, v29
	v_cndmask_b32_e64 v1, v18, v24, s1
	s_delay_alu instid0(VALU_DEP_2)
	v_cndmask_b32_e64 v7, v14, v20, s3
	v_and_b32_e32 v14, 0x80000000, v0
	v_xor_b32_e32 v0, 0x80000000, v23
	v_lshlrev_b32_e32 v2, 30, v31
	v_cndmask_b32_e64 v6, 0, v1, s2
	v_cndmask_b32_e64 v1, v15, v21, s3
	s_delay_alu instid0(VALU_DEP_1)
	v_xor_b32_e32 v3, v1, v3
	v_cndmask_b32_e64 v5, v26, v16, s5
	v_and_b32_e32 v16, 0x80000000, v4
	v_xor_b32_e32 v4, 0x80000000, v19
	v_cndmask_b32_e32 v19, v0, v41, vcc_lo
	v_xor_b32_e32 v18, 0x80000000, v27
	v_and_b32_e32 v2, 0x80000000, v2
	v_cndmask_b32_e64 v0, 0, v9, s0
	v_cndmask_b32_e64 v9, v4, v25, s1
	;; [unrolled: 1-line block ×4, first 2 shown]
	v_xor_b32_e32 v7, v19, v14
	v_add_co_u32 v10, vcc_lo, v10, s52
	v_xor_b32_e32 v9, v9, v2
	s_delay_alu instid0(VALU_DEP_4)
	v_xor_b32_e32 v14, v15, v16
	v_cndmask_b32_e64 v2, 0, v5, s6
	v_cndmask_b32_e64 v1, 0x7ff80000, v7, s0
	;; [unrolled: 1-line block ×5, first 2 shown]
	v_add_co_ci_u32_e32 v11, vcc_lo, 0, v11, vcc_lo
	s_clause 0x1
	global_store_b128 v[12:13], v[4:7], off offset:-16
	global_store_b128 v[12:13], v[0:3], off
	v_add_co_u32 v12, vcc_lo, v12, s9
	s_or_b32 s0, s7, s8
	v_add_co_ci_u32_e32 v13, vcc_lo, 0, v13, vcc_lo
	s_and_b32 s0, exec_lo, s0
	s_delay_alu instid0(SALU_CYCLE_1) | instskip(NEXT) | instid1(SALU_CYCLE_1)
	s_or_b32 s33, s0, s33
	s_and_not1_b32 exec_lo, exec_lo, s33
	s_cbranch_execz .LBB220_57
.LBB220_41:                             ; =>This Inner Loop Header: Depth=1
	s_clause 0x1
	global_load_b128 v[4:7], v[12:13], off offset:-16
	global_load_b128 v[0:3], v[12:13], off
	s_mov_b32 s1, exec_lo
                                        ; implicit-def: $vgpr30
                                        ; implicit-def: $vgpr14_vgpr15
                                        ; implicit-def: $vgpr16_vgpr17
	s_waitcnt vmcnt(1)
	v_cmpx_ngt_f64_e64 0x41d00000, |v[4:5]|
	s_xor_b32 s1, exec_lo, s1
	s_cbranch_execz .LBB220_43
; %bb.42:                               ;   in Loop: Header=BB220_41 Depth=1
	v_ldexp_f64 v[14:15], |v[4:5]|, 0xffffff80
	v_cmp_le_f64_e64 vcc_lo, 0x7b000000, |v[4:5]|
	v_trig_preop_f64 v[16:17], |v[4:5]|, 0
	v_and_b32_e32 v9, 0x7fffffff, v5
	v_trig_preop_f64 v[18:19], |v[4:5]|, 1
	v_trig_preop_f64 v[28:29], |v[4:5]|, 2
	s_mov_b32 s14, s16
	s_mov_b32 s21, s19
	v_dual_cndmask_b32 v14, v4, v14 :: v_dual_cndmask_b32 v15, v9, v15
	s_delay_alu instid0(VALU_DEP_1) | instskip(NEXT) | instid1(VALU_DEP_4)
	v_mul_f64 v[20:21], v[16:17], v[14:15]
	v_mul_f64 v[22:23], v[18:19], v[14:15]
	s_delay_alu instid0(VALU_DEP_2) | instskip(NEXT) | instid1(VALU_DEP_2)
	v_fma_f64 v[16:17], v[16:17], v[14:15], -v[20:21]
	v_fma_f64 v[18:19], v[18:19], v[14:15], -v[22:23]
	s_delay_alu instid0(VALU_DEP_2) | instskip(NEXT) | instid1(VALU_DEP_1)
	v_add_f64 v[24:25], v[22:23], v[16:17]
	v_add_f64 v[26:27], v[24:25], -v[22:23]
	v_add_f64 v[32:33], v[20:21], v[24:25]
	s_delay_alu instid0(VALU_DEP_2) | instskip(SKIP_1) | instid1(VALU_DEP_3)
	v_add_f64 v[30:31], v[24:25], -v[26:27]
	v_add_f64 v[16:17], v[16:17], -v[26:27]
	v_ldexp_f64 v[26:27], v[32:33], -2
	v_add_f64 v[20:21], v[32:33], -v[20:21]
	s_delay_alu instid0(VALU_DEP_4) | instskip(NEXT) | instid1(VALU_DEP_3)
	v_add_f64 v[22:23], v[22:23], -v[30:31]
	v_cmp_neq_f64_e64 vcc_lo, 0x7ff00000, |v[26:27]|
	s_delay_alu instid0(VALU_DEP_3) | instskip(NEXT) | instid1(VALU_DEP_3)
	v_add_f64 v[20:21], v[24:25], -v[20:21]
	v_add_f64 v[16:17], v[16:17], v[22:23]
	v_fract_f64_e32 v[22:23], v[26:27]
	s_delay_alu instid0(VALU_DEP_1) | instskip(SKIP_1) | instid1(VALU_DEP_3)
	v_cndmask_b32_e32 v22, 0, v22, vcc_lo
	v_mul_f64 v[34:35], v[28:29], v[14:15]
	v_cndmask_b32_e32 v23, 0, v23, vcc_lo
	s_delay_alu instid0(VALU_DEP_1) | instskip(NEXT) | instid1(VALU_DEP_3)
	v_ldexp_f64 v[22:23], v[22:23], 2
	v_add_f64 v[30:31], v[34:35], v[18:19]
	v_fma_f64 v[14:15], v[28:29], v[14:15], -v[34:35]
	s_delay_alu instid0(VALU_DEP_2) | instskip(NEXT) | instid1(VALU_DEP_1)
	v_add_f64 v[24:25], v[30:31], v[16:17]
	v_add_f64 v[26:27], v[20:21], v[24:25]
	v_add_f64 v[36:37], v[24:25], -v[30:31]
	s_delay_alu instid0(VALU_DEP_2) | instskip(NEXT) | instid1(VALU_DEP_2)
	v_add_f64 v[32:33], v[26:27], v[22:23]
	v_add_f64 v[42:43], v[24:25], -v[36:37]
	v_add_f64 v[16:17], v[16:17], -v[36:37]
	;; [unrolled: 1-line block ×3, first 2 shown]
	s_delay_alu instid0(VALU_DEP_4) | instskip(SKIP_1) | instid1(VALU_DEP_3)
	v_cmp_gt_f64_e32 vcc_lo, 0, v[32:33]
	v_add_f64 v[32:33], v[30:31], -v[34:35]
	v_add_f64 v[20:21], v[24:25], -v[20:21]
	v_cndmask_b32_e64 v9, 0, 0x40100000, vcc_lo
	s_delay_alu instid0(VALU_DEP_3) | instskip(SKIP_2) | instid1(VALU_DEP_4)
	v_add_f64 v[40:41], v[30:31], -v[32:33]
	v_add_f64 v[18:19], v[18:19], -v[32:33]
	;; [unrolled: 1-line block ×3, first 2 shown]
	v_add_f64 v[22:23], v[22:23], v[8:9]
	s_delay_alu instid0(VALU_DEP_4) | instskip(NEXT) | instid1(VALU_DEP_3)
	v_add_f64 v[32:33], v[34:35], -v[40:41]
	v_add_f64 v[16:17], v[16:17], v[30:31]
	s_delay_alu instid0(VALU_DEP_3) | instskip(NEXT) | instid1(VALU_DEP_3)
	v_add_f64 v[38:39], v[26:27], v[22:23]
	v_add_f64 v[18:19], v[18:19], v[32:33]
	s_delay_alu instid0(VALU_DEP_2) | instskip(NEXT) | instid1(VALU_DEP_2)
	v_cvt_i32_f64_e32 v9, v[38:39]
	v_add_f64 v[16:17], v[18:19], v[16:17]
	s_delay_alu instid0(VALU_DEP_2) | instskip(NEXT) | instid1(VALU_DEP_2)
	v_cvt_f64_i32_e32 v[36:37], v9
	v_add_f64 v[14:15], v[14:15], v[16:17]
	s_delay_alu instid0(VALU_DEP_2) | instskip(NEXT) | instid1(VALU_DEP_2)
	v_add_f64 v[22:23], v[22:23], -v[36:37]
	v_add_f64 v[14:15], v[20:21], v[14:15]
	s_delay_alu instid0(VALU_DEP_2) | instskip(NEXT) | instid1(VALU_DEP_1)
	v_add_f64 v[18:19], v[26:27], v[22:23]
	v_add_f64 v[16:17], v[18:19], -v[22:23]
	v_cmp_le_f64_e32 vcc_lo, 0.5, v[18:19]
	s_delay_alu instid0(VALU_DEP_2) | instskip(SKIP_2) | instid1(VALU_DEP_3)
	v_add_f64 v[16:17], v[26:27], -v[16:17]
	v_add_co_ci_u32_e64 v30, s0, 0, v9, vcc_lo
	v_cndmask_b32_e64 v9, 0, 0x3ff00000, vcc_lo
	v_add_f64 v[14:15], v[14:15], v[16:17]
	s_delay_alu instid0(VALU_DEP_2) | instskip(NEXT) | instid1(VALU_DEP_1)
	v_add_f64 v[16:17], v[18:19], -v[8:9]
	v_add_f64 v[18:19], v[16:17], v[14:15]
	s_delay_alu instid0(VALU_DEP_1) | instskip(SKIP_1) | instid1(VALU_DEP_2)
	v_mul_f64 v[20:21], v[18:19], s[14:15]
	v_add_f64 v[16:17], v[18:19], -v[16:17]
	v_fma_f64 v[22:23], v[18:19], s[14:15], -v[20:21]
	s_delay_alu instid0(VALU_DEP_2) | instskip(NEXT) | instid1(VALU_DEP_2)
	v_add_f64 v[14:15], v[14:15], -v[16:17]
	v_fma_f64 v[16:17], v[18:19], s[20:21], v[22:23]
	s_delay_alu instid0(VALU_DEP_1) | instskip(NEXT) | instid1(VALU_DEP_1)
	v_fma_f64 v[16:17], v[14:15], s[14:15], v[16:17]
	v_add_f64 v[14:15], v[20:21], v[16:17]
	s_delay_alu instid0(VALU_DEP_1) | instskip(NEXT) | instid1(VALU_DEP_1)
	v_add_f64 v[18:19], v[14:15], -v[20:21]
	v_add_f64 v[16:17], v[16:17], -v[18:19]
.LBB220_43:                             ;   in Loop: Header=BB220_41 Depth=1
	s_and_not1_saveexec_b32 s0, s1
	s_cbranch_execz .LBB220_45
; %bb.44:                               ;   in Loop: Header=BB220_41 Depth=1
	v_mul_f64 v[14:15], |v[4:5]|, s[22:23]
	s_mov_b32 s18, s24
	s_delay_alu instid0(VALU_DEP_1) | instskip(NEXT) | instid1(VALU_DEP_1)
	v_rndne_f64_e32 v[18:19], v[14:15]
	v_fma_f64 v[14:15], v[18:19], s[16:17], |v[4:5]|
	v_mul_f64 v[16:17], v[18:19], s[24:25]
	v_cvt_i32_f64_e32 v30, v[18:19]
	s_delay_alu instid0(VALU_DEP_3) | instskip(NEXT) | instid1(VALU_DEP_3)
	v_fma_f64 v[22:23], v[18:19], s[24:25], v[14:15]
	v_add_f64 v[20:21], v[14:15], v[16:17]
	s_delay_alu instid0(VALU_DEP_1) | instskip(NEXT) | instid1(VALU_DEP_3)
	v_add_f64 v[14:15], v[14:15], -v[20:21]
	v_add_f64 v[20:21], v[20:21], -v[22:23]
	s_delay_alu instid0(VALU_DEP_2) | instskip(SKIP_1) | instid1(VALU_DEP_2)
	v_add_f64 v[14:15], v[14:15], v[16:17]
	v_fma_f64 v[16:17], v[18:19], s[18:19], v[16:17]
	v_add_f64 v[14:15], v[20:21], v[14:15]
	s_delay_alu instid0(VALU_DEP_1) | instskip(NEXT) | instid1(VALU_DEP_1)
	v_add_f64 v[14:15], v[14:15], -v[16:17]
	v_fma_f64 v[16:17], v[18:19], s[26:27], v[14:15]
	s_delay_alu instid0(VALU_DEP_1) | instskip(NEXT) | instid1(VALU_DEP_1)
	v_add_f64 v[14:15], v[22:23], v[16:17]
	v_add_f64 v[20:21], v[14:15], -v[22:23]
	s_delay_alu instid0(VALU_DEP_1)
	v_add_f64 v[16:17], v[16:17], -v[20:21]
.LBB220_45:                             ;   in Loop: Header=BB220_41 Depth=1
	s_or_b32 exec_lo, exec_lo, s0
	s_delay_alu instid0(SALU_CYCLE_1)
	s_mov_b32 s1, exec_lo
                                        ; implicit-def: $vgpr31
                                        ; implicit-def: $vgpr18_vgpr19
                                        ; implicit-def: $vgpr20_vgpr21
	v_cmpx_ngt_f64_e64 0x41d00000, |v[6:7]|
	s_xor_b32 s1, exec_lo, s1
	s_cbranch_execz .LBB220_47
; %bb.46:                               ;   in Loop: Header=BB220_41 Depth=1
	v_ldexp_f64 v[18:19], |v[6:7]|, 0xffffff80
	v_cmp_le_f64_e64 vcc_lo, 0x7b000000, |v[6:7]|
	v_trig_preop_f64 v[20:21], |v[6:7]|, 0
	v_and_b32_e32 v9, 0x7fffffff, v7
	v_trig_preop_f64 v[22:23], |v[6:7]|, 1
	v_trig_preop_f64 v[33:34], |v[6:7]|, 2
	s_mov_b32 s14, s16
	s_mov_b32 s21, s19
	v_dual_cndmask_b32 v18, v6, v18 :: v_dual_cndmask_b32 v19, v9, v19
	s_delay_alu instid0(VALU_DEP_1) | instskip(NEXT) | instid1(VALU_DEP_4)
	v_mul_f64 v[24:25], v[20:21], v[18:19]
	v_mul_f64 v[26:27], v[22:23], v[18:19]
	s_delay_alu instid0(VALU_DEP_2) | instskip(NEXT) | instid1(VALU_DEP_2)
	v_fma_f64 v[20:21], v[20:21], v[18:19], -v[24:25]
	v_fma_f64 v[22:23], v[22:23], v[18:19], -v[26:27]
	s_delay_alu instid0(VALU_DEP_2) | instskip(NEXT) | instid1(VALU_DEP_1)
	v_add_f64 v[28:29], v[26:27], v[20:21]
	v_add_f64 v[31:32], v[28:29], -v[26:27]
	v_add_f64 v[37:38], v[24:25], v[28:29]
	s_delay_alu instid0(VALU_DEP_2) | instskip(SKIP_1) | instid1(VALU_DEP_3)
	v_add_f64 v[35:36], v[28:29], -v[31:32]
	v_add_f64 v[20:21], v[20:21], -v[31:32]
	v_ldexp_f64 v[31:32], v[37:38], -2
	v_add_f64 v[24:25], v[37:38], -v[24:25]
	s_delay_alu instid0(VALU_DEP_4) | instskip(NEXT) | instid1(VALU_DEP_3)
	v_add_f64 v[26:27], v[26:27], -v[35:36]
	v_cmp_neq_f64_e64 vcc_lo, 0x7ff00000, |v[31:32]|
	s_delay_alu instid0(VALU_DEP_3) | instskip(NEXT) | instid1(VALU_DEP_3)
	v_add_f64 v[24:25], v[28:29], -v[24:25]
	v_add_f64 v[20:21], v[20:21], v[26:27]
	v_fract_f64_e32 v[26:27], v[31:32]
	s_delay_alu instid0(VALU_DEP_1) | instskip(SKIP_1) | instid1(VALU_DEP_3)
	v_cndmask_b32_e32 v26, 0, v26, vcc_lo
	v_mul_f64 v[39:40], v[33:34], v[18:19]
	v_cndmask_b32_e32 v27, 0, v27, vcc_lo
	s_delay_alu instid0(VALU_DEP_1) | instskip(NEXT) | instid1(VALU_DEP_3)
	v_ldexp_f64 v[26:27], v[26:27], 2
	v_add_f64 v[35:36], v[39:40], v[22:23]
	v_fma_f64 v[18:19], v[33:34], v[18:19], -v[39:40]
	s_delay_alu instid0(VALU_DEP_2) | instskip(NEXT) | instid1(VALU_DEP_1)
	v_add_f64 v[28:29], v[35:36], v[20:21]
	v_add_f64 v[31:32], v[24:25], v[28:29]
	v_add_f64 v[41:42], v[28:29], -v[35:36]
	s_delay_alu instid0(VALU_DEP_2) | instskip(NEXT) | instid1(VALU_DEP_2)
	v_add_f64 v[37:38], v[31:32], v[26:27]
	v_add_f64 v[47:48], v[28:29], -v[41:42]
	v_add_f64 v[20:21], v[20:21], -v[41:42]
	v_add_f64 v[24:25], v[31:32], -v[24:25]
	s_delay_alu instid0(VALU_DEP_4) | instskip(SKIP_1) | instid1(VALU_DEP_3)
	v_cmp_gt_f64_e32 vcc_lo, 0, v[37:38]
	v_add_f64 v[37:38], v[35:36], -v[39:40]
	v_add_f64 v[24:25], v[28:29], -v[24:25]
	v_cndmask_b32_e64 v9, 0, 0x40100000, vcc_lo
	s_delay_alu instid0(VALU_DEP_3) | instskip(SKIP_2) | instid1(VALU_DEP_4)
	v_add_f64 v[45:46], v[35:36], -v[37:38]
	v_add_f64 v[22:23], v[22:23], -v[37:38]
	;; [unrolled: 1-line block ×3, first 2 shown]
	v_add_f64 v[26:27], v[26:27], v[8:9]
	s_delay_alu instid0(VALU_DEP_4) | instskip(NEXT) | instid1(VALU_DEP_3)
	v_add_f64 v[37:38], v[39:40], -v[45:46]
	v_add_f64 v[20:21], v[20:21], v[35:36]
	s_delay_alu instid0(VALU_DEP_3) | instskip(NEXT) | instid1(VALU_DEP_3)
	v_add_f64 v[43:44], v[31:32], v[26:27]
	v_add_f64 v[22:23], v[22:23], v[37:38]
	s_delay_alu instid0(VALU_DEP_2) | instskip(NEXT) | instid1(VALU_DEP_2)
	v_cvt_i32_f64_e32 v9, v[43:44]
	v_add_f64 v[20:21], v[22:23], v[20:21]
	s_delay_alu instid0(VALU_DEP_2) | instskip(NEXT) | instid1(VALU_DEP_2)
	v_cvt_f64_i32_e32 v[41:42], v9
	v_add_f64 v[18:19], v[18:19], v[20:21]
	s_delay_alu instid0(VALU_DEP_2) | instskip(NEXT) | instid1(VALU_DEP_2)
	v_add_f64 v[26:27], v[26:27], -v[41:42]
	v_add_f64 v[18:19], v[24:25], v[18:19]
	s_delay_alu instid0(VALU_DEP_2) | instskip(NEXT) | instid1(VALU_DEP_1)
	v_add_f64 v[22:23], v[31:32], v[26:27]
	v_add_f64 v[20:21], v[22:23], -v[26:27]
	v_cmp_le_f64_e32 vcc_lo, 0.5, v[22:23]
	s_delay_alu instid0(VALU_DEP_2) | instskip(SKIP_2) | instid1(VALU_DEP_3)
	v_add_f64 v[20:21], v[31:32], -v[20:21]
	v_add_co_ci_u32_e64 v31, s0, 0, v9, vcc_lo
	v_cndmask_b32_e64 v9, 0, 0x3ff00000, vcc_lo
	v_add_f64 v[18:19], v[18:19], v[20:21]
	s_delay_alu instid0(VALU_DEP_2) | instskip(NEXT) | instid1(VALU_DEP_1)
	v_add_f64 v[20:21], v[22:23], -v[8:9]
	v_add_f64 v[22:23], v[20:21], v[18:19]
	s_delay_alu instid0(VALU_DEP_1) | instskip(SKIP_1) | instid1(VALU_DEP_2)
	v_mul_f64 v[24:25], v[22:23], s[14:15]
	v_add_f64 v[20:21], v[22:23], -v[20:21]
	v_fma_f64 v[26:27], v[22:23], s[14:15], -v[24:25]
	s_delay_alu instid0(VALU_DEP_2) | instskip(NEXT) | instid1(VALU_DEP_2)
	v_add_f64 v[18:19], v[18:19], -v[20:21]
	v_fma_f64 v[20:21], v[22:23], s[20:21], v[26:27]
	s_delay_alu instid0(VALU_DEP_1) | instskip(NEXT) | instid1(VALU_DEP_1)
	v_fma_f64 v[20:21], v[18:19], s[14:15], v[20:21]
	v_add_f64 v[18:19], v[24:25], v[20:21]
	s_delay_alu instid0(VALU_DEP_1) | instskip(NEXT) | instid1(VALU_DEP_1)
	v_add_f64 v[22:23], v[18:19], -v[24:25]
	v_add_f64 v[20:21], v[20:21], -v[22:23]
.LBB220_47:                             ;   in Loop: Header=BB220_41 Depth=1
	s_and_not1_saveexec_b32 s0, s1
	s_cbranch_execz .LBB220_49
; %bb.48:                               ;   in Loop: Header=BB220_41 Depth=1
	v_mul_f64 v[18:19], |v[6:7]|, s[22:23]
	s_mov_b32 s18, s24
	s_delay_alu instid0(VALU_DEP_1) | instskip(NEXT) | instid1(VALU_DEP_1)
	v_rndne_f64_e32 v[22:23], v[18:19]
	v_fma_f64 v[18:19], v[22:23], s[16:17], |v[6:7]|
	v_mul_f64 v[20:21], v[22:23], s[24:25]
	v_cvt_i32_f64_e32 v31, v[22:23]
	s_delay_alu instid0(VALU_DEP_3) | instskip(NEXT) | instid1(VALU_DEP_3)
	v_fma_f64 v[26:27], v[22:23], s[24:25], v[18:19]
	v_add_f64 v[24:25], v[18:19], v[20:21]
	s_delay_alu instid0(VALU_DEP_1) | instskip(NEXT) | instid1(VALU_DEP_3)
	v_add_f64 v[18:19], v[18:19], -v[24:25]
	v_add_f64 v[24:25], v[24:25], -v[26:27]
	s_delay_alu instid0(VALU_DEP_2) | instskip(SKIP_1) | instid1(VALU_DEP_2)
	v_add_f64 v[18:19], v[18:19], v[20:21]
	v_fma_f64 v[20:21], v[22:23], s[18:19], v[20:21]
	v_add_f64 v[18:19], v[24:25], v[18:19]
	s_delay_alu instid0(VALU_DEP_1) | instskip(NEXT) | instid1(VALU_DEP_1)
	v_add_f64 v[18:19], v[18:19], -v[20:21]
	v_fma_f64 v[20:21], v[22:23], s[26:27], v[18:19]
	s_delay_alu instid0(VALU_DEP_1) | instskip(NEXT) | instid1(VALU_DEP_1)
	v_add_f64 v[18:19], v[26:27], v[20:21]
	v_add_f64 v[24:25], v[18:19], -v[26:27]
	s_delay_alu instid0(VALU_DEP_1)
	v_add_f64 v[20:21], v[20:21], -v[24:25]
.LBB220_49:                             ;   in Loop: Header=BB220_41 Depth=1
	s_or_b32 exec_lo, exec_lo, s0
	s_delay_alu instid0(SALU_CYCLE_1)
	s_mov_b32 s1, exec_lo
                                        ; implicit-def: $vgpr32
                                        ; implicit-def: $vgpr22_vgpr23
                                        ; implicit-def: $vgpr24_vgpr25
	s_waitcnt vmcnt(0)
	v_cmpx_ngt_f64_e64 0x41d00000, |v[0:1]|
	s_xor_b32 s1, exec_lo, s1
	s_cbranch_execz .LBB220_51
; %bb.50:                               ;   in Loop: Header=BB220_41 Depth=1
	v_ldexp_f64 v[22:23], |v[0:1]|, 0xffffff80
	v_cmp_le_f64_e64 vcc_lo, 0x7b000000, |v[0:1]|
	v_trig_preop_f64 v[24:25], |v[0:1]|, 0
	v_and_b32_e32 v9, 0x7fffffff, v1
	v_trig_preop_f64 v[26:27], |v[0:1]|, 1
	v_trig_preop_f64 v[38:39], |v[0:1]|, 2
	s_mov_b32 s14, s16
	s_mov_b32 s21, s19
	v_dual_cndmask_b32 v22, v0, v22 :: v_dual_cndmask_b32 v23, v9, v23
	s_delay_alu instid0(VALU_DEP_1) | instskip(NEXT) | instid1(VALU_DEP_4)
	v_mul_f64 v[28:29], v[24:25], v[22:23]
	v_mul_f64 v[32:33], v[26:27], v[22:23]
	s_delay_alu instid0(VALU_DEP_2) | instskip(NEXT) | instid1(VALU_DEP_2)
	v_fma_f64 v[24:25], v[24:25], v[22:23], -v[28:29]
	v_fma_f64 v[26:27], v[26:27], v[22:23], -v[32:33]
	s_delay_alu instid0(VALU_DEP_2) | instskip(NEXT) | instid1(VALU_DEP_1)
	v_add_f64 v[34:35], v[32:33], v[24:25]
	v_add_f64 v[36:37], v[34:35], -v[32:33]
	v_add_f64 v[42:43], v[28:29], v[34:35]
	s_delay_alu instid0(VALU_DEP_2) | instskip(SKIP_1) | instid1(VALU_DEP_3)
	v_add_f64 v[40:41], v[34:35], -v[36:37]
	v_add_f64 v[24:25], v[24:25], -v[36:37]
	v_ldexp_f64 v[36:37], v[42:43], -2
	v_add_f64 v[28:29], v[42:43], -v[28:29]
	s_delay_alu instid0(VALU_DEP_4) | instskip(NEXT) | instid1(VALU_DEP_3)
	v_add_f64 v[32:33], v[32:33], -v[40:41]
	v_cmp_neq_f64_e64 vcc_lo, 0x7ff00000, |v[36:37]|
	s_delay_alu instid0(VALU_DEP_3) | instskip(NEXT) | instid1(VALU_DEP_3)
	v_add_f64 v[28:29], v[34:35], -v[28:29]
	v_add_f64 v[24:25], v[24:25], v[32:33]
	v_fract_f64_e32 v[32:33], v[36:37]
	s_delay_alu instid0(VALU_DEP_1) | instskip(SKIP_1) | instid1(VALU_DEP_3)
	v_cndmask_b32_e32 v32, 0, v32, vcc_lo
	v_mul_f64 v[44:45], v[38:39], v[22:23]
	v_cndmask_b32_e32 v33, 0, v33, vcc_lo
	s_delay_alu instid0(VALU_DEP_1) | instskip(NEXT) | instid1(VALU_DEP_3)
	v_ldexp_f64 v[32:33], v[32:33], 2
	v_add_f64 v[40:41], v[44:45], v[26:27]
	v_fma_f64 v[22:23], v[38:39], v[22:23], -v[44:45]
	s_delay_alu instid0(VALU_DEP_2) | instskip(NEXT) | instid1(VALU_DEP_1)
	v_add_f64 v[34:35], v[40:41], v[24:25]
	v_add_f64 v[36:37], v[28:29], v[34:35]
	v_add_f64 v[46:47], v[34:35], -v[40:41]
	s_delay_alu instid0(VALU_DEP_2) | instskip(NEXT) | instid1(VALU_DEP_2)
	v_add_f64 v[42:43], v[36:37], v[32:33]
	v_add_f64 v[52:53], v[34:35], -v[46:47]
	v_add_f64 v[24:25], v[24:25], -v[46:47]
	;; [unrolled: 1-line block ×3, first 2 shown]
	s_delay_alu instid0(VALU_DEP_4) | instskip(SKIP_1) | instid1(VALU_DEP_3)
	v_cmp_gt_f64_e32 vcc_lo, 0, v[42:43]
	v_add_f64 v[42:43], v[40:41], -v[44:45]
	v_add_f64 v[28:29], v[34:35], -v[28:29]
	v_cndmask_b32_e64 v9, 0, 0x40100000, vcc_lo
	s_delay_alu instid0(VALU_DEP_3) | instskip(SKIP_2) | instid1(VALU_DEP_4)
	v_add_f64 v[50:51], v[40:41], -v[42:43]
	v_add_f64 v[26:27], v[26:27], -v[42:43]
	;; [unrolled: 1-line block ×3, first 2 shown]
	v_add_f64 v[32:33], v[32:33], v[8:9]
	s_delay_alu instid0(VALU_DEP_4) | instskip(NEXT) | instid1(VALU_DEP_3)
	v_add_f64 v[42:43], v[44:45], -v[50:51]
	v_add_f64 v[24:25], v[24:25], v[40:41]
	s_delay_alu instid0(VALU_DEP_3) | instskip(NEXT) | instid1(VALU_DEP_3)
	v_add_f64 v[48:49], v[36:37], v[32:33]
	v_add_f64 v[26:27], v[26:27], v[42:43]
	s_delay_alu instid0(VALU_DEP_2) | instskip(NEXT) | instid1(VALU_DEP_2)
	v_cvt_i32_f64_e32 v9, v[48:49]
	v_add_f64 v[24:25], v[26:27], v[24:25]
	s_delay_alu instid0(VALU_DEP_2) | instskip(NEXT) | instid1(VALU_DEP_2)
	v_cvt_f64_i32_e32 v[46:47], v9
	v_add_f64 v[22:23], v[22:23], v[24:25]
	s_delay_alu instid0(VALU_DEP_2) | instskip(NEXT) | instid1(VALU_DEP_2)
	v_add_f64 v[32:33], v[32:33], -v[46:47]
	v_add_f64 v[22:23], v[28:29], v[22:23]
	s_delay_alu instid0(VALU_DEP_2) | instskip(NEXT) | instid1(VALU_DEP_1)
	v_add_f64 v[26:27], v[36:37], v[32:33]
	v_add_f64 v[24:25], v[26:27], -v[32:33]
	v_cmp_le_f64_e32 vcc_lo, 0.5, v[26:27]
	s_delay_alu instid0(VALU_DEP_2) | instskip(SKIP_2) | instid1(VALU_DEP_3)
	v_add_f64 v[24:25], v[36:37], -v[24:25]
	v_add_co_ci_u32_e64 v32, s0, 0, v9, vcc_lo
	v_cndmask_b32_e64 v9, 0, 0x3ff00000, vcc_lo
	v_add_f64 v[22:23], v[22:23], v[24:25]
	s_delay_alu instid0(VALU_DEP_2) | instskip(NEXT) | instid1(VALU_DEP_1)
	v_add_f64 v[24:25], v[26:27], -v[8:9]
	v_add_f64 v[26:27], v[24:25], v[22:23]
	s_delay_alu instid0(VALU_DEP_1) | instskip(SKIP_1) | instid1(VALU_DEP_2)
	v_mul_f64 v[28:29], v[26:27], s[14:15]
	v_add_f64 v[24:25], v[26:27], -v[24:25]
	v_fma_f64 v[33:34], v[26:27], s[14:15], -v[28:29]
	s_delay_alu instid0(VALU_DEP_2) | instskip(NEXT) | instid1(VALU_DEP_2)
	v_add_f64 v[22:23], v[22:23], -v[24:25]
	v_fma_f64 v[24:25], v[26:27], s[20:21], v[33:34]
	s_delay_alu instid0(VALU_DEP_1) | instskip(NEXT) | instid1(VALU_DEP_1)
	v_fma_f64 v[24:25], v[22:23], s[14:15], v[24:25]
	v_add_f64 v[22:23], v[28:29], v[24:25]
	s_delay_alu instid0(VALU_DEP_1) | instskip(NEXT) | instid1(VALU_DEP_1)
	v_add_f64 v[26:27], v[22:23], -v[28:29]
	v_add_f64 v[24:25], v[24:25], -v[26:27]
.LBB220_51:                             ;   in Loop: Header=BB220_41 Depth=1
	s_and_not1_saveexec_b32 s0, s1
	s_cbranch_execz .LBB220_53
; %bb.52:                               ;   in Loop: Header=BB220_41 Depth=1
	v_mul_f64 v[22:23], |v[0:1]|, s[22:23]
	s_mov_b32 s18, s24
	s_delay_alu instid0(VALU_DEP_1) | instskip(NEXT) | instid1(VALU_DEP_1)
	v_rndne_f64_e32 v[26:27], v[22:23]
	v_fma_f64 v[22:23], v[26:27], s[16:17], |v[0:1]|
	v_mul_f64 v[24:25], v[26:27], s[24:25]
	s_delay_alu instid0(VALU_DEP_2) | instskip(NEXT) | instid1(VALU_DEP_2)
	v_fma_f64 v[32:33], v[26:27], s[24:25], v[22:23]
	v_add_f64 v[28:29], v[22:23], v[24:25]
	s_delay_alu instid0(VALU_DEP_1) | instskip(NEXT) | instid1(VALU_DEP_3)
	v_add_f64 v[22:23], v[22:23], -v[28:29]
	v_add_f64 v[28:29], v[28:29], -v[32:33]
	s_delay_alu instid0(VALU_DEP_2) | instskip(SKIP_1) | instid1(VALU_DEP_2)
	v_add_f64 v[22:23], v[22:23], v[24:25]
	v_fma_f64 v[24:25], v[26:27], s[18:19], v[24:25]
	v_add_f64 v[22:23], v[28:29], v[22:23]
	s_delay_alu instid0(VALU_DEP_1) | instskip(NEXT) | instid1(VALU_DEP_1)
	v_add_f64 v[22:23], v[22:23], -v[24:25]
	v_fma_f64 v[24:25], v[26:27], s[26:27], v[22:23]
	s_delay_alu instid0(VALU_DEP_1) | instskip(NEXT) | instid1(VALU_DEP_1)
	v_add_f64 v[22:23], v[32:33], v[24:25]
	v_add_f64 v[28:29], v[22:23], -v[32:33]
	v_cvt_i32_f64_e32 v32, v[26:27]
	s_delay_alu instid0(VALU_DEP_2)
	v_add_f64 v[24:25], v[24:25], -v[28:29]
.LBB220_53:                             ;   in Loop: Header=BB220_41 Depth=1
	s_or_b32 exec_lo, exec_lo, s0
	s_delay_alu instid0(SALU_CYCLE_1)
	s_mov_b32 s1, exec_lo
                                        ; implicit-def: $vgpr33
                                        ; implicit-def: $vgpr26_vgpr27
                                        ; implicit-def: $vgpr28_vgpr29
	v_cmpx_ngt_f64_e64 0x41d00000, |v[2:3]|
	s_xor_b32 s1, exec_lo, s1
	s_cbranch_execz .LBB220_55
; %bb.54:                               ;   in Loop: Header=BB220_41 Depth=1
	v_ldexp_f64 v[26:27], |v[2:3]|, 0xffffff80
	v_cmp_le_f64_e64 vcc_lo, 0x7b000000, |v[2:3]|
	v_trig_preop_f64 v[28:29], |v[2:3]|, 0
	v_and_b32_e32 v9, 0x7fffffff, v3
	v_trig_preop_f64 v[33:34], |v[2:3]|, 1
	v_trig_preop_f64 v[43:44], |v[2:3]|, 2
	s_mov_b32 s14, s16
	s_mov_b32 s21, s19
	v_dual_cndmask_b32 v26, v2, v26 :: v_dual_cndmask_b32 v27, v9, v27
	s_delay_alu instid0(VALU_DEP_1) | instskip(NEXT) | instid1(VALU_DEP_4)
	v_mul_f64 v[35:36], v[28:29], v[26:27]
	v_mul_f64 v[37:38], v[33:34], v[26:27]
	s_delay_alu instid0(VALU_DEP_2) | instskip(NEXT) | instid1(VALU_DEP_2)
	v_fma_f64 v[28:29], v[28:29], v[26:27], -v[35:36]
	v_fma_f64 v[33:34], v[33:34], v[26:27], -v[37:38]
	s_delay_alu instid0(VALU_DEP_2) | instskip(NEXT) | instid1(VALU_DEP_1)
	v_add_f64 v[39:40], v[37:38], v[28:29]
	v_add_f64 v[41:42], v[39:40], -v[37:38]
	v_add_f64 v[47:48], v[35:36], v[39:40]
	s_delay_alu instid0(VALU_DEP_2) | instskip(SKIP_1) | instid1(VALU_DEP_3)
	v_add_f64 v[45:46], v[39:40], -v[41:42]
	v_add_f64 v[28:29], v[28:29], -v[41:42]
	v_ldexp_f64 v[41:42], v[47:48], -2
	v_add_f64 v[35:36], v[47:48], -v[35:36]
	s_delay_alu instid0(VALU_DEP_4) | instskip(NEXT) | instid1(VALU_DEP_3)
	v_add_f64 v[37:38], v[37:38], -v[45:46]
	v_cmp_neq_f64_e64 vcc_lo, 0x7ff00000, |v[41:42]|
	s_delay_alu instid0(VALU_DEP_3) | instskip(NEXT) | instid1(VALU_DEP_3)
	v_add_f64 v[35:36], v[39:40], -v[35:36]
	v_add_f64 v[28:29], v[28:29], v[37:38]
	v_fract_f64_e32 v[37:38], v[41:42]
	s_delay_alu instid0(VALU_DEP_1) | instskip(SKIP_1) | instid1(VALU_DEP_3)
	v_cndmask_b32_e32 v38, 0, v38, vcc_lo
	v_mul_f64 v[49:50], v[43:44], v[26:27]
	v_cndmask_b32_e32 v37, 0, v37, vcc_lo
	s_delay_alu instid0(VALU_DEP_1) | instskip(NEXT) | instid1(VALU_DEP_3)
	v_ldexp_f64 v[37:38], v[37:38], 2
	v_add_f64 v[45:46], v[49:50], v[33:34]
	v_fma_f64 v[26:27], v[43:44], v[26:27], -v[49:50]
	s_delay_alu instid0(VALU_DEP_2) | instskip(NEXT) | instid1(VALU_DEP_1)
	v_add_f64 v[39:40], v[45:46], v[28:29]
	v_add_f64 v[41:42], v[35:36], v[39:40]
	v_add_f64 v[51:52], v[39:40], -v[45:46]
	s_delay_alu instid0(VALU_DEP_2) | instskip(NEXT) | instid1(VALU_DEP_2)
	v_add_f64 v[47:48], v[41:42], v[37:38]
	v_add_f64 v[57:58], v[39:40], -v[51:52]
	v_add_f64 v[28:29], v[28:29], -v[51:52]
	;; [unrolled: 1-line block ×3, first 2 shown]
	s_delay_alu instid0(VALU_DEP_4) | instskip(SKIP_2) | instid1(VALU_DEP_2)
	v_cmp_gt_f64_e32 vcc_lo, 0, v[47:48]
	v_add_f64 v[47:48], v[45:46], -v[49:50]
	v_cndmask_b32_e64 v9, 0, 0x40100000, vcc_lo
	v_add_f64 v[55:56], v[45:46], -v[47:48]
	v_add_f64 v[33:34], v[33:34], -v[47:48]
	;; [unrolled: 1-line block ×3, first 2 shown]
	s_delay_alu instid0(VALU_DEP_4) | instskip(NEXT) | instid1(VALU_DEP_4)
	v_add_f64 v[37:38], v[37:38], v[8:9]
	v_add_f64 v[47:48], v[49:50], -v[55:56]
	s_delay_alu instid0(VALU_DEP_3) | instskip(NEXT) | instid1(VALU_DEP_3)
	v_add_f64 v[28:29], v[28:29], v[45:46]
	v_add_f64 v[53:54], v[41:42], v[37:38]
	s_delay_alu instid0(VALU_DEP_3) | instskip(NEXT) | instid1(VALU_DEP_2)
	v_add_f64 v[33:34], v[33:34], v[47:48]
	v_cvt_i32_f64_e32 v9, v[53:54]
	s_delay_alu instid0(VALU_DEP_2) | instskip(SKIP_1) | instid1(VALU_DEP_3)
	v_add_f64 v[28:29], v[33:34], v[28:29]
	v_add_f64 v[33:34], v[39:40], -v[35:36]
	v_cvt_f64_i32_e32 v[51:52], v9
	s_delay_alu instid0(VALU_DEP_3) | instskip(NEXT) | instid1(VALU_DEP_2)
	v_add_f64 v[26:27], v[26:27], v[28:29]
	v_add_f64 v[37:38], v[37:38], -v[51:52]
	s_delay_alu instid0(VALU_DEP_2) | instskip(NEXT) | instid1(VALU_DEP_2)
	v_add_f64 v[26:27], v[33:34], v[26:27]
	v_add_f64 v[43:44], v[41:42], v[37:38]
	s_delay_alu instid0(VALU_DEP_1) | instskip(SKIP_1) | instid1(VALU_DEP_2)
	v_add_f64 v[28:29], v[43:44], -v[37:38]
	v_cmp_le_f64_e32 vcc_lo, 0.5, v[43:44]
	v_add_f64 v[28:29], v[41:42], -v[28:29]
	v_add_co_ci_u32_e64 v33, s0, 0, v9, vcc_lo
	v_cndmask_b32_e64 v9, 0, 0x3ff00000, vcc_lo
	s_delay_alu instid0(VALU_DEP_3) | instskip(NEXT) | instid1(VALU_DEP_2)
	v_add_f64 v[26:27], v[26:27], v[28:29]
	v_add_f64 v[28:29], v[43:44], -v[8:9]
	s_delay_alu instid0(VALU_DEP_1) | instskip(NEXT) | instid1(VALU_DEP_1)
	v_add_f64 v[34:35], v[28:29], v[26:27]
	v_mul_f64 v[36:37], v[34:35], s[14:15]
	v_add_f64 v[28:29], v[34:35], -v[28:29]
	s_delay_alu instid0(VALU_DEP_2) | instskip(NEXT) | instid1(VALU_DEP_2)
	v_fma_f64 v[38:39], v[34:35], s[14:15], -v[36:37]
	v_add_f64 v[26:27], v[26:27], -v[28:29]
	s_delay_alu instid0(VALU_DEP_2) | instskip(NEXT) | instid1(VALU_DEP_1)
	v_fma_f64 v[28:29], v[34:35], s[20:21], v[38:39]
	v_fma_f64 v[28:29], v[26:27], s[14:15], v[28:29]
	s_delay_alu instid0(VALU_DEP_1) | instskip(NEXT) | instid1(VALU_DEP_1)
	v_add_f64 v[26:27], v[36:37], v[28:29]
	v_add_f64 v[34:35], v[26:27], -v[36:37]
	s_delay_alu instid0(VALU_DEP_1)
	v_add_f64 v[28:29], v[28:29], -v[34:35]
.LBB220_55:                             ;   in Loop: Header=BB220_41 Depth=1
	s_and_not1_saveexec_b32 s0, s1
	s_cbranch_execz .LBB220_40
; %bb.56:                               ;   in Loop: Header=BB220_41 Depth=1
	v_mul_f64 v[26:27], |v[2:3]|, s[22:23]
	s_mov_b32 s18, s24
	s_delay_alu instid0(VALU_DEP_1) | instskip(NEXT) | instid1(VALU_DEP_1)
	v_rndne_f64_e32 v[33:34], v[26:27]
	v_fma_f64 v[26:27], v[33:34], s[16:17], |v[2:3]|
	v_mul_f64 v[28:29], v[33:34], s[24:25]
	s_delay_alu instid0(VALU_DEP_2) | instskip(NEXT) | instid1(VALU_DEP_2)
	v_fma_f64 v[37:38], v[33:34], s[24:25], v[26:27]
	v_add_f64 v[35:36], v[26:27], v[28:29]
	s_delay_alu instid0(VALU_DEP_1) | instskip(NEXT) | instid1(VALU_DEP_3)
	v_add_f64 v[26:27], v[26:27], -v[35:36]
	v_add_f64 v[35:36], v[35:36], -v[37:38]
	s_delay_alu instid0(VALU_DEP_2) | instskip(SKIP_1) | instid1(VALU_DEP_2)
	v_add_f64 v[26:27], v[26:27], v[28:29]
	v_fma_f64 v[28:29], v[33:34], s[18:19], v[28:29]
	v_add_f64 v[26:27], v[35:36], v[26:27]
	s_delay_alu instid0(VALU_DEP_1) | instskip(NEXT) | instid1(VALU_DEP_1)
	v_add_f64 v[26:27], v[26:27], -v[28:29]
	v_fma_f64 v[28:29], v[33:34], s[26:27], v[26:27]
	v_cvt_i32_f64_e32 v33, v[33:34]
	s_delay_alu instid0(VALU_DEP_2) | instskip(NEXT) | instid1(VALU_DEP_1)
	v_add_f64 v[26:27], v[37:38], v[28:29]
	v_add_f64 v[35:36], v[26:27], -v[37:38]
	s_delay_alu instid0(VALU_DEP_1)
	v_add_f64 v[28:29], v[28:29], -v[35:36]
	s_branch .LBB220_40
.LBB220_57:
	s_nop 0
	s_sendmsg sendmsg(MSG_DEALLOC_VGPRS)
	s_endpgm
	.section	.rodata,"a",@progbits
	.p2align	6, 0x0
	.amdhsa_kernel _ZN2at6native12_GLOBAL__N_125multi_tensor_apply_kernelINS1_18TensorListMetadataILi1EEENS1_14UnaryOpFunctorIdLi1ELi1ELi0EEEJNS0_3CosIdEEEEEvT_T0_DpT1_
		.amdhsa_group_segment_fixed_size 0
		.amdhsa_private_segment_fixed_size 0
		.amdhsa_kernarg_size 3632
		.amdhsa_user_sgpr_count 15
		.amdhsa_user_sgpr_dispatch_ptr 0
		.amdhsa_user_sgpr_queue_ptr 0
		.amdhsa_user_sgpr_kernarg_segment_ptr 1
		.amdhsa_user_sgpr_dispatch_id 0
		.amdhsa_user_sgpr_private_segment_size 0
		.amdhsa_wavefront_size32 1
		.amdhsa_uses_dynamic_stack 0
		.amdhsa_enable_private_segment 0
		.amdhsa_system_sgpr_workgroup_id_x 1
		.amdhsa_system_sgpr_workgroup_id_y 0
		.amdhsa_system_sgpr_workgroup_id_z 0
		.amdhsa_system_sgpr_workgroup_info 0
		.amdhsa_system_vgpr_workitem_id 0
		.amdhsa_next_free_vgpr 94
		.amdhsa_next_free_sgpr 59
		.amdhsa_reserve_vcc 1
		.amdhsa_float_round_mode_32 0
		.amdhsa_float_round_mode_16_64 0
		.amdhsa_float_denorm_mode_32 3
		.amdhsa_float_denorm_mode_16_64 3
		.amdhsa_dx10_clamp 1
		.amdhsa_ieee_mode 1
		.amdhsa_fp16_overflow 0
		.amdhsa_workgroup_processor_mode 1
		.amdhsa_memory_ordered 1
		.amdhsa_forward_progress 0
		.amdhsa_shared_vgpr_count 0
		.amdhsa_exception_fp_ieee_invalid_op 0
		.amdhsa_exception_fp_denorm_src 0
		.amdhsa_exception_fp_ieee_div_zero 0
		.amdhsa_exception_fp_ieee_overflow 0
		.amdhsa_exception_fp_ieee_underflow 0
		.amdhsa_exception_fp_ieee_inexact 0
		.amdhsa_exception_int_div_zero 0
	.end_amdhsa_kernel
	.section	.text._ZN2at6native12_GLOBAL__N_125multi_tensor_apply_kernelINS1_18TensorListMetadataILi1EEENS1_14UnaryOpFunctorIdLi1ELi1ELi0EEEJNS0_3CosIdEEEEEvT_T0_DpT1_,"axG",@progbits,_ZN2at6native12_GLOBAL__N_125multi_tensor_apply_kernelINS1_18TensorListMetadataILi1EEENS1_14UnaryOpFunctorIdLi1ELi1ELi0EEEJNS0_3CosIdEEEEEvT_T0_DpT1_,comdat
.Lfunc_end220:
	.size	_ZN2at6native12_GLOBAL__N_125multi_tensor_apply_kernelINS1_18TensorListMetadataILi1EEENS1_14UnaryOpFunctorIdLi1ELi1ELi0EEEJNS0_3CosIdEEEEEvT_T0_DpT1_, .Lfunc_end220-_ZN2at6native12_GLOBAL__N_125multi_tensor_apply_kernelINS1_18TensorListMetadataILi1EEENS1_14UnaryOpFunctorIdLi1ELi1ELi0EEEJNS0_3CosIdEEEEEvT_T0_DpT1_
                                        ; -- End function
	.section	.AMDGPU.csdata,"",@progbits
; Kernel info:
; codeLenInByte = 11172
; NumSgprs: 61
; NumVgprs: 94
; ScratchSize: 0
; MemoryBound: 1
; FloatMode: 240
; IeeeMode: 1
; LDSByteSize: 0 bytes/workgroup (compile time only)
; SGPRBlocks: 7
; VGPRBlocks: 11
; NumSGPRsForWavesPerEU: 61
; NumVGPRsForWavesPerEU: 94
; Occupancy: 16
; WaveLimiterHint : 0
; COMPUTE_PGM_RSRC2:SCRATCH_EN: 0
; COMPUTE_PGM_RSRC2:USER_SGPR: 15
; COMPUTE_PGM_RSRC2:TRAP_HANDLER: 0
; COMPUTE_PGM_RSRC2:TGID_X_EN: 1
; COMPUTE_PGM_RSRC2:TGID_Y_EN: 0
; COMPUTE_PGM_RSRC2:TGID_Z_EN: 0
; COMPUTE_PGM_RSRC2:TIDIG_COMP_CNT: 0
	.section	.text._ZN2at6native12_GLOBAL__N_125multi_tensor_apply_kernelINS1_18TensorListMetadataILi1EEENS1_14UnaryOpFunctorIfLi1ELi1ELi0EEEJNS0_3CosIfEEEEEvT_T0_DpT1_,"axG",@progbits,_ZN2at6native12_GLOBAL__N_125multi_tensor_apply_kernelINS1_18TensorListMetadataILi1EEENS1_14UnaryOpFunctorIfLi1ELi1ELi0EEEJNS0_3CosIfEEEEEvT_T0_DpT1_,comdat
	.globl	_ZN2at6native12_GLOBAL__N_125multi_tensor_apply_kernelINS1_18TensorListMetadataILi1EEENS1_14UnaryOpFunctorIfLi1ELi1ELi0EEEJNS0_3CosIfEEEEEvT_T0_DpT1_ ; -- Begin function _ZN2at6native12_GLOBAL__N_125multi_tensor_apply_kernelINS1_18TensorListMetadataILi1EEENS1_14UnaryOpFunctorIfLi1ELi1ELi0EEEJNS0_3CosIfEEEEEvT_T0_DpT1_
	.p2align	8
	.type	_ZN2at6native12_GLOBAL__N_125multi_tensor_apply_kernelINS1_18TensorListMetadataILi1EEENS1_14UnaryOpFunctorIfLi1ELi1ELi0EEEJNS0_3CosIfEEEEEvT_T0_DpT1_,@function
_ZN2at6native12_GLOBAL__N_125multi_tensor_apply_kernelINS1_18TensorListMetadataILi1EEENS1_14UnaryOpFunctorIfLi1ELi1ELi0EEEJNS0_3CosIfEEEEEvT_T0_DpT1_: ; @_ZN2at6native12_GLOBAL__N_125multi_tensor_apply_kernelINS1_18TensorListMetadataILi1EEENS1_14UnaryOpFunctorIfLi1ELi1ELi0EEEJNS0_3CosIfEEEEEvT_T0_DpT1_
; %bb.0:
	v_mov_b32_e32 v1, s15
	s_add_u32 s2, s0, s15
	s_mul_hi_u32 s3, s15, 3
	s_mul_i32 s15, s15, 3
	s_addc_u32 s4, s1, 0
	global_load_u8 v1, v1, s[0:1] offset:1760
	s_add_u32 s2, s2, s15
	s_addc_u32 s3, s4, s3
	s_mov_b32 s7, 0
	s_load_b32 s2, s[2:3], 0x820
	s_waitcnt vmcnt(0)
	v_readfirstlane_b32 s5, v1
	s_delay_alu instid0(VALU_DEP_1)
	s_lshl_b32 s3, s5, 3
	s_clause 0x1
	s_load_b64 s[12:13], s[0:1], s3 offset:0x0
	s_load_b64 s[4:5], s[0:1], s3 offset:0x370
	s_waitcnt lgkmcnt(0)
	s_ashr_i32 s3, s2, 31
	s_delay_alu instid0(SALU_CYCLE_1)
	s_lshl_b64 s[14:15], s[2:3], 18
	s_lshl_b64 s[2:3], s[2:3], 16
	s_and_b32 s6, s12, 15
	s_sub_u32 s10, s4, s2
	s_subb_u32 s11, s5, s3
	s_and_b32 s2, s4, 3
	s_mov_b32 s3, s7
	s_delay_alu instid0(SALU_CYCLE_1) | instskip(NEXT) | instid1(SALU_CYCLE_1)
	s_or_b64 s[2:3], s[6:7], s[2:3]
	s_cmp_eq_u64 s[2:3], 0
	s_cbranch_scc1 .LBB221_37
; %bb.1:
	v_cmp_lt_i64_e64 s2, s[10:11], 1
	s_delay_alu instid0(VALU_DEP_1)
	s_and_b32 vcc_lo, exec_lo, s2
	s_cbranch_vccnz .LBB221_36
; %bb.2:
	s_load_b32 s2, s[0:1], 0xd3c
	v_cmp_gt_u64_e64 s3, 0x10000, s[10:11]
	v_dual_mov_b32 v2, 0 :: v_dual_lshlrev_b32 v1, 2, v0
	s_mov_b64 s[18:19], 0
	s_mov_b32 s23, 0x7fffff
	s_mov_b32 s24, 0xb94c1982
	s_mov_b32 s25, 0x37d75334
	s_waitcnt lgkmcnt(0)
	s_and_b32 s2, s2, 0xffff
	s_and_b32 s3, s3, exec_lo
	v_add_co_u32 v7, s5, v0, s2
	s_cselect_b32 s17, s11, 0
	s_cselect_b32 s16, s10, 0x10000
	s_lshl_b32 s3, s2, 1
	s_lshl_b32 s9, s2, 2
	s_add_u32 s6, s12, s14
	s_mul_i32 s4, s2, 3
	s_mul_i32 s20, s2, 12
	s_addc_u32 s7, s13, s15
	s_lshl_b32 s21, s2, 4
	s_lshl_b32 s22, s2, 3
	v_add_co_u32 v3, s2, s6, v1
	v_lshlrev_b32_e32 v1, 2, v7
	v_add_co_ci_u32_e64 v4, null, s7, 0, s2
	v_add_co_u32 v11, s2, s3, v0
	v_add_co_u32 v8, s4, s4, v0
	v_add_co_ci_u32_e64 v12, null, 0, 0, s2
	v_add_co_u32 v5, s2, s6, v1
	v_add_co_ci_u32_e64 v9, null, 0, 0, s4
	v_add_co_ci_u32_e64 v10, null, 0, 0, s5
	;; [unrolled: 1-line block ×3, first 2 shown]
	s_branch .LBB221_4
.LBB221_3:                              ;   in Loop: Header=BB221_4 Depth=1
	s_or_b32 exec_lo, exec_lo, s2
	s_add_u32 s18, s18, s9
	s_addc_u32 s19, s19, 0
	v_add_co_u32 v3, vcc_lo, v3, s21
	v_cmp_ge_i64_e64 s2, s[18:19], s[10:11]
	v_cmp_lt_u64_e64 s3, 0xffff, s[18:19]
	v_add_co_ci_u32_e32 v4, vcc_lo, 0, v4, vcc_lo
	v_add_co_u32 v5, vcc_lo, v5, s21
	v_add_co_ci_u32_e32 v6, vcc_lo, 0, v6, vcc_lo
	s_delay_alu instid0(VALU_DEP_4) | instskip(NEXT) | instid1(SALU_CYCLE_1)
	s_or_b32 s2, s2, s3
	s_and_b32 vcc_lo, exec_lo, s2
	s_cbranch_vccnz .LBB221_36
.LBB221_4:                              ; =>This Inner Loop Header: Depth=1
	v_add_co_u32 v13, s2, v0, s18
	s_delay_alu instid0(VALU_DEP_1) | instskip(SKIP_1) | instid1(VALU_DEP_2)
	v_add_co_ci_u32_e64 v14, null, 0, s19, s2
	v_mov_b32_e32 v16, 0
	v_cmp_gt_u64_e64 s4, s[16:17], v[13:14]
	s_delay_alu instid0(VALU_DEP_1)
	s_and_saveexec_b32 s2, s4
	s_cbranch_execz .LBB221_6
; %bb.5:                                ;   in Loop: Header=BB221_4 Depth=1
	global_load_b32 v16, v[3:4], off
.LBB221_6:                              ;   in Loop: Header=BB221_4 Depth=1
	s_or_b32 exec_lo, exec_lo, s2
	v_add_co_u32 v13, vcc_lo, v7, s18
	v_add_co_ci_u32_e32 v14, vcc_lo, s19, v10, vcc_lo
	v_mov_b32_e32 v15, 0
	s_delay_alu instid0(VALU_DEP_2) | instskip(NEXT) | instid1(VALU_DEP_1)
	v_cmp_gt_u64_e64 s3, s[16:17], v[13:14]
	s_and_saveexec_b32 s2, s3
	s_cbranch_execz .LBB221_8
; %bb.7:                                ;   in Loop: Header=BB221_4 Depth=1
	global_load_b32 v15, v[5:6], off
.LBB221_8:                              ;   in Loop: Header=BB221_4 Depth=1
	s_or_b32 exec_lo, exec_lo, s2
	v_add_co_u32 v13, vcc_lo, v11, s18
	v_add_co_ci_u32_e32 v14, vcc_lo, s19, v12, vcc_lo
	s_delay_alu instid0(VALU_DEP_1) | instskip(SKIP_1) | instid1(VALU_DEP_2)
	v_cmp_gt_u64_e64 s2, s[16:17], v[13:14]
	v_dual_mov_b32 v13, 0 :: v_dual_mov_b32 v14, 0
	s_and_saveexec_b32 s5, s2
	s_cbranch_execz .LBB221_10
; %bb.9:                                ;   in Loop: Header=BB221_4 Depth=1
	v_add_co_u32 v17, vcc_lo, v3, s22
	v_add_co_ci_u32_e32 v18, vcc_lo, 0, v4, vcc_lo
	global_load_b32 v14, v[17:18], off
.LBB221_10:                             ;   in Loop: Header=BB221_4 Depth=1
	s_or_b32 exec_lo, exec_lo, s5
	v_add_co_u32 v17, vcc_lo, v8, s18
	v_add_co_ci_u32_e32 v18, vcc_lo, s19, v9, vcc_lo
	s_delay_alu instid0(VALU_DEP_1)
	v_cmp_gt_u64_e32 vcc_lo, s[16:17], v[17:18]
	s_and_saveexec_b32 s6, vcc_lo
	s_cbranch_execz .LBB221_12
; %bb.11:                               ;   in Loop: Header=BB221_4 Depth=1
	v_add_co_u32 v17, s5, v3, s20
	s_delay_alu instid0(VALU_DEP_1)
	v_add_co_ci_u32_e64 v18, s5, 0, v4, s5
	global_load_b32 v13, v[17:18], off
.LBB221_12:                             ;   in Loop: Header=BB221_4 Depth=1
	s_or_b32 exec_lo, exec_lo, s6
                                        ; implicit-def: $vgpr18
                                        ; implicit-def: $vgpr17
	s_delay_alu instid0(SALU_CYCLE_1)
	s_mov_b32 s6, exec_lo
	s_waitcnt vmcnt(0)
	v_cmpx_ngt_f32_e64 0x48000000, |v16|
	s_xor_b32 s26, exec_lo, s6
	s_cbranch_execz .LBB221_14
; %bb.13:                               ;   in Loop: Header=BB221_4 Depth=1
	v_and_b32_e32 v22, 0x7fffffff, v16
	s_delay_alu instid0(VALU_DEP_1) | instskip(NEXT) | instid1(VALU_DEP_1)
	v_and_or_b32 v25, v22, s23, 0x800000
	v_mad_u64_u32 v[17:18], null, 0xfe5163ab, v25, 0
	s_delay_alu instid0(VALU_DEP_1) | instskip(SKIP_1) | instid1(VALU_DEP_2)
	v_mov_b32_e32 v1, v18
	v_lshrrev_b32_e32 v22, 23, v22
	v_mad_u64_u32 v[18:19], null, 0x3c439041, v25, v[1:2]
	s_delay_alu instid0(VALU_DEP_2) | instskip(NEXT) | instid1(VALU_DEP_1)
	v_add_nc_u32_e32 v23, 0xffffff88, v22
	v_cmp_lt_u32_e64 s5, 63, v23
	s_delay_alu instid0(VALU_DEP_1) | instskip(NEXT) | instid1(VALU_DEP_1)
	v_cndmask_b32_e64 v24, 0, 0xffffffc0, s5
	v_dual_mov_b32 v1, v19 :: v_dual_add_nc_u32 v24, v24, v23
	s_delay_alu instid0(VALU_DEP_1) | instskip(NEXT) | instid1(VALU_DEP_2)
	v_mad_u64_u32 v[19:20], null, 0xdb629599, v25, v[1:2]
	v_cmp_lt_u32_e64 s6, 31, v24
	s_delay_alu instid0(VALU_DEP_2) | instskip(NEXT) | instid1(VALU_DEP_2)
	v_cndmask_b32_e64 v17, v19, v17, s5
	v_cndmask_b32_e64 v26, 0, 0xffffffe0, s6
	s_delay_alu instid0(VALU_DEP_1) | instskip(NEXT) | instid1(VALU_DEP_1)
	v_dual_mov_b32 v1, v20 :: v_dual_add_nc_u32 v26, v26, v24
	v_mad_u64_u32 v[20:21], null, 0xf534ddc0, v25, v[1:2]
	s_delay_alu instid0(VALU_DEP_2) | instskip(NEXT) | instid1(VALU_DEP_2)
	v_cmp_lt_u32_e64 s7, 31, v26
	v_mov_b32_e32 v1, v21
	s_delay_alu instid0(VALU_DEP_3) | instskip(NEXT) | instid1(VALU_DEP_2)
	v_cndmask_b32_e64 v18, v20, v18, s5
	v_mad_u64_u32 v[21:22], null, 0xfc2757d1, v25, v[1:2]
	s_delay_alu instid0(VALU_DEP_2) | instskip(NEXT) | instid1(VALU_DEP_2)
	v_cndmask_b32_e64 v17, v18, v17, s6
	v_mov_b32_e32 v1, v22
	s_delay_alu instid0(VALU_DEP_1) | instskip(NEXT) | instid1(VALU_DEP_1)
	v_mad_u64_u32 v[22:23], null, 0x4e441529, v25, v[1:2]
	v_mov_b32_e32 v1, v23
	s_delay_alu instid0(VALU_DEP_1) | instskip(SKIP_1) | instid1(VALU_DEP_4)
	v_mad_u64_u32 v[23:24], null, 0xa2f9836e, v25, v[1:2]
	v_cndmask_b32_e64 v1, 0, 0xffffffe0, s7
	v_cndmask_b32_e64 v25, v22, v20, s5
	s_delay_alu instid0(VALU_DEP_2) | instskip(NEXT) | instid1(VALU_DEP_4)
	v_add_nc_u32_e32 v1, v1, v26
	v_cndmask_b32_e64 v23, v23, v21, s5
	v_cndmask_b32_e64 v22, v24, v22, s5
	;; [unrolled: 1-line block ×3, first 2 shown]
	s_delay_alu instid0(VALU_DEP_4) | instskip(NEXT) | instid1(VALU_DEP_4)
	v_sub_nc_u32_e32 v24, 32, v1
	v_cndmask_b32_e64 v20, v23, v25, s6
	s_delay_alu instid0(VALU_DEP_4) | instskip(NEXT) | instid1(VALU_DEP_4)
	v_cndmask_b32_e64 v22, v22, v23, s6
	v_cndmask_b32_e64 v23, v25, v21, s6
	;; [unrolled: 1-line block ×3, first 2 shown]
	v_cmp_eq_u32_e64 s8, 0, v1
	s_delay_alu instid0(VALU_DEP_4) | instskip(NEXT) | instid1(VALU_DEP_4)
	v_cndmask_b32_e64 v22, v22, v20, s7
	v_cndmask_b32_e64 v20, v20, v23, s7
	s_delay_alu instid0(VALU_DEP_4) | instskip(SKIP_1) | instid1(VALU_DEP_3)
	v_cndmask_b32_e64 v23, v23, v21, s7
	v_cndmask_b32_e64 v17, v21, v17, s7
	v_alignbit_b32 v25, v22, v20, v24
	s_delay_alu instid0(VALU_DEP_3) | instskip(NEXT) | instid1(VALU_DEP_3)
	v_alignbit_b32 v26, v20, v23, v24
	v_alignbit_b32 v24, v23, v17, v24
	s_delay_alu instid0(VALU_DEP_3) | instskip(NEXT) | instid1(VALU_DEP_3)
	v_cndmask_b32_e64 v1, v25, v22, s8
	v_cndmask_b32_e64 v19, v26, v20, s8
	s_delay_alu instid0(VALU_DEP_3) | instskip(NEXT) | instid1(VALU_DEP_3)
	v_cndmask_b32_e64 v23, v24, v23, s8
	v_bfe_u32 v20, v1, 29, 1
	s_delay_alu instid0(VALU_DEP_3) | instskip(NEXT) | instid1(VALU_DEP_3)
	v_alignbit_b32 v18, v1, v19, 30
	v_alignbit_b32 v19, v19, v23, 30
	;; [unrolled: 1-line block ×3, first 2 shown]
	s_delay_alu instid0(VALU_DEP_4) | instskip(NEXT) | instid1(VALU_DEP_1)
	v_sub_nc_u32_e32 v22, 0, v20
	v_xor_b32_e32 v21, v18, v22
	v_cmp_ne_u32_e64 s5, v18, v22
	v_xor_b32_e32 v19, v19, v22
	v_xor_b32_e32 v17, v17, v22
	s_delay_alu instid0(VALU_DEP_4) | instskip(NEXT) | instid1(VALU_DEP_1)
	v_clz_i32_u32_e32 v25, v21
	v_add_nc_u32_e32 v24, 1, v25
	s_delay_alu instid0(VALU_DEP_1) | instskip(NEXT) | instid1(VALU_DEP_1)
	v_cndmask_b32_e64 v18, 33, v24, s5
	v_sub_nc_u32_e32 v23, 32, v18
	s_delay_alu instid0(VALU_DEP_1) | instskip(SKIP_3) | instid1(VALU_DEP_3)
	v_alignbit_b32 v21, v21, v19, v23
	v_alignbit_b32 v17, v19, v17, v23
	v_lshrrev_b32_e32 v19, 29, v1
	v_lshrrev_b32_e32 v1, 30, v1
	v_alignbit_b32 v22, v21, v17, 9
	s_delay_alu instid0(VALU_DEP_3) | instskip(SKIP_1) | instid1(VALU_DEP_3)
	v_lshlrev_b32_e32 v19, 31, v19
	v_alignbit_b32 v21, v18, v21, 9
	v_clz_i32_u32_e32 v23, v22
	s_delay_alu instid0(VALU_DEP_2) | instskip(SKIP_1) | instid1(VALU_DEP_3)
	v_or_b32_e32 v21, v21, v19
	v_or_b32_e32 v19, 0x33800000, v19
	v_min_u32_e32 v23, 32, v23
	s_delay_alu instid0(VALU_DEP_3) | instskip(NEXT) | instid1(VALU_DEP_2)
	v_xor_b32_e32 v21, 1.0, v21
	v_sub_nc_u32_e32 v24, 31, v23
	v_add_lshl_u32 v18, v23, v18, 23
	s_delay_alu instid0(VALU_DEP_3) | instskip(NEXT) | instid1(VALU_DEP_3)
	v_mul_f32_e32 v23, 0x3fc90fda, v21
	v_alignbit_b32 v17, v22, v17, v24
	s_delay_alu instid0(VALU_DEP_3) | instskip(NEXT) | instid1(VALU_DEP_3)
	v_sub_nc_u32_e32 v18, v19, v18
	v_fma_f32 v19, 0x3fc90fda, v21, -v23
	s_delay_alu instid0(VALU_DEP_3) | instskip(NEXT) | instid1(VALU_DEP_2)
	v_lshrrev_b32_e32 v17, 9, v17
	v_fmac_f32_e32 v19, 0x33a22168, v21
	s_delay_alu instid0(VALU_DEP_2) | instskip(SKIP_1) | instid1(VALU_DEP_2)
	v_or_b32_e32 v17, v18, v17
	v_add_nc_u32_e32 v18, v20, v1
	v_fmac_f32_e32 v19, 0x3fc90fda, v17
	s_delay_alu instid0(VALU_DEP_1)
	v_add_f32_e32 v17, v23, v19
.LBB221_14:                             ;   in Loop: Header=BB221_4 Depth=1
	s_and_not1_saveexec_b32 s5, s26
; %bb.15:                               ;   in Loop: Header=BB221_4 Depth=1
	v_mul_f32_e64 v1, 0x3f22f983, |v16|
	s_delay_alu instid0(VALU_DEP_1) | instskip(NEXT) | instid1(VALU_DEP_1)
	v_rndne_f32_e32 v1, v1
	v_fma_f32 v17, 0xbfc90fda, v1, |v16|
	v_cvt_i32_f32_e32 v18, v1
	s_delay_alu instid0(VALU_DEP_2) | instskip(NEXT) | instid1(VALU_DEP_1)
	v_fmac_f32_e32 v17, 0xb3a22168, v1
	v_fmac_f32_e32 v17, 0xa7c234c4, v1
; %bb.16:                               ;   in Loop: Header=BB221_4 Depth=1
	s_or_b32 exec_lo, exec_lo, s5
                                        ; implicit-def: $vgpr20
                                        ; implicit-def: $vgpr19
	s_delay_alu instid0(SALU_CYCLE_1)
	s_mov_b32 s6, exec_lo
	v_cmpx_ngt_f32_e64 0x48000000, |v15|
	s_xor_b32 s26, exec_lo, s6
	s_cbranch_execz .LBB221_18
; %bb.17:                               ;   in Loop: Header=BB221_4 Depth=1
	v_and_b32_e32 v24, 0x7fffffff, v15
	s_delay_alu instid0(VALU_DEP_1) | instskip(NEXT) | instid1(VALU_DEP_1)
	v_and_or_b32 v27, v24, s23, 0x800000
	v_mad_u64_u32 v[19:20], null, 0xfe5163ab, v27, 0
	s_delay_alu instid0(VALU_DEP_1) | instskip(SKIP_1) | instid1(VALU_DEP_2)
	v_mov_b32_e32 v1, v20
	v_lshrrev_b32_e32 v24, 23, v24
	v_mad_u64_u32 v[20:21], null, 0x3c439041, v27, v[1:2]
	s_delay_alu instid0(VALU_DEP_2) | instskip(NEXT) | instid1(VALU_DEP_1)
	v_add_nc_u32_e32 v25, 0xffffff88, v24
	v_cmp_lt_u32_e64 s5, 63, v25
	s_delay_alu instid0(VALU_DEP_1) | instskip(NEXT) | instid1(VALU_DEP_1)
	v_cndmask_b32_e64 v26, 0, 0xffffffc0, s5
	v_dual_mov_b32 v1, v21 :: v_dual_add_nc_u32 v26, v26, v25
	s_delay_alu instid0(VALU_DEP_1) | instskip(NEXT) | instid1(VALU_DEP_2)
	v_mad_u64_u32 v[21:22], null, 0xdb629599, v27, v[1:2]
	v_cmp_lt_u32_e64 s6, 31, v26
	s_delay_alu instid0(VALU_DEP_2) | instskip(NEXT) | instid1(VALU_DEP_2)
	v_cndmask_b32_e64 v19, v21, v19, s5
	v_cndmask_b32_e64 v28, 0, 0xffffffe0, s6
	s_delay_alu instid0(VALU_DEP_1) | instskip(NEXT) | instid1(VALU_DEP_1)
	v_dual_mov_b32 v1, v22 :: v_dual_add_nc_u32 v28, v28, v26
	v_mad_u64_u32 v[22:23], null, 0xf534ddc0, v27, v[1:2]
	s_delay_alu instid0(VALU_DEP_2) | instskip(NEXT) | instid1(VALU_DEP_2)
	v_cmp_lt_u32_e64 s7, 31, v28
	v_mov_b32_e32 v1, v23
	s_delay_alu instid0(VALU_DEP_3) | instskip(NEXT) | instid1(VALU_DEP_2)
	v_cndmask_b32_e64 v20, v22, v20, s5
	v_mad_u64_u32 v[23:24], null, 0xfc2757d1, v27, v[1:2]
	s_delay_alu instid0(VALU_DEP_2) | instskip(NEXT) | instid1(VALU_DEP_2)
	v_cndmask_b32_e64 v19, v20, v19, s6
	v_mov_b32_e32 v1, v24
	s_delay_alu instid0(VALU_DEP_1) | instskip(NEXT) | instid1(VALU_DEP_1)
	v_mad_u64_u32 v[24:25], null, 0x4e441529, v27, v[1:2]
	v_mov_b32_e32 v1, v25
	s_delay_alu instid0(VALU_DEP_1) | instskip(SKIP_1) | instid1(VALU_DEP_4)
	v_mad_u64_u32 v[25:26], null, 0xa2f9836e, v27, v[1:2]
	v_cndmask_b32_e64 v1, 0, 0xffffffe0, s7
	v_cndmask_b32_e64 v27, v24, v22, s5
	s_delay_alu instid0(VALU_DEP_2) | instskip(NEXT) | instid1(VALU_DEP_4)
	v_add_nc_u32_e32 v1, v1, v28
	v_cndmask_b32_e64 v25, v25, v23, s5
	v_cndmask_b32_e64 v24, v26, v24, s5
	;; [unrolled: 1-line block ×3, first 2 shown]
	s_delay_alu instid0(VALU_DEP_4) | instskip(NEXT) | instid1(VALU_DEP_4)
	v_sub_nc_u32_e32 v26, 32, v1
	v_cndmask_b32_e64 v22, v25, v27, s6
	s_delay_alu instid0(VALU_DEP_4) | instskip(NEXT) | instid1(VALU_DEP_4)
	v_cndmask_b32_e64 v24, v24, v25, s6
	v_cndmask_b32_e64 v25, v27, v23, s6
	;; [unrolled: 1-line block ×3, first 2 shown]
	v_cmp_eq_u32_e64 s8, 0, v1
	s_delay_alu instid0(VALU_DEP_4) | instskip(NEXT) | instid1(VALU_DEP_4)
	v_cndmask_b32_e64 v24, v24, v22, s7
	v_cndmask_b32_e64 v22, v22, v25, s7
	s_delay_alu instid0(VALU_DEP_4) | instskip(SKIP_1) | instid1(VALU_DEP_3)
	v_cndmask_b32_e64 v25, v25, v23, s7
	v_cndmask_b32_e64 v19, v23, v19, s7
	v_alignbit_b32 v27, v24, v22, v26
	s_delay_alu instid0(VALU_DEP_3) | instskip(NEXT) | instid1(VALU_DEP_3)
	v_alignbit_b32 v28, v22, v25, v26
	v_alignbit_b32 v26, v25, v19, v26
	s_delay_alu instid0(VALU_DEP_3) | instskip(NEXT) | instid1(VALU_DEP_3)
	v_cndmask_b32_e64 v1, v27, v24, s8
	v_cndmask_b32_e64 v21, v28, v22, s8
	s_delay_alu instid0(VALU_DEP_3) | instskip(NEXT) | instid1(VALU_DEP_3)
	v_cndmask_b32_e64 v25, v26, v25, s8
	v_bfe_u32 v22, v1, 29, 1
	s_delay_alu instid0(VALU_DEP_3) | instskip(NEXT) | instid1(VALU_DEP_3)
	v_alignbit_b32 v20, v1, v21, 30
	v_alignbit_b32 v21, v21, v25, 30
	v_alignbit_b32 v19, v25, v19, 30
	s_delay_alu instid0(VALU_DEP_4) | instskip(NEXT) | instid1(VALU_DEP_1)
	v_sub_nc_u32_e32 v24, 0, v22
	v_xor_b32_e32 v23, v20, v24
	v_cmp_ne_u32_e64 s5, v20, v24
	v_xor_b32_e32 v21, v21, v24
	v_xor_b32_e32 v19, v19, v24
	s_delay_alu instid0(VALU_DEP_4) | instskip(NEXT) | instid1(VALU_DEP_1)
	v_clz_i32_u32_e32 v27, v23
	v_add_nc_u32_e32 v26, 1, v27
	s_delay_alu instid0(VALU_DEP_1) | instskip(NEXT) | instid1(VALU_DEP_1)
	v_cndmask_b32_e64 v20, 33, v26, s5
	v_sub_nc_u32_e32 v25, 32, v20
	s_delay_alu instid0(VALU_DEP_1) | instskip(SKIP_3) | instid1(VALU_DEP_3)
	v_alignbit_b32 v23, v23, v21, v25
	v_alignbit_b32 v19, v21, v19, v25
	v_lshrrev_b32_e32 v21, 29, v1
	v_lshrrev_b32_e32 v1, 30, v1
	v_alignbit_b32 v24, v23, v19, 9
	s_delay_alu instid0(VALU_DEP_3) | instskip(SKIP_1) | instid1(VALU_DEP_3)
	v_lshlrev_b32_e32 v21, 31, v21
	v_alignbit_b32 v23, v20, v23, 9
	v_clz_i32_u32_e32 v25, v24
	s_delay_alu instid0(VALU_DEP_2) | instskip(SKIP_1) | instid1(VALU_DEP_3)
	v_or_b32_e32 v23, v23, v21
	v_or_b32_e32 v21, 0x33800000, v21
	v_min_u32_e32 v25, 32, v25
	s_delay_alu instid0(VALU_DEP_3) | instskip(NEXT) | instid1(VALU_DEP_2)
	v_xor_b32_e32 v23, 1.0, v23
	v_sub_nc_u32_e32 v26, 31, v25
	v_add_lshl_u32 v20, v25, v20, 23
	s_delay_alu instid0(VALU_DEP_3) | instskip(NEXT) | instid1(VALU_DEP_3)
	v_mul_f32_e32 v25, 0x3fc90fda, v23
	v_alignbit_b32 v19, v24, v19, v26
	s_delay_alu instid0(VALU_DEP_3) | instskip(NEXT) | instid1(VALU_DEP_2)
	v_sub_nc_u32_e32 v20, v21, v20
	v_lshrrev_b32_e32 v19, 9, v19
	s_delay_alu instid0(VALU_DEP_1) | instskip(SKIP_2) | instid1(VALU_DEP_1)
	v_or_b32_e32 v19, v20, v19
	v_add_nc_u32_e32 v20, v22, v1
	v_fma_f32 v21, 0x3fc90fda, v23, -v25
	v_fmac_f32_e32 v21, 0x33a22168, v23
	s_delay_alu instid0(VALU_DEP_1) | instskip(NEXT) | instid1(VALU_DEP_1)
	v_fmac_f32_e32 v21, 0x3fc90fda, v19
	v_add_f32_e32 v19, v25, v21
.LBB221_18:                             ;   in Loop: Header=BB221_4 Depth=1
	s_and_not1_saveexec_b32 s5, s26
; %bb.19:                               ;   in Loop: Header=BB221_4 Depth=1
	v_mul_f32_e64 v1, 0x3f22f983, |v15|
	s_delay_alu instid0(VALU_DEP_1) | instskip(NEXT) | instid1(VALU_DEP_1)
	v_rndne_f32_e32 v1, v1
	v_fma_f32 v19, 0xbfc90fda, v1, |v15|
	v_cvt_i32_f32_e32 v20, v1
	s_delay_alu instid0(VALU_DEP_2) | instskip(NEXT) | instid1(VALU_DEP_1)
	v_fmac_f32_e32 v19, 0xb3a22168, v1
	v_fmac_f32_e32 v19, 0xa7c234c4, v1
; %bb.20:                               ;   in Loop: Header=BB221_4 Depth=1
	s_or_b32 exec_lo, exec_lo, s5
                                        ; implicit-def: $vgpr22
                                        ; implicit-def: $vgpr21
	s_delay_alu instid0(SALU_CYCLE_1)
	s_mov_b32 s6, exec_lo
	v_cmpx_ngt_f32_e64 0x48000000, |v14|
	s_xor_b32 s26, exec_lo, s6
	s_cbranch_execz .LBB221_22
; %bb.21:                               ;   in Loop: Header=BB221_4 Depth=1
	v_and_b32_e32 v26, 0x7fffffff, v14
	s_delay_alu instid0(VALU_DEP_1) | instskip(NEXT) | instid1(VALU_DEP_1)
	v_and_or_b32 v29, v26, s23, 0x800000
	v_mad_u64_u32 v[21:22], null, 0xfe5163ab, v29, 0
	s_delay_alu instid0(VALU_DEP_1) | instskip(SKIP_1) | instid1(VALU_DEP_2)
	v_mov_b32_e32 v1, v22
	v_lshrrev_b32_e32 v26, 23, v26
	v_mad_u64_u32 v[22:23], null, 0x3c439041, v29, v[1:2]
	s_delay_alu instid0(VALU_DEP_2) | instskip(NEXT) | instid1(VALU_DEP_1)
	v_add_nc_u32_e32 v27, 0xffffff88, v26
	v_cmp_lt_u32_e64 s5, 63, v27
	s_delay_alu instid0(VALU_DEP_1) | instskip(NEXT) | instid1(VALU_DEP_1)
	v_cndmask_b32_e64 v28, 0, 0xffffffc0, s5
	v_dual_mov_b32 v1, v23 :: v_dual_add_nc_u32 v28, v28, v27
	s_delay_alu instid0(VALU_DEP_1) | instskip(NEXT) | instid1(VALU_DEP_2)
	v_mad_u64_u32 v[23:24], null, 0xdb629599, v29, v[1:2]
	v_cmp_lt_u32_e64 s6, 31, v28
	s_delay_alu instid0(VALU_DEP_2) | instskip(NEXT) | instid1(VALU_DEP_2)
	v_cndmask_b32_e64 v21, v23, v21, s5
	v_cndmask_b32_e64 v30, 0, 0xffffffe0, s6
	s_delay_alu instid0(VALU_DEP_1) | instskip(NEXT) | instid1(VALU_DEP_1)
	v_dual_mov_b32 v1, v24 :: v_dual_add_nc_u32 v30, v30, v28
	v_mad_u64_u32 v[24:25], null, 0xf534ddc0, v29, v[1:2]
	s_delay_alu instid0(VALU_DEP_2) | instskip(NEXT) | instid1(VALU_DEP_2)
	v_cmp_lt_u32_e64 s7, 31, v30
	v_mov_b32_e32 v1, v25
	s_delay_alu instid0(VALU_DEP_3) | instskip(NEXT) | instid1(VALU_DEP_2)
	v_cndmask_b32_e64 v22, v24, v22, s5
	v_mad_u64_u32 v[25:26], null, 0xfc2757d1, v29, v[1:2]
	s_delay_alu instid0(VALU_DEP_2) | instskip(NEXT) | instid1(VALU_DEP_2)
	v_cndmask_b32_e64 v21, v22, v21, s6
	v_mov_b32_e32 v1, v26
	s_delay_alu instid0(VALU_DEP_1) | instskip(NEXT) | instid1(VALU_DEP_1)
	v_mad_u64_u32 v[26:27], null, 0x4e441529, v29, v[1:2]
	v_mov_b32_e32 v1, v27
	s_delay_alu instid0(VALU_DEP_1) | instskip(SKIP_1) | instid1(VALU_DEP_4)
	v_mad_u64_u32 v[27:28], null, 0xa2f9836e, v29, v[1:2]
	v_cndmask_b32_e64 v1, 0, 0xffffffe0, s7
	v_cndmask_b32_e64 v29, v26, v24, s5
	s_delay_alu instid0(VALU_DEP_2) | instskip(NEXT) | instid1(VALU_DEP_4)
	v_add_nc_u32_e32 v1, v1, v30
	v_cndmask_b32_e64 v27, v27, v25, s5
	v_cndmask_b32_e64 v26, v28, v26, s5
	;; [unrolled: 1-line block ×3, first 2 shown]
	s_delay_alu instid0(VALU_DEP_4) | instskip(NEXT) | instid1(VALU_DEP_4)
	v_sub_nc_u32_e32 v28, 32, v1
	v_cndmask_b32_e64 v24, v27, v29, s6
	s_delay_alu instid0(VALU_DEP_4) | instskip(NEXT) | instid1(VALU_DEP_4)
	v_cndmask_b32_e64 v26, v26, v27, s6
	v_cndmask_b32_e64 v27, v29, v25, s6
	v_cndmask_b32_e64 v25, v25, v22, s6
	v_cmp_eq_u32_e64 s8, 0, v1
	s_delay_alu instid0(VALU_DEP_4) | instskip(NEXT) | instid1(VALU_DEP_4)
	v_cndmask_b32_e64 v26, v26, v24, s7
	v_cndmask_b32_e64 v24, v24, v27, s7
	s_delay_alu instid0(VALU_DEP_4) | instskip(SKIP_1) | instid1(VALU_DEP_3)
	v_cndmask_b32_e64 v27, v27, v25, s7
	v_cndmask_b32_e64 v21, v25, v21, s7
	v_alignbit_b32 v29, v26, v24, v28
	s_delay_alu instid0(VALU_DEP_3) | instskip(NEXT) | instid1(VALU_DEP_3)
	v_alignbit_b32 v30, v24, v27, v28
	v_alignbit_b32 v28, v27, v21, v28
	s_delay_alu instid0(VALU_DEP_3) | instskip(NEXT) | instid1(VALU_DEP_3)
	v_cndmask_b32_e64 v1, v29, v26, s8
	v_cndmask_b32_e64 v23, v30, v24, s8
	s_delay_alu instid0(VALU_DEP_3) | instskip(NEXT) | instid1(VALU_DEP_3)
	v_cndmask_b32_e64 v27, v28, v27, s8
	v_bfe_u32 v24, v1, 29, 1
	s_delay_alu instid0(VALU_DEP_3) | instskip(NEXT) | instid1(VALU_DEP_3)
	v_alignbit_b32 v22, v1, v23, 30
	v_alignbit_b32 v23, v23, v27, 30
	;; [unrolled: 1-line block ×3, first 2 shown]
	s_delay_alu instid0(VALU_DEP_4) | instskip(NEXT) | instid1(VALU_DEP_1)
	v_sub_nc_u32_e32 v26, 0, v24
	v_xor_b32_e32 v25, v22, v26
	v_cmp_ne_u32_e64 s5, v22, v26
	v_xor_b32_e32 v23, v23, v26
	v_xor_b32_e32 v21, v21, v26
	s_delay_alu instid0(VALU_DEP_4) | instskip(NEXT) | instid1(VALU_DEP_1)
	v_clz_i32_u32_e32 v29, v25
	v_add_nc_u32_e32 v28, 1, v29
	s_delay_alu instid0(VALU_DEP_1) | instskip(NEXT) | instid1(VALU_DEP_1)
	v_cndmask_b32_e64 v22, 33, v28, s5
	v_sub_nc_u32_e32 v27, 32, v22
	s_delay_alu instid0(VALU_DEP_1) | instskip(SKIP_3) | instid1(VALU_DEP_3)
	v_alignbit_b32 v25, v25, v23, v27
	v_alignbit_b32 v21, v23, v21, v27
	v_lshrrev_b32_e32 v23, 29, v1
	v_lshrrev_b32_e32 v1, 30, v1
	v_alignbit_b32 v26, v25, v21, 9
	s_delay_alu instid0(VALU_DEP_3) | instskip(SKIP_1) | instid1(VALU_DEP_3)
	v_lshlrev_b32_e32 v23, 31, v23
	v_alignbit_b32 v25, v22, v25, 9
	v_clz_i32_u32_e32 v27, v26
	s_delay_alu instid0(VALU_DEP_2) | instskip(SKIP_1) | instid1(VALU_DEP_3)
	v_or_b32_e32 v25, v25, v23
	v_or_b32_e32 v23, 0x33800000, v23
	v_min_u32_e32 v27, 32, v27
	s_delay_alu instid0(VALU_DEP_3) | instskip(NEXT) | instid1(VALU_DEP_2)
	v_xor_b32_e32 v25, 1.0, v25
	v_sub_nc_u32_e32 v28, 31, v27
	v_add_lshl_u32 v22, v27, v22, 23
	s_delay_alu instid0(VALU_DEP_3) | instskip(NEXT) | instid1(VALU_DEP_3)
	v_mul_f32_e32 v27, 0x3fc90fda, v25
	v_alignbit_b32 v21, v26, v21, v28
	s_delay_alu instid0(VALU_DEP_3) | instskip(NEXT) | instid1(VALU_DEP_3)
	v_sub_nc_u32_e32 v22, v23, v22
	v_fma_f32 v23, 0x3fc90fda, v25, -v27
	s_delay_alu instid0(VALU_DEP_3) | instskip(NEXT) | instid1(VALU_DEP_2)
	v_lshrrev_b32_e32 v21, 9, v21
	v_fmac_f32_e32 v23, 0x33a22168, v25
	s_delay_alu instid0(VALU_DEP_2) | instskip(SKIP_1) | instid1(VALU_DEP_2)
	v_or_b32_e32 v21, v22, v21
	v_add_nc_u32_e32 v22, v24, v1
	v_fmac_f32_e32 v23, 0x3fc90fda, v21
	s_delay_alu instid0(VALU_DEP_1)
	v_add_f32_e32 v21, v27, v23
.LBB221_22:                             ;   in Loop: Header=BB221_4 Depth=1
	s_and_not1_saveexec_b32 s5, s26
; %bb.23:                               ;   in Loop: Header=BB221_4 Depth=1
	v_mul_f32_e64 v1, 0x3f22f983, |v14|
	s_delay_alu instid0(VALU_DEP_1) | instskip(NEXT) | instid1(VALU_DEP_1)
	v_rndne_f32_e32 v1, v1
	v_fma_f32 v21, 0xbfc90fda, v1, |v14|
	v_cvt_i32_f32_e32 v22, v1
	s_delay_alu instid0(VALU_DEP_2) | instskip(NEXT) | instid1(VALU_DEP_1)
	v_fmac_f32_e32 v21, 0xb3a22168, v1
	v_fmac_f32_e32 v21, 0xa7c234c4, v1
; %bb.24:                               ;   in Loop: Header=BB221_4 Depth=1
	s_or_b32 exec_lo, exec_lo, s5
                                        ; implicit-def: $vgpr23
                                        ; implicit-def: $vgpr1
	s_delay_alu instid0(SALU_CYCLE_1)
	s_mov_b32 s6, exec_lo
	v_cmpx_ngt_f32_e64 0x48000000, |v13|
	s_xor_b32 s26, exec_lo, s6
	s_cbranch_execnz .LBB221_30
; %bb.25:                               ;   in Loop: Header=BB221_4 Depth=1
	s_and_not1_saveexec_b32 s5, s26
	s_cbranch_execnz .LBB221_31
.LBB221_26:                             ;   in Loop: Header=BB221_4 Depth=1
	s_or_b32 exec_lo, exec_lo, s5
	s_and_saveexec_b32 s5, s4
	s_delay_alu instid0(SALU_CYCLE_1)
	s_xor_b32 s5, exec_lo, s5
	s_cbranch_execnz .LBB221_32
.LBB221_27:                             ;   in Loop: Header=BB221_4 Depth=1
	s_or_b32 exec_lo, exec_lo, s5
	s_and_saveexec_b32 s4, s3
	s_cbranch_execnz .LBB221_33
.LBB221_28:                             ;   in Loop: Header=BB221_4 Depth=1
	s_or_b32 exec_lo, exec_lo, s4
	s_and_saveexec_b32 s3, s2
	s_cbranch_execnz .LBB221_34
.LBB221_29:                             ;   in Loop: Header=BB221_4 Depth=1
	s_or_b32 exec_lo, exec_lo, s3
	s_and_saveexec_b32 s2, vcc_lo
	s_cbranch_execz .LBB221_3
	s_branch .LBB221_35
.LBB221_30:                             ;   in Loop: Header=BB221_4 Depth=1
	v_and_b32_e32 v28, 0x7fffffff, v13
	s_delay_alu instid0(VALU_DEP_1) | instskip(NEXT) | instid1(VALU_DEP_1)
	v_and_or_b32 v31, v28, s23, 0x800000
	v_mad_u64_u32 v[23:24], null, 0xfe5163ab, v31, 0
	s_delay_alu instid0(VALU_DEP_1) | instskip(SKIP_1) | instid1(VALU_DEP_2)
	v_mov_b32_e32 v1, v24
	v_lshrrev_b32_e32 v28, 23, v28
	v_mad_u64_u32 v[24:25], null, 0x3c439041, v31, v[1:2]
	s_delay_alu instid0(VALU_DEP_2) | instskip(NEXT) | instid1(VALU_DEP_1)
	v_add_nc_u32_e32 v29, 0xffffff88, v28
	v_cmp_lt_u32_e64 s5, 63, v29
	s_delay_alu instid0(VALU_DEP_1) | instskip(NEXT) | instid1(VALU_DEP_1)
	v_cndmask_b32_e64 v30, 0, 0xffffffc0, s5
	v_dual_mov_b32 v1, v25 :: v_dual_add_nc_u32 v30, v30, v29
	s_delay_alu instid0(VALU_DEP_1) | instskip(NEXT) | instid1(VALU_DEP_2)
	v_mad_u64_u32 v[25:26], null, 0xdb629599, v31, v[1:2]
	v_cmp_lt_u32_e64 s6, 31, v30
	s_delay_alu instid0(VALU_DEP_2) | instskip(NEXT) | instid1(VALU_DEP_2)
	v_cndmask_b32_e64 v23, v25, v23, s5
	v_cndmask_b32_e64 v32, 0, 0xffffffe0, s6
	s_delay_alu instid0(VALU_DEP_1) | instskip(NEXT) | instid1(VALU_DEP_1)
	v_dual_mov_b32 v1, v26 :: v_dual_add_nc_u32 v32, v32, v30
	v_mad_u64_u32 v[26:27], null, 0xf534ddc0, v31, v[1:2]
	s_delay_alu instid0(VALU_DEP_2) | instskip(NEXT) | instid1(VALU_DEP_2)
	v_cmp_lt_u32_e64 s7, 31, v32
	v_mov_b32_e32 v1, v27
	s_delay_alu instid0(VALU_DEP_3) | instskip(NEXT) | instid1(VALU_DEP_2)
	v_cndmask_b32_e64 v24, v26, v24, s5
	v_mad_u64_u32 v[27:28], null, 0xfc2757d1, v31, v[1:2]
	s_delay_alu instid0(VALU_DEP_2) | instskip(NEXT) | instid1(VALU_DEP_2)
	v_cndmask_b32_e64 v23, v24, v23, s6
	v_mov_b32_e32 v1, v28
	s_delay_alu instid0(VALU_DEP_1) | instskip(NEXT) | instid1(VALU_DEP_1)
	v_mad_u64_u32 v[28:29], null, 0x4e441529, v31, v[1:2]
	v_mov_b32_e32 v1, v29
	s_delay_alu instid0(VALU_DEP_1) | instskip(SKIP_1) | instid1(VALU_DEP_4)
	v_mad_u64_u32 v[29:30], null, 0xa2f9836e, v31, v[1:2]
	v_cndmask_b32_e64 v1, 0, 0xffffffe0, s7
	v_cndmask_b32_e64 v31, v28, v26, s5
	s_delay_alu instid0(VALU_DEP_2) | instskip(NEXT) | instid1(VALU_DEP_4)
	v_add_nc_u32_e32 v1, v1, v32
	v_cndmask_b32_e64 v29, v29, v27, s5
	v_cndmask_b32_e64 v28, v30, v28, s5
	;; [unrolled: 1-line block ×3, first 2 shown]
	s_delay_alu instid0(VALU_DEP_4) | instskip(NEXT) | instid1(VALU_DEP_4)
	v_sub_nc_u32_e32 v30, 32, v1
	v_cndmask_b32_e64 v26, v29, v31, s6
	s_delay_alu instid0(VALU_DEP_4) | instskip(NEXT) | instid1(VALU_DEP_4)
	v_cndmask_b32_e64 v28, v28, v29, s6
	v_cndmask_b32_e64 v29, v31, v27, s6
	v_cndmask_b32_e64 v27, v27, v24, s6
	v_cmp_eq_u32_e64 s8, 0, v1
	s_delay_alu instid0(VALU_DEP_4) | instskip(NEXT) | instid1(VALU_DEP_4)
	v_cndmask_b32_e64 v28, v28, v26, s7
	v_cndmask_b32_e64 v26, v26, v29, s7
	s_delay_alu instid0(VALU_DEP_4) | instskip(SKIP_1) | instid1(VALU_DEP_3)
	v_cndmask_b32_e64 v29, v29, v27, s7
	v_cndmask_b32_e64 v23, v27, v23, s7
	v_alignbit_b32 v31, v28, v26, v30
	s_delay_alu instid0(VALU_DEP_3) | instskip(NEXT) | instid1(VALU_DEP_3)
	v_alignbit_b32 v32, v26, v29, v30
	v_alignbit_b32 v30, v29, v23, v30
	s_delay_alu instid0(VALU_DEP_3) | instskip(NEXT) | instid1(VALU_DEP_3)
	v_cndmask_b32_e64 v1, v31, v28, s8
	v_cndmask_b32_e64 v25, v32, v26, s8
	s_delay_alu instid0(VALU_DEP_3) | instskip(NEXT) | instid1(VALU_DEP_3)
	v_cndmask_b32_e64 v29, v30, v29, s8
	v_bfe_u32 v26, v1, 29, 1
	s_delay_alu instid0(VALU_DEP_3) | instskip(NEXT) | instid1(VALU_DEP_3)
	v_alignbit_b32 v24, v1, v25, 30
	v_alignbit_b32 v25, v25, v29, 30
	;; [unrolled: 1-line block ×3, first 2 shown]
	s_delay_alu instid0(VALU_DEP_4) | instskip(NEXT) | instid1(VALU_DEP_1)
	v_sub_nc_u32_e32 v28, 0, v26
	v_xor_b32_e32 v27, v24, v28
	v_cmp_ne_u32_e64 s5, v24, v28
	v_xor_b32_e32 v25, v25, v28
	v_xor_b32_e32 v23, v23, v28
	s_delay_alu instid0(VALU_DEP_4) | instskip(NEXT) | instid1(VALU_DEP_1)
	v_clz_i32_u32_e32 v31, v27
	v_add_nc_u32_e32 v30, 1, v31
	s_delay_alu instid0(VALU_DEP_1) | instskip(NEXT) | instid1(VALU_DEP_1)
	v_cndmask_b32_e64 v24, 33, v30, s5
	v_sub_nc_u32_e32 v29, 32, v24
	s_delay_alu instid0(VALU_DEP_1) | instskip(SKIP_2) | instid1(VALU_DEP_2)
	v_alignbit_b32 v27, v27, v25, v29
	v_alignbit_b32 v23, v25, v23, v29
	v_lshrrev_b32_e32 v25, 29, v1
	v_alignbit_b32 v28, v27, v23, 9
	s_delay_alu instid0(VALU_DEP_2) | instskip(SKIP_1) | instid1(VALU_DEP_3)
	v_lshlrev_b32_e32 v25, 31, v25
	v_alignbit_b32 v27, v24, v27, 9
	v_clz_i32_u32_e32 v29, v28
	s_delay_alu instid0(VALU_DEP_2) | instskip(SKIP_1) | instid1(VALU_DEP_3)
	v_or_b32_e32 v27, v27, v25
	v_or_b32_e32 v25, 0x33800000, v25
	v_min_u32_e32 v29, 32, v29
	s_delay_alu instid0(VALU_DEP_3) | instskip(NEXT) | instid1(VALU_DEP_2)
	v_xor_b32_e32 v27, 1.0, v27
	v_sub_nc_u32_e32 v30, 31, v29
	v_add_lshl_u32 v24, v29, v24, 23
	s_delay_alu instid0(VALU_DEP_3) | instskip(NEXT) | instid1(VALU_DEP_3)
	v_mul_f32_e32 v29, 0x3fc90fda, v27
	v_alignbit_b32 v23, v28, v23, v30
	s_delay_alu instid0(VALU_DEP_3) | instskip(NEXT) | instid1(VALU_DEP_3)
	v_sub_nc_u32_e32 v24, v25, v24
	v_fma_f32 v25, 0x3fc90fda, v27, -v29
	s_delay_alu instid0(VALU_DEP_3) | instskip(NEXT) | instid1(VALU_DEP_2)
	v_lshrrev_b32_e32 v23, 9, v23
	v_fmac_f32_e32 v25, 0x33a22168, v27
	s_delay_alu instid0(VALU_DEP_2) | instskip(NEXT) | instid1(VALU_DEP_1)
	v_or_b32_e32 v23, v24, v23
	v_fmac_f32_e32 v25, 0x3fc90fda, v23
	v_lshrrev_b32_e32 v23, 30, v1
	s_delay_alu instid0(VALU_DEP_2) | instskip(NEXT) | instid1(VALU_DEP_2)
	v_add_f32_e32 v1, v29, v25
	v_add_nc_u32_e32 v23, v26, v23
	s_and_not1_saveexec_b32 s5, s26
	s_cbranch_execz .LBB221_26
.LBB221_31:                             ;   in Loop: Header=BB221_4 Depth=1
	v_mul_f32_e64 v1, 0x3f22f983, |v13|
	s_delay_alu instid0(VALU_DEP_1) | instskip(NEXT) | instid1(VALU_DEP_1)
	v_rndne_f32_e32 v23, v1
	v_fma_f32 v1, 0xbfc90fda, v23, |v13|
	s_delay_alu instid0(VALU_DEP_1) | instskip(NEXT) | instid1(VALU_DEP_1)
	v_fmac_f32_e32 v1, 0xb3a22168, v23
	v_fmac_f32_e32 v1, 0xa7c234c4, v23
	v_cvt_i32_f32_e32 v23, v23
	s_or_b32 exec_lo, exec_lo, s5
	s_and_saveexec_b32 s5, s4
	s_delay_alu instid0(SALU_CYCLE_1)
	s_xor_b32 s5, exec_lo, s5
	s_cbranch_execz .LBB221_27
.LBB221_32:                             ;   in Loop: Header=BB221_4 Depth=1
	v_dual_mul_f32 v24, v17, v17 :: v_dual_and_b32 v27, 1, v18
	s_delay_alu instid0(VALU_DEP_1) | instskip(NEXT) | instid1(VALU_DEP_2)
	v_dual_fmaak_f32 v25, s24, v24, 0x3c0881c4 :: v_dual_lshlrev_b32 v18, 30, v18
	v_cmp_eq_u32_e64 s4, 0, v27
	s_delay_alu instid0(VALU_DEP_2) | instskip(NEXT) | instid1(VALU_DEP_3)
	v_and_b32_e32 v18, 0x80000000, v18
	v_fmaak_f32 v25, v24, v25, 0xbe2aaa9d
	s_delay_alu instid0(VALU_DEP_1) | instskip(NEXT) | instid1(VALU_DEP_1)
	v_dual_fmaak_f32 v26, s25, v24, 0xbab64f3b :: v_dual_mul_f32 v25, v24, v25
	v_dual_fmaak_f32 v26, v24, v26, 0x3d2aabf7 :: v_dual_fmac_f32 v17, v17, v25
	s_delay_alu instid0(VALU_DEP_1) | instskip(NEXT) | instid1(VALU_DEP_1)
	v_fmaak_f32 v26, v24, v26, 0xbf000004
	v_fma_f32 v24, v24, v26, 1.0
	s_delay_alu instid0(VALU_DEP_1) | instskip(SKIP_1) | instid1(VALU_DEP_2)
	v_cndmask_b32_e64 v17, -v17, v24, s4
	v_cmp_class_f32_e64 s4, v16, 0x1f8
	v_xor_b32_e32 v17, v18, v17
	s_delay_alu instid0(VALU_DEP_1)
	v_cndmask_b32_e64 v16, 0x7fc00000, v17, s4
	global_store_b32 v[3:4], v16, off
	s_or_b32 exec_lo, exec_lo, s5
	s_and_saveexec_b32 s4, s3
	s_cbranch_execz .LBB221_28
.LBB221_33:                             ;   in Loop: Header=BB221_4 Depth=1
	v_mul_f32_e32 v16, v19, v19
	v_and_b32_e32 v24, 1, v20
	s_delay_alu instid0(VALU_DEP_2) | instskip(NEXT) | instid1(VALU_DEP_2)
	v_fmaak_f32 v17, s24, v16, 0x3c0881c4
	v_cmp_eq_u32_e64 s3, 0, v24
	s_delay_alu instid0(VALU_DEP_2) | instskip(NEXT) | instid1(VALU_DEP_1)
	v_fmaak_f32 v17, v16, v17, 0xbe2aaa9d
	v_mul_f32_e32 v17, v16, v17
	s_delay_alu instid0(VALU_DEP_1) | instskip(SKIP_2) | instid1(VALU_DEP_2)
	v_fmac_f32_e32 v19, v19, v17
	v_lshlrev_b32_e32 v17, 30, v20
	v_fmaak_f32 v18, s25, v16, 0xbab64f3b
	v_and_b32_e32 v17, 0x80000000, v17
	s_delay_alu instid0(VALU_DEP_2) | instskip(NEXT) | instid1(VALU_DEP_1)
	v_fmaak_f32 v18, v16, v18, 0x3d2aabf7
	v_fmaak_f32 v18, v16, v18, 0xbf000004
	s_delay_alu instid0(VALU_DEP_1) | instskip(NEXT) | instid1(VALU_DEP_1)
	v_fma_f32 v16, v16, v18, 1.0
	v_cndmask_b32_e64 v16, -v19, v16, s3
	v_cmp_class_f32_e64 s3, v15, 0x1f8
	s_delay_alu instid0(VALU_DEP_2) | instskip(NEXT) | instid1(VALU_DEP_1)
	v_xor_b32_e32 v16, v17, v16
	v_cndmask_b32_e64 v15, 0x7fc00000, v16, s3
	global_store_b32 v[5:6], v15, off
	s_or_b32 exec_lo, exec_lo, s4
	s_and_saveexec_b32 s3, s2
	s_cbranch_execz .LBB221_29
.LBB221_34:                             ;   in Loop: Header=BB221_4 Depth=1
	v_dual_mul_f32 v15, v21, v21 :: v_dual_and_b32 v18, 1, v22
	s_delay_alu instid0(VALU_DEP_1) | instskip(NEXT) | instid1(VALU_DEP_2)
	v_dual_fmaak_f32 v16, s24, v15, 0x3c0881c4 :: v_dual_lshlrev_b32 v19, 30, v22
	v_cmp_eq_u32_e64 s2, 0, v18
	s_delay_alu instid0(VALU_DEP_2) | instskip(NEXT) | instid1(VALU_DEP_1)
	v_fmaak_f32 v16, v15, v16, 0xbe2aaa9d
	v_dual_fmaak_f32 v17, s25, v15, 0xbab64f3b :: v_dual_mul_f32 v16, v15, v16
	s_delay_alu instid0(VALU_DEP_1) | instskip(NEXT) | instid1(VALU_DEP_2)
	v_fmaak_f32 v17, v15, v17, 0x3d2aabf7
	v_dual_fmac_f32 v21, v21, v16 :: v_dual_and_b32 v16, 0x80000000, v19
	s_delay_alu instid0(VALU_DEP_2) | instskip(NEXT) | instid1(VALU_DEP_1)
	v_fmaak_f32 v17, v15, v17, 0xbf000004
	v_fma_f32 v15, v15, v17, 1.0
	s_delay_alu instid0(VALU_DEP_1) | instskip(SKIP_1) | instid1(VALU_DEP_2)
	v_cndmask_b32_e64 v15, -v21, v15, s2
	v_cmp_class_f32_e64 s2, v14, 0x1f8
	v_xor_b32_e32 v15, v16, v15
	s_delay_alu instid0(VALU_DEP_1) | instskip(SKIP_1) | instid1(VALU_DEP_1)
	v_cndmask_b32_e64 v16, 0x7fc00000, v15, s2
	v_add_co_u32 v14, s2, v3, s22
	v_add_co_ci_u32_e64 v15, s2, 0, v4, s2
	global_store_b32 v[14:15], v16, off
	s_or_b32 exec_lo, exec_lo, s3
	s_and_saveexec_b32 s2, vcc_lo
	s_cbranch_execz .LBB221_3
.LBB221_35:                             ;   in Loop: Header=BB221_4 Depth=1
	v_dual_mul_f32 v14, v1, v1 :: v_dual_and_b32 v17, 1, v23
	s_delay_alu instid0(VALU_DEP_1) | instskip(NEXT) | instid1(VALU_DEP_2)
	v_dual_fmaak_f32 v15, s24, v14, 0x3c0881c4 :: v_dual_lshlrev_b32 v18, 30, v23
	v_cmp_eq_u32_e32 vcc_lo, 0, v17
	s_delay_alu instid0(VALU_DEP_2) | instskip(NEXT) | instid1(VALU_DEP_1)
	v_fmaak_f32 v15, v14, v15, 0xbe2aaa9d
	v_dual_fmaak_f32 v16, s25, v14, 0xbab64f3b :: v_dual_mul_f32 v15, v14, v15
	s_delay_alu instid0(VALU_DEP_1) | instskip(NEXT) | instid1(VALU_DEP_1)
	v_dual_fmaak_f32 v16, v14, v16, 0x3d2aabf7 :: v_dual_fmac_f32 v1, v1, v15
	v_fmaak_f32 v16, v14, v16, 0xbf000004
	v_and_b32_e32 v15, 0x80000000, v18
	s_delay_alu instid0(VALU_DEP_2) | instskip(NEXT) | instid1(VALU_DEP_1)
	v_fma_f32 v14, v14, v16, 1.0
	v_cndmask_b32_e64 v1, -v1, v14, vcc_lo
	v_cmp_class_f32_e64 vcc_lo, v13, 0x1f8
	s_delay_alu instid0(VALU_DEP_2) | instskip(NEXT) | instid1(VALU_DEP_1)
	v_xor_b32_e32 v1, v15, v1
	v_cndmask_b32_e32 v1, 0x7fc00000, v1, vcc_lo
	v_add_co_u32 v13, vcc_lo, v3, s20
	v_add_co_ci_u32_e32 v14, vcc_lo, 0, v4, vcc_lo
	global_store_b32 v[13:14], v1, off
	s_branch .LBB221_3
.LBB221_36:
	s_cbranch_execz .LBB221_38
	s_branch .LBB221_57
.LBB221_37:
.LBB221_38:
	v_dual_mov_b32 v5, 0 :: v_dual_lshlrev_b32 v4, 2, v0
	s_mov_b32 s3, 0
	s_mov_b32 s2, exec_lo
	s_delay_alu instid0(VALU_DEP_1)
	v_cmpx_gt_i64_e64 s[10:11], v[4:5]
	s_cbranch_execz .LBB221_57
; %bb.39:
	s_load_b32 s0, s[0:1], 0xd3c
	s_mov_b32 s6, 0x7fffff
	s_mov_b32 s7, 0xb94c1982
	s_mov_b32 s8, 0x37d75334
	s_waitcnt lgkmcnt(0)
	s_and_b32 s0, s0, 0xffff
	s_delay_alu instid0(SALU_CYCLE_1) | instskip(SKIP_3) | instid1(VALU_DEP_2)
	v_add_lshl_u32 v4, v0, s0, 2
	v_lshlrev_b32_e32 v1, 4, v0
	s_lshl_b32 s4, s0, 2
	s_add_u32 s1, s12, s14
	v_dual_mov_b32 v9, v5 :: v_dual_mov_b32 v8, v4
	s_addc_u32 s2, s13, s15
	v_add_co_u32 v0, s1, s1, v1
	s_delay_alu instid0(VALU_DEP_1) | instskip(SKIP_1) | instid1(VALU_DEP_2)
	v_add_co_ci_u32_e64 v1, null, s2, 0, s1
	s_lshl_b32 s5, s0, 4
	v_add_co_u32 v6, vcc_lo, v0, 8
	s_delay_alu instid0(VALU_DEP_2)
	v_add_co_ci_u32_e32 v7, vcc_lo, 0, v1, vcc_lo
	s_branch .LBB221_41
.LBB221_40:                             ;   in Loop: Header=BB221_41 Depth=1
	s_or_b32 exec_lo, exec_lo, s0
	v_dual_mul_f32 v17, v14, v14 :: v_dual_and_b32 v18, 1, v15
	v_dual_mul_f32 v19, v13, v13 :: v_dual_and_b32 v22, 1, v12
	s_delay_alu instid0(VALU_DEP_2) | instskip(NEXT) | instid1(VALU_DEP_2)
	v_dual_fmaak_f32 v20, s7, v17, 0x3c0881c4 :: v_dual_lshlrev_b32 v15, 30, v15
	v_dual_fmaak_f32 v21, s8, v17, 0xbab64f3b :: v_dual_fmaak_f32 v24, s8, v19, 0xbab64f3b
	s_delay_alu instid0(VALU_DEP_4) | instskip(NEXT) | instid1(VALU_DEP_3)
	v_cmp_eq_u32_e32 vcc_lo, 0, v18
	v_and_b32_e32 v15, 0x80000000, v15
	s_delay_alu instid0(VALU_DEP_4) | instskip(SKIP_2) | instid1(VALU_DEP_3)
	v_dual_fmaak_f32 v20, v17, v20, 0xbe2aaa9d :: v_dual_mul_f32 v25, v10, v10
	v_fmaak_f32 v23, s7, v19, 0x3c0881c4
	v_dual_fmaak_f32 v21, v17, v21, 0x3d2aabf7 :: v_dual_fmaak_f32 v24, v19, v24, 0x3d2aabf7
	v_mul_f32_e32 v20, v17, v20
	s_delay_alu instid0(VALU_DEP_3) | instskip(NEXT) | instid1(VALU_DEP_3)
	v_dual_mul_f32 v26, v4, v4 :: v_dual_fmaak_f32 v23, v19, v23, 0xbe2aaa9d
	v_dual_fmaak_f32 v21, v17, v21, 0xbf000004 :: v_dual_fmaak_f32 v24, v19, v24, 0xbf000004
	s_delay_alu instid0(VALU_DEP_3) | instskip(SKIP_1) | instid1(VALU_DEP_4)
	v_fmac_f32_e32 v14, v14, v20
	v_cmp_lt_u64_e64 s0, 0xffff, v[8:9]
	v_mul_f32_e32 v23, v19, v23
	s_delay_alu instid0(VALU_DEP_4) | instskip(SKIP_2) | instid1(VALU_DEP_4)
	v_fma_f32 v17, v17, v21, 1.0
	v_fma_f32 v19, v19, v24, 1.0
	v_lshlrev_b32_e32 v12, 30, v12
	v_dual_fmaak_f32 v18, s8, v25, 0xbab64f3b :: v_dual_fmac_f32 v13, v13, v23
	s_delay_alu instid0(VALU_DEP_4) | instskip(SKIP_3) | instid1(VALU_DEP_4)
	v_cndmask_b32_e64 v14, -v14, v17, vcc_lo
	v_fmaak_f32 v17, s7, v25, 0x3c0881c4
	v_cmp_eq_u32_e32 vcc_lo, 0, v22
	v_and_b32_e32 v12, 0x80000000, v12
	v_xor_b32_e32 v14, v15, v14
	s_delay_alu instid0(VALU_DEP_4) | instskip(SKIP_1) | instid1(VALU_DEP_2)
	v_fmaak_f32 v15, v25, v17, 0xbe2aaa9d
	v_cndmask_b32_e64 v13, -v13, v19, vcc_lo
	v_mul_f32_e32 v15, v25, v15
	v_fmaak_f32 v17, s7, v26, 0x3c0881c4
	s_delay_alu instid0(VALU_DEP_3) | instskip(NEXT) | instid1(VALU_DEP_3)
	v_xor_b32_e32 v12, v12, v13
	v_fmac_f32_e32 v10, v10, v15
	s_delay_alu instid0(VALU_DEP_3) | instskip(NEXT) | instid1(VALU_DEP_1)
	v_fmaak_f32 v17, v26, v17, 0xbe2aaa9d
	v_mul_f32_e32 v15, v26, v17
	s_delay_alu instid0(VALU_DEP_1) | instskip(NEXT) | instid1(VALU_DEP_1)
	v_dual_fmaak_f32 v19, s8, v26, 0xbab64f3b :: v_dual_fmac_f32 v4, v4, v15
	v_dual_fmaak_f32 v18, v25, v18, 0x3d2aabf7 :: v_dual_fmaak_f32 v19, v26, v19, 0x3d2aabf7
	s_delay_alu instid0(VALU_DEP_1) | instskip(SKIP_2) | instid1(VALU_DEP_3)
	v_dual_fmaak_f32 v18, v25, v18, 0xbf000004 :: v_dual_fmaak_f32 v17, v26, v19, 0xbf000004
	v_and_b32_e32 v19, 1, v11
	v_lshlrev_b32_e32 v11, 30, v11
	v_fma_f32 v18, v25, v18, 1.0
	s_delay_alu instid0(VALU_DEP_4)
	v_fma_f32 v15, v26, v17, 1.0
	v_and_b32_e32 v17, 1, v16
	v_cmp_eq_u32_e32 vcc_lo, 0, v19
	v_lshlrev_b32_e32 v16, 30, v16
	v_and_b32_e32 v11, 0x80000000, v11
	v_cndmask_b32_e64 v10, -v10, v18, vcc_lo
	v_cmp_eq_u32_e32 vcc_lo, 0, v17
	s_delay_alu instid0(VALU_DEP_2)
	v_xor_b32_e32 v10, v11, v10
	v_cndmask_b32_e64 v4, -v4, v15, vcc_lo
	v_cmp_class_f32_e64 vcc_lo, v2, 0x1f8
	v_and_b32_e32 v15, 0x80000000, v16
	v_cndmask_b32_e32 v2, 0x7fc00000, v14, vcc_lo
	v_cmp_class_f32_e64 vcc_lo, v1, 0x1f8
	s_delay_alu instid0(VALU_DEP_3)
	v_xor_b32_e32 v4, v15, v4
	v_cndmask_b32_e32 v1, 0x7fc00000, v12, vcc_lo
	v_cmp_class_f32_e64 vcc_lo, v0, 0x1f8
	v_cndmask_b32_e32 v0, 0x7fc00000, v10, vcc_lo
	v_cmp_class_f32_e64 vcc_lo, v3, 0x1f8
	v_cndmask_b32_e32 v3, 0x7fc00000, v4, vcc_lo
	v_cmp_le_i64_e32 vcc_lo, s[10:11], v[8:9]
	global_store_b128 v[6:7], v[0:3], off offset:-8
	s_or_b32 s0, vcc_lo, s0
	v_add_co_u32 v8, vcc_lo, v8, s4
	v_add_co_ci_u32_e32 v9, vcc_lo, 0, v9, vcc_lo
	v_add_co_u32 v6, vcc_lo, v6, s5
	v_add_co_ci_u32_e32 v7, vcc_lo, 0, v7, vcc_lo
	s_and_b32 s0, exec_lo, s0
	s_delay_alu instid0(SALU_CYCLE_1) | instskip(NEXT) | instid1(SALU_CYCLE_1)
	s_or_b32 s3, s0, s3
	s_and_not1_b32 exec_lo, exec_lo, s3
	s_cbranch_execz .LBB221_57
.LBB221_41:                             ; =>This Inner Loop Header: Depth=1
	global_load_b128 v[0:3], v[6:7], off offset:-8
                                        ; implicit-def: $vgpr11
                                        ; implicit-def: $vgpr10
	s_mov_b32 s1, exec_lo
	s_waitcnt vmcnt(0)
	v_cmpx_ngt_f32_e64 0x48000000, |v0|
	s_xor_b32 s9, exec_lo, s1
	s_cbranch_execz .LBB221_43
; %bb.42:                               ;   in Loop: Header=BB221_41 Depth=1
	v_and_b32_e32 v15, 0x7fffffff, v0
	s_delay_alu instid0(VALU_DEP_1) | instskip(NEXT) | instid1(VALU_DEP_1)
	v_and_or_b32 v18, v15, s6, 0x800000
	v_mad_u64_u32 v[10:11], null, 0xfe5163ab, v18, 0
	s_delay_alu instid0(VALU_DEP_1) | instskip(SKIP_1) | instid1(VALU_DEP_2)
	v_mov_b32_e32 v4, v11
	v_lshrrev_b32_e32 v15, 23, v15
	v_mad_u64_u32 v[11:12], null, 0x3c439041, v18, v[4:5]
	s_delay_alu instid0(VALU_DEP_2) | instskip(NEXT) | instid1(VALU_DEP_1)
	v_add_nc_u32_e32 v16, 0xffffff88, v15
	v_cmp_lt_u32_e32 vcc_lo, 63, v16
	v_cndmask_b32_e64 v17, 0, 0xffffffc0, vcc_lo
	s_delay_alu instid0(VALU_DEP_1) | instskip(NEXT) | instid1(VALU_DEP_1)
	v_dual_mov_b32 v4, v12 :: v_dual_add_nc_u32 v17, v17, v16
	v_mad_u64_u32 v[12:13], null, 0xdb629599, v18, v[4:5]
	s_delay_alu instid0(VALU_DEP_2) | instskip(NEXT) | instid1(VALU_DEP_2)
	v_cmp_lt_u32_e64 s0, 31, v17
	v_cndmask_b32_e32 v10, v12, v10, vcc_lo
	s_delay_alu instid0(VALU_DEP_2) | instskip(NEXT) | instid1(VALU_DEP_1)
	v_cndmask_b32_e64 v19, 0, 0xffffffe0, s0
	v_dual_mov_b32 v4, v13 :: v_dual_add_nc_u32 v19, v19, v17
	s_delay_alu instid0(VALU_DEP_1) | instskip(NEXT) | instid1(VALU_DEP_2)
	v_mad_u64_u32 v[13:14], null, 0xf534ddc0, v18, v[4:5]
	v_cmp_lt_u32_e64 s1, 31, v19
	s_delay_alu instid0(VALU_DEP_2) | instskip(NEXT) | instid1(VALU_DEP_1)
	v_dual_mov_b32 v4, v14 :: v_dual_cndmask_b32 v11, v13, v11
	v_mad_u64_u32 v[14:15], null, 0xfc2757d1, v18, v[4:5]
	s_delay_alu instid0(VALU_DEP_2) | instskip(NEXT) | instid1(VALU_DEP_2)
	v_cndmask_b32_e64 v10, v11, v10, s0
	v_mov_b32_e32 v4, v15
	s_delay_alu instid0(VALU_DEP_1) | instskip(NEXT) | instid1(VALU_DEP_1)
	v_mad_u64_u32 v[15:16], null, 0x4e441529, v18, v[4:5]
	v_mov_b32_e32 v4, v16
	s_delay_alu instid0(VALU_DEP_1) | instskip(SKIP_1) | instid1(VALU_DEP_4)
	v_mad_u64_u32 v[16:17], null, 0xa2f9836e, v18, v[4:5]
	v_cndmask_b32_e64 v4, 0, 0xffffffe0, s1
	v_cndmask_b32_e32 v18, v15, v13, vcc_lo
	s_delay_alu instid0(VALU_DEP_2) | instskip(NEXT) | instid1(VALU_DEP_4)
	v_add_nc_u32_e32 v4, v4, v19
	v_dual_cndmask_b32 v16, v16, v14 :: v_dual_cndmask_b32 v15, v17, v15
	v_cndmask_b32_e32 v14, v14, v12, vcc_lo
	s_delay_alu instid0(VALU_DEP_3) | instskip(NEXT) | instid1(VALU_DEP_3)
	v_sub_nc_u32_e32 v17, 32, v4
	v_cndmask_b32_e64 v13, v16, v18, s0
	s_delay_alu instid0(VALU_DEP_4) | instskip(NEXT) | instid1(VALU_DEP_4)
	v_cndmask_b32_e64 v15, v15, v16, s0
	v_cndmask_b32_e64 v16, v18, v14, s0
	;; [unrolled: 1-line block ×3, first 2 shown]
	v_cmp_eq_u32_e64 s2, 0, v4
	s_delay_alu instid0(VALU_DEP_4) | instskip(NEXT) | instid1(VALU_DEP_4)
	v_cndmask_b32_e64 v15, v15, v13, s1
	v_cndmask_b32_e64 v13, v13, v16, s1
	s_delay_alu instid0(VALU_DEP_4) | instskip(SKIP_1) | instid1(VALU_DEP_3)
	v_cndmask_b32_e64 v16, v16, v14, s1
	v_cndmask_b32_e64 v10, v14, v10, s1
	v_alignbit_b32 v18, v15, v13, v17
	s_delay_alu instid0(VALU_DEP_3) | instskip(NEXT) | instid1(VALU_DEP_3)
	v_alignbit_b32 v19, v13, v16, v17
	v_alignbit_b32 v17, v16, v10, v17
	s_delay_alu instid0(VALU_DEP_3) | instskip(NEXT) | instid1(VALU_DEP_3)
	v_cndmask_b32_e64 v4, v18, v15, s2
	v_cndmask_b32_e64 v12, v19, v13, s2
	s_delay_alu instid0(VALU_DEP_3) | instskip(NEXT) | instid1(VALU_DEP_3)
	v_cndmask_b32_e64 v16, v17, v16, s2
	v_bfe_u32 v13, v4, 29, 1
	s_delay_alu instid0(VALU_DEP_3) | instskip(NEXT) | instid1(VALU_DEP_3)
	v_alignbit_b32 v11, v4, v12, 30
	v_alignbit_b32 v12, v12, v16, 30
	;; [unrolled: 1-line block ×3, first 2 shown]
	s_delay_alu instid0(VALU_DEP_4) | instskip(NEXT) | instid1(VALU_DEP_1)
	v_sub_nc_u32_e32 v15, 0, v13
	v_xor_b32_e32 v14, v11, v15
	v_cmp_ne_u32_e32 vcc_lo, v11, v15
	v_xor_b32_e32 v12, v12, v15
	v_xor_b32_e32 v10, v10, v15
	s_delay_alu instid0(VALU_DEP_4) | instskip(NEXT) | instid1(VALU_DEP_1)
	v_clz_i32_u32_e32 v18, v14
	v_add_nc_u32_e32 v17, 1, v18
	s_delay_alu instid0(VALU_DEP_1) | instskip(NEXT) | instid1(VALU_DEP_1)
	v_cndmask_b32_e32 v11, 33, v17, vcc_lo
	v_sub_nc_u32_e32 v16, 32, v11
	s_delay_alu instid0(VALU_DEP_1) | instskip(SKIP_3) | instid1(VALU_DEP_3)
	v_alignbit_b32 v14, v14, v12, v16
	v_alignbit_b32 v10, v12, v10, v16
	v_lshrrev_b32_e32 v12, 29, v4
	v_lshrrev_b32_e32 v4, 30, v4
	v_alignbit_b32 v15, v14, v10, 9
	s_delay_alu instid0(VALU_DEP_3) | instskip(SKIP_1) | instid1(VALU_DEP_3)
	v_lshlrev_b32_e32 v12, 31, v12
	v_alignbit_b32 v14, v11, v14, 9
	v_clz_i32_u32_e32 v16, v15
	s_delay_alu instid0(VALU_DEP_2) | instskip(SKIP_1) | instid1(VALU_DEP_3)
	v_or_b32_e32 v14, v14, v12
	v_or_b32_e32 v12, 0x33800000, v12
	v_min_u32_e32 v16, 32, v16
	s_delay_alu instid0(VALU_DEP_3) | instskip(NEXT) | instid1(VALU_DEP_2)
	v_xor_b32_e32 v14, 1.0, v14
	v_sub_nc_u32_e32 v17, 31, v16
	v_add_lshl_u32 v11, v16, v11, 23
	s_delay_alu instid0(VALU_DEP_3) | instskip(NEXT) | instid1(VALU_DEP_3)
	v_mul_f32_e32 v16, 0x3fc90fda, v14
	v_alignbit_b32 v10, v15, v10, v17
	s_delay_alu instid0(VALU_DEP_3) | instskip(NEXT) | instid1(VALU_DEP_3)
	v_sub_nc_u32_e32 v11, v12, v11
	v_fma_f32 v12, 0x3fc90fda, v14, -v16
	s_delay_alu instid0(VALU_DEP_3) | instskip(NEXT) | instid1(VALU_DEP_2)
	v_lshrrev_b32_e32 v10, 9, v10
	v_fmac_f32_e32 v12, 0x33a22168, v14
	s_delay_alu instid0(VALU_DEP_2) | instskip(NEXT) | instid1(VALU_DEP_1)
	v_or_b32_e32 v10, v11, v10
	v_dual_fmac_f32 v12, 0x3fc90fda, v10 :: v_dual_add_nc_u32 v11, v13, v4
	s_delay_alu instid0(VALU_DEP_1)
	v_add_f32_e32 v10, v16, v12
.LBB221_43:                             ;   in Loop: Header=BB221_41 Depth=1
	s_and_not1_saveexec_b32 s0, s9
; %bb.44:                               ;   in Loop: Header=BB221_41 Depth=1
	v_mul_f32_e64 v4, 0x3f22f983, |v0|
	s_delay_alu instid0(VALU_DEP_1) | instskip(NEXT) | instid1(VALU_DEP_1)
	v_rndne_f32_e32 v4, v4
	v_fma_f32 v10, 0xbfc90fda, v4, |v0|
	v_cvt_i32_f32_e32 v11, v4
	s_delay_alu instid0(VALU_DEP_2) | instskip(NEXT) | instid1(VALU_DEP_1)
	v_fmac_f32_e32 v10, 0xb3a22168, v4
	v_fmac_f32_e32 v10, 0xa7c234c4, v4
; %bb.45:                               ;   in Loop: Header=BB221_41 Depth=1
	s_or_b32 exec_lo, exec_lo, s0
                                        ; implicit-def: $vgpr12
                                        ; implicit-def: $vgpr13
	s_delay_alu instid0(SALU_CYCLE_1)
	s_mov_b32 s1, exec_lo
	v_cmpx_ngt_f32_e64 0x48000000, |v1|
	s_xor_b32 s9, exec_lo, s1
	s_cbranch_execz .LBB221_47
; %bb.46:                               ;   in Loop: Header=BB221_41 Depth=1
	v_and_b32_e32 v17, 0x7fffffff, v1
	s_delay_alu instid0(VALU_DEP_1) | instskip(NEXT) | instid1(VALU_DEP_1)
	v_and_or_b32 v20, v17, s6, 0x800000
	v_mad_u64_u32 v[12:13], null, 0xfe5163ab, v20, 0
	s_delay_alu instid0(VALU_DEP_1) | instskip(SKIP_1) | instid1(VALU_DEP_2)
	v_mov_b32_e32 v4, v13
	v_lshrrev_b32_e32 v17, 23, v17
	v_mad_u64_u32 v[13:14], null, 0x3c439041, v20, v[4:5]
	s_delay_alu instid0(VALU_DEP_2) | instskip(NEXT) | instid1(VALU_DEP_1)
	v_add_nc_u32_e32 v18, 0xffffff88, v17
	v_cmp_lt_u32_e32 vcc_lo, 63, v18
	v_cndmask_b32_e64 v19, 0, 0xffffffc0, vcc_lo
	s_delay_alu instid0(VALU_DEP_1) | instskip(NEXT) | instid1(VALU_DEP_1)
	v_dual_mov_b32 v4, v14 :: v_dual_add_nc_u32 v19, v19, v18
	v_mad_u64_u32 v[14:15], null, 0xdb629599, v20, v[4:5]
	s_delay_alu instid0(VALU_DEP_2) | instskip(NEXT) | instid1(VALU_DEP_2)
	v_cmp_lt_u32_e64 s0, 31, v19
	v_cndmask_b32_e32 v12, v14, v12, vcc_lo
	s_delay_alu instid0(VALU_DEP_2) | instskip(NEXT) | instid1(VALU_DEP_1)
	v_cndmask_b32_e64 v21, 0, 0xffffffe0, s0
	v_dual_mov_b32 v4, v15 :: v_dual_add_nc_u32 v21, v21, v19
	s_delay_alu instid0(VALU_DEP_1) | instskip(NEXT) | instid1(VALU_DEP_2)
	v_mad_u64_u32 v[15:16], null, 0xf534ddc0, v20, v[4:5]
	v_cmp_lt_u32_e64 s1, 31, v21
	s_delay_alu instid0(VALU_DEP_2) | instskip(NEXT) | instid1(VALU_DEP_1)
	v_dual_mov_b32 v4, v16 :: v_dual_cndmask_b32 v13, v15, v13
	v_mad_u64_u32 v[16:17], null, 0xfc2757d1, v20, v[4:5]
	s_delay_alu instid0(VALU_DEP_2) | instskip(NEXT) | instid1(VALU_DEP_2)
	v_cndmask_b32_e64 v12, v13, v12, s0
	v_mov_b32_e32 v4, v17
	s_delay_alu instid0(VALU_DEP_1) | instskip(NEXT) | instid1(VALU_DEP_1)
	v_mad_u64_u32 v[17:18], null, 0x4e441529, v20, v[4:5]
	v_mov_b32_e32 v4, v18
	s_delay_alu instid0(VALU_DEP_1) | instskip(SKIP_1) | instid1(VALU_DEP_4)
	v_mad_u64_u32 v[18:19], null, 0xa2f9836e, v20, v[4:5]
	v_cndmask_b32_e64 v4, 0, 0xffffffe0, s1
	v_cndmask_b32_e32 v20, v17, v15, vcc_lo
	s_delay_alu instid0(VALU_DEP_2) | instskip(NEXT) | instid1(VALU_DEP_4)
	v_add_nc_u32_e32 v4, v4, v21
	v_dual_cndmask_b32 v18, v18, v16 :: v_dual_cndmask_b32 v17, v19, v17
	v_cndmask_b32_e32 v16, v16, v14, vcc_lo
	s_delay_alu instid0(VALU_DEP_3) | instskip(NEXT) | instid1(VALU_DEP_3)
	v_sub_nc_u32_e32 v19, 32, v4
	v_cndmask_b32_e64 v15, v18, v20, s0
	s_delay_alu instid0(VALU_DEP_4) | instskip(NEXT) | instid1(VALU_DEP_4)
	v_cndmask_b32_e64 v17, v17, v18, s0
	v_cndmask_b32_e64 v18, v20, v16, s0
	;; [unrolled: 1-line block ×3, first 2 shown]
	v_cmp_eq_u32_e64 s2, 0, v4
	s_delay_alu instid0(VALU_DEP_4) | instskip(NEXT) | instid1(VALU_DEP_4)
	v_cndmask_b32_e64 v17, v17, v15, s1
	v_cndmask_b32_e64 v15, v15, v18, s1
	s_delay_alu instid0(VALU_DEP_4) | instskip(SKIP_1) | instid1(VALU_DEP_3)
	v_cndmask_b32_e64 v18, v18, v16, s1
	v_cndmask_b32_e64 v12, v16, v12, s1
	v_alignbit_b32 v20, v17, v15, v19
	s_delay_alu instid0(VALU_DEP_3) | instskip(NEXT) | instid1(VALU_DEP_3)
	v_alignbit_b32 v21, v15, v18, v19
	v_alignbit_b32 v19, v18, v12, v19
	s_delay_alu instid0(VALU_DEP_3) | instskip(NEXT) | instid1(VALU_DEP_3)
	v_cndmask_b32_e64 v4, v20, v17, s2
	v_cndmask_b32_e64 v14, v21, v15, s2
	s_delay_alu instid0(VALU_DEP_3) | instskip(NEXT) | instid1(VALU_DEP_3)
	v_cndmask_b32_e64 v18, v19, v18, s2
	v_bfe_u32 v15, v4, 29, 1
	s_delay_alu instid0(VALU_DEP_3) | instskip(NEXT) | instid1(VALU_DEP_3)
	v_alignbit_b32 v13, v4, v14, 30
	v_alignbit_b32 v14, v14, v18, 30
	;; [unrolled: 1-line block ×3, first 2 shown]
	s_delay_alu instid0(VALU_DEP_4) | instskip(NEXT) | instid1(VALU_DEP_1)
	v_sub_nc_u32_e32 v17, 0, v15
	v_xor_b32_e32 v16, v13, v17
	v_cmp_ne_u32_e32 vcc_lo, v13, v17
	v_xor_b32_e32 v14, v14, v17
	v_xor_b32_e32 v12, v12, v17
	s_delay_alu instid0(VALU_DEP_4) | instskip(NEXT) | instid1(VALU_DEP_1)
	v_clz_i32_u32_e32 v20, v16
	v_add_nc_u32_e32 v19, 1, v20
	s_delay_alu instid0(VALU_DEP_1) | instskip(NEXT) | instid1(VALU_DEP_1)
	v_cndmask_b32_e32 v13, 33, v19, vcc_lo
	v_sub_nc_u32_e32 v18, 32, v13
	s_delay_alu instid0(VALU_DEP_1) | instskip(SKIP_3) | instid1(VALU_DEP_3)
	v_alignbit_b32 v16, v16, v14, v18
	v_alignbit_b32 v12, v14, v12, v18
	v_lshrrev_b32_e32 v14, 29, v4
	v_lshrrev_b32_e32 v4, 30, v4
	v_alignbit_b32 v17, v16, v12, 9
	s_delay_alu instid0(VALU_DEP_3) | instskip(SKIP_1) | instid1(VALU_DEP_3)
	v_lshlrev_b32_e32 v14, 31, v14
	v_alignbit_b32 v16, v13, v16, 9
	v_clz_i32_u32_e32 v18, v17
	s_delay_alu instid0(VALU_DEP_2) | instskip(SKIP_1) | instid1(VALU_DEP_3)
	v_or_b32_e32 v16, v16, v14
	v_or_b32_e32 v14, 0x33800000, v14
	v_min_u32_e32 v18, 32, v18
	s_delay_alu instid0(VALU_DEP_3) | instskip(NEXT) | instid1(VALU_DEP_2)
	v_xor_b32_e32 v16, 1.0, v16
	v_sub_nc_u32_e32 v19, 31, v18
	v_add_lshl_u32 v13, v18, v13, 23
	s_delay_alu instid0(VALU_DEP_3) | instskip(NEXT) | instid1(VALU_DEP_3)
	v_mul_f32_e32 v18, 0x3fc90fda, v16
	v_alignbit_b32 v12, v17, v12, v19
	s_delay_alu instid0(VALU_DEP_3) | instskip(NEXT) | instid1(VALU_DEP_3)
	v_sub_nc_u32_e32 v13, v14, v13
	v_fma_f32 v14, 0x3fc90fda, v16, -v18
	s_delay_alu instid0(VALU_DEP_3) | instskip(NEXT) | instid1(VALU_DEP_2)
	v_lshrrev_b32_e32 v12, 9, v12
	v_fmac_f32_e32 v14, 0x33a22168, v16
	s_delay_alu instid0(VALU_DEP_2) | instskip(NEXT) | instid1(VALU_DEP_1)
	v_or_b32_e32 v12, v13, v12
	v_fmac_f32_e32 v14, 0x3fc90fda, v12
	s_delay_alu instid0(VALU_DEP_1)
	v_dual_add_f32 v13, v18, v14 :: v_dual_add_nc_u32 v12, v15, v4
.LBB221_47:                             ;   in Loop: Header=BB221_41 Depth=1
	s_and_not1_saveexec_b32 s0, s9
; %bb.48:                               ;   in Loop: Header=BB221_41 Depth=1
	v_mul_f32_e64 v4, 0x3f22f983, |v1|
	s_delay_alu instid0(VALU_DEP_1) | instskip(NEXT) | instid1(VALU_DEP_1)
	v_rndne_f32_e32 v4, v4
	v_fma_f32 v13, 0xbfc90fda, v4, |v1|
	v_cvt_i32_f32_e32 v12, v4
	s_delay_alu instid0(VALU_DEP_2) | instskip(NEXT) | instid1(VALU_DEP_1)
	v_fmac_f32_e32 v13, 0xb3a22168, v4
	v_fmac_f32_e32 v13, 0xa7c234c4, v4
; %bb.49:                               ;   in Loop: Header=BB221_41 Depth=1
	s_or_b32 exec_lo, exec_lo, s0
                                        ; implicit-def: $vgpr15
                                        ; implicit-def: $vgpr14
	s_delay_alu instid0(SALU_CYCLE_1)
	s_mov_b32 s1, exec_lo
	v_cmpx_ngt_f32_e64 0x48000000, |v2|
	s_xor_b32 s9, exec_lo, s1
	s_cbranch_execz .LBB221_51
; %bb.50:                               ;   in Loop: Header=BB221_41 Depth=1
	v_and_b32_e32 v19, 0x7fffffff, v2
	s_delay_alu instid0(VALU_DEP_1) | instskip(NEXT) | instid1(VALU_DEP_1)
	v_and_or_b32 v22, v19, s6, 0x800000
	v_mad_u64_u32 v[14:15], null, 0xfe5163ab, v22, 0
	s_delay_alu instid0(VALU_DEP_1) | instskip(SKIP_1) | instid1(VALU_DEP_2)
	v_mov_b32_e32 v4, v15
	v_lshrrev_b32_e32 v19, 23, v19
	v_mad_u64_u32 v[15:16], null, 0x3c439041, v22, v[4:5]
	s_delay_alu instid0(VALU_DEP_2) | instskip(NEXT) | instid1(VALU_DEP_1)
	v_add_nc_u32_e32 v20, 0xffffff88, v19
	v_cmp_lt_u32_e32 vcc_lo, 63, v20
	v_cndmask_b32_e64 v21, 0, 0xffffffc0, vcc_lo
	s_delay_alu instid0(VALU_DEP_1) | instskip(NEXT) | instid1(VALU_DEP_1)
	v_dual_mov_b32 v4, v16 :: v_dual_add_nc_u32 v21, v21, v20
	v_mad_u64_u32 v[16:17], null, 0xdb629599, v22, v[4:5]
	s_delay_alu instid0(VALU_DEP_2) | instskip(NEXT) | instid1(VALU_DEP_2)
	v_cmp_lt_u32_e64 s0, 31, v21
	v_cndmask_b32_e32 v14, v16, v14, vcc_lo
	s_delay_alu instid0(VALU_DEP_2) | instskip(NEXT) | instid1(VALU_DEP_1)
	v_cndmask_b32_e64 v23, 0, 0xffffffe0, s0
	v_dual_mov_b32 v4, v17 :: v_dual_add_nc_u32 v23, v23, v21
	s_delay_alu instid0(VALU_DEP_1) | instskip(NEXT) | instid1(VALU_DEP_2)
	v_mad_u64_u32 v[17:18], null, 0xf534ddc0, v22, v[4:5]
	v_cmp_lt_u32_e64 s1, 31, v23
	s_delay_alu instid0(VALU_DEP_2) | instskip(NEXT) | instid1(VALU_DEP_1)
	v_dual_mov_b32 v4, v18 :: v_dual_cndmask_b32 v15, v17, v15
	v_mad_u64_u32 v[18:19], null, 0xfc2757d1, v22, v[4:5]
	s_delay_alu instid0(VALU_DEP_2) | instskip(NEXT) | instid1(VALU_DEP_2)
	v_cndmask_b32_e64 v14, v15, v14, s0
	v_mov_b32_e32 v4, v19
	s_delay_alu instid0(VALU_DEP_1) | instskip(NEXT) | instid1(VALU_DEP_1)
	v_mad_u64_u32 v[19:20], null, 0x4e441529, v22, v[4:5]
	v_mov_b32_e32 v4, v20
	s_delay_alu instid0(VALU_DEP_1) | instskip(SKIP_1) | instid1(VALU_DEP_4)
	v_mad_u64_u32 v[20:21], null, 0xa2f9836e, v22, v[4:5]
	v_cndmask_b32_e64 v4, 0, 0xffffffe0, s1
	v_cndmask_b32_e32 v22, v19, v17, vcc_lo
	s_delay_alu instid0(VALU_DEP_2) | instskip(NEXT) | instid1(VALU_DEP_4)
	v_add_nc_u32_e32 v4, v4, v23
	v_dual_cndmask_b32 v20, v20, v18 :: v_dual_cndmask_b32 v19, v21, v19
	v_cndmask_b32_e32 v18, v18, v16, vcc_lo
	s_delay_alu instid0(VALU_DEP_3) | instskip(NEXT) | instid1(VALU_DEP_3)
	v_sub_nc_u32_e32 v21, 32, v4
	v_cndmask_b32_e64 v17, v20, v22, s0
	s_delay_alu instid0(VALU_DEP_4) | instskip(NEXT) | instid1(VALU_DEP_4)
	v_cndmask_b32_e64 v19, v19, v20, s0
	v_cndmask_b32_e64 v20, v22, v18, s0
	;; [unrolled: 1-line block ×3, first 2 shown]
	v_cmp_eq_u32_e64 s2, 0, v4
	s_delay_alu instid0(VALU_DEP_4) | instskip(NEXT) | instid1(VALU_DEP_4)
	v_cndmask_b32_e64 v19, v19, v17, s1
	v_cndmask_b32_e64 v17, v17, v20, s1
	s_delay_alu instid0(VALU_DEP_4) | instskip(SKIP_1) | instid1(VALU_DEP_3)
	v_cndmask_b32_e64 v20, v20, v18, s1
	v_cndmask_b32_e64 v14, v18, v14, s1
	v_alignbit_b32 v22, v19, v17, v21
	s_delay_alu instid0(VALU_DEP_3) | instskip(NEXT) | instid1(VALU_DEP_3)
	v_alignbit_b32 v23, v17, v20, v21
	v_alignbit_b32 v21, v20, v14, v21
	s_delay_alu instid0(VALU_DEP_3) | instskip(NEXT) | instid1(VALU_DEP_3)
	v_cndmask_b32_e64 v4, v22, v19, s2
	v_cndmask_b32_e64 v16, v23, v17, s2
	s_delay_alu instid0(VALU_DEP_3) | instskip(NEXT) | instid1(VALU_DEP_3)
	v_cndmask_b32_e64 v20, v21, v20, s2
	v_bfe_u32 v17, v4, 29, 1
	s_delay_alu instid0(VALU_DEP_3) | instskip(NEXT) | instid1(VALU_DEP_3)
	v_alignbit_b32 v15, v4, v16, 30
	v_alignbit_b32 v16, v16, v20, 30
	;; [unrolled: 1-line block ×3, first 2 shown]
	s_delay_alu instid0(VALU_DEP_4) | instskip(NEXT) | instid1(VALU_DEP_1)
	v_sub_nc_u32_e32 v19, 0, v17
	v_xor_b32_e32 v18, v15, v19
	v_cmp_ne_u32_e32 vcc_lo, v15, v19
	v_xor_b32_e32 v16, v16, v19
	v_xor_b32_e32 v14, v14, v19
	s_delay_alu instid0(VALU_DEP_4) | instskip(NEXT) | instid1(VALU_DEP_1)
	v_clz_i32_u32_e32 v22, v18
	v_add_nc_u32_e32 v21, 1, v22
	s_delay_alu instid0(VALU_DEP_1) | instskip(NEXT) | instid1(VALU_DEP_1)
	v_cndmask_b32_e32 v15, 33, v21, vcc_lo
	v_sub_nc_u32_e32 v20, 32, v15
	s_delay_alu instid0(VALU_DEP_1) | instskip(SKIP_3) | instid1(VALU_DEP_3)
	v_alignbit_b32 v18, v18, v16, v20
	v_alignbit_b32 v14, v16, v14, v20
	v_lshrrev_b32_e32 v16, 29, v4
	v_lshrrev_b32_e32 v4, 30, v4
	v_alignbit_b32 v19, v18, v14, 9
	s_delay_alu instid0(VALU_DEP_3) | instskip(SKIP_1) | instid1(VALU_DEP_3)
	v_lshlrev_b32_e32 v16, 31, v16
	v_alignbit_b32 v18, v15, v18, 9
	v_clz_i32_u32_e32 v20, v19
	s_delay_alu instid0(VALU_DEP_2) | instskip(SKIP_1) | instid1(VALU_DEP_3)
	v_or_b32_e32 v18, v18, v16
	v_or_b32_e32 v16, 0x33800000, v16
	v_min_u32_e32 v20, 32, v20
	s_delay_alu instid0(VALU_DEP_3) | instskip(NEXT) | instid1(VALU_DEP_2)
	v_xor_b32_e32 v18, 1.0, v18
	v_sub_nc_u32_e32 v21, 31, v20
	v_add_lshl_u32 v15, v20, v15, 23
	s_delay_alu instid0(VALU_DEP_3) | instskip(NEXT) | instid1(VALU_DEP_3)
	v_mul_f32_e32 v20, 0x3fc90fda, v18
	v_alignbit_b32 v14, v19, v14, v21
	s_delay_alu instid0(VALU_DEP_3) | instskip(NEXT) | instid1(VALU_DEP_3)
	v_sub_nc_u32_e32 v15, v16, v15
	v_fma_f32 v16, 0x3fc90fda, v18, -v20
	s_delay_alu instid0(VALU_DEP_3) | instskip(NEXT) | instid1(VALU_DEP_2)
	v_lshrrev_b32_e32 v14, 9, v14
	v_fmac_f32_e32 v16, 0x33a22168, v18
	s_delay_alu instid0(VALU_DEP_2) | instskip(NEXT) | instid1(VALU_DEP_1)
	v_or_b32_e32 v14, v15, v14
	v_dual_fmac_f32 v16, 0x3fc90fda, v14 :: v_dual_add_nc_u32 v15, v17, v4
	s_delay_alu instid0(VALU_DEP_1)
	v_add_f32_e32 v14, v20, v16
.LBB221_51:                             ;   in Loop: Header=BB221_41 Depth=1
	s_and_not1_saveexec_b32 s0, s9
; %bb.52:                               ;   in Loop: Header=BB221_41 Depth=1
	v_mul_f32_e64 v4, 0x3f22f983, |v2|
	s_delay_alu instid0(VALU_DEP_1) | instskip(NEXT) | instid1(VALU_DEP_1)
	v_rndne_f32_e32 v4, v4
	v_fma_f32 v14, 0xbfc90fda, v4, |v2|
	v_cvt_i32_f32_e32 v15, v4
	s_delay_alu instid0(VALU_DEP_2) | instskip(NEXT) | instid1(VALU_DEP_1)
	v_fmac_f32_e32 v14, 0xb3a22168, v4
	v_fmac_f32_e32 v14, 0xa7c234c4, v4
; %bb.53:                               ;   in Loop: Header=BB221_41 Depth=1
	s_or_b32 exec_lo, exec_lo, s0
                                        ; implicit-def: $vgpr16
                                        ; implicit-def: $vgpr4
	s_delay_alu instid0(SALU_CYCLE_1)
	s_mov_b32 s1, exec_lo
	v_cmpx_ngt_f32_e64 0x48000000, |v3|
	s_xor_b32 s9, exec_lo, s1
	s_cbranch_execz .LBB221_55
; %bb.54:                               ;   in Loop: Header=BB221_41 Depth=1
	v_and_b32_e32 v21, 0x7fffffff, v3
	s_delay_alu instid0(VALU_DEP_1) | instskip(NEXT) | instid1(VALU_DEP_1)
	v_and_or_b32 v24, v21, s6, 0x800000
	v_mad_u64_u32 v[16:17], null, 0xfe5163ab, v24, 0
	s_delay_alu instid0(VALU_DEP_1) | instskip(SKIP_1) | instid1(VALU_DEP_2)
	v_mov_b32_e32 v4, v17
	v_lshrrev_b32_e32 v21, 23, v21
	v_mad_u64_u32 v[17:18], null, 0x3c439041, v24, v[4:5]
	s_delay_alu instid0(VALU_DEP_2) | instskip(NEXT) | instid1(VALU_DEP_1)
	v_add_nc_u32_e32 v22, 0xffffff88, v21
	v_cmp_lt_u32_e32 vcc_lo, 63, v22
	v_cndmask_b32_e64 v23, 0, 0xffffffc0, vcc_lo
	s_delay_alu instid0(VALU_DEP_1) | instskip(NEXT) | instid1(VALU_DEP_1)
	v_dual_mov_b32 v4, v18 :: v_dual_add_nc_u32 v23, v23, v22
	v_mad_u64_u32 v[18:19], null, 0xdb629599, v24, v[4:5]
	s_delay_alu instid0(VALU_DEP_2) | instskip(NEXT) | instid1(VALU_DEP_2)
	v_cmp_lt_u32_e64 s0, 31, v23
	v_cndmask_b32_e32 v16, v18, v16, vcc_lo
	s_delay_alu instid0(VALU_DEP_2) | instskip(NEXT) | instid1(VALU_DEP_1)
	v_cndmask_b32_e64 v25, 0, 0xffffffe0, s0
	v_dual_mov_b32 v4, v19 :: v_dual_add_nc_u32 v25, v25, v23
	s_delay_alu instid0(VALU_DEP_1) | instskip(NEXT) | instid1(VALU_DEP_2)
	v_mad_u64_u32 v[19:20], null, 0xf534ddc0, v24, v[4:5]
	v_cmp_lt_u32_e64 s1, 31, v25
	s_delay_alu instid0(VALU_DEP_2) | instskip(NEXT) | instid1(VALU_DEP_1)
	v_dual_mov_b32 v4, v20 :: v_dual_cndmask_b32 v17, v19, v17
	v_mad_u64_u32 v[20:21], null, 0xfc2757d1, v24, v[4:5]
	s_delay_alu instid0(VALU_DEP_2) | instskip(NEXT) | instid1(VALU_DEP_2)
	v_cndmask_b32_e64 v16, v17, v16, s0
	v_mov_b32_e32 v4, v21
	s_delay_alu instid0(VALU_DEP_1) | instskip(NEXT) | instid1(VALU_DEP_1)
	v_mad_u64_u32 v[21:22], null, 0x4e441529, v24, v[4:5]
	v_mov_b32_e32 v4, v22
	s_delay_alu instid0(VALU_DEP_1) | instskip(SKIP_1) | instid1(VALU_DEP_4)
	v_mad_u64_u32 v[22:23], null, 0xa2f9836e, v24, v[4:5]
	v_cndmask_b32_e64 v4, 0, 0xffffffe0, s1
	v_cndmask_b32_e32 v24, v21, v19, vcc_lo
	s_delay_alu instid0(VALU_DEP_2) | instskip(NEXT) | instid1(VALU_DEP_4)
	v_add_nc_u32_e32 v4, v4, v25
	v_dual_cndmask_b32 v22, v22, v20 :: v_dual_cndmask_b32 v21, v23, v21
	v_cndmask_b32_e32 v20, v20, v18, vcc_lo
	s_delay_alu instid0(VALU_DEP_3) | instskip(NEXT) | instid1(VALU_DEP_3)
	v_sub_nc_u32_e32 v23, 32, v4
	v_cndmask_b32_e64 v19, v22, v24, s0
	s_delay_alu instid0(VALU_DEP_4) | instskip(NEXT) | instid1(VALU_DEP_4)
	v_cndmask_b32_e64 v21, v21, v22, s0
	v_cndmask_b32_e64 v22, v24, v20, s0
	v_cndmask_b32_e64 v20, v20, v17, s0
	v_cmp_eq_u32_e64 s2, 0, v4
	s_delay_alu instid0(VALU_DEP_4) | instskip(NEXT) | instid1(VALU_DEP_4)
	v_cndmask_b32_e64 v21, v21, v19, s1
	v_cndmask_b32_e64 v19, v19, v22, s1
	s_delay_alu instid0(VALU_DEP_4) | instskip(SKIP_1) | instid1(VALU_DEP_3)
	v_cndmask_b32_e64 v22, v22, v20, s1
	v_cndmask_b32_e64 v16, v20, v16, s1
	v_alignbit_b32 v24, v21, v19, v23
	s_delay_alu instid0(VALU_DEP_3) | instskip(NEXT) | instid1(VALU_DEP_3)
	v_alignbit_b32 v25, v19, v22, v23
	v_alignbit_b32 v23, v22, v16, v23
	s_delay_alu instid0(VALU_DEP_3) | instskip(NEXT) | instid1(VALU_DEP_3)
	v_cndmask_b32_e64 v4, v24, v21, s2
	v_cndmask_b32_e64 v18, v25, v19, s2
	s_delay_alu instid0(VALU_DEP_3) | instskip(NEXT) | instid1(VALU_DEP_3)
	v_cndmask_b32_e64 v22, v23, v22, s2
	v_bfe_u32 v19, v4, 29, 1
	s_delay_alu instid0(VALU_DEP_3) | instskip(NEXT) | instid1(VALU_DEP_3)
	v_alignbit_b32 v17, v4, v18, 30
	v_alignbit_b32 v18, v18, v22, 30
	;; [unrolled: 1-line block ×3, first 2 shown]
	s_delay_alu instid0(VALU_DEP_4) | instskip(NEXT) | instid1(VALU_DEP_1)
	v_sub_nc_u32_e32 v21, 0, v19
	v_xor_b32_e32 v20, v17, v21
	v_cmp_ne_u32_e32 vcc_lo, v17, v21
	v_xor_b32_e32 v18, v18, v21
	v_xor_b32_e32 v16, v16, v21
	s_delay_alu instid0(VALU_DEP_4) | instskip(NEXT) | instid1(VALU_DEP_1)
	v_clz_i32_u32_e32 v24, v20
	v_add_nc_u32_e32 v23, 1, v24
	s_delay_alu instid0(VALU_DEP_1) | instskip(NEXT) | instid1(VALU_DEP_1)
	v_cndmask_b32_e32 v17, 33, v23, vcc_lo
	v_sub_nc_u32_e32 v22, 32, v17
	s_delay_alu instid0(VALU_DEP_1) | instskip(SKIP_2) | instid1(VALU_DEP_2)
	v_alignbit_b32 v20, v20, v18, v22
	v_alignbit_b32 v16, v18, v16, v22
	v_lshrrev_b32_e32 v18, 29, v4
	v_alignbit_b32 v21, v20, v16, 9
	s_delay_alu instid0(VALU_DEP_2) | instskip(SKIP_1) | instid1(VALU_DEP_3)
	v_lshlrev_b32_e32 v18, 31, v18
	v_alignbit_b32 v20, v17, v20, 9
	v_clz_i32_u32_e32 v22, v21
	s_delay_alu instid0(VALU_DEP_2) | instskip(SKIP_1) | instid1(VALU_DEP_3)
	v_or_b32_e32 v20, v20, v18
	v_or_b32_e32 v18, 0x33800000, v18
	v_min_u32_e32 v22, 32, v22
	s_delay_alu instid0(VALU_DEP_3) | instskip(NEXT) | instid1(VALU_DEP_2)
	v_xor_b32_e32 v20, 1.0, v20
	v_sub_nc_u32_e32 v23, 31, v22
	v_add_lshl_u32 v17, v22, v17, 23
	s_delay_alu instid0(VALU_DEP_3) | instskip(NEXT) | instid1(VALU_DEP_3)
	v_mul_f32_e32 v22, 0x3fc90fda, v20
	v_alignbit_b32 v16, v21, v16, v23
	s_delay_alu instid0(VALU_DEP_3) | instskip(NEXT) | instid1(VALU_DEP_3)
	v_sub_nc_u32_e32 v17, v18, v17
	v_fma_f32 v18, 0x3fc90fda, v20, -v22
	s_delay_alu instid0(VALU_DEP_3) | instskip(NEXT) | instid1(VALU_DEP_2)
	v_lshrrev_b32_e32 v16, 9, v16
	v_fmac_f32_e32 v18, 0x33a22168, v20
	s_delay_alu instid0(VALU_DEP_2) | instskip(NEXT) | instid1(VALU_DEP_1)
	v_or_b32_e32 v16, v17, v16
	v_fmac_f32_e32 v18, 0x3fc90fda, v16
	v_lshrrev_b32_e32 v16, 30, v4
	s_delay_alu instid0(VALU_DEP_2) | instskip(NEXT) | instid1(VALU_DEP_2)
	v_add_f32_e32 v4, v22, v18
	v_add_nc_u32_e32 v16, v19, v16
.LBB221_55:                             ;   in Loop: Header=BB221_41 Depth=1
	s_and_not1_saveexec_b32 s0, s9
	s_cbranch_execz .LBB221_40
; %bb.56:                               ;   in Loop: Header=BB221_41 Depth=1
	v_mul_f32_e64 v4, 0x3f22f983, |v3|
	s_delay_alu instid0(VALU_DEP_1) | instskip(NEXT) | instid1(VALU_DEP_1)
	v_rndne_f32_e32 v16, v4
	v_fma_f32 v4, 0xbfc90fda, v16, |v3|
	s_delay_alu instid0(VALU_DEP_1) | instskip(NEXT) | instid1(VALU_DEP_1)
	v_fmac_f32_e32 v4, 0xb3a22168, v16
	v_fmac_f32_e32 v4, 0xa7c234c4, v16
	v_cvt_i32_f32_e32 v16, v16
	s_branch .LBB221_40
.LBB221_57:
	s_nop 0
	s_sendmsg sendmsg(MSG_DEALLOC_VGPRS)
	s_endpgm
	.section	.rodata,"a",@progbits
	.p2align	6, 0x0
	.amdhsa_kernel _ZN2at6native12_GLOBAL__N_125multi_tensor_apply_kernelINS1_18TensorListMetadataILi1EEENS1_14UnaryOpFunctorIfLi1ELi1ELi0EEEJNS0_3CosIfEEEEEvT_T0_DpT1_
		.amdhsa_group_segment_fixed_size 0
		.amdhsa_private_segment_fixed_size 0
		.amdhsa_kernarg_size 3632
		.amdhsa_user_sgpr_count 15
		.amdhsa_user_sgpr_dispatch_ptr 0
		.amdhsa_user_sgpr_queue_ptr 0
		.amdhsa_user_sgpr_kernarg_segment_ptr 1
		.amdhsa_user_sgpr_dispatch_id 0
		.amdhsa_user_sgpr_private_segment_size 0
		.amdhsa_wavefront_size32 1
		.amdhsa_uses_dynamic_stack 0
		.amdhsa_enable_private_segment 0
		.amdhsa_system_sgpr_workgroup_id_x 1
		.amdhsa_system_sgpr_workgroup_id_y 0
		.amdhsa_system_sgpr_workgroup_id_z 0
		.amdhsa_system_sgpr_workgroup_info 0
		.amdhsa_system_vgpr_workitem_id 0
		.amdhsa_next_free_vgpr 33
		.amdhsa_next_free_sgpr 27
		.amdhsa_reserve_vcc 1
		.amdhsa_float_round_mode_32 0
		.amdhsa_float_round_mode_16_64 0
		.amdhsa_float_denorm_mode_32 3
		.amdhsa_float_denorm_mode_16_64 3
		.amdhsa_dx10_clamp 1
		.amdhsa_ieee_mode 1
		.amdhsa_fp16_overflow 0
		.amdhsa_workgroup_processor_mode 1
		.amdhsa_memory_ordered 1
		.amdhsa_forward_progress 0
		.amdhsa_shared_vgpr_count 0
		.amdhsa_exception_fp_ieee_invalid_op 0
		.amdhsa_exception_fp_denorm_src 0
		.amdhsa_exception_fp_ieee_div_zero 0
		.amdhsa_exception_fp_ieee_overflow 0
		.amdhsa_exception_fp_ieee_underflow 0
		.amdhsa_exception_fp_ieee_inexact 0
		.amdhsa_exception_int_div_zero 0
	.end_amdhsa_kernel
	.section	.text._ZN2at6native12_GLOBAL__N_125multi_tensor_apply_kernelINS1_18TensorListMetadataILi1EEENS1_14UnaryOpFunctorIfLi1ELi1ELi0EEEJNS0_3CosIfEEEEEvT_T0_DpT1_,"axG",@progbits,_ZN2at6native12_GLOBAL__N_125multi_tensor_apply_kernelINS1_18TensorListMetadataILi1EEENS1_14UnaryOpFunctorIfLi1ELi1ELi0EEEJNS0_3CosIfEEEEEvT_T0_DpT1_,comdat
.Lfunc_end221:
	.size	_ZN2at6native12_GLOBAL__N_125multi_tensor_apply_kernelINS1_18TensorListMetadataILi1EEENS1_14UnaryOpFunctorIfLi1ELi1ELi0EEEJNS0_3CosIfEEEEEvT_T0_DpT1_, .Lfunc_end221-_ZN2at6native12_GLOBAL__N_125multi_tensor_apply_kernelINS1_18TensorListMetadataILi1EEENS1_14UnaryOpFunctorIfLi1ELi1ELi0EEEJNS0_3CosIfEEEEEvT_T0_DpT1_
                                        ; -- End function
	.section	.AMDGPU.csdata,"",@progbits
; Kernel info:
; codeLenInByte = 8696
; NumSgprs: 29
; NumVgprs: 33
; ScratchSize: 0
; MemoryBound: 0
; FloatMode: 240
; IeeeMode: 1
; LDSByteSize: 0 bytes/workgroup (compile time only)
; SGPRBlocks: 3
; VGPRBlocks: 4
; NumSGPRsForWavesPerEU: 29
; NumVGPRsForWavesPerEU: 33
; Occupancy: 16
; WaveLimiterHint : 0
; COMPUTE_PGM_RSRC2:SCRATCH_EN: 0
; COMPUTE_PGM_RSRC2:USER_SGPR: 15
; COMPUTE_PGM_RSRC2:TRAP_HANDLER: 0
; COMPUTE_PGM_RSRC2:TGID_X_EN: 1
; COMPUTE_PGM_RSRC2:TGID_Y_EN: 0
; COMPUTE_PGM_RSRC2:TGID_Z_EN: 0
; COMPUTE_PGM_RSRC2:TIDIG_COMP_CNT: 0
	.section	.text._ZN2at6native12_GLOBAL__N_125multi_tensor_apply_kernelINS1_18TensorListMetadataILi1EEENS1_14UnaryOpFunctorIN3c107complexIdEELi1ELi1ELi0EEEJNS0_3CosIS8_EEEEEvT_T0_DpT1_,"axG",@progbits,_ZN2at6native12_GLOBAL__N_125multi_tensor_apply_kernelINS1_18TensorListMetadataILi1EEENS1_14UnaryOpFunctorIN3c107complexIdEELi1ELi1ELi0EEEJNS0_3CosIS8_EEEEEvT_T0_DpT1_,comdat
	.globl	_ZN2at6native12_GLOBAL__N_125multi_tensor_apply_kernelINS1_18TensorListMetadataILi1EEENS1_14UnaryOpFunctorIN3c107complexIdEELi1ELi1ELi0EEEJNS0_3CosIS8_EEEEEvT_T0_DpT1_ ; -- Begin function _ZN2at6native12_GLOBAL__N_125multi_tensor_apply_kernelINS1_18TensorListMetadataILi1EEENS1_14UnaryOpFunctorIN3c107complexIdEELi1ELi1ELi0EEEJNS0_3CosIS8_EEEEEvT_T0_DpT1_
	.p2align	8
	.type	_ZN2at6native12_GLOBAL__N_125multi_tensor_apply_kernelINS1_18TensorListMetadataILi1EEENS1_14UnaryOpFunctorIN3c107complexIdEELi1ELi1ELi0EEEJNS0_3CosIS8_EEEEEvT_T0_DpT1_,@function
_ZN2at6native12_GLOBAL__N_125multi_tensor_apply_kernelINS1_18TensorListMetadataILi1EEENS1_14UnaryOpFunctorIN3c107complexIdEELi1ELi1ELi0EEEJNS0_3CosIS8_EEEEEvT_T0_DpT1_: ; @_ZN2at6native12_GLOBAL__N_125multi_tensor_apply_kernelINS1_18TensorListMetadataILi1EEENS1_14UnaryOpFunctorIN3c107complexIdEELi1ELi1ELi0EEEJNS0_3CosIS8_EEEEEvT_T0_DpT1_
; %bb.0:
	v_mov_b32_e32 v60, v0
	v_mov_b32_e32 v0, s15
	s_mov_b64 s[18:19], s[0:1]
	s_mov_b32 s5, 0
	s_mov_b32 s32, 0
	global_load_u8 v0, v0, s[0:1] offset:1760
	s_add_u32 s0, s18, s15
	s_mul_hi_u32 s1, s15, 3
	s_mul_i32 s15, s15, 3
	s_addc_u32 s2, s19, 0
	s_add_u32 s0, s0, s15
	s_addc_u32 s1, s2, s1
	s_load_b32 s0, s[0:1], 0x820
	s_waitcnt vmcnt(0)
	v_readfirstlane_b32 s3, v0
	s_delay_alu instid0(VALU_DEP_1)
	s_lshl_b32 s1, s3, 3
	s_clause 0x1
	s_load_b64 s[26:27], s[18:19], s1 offset:0x0
	s_load_b64 s[2:3], s[18:19], s1 offset:0x370
	s_waitcnt lgkmcnt(0)
	s_ashr_i32 s1, s0, 31
	s_delay_alu instid0(SALU_CYCLE_1) | instskip(NEXT) | instid1(SALU_CYCLE_1)
	s_lshl_b64 s[28:29], s[0:1], 20
	s_add_u32 s23, s26, s28
	s_addc_u32 s33, s27, s29
	s_lshl_b64 s[0:1], s[0:1], 16
	s_and_b32 s4, s23, 63
	s_sub_u32 s24, s2, s0
	s_subb_u32 s25, s3, s1
	s_and_b32 s0, s2, 3
	s_mov_b32 s1, s5
	s_delay_alu instid0(SALU_CYCLE_1) | instskip(NEXT) | instid1(SALU_CYCLE_1)
	s_or_b64 s[0:1], s[4:5], s[0:1]
	s_cmp_eq_u64 s[0:1], 0
	s_cbranch_scc1 .LBB222_21
; %bb.1:
	v_cmp_lt_i64_e64 s0, s[24:25], 1
	s_delay_alu instid0(VALU_DEP_1)
	s_and_b32 vcc_lo, exec_lo, s0
	s_cbranch_vccnz .LBB222_20
; %bb.2:
	s_load_b32 s0, s[18:19], 0xd3c
	v_cmp_gt_u64_e64 s1, 0x10000, s[24:25]
	v_dual_mov_b32 v62, 0 :: v_dual_lshlrev_b32 v61, 4, v60
	s_mov_b64 s[36:37], 0
	s_waitcnt lgkmcnt(0)
	s_and_b32 s0, s0, 0xffff
	s_delay_alu instid0(VALU_DEP_2)
	s_and_b32 s1, s1, exec_lo
	v_add_co_u32 v63, s3, v60, s0
	v_mad_u64_u32 v[72:73], null, s0, 48, v[61:62]
	s_cselect_b32 s35, s25, 0
	s_cselect_b32 s34, s24, 0x10000
	v_add_co_ci_u32_e64 v74, null, 0, 0, s3
	s_lshl_b32 s3, s0, 5
	s_lshl_b32 s1, s0, 1
	v_add_co_u32 v0, s3, s3, v61
	s_mul_i32 s2, s0, 3
	v_add_co_u32 v79, s1, s1, v60
	v_add_co_u32 v62, s2, s2, v60
	s_delay_alu instid0(VALU_DEP_1)
	v_add_co_ci_u32_e64 v75, null, 0, 0, s2
	v_add_co_ci_u32_e64 v76, null, 0, 0, s3
	v_lshlrev_b32_e32 v77, 4, v63
	v_or_b32_e32 v78, 8, v0
	v_or_b32_e32 v72, 8, v72
	v_add_co_ci_u32_e64 v84, null, 0, 0, s1
	s_lshl_b32 s38, s0, 2
	s_lshl_b32 s39, s0, 6
	s_branch .LBB222_4
.LBB222_3:                              ;   in Loop: Header=BB222_4 Depth=1
	s_or_b32 exec_lo, exec_lo, s21
	s_add_u32 s36, s36, s38
	s_addc_u32 s37, s37, 0
	s_delay_alu instid0(SALU_CYCLE_1) | instskip(SKIP_1) | instid1(VALU_DEP_1)
	v_cmp_lt_i64_e64 s0, s[36:37], s[24:25]
	v_cmp_gt_u64_e64 s1, 0x10000, s[36:37]
	s_and_b32 s0, s0, s1
	s_add_u32 s23, s23, s39
	s_addc_u32 s33, s33, 0
	s_and_b32 vcc_lo, exec_lo, s0
	s_cbranch_vccz .LBB222_20
.LBB222_4:                              ; =>This Inner Loop Header: Depth=1
	v_add_co_u32 v0, s0, v60, s36
	s_delay_alu instid0(VALU_DEP_1) | instskip(SKIP_3) | instid1(VALU_DEP_2)
	v_add_co_ci_u32_e64 v1, null, 0, s37, s0
	s_waitcnt vmcnt(0)
	v_mov_b32_e32 v46, 0
	v_mov_b32_e32 v47, 0
	v_mov_b32_e32 v4, v46
	v_cmp_gt_u64_e32 vcc_lo, s[34:35], v[0:1]
	s_delay_alu instid0(VALU_DEP_3)
	v_dual_mov_b32 v2, v46 :: v_dual_mov_b32 v3, v47
	v_mov_b32_e32 v5, v47
	s_and_saveexec_b32 s0, vcc_lo
	s_cbranch_execz .LBB222_6
; %bb.5:                                ;   in Loop: Header=BB222_4 Depth=1
	v_add_co_u32 v0, s1, s23, v61
	s_delay_alu instid0(VALU_DEP_1)
	v_add_co_ci_u32_e64 v1, null, s33, 0, s1
	global_load_b128 v[2:5], v[0:1], off
.LBB222_6:                              ;   in Loop: Header=BB222_4 Depth=1
	s_or_b32 exec_lo, exec_lo, s0
	v_add_co_u32 v0, s0, v63, s36
	s_delay_alu instid0(VALU_DEP_1) | instskip(SKIP_1) | instid1(VALU_DEP_2)
	v_add_co_ci_u32_e64 v1, s0, s37, v74, s0
	v_dual_mov_b32 v44, v46 :: v_dual_mov_b32 v45, v47
	v_cmp_gt_u64_e64 s22, s[34:35], v[0:1]
	s_delay_alu instid0(VALU_DEP_1)
	s_and_saveexec_b32 s0, s22
	s_cbranch_execz .LBB222_8
; %bb.7:                                ;   in Loop: Header=BB222_4 Depth=1
	v_add_co_u32 v0, s1, s23, v77
	s_delay_alu instid0(VALU_DEP_1)
	v_add_co_ci_u32_e64 v1, null, s33, 0, s1
	global_load_b128 v[44:47], v[0:1], off
.LBB222_8:                              ;   in Loop: Header=BB222_4 Depth=1
	s_or_b32 exec_lo, exec_lo, s0
	v_add_co_u32 v0, s0, v79, s36
	s_delay_alu instid0(VALU_DEP_1) | instskip(SKIP_2) | instid1(VALU_DEP_3)
	v_add_co_ci_u32_e64 v1, s0, s37, v84, s0
	v_mov_b32_e32 v42, 0
	v_mov_b32_e32 v43, 0
	v_cmp_gt_u64_e64 s21, s[34:35], v[0:1]
	s_delay_alu instid0(VALU_DEP_2) | instskip(SKIP_1) | instid1(VALU_DEP_3)
	v_dual_mov_b32 v59, v43 :: v_dual_mov_b32 v58, v42
	v_dual_mov_b32 v57, v43 :: v_dual_mov_b32 v56, v42
	s_and_saveexec_b32 s1, s21
	s_cbranch_execz .LBB222_10
; %bb.9:                                ;   in Loop: Header=BB222_4 Depth=1
	v_add_co_u32 v0, s0, s23, v78
	s_delay_alu instid0(VALU_DEP_1)
	v_add_co_ci_u32_e64 v1, s0, s33, v76, s0
	global_load_b128 v[56:59], v[0:1], off offset:-8
.LBB222_10:                             ;   in Loop: Header=BB222_4 Depth=1
	s_or_b32 exec_lo, exec_lo, s1
	v_add_co_u32 v0, s0, v62, s36
	s_delay_alu instid0(VALU_DEP_1) | instskip(SKIP_1) | instid1(VALU_DEP_2)
	v_add_co_ci_u32_e64 v1, s0, s37, v75, s0
	v_dual_mov_b32 v40, v42 :: v_dual_mov_b32 v41, v43
	v_cmp_gt_u64_e64 s20, s[34:35], v[0:1]
	s_delay_alu instid0(VALU_DEP_1)
	s_and_saveexec_b32 s1, s20
	s_cbranch_execnz .LBB222_15
; %bb.11:                               ;   in Loop: Header=BB222_4 Depth=1
	s_or_b32 exec_lo, exec_lo, s1
	s_and_saveexec_b32 s40, vcc_lo
	s_cbranch_execnz .LBB222_16
.LBB222_12:                             ;   in Loop: Header=BB222_4 Depth=1
	s_or_b32 exec_lo, exec_lo, s40
	s_and_saveexec_b32 s40, s22
	s_cbranch_execnz .LBB222_17
.LBB222_13:                             ;   in Loop: Header=BB222_4 Depth=1
	s_or_b32 exec_lo, exec_lo, s40
	s_and_saveexec_b32 s22, s21
	s_cbranch_execnz .LBB222_18
.LBB222_14:                             ;   in Loop: Header=BB222_4 Depth=1
	s_or_b32 exec_lo, exec_lo, s22
	s_and_saveexec_b32 s21, s20
	s_cbranch_execz .LBB222_3
	s_branch .LBB222_19
.LBB222_15:                             ;   in Loop: Header=BB222_4 Depth=1
	v_add_co_u32 v0, s0, s23, v72
	s_delay_alu instid0(VALU_DEP_1)
	v_add_co_ci_u32_e64 v1, s0, s33, v73, s0
	global_load_b128 v[40:43], v[0:1], off offset:-8
	s_or_b32 exec_lo, exec_lo, s1
	s_and_saveexec_b32 s40, vcc_lo
	s_cbranch_execz .LBB222_12
.LBB222_16:                             ;   in Loop: Header=BB222_4 Depth=1
	s_waitcnt vmcnt(0)
	v_xor_b32_e32 v1, 0x80000000, v5
	v_mov_b32_e32 v0, v4
	s_getpc_b64 s[0:1]
	s_add_u32 s0, s0, _ZN6thrust23THRUST_200600_302600_NS6detail7complex5ccoshERKNS0_7complexIdEE@rel32@lo+4
	s_addc_u32 s1, s1, _ZN6thrust23THRUST_200600_302600_NS6detail7complex5ccoshERKNS0_7complexIdEE@rel32@hi+12
	s_delay_alu instid0(SALU_CYCLE_1) | instskip(SKIP_1) | instid1(VALU_DEP_1)
	s_swappc_b64 s[30:31], s[0:1]
	v_add_co_u32 v4, s0, s23, v61
	v_add_co_ci_u32_e64 v5, null, s33, 0, s0
	global_store_b128 v[4:5], v[0:3], off
	s_or_b32 exec_lo, exec_lo, s40
	s_and_saveexec_b32 s40, s22
	s_cbranch_execz .LBB222_13
.LBB222_17:                             ;   in Loop: Header=BB222_4 Depth=1
	s_waitcnt vmcnt(0)
	v_xor_b32_e32 v1, 0x80000000, v47
	v_dual_mov_b32 v0, v46 :: v_dual_mov_b32 v3, v45
	v_mov_b32_e32 v2, v44
	s_getpc_b64 s[0:1]
	s_add_u32 s0, s0, _ZN6thrust23THRUST_200600_302600_NS6detail7complex5ccoshERKNS0_7complexIdEE@rel32@lo+4
	s_addc_u32 s1, s1, _ZN6thrust23THRUST_200600_302600_NS6detail7complex5ccoshERKNS0_7complexIdEE@rel32@hi+12
	s_delay_alu instid0(SALU_CYCLE_1) | instskip(SKIP_1) | instid1(VALU_DEP_1)
	s_swappc_b64 s[30:31], s[0:1]
	v_add_co_u32 v4, s0, s23, v77
	v_add_co_ci_u32_e64 v5, null, s33, 0, s0
	global_store_b128 v[4:5], v[0:3], off
	s_or_b32 exec_lo, exec_lo, s40
	s_and_saveexec_b32 s22, s21
	s_cbranch_execz .LBB222_14
.LBB222_18:                             ;   in Loop: Header=BB222_4 Depth=1
	s_waitcnt vmcnt(0)
	v_xor_b32_e32 v1, 0x80000000, v59
	v_dual_mov_b32 v0, v58 :: v_dual_mov_b32 v3, v57
	v_mov_b32_e32 v2, v56
	s_getpc_b64 s[0:1]
	s_add_u32 s0, s0, _ZN6thrust23THRUST_200600_302600_NS6detail7complex5ccoshERKNS0_7complexIdEE@rel32@lo+4
	s_addc_u32 s1, s1, _ZN6thrust23THRUST_200600_302600_NS6detail7complex5ccoshERKNS0_7complexIdEE@rel32@hi+12
	s_delay_alu instid0(SALU_CYCLE_1)
	s_swappc_b64 s[30:31], s[0:1]
	v_add_co_u32 v4, vcc_lo, s23, v78
	v_add_co_ci_u32_e32 v5, vcc_lo, s33, v76, vcc_lo
	global_store_b128 v[4:5], v[0:3], off offset:-8
	s_or_b32 exec_lo, exec_lo, s22
	s_and_saveexec_b32 s21, s20
	s_cbranch_execz .LBB222_3
.LBB222_19:                             ;   in Loop: Header=BB222_4 Depth=1
	s_waitcnt vmcnt(0)
	v_xor_b32_e32 v1, 0x80000000, v43
	v_dual_mov_b32 v0, v42 :: v_dual_mov_b32 v3, v41
	v_mov_b32_e32 v2, v40
	s_getpc_b64 s[0:1]
	s_add_u32 s0, s0, _ZN6thrust23THRUST_200600_302600_NS6detail7complex5ccoshERKNS0_7complexIdEE@rel32@lo+4
	s_addc_u32 s1, s1, _ZN6thrust23THRUST_200600_302600_NS6detail7complex5ccoshERKNS0_7complexIdEE@rel32@hi+12
	s_delay_alu instid0(SALU_CYCLE_1)
	s_swappc_b64 s[30:31], s[0:1]
	v_add_co_u32 v4, vcc_lo, s23, v72
	v_add_co_ci_u32_e32 v5, vcc_lo, s33, v73, vcc_lo
	global_store_b128 v[4:5], v[0:3], off offset:-8
	s_branch .LBB222_3
.LBB222_20:
	s_cbranch_execz .LBB222_22
	s_branch .LBB222_25
.LBB222_21:
.LBB222_22:
	v_dual_mov_b32 v73, 0 :: v_dual_lshlrev_b32 v72, 2, v60
	s_mov_b32 s20, 0
	s_mov_b32 s0, exec_lo
	s_delay_alu instid0(VALU_DEP_1)
	v_cmpx_gt_i64_e64 s[24:25], v[72:73]
	s_cbranch_execz .LBB222_25
; %bb.23:
	s_load_b32 s0, s[18:19], 0xd3c
	v_lshlrev_b32_e32 v0, 6, v60
	s_waitcnt lgkmcnt(0)
	s_and_b32 s0, s0, 0xffff
	s_delay_alu instid0(SALU_CYCLE_1)
	s_lshl_b32 s18, s0, 2
	s_add_u32 s1, s26, s28
	s_addc_u32 s2, s27, s29
	v_add_co_u32 v74, s1, s1, v0
	v_add_lshl_u32 v72, v60, s0, 2
	v_add_co_ci_u32_e64 v75, null, s2, 0, s1
	s_lshl_b32 s19, s0, 6
.LBB222_24:                             ; =>This Inner Loop Header: Depth=1
	s_clause 0x3
	global_load_b128 v[2:5], v[74:75], off
	global_load_b128 v[40:43], v[74:75], off offset:16
	global_load_b128 v[44:47], v[74:75], off offset:48
	;; [unrolled: 1-line block ×3, first 2 shown]
	s_getpc_b64 s[22:23]
	s_add_u32 s22, s22, _ZN6thrust23THRUST_200600_302600_NS6detail7complex5ccoshERKNS0_7complexIdEE@rel32@lo+4
	s_addc_u32 s23, s23, _ZN6thrust23THRUST_200600_302600_NS6detail7complex5ccoshERKNS0_7complexIdEE@rel32@hi+12
	s_waitcnt vmcnt(3)
	v_xor_b32_e32 v1, 0x80000000, v5
	v_mov_b32_e32 v0, v4
	s_swappc_b64 s[30:31], s[22:23]
	s_delay_alu instid0(VALU_DEP_1)
	v_dual_mov_b32 v60, v0 :: v_dual_mov_b32 v61, v1
	v_dual_mov_b32 v62, v2 :: v_dual_mov_b32 v63, v3
	v_xor_b32_e32 v1, 0x80000000, v43
	v_dual_mov_b32 v0, v42 :: v_dual_mov_b32 v3, v41
	v_mov_b32_e32 v2, v40
	s_swappc_b64 s[30:31], s[22:23]
	s_delay_alu instid0(VALU_DEP_2) | instskip(NEXT) | instid1(VALU_DEP_2)
	v_dual_mov_b32 v40, v0 :: v_dual_mov_b32 v41, v1
	v_dual_mov_b32 v42, v2 :: v_dual_mov_b32 v43, v3
	v_xor_b32_e32 v1, 0x80000000, v59
	v_dual_mov_b32 v0, v58 :: v_dual_mov_b32 v3, v57
	v_mov_b32_e32 v2, v56
	s_swappc_b64 s[30:31], s[22:23]
	s_delay_alu instid0(VALU_DEP_2) | instskip(NEXT) | instid1(VALU_DEP_2)
	v_dual_mov_b32 v56, v0 :: v_dual_mov_b32 v57, v1
	v_dual_mov_b32 v58, v2 :: v_dual_mov_b32 v59, v3
	v_xor_b32_e32 v1, 0x80000000, v47
	v_dual_mov_b32 v0, v46 :: v_dual_mov_b32 v3, v45
	v_mov_b32_e32 v2, v44
	s_swappc_b64 s[30:31], s[22:23]
	v_cmp_le_i64_e32 vcc_lo, s[24:25], v[72:73]
	v_cmp_lt_u64_e64 s0, 0xffff, v[72:73]
	v_add_co_u32 v72, s1, v72, s18
	s_delay_alu instid0(VALU_DEP_1)
	v_add_co_ci_u32_e64 v73, s1, 0, v73, s1
	s_clause 0x3
	global_store_b128 v[74:75], v[60:63], off
	global_store_b128 v[74:75], v[40:43], off offset:16
	global_store_b128 v[74:75], v[56:59], off offset:32
	;; [unrolled: 1-line block ×3, first 2 shown]
	v_add_co_u32 v74, s1, v74, s19
	s_or_b32 s0, vcc_lo, s0
	v_add_co_ci_u32_e64 v75, vcc_lo, 0, v75, s1
	s_and_b32 s0, exec_lo, s0
	s_delay_alu instid0(SALU_CYCLE_1) | instskip(NEXT) | instid1(SALU_CYCLE_1)
	s_or_b32 s20, s0, s20
	s_and_not1_b32 exec_lo, exec_lo, s20
	s_cbranch_execnz .LBB222_24
.LBB222_25:
	s_endpgm
	.section	.rodata,"a",@progbits
	.p2align	6, 0x0
	.amdhsa_kernel _ZN2at6native12_GLOBAL__N_125multi_tensor_apply_kernelINS1_18TensorListMetadataILi1EEENS1_14UnaryOpFunctorIN3c107complexIdEELi1ELi1ELi0EEEJNS0_3CosIS8_EEEEEvT_T0_DpT1_
		.amdhsa_group_segment_fixed_size 0
		.amdhsa_private_segment_fixed_size 0
		.amdhsa_kernarg_size 3632
		.amdhsa_user_sgpr_count 15
		.amdhsa_user_sgpr_dispatch_ptr 0
		.amdhsa_user_sgpr_queue_ptr 0
		.amdhsa_user_sgpr_kernarg_segment_ptr 1
		.amdhsa_user_sgpr_dispatch_id 0
		.amdhsa_user_sgpr_private_segment_size 0
		.amdhsa_wavefront_size32 1
		.amdhsa_uses_dynamic_stack 0
		.amdhsa_enable_private_segment 0
		.amdhsa_system_sgpr_workgroup_id_x 1
		.amdhsa_system_sgpr_workgroup_id_y 0
		.amdhsa_system_sgpr_workgroup_id_z 0
		.amdhsa_system_sgpr_workgroup_info 0
		.amdhsa_system_vgpr_workitem_id 0
		.amdhsa_next_free_vgpr 85
		.amdhsa_next_free_sgpr 41
		.amdhsa_reserve_vcc 1
		.amdhsa_float_round_mode_32 0
		.amdhsa_float_round_mode_16_64 0
		.amdhsa_float_denorm_mode_32 3
		.amdhsa_float_denorm_mode_16_64 3
		.amdhsa_dx10_clamp 1
		.amdhsa_ieee_mode 1
		.amdhsa_fp16_overflow 0
		.amdhsa_workgroup_processor_mode 1
		.amdhsa_memory_ordered 1
		.amdhsa_forward_progress 0
		.amdhsa_shared_vgpr_count 0
		.amdhsa_exception_fp_ieee_invalid_op 0
		.amdhsa_exception_fp_denorm_src 0
		.amdhsa_exception_fp_ieee_div_zero 0
		.amdhsa_exception_fp_ieee_overflow 0
		.amdhsa_exception_fp_ieee_underflow 0
		.amdhsa_exception_fp_ieee_inexact 0
		.amdhsa_exception_int_div_zero 0
	.end_amdhsa_kernel
	.section	.text._ZN2at6native12_GLOBAL__N_125multi_tensor_apply_kernelINS1_18TensorListMetadataILi1EEENS1_14UnaryOpFunctorIN3c107complexIdEELi1ELi1ELi0EEEJNS0_3CosIS8_EEEEEvT_T0_DpT1_,"axG",@progbits,_ZN2at6native12_GLOBAL__N_125multi_tensor_apply_kernelINS1_18TensorListMetadataILi1EEENS1_14UnaryOpFunctorIN3c107complexIdEELi1ELi1ELi0EEEJNS0_3CosIS8_EEEEEvT_T0_DpT1_,comdat
.Lfunc_end222:
	.size	_ZN2at6native12_GLOBAL__N_125multi_tensor_apply_kernelINS1_18TensorListMetadataILi1EEENS1_14UnaryOpFunctorIN3c107complexIdEELi1ELi1ELi0EEEJNS0_3CosIS8_EEEEEvT_T0_DpT1_, .Lfunc_end222-_ZN2at6native12_GLOBAL__N_125multi_tensor_apply_kernelINS1_18TensorListMetadataILi1EEENS1_14UnaryOpFunctorIN3c107complexIdEELi1ELi1ELi0EEEJNS0_3CosIS8_EEEEEvT_T0_DpT1_
                                        ; -- End function
	.section	.AMDGPU.csdata,"",@progbits
; Kernel info:
; codeLenInByte = 1584
; NumSgprs: 43
; NumVgprs: 85
; ScratchSize: 0
; MemoryBound: 1
; FloatMode: 240
; IeeeMode: 1
; LDSByteSize: 0 bytes/workgroup (compile time only)
; SGPRBlocks: 5
; VGPRBlocks: 10
; NumSGPRsForWavesPerEU: 43
; NumVGPRsForWavesPerEU: 85
; Occupancy: 16
; WaveLimiterHint : 0
; COMPUTE_PGM_RSRC2:SCRATCH_EN: 0
; COMPUTE_PGM_RSRC2:USER_SGPR: 15
; COMPUTE_PGM_RSRC2:TRAP_HANDLER: 0
; COMPUTE_PGM_RSRC2:TGID_X_EN: 1
; COMPUTE_PGM_RSRC2:TGID_Y_EN: 0
; COMPUTE_PGM_RSRC2:TGID_Z_EN: 0
; COMPUTE_PGM_RSRC2:TIDIG_COMP_CNT: 0
	.section	.text._ZN2at6native12_GLOBAL__N_125multi_tensor_apply_kernelINS1_18TensorListMetadataILi1EEENS1_14UnaryOpFunctorIN3c107complexIfEELi1ELi1ELi0EEEJNS0_3CosIS8_EEEEEvT_T0_DpT1_,"axG",@progbits,_ZN2at6native12_GLOBAL__N_125multi_tensor_apply_kernelINS1_18TensorListMetadataILi1EEENS1_14UnaryOpFunctorIN3c107complexIfEELi1ELi1ELi0EEEJNS0_3CosIS8_EEEEEvT_T0_DpT1_,comdat
	.globl	_ZN2at6native12_GLOBAL__N_125multi_tensor_apply_kernelINS1_18TensorListMetadataILi1EEENS1_14UnaryOpFunctorIN3c107complexIfEELi1ELi1ELi0EEEJNS0_3CosIS8_EEEEEvT_T0_DpT1_ ; -- Begin function _ZN2at6native12_GLOBAL__N_125multi_tensor_apply_kernelINS1_18TensorListMetadataILi1EEENS1_14UnaryOpFunctorIN3c107complexIfEELi1ELi1ELi0EEEJNS0_3CosIS8_EEEEEvT_T0_DpT1_
	.p2align	8
	.type	_ZN2at6native12_GLOBAL__N_125multi_tensor_apply_kernelINS1_18TensorListMetadataILi1EEENS1_14UnaryOpFunctorIN3c107complexIfEELi1ELi1ELi0EEEJNS0_3CosIS8_EEEEEvT_T0_DpT1_,@function
_ZN2at6native12_GLOBAL__N_125multi_tensor_apply_kernelINS1_18TensorListMetadataILi1EEENS1_14UnaryOpFunctorIN3c107complexIfEELi1ELi1ELi0EEEJNS0_3CosIS8_EEEEEvT_T0_DpT1_: ; @_ZN2at6native12_GLOBAL__N_125multi_tensor_apply_kernelINS1_18TensorListMetadataILi1EEENS1_14UnaryOpFunctorIN3c107complexIfEELi1ELi1ELi0EEEJNS0_3CosIS8_EEEEEvT_T0_DpT1_
; %bb.0:
	v_dual_mov_b32 v27, v0 :: v_dual_mov_b32 v0, s15
	s_mov_b64 s[12:13], s[0:1]
	s_mov_b32 s5, 0
	s_mov_b32 s32, 0
	global_load_u8 v0, v0, s[0:1] offset:1760
	s_add_u32 s0, s12, s15
	s_mul_hi_u32 s1, s15, 3
	s_mul_i32 s15, s15, 3
	s_addc_u32 s2, s13, 0
	s_add_u32 s0, s0, s15
	s_addc_u32 s1, s2, s1
	s_load_b32 s0, s[0:1], 0x820
	s_waitcnt vmcnt(0)
	v_readfirstlane_b32 s3, v0
	s_delay_alu instid0(VALU_DEP_1)
	s_lshl_b32 s1, s3, 3
	s_clause 0x1
	s_load_b64 s[18:19], s[12:13], s1 offset:0x0
	s_load_b64 s[2:3], s[12:13], s1 offset:0x370
	s_waitcnt lgkmcnt(0)
	s_ashr_i32 s1, s0, 31
	s_delay_alu instid0(SALU_CYCLE_1) | instskip(NEXT) | instid1(SALU_CYCLE_1)
	s_lshl_b64 s[20:21], s[0:1], 19
	s_add_u32 s26, s18, s20
	s_addc_u32 s27, s19, s21
	s_lshl_b64 s[0:1], s[0:1], 16
	s_and_b32 s4, s26, 31
	s_sub_u32 s16, s2, s0
	s_subb_u32 s17, s3, s1
	s_and_b32 s0, s2, 3
	s_mov_b32 s1, s5
	s_delay_alu instid0(SALU_CYCLE_1) | instskip(NEXT) | instid1(SALU_CYCLE_1)
	s_or_b64 s[0:1], s[4:5], s[0:1]
	s_cmp_eq_u64 s[0:1], 0
	s_cbranch_scc1 .LBB223_21
; %bb.1:
	v_cmp_lt_i64_e64 s0, s[16:17], 1
	s_delay_alu instid0(VALU_DEP_1)
	s_and_b32 vcc_lo, exec_lo, s0
	s_cbranch_vccnz .LBB223_20
; %bb.2:
	s_load_b32 s0, s[12:13], 0xd3c
	v_cmp_gt_u64_e64 s1, 0x10000, s[16:17]
	v_dual_mov_b32 v29, 0 :: v_dual_lshlrev_b32 v28, 3, v27
	s_mov_b64 s[24:25], 0
	s_waitcnt lgkmcnt(0)
	s_and_b32 s0, s0, 0xffff
	s_delay_alu instid0(VALU_DEP_2)
	s_and_b32 s1, s1, exec_lo
	v_add_co_u32 v32, s3, v27, s0
	v_mad_u64_u32 v[30:31], null, s0, 24, v[28:29]
	s_cselect_b32 s23, s17, 0
	s_cselect_b32 s22, s16, 0x10000
	v_add_co_ci_u32_e64 v33, null, 0, 0, s3
	s_lshl_b32 s3, s0, 4
	s_lshl_b32 s1, s0, 1
	v_add_co_u32 v0, s3, s3, v28
	s_mul_i32 s2, s0, 3
	v_add_co_u32 v38, s1, s1, v27
	v_add_co_u32 v29, s2, s2, v27
	s_delay_alu instid0(VALU_DEP_1)
	v_add_co_ci_u32_e64 v34, null, 0, 0, s2
	v_add_co_ci_u32_e64 v35, null, 0, 0, s3
	v_lshlrev_b32_e32 v36, 3, v32
	v_or_b32_e32 v37, 4, v0
	v_or_b32_e32 v30, 4, v30
	v_add_co_ci_u32_e64 v39, null, 0, 0, s1
	s_lshl_b32 s28, s0, 2
	s_lshl_b32 s29, s0, 5
	s_branch .LBB223_4
.LBB223_3:                              ;   in Loop: Header=BB223_4 Depth=1
	s_or_b32 exec_lo, exec_lo, s14
	s_add_u32 s24, s24, s28
	s_addc_u32 s25, s25, 0
	s_delay_alu instid0(SALU_CYCLE_1) | instskip(SKIP_1) | instid1(VALU_DEP_1)
	v_cmp_lt_i64_e64 s0, s[24:25], s[16:17]
	v_cmp_gt_u64_e64 s1, 0x10000, s[24:25]
	s_and_b32 s0, s0, s1
	s_add_u32 s26, s26, s29
	s_addc_u32 s27, s27, 0
	s_and_b32 vcc_lo, exec_lo, s0
	s_cbranch_vccz .LBB223_20
.LBB223_4:                              ; =>This Inner Loop Header: Depth=1
	v_add_co_u32 v0, s0, v27, s24
	s_waitcnt vmcnt(0)
	v_add_co_ci_u32_e64 v1, null, 0, s25, s0
	v_mov_b32_e32 v2, 0
	s_delay_alu instid0(VALU_DEP_2)
	v_cmp_gt_u64_e32 vcc_lo, s[22:23], v[0:1]
	v_mov_b32_e32 v1, 0
	s_and_saveexec_b32 s0, vcc_lo
	s_cbranch_execz .LBB223_6
; %bb.5:                                ;   in Loop: Header=BB223_4 Depth=1
	v_add_co_u32 v0, s1, s26, v28
	s_delay_alu instid0(VALU_DEP_1)
	v_add_co_ci_u32_e64 v1, null, s27, 0, s1
	global_load_b64 v[1:2], v[0:1], off
.LBB223_6:                              ;   in Loop: Header=BB223_4 Depth=1
	s_or_b32 exec_lo, exec_lo, s0
	v_add_co_u32 v3, s0, v32, s24
	s_delay_alu instid0(VALU_DEP_1) | instskip(SKIP_2) | instid1(VALU_DEP_3)
	v_add_co_ci_u32_e64 v4, s0, s25, v33, s0
	v_dual_mov_b32 v22, 0 :: v_dual_mov_b32 v25, 0
	v_mov_b32_e32 v26, 0
	v_cmp_gt_u64_e64 s15, s[22:23], v[3:4]
	s_delay_alu instid0(VALU_DEP_1)
	s_and_saveexec_b32 s0, s15
	s_cbranch_execz .LBB223_8
; %bb.7:                                ;   in Loop: Header=BB223_4 Depth=1
	v_add_co_u32 v3, s1, s26, v36
	s_delay_alu instid0(VALU_DEP_1)
	v_add_co_ci_u32_e64 v4, null, s27, 0, s1
	global_load_b64 v[25:26], v[3:4], off
.LBB223_8:                              ;   in Loop: Header=BB223_4 Depth=1
	s_or_b32 exec_lo, exec_lo, s0
	v_add_co_u32 v3, s0, v38, s24
	s_delay_alu instid0(VALU_DEP_1) | instskip(SKIP_1) | instid1(VALU_DEP_2)
	v_add_co_ci_u32_e64 v4, s0, s25, v39, s0
	v_mov_b32_e32 v21, 0
	v_cmp_gt_u64_e64 s14, s[22:23], v[3:4]
	s_delay_alu instid0(VALU_DEP_1)
	s_and_saveexec_b32 s1, s14
	s_cbranch_execz .LBB223_10
; %bb.9:                                ;   in Loop: Header=BB223_4 Depth=1
	v_add_co_u32 v3, s0, s26, v37
	s_delay_alu instid0(VALU_DEP_1)
	v_add_co_ci_u32_e64 v4, s0, s27, v35, s0
	global_load_b64 v[21:22], v[3:4], off offset:-4
.LBB223_10:                             ;   in Loop: Header=BB223_4 Depth=1
	s_or_b32 exec_lo, exec_lo, s1
	v_add_co_u32 v3, s0, v29, s24
	s_delay_alu instid0(VALU_DEP_1) | instskip(SKIP_1) | instid1(VALU_DEP_2)
	v_add_co_ci_u32_e64 v4, s0, s25, v34, s0
	v_dual_mov_b32 v24, 0 :: v_dual_mov_b32 v23, 0
	v_cmp_gt_u64_e64 s11, s[22:23], v[3:4]
	s_delay_alu instid0(VALU_DEP_1)
	s_and_saveexec_b32 s1, s11
	s_cbranch_execnz .LBB223_15
; %bb.11:                               ;   in Loop: Header=BB223_4 Depth=1
	s_or_b32 exec_lo, exec_lo, s1
	s_and_saveexec_b32 s33, vcc_lo
	s_cbranch_execnz .LBB223_16
.LBB223_12:                             ;   in Loop: Header=BB223_4 Depth=1
	s_or_b32 exec_lo, exec_lo, s33
	s_and_saveexec_b32 s33, s15
	s_cbranch_execnz .LBB223_17
.LBB223_13:                             ;   in Loop: Header=BB223_4 Depth=1
	s_or_b32 exec_lo, exec_lo, s33
	s_and_saveexec_b32 s15, s14
	s_cbranch_execnz .LBB223_18
.LBB223_14:                             ;   in Loop: Header=BB223_4 Depth=1
	s_or_b32 exec_lo, exec_lo, s15
	s_and_saveexec_b32 s14, s11
	s_cbranch_execz .LBB223_3
	s_branch .LBB223_19
.LBB223_15:                             ;   in Loop: Header=BB223_4 Depth=1
	v_add_co_u32 v3, s0, s26, v30
	s_delay_alu instid0(VALU_DEP_1)
	v_add_co_ci_u32_e64 v4, s0, s27, v31, s0
	global_load_b64 v[23:24], v[3:4], off offset:-4
	s_or_b32 exec_lo, exec_lo, s1
	s_and_saveexec_b32 s33, vcc_lo
	s_cbranch_execz .LBB223_12
.LBB223_16:                             ;   in Loop: Header=BB223_4 Depth=1
	s_waitcnt vmcnt(0)
	v_xor_b32_e32 v0, 0x80000000, v2
	s_getpc_b64 s[0:1]
	s_add_u32 s0, s0, _ZN6thrust23THRUST_200600_302600_NS6detail7complex6ccoshfERKNS0_7complexIfEE@rel32@lo+4
	s_addc_u32 s1, s1, _ZN6thrust23THRUST_200600_302600_NS6detail7complex6ccoshfERKNS0_7complexIfEE@rel32@hi+12
	s_delay_alu instid0(SALU_CYCLE_1) | instskip(SKIP_1) | instid1(VALU_DEP_1)
	s_swappc_b64 s[30:31], s[0:1]
	v_add_co_u32 v2, s0, s26, v28
	v_add_co_ci_u32_e64 v3, null, s27, 0, s0
	global_store_b64 v[2:3], v[0:1], off
	s_or_b32 exec_lo, exec_lo, s33
	s_and_saveexec_b32 s33, s15
	s_cbranch_execz .LBB223_13
.LBB223_17:                             ;   in Loop: Header=BB223_4 Depth=1
	s_waitcnt vmcnt(0)
	v_xor_b32_e32 v0, 0x80000000, v26
	v_mov_b32_e32 v1, v25
	s_getpc_b64 s[0:1]
	s_add_u32 s0, s0, _ZN6thrust23THRUST_200600_302600_NS6detail7complex6ccoshfERKNS0_7complexIfEE@rel32@lo+4
	s_addc_u32 s1, s1, _ZN6thrust23THRUST_200600_302600_NS6detail7complex6ccoshfERKNS0_7complexIfEE@rel32@hi+12
	s_delay_alu instid0(SALU_CYCLE_1) | instskip(SKIP_1) | instid1(VALU_DEP_1)
	s_swappc_b64 s[30:31], s[0:1]
	v_add_co_u32 v2, s0, s26, v36
	v_add_co_ci_u32_e64 v3, null, s27, 0, s0
	global_store_b64 v[2:3], v[0:1], off
	s_or_b32 exec_lo, exec_lo, s33
	s_and_saveexec_b32 s15, s14
	s_cbranch_execz .LBB223_14
.LBB223_18:                             ;   in Loop: Header=BB223_4 Depth=1
	s_waitcnt vmcnt(0)
	v_xor_b32_e32 v0, 0x80000000, v22
	v_mov_b32_e32 v1, v21
	s_getpc_b64 s[0:1]
	s_add_u32 s0, s0, _ZN6thrust23THRUST_200600_302600_NS6detail7complex6ccoshfERKNS0_7complexIfEE@rel32@lo+4
	s_addc_u32 s1, s1, _ZN6thrust23THRUST_200600_302600_NS6detail7complex6ccoshfERKNS0_7complexIfEE@rel32@hi+12
	s_delay_alu instid0(SALU_CYCLE_1)
	s_swappc_b64 s[30:31], s[0:1]
	v_add_co_u32 v2, vcc_lo, s26, v37
	v_add_co_ci_u32_e32 v3, vcc_lo, s27, v35, vcc_lo
	global_store_b64 v[2:3], v[0:1], off offset:-4
	s_or_b32 exec_lo, exec_lo, s15
	s_and_saveexec_b32 s14, s11
	s_cbranch_execz .LBB223_3
.LBB223_19:                             ;   in Loop: Header=BB223_4 Depth=1
	s_waitcnt vmcnt(0)
	v_xor_b32_e32 v0, 0x80000000, v24
	v_mov_b32_e32 v1, v23
	s_getpc_b64 s[0:1]
	s_add_u32 s0, s0, _ZN6thrust23THRUST_200600_302600_NS6detail7complex6ccoshfERKNS0_7complexIfEE@rel32@lo+4
	s_addc_u32 s1, s1, _ZN6thrust23THRUST_200600_302600_NS6detail7complex6ccoshfERKNS0_7complexIfEE@rel32@hi+12
	s_delay_alu instid0(SALU_CYCLE_1)
	s_swappc_b64 s[30:31], s[0:1]
	v_add_co_u32 v2, vcc_lo, s26, v30
	v_add_co_ci_u32_e32 v3, vcc_lo, s27, v31, vcc_lo
	global_store_b64 v[2:3], v[0:1], off offset:-4
	s_branch .LBB223_3
.LBB223_20:
	s_cbranch_execz .LBB223_22
	s_branch .LBB223_25
.LBB223_21:
.LBB223_22:
	v_dual_mov_b32 v30, 0 :: v_dual_lshlrev_b32 v29, 2, v27
	s_mov_b32 s11, 0
	s_mov_b32 s0, exec_lo
	s_delay_alu instid0(VALU_DEP_1)
	v_cmpx_gt_i64_e64 s[16:17], v[29:30]
	s_cbranch_execz .LBB223_25
; %bb.23:
	s_load_b32 s0, s[12:13], 0xd3c
	v_lshlrev_b32_e32 v0, 5, v27
	s_waitcnt lgkmcnt(0)
	s_and_b32 s0, s0, 0xffff
	s_delay_alu instid0(SALU_CYCLE_1)
	s_lshl_b32 s12, s0, 2
	s_add_u32 s1, s18, s20
	s_addc_u32 s2, s19, s21
	v_add_co_u32 v31, s1, s1, v0
	v_add_lshl_u32 v29, v27, s0, 2
	v_add_co_ci_u32_e64 v32, null, s2, 0, s1
	s_lshl_b32 s13, s0, 5
.LBB223_24:                             ; =>This Inner Loop Header: Depth=1
	s_clause 0x1
	global_load_b128 v[21:24], v[31:32], off
	global_load_b128 v[25:28], v[31:32], off offset:16
	s_getpc_b64 s[14:15]
	s_add_u32 s14, s14, _ZN6thrust23THRUST_200600_302600_NS6detail7complex6ccoshfERKNS0_7complexIfEE@rel32@lo+4
	s_addc_u32 s15, s15, _ZN6thrust23THRUST_200600_302600_NS6detail7complex6ccoshfERKNS0_7complexIfEE@rel32@hi+12
	s_waitcnt vmcnt(1)
	v_xor_b32_e32 v0, 0x80000000, v22
	v_mov_b32_e32 v1, v21
	s_swappc_b64 s[30:31], s[14:15]
	s_delay_alu instid0(VALU_DEP_1) | instskip(SKIP_3) | instid1(VALU_DEP_1)
	v_dual_mov_b32 v21, v0 :: v_dual_mov_b32 v22, v1
	v_xor_b32_e32 v0, 0x80000000, v24
	v_mov_b32_e32 v1, v23
	s_swappc_b64 s[30:31], s[14:15]
	v_dual_mov_b32 v23, v0 :: v_dual_mov_b32 v24, v1
	v_xor_b32_e32 v0, 0x80000000, v26
	v_mov_b32_e32 v1, v25
	s_swappc_b64 s[30:31], s[14:15]
	s_delay_alu instid0(VALU_DEP_1)
	v_dual_mov_b32 v25, v0 :: v_dual_mov_b32 v26, v1
	v_xor_b32_e32 v0, 0x80000000, v28
	v_mov_b32_e32 v1, v27
	s_swappc_b64 s[30:31], s[14:15]
	v_cmp_le_i64_e32 vcc_lo, s[16:17], v[29:30]
	v_cmp_lt_u64_e64 s0, 0xffff, v[29:30]
	s_delay_alu instid0(VALU_DEP_3) | instskip(SKIP_1) | instid1(VALU_DEP_1)
	v_dual_mov_b32 v27, v0 :: v_dual_mov_b32 v28, v1
	v_add_co_u32 v29, s1, v29, s12
	v_add_co_ci_u32_e64 v30, s1, 0, v30, s1
	s_clause 0x1
	global_store_b128 v[31:32], v[21:24], off
	global_store_b128 v[31:32], v[25:28], off offset:16
	v_add_co_u32 v31, s1, v31, s13
	s_or_b32 s0, vcc_lo, s0
	v_add_co_ci_u32_e64 v32, vcc_lo, 0, v32, s1
	s_and_b32 s0, exec_lo, s0
	s_delay_alu instid0(SALU_CYCLE_1) | instskip(NEXT) | instid1(SALU_CYCLE_1)
	s_or_b32 s11, s0, s11
	s_and_not1_b32 exec_lo, exec_lo, s11
	s_cbranch_execnz .LBB223_24
.LBB223_25:
	s_endpgm
	.section	.rodata,"a",@progbits
	.p2align	6, 0x0
	.amdhsa_kernel _ZN2at6native12_GLOBAL__N_125multi_tensor_apply_kernelINS1_18TensorListMetadataILi1EEENS1_14UnaryOpFunctorIN3c107complexIfEELi1ELi1ELi0EEEJNS0_3CosIS8_EEEEEvT_T0_DpT1_
		.amdhsa_group_segment_fixed_size 0
		.amdhsa_private_segment_fixed_size 0
		.amdhsa_kernarg_size 3632
		.amdhsa_user_sgpr_count 15
		.amdhsa_user_sgpr_dispatch_ptr 0
		.amdhsa_user_sgpr_queue_ptr 0
		.amdhsa_user_sgpr_kernarg_segment_ptr 1
		.amdhsa_user_sgpr_dispatch_id 0
		.amdhsa_user_sgpr_private_segment_size 0
		.amdhsa_wavefront_size32 1
		.amdhsa_uses_dynamic_stack 0
		.amdhsa_enable_private_segment 0
		.amdhsa_system_sgpr_workgroup_id_x 1
		.amdhsa_system_sgpr_workgroup_id_y 0
		.amdhsa_system_sgpr_workgroup_id_z 0
		.amdhsa_system_sgpr_workgroup_info 0
		.amdhsa_system_vgpr_workitem_id 0
		.amdhsa_next_free_vgpr 40
		.amdhsa_next_free_sgpr 34
		.amdhsa_reserve_vcc 1
		.amdhsa_float_round_mode_32 0
		.amdhsa_float_round_mode_16_64 0
		.amdhsa_float_denorm_mode_32 3
		.amdhsa_float_denorm_mode_16_64 3
		.amdhsa_dx10_clamp 1
		.amdhsa_ieee_mode 1
		.amdhsa_fp16_overflow 0
		.amdhsa_workgroup_processor_mode 1
		.amdhsa_memory_ordered 1
		.amdhsa_forward_progress 0
		.amdhsa_shared_vgpr_count 0
		.amdhsa_exception_fp_ieee_invalid_op 0
		.amdhsa_exception_fp_denorm_src 0
		.amdhsa_exception_fp_ieee_div_zero 0
		.amdhsa_exception_fp_ieee_overflow 0
		.amdhsa_exception_fp_ieee_underflow 0
		.amdhsa_exception_fp_ieee_inexact 0
		.amdhsa_exception_int_div_zero 0
	.end_amdhsa_kernel
	.section	.text._ZN2at6native12_GLOBAL__N_125multi_tensor_apply_kernelINS1_18TensorListMetadataILi1EEENS1_14UnaryOpFunctorIN3c107complexIfEELi1ELi1ELi0EEEJNS0_3CosIS8_EEEEEvT_T0_DpT1_,"axG",@progbits,_ZN2at6native12_GLOBAL__N_125multi_tensor_apply_kernelINS1_18TensorListMetadataILi1EEENS1_14UnaryOpFunctorIN3c107complexIfEELi1ELi1ELi0EEEJNS0_3CosIS8_EEEEEvT_T0_DpT1_,comdat
.Lfunc_end223:
	.size	_ZN2at6native12_GLOBAL__N_125multi_tensor_apply_kernelINS1_18TensorListMetadataILi1EEENS1_14UnaryOpFunctorIN3c107complexIfEELi1ELi1ELi0EEEJNS0_3CosIS8_EEEEEvT_T0_DpT1_, .Lfunc_end223-_ZN2at6native12_GLOBAL__N_125multi_tensor_apply_kernelINS1_18TensorListMetadataILi1EEENS1_14UnaryOpFunctorIN3c107complexIfEELi1ELi1ELi0EEEJNS0_3CosIS8_EEEEEvT_T0_DpT1_
                                        ; -- End function
	.section	.AMDGPU.csdata,"",@progbits
; Kernel info:
; codeLenInByte = 1444
; NumSgprs: 36
; NumVgprs: 40
; ScratchSize: 0
; MemoryBound: 0
; FloatMode: 240
; IeeeMode: 1
; LDSByteSize: 0 bytes/workgroup (compile time only)
; SGPRBlocks: 4
; VGPRBlocks: 4
; NumSGPRsForWavesPerEU: 36
; NumVGPRsForWavesPerEU: 40
; Occupancy: 16
; WaveLimiterHint : 0
; COMPUTE_PGM_RSRC2:SCRATCH_EN: 0
; COMPUTE_PGM_RSRC2:USER_SGPR: 15
; COMPUTE_PGM_RSRC2:TRAP_HANDLER: 0
; COMPUTE_PGM_RSRC2:TGID_X_EN: 1
; COMPUTE_PGM_RSRC2:TGID_Y_EN: 0
; COMPUTE_PGM_RSRC2:TGID_Z_EN: 0
; COMPUTE_PGM_RSRC2:TIDIG_COMP_CNT: 0
	.section	.text._ZN2at6native12_GLOBAL__N_125multi_tensor_apply_kernelINS1_18TensorListMetadataILi1EEENS1_14UnaryOpFunctorIN3c104HalfELi1ELi1ELi0EEEJNS0_3CosIfEEEEEvT_T0_DpT1_,"axG",@progbits,_ZN2at6native12_GLOBAL__N_125multi_tensor_apply_kernelINS1_18TensorListMetadataILi1EEENS1_14UnaryOpFunctorIN3c104HalfELi1ELi1ELi0EEEJNS0_3CosIfEEEEEvT_T0_DpT1_,comdat
	.globl	_ZN2at6native12_GLOBAL__N_125multi_tensor_apply_kernelINS1_18TensorListMetadataILi1EEENS1_14UnaryOpFunctorIN3c104HalfELi1ELi1ELi0EEEJNS0_3CosIfEEEEEvT_T0_DpT1_ ; -- Begin function _ZN2at6native12_GLOBAL__N_125multi_tensor_apply_kernelINS1_18TensorListMetadataILi1EEENS1_14UnaryOpFunctorIN3c104HalfELi1ELi1ELi0EEEJNS0_3CosIfEEEEEvT_T0_DpT1_
	.p2align	8
	.type	_ZN2at6native12_GLOBAL__N_125multi_tensor_apply_kernelINS1_18TensorListMetadataILi1EEENS1_14UnaryOpFunctorIN3c104HalfELi1ELi1ELi0EEEJNS0_3CosIfEEEEEvT_T0_DpT1_,@function
_ZN2at6native12_GLOBAL__N_125multi_tensor_apply_kernelINS1_18TensorListMetadataILi1EEENS1_14UnaryOpFunctorIN3c104HalfELi1ELi1ELi0EEEJNS0_3CosIfEEEEEvT_T0_DpT1_: ; @_ZN2at6native12_GLOBAL__N_125multi_tensor_apply_kernelINS1_18TensorListMetadataILi1EEENS1_14UnaryOpFunctorIN3c104HalfELi1ELi1ELi0EEEJNS0_3CosIfEEEEEvT_T0_DpT1_
; %bb.0:
	v_mov_b32_e32 v1, s15
	s_add_u32 s2, s0, s15
	s_mul_hi_u32 s3, s15, 3
	s_mul_i32 s15, s15, 3
	s_addc_u32 s4, s1, 0
	global_load_u8 v1, v1, s[0:1] offset:1760
	s_add_u32 s2, s2, s15
	s_addc_u32 s3, s4, s3
	s_mov_b32 s7, 0
	s_load_b32 s2, s[2:3], 0x820
	s_waitcnt vmcnt(0)
	v_readfirstlane_b32 s5, v1
	s_delay_alu instid0(VALU_DEP_1)
	s_lshl_b32 s3, s5, 3
	s_clause 0x1
	s_load_b64 s[12:13], s[0:1], s3 offset:0x0
	s_load_b64 s[4:5], s[0:1], s3 offset:0x370
	s_waitcnt lgkmcnt(0)
	s_ashr_i32 s3, s2, 31
	s_delay_alu instid0(SALU_CYCLE_1)
	s_lshl_b64 s[14:15], s[2:3], 17
	s_lshl_b64 s[2:3], s[2:3], 16
	s_and_b32 s6, s12, 7
	s_sub_u32 s10, s4, s2
	s_subb_u32 s11, s5, s3
	s_and_b32 s2, s4, 3
	s_mov_b32 s3, s7
	s_delay_alu instid0(SALU_CYCLE_1) | instskip(NEXT) | instid1(SALU_CYCLE_1)
	s_or_b64 s[2:3], s[6:7], s[2:3]
	s_cmp_eq_u64 s[2:3], 0
	s_cbranch_scc1 .LBB224_37
; %bb.1:
	v_cmp_lt_i64_e64 s2, s[10:11], 1
	s_delay_alu instid0(VALU_DEP_1)
	s_and_b32 vcc_lo, exec_lo, s2
	s_cbranch_vccnz .LBB224_36
; %bb.2:
	s_load_b32 s2, s[0:1], 0xd3c
	v_cmp_gt_u64_e64 s3, 0x10000, s[10:11]
	v_dual_mov_b32 v2, 0 :: v_dual_lshlrev_b32 v1, 1, v0
	s_mov_b64 s[18:19], 0
	s_mov_b32 s22, 0x7fffff
	s_mov_b32 s23, 0xb94c1982
	;; [unrolled: 1-line block ×3, first 2 shown]
	s_waitcnt lgkmcnt(0)
	s_and_b32 s2, s2, 0xffff
	s_and_b32 s3, s3, exec_lo
	v_add_co_u32 v7, s5, v0, s2
	s_cselect_b32 s17, s11, 0
	s_cselect_b32 s16, s10, 0x10000
	s_lshl_b32 s3, s2, 1
	s_mul_i32 s4, s2, 3
	s_lshl_b32 s9, s2, 2
	v_add_co_ci_u32_e64 v8, null, 0, 0, s5
	s_add_u32 s5, s12, s14
	s_mul_i32 s20, s2, 6
	s_addc_u32 s6, s13, s15
	s_lshl_b32 s21, s2, 3
	v_add_co_u32 v9, s2, s4, v0
	s_delay_alu instid0(VALU_DEP_1) | instskip(SKIP_4) | instid1(VALU_DEP_1)
	v_add_co_ci_u32_e64 v10, null, 0, 0, s2
	v_add_co_u32 v3, s2, s5, v1
	v_lshlrev_b32_e32 v1, 1, v7
	v_add_co_ci_u32_e64 v4, null, s6, 0, s2
	v_add_co_u32 v11, s2, s3, v0
	v_add_co_ci_u32_e64 v12, null, 0, 0, s2
	s_delay_alu instid0(VALU_DEP_4) | instskip(NEXT) | instid1(VALU_DEP_1)
	v_add_co_u32 v5, s2, s5, v1
	v_add_co_ci_u32_e64 v6, null, s6, 0, s2
	s_branch .LBB224_4
.LBB224_3:                              ;   in Loop: Header=BB224_4 Depth=1
	s_or_b32 exec_lo, exec_lo, s2
	s_add_u32 s18, s18, s9
	s_addc_u32 s19, s19, 0
	v_add_co_u32 v3, vcc_lo, v3, s21
	v_cmp_ge_i64_e64 s2, s[18:19], s[10:11]
	v_cmp_lt_u64_e64 s3, 0xffff, s[18:19]
	v_add_co_ci_u32_e32 v4, vcc_lo, 0, v4, vcc_lo
	v_add_co_u32 v5, vcc_lo, v5, s21
	v_add_co_ci_u32_e32 v6, vcc_lo, 0, v6, vcc_lo
	s_delay_alu instid0(VALU_DEP_4) | instskip(NEXT) | instid1(SALU_CYCLE_1)
	s_or_b32 s2, s2, s3
	s_and_b32 vcc_lo, exec_lo, s2
	s_cbranch_vccnz .LBB224_36
.LBB224_4:                              ; =>This Inner Loop Header: Depth=1
	v_add_co_u32 v13, s2, v0, s18
	s_delay_alu instid0(VALU_DEP_1) | instskip(SKIP_1) | instid1(VALU_DEP_2)
	v_add_co_ci_u32_e64 v14, null, 0, s19, s2
	v_mov_b32_e32 v16, 0
	v_cmp_gt_u64_e64 s4, s[16:17], v[13:14]
	s_delay_alu instid0(VALU_DEP_1)
	s_and_saveexec_b32 s2, s4
	s_cbranch_execz .LBB224_6
; %bb.5:                                ;   in Loop: Header=BB224_4 Depth=1
	global_load_u16 v16, v[3:4], off
.LBB224_6:                              ;   in Loop: Header=BB224_4 Depth=1
	s_or_b32 exec_lo, exec_lo, s2
	v_add_co_u32 v13, vcc_lo, v7, s18
	v_add_co_ci_u32_e32 v14, vcc_lo, s19, v8, vcc_lo
	v_mov_b32_e32 v15, 0
	s_delay_alu instid0(VALU_DEP_2) | instskip(NEXT) | instid1(VALU_DEP_1)
	v_cmp_gt_u64_e64 s3, s[16:17], v[13:14]
	s_and_saveexec_b32 s2, s3
	s_cbranch_execz .LBB224_8
; %bb.7:                                ;   in Loop: Header=BB224_4 Depth=1
	global_load_u16 v15, v[5:6], off
.LBB224_8:                              ;   in Loop: Header=BB224_4 Depth=1
	s_or_b32 exec_lo, exec_lo, s2
	v_add_co_u32 v13, vcc_lo, v11, s18
	v_add_co_ci_u32_e32 v14, vcc_lo, s19, v12, vcc_lo
	s_delay_alu instid0(VALU_DEP_1) | instskip(SKIP_1) | instid1(VALU_DEP_2)
	v_cmp_gt_u64_e64 s2, s[16:17], v[13:14]
	v_dual_mov_b32 v13, 0 :: v_dual_mov_b32 v14, 0
	s_and_saveexec_b32 s5, s2
	s_cbranch_execz .LBB224_10
; %bb.9:                                ;   in Loop: Header=BB224_4 Depth=1
	v_add_co_u32 v17, vcc_lo, v3, s9
	v_add_co_ci_u32_e32 v18, vcc_lo, 0, v4, vcc_lo
	global_load_u16 v14, v[17:18], off
.LBB224_10:                             ;   in Loop: Header=BB224_4 Depth=1
	s_or_b32 exec_lo, exec_lo, s5
	v_add_co_u32 v17, vcc_lo, v9, s18
	v_add_co_ci_u32_e32 v18, vcc_lo, s19, v10, vcc_lo
	s_delay_alu instid0(VALU_DEP_1)
	v_cmp_gt_u64_e32 vcc_lo, s[16:17], v[17:18]
	s_and_saveexec_b32 s6, vcc_lo
	s_cbranch_execz .LBB224_12
; %bb.11:                               ;   in Loop: Header=BB224_4 Depth=1
	v_add_co_u32 v17, s5, v3, s20
	s_delay_alu instid0(VALU_DEP_1)
	v_add_co_ci_u32_e64 v18, s5, 0, v4, s5
	global_load_u16 v13, v[17:18], off
.LBB224_12:                             ;   in Loop: Header=BB224_4 Depth=1
	s_or_b32 exec_lo, exec_lo, s6
	s_waitcnt vmcnt(0)
	v_cvt_f32_f16_e64 v17, |v16|
                                        ; implicit-def: $vgpr18
	s_mov_b32 s6, exec_lo
	s_delay_alu instid0(VALU_DEP_1)
	v_cmpx_ngt_f32_e32 0x48000000, v17
	s_xor_b32 s25, exec_lo, s6
	s_cbranch_execz .LBB224_14
; %bb.13:                               ;   in Loop: Header=BB224_4 Depth=1
	v_and_or_b32 v26, v17, s22, 0x800000
	v_lshrrev_b32_e32 v17, 23, v17
	s_delay_alu instid0(VALU_DEP_2) | instskip(NEXT) | instid1(VALU_DEP_2)
	v_mad_u64_u32 v[18:19], null, 0xfe5163ab, v26, 0
	v_add_nc_u32_e32 v17, 0xffffff88, v17
	s_delay_alu instid0(VALU_DEP_1) | instskip(NEXT) | instid1(VALU_DEP_3)
	v_cmp_lt_u32_e64 s5, 63, v17
	v_mov_b32_e32 v1, v19
	s_delay_alu instid0(VALU_DEP_2) | instskip(NEXT) | instid1(VALU_DEP_2)
	v_cndmask_b32_e64 v24, 0, 0xffffffc0, s5
	v_mad_u64_u32 v[19:20], null, 0x3c439041, v26, v[1:2]
	s_delay_alu instid0(VALU_DEP_2) | instskip(NEXT) | instid1(VALU_DEP_2)
	v_add_nc_u32_e32 v17, v24, v17
	v_mov_b32_e32 v1, v20
	s_delay_alu instid0(VALU_DEP_2) | instskip(NEXT) | instid1(VALU_DEP_2)
	v_cmp_lt_u32_e64 s6, 31, v17
	v_mad_u64_u32 v[20:21], null, 0xdb629599, v26, v[1:2]
	s_delay_alu instid0(VALU_DEP_2) | instskip(NEXT) | instid1(VALU_DEP_1)
	v_cndmask_b32_e64 v25, 0, 0xffffffe0, s6
	v_add_nc_u32_e32 v17, v25, v17
	s_delay_alu instid0(VALU_DEP_3) | instskip(NEXT) | instid1(VALU_DEP_4)
	v_mov_b32_e32 v1, v21
	v_cndmask_b32_e64 v18, v20, v18, s5
	s_delay_alu instid0(VALU_DEP_3) | instskip(NEXT) | instid1(VALU_DEP_3)
	v_cmp_lt_u32_e64 s7, 31, v17
	v_mad_u64_u32 v[21:22], null, 0xf534ddc0, v26, v[1:2]
	s_delay_alu instid0(VALU_DEP_1) | instskip(NEXT) | instid1(VALU_DEP_1)
	v_mov_b32_e32 v1, v22
	v_mad_u64_u32 v[22:23], null, 0xfc2757d1, v26, v[1:2]
	s_delay_alu instid0(VALU_DEP_1) | instskip(NEXT) | instid1(VALU_DEP_1)
	v_mov_b32_e32 v1, v23
	;; [unrolled: 3-line block ×3, first 2 shown]
	v_mad_u64_u32 v[24:25], null, 0xa2f9836e, v26, v[1:2]
	v_cndmask_b32_e64 v1, 0, 0xffffffe0, s7
	s_delay_alu instid0(VALU_DEP_4) | instskip(NEXT) | instid1(VALU_DEP_2)
	v_cndmask_b32_e64 v26, v23, v21, s5
	v_add_nc_u32_e32 v1, v1, v17
	s_delay_alu instid0(VALU_DEP_4)
	v_cndmask_b32_e64 v24, v24, v22, s5
	v_cndmask_b32_e64 v23, v25, v23, s5
	;; [unrolled: 1-line block ×4, first 2 shown]
	v_cmp_eq_u32_e64 s8, 0, v1
	v_cndmask_b32_e64 v19, v24, v26, s6
	v_cndmask_b32_e64 v21, v23, v24, s6
	;; [unrolled: 1-line block ×3, first 2 shown]
	v_sub_nc_u32_e32 v24, 32, v1
	v_cndmask_b32_e64 v22, v22, v17, s6
	v_cndmask_b32_e64 v17, v17, v18, s6
	;; [unrolled: 1-line block ×4, first 2 shown]
	s_delay_alu instid0(VALU_DEP_4) | instskip(NEXT) | instid1(VALU_DEP_4)
	v_cndmask_b32_e64 v23, v23, v22, s7
	v_cndmask_b32_e64 v17, v22, v17, s7
	s_delay_alu instid0(VALU_DEP_3) | instskip(NEXT) | instid1(VALU_DEP_3)
	v_alignbit_b32 v25, v21, v19, v24
	v_alignbit_b32 v26, v19, v23, v24
	s_delay_alu instid0(VALU_DEP_3) | instskip(NEXT) | instid1(VALU_DEP_3)
	v_alignbit_b32 v24, v23, v17, v24
	v_cndmask_b32_e64 v1, v25, v21, s8
	s_delay_alu instid0(VALU_DEP_3) | instskip(NEXT) | instid1(VALU_DEP_3)
	v_cndmask_b32_e64 v19, v26, v19, s8
	v_cndmask_b32_e64 v23, v24, v23, s8
	s_delay_alu instid0(VALU_DEP_3) | instskip(NEXT) | instid1(VALU_DEP_3)
	v_bfe_u32 v20, v1, 29, 1
	v_alignbit_b32 v18, v1, v19, 30
	s_delay_alu instid0(VALU_DEP_3) | instskip(SKIP_1) | instid1(VALU_DEP_4)
	v_alignbit_b32 v19, v19, v23, 30
	v_alignbit_b32 v17, v23, v17, 30
	v_sub_nc_u32_e32 v21, 0, v20
	s_delay_alu instid0(VALU_DEP_1) | instskip(SKIP_3) | instid1(VALU_DEP_4)
	v_xor_b32_e32 v22, v18, v21
	v_cmp_ne_u32_e64 s5, v18, v21
	v_xor_b32_e32 v19, v19, v21
	v_xor_b32_e32 v17, v17, v21
	v_clz_i32_u32_e32 v25, v22
	s_delay_alu instid0(VALU_DEP_1) | instskip(NEXT) | instid1(VALU_DEP_1)
	v_add_nc_u32_e32 v24, 1, v25
	v_cndmask_b32_e64 v18, 33, v24, s5
	s_delay_alu instid0(VALU_DEP_1) | instskip(NEXT) | instid1(VALU_DEP_1)
	v_sub_nc_u32_e32 v23, 32, v18
	v_alignbit_b32 v21, v22, v19, v23
	v_alignbit_b32 v17, v19, v17, v23
	v_lshrrev_b32_e32 v19, 29, v1
	v_lshrrev_b32_e32 v1, 30, v1
	s_delay_alu instid0(VALU_DEP_3) | instskip(NEXT) | instid1(VALU_DEP_3)
	v_alignbit_b32 v22, v21, v17, 9
	v_lshlrev_b32_e32 v19, 31, v19
	v_alignbit_b32 v21, v18, v21, 9
	s_delay_alu instid0(VALU_DEP_3) | instskip(NEXT) | instid1(VALU_DEP_2)
	v_clz_i32_u32_e32 v23, v22
	v_or_b32_e32 v21, v21, v19
	v_or_b32_e32 v19, 0x33800000, v19
	s_delay_alu instid0(VALU_DEP_3) | instskip(NEXT) | instid1(VALU_DEP_3)
	v_min_u32_e32 v23, 32, v23
	v_xor_b32_e32 v21, 1.0, v21
	s_delay_alu instid0(VALU_DEP_2) | instskip(SKIP_1) | instid1(VALU_DEP_3)
	v_sub_nc_u32_e32 v24, 31, v23
	v_add_lshl_u32 v18, v23, v18, 23
	v_mul_f32_e32 v23, 0x3fc90fda, v21
	s_delay_alu instid0(VALU_DEP_3) | instskip(NEXT) | instid1(VALU_DEP_3)
	v_alignbit_b32 v17, v22, v17, v24
	v_sub_nc_u32_e32 v18, v19, v18
	s_delay_alu instid0(VALU_DEP_3) | instskip(NEXT) | instid1(VALU_DEP_3)
	v_fma_f32 v19, 0x3fc90fda, v21, -v23
	v_lshrrev_b32_e32 v17, 9, v17
	s_delay_alu instid0(VALU_DEP_2) | instskip(NEXT) | instid1(VALU_DEP_2)
	v_fmac_f32_e32 v19, 0x33a22168, v21
	v_or_b32_e32 v17, v18, v17
	v_add_nc_u32_e32 v18, v20, v1
	s_delay_alu instid0(VALU_DEP_2) | instskip(NEXT) | instid1(VALU_DEP_1)
	v_fmac_f32_e32 v19, 0x3fc90fda, v17
	v_add_f32_e32 v17, v23, v19
.LBB224_14:                             ;   in Loop: Header=BB224_4 Depth=1
	s_and_not1_saveexec_b32 s5, s25
; %bb.15:                               ;   in Loop: Header=BB224_4 Depth=1
	s_delay_alu instid0(VALU_DEP_1) | instskip(NEXT) | instid1(VALU_DEP_1)
	v_mul_f32_e32 v1, 0x3f22f983, v17
	v_rndne_f32_e32 v1, v1
	s_delay_alu instid0(VALU_DEP_1) | instskip(SKIP_1) | instid1(VALU_DEP_2)
	v_fmac_f32_e32 v17, 0xbfc90fda, v1
	v_cvt_i32_f32_e32 v18, v1
	v_fmac_f32_e32 v17, 0xb3a22168, v1
	s_delay_alu instid0(VALU_DEP_1)
	v_fmac_f32_e32 v17, 0xa7c234c4, v1
; %bb.16:                               ;   in Loop: Header=BB224_4 Depth=1
	s_or_b32 exec_lo, exec_lo, s5
	v_cvt_f32_f16_e64 v19, |v15|
                                        ; implicit-def: $vgpr20
	s_mov_b32 s6, exec_lo
	s_delay_alu instid0(VALU_DEP_1)
	v_cmpx_ngt_f32_e32 0x48000000, v19
	s_xor_b32 s25, exec_lo, s6
	s_cbranch_execz .LBB224_18
; %bb.17:                               ;   in Loop: Header=BB224_4 Depth=1
	v_and_or_b32 v28, v19, s22, 0x800000
	v_lshrrev_b32_e32 v19, 23, v19
	s_delay_alu instid0(VALU_DEP_2) | instskip(NEXT) | instid1(VALU_DEP_2)
	v_mad_u64_u32 v[20:21], null, 0xfe5163ab, v28, 0
	v_add_nc_u32_e32 v19, 0xffffff88, v19
	s_delay_alu instid0(VALU_DEP_1) | instskip(NEXT) | instid1(VALU_DEP_3)
	v_cmp_lt_u32_e64 s5, 63, v19
	v_mov_b32_e32 v1, v21
	s_delay_alu instid0(VALU_DEP_2) | instskip(NEXT) | instid1(VALU_DEP_2)
	v_cndmask_b32_e64 v26, 0, 0xffffffc0, s5
	v_mad_u64_u32 v[21:22], null, 0x3c439041, v28, v[1:2]
	s_delay_alu instid0(VALU_DEP_2) | instskip(NEXT) | instid1(VALU_DEP_2)
	v_add_nc_u32_e32 v19, v26, v19
	v_mov_b32_e32 v1, v22
	s_delay_alu instid0(VALU_DEP_2) | instskip(NEXT) | instid1(VALU_DEP_2)
	v_cmp_lt_u32_e64 s6, 31, v19
	v_mad_u64_u32 v[22:23], null, 0xdb629599, v28, v[1:2]
	s_delay_alu instid0(VALU_DEP_2) | instskip(NEXT) | instid1(VALU_DEP_1)
	v_cndmask_b32_e64 v27, 0, 0xffffffe0, s6
	v_add_nc_u32_e32 v19, v27, v19
	s_delay_alu instid0(VALU_DEP_3) | instskip(NEXT) | instid1(VALU_DEP_4)
	v_mov_b32_e32 v1, v23
	v_cndmask_b32_e64 v20, v22, v20, s5
	s_delay_alu instid0(VALU_DEP_3) | instskip(NEXT) | instid1(VALU_DEP_3)
	v_cmp_lt_u32_e64 s7, 31, v19
	v_mad_u64_u32 v[23:24], null, 0xf534ddc0, v28, v[1:2]
	s_delay_alu instid0(VALU_DEP_1) | instskip(NEXT) | instid1(VALU_DEP_1)
	v_mov_b32_e32 v1, v24
	v_mad_u64_u32 v[24:25], null, 0xfc2757d1, v28, v[1:2]
	s_delay_alu instid0(VALU_DEP_1) | instskip(NEXT) | instid1(VALU_DEP_1)
	v_mov_b32_e32 v1, v25
	v_mad_u64_u32 v[25:26], null, 0x4e441529, v28, v[1:2]
	s_delay_alu instid0(VALU_DEP_1) | instskip(NEXT) | instid1(VALU_DEP_1)
	v_mov_b32_e32 v1, v26
	v_mad_u64_u32 v[26:27], null, 0xa2f9836e, v28, v[1:2]
	v_cndmask_b32_e64 v1, 0, 0xffffffe0, s7
	s_delay_alu instid0(VALU_DEP_4) | instskip(NEXT) | instid1(VALU_DEP_2)
	v_cndmask_b32_e64 v28, v25, v23, s5
	v_add_nc_u32_e32 v1, v1, v19
	s_delay_alu instid0(VALU_DEP_4)
	v_cndmask_b32_e64 v26, v26, v24, s5
	v_cndmask_b32_e64 v25, v27, v25, s5
	;; [unrolled: 1-line block ×4, first 2 shown]
	v_cmp_eq_u32_e64 s8, 0, v1
	v_cndmask_b32_e64 v21, v26, v28, s6
	v_cndmask_b32_e64 v23, v25, v26, s6
	;; [unrolled: 1-line block ×3, first 2 shown]
	v_sub_nc_u32_e32 v26, 32, v1
	v_cndmask_b32_e64 v24, v24, v19, s6
	v_cndmask_b32_e64 v19, v19, v20, s6
	;; [unrolled: 1-line block ×4, first 2 shown]
	s_delay_alu instid0(VALU_DEP_4) | instskip(NEXT) | instid1(VALU_DEP_4)
	v_cndmask_b32_e64 v25, v25, v24, s7
	v_cndmask_b32_e64 v19, v24, v19, s7
	s_delay_alu instid0(VALU_DEP_3) | instskip(NEXT) | instid1(VALU_DEP_3)
	v_alignbit_b32 v27, v23, v21, v26
	v_alignbit_b32 v28, v21, v25, v26
	s_delay_alu instid0(VALU_DEP_3) | instskip(NEXT) | instid1(VALU_DEP_3)
	v_alignbit_b32 v26, v25, v19, v26
	v_cndmask_b32_e64 v1, v27, v23, s8
	s_delay_alu instid0(VALU_DEP_3) | instskip(NEXT) | instid1(VALU_DEP_3)
	v_cndmask_b32_e64 v21, v28, v21, s8
	v_cndmask_b32_e64 v25, v26, v25, s8
	s_delay_alu instid0(VALU_DEP_3) | instskip(NEXT) | instid1(VALU_DEP_3)
	v_bfe_u32 v22, v1, 29, 1
	v_alignbit_b32 v20, v1, v21, 30
	s_delay_alu instid0(VALU_DEP_3) | instskip(SKIP_1) | instid1(VALU_DEP_4)
	v_alignbit_b32 v21, v21, v25, 30
	v_alignbit_b32 v19, v25, v19, 30
	v_sub_nc_u32_e32 v23, 0, v22
	s_delay_alu instid0(VALU_DEP_1) | instskip(SKIP_3) | instid1(VALU_DEP_4)
	v_xor_b32_e32 v24, v20, v23
	v_cmp_ne_u32_e64 s5, v20, v23
	v_xor_b32_e32 v21, v21, v23
	v_xor_b32_e32 v19, v19, v23
	v_clz_i32_u32_e32 v27, v24
	s_delay_alu instid0(VALU_DEP_1) | instskip(NEXT) | instid1(VALU_DEP_1)
	v_add_nc_u32_e32 v26, 1, v27
	v_cndmask_b32_e64 v20, 33, v26, s5
	s_delay_alu instid0(VALU_DEP_1) | instskip(NEXT) | instid1(VALU_DEP_1)
	v_sub_nc_u32_e32 v25, 32, v20
	v_alignbit_b32 v23, v24, v21, v25
	v_alignbit_b32 v19, v21, v19, v25
	v_lshrrev_b32_e32 v21, 29, v1
	v_lshrrev_b32_e32 v1, 30, v1
	s_delay_alu instid0(VALU_DEP_3) | instskip(NEXT) | instid1(VALU_DEP_3)
	v_alignbit_b32 v24, v23, v19, 9
	v_lshlrev_b32_e32 v21, 31, v21
	v_alignbit_b32 v23, v20, v23, 9
	s_delay_alu instid0(VALU_DEP_3) | instskip(NEXT) | instid1(VALU_DEP_2)
	v_clz_i32_u32_e32 v25, v24
	v_or_b32_e32 v23, v23, v21
	v_or_b32_e32 v21, 0x33800000, v21
	s_delay_alu instid0(VALU_DEP_3) | instskip(NEXT) | instid1(VALU_DEP_3)
	v_min_u32_e32 v25, 32, v25
	v_xor_b32_e32 v23, 1.0, v23
	s_delay_alu instid0(VALU_DEP_2) | instskip(SKIP_1) | instid1(VALU_DEP_3)
	v_sub_nc_u32_e32 v26, 31, v25
	v_add_lshl_u32 v20, v25, v20, 23
	v_mul_f32_e32 v25, 0x3fc90fda, v23
	s_delay_alu instid0(VALU_DEP_3) | instskip(NEXT) | instid1(VALU_DEP_3)
	v_alignbit_b32 v19, v24, v19, v26
	v_sub_nc_u32_e32 v20, v21, v20
	s_delay_alu instid0(VALU_DEP_2) | instskip(NEXT) | instid1(VALU_DEP_1)
	v_lshrrev_b32_e32 v19, 9, v19
	v_or_b32_e32 v19, v20, v19
	v_add_nc_u32_e32 v20, v22, v1
	v_fma_f32 v21, 0x3fc90fda, v23, -v25
	s_delay_alu instid0(VALU_DEP_1) | instskip(NEXT) | instid1(VALU_DEP_1)
	v_fmac_f32_e32 v21, 0x33a22168, v23
	v_fmac_f32_e32 v21, 0x3fc90fda, v19
	s_delay_alu instid0(VALU_DEP_1)
	v_add_f32_e32 v19, v25, v21
.LBB224_18:                             ;   in Loop: Header=BB224_4 Depth=1
	s_and_not1_saveexec_b32 s5, s25
; %bb.19:                               ;   in Loop: Header=BB224_4 Depth=1
	s_delay_alu instid0(VALU_DEP_1) | instskip(NEXT) | instid1(VALU_DEP_1)
	v_mul_f32_e32 v1, 0x3f22f983, v19
	v_rndne_f32_e32 v1, v1
	s_delay_alu instid0(VALU_DEP_1) | instskip(SKIP_1) | instid1(VALU_DEP_2)
	v_fmac_f32_e32 v19, 0xbfc90fda, v1
	v_cvt_i32_f32_e32 v20, v1
	v_fmac_f32_e32 v19, 0xb3a22168, v1
	s_delay_alu instid0(VALU_DEP_1)
	v_fmac_f32_e32 v19, 0xa7c234c4, v1
; %bb.20:                               ;   in Loop: Header=BB224_4 Depth=1
	s_or_b32 exec_lo, exec_lo, s5
	v_cvt_f32_f16_e64 v21, |v14|
                                        ; implicit-def: $vgpr22
	s_mov_b32 s6, exec_lo
	s_delay_alu instid0(VALU_DEP_1)
	v_cmpx_ngt_f32_e32 0x48000000, v21
	s_xor_b32 s25, exec_lo, s6
	s_cbranch_execz .LBB224_22
; %bb.21:                               ;   in Loop: Header=BB224_4 Depth=1
	v_and_or_b32 v30, v21, s22, 0x800000
	v_lshrrev_b32_e32 v21, 23, v21
	s_delay_alu instid0(VALU_DEP_2) | instskip(NEXT) | instid1(VALU_DEP_2)
	v_mad_u64_u32 v[22:23], null, 0xfe5163ab, v30, 0
	v_add_nc_u32_e32 v21, 0xffffff88, v21
	s_delay_alu instid0(VALU_DEP_1) | instskip(NEXT) | instid1(VALU_DEP_3)
	v_cmp_lt_u32_e64 s5, 63, v21
	v_mov_b32_e32 v1, v23
	s_delay_alu instid0(VALU_DEP_2) | instskip(NEXT) | instid1(VALU_DEP_2)
	v_cndmask_b32_e64 v28, 0, 0xffffffc0, s5
	v_mad_u64_u32 v[23:24], null, 0x3c439041, v30, v[1:2]
	s_delay_alu instid0(VALU_DEP_2) | instskip(NEXT) | instid1(VALU_DEP_2)
	v_add_nc_u32_e32 v21, v28, v21
	v_mov_b32_e32 v1, v24
	s_delay_alu instid0(VALU_DEP_2) | instskip(NEXT) | instid1(VALU_DEP_2)
	v_cmp_lt_u32_e64 s6, 31, v21
	v_mad_u64_u32 v[24:25], null, 0xdb629599, v30, v[1:2]
	s_delay_alu instid0(VALU_DEP_2) | instskip(NEXT) | instid1(VALU_DEP_1)
	v_cndmask_b32_e64 v29, 0, 0xffffffe0, s6
	v_add_nc_u32_e32 v21, v29, v21
	s_delay_alu instid0(VALU_DEP_3) | instskip(NEXT) | instid1(VALU_DEP_4)
	v_mov_b32_e32 v1, v25
	v_cndmask_b32_e64 v22, v24, v22, s5
	s_delay_alu instid0(VALU_DEP_3) | instskip(NEXT) | instid1(VALU_DEP_3)
	v_cmp_lt_u32_e64 s7, 31, v21
	v_mad_u64_u32 v[25:26], null, 0xf534ddc0, v30, v[1:2]
	s_delay_alu instid0(VALU_DEP_1) | instskip(NEXT) | instid1(VALU_DEP_1)
	v_mov_b32_e32 v1, v26
	v_mad_u64_u32 v[26:27], null, 0xfc2757d1, v30, v[1:2]
	s_delay_alu instid0(VALU_DEP_1) | instskip(NEXT) | instid1(VALU_DEP_1)
	v_mov_b32_e32 v1, v27
	v_mad_u64_u32 v[27:28], null, 0x4e441529, v30, v[1:2]
	s_delay_alu instid0(VALU_DEP_1) | instskip(NEXT) | instid1(VALU_DEP_1)
	v_mov_b32_e32 v1, v28
	v_mad_u64_u32 v[28:29], null, 0xa2f9836e, v30, v[1:2]
	v_cndmask_b32_e64 v1, 0, 0xffffffe0, s7
	s_delay_alu instid0(VALU_DEP_4) | instskip(NEXT) | instid1(VALU_DEP_2)
	v_cndmask_b32_e64 v30, v27, v25, s5
	v_add_nc_u32_e32 v1, v1, v21
	s_delay_alu instid0(VALU_DEP_4)
	v_cndmask_b32_e64 v28, v28, v26, s5
	v_cndmask_b32_e64 v27, v29, v27, s5
	;; [unrolled: 1-line block ×4, first 2 shown]
	v_cmp_eq_u32_e64 s8, 0, v1
	v_cndmask_b32_e64 v23, v28, v30, s6
	v_cndmask_b32_e64 v25, v27, v28, s6
	;; [unrolled: 1-line block ×3, first 2 shown]
	v_sub_nc_u32_e32 v28, 32, v1
	v_cndmask_b32_e64 v26, v26, v21, s6
	v_cndmask_b32_e64 v21, v21, v22, s6
	;; [unrolled: 1-line block ×4, first 2 shown]
	s_delay_alu instid0(VALU_DEP_4) | instskip(NEXT) | instid1(VALU_DEP_4)
	v_cndmask_b32_e64 v27, v27, v26, s7
	v_cndmask_b32_e64 v21, v26, v21, s7
	s_delay_alu instid0(VALU_DEP_3) | instskip(NEXT) | instid1(VALU_DEP_3)
	v_alignbit_b32 v29, v25, v23, v28
	v_alignbit_b32 v30, v23, v27, v28
	s_delay_alu instid0(VALU_DEP_3) | instskip(NEXT) | instid1(VALU_DEP_3)
	v_alignbit_b32 v28, v27, v21, v28
	v_cndmask_b32_e64 v1, v29, v25, s8
	s_delay_alu instid0(VALU_DEP_3) | instskip(NEXT) | instid1(VALU_DEP_3)
	v_cndmask_b32_e64 v23, v30, v23, s8
	v_cndmask_b32_e64 v27, v28, v27, s8
	s_delay_alu instid0(VALU_DEP_3) | instskip(NEXT) | instid1(VALU_DEP_3)
	v_bfe_u32 v24, v1, 29, 1
	v_alignbit_b32 v22, v1, v23, 30
	s_delay_alu instid0(VALU_DEP_3) | instskip(SKIP_1) | instid1(VALU_DEP_4)
	v_alignbit_b32 v23, v23, v27, 30
	v_alignbit_b32 v21, v27, v21, 30
	v_sub_nc_u32_e32 v25, 0, v24
	s_delay_alu instid0(VALU_DEP_1) | instskip(SKIP_3) | instid1(VALU_DEP_4)
	v_xor_b32_e32 v26, v22, v25
	v_cmp_ne_u32_e64 s5, v22, v25
	v_xor_b32_e32 v23, v23, v25
	v_xor_b32_e32 v21, v21, v25
	v_clz_i32_u32_e32 v29, v26
	s_delay_alu instid0(VALU_DEP_1) | instskip(NEXT) | instid1(VALU_DEP_1)
	v_add_nc_u32_e32 v28, 1, v29
	v_cndmask_b32_e64 v22, 33, v28, s5
	s_delay_alu instid0(VALU_DEP_1) | instskip(NEXT) | instid1(VALU_DEP_1)
	v_sub_nc_u32_e32 v27, 32, v22
	v_alignbit_b32 v25, v26, v23, v27
	v_alignbit_b32 v21, v23, v21, v27
	v_lshrrev_b32_e32 v23, 29, v1
	v_lshrrev_b32_e32 v1, 30, v1
	s_delay_alu instid0(VALU_DEP_3) | instskip(NEXT) | instid1(VALU_DEP_3)
	v_alignbit_b32 v26, v25, v21, 9
	v_lshlrev_b32_e32 v23, 31, v23
	v_alignbit_b32 v25, v22, v25, 9
	s_delay_alu instid0(VALU_DEP_3) | instskip(NEXT) | instid1(VALU_DEP_2)
	v_clz_i32_u32_e32 v27, v26
	v_or_b32_e32 v25, v25, v23
	v_or_b32_e32 v23, 0x33800000, v23
	s_delay_alu instid0(VALU_DEP_3) | instskip(NEXT) | instid1(VALU_DEP_3)
	v_min_u32_e32 v27, 32, v27
	v_xor_b32_e32 v25, 1.0, v25
	s_delay_alu instid0(VALU_DEP_2) | instskip(SKIP_1) | instid1(VALU_DEP_3)
	v_sub_nc_u32_e32 v28, 31, v27
	v_add_lshl_u32 v22, v27, v22, 23
	v_mul_f32_e32 v27, 0x3fc90fda, v25
	s_delay_alu instid0(VALU_DEP_3) | instskip(NEXT) | instid1(VALU_DEP_3)
	v_alignbit_b32 v21, v26, v21, v28
	v_sub_nc_u32_e32 v22, v23, v22
	s_delay_alu instid0(VALU_DEP_3) | instskip(NEXT) | instid1(VALU_DEP_3)
	v_fma_f32 v23, 0x3fc90fda, v25, -v27
	v_lshrrev_b32_e32 v21, 9, v21
	s_delay_alu instid0(VALU_DEP_2) | instskip(NEXT) | instid1(VALU_DEP_2)
	v_fmac_f32_e32 v23, 0x33a22168, v25
	v_or_b32_e32 v21, v22, v21
	v_add_nc_u32_e32 v22, v24, v1
	s_delay_alu instid0(VALU_DEP_2) | instskip(NEXT) | instid1(VALU_DEP_1)
	v_fmac_f32_e32 v23, 0x3fc90fda, v21
	v_add_f32_e32 v21, v27, v23
.LBB224_22:                             ;   in Loop: Header=BB224_4 Depth=1
	s_and_not1_saveexec_b32 s5, s25
; %bb.23:                               ;   in Loop: Header=BB224_4 Depth=1
	s_delay_alu instid0(VALU_DEP_1) | instskip(NEXT) | instid1(VALU_DEP_1)
	v_mul_f32_e32 v1, 0x3f22f983, v21
	v_rndne_f32_e32 v1, v1
	s_delay_alu instid0(VALU_DEP_1) | instskip(SKIP_1) | instid1(VALU_DEP_2)
	v_fmac_f32_e32 v21, 0xbfc90fda, v1
	v_cvt_i32_f32_e32 v22, v1
	v_fmac_f32_e32 v21, 0xb3a22168, v1
	s_delay_alu instid0(VALU_DEP_1)
	v_fmac_f32_e32 v21, 0xa7c234c4, v1
; %bb.24:                               ;   in Loop: Header=BB224_4 Depth=1
	s_or_b32 exec_lo, exec_lo, s5
	v_cvt_f32_f16_e64 v23, |v13|
                                        ; implicit-def: $vgpr1
	s_mov_b32 s6, exec_lo
	s_delay_alu instid0(VALU_DEP_1)
	v_cmpx_ngt_f32_e32 0x48000000, v23
	s_xor_b32 s25, exec_lo, s6
	s_cbranch_execnz .LBB224_30
; %bb.25:                               ;   in Loop: Header=BB224_4 Depth=1
	s_and_not1_saveexec_b32 s5, s25
	s_cbranch_execnz .LBB224_31
.LBB224_26:                             ;   in Loop: Header=BB224_4 Depth=1
	s_or_b32 exec_lo, exec_lo, s5
	s_and_saveexec_b32 s5, s4
	s_delay_alu instid0(SALU_CYCLE_1)
	s_xor_b32 s5, exec_lo, s5
	s_cbranch_execnz .LBB224_32
.LBB224_27:                             ;   in Loop: Header=BB224_4 Depth=1
	s_or_b32 exec_lo, exec_lo, s5
	s_and_saveexec_b32 s4, s3
	s_cbranch_execnz .LBB224_33
.LBB224_28:                             ;   in Loop: Header=BB224_4 Depth=1
	s_or_b32 exec_lo, exec_lo, s4
	s_and_saveexec_b32 s3, s2
	s_cbranch_execnz .LBB224_34
.LBB224_29:                             ;   in Loop: Header=BB224_4 Depth=1
	s_or_b32 exec_lo, exec_lo, s3
	s_and_saveexec_b32 s2, vcc_lo
	s_cbranch_execz .LBB224_3
	s_branch .LBB224_35
.LBB224_30:                             ;   in Loop: Header=BB224_4 Depth=1
	v_and_or_b32 v32, v23, s22, 0x800000
	v_lshrrev_b32_e32 v23, 23, v23
	s_delay_alu instid0(VALU_DEP_2) | instskip(NEXT) | instid1(VALU_DEP_2)
	v_mad_u64_u32 v[24:25], null, 0xfe5163ab, v32, 0
	v_add_nc_u32_e32 v23, 0xffffff88, v23
	s_delay_alu instid0(VALU_DEP_1) | instskip(NEXT) | instid1(VALU_DEP_3)
	v_cmp_lt_u32_e64 s5, 63, v23
	v_mov_b32_e32 v1, v25
	s_delay_alu instid0(VALU_DEP_2) | instskip(NEXT) | instid1(VALU_DEP_2)
	v_cndmask_b32_e64 v30, 0, 0xffffffc0, s5
	v_mad_u64_u32 v[25:26], null, 0x3c439041, v32, v[1:2]
	s_delay_alu instid0(VALU_DEP_2) | instskip(NEXT) | instid1(VALU_DEP_2)
	v_add_nc_u32_e32 v23, v30, v23
	v_mov_b32_e32 v1, v26
	s_delay_alu instid0(VALU_DEP_2) | instskip(NEXT) | instid1(VALU_DEP_2)
	v_cmp_lt_u32_e64 s6, 31, v23
	v_mad_u64_u32 v[26:27], null, 0xdb629599, v32, v[1:2]
	s_delay_alu instid0(VALU_DEP_2) | instskip(NEXT) | instid1(VALU_DEP_1)
	v_cndmask_b32_e64 v31, 0, 0xffffffe0, s6
	v_add_nc_u32_e32 v23, v31, v23
	s_delay_alu instid0(VALU_DEP_3) | instskip(NEXT) | instid1(VALU_DEP_4)
	v_mov_b32_e32 v1, v27
	v_cndmask_b32_e64 v24, v26, v24, s5
	s_delay_alu instid0(VALU_DEP_3) | instskip(NEXT) | instid1(VALU_DEP_3)
	v_cmp_lt_u32_e64 s7, 31, v23
	v_mad_u64_u32 v[27:28], null, 0xf534ddc0, v32, v[1:2]
	s_delay_alu instid0(VALU_DEP_1) | instskip(NEXT) | instid1(VALU_DEP_1)
	v_mov_b32_e32 v1, v28
	v_mad_u64_u32 v[28:29], null, 0xfc2757d1, v32, v[1:2]
	s_delay_alu instid0(VALU_DEP_1) | instskip(NEXT) | instid1(VALU_DEP_1)
	v_mov_b32_e32 v1, v29
	;; [unrolled: 3-line block ×3, first 2 shown]
	v_mad_u64_u32 v[30:31], null, 0xa2f9836e, v32, v[1:2]
	v_cndmask_b32_e64 v1, 0, 0xffffffe0, s7
	s_delay_alu instid0(VALU_DEP_4) | instskip(NEXT) | instid1(VALU_DEP_2)
	v_cndmask_b32_e64 v32, v29, v27, s5
	v_add_nc_u32_e32 v1, v1, v23
	s_delay_alu instid0(VALU_DEP_4)
	v_cndmask_b32_e64 v30, v30, v28, s5
	v_cndmask_b32_e64 v29, v31, v29, s5
	;; [unrolled: 1-line block ×4, first 2 shown]
	v_cmp_eq_u32_e64 s8, 0, v1
	v_cndmask_b32_e64 v25, v30, v32, s6
	v_cndmask_b32_e64 v27, v29, v30, s6
	;; [unrolled: 1-line block ×3, first 2 shown]
	v_sub_nc_u32_e32 v30, 32, v1
	v_cndmask_b32_e64 v28, v28, v23, s6
	v_cndmask_b32_e64 v23, v23, v24, s6
	;; [unrolled: 1-line block ×4, first 2 shown]
	s_delay_alu instid0(VALU_DEP_4) | instskip(NEXT) | instid1(VALU_DEP_4)
	v_cndmask_b32_e64 v29, v29, v28, s7
	v_cndmask_b32_e64 v23, v28, v23, s7
	s_delay_alu instid0(VALU_DEP_3) | instskip(NEXT) | instid1(VALU_DEP_3)
	v_alignbit_b32 v31, v27, v25, v30
	v_alignbit_b32 v32, v25, v29, v30
	s_delay_alu instid0(VALU_DEP_3) | instskip(NEXT) | instid1(VALU_DEP_3)
	v_alignbit_b32 v30, v29, v23, v30
	v_cndmask_b32_e64 v1, v31, v27, s8
	s_delay_alu instid0(VALU_DEP_3) | instskip(NEXT) | instid1(VALU_DEP_3)
	v_cndmask_b32_e64 v25, v32, v25, s8
	v_cndmask_b32_e64 v29, v30, v29, s8
	s_delay_alu instid0(VALU_DEP_3) | instskip(NEXT) | instid1(VALU_DEP_3)
	v_bfe_u32 v26, v1, 29, 1
	v_alignbit_b32 v24, v1, v25, 30
	s_delay_alu instid0(VALU_DEP_3) | instskip(SKIP_1) | instid1(VALU_DEP_4)
	v_alignbit_b32 v25, v25, v29, 30
	v_alignbit_b32 v23, v29, v23, 30
	v_sub_nc_u32_e32 v27, 0, v26
	s_delay_alu instid0(VALU_DEP_1) | instskip(SKIP_3) | instid1(VALU_DEP_4)
	v_xor_b32_e32 v28, v24, v27
	v_cmp_ne_u32_e64 s5, v24, v27
	v_xor_b32_e32 v25, v25, v27
	v_xor_b32_e32 v23, v23, v27
	v_clz_i32_u32_e32 v31, v28
	s_delay_alu instid0(VALU_DEP_1) | instskip(NEXT) | instid1(VALU_DEP_1)
	v_add_nc_u32_e32 v30, 1, v31
	v_cndmask_b32_e64 v24, 33, v30, s5
	s_delay_alu instid0(VALU_DEP_1) | instskip(NEXT) | instid1(VALU_DEP_1)
	v_sub_nc_u32_e32 v29, 32, v24
	v_alignbit_b32 v27, v28, v25, v29
	v_alignbit_b32 v23, v25, v23, v29
	v_lshrrev_b32_e32 v25, 29, v1
	v_lshrrev_b32_e32 v1, 30, v1
	s_delay_alu instid0(VALU_DEP_3) | instskip(NEXT) | instid1(VALU_DEP_3)
	v_alignbit_b32 v28, v27, v23, 9
	v_lshlrev_b32_e32 v25, 31, v25
	v_alignbit_b32 v27, v24, v27, 9
	s_delay_alu instid0(VALU_DEP_4) | instskip(NEXT) | instid1(VALU_DEP_4)
	v_add_nc_u32_e32 v1, v26, v1
	v_clz_i32_u32_e32 v29, v28
	s_delay_alu instid0(VALU_DEP_3) | instskip(SKIP_1) | instid1(VALU_DEP_3)
	v_or_b32_e32 v27, v27, v25
	v_or_b32_e32 v25, 0x33800000, v25
	v_min_u32_e32 v29, 32, v29
	s_delay_alu instid0(VALU_DEP_3) | instskip(NEXT) | instid1(VALU_DEP_2)
	v_xor_b32_e32 v27, 1.0, v27
	v_sub_nc_u32_e32 v30, 31, v29
	v_add_lshl_u32 v24, v29, v24, 23
	s_delay_alu instid0(VALU_DEP_3) | instskip(NEXT) | instid1(VALU_DEP_3)
	v_mul_f32_e32 v29, 0x3fc90fda, v27
	v_alignbit_b32 v23, v28, v23, v30
	s_delay_alu instid0(VALU_DEP_3) | instskip(NEXT) | instid1(VALU_DEP_3)
	v_sub_nc_u32_e32 v24, v25, v24
	v_fma_f32 v25, 0x3fc90fda, v27, -v29
	s_delay_alu instid0(VALU_DEP_3) | instskip(NEXT) | instid1(VALU_DEP_2)
	v_lshrrev_b32_e32 v23, 9, v23
	v_fmac_f32_e32 v25, 0x33a22168, v27
	s_delay_alu instid0(VALU_DEP_2) | instskip(NEXT) | instid1(VALU_DEP_1)
	v_or_b32_e32 v23, v24, v23
	v_fmac_f32_e32 v25, 0x3fc90fda, v23
	s_delay_alu instid0(VALU_DEP_1)
	v_add_f32_e32 v23, v29, v25
	s_and_not1_saveexec_b32 s5, s25
	s_cbranch_execz .LBB224_26
.LBB224_31:                             ;   in Loop: Header=BB224_4 Depth=1
	s_delay_alu instid0(VALU_DEP_1) | instskip(NEXT) | instid1(VALU_DEP_1)
	v_mul_f32_e32 v1, 0x3f22f983, v23
	v_rndne_f32_e32 v1, v1
	s_delay_alu instid0(VALU_DEP_1) | instskip(NEXT) | instid1(VALU_DEP_1)
	v_fmac_f32_e32 v23, 0xbfc90fda, v1
	v_fmac_f32_e32 v23, 0xb3a22168, v1
	s_delay_alu instid0(VALU_DEP_1) | instskip(SKIP_3) | instid1(SALU_CYCLE_1)
	v_fmac_f32_e32 v23, 0xa7c234c4, v1
	v_cvt_i32_f32_e32 v1, v1
	s_or_b32 exec_lo, exec_lo, s5
	s_and_saveexec_b32 s5, s4
	s_xor_b32 s5, exec_lo, s5
	s_cbranch_execz .LBB224_27
.LBB224_32:                             ;   in Loop: Header=BB224_4 Depth=1
	v_dual_mul_f32 v24, v17, v17 :: v_dual_and_b32 v27, 1, v18
	s_delay_alu instid0(VALU_DEP_1) | instskip(NEXT) | instid1(VALU_DEP_2)
	v_dual_fmaak_f32 v25, s23, v24, 0x3c0881c4 :: v_dual_lshlrev_b32 v18, 30, v18
	v_cmp_eq_u32_e64 s4, 0, v27
	s_delay_alu instid0(VALU_DEP_2) | instskip(NEXT) | instid1(VALU_DEP_3)
	v_and_b32_e32 v18, 0x80000000, v18
	v_fmaak_f32 v25, v24, v25, 0xbe2aaa9d
	s_delay_alu instid0(VALU_DEP_1) | instskip(NEXT) | instid1(VALU_DEP_1)
	v_dual_fmaak_f32 v26, s24, v24, 0xbab64f3b :: v_dual_mul_f32 v25, v24, v25
	v_dual_fmaak_f32 v26, v24, v26, 0x3d2aabf7 :: v_dual_fmac_f32 v17, v17, v25
	s_delay_alu instid0(VALU_DEP_1) | instskip(NEXT) | instid1(VALU_DEP_1)
	v_fmaak_f32 v26, v24, v26, 0xbf000004
	v_fma_f32 v24, v24, v26, 1.0
	s_delay_alu instid0(VALU_DEP_1) | instskip(SKIP_1) | instid1(VALU_DEP_2)
	v_cndmask_b32_e64 v17, -v17, v24, s4
	v_cmp_class_f16_e64 s4, v16, 0x1f8
	v_xor_b32_e32 v17, v18, v17
	s_delay_alu instid0(VALU_DEP_1) | instskip(NEXT) | instid1(VALU_DEP_1)
	v_cvt_f16_f32_e32 v17, v17
	v_cndmask_b32_e64 v16, 0x7e00, v17, s4
	global_store_b16 v[3:4], v16, off
	s_or_b32 exec_lo, exec_lo, s5
	s_and_saveexec_b32 s4, s3
	s_cbranch_execz .LBB224_28
.LBB224_33:                             ;   in Loop: Header=BB224_4 Depth=1
	v_mul_f32_e32 v16, v19, v19
	v_and_b32_e32 v24, 1, v20
	s_delay_alu instid0(VALU_DEP_2) | instskip(NEXT) | instid1(VALU_DEP_2)
	v_fmaak_f32 v17, s23, v16, 0x3c0881c4
	v_cmp_eq_u32_e64 s3, 0, v24
	s_delay_alu instid0(VALU_DEP_2) | instskip(NEXT) | instid1(VALU_DEP_1)
	v_fmaak_f32 v17, v16, v17, 0xbe2aaa9d
	v_mul_f32_e32 v17, v16, v17
	s_delay_alu instid0(VALU_DEP_1) | instskip(SKIP_2) | instid1(VALU_DEP_2)
	v_fmac_f32_e32 v19, v19, v17
	v_lshlrev_b32_e32 v17, 30, v20
	v_fmaak_f32 v18, s24, v16, 0xbab64f3b
	v_and_b32_e32 v17, 0x80000000, v17
	s_delay_alu instid0(VALU_DEP_2) | instskip(NEXT) | instid1(VALU_DEP_1)
	v_fmaak_f32 v18, v16, v18, 0x3d2aabf7
	v_fmaak_f32 v18, v16, v18, 0xbf000004
	s_delay_alu instid0(VALU_DEP_1) | instskip(NEXT) | instid1(VALU_DEP_1)
	v_fma_f32 v16, v16, v18, 1.0
	v_cndmask_b32_e64 v16, -v19, v16, s3
	v_cmp_class_f16_e64 s3, v15, 0x1f8
	s_delay_alu instid0(VALU_DEP_2) | instskip(NEXT) | instid1(VALU_DEP_1)
	v_xor_b32_e32 v16, v17, v16
	v_cvt_f16_f32_e32 v16, v16
	s_delay_alu instid0(VALU_DEP_1)
	v_cndmask_b32_e64 v15, 0x7e00, v16, s3
	global_store_b16 v[5:6], v15, off
	s_or_b32 exec_lo, exec_lo, s4
	s_and_saveexec_b32 s3, s2
	s_cbranch_execz .LBB224_29
.LBB224_34:                             ;   in Loop: Header=BB224_4 Depth=1
	v_dual_mul_f32 v15, v21, v21 :: v_dual_and_b32 v18, 1, v22
	s_delay_alu instid0(VALU_DEP_1) | instskip(NEXT) | instid1(VALU_DEP_2)
	v_dual_fmaak_f32 v16, s23, v15, 0x3c0881c4 :: v_dual_lshlrev_b32 v19, 30, v22
	v_cmp_eq_u32_e64 s2, 0, v18
	s_delay_alu instid0(VALU_DEP_2) | instskip(NEXT) | instid1(VALU_DEP_1)
	v_fmaak_f32 v16, v15, v16, 0xbe2aaa9d
	v_dual_fmaak_f32 v17, s24, v15, 0xbab64f3b :: v_dual_mul_f32 v16, v15, v16
	s_delay_alu instid0(VALU_DEP_1) | instskip(NEXT) | instid1(VALU_DEP_2)
	v_fmaak_f32 v17, v15, v17, 0x3d2aabf7
	v_dual_fmac_f32 v21, v21, v16 :: v_dual_and_b32 v16, 0x80000000, v19
	s_delay_alu instid0(VALU_DEP_2) | instskip(NEXT) | instid1(VALU_DEP_1)
	v_fmaak_f32 v17, v15, v17, 0xbf000004
	v_fma_f32 v15, v15, v17, 1.0
	s_delay_alu instid0(VALU_DEP_1) | instskip(SKIP_1) | instid1(VALU_DEP_2)
	v_cndmask_b32_e64 v15, -v21, v15, s2
	v_cmp_class_f16_e64 s2, v14, 0x1f8
	v_xor_b32_e32 v15, v16, v15
	s_delay_alu instid0(VALU_DEP_1) | instskip(NEXT) | instid1(VALU_DEP_1)
	v_cvt_f16_f32_e32 v15, v15
	v_cndmask_b32_e64 v16, 0x7e00, v15, s2
	v_add_co_u32 v14, s2, v3, s9
	s_delay_alu instid0(VALU_DEP_1)
	v_add_co_ci_u32_e64 v15, s2, 0, v4, s2
	global_store_b16 v[14:15], v16, off
	s_or_b32 exec_lo, exec_lo, s3
	s_and_saveexec_b32 s2, vcc_lo
	s_cbranch_execz .LBB224_3
.LBB224_35:                             ;   in Loop: Header=BB224_4 Depth=1
	v_dual_mul_f32 v14, v23, v23 :: v_dual_and_b32 v17, 1, v1
	v_lshlrev_b32_e32 v1, 30, v1
	s_delay_alu instid0(VALU_DEP_2) | instskip(NEXT) | instid1(VALU_DEP_3)
	v_fmaak_f32 v15, s23, v14, 0x3c0881c4
	v_cmp_eq_u32_e32 vcc_lo, 0, v17
	s_delay_alu instid0(VALU_DEP_3) | instskip(NEXT) | instid1(VALU_DEP_3)
	v_and_b32_e32 v1, 0x80000000, v1
	v_fmaak_f32 v15, v14, v15, 0xbe2aaa9d
	s_delay_alu instid0(VALU_DEP_1) | instskip(NEXT) | instid1(VALU_DEP_1)
	v_dual_fmaak_f32 v16, s24, v14, 0xbab64f3b :: v_dual_mul_f32 v15, v14, v15
	v_dual_fmaak_f32 v16, v14, v16, 0x3d2aabf7 :: v_dual_fmac_f32 v23, v23, v15
	s_delay_alu instid0(VALU_DEP_1) | instskip(NEXT) | instid1(VALU_DEP_1)
	v_fmaak_f32 v16, v14, v16, 0xbf000004
	v_fma_f32 v14, v14, v16, 1.0
	s_delay_alu instid0(VALU_DEP_1) | instskip(SKIP_1) | instid1(VALU_DEP_2)
	v_cndmask_b32_e64 v14, -v23, v14, vcc_lo
	v_cmp_class_f16_e64 vcc_lo, v13, 0x1f8
	v_xor_b32_e32 v1, v1, v14
	s_delay_alu instid0(VALU_DEP_1) | instskip(NEXT) | instid1(VALU_DEP_1)
	v_cvt_f16_f32_e32 v1, v1
	v_cndmask_b32_e32 v1, 0x7e00, v1, vcc_lo
	v_add_co_u32 v13, vcc_lo, v3, s20
	v_add_co_ci_u32_e32 v14, vcc_lo, 0, v4, vcc_lo
	global_store_b16 v[13:14], v1, off
	s_branch .LBB224_3
.LBB224_36:
	s_cbranch_execz .LBB224_38
	s_branch .LBB224_57
.LBB224_37:
.LBB224_38:
	v_dual_mov_b32 v2, 0 :: v_dual_lshlrev_b32 v1, 2, v0
	s_mov_b32 s3, 0
	s_mov_b32 s2, exec_lo
	s_delay_alu instid0(VALU_DEP_1)
	v_cmpx_gt_i64_e64 s[10:11], v[1:2]
	s_cbranch_execz .LBB224_57
; %bb.39:
	s_load_b32 s0, s[0:1], 0xd3c
	s_mov_b32 s6, 0x7fffff
	s_mov_b32 s7, 0xb94c1982
	s_mov_b32 s8, 0x37d75334
	s_waitcnt lgkmcnt(0)
	s_and_b32 s0, s0, 0xffff
	s_delay_alu instid0(SALU_CYCLE_1) | instskip(SKIP_4) | instid1(VALU_DEP_1)
	v_add_lshl_u32 v1, v0, s0, 2
	v_dual_mov_b32 v6, v2 :: v_dual_lshlrev_b32 v3, 3, v0
	s_lshl_b32 s4, s0, 2
	s_add_u32 s1, s12, s14
	s_addc_u32 s2, s13, s15
	v_add_co_u32 v0, s1, s1, v3
	s_delay_alu instid0(VALU_DEP_1) | instskip(SKIP_1) | instid1(VALU_DEP_3)
	v_add_co_ci_u32_e64 v4, null, s2, 0, s1
	v_mov_b32_e32 v5, v1
	v_add_co_u32 v3, vcc_lo, v0, 4
	s_delay_alu instid0(VALU_DEP_3)
	v_add_co_ci_u32_e32 v4, vcc_lo, 0, v4, vcc_lo
	s_lshl_b32 s5, s0, 3
	s_branch .LBB224_41
.LBB224_40:                             ;   in Loop: Header=BB224_41 Depth=1
	s_or_b32 exec_lo, exec_lo, s0
	v_dual_mul_f32 v17, v13, v13 :: v_dual_and_b32 v18, 1, v15
	v_mul_f32_e32 v19, v11, v11
	v_cmp_lt_u64_e64 s0, 0xffff, v[5:6]
	v_and_b32_e32 v22, 1, v12
	s_delay_alu instid0(VALU_DEP_4) | instskip(SKIP_3) | instid1(VALU_DEP_4)
	v_fmaak_f32 v20, s7, v17, 0x3c0881c4
	v_fmaak_f32 v21, s8, v17, 0xbab64f3b
	v_lshlrev_b32_e32 v15, 30, v15
	v_dual_fmaak_f32 v24, s8, v19, 0xbab64f3b :: v_dual_mul_f32 v25, v0, v0
	v_fmaak_f32 v20, v17, v20, 0xbe2aaa9d
	v_fmaak_f32 v23, s7, v19, 0x3c0881c4
	s_delay_alu instid0(VALU_DEP_3) | instskip(SKIP_1) | instid1(VALU_DEP_3)
	v_dual_fmaak_f32 v21, v17, v21, 0x3d2aabf7 :: v_dual_fmaak_f32 v24, v19, v24, 0x3d2aabf7
	v_cmp_eq_u32_e32 vcc_lo, 0, v18
	v_dual_mul_f32 v20, v17, v20 :: v_dual_fmaak_f32 v23, v19, v23, 0xbe2aaa9d
	s_delay_alu instid0(VALU_DEP_3) | instskip(NEXT) | instid1(VALU_DEP_4)
	v_dual_mul_f32 v26, v16, v16 :: v_dual_fmaak_f32 v21, v17, v21, 0xbf000004
	v_fmaak_f32 v24, v19, v24, 0xbf000004
	s_delay_alu instid0(VALU_DEP_3) | instskip(NEXT) | instid1(VALU_DEP_4)
	v_fmac_f32_e32 v13, v13, v20
	v_dual_mul_f32 v23, v19, v23 :: v_dual_fmaak_f32 v18, s8, v25, 0xbab64f3b
	s_delay_alu instid0(VALU_DEP_4) | instskip(SKIP_2) | instid1(VALU_DEP_4)
	v_fma_f32 v17, v17, v21, 1.0
	v_and_b32_e32 v15, 0x80000000, v15
	v_fma_f32 v19, v19, v24, 1.0
	v_dual_fmac_f32 v11, v11, v23 :: v_dual_fmaak_f32 v18, v25, v18, 0x3d2aabf7
	s_delay_alu instid0(VALU_DEP_4) | instskip(SKIP_2) | instid1(VALU_DEP_3)
	v_cndmask_b32_e64 v13, -v13, v17, vcc_lo
	v_dual_fmaak_f32 v17, s7, v25, 0x3c0881c4 :: v_dual_lshlrev_b32 v12, 30, v12
	v_cmp_eq_u32_e32 vcc_lo, 0, v22
	v_xor_b32_e32 v13, v15, v13
	s_delay_alu instid0(VALU_DEP_3) | instskip(SKIP_3) | instid1(VALU_DEP_4)
	v_fmaak_f32 v15, v25, v17, 0xbe2aaa9d
	v_fmaak_f32 v17, s7, v26, 0x3c0881c4
	v_cndmask_b32_e64 v11, -v11, v19, vcc_lo
	v_fmaak_f32 v19, s8, v26, 0xbab64f3b
	v_dual_mul_f32 v15, v25, v15 :: v_dual_and_b32 v12, 0x80000000, v12
	s_delay_alu instid0(VALU_DEP_4) | instskip(SKIP_1) | instid1(VALU_DEP_4)
	v_fmaak_f32 v17, v26, v17, 0xbe2aaa9d
	v_fmaak_f32 v18, v25, v18, 0xbf000004
	;; [unrolled: 1-line block ×3, first 2 shown]
	s_delay_alu instid0(VALU_DEP_4) | instskip(NEXT) | instid1(VALU_DEP_4)
	v_xor_b32_e32 v11, v12, v11
	v_dual_fmac_f32 v0, v0, v15 :: v_dual_mul_f32 v15, v26, v17
	s_delay_alu instid0(VALU_DEP_4) | instskip(NEXT) | instid1(VALU_DEP_4)
	v_fma_f32 v17, v25, v18, 1.0
	v_dual_fmaak_f32 v18, v26, v19, 0xbf000004 :: v_dual_and_b32 v19, 1, v9
	v_cvt_f16_f32_e32 v12, v13
	s_delay_alu instid0(VALU_DEP_4) | instskip(NEXT) | instid1(VALU_DEP_3)
	v_dual_fmac_f32 v16, v16, v15 :: v_dual_and_b32 v15, 1, v1
	v_fma_f32 v18, v26, v18, 1.0
	s_delay_alu instid0(VALU_DEP_4) | instskip(SKIP_3) | instid1(VALU_DEP_3)
	v_cmp_eq_u32_e32 vcc_lo, 0, v19
	v_lshlrev_b32_e32 v1, 30, v1
	v_cndmask_b32_e64 v0, -v0, v17, vcc_lo
	v_cmp_eq_u32_e32 vcc_lo, 0, v15
	v_and_b32_e32 v1, 0x80000000, v1
	v_cndmask_b32_e64 v15, -v16, v18, vcc_lo
	v_cmp_class_f16_e64 vcc_lo, v8, 0x1f8
	v_lshlrev_b32_e32 v9, 30, v9
	s_delay_alu instid0(VALU_DEP_3) | instskip(SKIP_1) | instid1(VALU_DEP_3)
	v_xor_b32_e32 v1, v1, v15
	v_cndmask_b32_e32 v8, 0x7e00, v12, vcc_lo
	v_and_b32_e32 v9, 0x80000000, v9
	v_cmp_class_f16_e64 vcc_lo, v10, 0x1f8
	s_delay_alu instid0(VALU_DEP_4) | instskip(NEXT) | instid1(VALU_DEP_3)
	v_cvt_f16_f32_e32 v1, v1
	v_xor_b32_e32 v0, v9, v0
	v_cvt_f16_f32_e32 v9, v11
	s_delay_alu instid0(VALU_DEP_2) | instskip(NEXT) | instid1(VALU_DEP_2)
	v_cvt_f16_f32_e32 v0, v0
	v_cndmask_b32_e32 v9, 0x7e00, v9, vcc_lo
	v_cmp_class_f16_e64 vcc_lo, v14, 0x1f8
	v_cndmask_b32_e32 v1, 0x7e00, v1, vcc_lo
	v_cmp_class_f16_e64 vcc_lo, v7, 0x1f8
	s_delay_alu instid0(VALU_DEP_2) | instskip(SKIP_2) | instid1(VALU_DEP_2)
	v_pack_b32_f16 v1, v8, v1
	v_cndmask_b32_e32 v0, 0x7e00, v0, vcc_lo
	v_cmp_le_i64_e32 vcc_lo, s[10:11], v[5:6]
	v_pack_b32_f16 v0, v0, v9
	s_or_b32 s0, vcc_lo, s0
	v_add_co_u32 v5, vcc_lo, v5, s4
	v_add_co_ci_u32_e32 v6, vcc_lo, 0, v6, vcc_lo
	global_store_b64 v[3:4], v[0:1], off offset:-4
	v_add_co_u32 v3, vcc_lo, v3, s5
	v_add_co_ci_u32_e32 v4, vcc_lo, 0, v4, vcc_lo
	s_and_b32 s0, exec_lo, s0
	s_delay_alu instid0(SALU_CYCLE_1) | instskip(NEXT) | instid1(SALU_CYCLE_1)
	s_or_b32 s3, s0, s3
	s_and_not1_b32 exec_lo, exec_lo, s3
	s_cbranch_execz .LBB224_57
.LBB224_41:                             ; =>This Inner Loop Header: Depth=1
	global_load_b64 v[7:8], v[3:4], off offset:-4
                                        ; implicit-def: $vgpr9
	s_mov_b32 s0, exec_lo
	s_waitcnt vmcnt(0)
	v_cvt_f32_f16_e64 v0, |v7|
	s_delay_alu instid0(VALU_DEP_1)
	v_cmpx_ngt_f32_e32 0x48000000, v0
	s_xor_b32 s9, exec_lo, s0
	s_cbranch_execz .LBB224_43
; %bb.42:                               ;   in Loop: Header=BB224_41 Depth=1
	v_and_or_b32 v17, v0, s6, 0x800000
	v_lshrrev_b32_e32 v0, 23, v0
	s_delay_alu instid0(VALU_DEP_2) | instskip(NEXT) | instid1(VALU_DEP_2)
	v_mad_u64_u32 v[9:10], null, 0xfe5163ab, v17, 0
	v_add_nc_u32_e32 v0, 0xffffff88, v0
	s_delay_alu instid0(VALU_DEP_1) | instskip(NEXT) | instid1(VALU_DEP_3)
	v_cmp_lt_u32_e32 vcc_lo, 63, v0
	v_mov_b32_e32 v1, v10
	v_cndmask_b32_e64 v15, 0, 0xffffffc0, vcc_lo
	s_delay_alu instid0(VALU_DEP_2) | instskip(NEXT) | instid1(VALU_DEP_2)
	v_mad_u64_u32 v[10:11], null, 0x3c439041, v17, v[1:2]
	v_add_nc_u32_e32 v0, v15, v0
	s_delay_alu instid0(VALU_DEP_1) | instskip(NEXT) | instid1(VALU_DEP_1)
	v_cmp_lt_u32_e64 s0, 31, v0
	v_cndmask_b32_e64 v16, 0, 0xffffffe0, s0
	s_delay_alu instid0(VALU_DEP_1) | instskip(NEXT) | instid1(VALU_DEP_1)
	v_dual_mov_b32 v1, v11 :: v_dual_add_nc_u32 v0, v16, v0
	v_mad_u64_u32 v[11:12], null, 0xdb629599, v17, v[1:2]
	s_delay_alu instid0(VALU_DEP_2) | instskip(NEXT) | instid1(VALU_DEP_2)
	v_cmp_lt_u32_e64 s1, 31, v0
	v_mov_b32_e32 v1, v12
	s_delay_alu instid0(VALU_DEP_3) | instskip(NEXT) | instid1(VALU_DEP_2)
	v_cndmask_b32_e32 v9, v11, v9, vcc_lo
	v_mad_u64_u32 v[12:13], null, 0xf534ddc0, v17, v[1:2]
	s_delay_alu instid0(VALU_DEP_1) | instskip(NEXT) | instid1(VALU_DEP_1)
	v_mov_b32_e32 v1, v13
	v_mad_u64_u32 v[13:14], null, 0xfc2757d1, v17, v[1:2]
	s_delay_alu instid0(VALU_DEP_1) | instskip(NEXT) | instid1(VALU_DEP_1)
	v_mov_b32_e32 v1, v14
	;; [unrolled: 3-line block ×3, first 2 shown]
	v_mad_u64_u32 v[15:16], null, 0xa2f9836e, v17, v[1:2]
	v_cndmask_b32_e64 v1, 0, 0xffffffe0, s1
	s_delay_alu instid0(VALU_DEP_4) | instskip(NEXT) | instid1(VALU_DEP_2)
	v_cndmask_b32_e32 v17, v14, v12, vcc_lo
	v_dual_cndmask_b32 v15, v15, v13 :: v_dual_add_nc_u32 v0, v1, v0
	s_delay_alu instid0(VALU_DEP_4) | instskip(SKIP_1) | instid1(VALU_DEP_3)
	v_dual_cndmask_b32 v14, v16, v14 :: v_dual_cndmask_b32 v13, v13, v11
	v_cndmask_b32_e32 v1, v12, v10, vcc_lo
	v_cmp_eq_u32_e64 s2, 0, v0
	s_delay_alu instid0(VALU_DEP_4) | instskip(NEXT) | instid1(VALU_DEP_4)
	v_cndmask_b32_e64 v10, v15, v17, s0
	v_cndmask_b32_e64 v12, v14, v15, s0
	;; [unrolled: 1-line block ×3, first 2 shown]
	v_sub_nc_u32_e32 v15, 32, v0
	v_cndmask_b32_e64 v13, v13, v1, s0
	v_cndmask_b32_e64 v1, v1, v9, s0
	v_cndmask_b32_e64 v12, v12, v10, s1
	v_cndmask_b32_e64 v10, v10, v14, s1
	s_delay_alu instid0(VALU_DEP_4) | instskip(NEXT) | instid1(VALU_DEP_4)
	v_cndmask_b32_e64 v14, v14, v13, s1
	v_cndmask_b32_e64 v1, v13, v1, s1
	s_delay_alu instid0(VALU_DEP_3) | instskip(NEXT) | instid1(VALU_DEP_3)
	v_alignbit_b32 v16, v12, v10, v15
	v_alignbit_b32 v17, v10, v14, v15
	s_delay_alu instid0(VALU_DEP_3) | instskip(NEXT) | instid1(VALU_DEP_3)
	v_alignbit_b32 v15, v14, v1, v15
	v_cndmask_b32_e64 v0, v16, v12, s2
	s_delay_alu instid0(VALU_DEP_3) | instskip(NEXT) | instid1(VALU_DEP_3)
	v_cndmask_b32_e64 v10, v17, v10, s2
	v_cndmask_b32_e64 v14, v15, v14, s2
	s_delay_alu instid0(VALU_DEP_3) | instskip(NEXT) | instid1(VALU_DEP_3)
	v_bfe_u32 v11, v0, 29, 1
	v_alignbit_b32 v9, v0, v10, 30
	s_delay_alu instid0(VALU_DEP_3) | instskip(SKIP_1) | instid1(VALU_DEP_4)
	v_alignbit_b32 v10, v10, v14, 30
	v_alignbit_b32 v1, v14, v1, 30
	v_sub_nc_u32_e32 v12, 0, v11
	s_delay_alu instid0(VALU_DEP_1) | instskip(SKIP_3) | instid1(VALU_DEP_4)
	v_xor_b32_e32 v13, v9, v12
	v_cmp_ne_u32_e32 vcc_lo, v9, v12
	v_xor_b32_e32 v10, v10, v12
	v_xor_b32_e32 v1, v1, v12
	v_clz_i32_u32_e32 v16, v13
	s_delay_alu instid0(VALU_DEP_1) | instskip(NEXT) | instid1(VALU_DEP_1)
	v_add_nc_u32_e32 v15, 1, v16
	v_cndmask_b32_e32 v9, 33, v15, vcc_lo
	s_delay_alu instid0(VALU_DEP_1) | instskip(NEXT) | instid1(VALU_DEP_1)
	v_sub_nc_u32_e32 v14, 32, v9
	v_alignbit_b32 v12, v13, v10, v14
	v_alignbit_b32 v1, v10, v1, v14
	v_lshrrev_b32_e32 v10, 29, v0
	s_delay_alu instid0(VALU_DEP_2) | instskip(NEXT) | instid1(VALU_DEP_2)
	v_alignbit_b32 v13, v12, v1, 9
	v_lshlrev_b32_e32 v10, 31, v10
	v_alignbit_b32 v12, v9, v12, 9
	s_delay_alu instid0(VALU_DEP_3) | instskip(NEXT) | instid1(VALU_DEP_2)
	v_clz_i32_u32_e32 v14, v13
	v_or_b32_e32 v12, v12, v10
	v_or_b32_e32 v10, 0x33800000, v10
	s_delay_alu instid0(VALU_DEP_3) | instskip(NEXT) | instid1(VALU_DEP_3)
	v_min_u32_e32 v14, 32, v14
	v_xor_b32_e32 v12, 1.0, v12
	s_delay_alu instid0(VALU_DEP_2) | instskip(SKIP_1) | instid1(VALU_DEP_3)
	v_sub_nc_u32_e32 v15, 31, v14
	v_add_lshl_u32 v9, v14, v9, 23
	v_mul_f32_e32 v14, 0x3fc90fda, v12
	s_delay_alu instid0(VALU_DEP_3) | instskip(NEXT) | instid1(VALU_DEP_3)
	v_alignbit_b32 v1, v13, v1, v15
	v_sub_nc_u32_e32 v9, v10, v9
	s_delay_alu instid0(VALU_DEP_3) | instskip(NEXT) | instid1(VALU_DEP_3)
	v_fma_f32 v10, 0x3fc90fda, v12, -v14
	v_lshrrev_b32_e32 v1, 9, v1
	s_delay_alu instid0(VALU_DEP_2) | instskip(NEXT) | instid1(VALU_DEP_2)
	v_fmac_f32_e32 v10, 0x33a22168, v12
	v_or_b32_e32 v1, v9, v1
	s_delay_alu instid0(VALU_DEP_1) | instskip(SKIP_1) | instid1(VALU_DEP_1)
	v_fmac_f32_e32 v10, 0x3fc90fda, v1
	v_lshrrev_b32_e32 v1, 30, v0
	v_dual_add_f32 v0, v14, v10 :: v_dual_add_nc_u32 v9, v11, v1
.LBB224_43:                             ;   in Loop: Header=BB224_41 Depth=1
	s_and_not1_saveexec_b32 s0, s9
; %bb.44:                               ;   in Loop: Header=BB224_41 Depth=1
	s_delay_alu instid0(VALU_DEP_1) | instskip(NEXT) | instid1(VALU_DEP_1)
	v_mul_f32_e32 v1, 0x3f22f983, v0
	v_rndne_f32_e32 v1, v1
	s_delay_alu instid0(VALU_DEP_1) | instskip(SKIP_1) | instid1(VALU_DEP_2)
	v_fmac_f32_e32 v0, 0xbfc90fda, v1
	v_cvt_i32_f32_e32 v9, v1
	v_fmac_f32_e32 v0, 0xb3a22168, v1
	s_delay_alu instid0(VALU_DEP_1)
	v_fmac_f32_e32 v0, 0xa7c234c4, v1
; %bb.45:                               ;   in Loop: Header=BB224_41 Depth=1
	s_or_b32 exec_lo, exec_lo, s0
	v_lshrrev_b32_e32 v10, 16, v7
                                        ; implicit-def: $vgpr12
	s_mov_b32 s0, exec_lo
	s_delay_alu instid0(VALU_DEP_1) | instskip(NEXT) | instid1(VALU_DEP_1)
	v_cvt_f32_f16_e64 v11, |v10|
	v_cmpx_ngt_f32_e32 0x48000000, v11
	s_xor_b32 s9, exec_lo, s0
	s_cbranch_execz .LBB224_47
; %bb.46:                               ;   in Loop: Header=BB224_41 Depth=1
	v_and_or_b32 v20, v11, s6, 0x800000
	v_lshrrev_b32_e32 v11, 23, v11
	s_delay_alu instid0(VALU_DEP_2) | instskip(NEXT) | instid1(VALU_DEP_2)
	v_mad_u64_u32 v[12:13], null, 0xfe5163ab, v20, 0
	v_add_nc_u32_e32 v11, 0xffffff88, v11
	s_delay_alu instid0(VALU_DEP_1) | instskip(NEXT) | instid1(VALU_DEP_3)
	v_cmp_lt_u32_e32 vcc_lo, 63, v11
	v_mov_b32_e32 v1, v13
	v_cndmask_b32_e64 v18, 0, 0xffffffc0, vcc_lo
	s_delay_alu instid0(VALU_DEP_2) | instskip(NEXT) | instid1(VALU_DEP_2)
	v_mad_u64_u32 v[13:14], null, 0x3c439041, v20, v[1:2]
	v_add_nc_u32_e32 v11, v18, v11
	s_delay_alu instid0(VALU_DEP_2) | instskip(NEXT) | instid1(VALU_DEP_2)
	v_mov_b32_e32 v1, v14
	v_cmp_lt_u32_e64 s0, 31, v11
	s_delay_alu instid0(VALU_DEP_2) | instskip(NEXT) | instid1(VALU_DEP_2)
	v_mad_u64_u32 v[14:15], null, 0xdb629599, v20, v[1:2]
	v_cndmask_b32_e64 v19, 0, 0xffffffe0, s0
	s_delay_alu instid0(VALU_DEP_1) | instskip(NEXT) | instid1(VALU_DEP_3)
	v_add_nc_u32_e32 v11, v19, v11
	v_dual_mov_b32 v1, v15 :: v_dual_cndmask_b32 v12, v14, v12
	s_delay_alu instid0(VALU_DEP_2) | instskip(NEXT) | instid1(VALU_DEP_2)
	v_cmp_lt_u32_e64 s1, 31, v11
	v_mad_u64_u32 v[15:16], null, 0xf534ddc0, v20, v[1:2]
	s_delay_alu instid0(VALU_DEP_1) | instskip(NEXT) | instid1(VALU_DEP_1)
	v_mov_b32_e32 v1, v16
	v_mad_u64_u32 v[16:17], null, 0xfc2757d1, v20, v[1:2]
	s_delay_alu instid0(VALU_DEP_1) | instskip(NEXT) | instid1(VALU_DEP_1)
	v_mov_b32_e32 v1, v17
	;; [unrolled: 3-line block ×3, first 2 shown]
	v_mad_u64_u32 v[18:19], null, 0xa2f9836e, v20, v[1:2]
	v_cndmask_b32_e64 v1, 0, 0xffffffe0, s1
	s_delay_alu instid0(VALU_DEP_4) | instskip(NEXT) | instid1(VALU_DEP_2)
	v_cndmask_b32_e32 v20, v17, v15, vcc_lo
	v_dual_cndmask_b32 v18, v18, v16 :: v_dual_add_nc_u32 v1, v1, v11
	s_delay_alu instid0(VALU_DEP_4) | instskip(SKIP_1) | instid1(VALU_DEP_3)
	v_dual_cndmask_b32 v17, v19, v17 :: v_dual_cndmask_b32 v16, v16, v14
	v_cndmask_b32_e32 v11, v15, v13, vcc_lo
	v_cmp_eq_u32_e64 s2, 0, v1
	s_delay_alu instid0(VALU_DEP_4) | instskip(NEXT) | instid1(VALU_DEP_4)
	v_cndmask_b32_e64 v13, v18, v20, s0
	v_cndmask_b32_e64 v15, v17, v18, s0
	v_cndmask_b32_e64 v17, v20, v16, s0
	v_sub_nc_u32_e32 v18, 32, v1
	v_cndmask_b32_e64 v16, v16, v11, s0
	v_cndmask_b32_e64 v11, v11, v12, s0
	;; [unrolled: 1-line block ×4, first 2 shown]
	s_delay_alu instid0(VALU_DEP_4) | instskip(NEXT) | instid1(VALU_DEP_4)
	v_cndmask_b32_e64 v17, v17, v16, s1
	v_cndmask_b32_e64 v11, v16, v11, s1
	s_delay_alu instid0(VALU_DEP_3) | instskip(NEXT) | instid1(VALU_DEP_3)
	v_alignbit_b32 v19, v15, v13, v18
	v_alignbit_b32 v20, v13, v17, v18
	s_delay_alu instid0(VALU_DEP_3) | instskip(NEXT) | instid1(VALU_DEP_3)
	v_alignbit_b32 v18, v17, v11, v18
	v_cndmask_b32_e64 v1, v19, v15, s2
	s_delay_alu instid0(VALU_DEP_3) | instskip(NEXT) | instid1(VALU_DEP_3)
	v_cndmask_b32_e64 v13, v20, v13, s2
	v_cndmask_b32_e64 v17, v18, v17, s2
	s_delay_alu instid0(VALU_DEP_3) | instskip(NEXT) | instid1(VALU_DEP_3)
	v_bfe_u32 v14, v1, 29, 1
	v_alignbit_b32 v12, v1, v13, 30
	s_delay_alu instid0(VALU_DEP_3) | instskip(SKIP_1) | instid1(VALU_DEP_4)
	v_alignbit_b32 v13, v13, v17, 30
	v_alignbit_b32 v11, v17, v11, 30
	v_sub_nc_u32_e32 v15, 0, v14
	s_delay_alu instid0(VALU_DEP_1) | instskip(SKIP_3) | instid1(VALU_DEP_4)
	v_xor_b32_e32 v16, v12, v15
	v_cmp_ne_u32_e32 vcc_lo, v12, v15
	v_xor_b32_e32 v13, v13, v15
	v_xor_b32_e32 v11, v11, v15
	v_clz_i32_u32_e32 v19, v16
	s_delay_alu instid0(VALU_DEP_1) | instskip(NEXT) | instid1(VALU_DEP_1)
	v_add_nc_u32_e32 v18, 1, v19
	v_cndmask_b32_e32 v12, 33, v18, vcc_lo
	s_delay_alu instid0(VALU_DEP_1) | instskip(NEXT) | instid1(VALU_DEP_1)
	v_sub_nc_u32_e32 v17, 32, v12
	v_alignbit_b32 v15, v16, v13, v17
	v_alignbit_b32 v11, v13, v11, v17
	v_lshrrev_b32_e32 v13, 29, v1
	v_lshrrev_b32_e32 v1, 30, v1
	s_delay_alu instid0(VALU_DEP_3) | instskip(NEXT) | instid1(VALU_DEP_3)
	v_alignbit_b32 v16, v15, v11, 9
	v_lshlrev_b32_e32 v13, 31, v13
	v_alignbit_b32 v15, v12, v15, 9
	s_delay_alu instid0(VALU_DEP_3) | instskip(NEXT) | instid1(VALU_DEP_2)
	v_clz_i32_u32_e32 v17, v16
	v_or_b32_e32 v15, v15, v13
	v_or_b32_e32 v13, 0x33800000, v13
	s_delay_alu instid0(VALU_DEP_3) | instskip(NEXT) | instid1(VALU_DEP_3)
	v_min_u32_e32 v17, 32, v17
	v_xor_b32_e32 v15, 1.0, v15
	s_delay_alu instid0(VALU_DEP_2) | instskip(SKIP_1) | instid1(VALU_DEP_3)
	v_sub_nc_u32_e32 v18, 31, v17
	v_add_lshl_u32 v12, v17, v12, 23
	v_mul_f32_e32 v17, 0x3fc90fda, v15
	s_delay_alu instid0(VALU_DEP_3) | instskip(NEXT) | instid1(VALU_DEP_3)
	v_alignbit_b32 v11, v16, v11, v18
	v_sub_nc_u32_e32 v12, v13, v12
	s_delay_alu instid0(VALU_DEP_2) | instskip(NEXT) | instid1(VALU_DEP_1)
	v_lshrrev_b32_e32 v11, 9, v11
	v_or_b32_e32 v11, v12, v11
	v_add_nc_u32_e32 v12, v14, v1
	v_fma_f32 v13, 0x3fc90fda, v15, -v17
	s_delay_alu instid0(VALU_DEP_1) | instskip(NEXT) | instid1(VALU_DEP_1)
	v_fmac_f32_e32 v13, 0x33a22168, v15
	v_fmac_f32_e32 v13, 0x3fc90fda, v11
	s_delay_alu instid0(VALU_DEP_1)
	v_add_f32_e32 v11, v17, v13
.LBB224_47:                             ;   in Loop: Header=BB224_41 Depth=1
	s_and_not1_saveexec_b32 s0, s9
; %bb.48:                               ;   in Loop: Header=BB224_41 Depth=1
	s_delay_alu instid0(VALU_DEP_1) | instskip(NEXT) | instid1(VALU_DEP_1)
	v_mul_f32_e32 v1, 0x3f22f983, v11
	v_rndne_f32_e32 v1, v1
	s_delay_alu instid0(VALU_DEP_1) | instskip(SKIP_1) | instid1(VALU_DEP_2)
	v_fmac_f32_e32 v11, 0xbfc90fda, v1
	v_cvt_i32_f32_e32 v12, v1
	v_fmac_f32_e32 v11, 0xb3a22168, v1
	s_delay_alu instid0(VALU_DEP_1)
	v_fmac_f32_e32 v11, 0xa7c234c4, v1
; %bb.49:                               ;   in Loop: Header=BB224_41 Depth=1
	s_or_b32 exec_lo, exec_lo, s0
	v_cvt_f32_f16_e64 v13, |v8|
                                        ; implicit-def: $vgpr15
	s_mov_b32 s0, exec_lo
	s_delay_alu instid0(VALU_DEP_1)
	v_cmpx_ngt_f32_e32 0x48000000, v13
	s_xor_b32 s9, exec_lo, s0
	s_cbranch_execz .LBB224_51
; %bb.50:                               ;   in Loop: Header=BB224_41 Depth=1
	v_and_or_b32 v22, v13, s6, 0x800000
	v_lshrrev_b32_e32 v13, 23, v13
	s_delay_alu instid0(VALU_DEP_2) | instskip(NEXT) | instid1(VALU_DEP_2)
	v_mad_u64_u32 v[14:15], null, 0xfe5163ab, v22, 0
	v_add_nc_u32_e32 v13, 0xffffff88, v13
	s_delay_alu instid0(VALU_DEP_1) | instskip(NEXT) | instid1(VALU_DEP_3)
	v_cmp_lt_u32_e32 vcc_lo, 63, v13
	v_mov_b32_e32 v1, v15
	v_cndmask_b32_e64 v20, 0, 0xffffffc0, vcc_lo
	s_delay_alu instid0(VALU_DEP_2) | instskip(NEXT) | instid1(VALU_DEP_2)
	v_mad_u64_u32 v[15:16], null, 0x3c439041, v22, v[1:2]
	v_add_nc_u32_e32 v13, v20, v13
	s_delay_alu instid0(VALU_DEP_2) | instskip(NEXT) | instid1(VALU_DEP_2)
	v_mov_b32_e32 v1, v16
	v_cmp_lt_u32_e64 s0, 31, v13
	s_delay_alu instid0(VALU_DEP_2) | instskip(NEXT) | instid1(VALU_DEP_2)
	v_mad_u64_u32 v[16:17], null, 0xdb629599, v22, v[1:2]
	v_cndmask_b32_e64 v21, 0, 0xffffffe0, s0
	s_delay_alu instid0(VALU_DEP_1) | instskip(NEXT) | instid1(VALU_DEP_3)
	v_add_nc_u32_e32 v13, v21, v13
	v_dual_mov_b32 v1, v17 :: v_dual_cndmask_b32 v14, v16, v14
	s_delay_alu instid0(VALU_DEP_2) | instskip(NEXT) | instid1(VALU_DEP_2)
	v_cmp_lt_u32_e64 s1, 31, v13
	v_mad_u64_u32 v[17:18], null, 0xf534ddc0, v22, v[1:2]
	s_delay_alu instid0(VALU_DEP_1) | instskip(NEXT) | instid1(VALU_DEP_1)
	v_mov_b32_e32 v1, v18
	v_mad_u64_u32 v[18:19], null, 0xfc2757d1, v22, v[1:2]
	s_delay_alu instid0(VALU_DEP_1) | instskip(NEXT) | instid1(VALU_DEP_1)
	v_mov_b32_e32 v1, v19
	;; [unrolled: 3-line block ×3, first 2 shown]
	v_mad_u64_u32 v[20:21], null, 0xa2f9836e, v22, v[1:2]
	v_cndmask_b32_e64 v1, 0, 0xffffffe0, s1
	s_delay_alu instid0(VALU_DEP_4) | instskip(NEXT) | instid1(VALU_DEP_2)
	v_cndmask_b32_e32 v22, v19, v17, vcc_lo
	v_dual_cndmask_b32 v20, v20, v18 :: v_dual_add_nc_u32 v1, v1, v13
	s_delay_alu instid0(VALU_DEP_4) | instskip(SKIP_1) | instid1(VALU_DEP_3)
	v_dual_cndmask_b32 v19, v21, v19 :: v_dual_cndmask_b32 v18, v18, v16
	v_cndmask_b32_e32 v13, v17, v15, vcc_lo
	v_cmp_eq_u32_e64 s2, 0, v1
	s_delay_alu instid0(VALU_DEP_4) | instskip(NEXT) | instid1(VALU_DEP_4)
	v_cndmask_b32_e64 v15, v20, v22, s0
	v_cndmask_b32_e64 v17, v19, v20, s0
	;; [unrolled: 1-line block ×3, first 2 shown]
	v_sub_nc_u32_e32 v20, 32, v1
	v_cndmask_b32_e64 v18, v18, v13, s0
	v_cndmask_b32_e64 v13, v13, v14, s0
	;; [unrolled: 1-line block ×4, first 2 shown]
	s_delay_alu instid0(VALU_DEP_4) | instskip(NEXT) | instid1(VALU_DEP_4)
	v_cndmask_b32_e64 v19, v19, v18, s1
	v_cndmask_b32_e64 v13, v18, v13, s1
	s_delay_alu instid0(VALU_DEP_3) | instskip(NEXT) | instid1(VALU_DEP_3)
	v_alignbit_b32 v21, v17, v15, v20
	v_alignbit_b32 v22, v15, v19, v20
	s_delay_alu instid0(VALU_DEP_3) | instskip(NEXT) | instid1(VALU_DEP_3)
	v_alignbit_b32 v20, v19, v13, v20
	v_cndmask_b32_e64 v1, v21, v17, s2
	s_delay_alu instid0(VALU_DEP_3) | instskip(NEXT) | instid1(VALU_DEP_3)
	v_cndmask_b32_e64 v15, v22, v15, s2
	v_cndmask_b32_e64 v19, v20, v19, s2
	s_delay_alu instid0(VALU_DEP_3) | instskip(NEXT) | instid1(VALU_DEP_3)
	v_bfe_u32 v16, v1, 29, 1
	v_alignbit_b32 v14, v1, v15, 30
	s_delay_alu instid0(VALU_DEP_3) | instskip(SKIP_1) | instid1(VALU_DEP_4)
	v_alignbit_b32 v15, v15, v19, 30
	v_alignbit_b32 v13, v19, v13, 30
	v_sub_nc_u32_e32 v17, 0, v16
	s_delay_alu instid0(VALU_DEP_1) | instskip(SKIP_3) | instid1(VALU_DEP_4)
	v_xor_b32_e32 v18, v14, v17
	v_cmp_ne_u32_e32 vcc_lo, v14, v17
	v_xor_b32_e32 v15, v15, v17
	v_xor_b32_e32 v13, v13, v17
	v_clz_i32_u32_e32 v21, v18
	s_delay_alu instid0(VALU_DEP_1) | instskip(NEXT) | instid1(VALU_DEP_1)
	v_add_nc_u32_e32 v20, 1, v21
	v_cndmask_b32_e32 v14, 33, v20, vcc_lo
	s_delay_alu instid0(VALU_DEP_1) | instskip(NEXT) | instid1(VALU_DEP_1)
	v_sub_nc_u32_e32 v19, 32, v14
	v_alignbit_b32 v17, v18, v15, v19
	v_alignbit_b32 v13, v15, v13, v19
	v_lshrrev_b32_e32 v15, 29, v1
	v_lshrrev_b32_e32 v1, 30, v1
	s_delay_alu instid0(VALU_DEP_3) | instskip(NEXT) | instid1(VALU_DEP_3)
	v_alignbit_b32 v18, v17, v13, 9
	v_lshlrev_b32_e32 v15, 31, v15
	v_alignbit_b32 v17, v14, v17, 9
	s_delay_alu instid0(VALU_DEP_3) | instskip(NEXT) | instid1(VALU_DEP_2)
	v_clz_i32_u32_e32 v19, v18
	v_or_b32_e32 v17, v17, v15
	v_or_b32_e32 v15, 0x33800000, v15
	s_delay_alu instid0(VALU_DEP_3) | instskip(NEXT) | instid1(VALU_DEP_3)
	v_min_u32_e32 v19, 32, v19
	v_xor_b32_e32 v17, 1.0, v17
	s_delay_alu instid0(VALU_DEP_2) | instskip(SKIP_1) | instid1(VALU_DEP_3)
	v_sub_nc_u32_e32 v20, 31, v19
	v_add_lshl_u32 v14, v19, v14, 23
	v_mul_f32_e32 v19, 0x3fc90fda, v17
	s_delay_alu instid0(VALU_DEP_3) | instskip(NEXT) | instid1(VALU_DEP_3)
	v_alignbit_b32 v13, v18, v13, v20
	v_sub_nc_u32_e32 v14, v15, v14
	s_delay_alu instid0(VALU_DEP_3) | instskip(NEXT) | instid1(VALU_DEP_3)
	v_fma_f32 v15, 0x3fc90fda, v17, -v19
	v_lshrrev_b32_e32 v13, 9, v13
	s_delay_alu instid0(VALU_DEP_2) | instskip(NEXT) | instid1(VALU_DEP_2)
	v_fmac_f32_e32 v15, 0x33a22168, v17
	v_or_b32_e32 v13, v14, v13
	s_delay_alu instid0(VALU_DEP_1) | instskip(NEXT) | instid1(VALU_DEP_1)
	v_fmac_f32_e32 v15, 0x3fc90fda, v13
	v_add_f32_e32 v13, v19, v15
	v_add_nc_u32_e32 v15, v16, v1
.LBB224_51:                             ;   in Loop: Header=BB224_41 Depth=1
	s_and_not1_saveexec_b32 s0, s9
; %bb.52:                               ;   in Loop: Header=BB224_41 Depth=1
	s_delay_alu instid0(VALU_DEP_2) | instskip(NEXT) | instid1(VALU_DEP_1)
	v_mul_f32_e32 v1, 0x3f22f983, v13
	v_rndne_f32_e32 v1, v1
	s_delay_alu instid0(VALU_DEP_1) | instskip(SKIP_1) | instid1(VALU_DEP_2)
	v_fmac_f32_e32 v13, 0xbfc90fda, v1
	v_cvt_i32_f32_e32 v15, v1
	v_fmac_f32_e32 v13, 0xb3a22168, v1
	s_delay_alu instid0(VALU_DEP_1)
	v_fmac_f32_e32 v13, 0xa7c234c4, v1
; %bb.53:                               ;   in Loop: Header=BB224_41 Depth=1
	s_or_b32 exec_lo, exec_lo, s0
	v_lshrrev_b32_e32 v14, 16, v8
                                        ; implicit-def: $vgpr1
	s_mov_b32 s0, exec_lo
	s_delay_alu instid0(VALU_DEP_1) | instskip(NEXT) | instid1(VALU_DEP_1)
	v_cvt_f32_f16_e64 v16, |v14|
	v_cmpx_ngt_f32_e32 0x48000000, v16
	s_xor_b32 s9, exec_lo, s0
	s_cbranch_execz .LBB224_55
; %bb.54:                               ;   in Loop: Header=BB224_41 Depth=1
	v_and_or_b32 v25, v16, s6, 0x800000
	v_lshrrev_b32_e32 v16, 23, v16
	s_delay_alu instid0(VALU_DEP_2) | instskip(NEXT) | instid1(VALU_DEP_2)
	v_mad_u64_u32 v[17:18], null, 0xfe5163ab, v25, 0
	v_add_nc_u32_e32 v16, 0xffffff88, v16
	s_delay_alu instid0(VALU_DEP_1) | instskip(NEXT) | instid1(VALU_DEP_3)
	v_cmp_lt_u32_e32 vcc_lo, 63, v16
	v_mov_b32_e32 v1, v18
	v_cndmask_b32_e64 v23, 0, 0xffffffc0, vcc_lo
	s_delay_alu instid0(VALU_DEP_2) | instskip(NEXT) | instid1(VALU_DEP_2)
	v_mad_u64_u32 v[18:19], null, 0x3c439041, v25, v[1:2]
	v_add_nc_u32_e32 v16, v23, v16
	s_delay_alu instid0(VALU_DEP_1) | instskip(NEXT) | instid1(VALU_DEP_1)
	v_cmp_lt_u32_e64 s0, 31, v16
	v_cndmask_b32_e64 v24, 0, 0xffffffe0, s0
	s_delay_alu instid0(VALU_DEP_1) | instskip(NEXT) | instid1(VALU_DEP_1)
	v_dual_mov_b32 v1, v19 :: v_dual_add_nc_u32 v16, v24, v16
	v_mad_u64_u32 v[19:20], null, 0xdb629599, v25, v[1:2]
	s_delay_alu instid0(VALU_DEP_2) | instskip(NEXT) | instid1(VALU_DEP_2)
	v_cmp_lt_u32_e64 s1, 31, v16
	v_mov_b32_e32 v1, v20
	s_delay_alu instid0(VALU_DEP_3) | instskip(NEXT) | instid1(VALU_DEP_2)
	v_cndmask_b32_e32 v17, v19, v17, vcc_lo
	v_mad_u64_u32 v[20:21], null, 0xf534ddc0, v25, v[1:2]
	s_delay_alu instid0(VALU_DEP_1) | instskip(NEXT) | instid1(VALU_DEP_1)
	v_mov_b32_e32 v1, v21
	v_mad_u64_u32 v[21:22], null, 0xfc2757d1, v25, v[1:2]
	s_delay_alu instid0(VALU_DEP_1) | instskip(NEXT) | instid1(VALU_DEP_1)
	v_mov_b32_e32 v1, v22
	;; [unrolled: 3-line block ×3, first 2 shown]
	v_mad_u64_u32 v[23:24], null, 0xa2f9836e, v25, v[1:2]
	v_cndmask_b32_e64 v1, 0, 0xffffffe0, s1
	s_delay_alu instid0(VALU_DEP_4) | instskip(NEXT) | instid1(VALU_DEP_2)
	v_cndmask_b32_e32 v25, v22, v20, vcc_lo
	v_dual_cndmask_b32 v16, v20, v18 :: v_dual_add_nc_u32 v1, v1, v16
	s_delay_alu instid0(VALU_DEP_4) | instskip(SKIP_1) | instid1(VALU_DEP_3)
	v_dual_cndmask_b32 v23, v23, v21 :: v_dual_cndmask_b32 v22, v24, v22
	v_cndmask_b32_e32 v21, v21, v19, vcc_lo
	v_cmp_eq_u32_e64 s2, 0, v1
	s_delay_alu instid0(VALU_DEP_3) | instskip(NEXT) | instid1(VALU_DEP_4)
	v_cndmask_b32_e64 v18, v23, v25, s0
	v_cndmask_b32_e64 v20, v22, v23, s0
	s_delay_alu instid0(VALU_DEP_4)
	v_cndmask_b32_e64 v22, v25, v21, s0
	v_sub_nc_u32_e32 v23, 32, v1
	v_cndmask_b32_e64 v21, v21, v16, s0
	v_cndmask_b32_e64 v16, v16, v17, s0
	;; [unrolled: 1-line block ×4, first 2 shown]
	s_delay_alu instid0(VALU_DEP_4) | instskip(NEXT) | instid1(VALU_DEP_4)
	v_cndmask_b32_e64 v22, v22, v21, s1
	v_cndmask_b32_e64 v16, v21, v16, s1
	s_delay_alu instid0(VALU_DEP_3) | instskip(NEXT) | instid1(VALU_DEP_3)
	v_alignbit_b32 v24, v20, v18, v23
	v_alignbit_b32 v25, v18, v22, v23
	s_delay_alu instid0(VALU_DEP_3) | instskip(NEXT) | instid1(VALU_DEP_3)
	v_alignbit_b32 v23, v22, v16, v23
	v_cndmask_b32_e64 v1, v24, v20, s2
	s_delay_alu instid0(VALU_DEP_3) | instskip(NEXT) | instid1(VALU_DEP_3)
	v_cndmask_b32_e64 v18, v25, v18, s2
	v_cndmask_b32_e64 v22, v23, v22, s2
	s_delay_alu instid0(VALU_DEP_3) | instskip(NEXT) | instid1(VALU_DEP_3)
	v_bfe_u32 v19, v1, 29, 1
	v_alignbit_b32 v17, v1, v18, 30
	s_delay_alu instid0(VALU_DEP_3) | instskip(SKIP_1) | instid1(VALU_DEP_4)
	v_alignbit_b32 v18, v18, v22, 30
	v_alignbit_b32 v16, v22, v16, 30
	v_sub_nc_u32_e32 v20, 0, v19
	s_delay_alu instid0(VALU_DEP_1) | instskip(SKIP_3) | instid1(VALU_DEP_4)
	v_xor_b32_e32 v21, v17, v20
	v_cmp_ne_u32_e32 vcc_lo, v17, v20
	v_xor_b32_e32 v18, v18, v20
	v_xor_b32_e32 v16, v16, v20
	v_clz_i32_u32_e32 v24, v21
	s_delay_alu instid0(VALU_DEP_1) | instskip(NEXT) | instid1(VALU_DEP_1)
	v_add_nc_u32_e32 v23, 1, v24
	v_cndmask_b32_e32 v17, 33, v23, vcc_lo
	s_delay_alu instid0(VALU_DEP_1) | instskip(NEXT) | instid1(VALU_DEP_1)
	v_sub_nc_u32_e32 v22, 32, v17
	v_alignbit_b32 v20, v21, v18, v22
	v_alignbit_b32 v16, v18, v16, v22
	v_lshrrev_b32_e32 v18, 29, v1
	v_lshrrev_b32_e32 v1, 30, v1
	s_delay_alu instid0(VALU_DEP_3) | instskip(NEXT) | instid1(VALU_DEP_3)
	v_alignbit_b32 v21, v20, v16, 9
	v_lshlrev_b32_e32 v18, 31, v18
	v_alignbit_b32 v20, v17, v20, 9
	s_delay_alu instid0(VALU_DEP_4) | instskip(NEXT) | instid1(VALU_DEP_4)
	v_add_nc_u32_e32 v1, v19, v1
	v_clz_i32_u32_e32 v22, v21
	s_delay_alu instid0(VALU_DEP_3) | instskip(SKIP_1) | instid1(VALU_DEP_3)
	v_or_b32_e32 v20, v20, v18
	v_or_b32_e32 v18, 0x33800000, v18
	v_min_u32_e32 v22, 32, v22
	s_delay_alu instid0(VALU_DEP_3) | instskip(NEXT) | instid1(VALU_DEP_2)
	v_xor_b32_e32 v20, 1.0, v20
	v_sub_nc_u32_e32 v23, 31, v22
	v_add_lshl_u32 v17, v22, v17, 23
	s_delay_alu instid0(VALU_DEP_3) | instskip(NEXT) | instid1(VALU_DEP_3)
	v_mul_f32_e32 v22, 0x3fc90fda, v20
	v_alignbit_b32 v16, v21, v16, v23
	s_delay_alu instid0(VALU_DEP_3) | instskip(NEXT) | instid1(VALU_DEP_3)
	v_sub_nc_u32_e32 v17, v18, v17
	v_fma_f32 v18, 0x3fc90fda, v20, -v22
	s_delay_alu instid0(VALU_DEP_3) | instskip(NEXT) | instid1(VALU_DEP_2)
	v_lshrrev_b32_e32 v16, 9, v16
	v_fmac_f32_e32 v18, 0x33a22168, v20
	s_delay_alu instid0(VALU_DEP_2) | instskip(NEXT) | instid1(VALU_DEP_1)
	v_or_b32_e32 v16, v17, v16
	v_fmac_f32_e32 v18, 0x3fc90fda, v16
	s_delay_alu instid0(VALU_DEP_1)
	v_add_f32_e32 v16, v22, v18
.LBB224_55:                             ;   in Loop: Header=BB224_41 Depth=1
	s_and_not1_saveexec_b32 s0, s9
	s_cbranch_execz .LBB224_40
; %bb.56:                               ;   in Loop: Header=BB224_41 Depth=1
	s_delay_alu instid0(VALU_DEP_1) | instskip(NEXT) | instid1(VALU_DEP_1)
	v_mul_f32_e32 v1, 0x3f22f983, v16
	v_rndne_f32_e32 v1, v1
	s_delay_alu instid0(VALU_DEP_1) | instskip(NEXT) | instid1(VALU_DEP_1)
	v_fmac_f32_e32 v16, 0xbfc90fda, v1
	v_fmac_f32_e32 v16, 0xb3a22168, v1
	s_delay_alu instid0(VALU_DEP_1)
	v_fmac_f32_e32 v16, 0xa7c234c4, v1
	v_cvt_i32_f32_e32 v1, v1
	s_branch .LBB224_40
.LBB224_57:
	s_nop 0
	s_sendmsg sendmsg(MSG_DEALLOC_VGPRS)
	s_endpgm
	.section	.rodata,"a",@progbits
	.p2align	6, 0x0
	.amdhsa_kernel _ZN2at6native12_GLOBAL__N_125multi_tensor_apply_kernelINS1_18TensorListMetadataILi1EEENS1_14UnaryOpFunctorIN3c104HalfELi1ELi1ELi0EEEJNS0_3CosIfEEEEEvT_T0_DpT1_
		.amdhsa_group_segment_fixed_size 0
		.amdhsa_private_segment_fixed_size 0
		.amdhsa_kernarg_size 3632
		.amdhsa_user_sgpr_count 15
		.amdhsa_user_sgpr_dispatch_ptr 0
		.amdhsa_user_sgpr_queue_ptr 0
		.amdhsa_user_sgpr_kernarg_segment_ptr 1
		.amdhsa_user_sgpr_dispatch_id 0
		.amdhsa_user_sgpr_private_segment_size 0
		.amdhsa_wavefront_size32 1
		.amdhsa_uses_dynamic_stack 0
		.amdhsa_enable_private_segment 0
		.amdhsa_system_sgpr_workgroup_id_x 1
		.amdhsa_system_sgpr_workgroup_id_y 0
		.amdhsa_system_sgpr_workgroup_id_z 0
		.amdhsa_system_sgpr_workgroup_info 0
		.amdhsa_system_vgpr_workitem_id 0
		.amdhsa_next_free_vgpr 33
		.amdhsa_next_free_sgpr 26
		.amdhsa_reserve_vcc 1
		.amdhsa_float_round_mode_32 0
		.amdhsa_float_round_mode_16_64 0
		.amdhsa_float_denorm_mode_32 3
		.amdhsa_float_denorm_mode_16_64 3
		.amdhsa_dx10_clamp 1
		.amdhsa_ieee_mode 1
		.amdhsa_fp16_overflow 0
		.amdhsa_workgroup_processor_mode 1
		.amdhsa_memory_ordered 1
		.amdhsa_forward_progress 0
		.amdhsa_shared_vgpr_count 0
		.amdhsa_exception_fp_ieee_invalid_op 0
		.amdhsa_exception_fp_denorm_src 0
		.amdhsa_exception_fp_ieee_div_zero 0
		.amdhsa_exception_fp_ieee_overflow 0
		.amdhsa_exception_fp_ieee_underflow 0
		.amdhsa_exception_fp_ieee_inexact 0
		.amdhsa_exception_int_div_zero 0
	.end_amdhsa_kernel
	.section	.text._ZN2at6native12_GLOBAL__N_125multi_tensor_apply_kernelINS1_18TensorListMetadataILi1EEENS1_14UnaryOpFunctorIN3c104HalfELi1ELi1ELi0EEEJNS0_3CosIfEEEEEvT_T0_DpT1_,"axG",@progbits,_ZN2at6native12_GLOBAL__N_125multi_tensor_apply_kernelINS1_18TensorListMetadataILi1EEENS1_14UnaryOpFunctorIN3c104HalfELi1ELi1ELi0EEEJNS0_3CosIfEEEEEvT_T0_DpT1_,comdat
.Lfunc_end224:
	.size	_ZN2at6native12_GLOBAL__N_125multi_tensor_apply_kernelINS1_18TensorListMetadataILi1EEENS1_14UnaryOpFunctorIN3c104HalfELi1ELi1ELi0EEEJNS0_3CosIfEEEEEvT_T0_DpT1_, .Lfunc_end224-_ZN2at6native12_GLOBAL__N_125multi_tensor_apply_kernelINS1_18TensorListMetadataILi1EEENS1_14UnaryOpFunctorIN3c104HalfELi1ELi1ELi0EEEJNS0_3CosIfEEEEEvT_T0_DpT1_
                                        ; -- End function
	.section	.AMDGPU.csdata,"",@progbits
; Kernel info:
; codeLenInByte = 8660
; NumSgprs: 28
; NumVgprs: 33
; ScratchSize: 0
; MemoryBound: 0
; FloatMode: 240
; IeeeMode: 1
; LDSByteSize: 0 bytes/workgroup (compile time only)
; SGPRBlocks: 3
; VGPRBlocks: 4
; NumSGPRsForWavesPerEU: 28
; NumVGPRsForWavesPerEU: 33
; Occupancy: 16
; WaveLimiterHint : 0
; COMPUTE_PGM_RSRC2:SCRATCH_EN: 0
; COMPUTE_PGM_RSRC2:USER_SGPR: 15
; COMPUTE_PGM_RSRC2:TRAP_HANDLER: 0
; COMPUTE_PGM_RSRC2:TGID_X_EN: 1
; COMPUTE_PGM_RSRC2:TGID_Y_EN: 0
; COMPUTE_PGM_RSRC2:TGID_Z_EN: 0
; COMPUTE_PGM_RSRC2:TIDIG_COMP_CNT: 0
	.section	.text._ZN2at6native12_GLOBAL__N_125multi_tensor_apply_kernelINS1_18TensorListMetadataILi1EEENS1_14UnaryOpFunctorIN3c108BFloat16ELi1ELi1ELi0EEEJNS0_3CosIfEEEEEvT_T0_DpT1_,"axG",@progbits,_ZN2at6native12_GLOBAL__N_125multi_tensor_apply_kernelINS1_18TensorListMetadataILi1EEENS1_14UnaryOpFunctorIN3c108BFloat16ELi1ELi1ELi0EEEJNS0_3CosIfEEEEEvT_T0_DpT1_,comdat
	.globl	_ZN2at6native12_GLOBAL__N_125multi_tensor_apply_kernelINS1_18TensorListMetadataILi1EEENS1_14UnaryOpFunctorIN3c108BFloat16ELi1ELi1ELi0EEEJNS0_3CosIfEEEEEvT_T0_DpT1_ ; -- Begin function _ZN2at6native12_GLOBAL__N_125multi_tensor_apply_kernelINS1_18TensorListMetadataILi1EEENS1_14UnaryOpFunctorIN3c108BFloat16ELi1ELi1ELi0EEEJNS0_3CosIfEEEEEvT_T0_DpT1_
	.p2align	8
	.type	_ZN2at6native12_GLOBAL__N_125multi_tensor_apply_kernelINS1_18TensorListMetadataILi1EEENS1_14UnaryOpFunctorIN3c108BFloat16ELi1ELi1ELi0EEEJNS0_3CosIfEEEEEvT_T0_DpT1_,@function
_ZN2at6native12_GLOBAL__N_125multi_tensor_apply_kernelINS1_18TensorListMetadataILi1EEENS1_14UnaryOpFunctorIN3c108BFloat16ELi1ELi1ELi0EEEJNS0_3CosIfEEEEEvT_T0_DpT1_: ; @_ZN2at6native12_GLOBAL__N_125multi_tensor_apply_kernelINS1_18TensorListMetadataILi1EEENS1_14UnaryOpFunctorIN3c108BFloat16ELi1ELi1ELi0EEEJNS0_3CosIfEEEEEvT_T0_DpT1_
; %bb.0:
	v_mov_b32_e32 v1, s15
	s_add_u32 s2, s0, s15
	s_mul_hi_u32 s3, s15, 3
	s_mul_i32 s15, s15, 3
	s_addc_u32 s4, s1, 0
	global_load_u8 v1, v1, s[0:1] offset:1760
	s_add_u32 s2, s2, s15
	s_addc_u32 s3, s4, s3
	s_mov_b32 s7, 0
	s_load_b32 s2, s[2:3], 0x820
	s_waitcnt vmcnt(0)
	v_readfirstlane_b32 s5, v1
	s_delay_alu instid0(VALU_DEP_1)
	s_lshl_b32 s3, s5, 3
	s_clause 0x1
	s_load_b64 s[12:13], s[0:1], s3 offset:0x0
	s_load_b64 s[4:5], s[0:1], s3 offset:0x370
	s_waitcnt lgkmcnt(0)
	s_ashr_i32 s3, s2, 31
	s_delay_alu instid0(SALU_CYCLE_1)
	s_lshl_b64 s[14:15], s[2:3], 17
	s_lshl_b64 s[2:3], s[2:3], 16
	s_and_b32 s6, s12, 7
	s_sub_u32 s10, s4, s2
	s_subb_u32 s11, s5, s3
	s_and_b32 s2, s4, 3
	s_mov_b32 s3, s7
	s_delay_alu instid0(SALU_CYCLE_1) | instskip(NEXT) | instid1(SALU_CYCLE_1)
	s_or_b64 s[2:3], s[6:7], s[2:3]
	s_cmp_eq_u64 s[2:3], 0
	s_cbranch_scc1 .LBB225_37
; %bb.1:
	v_cmp_lt_i64_e64 s2, s[10:11], 1
	s_delay_alu instid0(VALU_DEP_1)
	s_and_b32 vcc_lo, exec_lo, s2
	s_cbranch_vccnz .LBB225_36
; %bb.2:
	s_load_b32 s2, s[0:1], 0xd3c
	v_cmp_gt_u64_e64 s3, 0x10000, s[10:11]
	v_dual_mov_b32 v2, 0 :: v_dual_lshlrev_b32 v1, 1, v0
	s_mov_b64 s[18:19], 0
	s_mov_b32 s22, 0x7fffff
	s_mov_b32 s23, 0xb94c1982
	;; [unrolled: 1-line block ×3, first 2 shown]
	s_waitcnt lgkmcnt(0)
	s_and_b32 s2, s2, 0xffff
	s_and_b32 s3, s3, exec_lo
	v_add_co_u32 v7, s5, v0, s2
	s_cselect_b32 s17, s11, 0
	s_cselect_b32 s16, s10, 0x10000
	s_lshl_b32 s3, s2, 1
	s_mul_i32 s4, s2, 3
	s_lshl_b32 s9, s2, 2
	v_add_co_ci_u32_e64 v8, null, 0, 0, s5
	s_add_u32 s5, s12, s14
	s_mul_i32 s20, s2, 6
	s_addc_u32 s6, s13, s15
	s_lshl_b32 s21, s2, 3
	v_add_co_u32 v9, s2, s4, v0
	s_delay_alu instid0(VALU_DEP_1) | instskip(SKIP_4) | instid1(VALU_DEP_1)
	v_add_co_ci_u32_e64 v10, null, 0, 0, s2
	v_add_co_u32 v3, s2, s5, v1
	v_lshlrev_b32_e32 v1, 1, v7
	v_add_co_ci_u32_e64 v4, null, s6, 0, s2
	v_add_co_u32 v11, s2, s3, v0
	v_add_co_ci_u32_e64 v12, null, 0, 0, s2
	s_delay_alu instid0(VALU_DEP_4) | instskip(NEXT) | instid1(VALU_DEP_1)
	v_add_co_u32 v5, s2, s5, v1
	v_add_co_ci_u32_e64 v6, null, s6, 0, s2
	s_branch .LBB225_4
.LBB225_3:                              ;   in Loop: Header=BB225_4 Depth=1
	s_or_b32 exec_lo, exec_lo, s2
	s_add_u32 s18, s18, s9
	s_addc_u32 s19, s19, 0
	v_add_co_u32 v3, vcc_lo, v3, s21
	v_cmp_ge_i64_e64 s2, s[18:19], s[10:11]
	v_cmp_lt_u64_e64 s3, 0xffff, s[18:19]
	v_add_co_ci_u32_e32 v4, vcc_lo, 0, v4, vcc_lo
	v_add_co_u32 v5, vcc_lo, v5, s21
	v_add_co_ci_u32_e32 v6, vcc_lo, 0, v6, vcc_lo
	s_delay_alu instid0(VALU_DEP_4) | instskip(NEXT) | instid1(SALU_CYCLE_1)
	s_or_b32 s2, s2, s3
	s_and_b32 vcc_lo, exec_lo, s2
	s_cbranch_vccnz .LBB225_36
.LBB225_4:                              ; =>This Inner Loop Header: Depth=1
	v_add_co_u32 v13, s2, v0, s18
	s_delay_alu instid0(VALU_DEP_1) | instskip(SKIP_1) | instid1(VALU_DEP_2)
	v_add_co_ci_u32_e64 v14, null, 0, s19, s2
	v_mov_b32_e32 v1, 0
	v_cmp_gt_u64_e64 s4, s[16:17], v[13:14]
	s_delay_alu instid0(VALU_DEP_1)
	s_and_saveexec_b32 s2, s4
	s_cbranch_execz .LBB225_6
; %bb.5:                                ;   in Loop: Header=BB225_4 Depth=1
	global_load_u16 v1, v[3:4], off
.LBB225_6:                              ;   in Loop: Header=BB225_4 Depth=1
	s_or_b32 exec_lo, exec_lo, s2
	v_add_co_u32 v13, vcc_lo, v7, s18
	v_add_co_ci_u32_e32 v14, vcc_lo, s19, v8, vcc_lo
	s_delay_alu instid0(VALU_DEP_1) | instskip(SKIP_1) | instid1(VALU_DEP_2)
	v_cmp_gt_u64_e64 s3, s[16:17], v[13:14]
	v_mov_b32_e32 v14, 0
	s_and_saveexec_b32 s2, s3
	s_cbranch_execz .LBB225_8
; %bb.7:                                ;   in Loop: Header=BB225_4 Depth=1
	global_load_u16 v14, v[5:6], off
.LBB225_8:                              ;   in Loop: Header=BB225_4 Depth=1
	s_or_b32 exec_lo, exec_lo, s2
	v_add_co_u32 v15, vcc_lo, v11, s18
	v_add_co_ci_u32_e32 v16, vcc_lo, s19, v12, vcc_lo
	v_dual_mov_b32 v17, 0 :: v_dual_mov_b32 v18, 0
	s_delay_alu instid0(VALU_DEP_2) | instskip(NEXT) | instid1(VALU_DEP_1)
	v_cmp_gt_u64_e64 s2, s[16:17], v[15:16]
	s_and_saveexec_b32 s5, s2
	s_cbranch_execz .LBB225_10
; %bb.9:                                ;   in Loop: Header=BB225_4 Depth=1
	v_add_co_u32 v15, vcc_lo, v3, s9
	v_add_co_ci_u32_e32 v16, vcc_lo, 0, v4, vcc_lo
	global_load_u16 v18, v[15:16], off
.LBB225_10:                             ;   in Loop: Header=BB225_4 Depth=1
	s_or_b32 exec_lo, exec_lo, s5
	v_add_co_u32 v15, vcc_lo, v9, s18
	v_add_co_ci_u32_e32 v16, vcc_lo, s19, v10, vcc_lo
	s_delay_alu instid0(VALU_DEP_1)
	v_cmp_gt_u64_e32 vcc_lo, s[16:17], v[15:16]
	s_and_saveexec_b32 s6, vcc_lo
	s_cbranch_execz .LBB225_12
; %bb.11:                               ;   in Loop: Header=BB225_4 Depth=1
	v_add_co_u32 v15, s5, v3, s20
	s_delay_alu instid0(VALU_DEP_1)
	v_add_co_ci_u32_e64 v16, s5, 0, v4, s5
	global_load_u16 v17, v[15:16], off
.LBB225_12:                             ;   in Loop: Header=BB225_4 Depth=1
	s_or_b32 exec_lo, exec_lo, s6
	s_waitcnt vmcnt(0)
	v_lshlrev_b32_e32 v13, 16, v1
                                        ; implicit-def: $vgpr16
                                        ; implicit-def: $vgpr15
	s_mov_b32 s6, exec_lo
	s_delay_alu instid0(VALU_DEP_1)
	v_cmpx_ngt_f32_e64 0x48000000, |v13|
	s_xor_b32 s25, exec_lo, s6
	s_cbranch_execz .LBB225_14
; %bb.13:                               ;   in Loop: Header=BB225_4 Depth=1
	v_and_b32_e32 v23, 0x7fffffff, v13
	s_delay_alu instid0(VALU_DEP_1) | instskip(NEXT) | instid1(VALU_DEP_1)
	v_and_or_b32 v26, v23, s22, 0x800000
	v_mad_u64_u32 v[15:16], null, 0xfe5163ab, v26, 0
	s_delay_alu instid0(VALU_DEP_1) | instskip(SKIP_1) | instid1(VALU_DEP_1)
	v_mov_b32_e32 v1, v16
	v_lshrrev_b32_e32 v16, 23, v23
	v_add_nc_u32_e32 v16, 0xffffff88, v16
	s_delay_alu instid0(VALU_DEP_3) | instskip(NEXT) | instid1(VALU_DEP_2)
	v_mad_u64_u32 v[19:20], null, 0x3c439041, v26, v[1:2]
	v_cmp_lt_u32_e64 s5, 63, v16
	s_delay_alu instid0(VALU_DEP_1) | instskip(NEXT) | instid1(VALU_DEP_1)
	v_cndmask_b32_e64 v24, 0, 0xffffffc0, s5
	v_add_nc_u32_e32 v16, v24, v16
	s_delay_alu instid0(VALU_DEP_1) | instskip(NEXT) | instid1(VALU_DEP_1)
	v_cmp_lt_u32_e64 s6, 31, v16
	v_cndmask_b32_e64 v25, 0, 0xffffffe0, s6
	s_delay_alu instid0(VALU_DEP_1) | instskip(NEXT) | instid1(VALU_DEP_1)
	v_dual_mov_b32 v1, v20 :: v_dual_add_nc_u32 v16, v25, v16
	v_mad_u64_u32 v[20:21], null, 0xdb629599, v26, v[1:2]
	s_delay_alu instid0(VALU_DEP_2) | instskip(NEXT) | instid1(VALU_DEP_2)
	v_cmp_lt_u32_e64 s7, 31, v16
	v_mov_b32_e32 v1, v21
	s_delay_alu instid0(VALU_DEP_3) | instskip(NEXT) | instid1(VALU_DEP_2)
	v_cndmask_b32_e64 v15, v20, v15, s5
	v_mad_u64_u32 v[21:22], null, 0xf534ddc0, v26, v[1:2]
	s_delay_alu instid0(VALU_DEP_1) | instskip(NEXT) | instid1(VALU_DEP_1)
	v_mov_b32_e32 v1, v22
	v_mad_u64_u32 v[22:23], null, 0xfc2757d1, v26, v[1:2]
	s_delay_alu instid0(VALU_DEP_1) | instskip(NEXT) | instid1(VALU_DEP_1)
	v_mov_b32_e32 v1, v23
	;; [unrolled: 3-line block ×3, first 2 shown]
	v_mad_u64_u32 v[24:25], null, 0xa2f9836e, v26, v[1:2]
	v_cndmask_b32_e64 v1, 0, 0xffffffe0, s7
	s_delay_alu instid0(VALU_DEP_4) | instskip(NEXT) | instid1(VALU_DEP_2)
	v_cndmask_b32_e64 v26, v23, v21, s5
	v_add_nc_u32_e32 v1, v1, v16
	s_delay_alu instid0(VALU_DEP_4)
	v_cndmask_b32_e64 v24, v24, v22, s5
	v_cndmask_b32_e64 v23, v25, v23, s5
	;; [unrolled: 1-line block ×4, first 2 shown]
	v_cmp_eq_u32_e64 s8, 0, v1
	v_cndmask_b32_e64 v19, v24, v26, s6
	v_cndmask_b32_e64 v21, v23, v24, s6
	v_cndmask_b32_e64 v23, v26, v22, s6
	v_sub_nc_u32_e32 v24, 32, v1
	v_cndmask_b32_e64 v22, v22, v16, s6
	v_cndmask_b32_e64 v15, v16, v15, s6
	;; [unrolled: 1-line block ×4, first 2 shown]
	s_delay_alu instid0(VALU_DEP_4) | instskip(NEXT) | instid1(VALU_DEP_4)
	v_cndmask_b32_e64 v23, v23, v22, s7
	v_cndmask_b32_e64 v15, v22, v15, s7
	s_delay_alu instid0(VALU_DEP_3) | instskip(NEXT) | instid1(VALU_DEP_3)
	v_alignbit_b32 v25, v21, v19, v24
	v_alignbit_b32 v26, v19, v23, v24
	s_delay_alu instid0(VALU_DEP_3) | instskip(NEXT) | instid1(VALU_DEP_3)
	v_alignbit_b32 v24, v23, v15, v24
	v_cndmask_b32_e64 v1, v25, v21, s8
	s_delay_alu instid0(VALU_DEP_3) | instskip(NEXT) | instid1(VALU_DEP_3)
	v_cndmask_b32_e64 v19, v26, v19, s8
	v_cndmask_b32_e64 v23, v24, v23, s8
	s_delay_alu instid0(VALU_DEP_3) | instskip(NEXT) | instid1(VALU_DEP_3)
	v_bfe_u32 v20, v1, 29, 1
	v_alignbit_b32 v16, v1, v19, 30
	s_delay_alu instid0(VALU_DEP_3) | instskip(SKIP_1) | instid1(VALU_DEP_4)
	v_alignbit_b32 v19, v19, v23, 30
	v_alignbit_b32 v15, v23, v15, 30
	v_sub_nc_u32_e32 v21, 0, v20
	s_delay_alu instid0(VALU_DEP_1) | instskip(SKIP_3) | instid1(VALU_DEP_4)
	v_xor_b32_e32 v22, v16, v21
	v_cmp_ne_u32_e64 s5, v16, v21
	v_xor_b32_e32 v19, v19, v21
	v_xor_b32_e32 v15, v15, v21
	v_clz_i32_u32_e32 v25, v22
	s_delay_alu instid0(VALU_DEP_1) | instskip(NEXT) | instid1(VALU_DEP_1)
	v_add_nc_u32_e32 v24, 1, v25
	v_cndmask_b32_e64 v16, 33, v24, s5
	s_delay_alu instid0(VALU_DEP_1) | instskip(NEXT) | instid1(VALU_DEP_1)
	v_sub_nc_u32_e32 v23, 32, v16
	v_alignbit_b32 v21, v22, v19, v23
	v_alignbit_b32 v15, v19, v15, v23
	v_lshrrev_b32_e32 v19, 29, v1
	v_lshrrev_b32_e32 v1, 30, v1
	s_delay_alu instid0(VALU_DEP_3) | instskip(NEXT) | instid1(VALU_DEP_3)
	v_alignbit_b32 v22, v21, v15, 9
	v_lshlrev_b32_e32 v19, 31, v19
	v_alignbit_b32 v21, v16, v21, 9
	s_delay_alu instid0(VALU_DEP_3) | instskip(NEXT) | instid1(VALU_DEP_2)
	v_clz_i32_u32_e32 v23, v22
	v_or_b32_e32 v21, v21, v19
	v_or_b32_e32 v19, 0x33800000, v19
	s_delay_alu instid0(VALU_DEP_3) | instskip(NEXT) | instid1(VALU_DEP_3)
	v_min_u32_e32 v23, 32, v23
	v_xor_b32_e32 v21, 1.0, v21
	s_delay_alu instid0(VALU_DEP_2) | instskip(SKIP_1) | instid1(VALU_DEP_3)
	v_sub_nc_u32_e32 v24, 31, v23
	v_add_lshl_u32 v16, v23, v16, 23
	v_mul_f32_e32 v23, 0x3fc90fda, v21
	s_delay_alu instid0(VALU_DEP_3) | instskip(NEXT) | instid1(VALU_DEP_3)
	v_alignbit_b32 v15, v22, v15, v24
	v_sub_nc_u32_e32 v16, v19, v16
	s_delay_alu instid0(VALU_DEP_3) | instskip(NEXT) | instid1(VALU_DEP_3)
	v_fma_f32 v19, 0x3fc90fda, v21, -v23
	v_lshrrev_b32_e32 v15, 9, v15
	s_delay_alu instid0(VALU_DEP_2) | instskip(NEXT) | instid1(VALU_DEP_2)
	v_fmac_f32_e32 v19, 0x33a22168, v21
	v_or_b32_e32 v15, v16, v15
	s_delay_alu instid0(VALU_DEP_1) | instskip(NEXT) | instid1(VALU_DEP_1)
	v_dual_fmac_f32 v19, 0x3fc90fda, v15 :: v_dual_add_nc_u32 v16, v20, v1
	v_add_f32_e32 v15, v23, v19
.LBB225_14:                             ;   in Loop: Header=BB225_4 Depth=1
	s_and_not1_saveexec_b32 s5, s25
; %bb.15:                               ;   in Loop: Header=BB225_4 Depth=1
	v_mul_f32_e64 v1, 0x3f22f983, |v13|
	s_delay_alu instid0(VALU_DEP_1) | instskip(NEXT) | instid1(VALU_DEP_1)
	v_rndne_f32_e32 v1, v1
	v_fma_f32 v15, 0xbfc90fda, v1, |v13|
	v_cvt_i32_f32_e32 v16, v1
	s_delay_alu instid0(VALU_DEP_2) | instskip(NEXT) | instid1(VALU_DEP_1)
	v_fmac_f32_e32 v15, 0xb3a22168, v1
	v_fmac_f32_e32 v15, 0xa7c234c4, v1
; %bb.16:                               ;   in Loop: Header=BB225_4 Depth=1
	s_or_b32 exec_lo, exec_lo, s5
	v_lshlrev_b32_e32 v14, 16, v14
                                        ; implicit-def: $vgpr20
                                        ; implicit-def: $vgpr19
	s_mov_b32 s6, exec_lo
	s_delay_alu instid0(VALU_DEP_1)
	v_cmpx_ngt_f32_e64 0x48000000, |v14|
	s_xor_b32 s25, exec_lo, s6
	s_cbranch_execz .LBB225_18
; %bb.17:                               ;   in Loop: Header=BB225_4 Depth=1
	v_and_b32_e32 v24, 0x7fffffff, v14
	s_delay_alu instid0(VALU_DEP_1) | instskip(NEXT) | instid1(VALU_DEP_1)
	v_and_or_b32 v27, v24, s22, 0x800000
	v_mad_u64_u32 v[19:20], null, 0xfe5163ab, v27, 0
	s_delay_alu instid0(VALU_DEP_1) | instskip(SKIP_1) | instid1(VALU_DEP_2)
	v_mov_b32_e32 v1, v20
	v_lshrrev_b32_e32 v24, 23, v24
	v_mad_u64_u32 v[20:21], null, 0x3c439041, v27, v[1:2]
	s_delay_alu instid0(VALU_DEP_2) | instskip(NEXT) | instid1(VALU_DEP_1)
	v_add_nc_u32_e32 v25, 0xffffff88, v24
	v_cmp_lt_u32_e64 s5, 63, v25
	s_delay_alu instid0(VALU_DEP_1) | instskip(NEXT) | instid1(VALU_DEP_1)
	v_cndmask_b32_e64 v26, 0, 0xffffffc0, s5
	v_dual_mov_b32 v1, v21 :: v_dual_add_nc_u32 v26, v26, v25
	s_delay_alu instid0(VALU_DEP_1) | instskip(NEXT) | instid1(VALU_DEP_2)
	v_mad_u64_u32 v[21:22], null, 0xdb629599, v27, v[1:2]
	v_cmp_lt_u32_e64 s6, 31, v26
	s_delay_alu instid0(VALU_DEP_2) | instskip(NEXT) | instid1(VALU_DEP_2)
	v_cndmask_b32_e64 v19, v21, v19, s5
	v_cndmask_b32_e64 v28, 0, 0xffffffe0, s6
	s_delay_alu instid0(VALU_DEP_1) | instskip(NEXT) | instid1(VALU_DEP_1)
	v_dual_mov_b32 v1, v22 :: v_dual_add_nc_u32 v28, v28, v26
	v_mad_u64_u32 v[22:23], null, 0xf534ddc0, v27, v[1:2]
	s_delay_alu instid0(VALU_DEP_2) | instskip(NEXT) | instid1(VALU_DEP_2)
	v_cmp_lt_u32_e64 s7, 31, v28
	v_mov_b32_e32 v1, v23
	s_delay_alu instid0(VALU_DEP_3) | instskip(NEXT) | instid1(VALU_DEP_2)
	v_cndmask_b32_e64 v20, v22, v20, s5
	v_mad_u64_u32 v[23:24], null, 0xfc2757d1, v27, v[1:2]
	s_delay_alu instid0(VALU_DEP_2) | instskip(NEXT) | instid1(VALU_DEP_2)
	v_cndmask_b32_e64 v19, v20, v19, s6
	v_mov_b32_e32 v1, v24
	s_delay_alu instid0(VALU_DEP_1) | instskip(NEXT) | instid1(VALU_DEP_1)
	v_mad_u64_u32 v[24:25], null, 0x4e441529, v27, v[1:2]
	v_mov_b32_e32 v1, v25
	s_delay_alu instid0(VALU_DEP_1) | instskip(SKIP_1) | instid1(VALU_DEP_4)
	v_mad_u64_u32 v[25:26], null, 0xa2f9836e, v27, v[1:2]
	v_cndmask_b32_e64 v1, 0, 0xffffffe0, s7
	v_cndmask_b32_e64 v27, v24, v22, s5
	s_delay_alu instid0(VALU_DEP_2) | instskip(NEXT) | instid1(VALU_DEP_4)
	v_add_nc_u32_e32 v1, v1, v28
	v_cndmask_b32_e64 v25, v25, v23, s5
	v_cndmask_b32_e64 v24, v26, v24, s5
	;; [unrolled: 1-line block ×3, first 2 shown]
	s_delay_alu instid0(VALU_DEP_4) | instskip(NEXT) | instid1(VALU_DEP_4)
	v_sub_nc_u32_e32 v26, 32, v1
	v_cndmask_b32_e64 v22, v25, v27, s6
	s_delay_alu instid0(VALU_DEP_4) | instskip(NEXT) | instid1(VALU_DEP_4)
	v_cndmask_b32_e64 v24, v24, v25, s6
	v_cndmask_b32_e64 v25, v27, v23, s6
	;; [unrolled: 1-line block ×3, first 2 shown]
	v_cmp_eq_u32_e64 s8, 0, v1
	s_delay_alu instid0(VALU_DEP_4) | instskip(NEXT) | instid1(VALU_DEP_4)
	v_cndmask_b32_e64 v24, v24, v22, s7
	v_cndmask_b32_e64 v22, v22, v25, s7
	s_delay_alu instid0(VALU_DEP_4) | instskip(SKIP_1) | instid1(VALU_DEP_3)
	v_cndmask_b32_e64 v25, v25, v23, s7
	v_cndmask_b32_e64 v19, v23, v19, s7
	v_alignbit_b32 v27, v24, v22, v26
	s_delay_alu instid0(VALU_DEP_3) | instskip(NEXT) | instid1(VALU_DEP_3)
	v_alignbit_b32 v28, v22, v25, v26
	v_alignbit_b32 v26, v25, v19, v26
	s_delay_alu instid0(VALU_DEP_3) | instskip(NEXT) | instid1(VALU_DEP_3)
	v_cndmask_b32_e64 v1, v27, v24, s8
	v_cndmask_b32_e64 v21, v28, v22, s8
	s_delay_alu instid0(VALU_DEP_3) | instskip(NEXT) | instid1(VALU_DEP_3)
	v_cndmask_b32_e64 v25, v26, v25, s8
	v_bfe_u32 v22, v1, 29, 1
	s_delay_alu instid0(VALU_DEP_3) | instskip(NEXT) | instid1(VALU_DEP_3)
	v_alignbit_b32 v20, v1, v21, 30
	v_alignbit_b32 v21, v21, v25, 30
	;; [unrolled: 1-line block ×3, first 2 shown]
	s_delay_alu instid0(VALU_DEP_4) | instskip(NEXT) | instid1(VALU_DEP_1)
	v_sub_nc_u32_e32 v24, 0, v22
	v_xor_b32_e32 v23, v20, v24
	v_cmp_ne_u32_e64 s5, v20, v24
	v_xor_b32_e32 v21, v21, v24
	v_xor_b32_e32 v19, v19, v24
	s_delay_alu instid0(VALU_DEP_4) | instskip(NEXT) | instid1(VALU_DEP_1)
	v_clz_i32_u32_e32 v27, v23
	v_add_nc_u32_e32 v26, 1, v27
	s_delay_alu instid0(VALU_DEP_1) | instskip(NEXT) | instid1(VALU_DEP_1)
	v_cndmask_b32_e64 v20, 33, v26, s5
	v_sub_nc_u32_e32 v25, 32, v20
	s_delay_alu instid0(VALU_DEP_1) | instskip(SKIP_3) | instid1(VALU_DEP_3)
	v_alignbit_b32 v23, v23, v21, v25
	v_alignbit_b32 v19, v21, v19, v25
	v_lshrrev_b32_e32 v21, 29, v1
	v_lshrrev_b32_e32 v1, 30, v1
	v_alignbit_b32 v24, v23, v19, 9
	s_delay_alu instid0(VALU_DEP_3) | instskip(SKIP_1) | instid1(VALU_DEP_3)
	v_lshlrev_b32_e32 v21, 31, v21
	v_alignbit_b32 v23, v20, v23, 9
	v_clz_i32_u32_e32 v25, v24
	s_delay_alu instid0(VALU_DEP_2) | instskip(SKIP_1) | instid1(VALU_DEP_3)
	v_or_b32_e32 v23, v23, v21
	v_or_b32_e32 v21, 0x33800000, v21
	v_min_u32_e32 v25, 32, v25
	s_delay_alu instid0(VALU_DEP_3) | instskip(NEXT) | instid1(VALU_DEP_2)
	v_xor_b32_e32 v23, 1.0, v23
	v_sub_nc_u32_e32 v26, 31, v25
	v_add_lshl_u32 v20, v25, v20, 23
	s_delay_alu instid0(VALU_DEP_3) | instskip(NEXT) | instid1(VALU_DEP_3)
	v_mul_f32_e32 v25, 0x3fc90fda, v23
	v_alignbit_b32 v19, v24, v19, v26
	s_delay_alu instid0(VALU_DEP_3) | instskip(NEXT) | instid1(VALU_DEP_2)
	v_sub_nc_u32_e32 v20, v21, v20
	v_lshrrev_b32_e32 v19, 9, v19
	s_delay_alu instid0(VALU_DEP_1) | instskip(SKIP_2) | instid1(VALU_DEP_1)
	v_or_b32_e32 v19, v20, v19
	v_add_nc_u32_e32 v20, v22, v1
	v_fma_f32 v21, 0x3fc90fda, v23, -v25
	v_fmac_f32_e32 v21, 0x33a22168, v23
	s_delay_alu instid0(VALU_DEP_1) | instskip(NEXT) | instid1(VALU_DEP_1)
	v_fmac_f32_e32 v21, 0x3fc90fda, v19
	v_add_f32_e32 v19, v25, v21
.LBB225_18:                             ;   in Loop: Header=BB225_4 Depth=1
	s_and_not1_saveexec_b32 s5, s25
; %bb.19:                               ;   in Loop: Header=BB225_4 Depth=1
	v_mul_f32_e64 v1, 0x3f22f983, |v14|
	s_delay_alu instid0(VALU_DEP_1) | instskip(NEXT) | instid1(VALU_DEP_1)
	v_rndne_f32_e32 v1, v1
	v_fma_f32 v19, 0xbfc90fda, v1, |v14|
	v_cvt_i32_f32_e32 v20, v1
	s_delay_alu instid0(VALU_DEP_2) | instskip(NEXT) | instid1(VALU_DEP_1)
	v_fmac_f32_e32 v19, 0xb3a22168, v1
	v_fmac_f32_e32 v19, 0xa7c234c4, v1
; %bb.20:                               ;   in Loop: Header=BB225_4 Depth=1
	s_or_b32 exec_lo, exec_lo, s5
	v_lshlrev_b32_e32 v18, 16, v18
                                        ; implicit-def: $vgpr22
                                        ; implicit-def: $vgpr21
	s_mov_b32 s6, exec_lo
	s_delay_alu instid0(VALU_DEP_1)
	v_cmpx_ngt_f32_e64 0x48000000, |v18|
	s_xor_b32 s25, exec_lo, s6
	s_cbranch_execz .LBB225_22
; %bb.21:                               ;   in Loop: Header=BB225_4 Depth=1
	v_and_b32_e32 v26, 0x7fffffff, v18
	s_delay_alu instid0(VALU_DEP_1) | instskip(NEXT) | instid1(VALU_DEP_1)
	v_and_or_b32 v29, v26, s22, 0x800000
	v_mad_u64_u32 v[21:22], null, 0xfe5163ab, v29, 0
	s_delay_alu instid0(VALU_DEP_1) | instskip(SKIP_1) | instid1(VALU_DEP_2)
	v_mov_b32_e32 v1, v22
	v_lshrrev_b32_e32 v26, 23, v26
	v_mad_u64_u32 v[22:23], null, 0x3c439041, v29, v[1:2]
	s_delay_alu instid0(VALU_DEP_2) | instskip(NEXT) | instid1(VALU_DEP_1)
	v_add_nc_u32_e32 v27, 0xffffff88, v26
	v_cmp_lt_u32_e64 s5, 63, v27
	s_delay_alu instid0(VALU_DEP_1) | instskip(NEXT) | instid1(VALU_DEP_1)
	v_cndmask_b32_e64 v28, 0, 0xffffffc0, s5
	v_dual_mov_b32 v1, v23 :: v_dual_add_nc_u32 v28, v28, v27
	s_delay_alu instid0(VALU_DEP_1) | instskip(NEXT) | instid1(VALU_DEP_2)
	v_mad_u64_u32 v[23:24], null, 0xdb629599, v29, v[1:2]
	v_cmp_lt_u32_e64 s6, 31, v28
	s_delay_alu instid0(VALU_DEP_2) | instskip(NEXT) | instid1(VALU_DEP_2)
	v_cndmask_b32_e64 v21, v23, v21, s5
	v_cndmask_b32_e64 v30, 0, 0xffffffe0, s6
	s_delay_alu instid0(VALU_DEP_1) | instskip(NEXT) | instid1(VALU_DEP_1)
	v_dual_mov_b32 v1, v24 :: v_dual_add_nc_u32 v30, v30, v28
	v_mad_u64_u32 v[24:25], null, 0xf534ddc0, v29, v[1:2]
	s_delay_alu instid0(VALU_DEP_2) | instskip(NEXT) | instid1(VALU_DEP_2)
	v_cmp_lt_u32_e64 s7, 31, v30
	v_mov_b32_e32 v1, v25
	s_delay_alu instid0(VALU_DEP_3) | instskip(NEXT) | instid1(VALU_DEP_2)
	v_cndmask_b32_e64 v22, v24, v22, s5
	v_mad_u64_u32 v[25:26], null, 0xfc2757d1, v29, v[1:2]
	s_delay_alu instid0(VALU_DEP_2) | instskip(NEXT) | instid1(VALU_DEP_2)
	v_cndmask_b32_e64 v21, v22, v21, s6
	v_mov_b32_e32 v1, v26
	s_delay_alu instid0(VALU_DEP_1) | instskip(NEXT) | instid1(VALU_DEP_1)
	v_mad_u64_u32 v[26:27], null, 0x4e441529, v29, v[1:2]
	v_mov_b32_e32 v1, v27
	s_delay_alu instid0(VALU_DEP_1) | instskip(SKIP_1) | instid1(VALU_DEP_4)
	v_mad_u64_u32 v[27:28], null, 0xa2f9836e, v29, v[1:2]
	v_cndmask_b32_e64 v1, 0, 0xffffffe0, s7
	v_cndmask_b32_e64 v29, v26, v24, s5
	s_delay_alu instid0(VALU_DEP_2) | instskip(NEXT) | instid1(VALU_DEP_4)
	v_add_nc_u32_e32 v1, v1, v30
	v_cndmask_b32_e64 v27, v27, v25, s5
	v_cndmask_b32_e64 v26, v28, v26, s5
	;; [unrolled: 1-line block ×3, first 2 shown]
	s_delay_alu instid0(VALU_DEP_4) | instskip(NEXT) | instid1(VALU_DEP_4)
	v_sub_nc_u32_e32 v28, 32, v1
	v_cndmask_b32_e64 v24, v27, v29, s6
	s_delay_alu instid0(VALU_DEP_4) | instskip(NEXT) | instid1(VALU_DEP_4)
	v_cndmask_b32_e64 v26, v26, v27, s6
	v_cndmask_b32_e64 v27, v29, v25, s6
	;; [unrolled: 1-line block ×3, first 2 shown]
	v_cmp_eq_u32_e64 s8, 0, v1
	s_delay_alu instid0(VALU_DEP_4) | instskip(NEXT) | instid1(VALU_DEP_4)
	v_cndmask_b32_e64 v26, v26, v24, s7
	v_cndmask_b32_e64 v24, v24, v27, s7
	s_delay_alu instid0(VALU_DEP_4) | instskip(SKIP_1) | instid1(VALU_DEP_3)
	v_cndmask_b32_e64 v27, v27, v25, s7
	v_cndmask_b32_e64 v21, v25, v21, s7
	v_alignbit_b32 v29, v26, v24, v28
	s_delay_alu instid0(VALU_DEP_3) | instskip(NEXT) | instid1(VALU_DEP_3)
	v_alignbit_b32 v30, v24, v27, v28
	v_alignbit_b32 v28, v27, v21, v28
	s_delay_alu instid0(VALU_DEP_3) | instskip(NEXT) | instid1(VALU_DEP_3)
	v_cndmask_b32_e64 v1, v29, v26, s8
	v_cndmask_b32_e64 v23, v30, v24, s8
	s_delay_alu instid0(VALU_DEP_3) | instskip(NEXT) | instid1(VALU_DEP_3)
	v_cndmask_b32_e64 v27, v28, v27, s8
	v_bfe_u32 v24, v1, 29, 1
	s_delay_alu instid0(VALU_DEP_3) | instskip(NEXT) | instid1(VALU_DEP_3)
	v_alignbit_b32 v22, v1, v23, 30
	v_alignbit_b32 v23, v23, v27, 30
	;; [unrolled: 1-line block ×3, first 2 shown]
	s_delay_alu instid0(VALU_DEP_4) | instskip(NEXT) | instid1(VALU_DEP_1)
	v_sub_nc_u32_e32 v26, 0, v24
	v_xor_b32_e32 v25, v22, v26
	v_cmp_ne_u32_e64 s5, v22, v26
	v_xor_b32_e32 v23, v23, v26
	v_xor_b32_e32 v21, v21, v26
	s_delay_alu instid0(VALU_DEP_4) | instskip(NEXT) | instid1(VALU_DEP_1)
	v_clz_i32_u32_e32 v29, v25
	v_add_nc_u32_e32 v28, 1, v29
	s_delay_alu instid0(VALU_DEP_1) | instskip(NEXT) | instid1(VALU_DEP_1)
	v_cndmask_b32_e64 v22, 33, v28, s5
	v_sub_nc_u32_e32 v27, 32, v22
	s_delay_alu instid0(VALU_DEP_1) | instskip(SKIP_3) | instid1(VALU_DEP_3)
	v_alignbit_b32 v25, v25, v23, v27
	v_alignbit_b32 v21, v23, v21, v27
	v_lshrrev_b32_e32 v23, 29, v1
	v_lshrrev_b32_e32 v1, 30, v1
	v_alignbit_b32 v26, v25, v21, 9
	s_delay_alu instid0(VALU_DEP_3) | instskip(SKIP_1) | instid1(VALU_DEP_3)
	v_lshlrev_b32_e32 v23, 31, v23
	v_alignbit_b32 v25, v22, v25, 9
	v_clz_i32_u32_e32 v27, v26
	s_delay_alu instid0(VALU_DEP_2) | instskip(SKIP_1) | instid1(VALU_DEP_3)
	v_or_b32_e32 v25, v25, v23
	v_or_b32_e32 v23, 0x33800000, v23
	v_min_u32_e32 v27, 32, v27
	s_delay_alu instid0(VALU_DEP_3) | instskip(NEXT) | instid1(VALU_DEP_2)
	v_xor_b32_e32 v25, 1.0, v25
	v_sub_nc_u32_e32 v28, 31, v27
	v_add_lshl_u32 v22, v27, v22, 23
	s_delay_alu instid0(VALU_DEP_3) | instskip(NEXT) | instid1(VALU_DEP_3)
	v_mul_f32_e32 v27, 0x3fc90fda, v25
	v_alignbit_b32 v21, v26, v21, v28
	s_delay_alu instid0(VALU_DEP_3) | instskip(NEXT) | instid1(VALU_DEP_3)
	v_sub_nc_u32_e32 v22, v23, v22
	v_fma_f32 v23, 0x3fc90fda, v25, -v27
	s_delay_alu instid0(VALU_DEP_3) | instskip(NEXT) | instid1(VALU_DEP_2)
	v_lshrrev_b32_e32 v21, 9, v21
	v_fmac_f32_e32 v23, 0x33a22168, v25
	s_delay_alu instid0(VALU_DEP_2) | instskip(SKIP_1) | instid1(VALU_DEP_2)
	v_or_b32_e32 v21, v22, v21
	v_add_nc_u32_e32 v22, v24, v1
	v_fmac_f32_e32 v23, 0x3fc90fda, v21
	s_delay_alu instid0(VALU_DEP_1)
	v_add_f32_e32 v21, v27, v23
.LBB225_22:                             ;   in Loop: Header=BB225_4 Depth=1
	s_and_not1_saveexec_b32 s5, s25
; %bb.23:                               ;   in Loop: Header=BB225_4 Depth=1
	v_mul_f32_e64 v1, 0x3f22f983, |v18|
	s_delay_alu instid0(VALU_DEP_1) | instskip(NEXT) | instid1(VALU_DEP_1)
	v_rndne_f32_e32 v1, v1
	v_fma_f32 v21, 0xbfc90fda, v1, |v18|
	v_cvt_i32_f32_e32 v22, v1
	s_delay_alu instid0(VALU_DEP_2) | instskip(NEXT) | instid1(VALU_DEP_1)
	v_fmac_f32_e32 v21, 0xb3a22168, v1
	v_fmac_f32_e32 v21, 0xa7c234c4, v1
; %bb.24:                               ;   in Loop: Header=BB225_4 Depth=1
	s_or_b32 exec_lo, exec_lo, s5
	v_lshlrev_b32_e32 v17, 16, v17
                                        ; implicit-def: $vgpr23
                                        ; implicit-def: $vgpr1
	s_mov_b32 s6, exec_lo
	s_delay_alu instid0(VALU_DEP_1)
	v_cmpx_ngt_f32_e64 0x48000000, |v17|
	s_xor_b32 s25, exec_lo, s6
	s_cbranch_execnz .LBB225_30
; %bb.25:                               ;   in Loop: Header=BB225_4 Depth=1
	s_and_not1_saveexec_b32 s5, s25
	s_cbranch_execnz .LBB225_31
.LBB225_26:                             ;   in Loop: Header=BB225_4 Depth=1
	s_or_b32 exec_lo, exec_lo, s5
	s_and_saveexec_b32 s5, s4
	s_delay_alu instid0(SALU_CYCLE_1)
	s_xor_b32 s5, exec_lo, s5
	s_cbranch_execnz .LBB225_32
.LBB225_27:                             ;   in Loop: Header=BB225_4 Depth=1
	s_or_b32 exec_lo, exec_lo, s5
	s_and_saveexec_b32 s4, s3
	s_cbranch_execnz .LBB225_33
.LBB225_28:                             ;   in Loop: Header=BB225_4 Depth=1
	s_or_b32 exec_lo, exec_lo, s4
	s_and_saveexec_b32 s3, s2
	s_cbranch_execnz .LBB225_34
.LBB225_29:                             ;   in Loop: Header=BB225_4 Depth=1
	s_or_b32 exec_lo, exec_lo, s3
	s_and_saveexec_b32 s2, vcc_lo
	s_cbranch_execz .LBB225_3
	s_branch .LBB225_35
.LBB225_30:                             ;   in Loop: Header=BB225_4 Depth=1
	v_and_b32_e32 v28, 0x7fffffff, v17
	s_delay_alu instid0(VALU_DEP_1) | instskip(NEXT) | instid1(VALU_DEP_1)
	v_and_or_b32 v31, v28, s22, 0x800000
	v_mad_u64_u32 v[23:24], null, 0xfe5163ab, v31, 0
	s_delay_alu instid0(VALU_DEP_1) | instskip(SKIP_1) | instid1(VALU_DEP_2)
	v_mov_b32_e32 v1, v24
	v_lshrrev_b32_e32 v28, 23, v28
	v_mad_u64_u32 v[24:25], null, 0x3c439041, v31, v[1:2]
	s_delay_alu instid0(VALU_DEP_2) | instskip(NEXT) | instid1(VALU_DEP_1)
	v_add_nc_u32_e32 v29, 0xffffff88, v28
	v_cmp_lt_u32_e64 s5, 63, v29
	s_delay_alu instid0(VALU_DEP_1) | instskip(NEXT) | instid1(VALU_DEP_1)
	v_cndmask_b32_e64 v30, 0, 0xffffffc0, s5
	v_dual_mov_b32 v1, v25 :: v_dual_add_nc_u32 v30, v30, v29
	s_delay_alu instid0(VALU_DEP_1) | instskip(NEXT) | instid1(VALU_DEP_2)
	v_mad_u64_u32 v[25:26], null, 0xdb629599, v31, v[1:2]
	v_cmp_lt_u32_e64 s6, 31, v30
	s_delay_alu instid0(VALU_DEP_2) | instskip(NEXT) | instid1(VALU_DEP_2)
	v_cndmask_b32_e64 v23, v25, v23, s5
	v_cndmask_b32_e64 v32, 0, 0xffffffe0, s6
	s_delay_alu instid0(VALU_DEP_1) | instskip(NEXT) | instid1(VALU_DEP_1)
	v_dual_mov_b32 v1, v26 :: v_dual_add_nc_u32 v32, v32, v30
	v_mad_u64_u32 v[26:27], null, 0xf534ddc0, v31, v[1:2]
	s_delay_alu instid0(VALU_DEP_2) | instskip(NEXT) | instid1(VALU_DEP_2)
	v_cmp_lt_u32_e64 s7, 31, v32
	v_mov_b32_e32 v1, v27
	s_delay_alu instid0(VALU_DEP_3) | instskip(NEXT) | instid1(VALU_DEP_2)
	v_cndmask_b32_e64 v24, v26, v24, s5
	v_mad_u64_u32 v[27:28], null, 0xfc2757d1, v31, v[1:2]
	s_delay_alu instid0(VALU_DEP_2) | instskip(NEXT) | instid1(VALU_DEP_2)
	v_cndmask_b32_e64 v23, v24, v23, s6
	v_mov_b32_e32 v1, v28
	s_delay_alu instid0(VALU_DEP_1) | instskip(NEXT) | instid1(VALU_DEP_1)
	v_mad_u64_u32 v[28:29], null, 0x4e441529, v31, v[1:2]
	v_mov_b32_e32 v1, v29
	s_delay_alu instid0(VALU_DEP_1) | instskip(SKIP_1) | instid1(VALU_DEP_4)
	v_mad_u64_u32 v[29:30], null, 0xa2f9836e, v31, v[1:2]
	v_cndmask_b32_e64 v1, 0, 0xffffffe0, s7
	v_cndmask_b32_e64 v31, v28, v26, s5
	s_delay_alu instid0(VALU_DEP_2) | instskip(NEXT) | instid1(VALU_DEP_4)
	v_add_nc_u32_e32 v1, v1, v32
	v_cndmask_b32_e64 v29, v29, v27, s5
	v_cndmask_b32_e64 v28, v30, v28, s5
	;; [unrolled: 1-line block ×3, first 2 shown]
	s_delay_alu instid0(VALU_DEP_4) | instskip(NEXT) | instid1(VALU_DEP_4)
	v_sub_nc_u32_e32 v30, 32, v1
	v_cndmask_b32_e64 v26, v29, v31, s6
	s_delay_alu instid0(VALU_DEP_4) | instskip(NEXT) | instid1(VALU_DEP_4)
	v_cndmask_b32_e64 v28, v28, v29, s6
	v_cndmask_b32_e64 v29, v31, v27, s6
	;; [unrolled: 1-line block ×3, first 2 shown]
	v_cmp_eq_u32_e64 s8, 0, v1
	s_delay_alu instid0(VALU_DEP_4) | instskip(NEXT) | instid1(VALU_DEP_4)
	v_cndmask_b32_e64 v28, v28, v26, s7
	v_cndmask_b32_e64 v26, v26, v29, s7
	s_delay_alu instid0(VALU_DEP_4) | instskip(SKIP_1) | instid1(VALU_DEP_3)
	v_cndmask_b32_e64 v29, v29, v27, s7
	v_cndmask_b32_e64 v23, v27, v23, s7
	v_alignbit_b32 v31, v28, v26, v30
	s_delay_alu instid0(VALU_DEP_3) | instskip(NEXT) | instid1(VALU_DEP_3)
	v_alignbit_b32 v32, v26, v29, v30
	v_alignbit_b32 v30, v29, v23, v30
	s_delay_alu instid0(VALU_DEP_3) | instskip(NEXT) | instid1(VALU_DEP_3)
	v_cndmask_b32_e64 v1, v31, v28, s8
	v_cndmask_b32_e64 v25, v32, v26, s8
	s_delay_alu instid0(VALU_DEP_3) | instskip(NEXT) | instid1(VALU_DEP_3)
	v_cndmask_b32_e64 v29, v30, v29, s8
	v_bfe_u32 v26, v1, 29, 1
	s_delay_alu instid0(VALU_DEP_3) | instskip(NEXT) | instid1(VALU_DEP_3)
	v_alignbit_b32 v24, v1, v25, 30
	v_alignbit_b32 v25, v25, v29, 30
	;; [unrolled: 1-line block ×3, first 2 shown]
	s_delay_alu instid0(VALU_DEP_4) | instskip(NEXT) | instid1(VALU_DEP_1)
	v_sub_nc_u32_e32 v28, 0, v26
	v_xor_b32_e32 v27, v24, v28
	v_cmp_ne_u32_e64 s5, v24, v28
	v_xor_b32_e32 v25, v25, v28
	v_xor_b32_e32 v23, v23, v28
	s_delay_alu instid0(VALU_DEP_4) | instskip(NEXT) | instid1(VALU_DEP_1)
	v_clz_i32_u32_e32 v31, v27
	v_add_nc_u32_e32 v30, 1, v31
	s_delay_alu instid0(VALU_DEP_1) | instskip(NEXT) | instid1(VALU_DEP_1)
	v_cndmask_b32_e64 v24, 33, v30, s5
	v_sub_nc_u32_e32 v29, 32, v24
	s_delay_alu instid0(VALU_DEP_1) | instskip(SKIP_2) | instid1(VALU_DEP_2)
	v_alignbit_b32 v27, v27, v25, v29
	v_alignbit_b32 v23, v25, v23, v29
	v_lshrrev_b32_e32 v25, 29, v1
	v_alignbit_b32 v28, v27, v23, 9
	s_delay_alu instid0(VALU_DEP_2) | instskip(SKIP_1) | instid1(VALU_DEP_3)
	v_lshlrev_b32_e32 v25, 31, v25
	v_alignbit_b32 v27, v24, v27, 9
	v_clz_i32_u32_e32 v29, v28
	s_delay_alu instid0(VALU_DEP_2) | instskip(SKIP_1) | instid1(VALU_DEP_3)
	v_or_b32_e32 v27, v27, v25
	v_or_b32_e32 v25, 0x33800000, v25
	v_min_u32_e32 v29, 32, v29
	s_delay_alu instid0(VALU_DEP_3) | instskip(NEXT) | instid1(VALU_DEP_2)
	v_xor_b32_e32 v27, 1.0, v27
	v_sub_nc_u32_e32 v30, 31, v29
	v_add_lshl_u32 v24, v29, v24, 23
	s_delay_alu instid0(VALU_DEP_3) | instskip(NEXT) | instid1(VALU_DEP_3)
	v_mul_f32_e32 v29, 0x3fc90fda, v27
	v_alignbit_b32 v23, v28, v23, v30
	s_delay_alu instid0(VALU_DEP_3) | instskip(NEXT) | instid1(VALU_DEP_3)
	v_sub_nc_u32_e32 v24, v25, v24
	v_fma_f32 v25, 0x3fc90fda, v27, -v29
	s_delay_alu instid0(VALU_DEP_3) | instskip(NEXT) | instid1(VALU_DEP_2)
	v_lshrrev_b32_e32 v23, 9, v23
	v_fmac_f32_e32 v25, 0x33a22168, v27
	s_delay_alu instid0(VALU_DEP_2) | instskip(NEXT) | instid1(VALU_DEP_1)
	v_or_b32_e32 v23, v24, v23
	v_fmac_f32_e32 v25, 0x3fc90fda, v23
	v_lshrrev_b32_e32 v23, 30, v1
	s_delay_alu instid0(VALU_DEP_2) | instskip(NEXT) | instid1(VALU_DEP_2)
	v_add_f32_e32 v1, v29, v25
	v_add_nc_u32_e32 v23, v26, v23
	s_and_not1_saveexec_b32 s5, s25
	s_cbranch_execz .LBB225_26
.LBB225_31:                             ;   in Loop: Header=BB225_4 Depth=1
	v_mul_f32_e64 v1, 0x3f22f983, |v17|
	s_delay_alu instid0(VALU_DEP_1) | instskip(NEXT) | instid1(VALU_DEP_1)
	v_rndne_f32_e32 v23, v1
	v_fma_f32 v1, 0xbfc90fda, v23, |v17|
	s_delay_alu instid0(VALU_DEP_1) | instskip(NEXT) | instid1(VALU_DEP_1)
	v_fmac_f32_e32 v1, 0xb3a22168, v23
	v_fmac_f32_e32 v1, 0xa7c234c4, v23
	v_cvt_i32_f32_e32 v23, v23
	s_or_b32 exec_lo, exec_lo, s5
	s_and_saveexec_b32 s5, s4
	s_delay_alu instid0(SALU_CYCLE_1)
	s_xor_b32 s5, exec_lo, s5
	s_cbranch_execz .LBB225_27
.LBB225_32:                             ;   in Loop: Header=BB225_4 Depth=1
	v_dual_mul_f32 v24, v15, v15 :: v_dual_and_b32 v27, 1, v16
	v_lshlrev_b32_e32 v16, 30, v16
	s_delay_alu instid0(VALU_DEP_2) | instskip(NEXT) | instid1(VALU_DEP_3)
	v_fmaak_f32 v25, s23, v24, 0x3c0881c4
	v_cmp_eq_u32_e64 s4, 0, v27
	s_delay_alu instid0(VALU_DEP_3) | instskip(NEXT) | instid1(VALU_DEP_3)
	v_and_b32_e32 v16, 0x80000000, v16
	v_fmaak_f32 v25, v24, v25, 0xbe2aaa9d
	s_delay_alu instid0(VALU_DEP_1) | instskip(NEXT) | instid1(VALU_DEP_1)
	v_dual_fmaak_f32 v26, s24, v24, 0xbab64f3b :: v_dual_mul_f32 v25, v24, v25
	v_dual_fmaak_f32 v26, v24, v26, 0x3d2aabf7 :: v_dual_fmac_f32 v15, v15, v25
	s_delay_alu instid0(VALU_DEP_1) | instskip(NEXT) | instid1(VALU_DEP_1)
	v_fmaak_f32 v26, v24, v26, 0xbf000004
	v_fma_f32 v24, v24, v26, 1.0
	s_delay_alu instid0(VALU_DEP_1) | instskip(SKIP_1) | instid1(VALU_DEP_2)
	v_cndmask_b32_e64 v15, -v15, v24, s4
	v_cmp_class_f32_e64 s4, v13, 0x1f8
	v_xor_b32_e32 v15, v16, v15
	s_delay_alu instid0(VALU_DEP_1) | instskip(NEXT) | instid1(VALU_DEP_1)
	v_cndmask_b32_e64 v13, 0x7fc00000, v15, s4
	v_bfe_u32 v15, v13, 16, 1
	v_cmp_o_f32_e64 s4, v13, v13
	s_delay_alu instid0(VALU_DEP_2) | instskip(NEXT) | instid1(VALU_DEP_1)
	v_add3_u32 v15, v13, v15, 0x7fff
	v_lshrrev_b32_e32 v15, 16, v15
	s_delay_alu instid0(VALU_DEP_1)
	v_cndmask_b32_e64 v13, 0x7fc0, v15, s4
	global_store_b16 v[3:4], v13, off
	s_or_b32 exec_lo, exec_lo, s5
	s_and_saveexec_b32 s4, s3
	s_cbranch_execz .LBB225_28
.LBB225_33:                             ;   in Loop: Header=BB225_4 Depth=1
	v_dual_mul_f32 v13, v19, v19 :: v_dual_and_b32 v24, 1, v20
	s_delay_alu instid0(VALU_DEP_1) | instskip(NEXT) | instid1(VALU_DEP_2)
	v_fmaak_f32 v15, s23, v13, 0x3c0881c4
	v_cmp_eq_u32_e64 s3, 0, v24
	s_delay_alu instid0(VALU_DEP_2) | instskip(NEXT) | instid1(VALU_DEP_1)
	v_fmaak_f32 v15, v13, v15, 0xbe2aaa9d
	v_dual_fmaak_f32 v16, s24, v13, 0xbab64f3b :: v_dual_mul_f32 v15, v13, v15
	s_delay_alu instid0(VALU_DEP_1) | instskip(NEXT) | instid1(VALU_DEP_1)
	v_dual_fmaak_f32 v16, v13, v16, 0x3d2aabf7 :: v_dual_fmac_f32 v19, v19, v15
	v_fmaak_f32 v16, v13, v16, 0xbf000004
	v_lshlrev_b32_e32 v15, 30, v20
	s_delay_alu instid0(VALU_DEP_2) | instskip(NEXT) | instid1(VALU_DEP_2)
	v_fma_f32 v13, v13, v16, 1.0
	v_and_b32_e32 v15, 0x80000000, v15
	s_delay_alu instid0(VALU_DEP_2) | instskip(SKIP_1) | instid1(VALU_DEP_2)
	v_cndmask_b32_e64 v13, -v19, v13, s3
	v_cmp_class_f32_e64 s3, v14, 0x1f8
	v_xor_b32_e32 v13, v15, v13
	s_delay_alu instid0(VALU_DEP_1) | instskip(NEXT) | instid1(VALU_DEP_1)
	v_cndmask_b32_e64 v13, 0x7fc00000, v13, s3
	v_bfe_u32 v14, v13, 16, 1
	v_cmp_o_f32_e64 s3, v13, v13
	s_delay_alu instid0(VALU_DEP_2) | instskip(NEXT) | instid1(VALU_DEP_1)
	v_add3_u32 v14, v13, v14, 0x7fff
	v_lshrrev_b32_e32 v14, 16, v14
	s_delay_alu instid0(VALU_DEP_1)
	v_cndmask_b32_e64 v13, 0x7fc0, v14, s3
	global_store_b16 v[5:6], v13, off
	s_or_b32 exec_lo, exec_lo, s4
	s_and_saveexec_b32 s3, s2
	s_cbranch_execz .LBB225_29
.LBB225_34:                             ;   in Loop: Header=BB225_4 Depth=1
	v_dual_mul_f32 v13, v21, v21 :: v_dual_and_b32 v16, 1, v22
	s_delay_alu instid0(VALU_DEP_1) | instskip(NEXT) | instid1(VALU_DEP_2)
	v_dual_fmaak_f32 v14, s23, v13, 0x3c0881c4 :: v_dual_lshlrev_b32 v19, 30, v22
	v_cmp_eq_u32_e64 s2, 0, v16
	s_delay_alu instid0(VALU_DEP_2) | instskip(NEXT) | instid1(VALU_DEP_1)
	v_fmaak_f32 v14, v13, v14, 0xbe2aaa9d
	v_dual_fmaak_f32 v15, s24, v13, 0xbab64f3b :: v_dual_mul_f32 v14, v13, v14
	s_delay_alu instid0(VALU_DEP_1) | instskip(NEXT) | instid1(VALU_DEP_2)
	v_fmaak_f32 v15, v13, v15, 0x3d2aabf7
	v_dual_fmac_f32 v21, v21, v14 :: v_dual_and_b32 v14, 0x80000000, v19
	s_delay_alu instid0(VALU_DEP_2) | instskip(NEXT) | instid1(VALU_DEP_1)
	v_fmaak_f32 v15, v13, v15, 0xbf000004
	v_fma_f32 v13, v13, v15, 1.0
	s_delay_alu instid0(VALU_DEP_1) | instskip(SKIP_1) | instid1(VALU_DEP_2)
	v_cndmask_b32_e64 v13, -v21, v13, s2
	v_cmp_class_f32_e64 s2, v18, 0x1f8
	v_xor_b32_e32 v13, v14, v13
	s_delay_alu instid0(VALU_DEP_1) | instskip(NEXT) | instid1(VALU_DEP_1)
	v_cndmask_b32_e64 v13, 0x7fc00000, v13, s2
	v_bfe_u32 v14, v13, 16, 1
	v_cmp_o_f32_e64 s2, v13, v13
	s_delay_alu instid0(VALU_DEP_2) | instskip(NEXT) | instid1(VALU_DEP_1)
	v_add3_u32 v14, v13, v14, 0x7fff
	v_lshrrev_b32_e32 v14, 16, v14
	s_delay_alu instid0(VALU_DEP_1) | instskip(SKIP_1) | instid1(VALU_DEP_1)
	v_cndmask_b32_e64 v15, 0x7fc0, v14, s2
	v_add_co_u32 v13, s2, v3, s9
	v_add_co_ci_u32_e64 v14, s2, 0, v4, s2
	global_store_b16 v[13:14], v15, off
	s_or_b32 exec_lo, exec_lo, s3
	s_and_saveexec_b32 s2, vcc_lo
	s_cbranch_execz .LBB225_3
.LBB225_35:                             ;   in Loop: Header=BB225_4 Depth=1
	v_dual_mul_f32 v13, v1, v1 :: v_dual_and_b32 v16, 1, v23
	s_delay_alu instid0(VALU_DEP_1) | instskip(NEXT) | instid1(VALU_DEP_2)
	v_fmaak_f32 v14, s23, v13, 0x3c0881c4
	v_cmp_eq_u32_e32 vcc_lo, 0, v16
	s_delay_alu instid0(VALU_DEP_2) | instskip(NEXT) | instid1(VALU_DEP_1)
	v_fmaak_f32 v14, v13, v14, 0xbe2aaa9d
	v_dual_fmaak_f32 v15, s24, v13, 0xbab64f3b :: v_dual_mul_f32 v14, v13, v14
	s_delay_alu instid0(VALU_DEP_1) | instskip(NEXT) | instid1(VALU_DEP_2)
	v_fmaak_f32 v15, v13, v15, 0x3d2aabf7
	v_dual_fmac_f32 v1, v1, v14 :: v_dual_lshlrev_b32 v18, 30, v23
	s_delay_alu instid0(VALU_DEP_2) | instskip(NEXT) | instid1(VALU_DEP_2)
	v_fmaak_f32 v15, v13, v15, 0xbf000004
	v_and_b32_e32 v14, 0x80000000, v18
	s_delay_alu instid0(VALU_DEP_2) | instskip(NEXT) | instid1(VALU_DEP_1)
	v_fma_f32 v13, v13, v15, 1.0
	v_cndmask_b32_e64 v1, -v1, v13, vcc_lo
	v_cmp_class_f32_e64 vcc_lo, v17, 0x1f8
	s_delay_alu instid0(VALU_DEP_2) | instskip(NEXT) | instid1(VALU_DEP_1)
	v_xor_b32_e32 v1, v14, v1
	v_cndmask_b32_e32 v1, 0x7fc00000, v1, vcc_lo
	s_delay_alu instid0(VALU_DEP_1) | instskip(SKIP_1) | instid1(VALU_DEP_2)
	v_bfe_u32 v13, v1, 16, 1
	v_cmp_o_f32_e32 vcc_lo, v1, v1
	v_add3_u32 v13, v1, v13, 0x7fff
	s_delay_alu instid0(VALU_DEP_1) | instskip(NEXT) | instid1(VALU_DEP_1)
	v_lshrrev_b32_e32 v13, 16, v13
	v_cndmask_b32_e32 v1, 0x7fc0, v13, vcc_lo
	v_add_co_u32 v13, vcc_lo, v3, s20
	v_add_co_ci_u32_e32 v14, vcc_lo, 0, v4, vcc_lo
	global_store_b16 v[13:14], v1, off
	s_branch .LBB225_3
.LBB225_36:
	s_cbranch_execz .LBB225_38
	s_branch .LBB225_57
.LBB225_37:
.LBB225_38:
	v_dual_mov_b32 v2, 0 :: v_dual_lshlrev_b32 v1, 2, v0
	s_mov_b32 s3, 0
	s_mov_b32 s2, exec_lo
	s_delay_alu instid0(VALU_DEP_1)
	v_cmpx_gt_i64_e64 s[10:11], v[1:2]
	s_cbranch_execz .LBB225_57
; %bb.39:
	s_load_b32 s0, s[0:1], 0xd3c
	s_mov_b32 s6, 0x7fffff
	s_mov_b32 s7, 0xb94c1982
	s_mov_b32 s8, 0x37d75334
	s_waitcnt lgkmcnt(0)
	s_and_b32 s0, s0, 0xffff
	s_add_u32 s1, s12, s14
	v_add_lshl_u32 v1, v0, s0, 2
	v_dual_mov_b32 v6, v2 :: v_dual_lshlrev_b32 v3, 3, v0
	s_addc_u32 s2, s13, s15
	s_lshl_b32 s4, s0, 3
	s_delay_alu instid0(VALU_DEP_2) | instskip(NEXT) | instid1(VALU_DEP_2)
	v_mov_b32_e32 v5, v1
	v_add_co_u32 v3, s1, s1, v3
	s_delay_alu instid0(VALU_DEP_1)
	v_add_co_ci_u32_e64 v4, null, s2, 0, s1
	s_lshl_b32 s5, s0, 2
	s_branch .LBB225_41
.LBB225_40:                             ;   in Loop: Header=BB225_41 Depth=1
	s_or_b32 exec_lo, exec_lo, s0
	v_dual_mul_f32 v17, v14, v14 :: v_dual_and_b32 v18, 1, v15
	v_dual_mul_f32 v19, v13, v13 :: v_dual_and_b32 v22, 1, v12
	s_delay_alu instid0(VALU_DEP_2) | instskip(NEXT) | instid1(VALU_DEP_2)
	v_dual_fmaak_f32 v20, s7, v17, 0x3c0881c4 :: v_dual_lshlrev_b32 v15, 30, v15
	v_dual_fmaak_f32 v21, s8, v17, 0xbab64f3b :: v_dual_fmaak_f32 v24, s8, v19, 0xbab64f3b
	s_delay_alu instid0(VALU_DEP_4) | instskip(NEXT) | instid1(VALU_DEP_3)
	v_cmp_eq_u32_e32 vcc_lo, 0, v18
	v_and_b32_e32 v15, 0x80000000, v15
	s_delay_alu instid0(VALU_DEP_4) | instskip(SKIP_3) | instid1(VALU_DEP_3)
	v_fmaak_f32 v20, v17, v20, 0xbe2aaa9d
	v_fmaak_f32 v23, s7, v19, 0x3c0881c4
	v_dual_fmaak_f32 v21, v17, v21, 0x3d2aabf7 :: v_dual_fmaak_f32 v24, v19, v24, 0x3d2aabf7
	v_mul_f32_e32 v25, v9, v9
	v_dual_mul_f32 v20, v17, v20 :: v_dual_fmaak_f32 v23, v19, v23, 0xbe2aaa9d
	s_delay_alu instid0(VALU_DEP_3) | instskip(SKIP_2) | instid1(VALU_DEP_4)
	v_fmaak_f32 v21, v17, v21, 0xbf000004
	v_mul_f32_e32 v26, v1, v1
	v_fmaak_f32 v24, v19, v24, 0xbf000004
	v_dual_fmac_f32 v14, v14, v20 :: v_dual_mul_f32 v23, v19, v23
	s_delay_alu instid0(VALU_DEP_4) | instskip(SKIP_1) | instid1(VALU_DEP_4)
	v_fma_f32 v17, v17, v21, 1.0
	v_cmp_lt_u64_e64 s0, 0xffff, v[5:6]
	v_fma_f32 v19, v19, v24, 1.0
	s_delay_alu instid0(VALU_DEP_4) | instskip(NEXT) | instid1(VALU_DEP_4)
	v_dual_fmaak_f32 v18, s8, v25, 0xbab64f3b :: v_dual_fmac_f32 v13, v13, v23
	v_cndmask_b32_e64 v14, -v14, v17, vcc_lo
	v_dual_fmaak_f32 v17, s7, v25, 0x3c0881c4 :: v_dual_lshlrev_b32 v12, 30, v12
	v_cmp_eq_u32_e32 vcc_lo, 0, v22
	s_delay_alu instid0(VALU_DEP_3) | instskip(NEXT) | instid1(VALU_DEP_3)
	v_xor_b32_e32 v14, v15, v14
	v_fmaak_f32 v15, v25, v17, 0xbe2aaa9d
	v_fmaak_f32 v17, s7, v26, 0x3c0881c4
	v_cndmask_b32_e64 v13, -v13, v19, vcc_lo
	v_fmaak_f32 v19, s8, v26, 0xbab64f3b
	v_fmaak_f32 v18, v25, v18, 0x3d2aabf7
	v_dual_mul_f32 v15, v25, v15 :: v_dual_and_b32 v12, 0x80000000, v12
	v_fmaak_f32 v17, v26, v17, 0xbe2aaa9d
	s_delay_alu instid0(VALU_DEP_4) | instskip(NEXT) | instid1(VALU_DEP_4)
	v_fmaak_f32 v19, v26, v19, 0x3d2aabf7
	v_fmaak_f32 v18, v25, v18, 0xbf000004
	s_delay_alu instid0(VALU_DEP_4)
	v_fmac_f32_e32 v9, v9, v15
	v_xor_b32_e32 v12, v12, v13
	v_mul_f32_e32 v15, v26, v17
	v_fmaak_f32 v17, v26, v19, 0xbf000004
	v_and_b32_e32 v19, 1, v10
	v_fma_f32 v18, v25, v18, 1.0
	v_lshlrev_b32_e32 v10, 30, v10
	s_delay_alu instid0(VALU_DEP_3) | instskip(NEXT) | instid1(VALU_DEP_2)
	v_cmp_eq_u32_e32 vcc_lo, 0, v19
	v_and_b32_e32 v10, 0x80000000, v10
	s_delay_alu instid0(VALU_DEP_4) | instskip(NEXT) | instid1(VALU_DEP_1)
	v_cndmask_b32_e64 v9, -v9, v18, vcc_lo
	v_xor_b32_e32 v9, v10, v9
	v_fmac_f32_e32 v1, v1, v15
	v_fma_f32 v15, v26, v17, 1.0
	v_and_b32_e32 v17, 1, v16
	v_lshlrev_b32_e32 v16, 30, v16
	s_delay_alu instid0(VALU_DEP_2) | instskip(NEXT) | instid1(VALU_DEP_4)
	v_cmp_eq_u32_e32 vcc_lo, 0, v17
	v_cndmask_b32_e64 v1, -v1, v15, vcc_lo
	v_cmp_class_f32_e64 vcc_lo, v7, 0x1f8
	s_delay_alu instid0(VALU_DEP_4) | instskip(SKIP_2) | instid1(VALU_DEP_3)
	v_and_b32_e32 v15, 0x80000000, v16
	v_cndmask_b32_e32 v7, 0x7fc00000, v14, vcc_lo
	v_cmp_class_f32_e64 vcc_lo, v11, 0x1f8
	v_xor_b32_e32 v1, v15, v1
	v_cndmask_b32_e32 v10, 0x7fc00000, v12, vcc_lo
	v_cmp_class_f32_e64 vcc_lo, v0, 0x1f8
	v_cndmask_b32_e32 v0, 0x7fc00000, v9, vcc_lo
	v_cmp_class_f32_e64 vcc_lo, v8, 0x1f8
	s_delay_alu instid0(VALU_DEP_4) | instskip(SKIP_1) | instid1(VALU_DEP_4)
	v_bfe_u32 v8, v10, 16, 1
	v_bfe_u32 v9, v7, 16, 1
	;; [unrolled: 1-line block ×3, first 2 shown]
	v_cndmask_b32_e32 v1, 0x7fc00000, v1, vcc_lo
	s_delay_alu instid0(VALU_DEP_4)
	v_add3_u32 v8, v10, v8, 0x7fff
	v_cmp_o_f32_e32 vcc_lo, v10, v10
	v_add3_u32 v9, v7, v9, 0x7fff
	v_add3_u32 v11, v0, v11, 0x7fff
	v_bfe_u32 v12, v1, 16, 1
	v_and_b32_e32 v8, 0xffff0000, v8
	s_delay_alu instid0(VALU_DEP_4) | instskip(NEXT) | instid1(VALU_DEP_4)
	v_lshrrev_b32_e32 v9, 16, v9
	v_lshrrev_b32_e32 v11, 16, v11
	s_delay_alu instid0(VALU_DEP_4) | instskip(NEXT) | instid1(VALU_DEP_4)
	v_add3_u32 v12, v1, v12, 0x7fff
	v_cndmask_b32_e32 v8, 0x7fc00000, v8, vcc_lo
	v_cmp_o_f32_e32 vcc_lo, v0, v0
	s_delay_alu instid0(VALU_DEP_3) | instskip(SKIP_2) | instid1(VALU_DEP_2)
	v_and_b32_e32 v12, 0xffff0000, v12
	v_cndmask_b32_e32 v0, 0x7fc0, v11, vcc_lo
	v_cmp_o_f32_e32 vcc_lo, v1, v1
	v_or_b32_e32 v0, v8, v0
	s_delay_alu instid0(VALU_DEP_4) | instskip(SKIP_1) | instid1(VALU_DEP_3)
	v_cndmask_b32_e32 v1, 0x7fc00000, v12, vcc_lo
	v_cmp_o_f32_e32 vcc_lo, v7, v7
	v_or3_b32 v0, v0, 0, 0
	v_cndmask_b32_e32 v7, 0x7fc0, v9, vcc_lo
	v_cmp_le_i64_e32 vcc_lo, s[10:11], v[5:6]
	s_delay_alu instid0(VALU_DEP_2) | instskip(SKIP_1) | instid1(SALU_CYCLE_1)
	v_or3_b32 v1, 0, v7, v1
	s_or_b32 s0, vcc_lo, s0
	s_and_b32 s0, exec_lo, s0
	global_store_b64 v[3:4], v[0:1], off
	v_add_co_u32 v3, vcc_lo, v3, s4
	v_add_co_ci_u32_e32 v4, vcc_lo, 0, v4, vcc_lo
	v_add_co_u32 v5, vcc_lo, v5, s5
	v_add_co_ci_u32_e32 v6, vcc_lo, 0, v6, vcc_lo
	s_or_b32 s3, s0, s3
	s_delay_alu instid0(SALU_CYCLE_1)
	s_and_not1_b32 exec_lo, exec_lo, s3
	s_cbranch_execz .LBB225_57
.LBB225_41:                             ; =>This Inner Loop Header: Depth=1
	global_load_b64 v[7:8], v[3:4], off
                                        ; implicit-def: $vgpr10
                                        ; implicit-def: $vgpr9
	s_mov_b32 s1, exec_lo
	s_waitcnt vmcnt(0)
	v_lshlrev_b32_e32 v0, 16, v7
	s_delay_alu instid0(VALU_DEP_1)
	v_cmpx_ngt_f32_e64 0x48000000, |v0|
	s_xor_b32 s9, exec_lo, s1
	s_cbranch_execz .LBB225_43
; %bb.42:                               ;   in Loop: Header=BB225_41 Depth=1
	v_and_b32_e32 v14, 0x7fffffff, v0
	s_delay_alu instid0(VALU_DEP_1) | instskip(NEXT) | instid1(VALU_DEP_1)
	v_and_or_b32 v17, v14, s6, 0x800000
	v_mad_u64_u32 v[9:10], null, 0xfe5163ab, v17, 0
	s_delay_alu instid0(VALU_DEP_1) | instskip(SKIP_1) | instid1(VALU_DEP_2)
	v_mov_b32_e32 v1, v10
	v_lshrrev_b32_e32 v14, 23, v14
	v_mad_u64_u32 v[10:11], null, 0x3c439041, v17, v[1:2]
	s_delay_alu instid0(VALU_DEP_2) | instskip(NEXT) | instid1(VALU_DEP_1)
	v_add_nc_u32_e32 v15, 0xffffff88, v14
	v_cmp_lt_u32_e32 vcc_lo, 63, v15
	v_cndmask_b32_e64 v16, 0, 0xffffffc0, vcc_lo
	s_delay_alu instid0(VALU_DEP_1) | instskip(NEXT) | instid1(VALU_DEP_1)
	v_dual_mov_b32 v1, v11 :: v_dual_add_nc_u32 v16, v16, v15
	v_mad_u64_u32 v[11:12], null, 0xdb629599, v17, v[1:2]
	s_delay_alu instid0(VALU_DEP_2) | instskip(NEXT) | instid1(VALU_DEP_2)
	v_cmp_lt_u32_e64 s0, 31, v16
	v_cndmask_b32_e32 v9, v11, v9, vcc_lo
	s_delay_alu instid0(VALU_DEP_2) | instskip(NEXT) | instid1(VALU_DEP_1)
	v_cndmask_b32_e64 v18, 0, 0xffffffe0, s0
	v_dual_mov_b32 v1, v12 :: v_dual_add_nc_u32 v18, v18, v16
	s_delay_alu instid0(VALU_DEP_1) | instskip(NEXT) | instid1(VALU_DEP_2)
	v_mad_u64_u32 v[12:13], null, 0xf534ddc0, v17, v[1:2]
	v_cmp_lt_u32_e64 s1, 31, v18
	s_delay_alu instid0(VALU_DEP_2) | instskip(NEXT) | instid1(VALU_DEP_1)
	v_dual_mov_b32 v1, v13 :: v_dual_cndmask_b32 v10, v12, v10
	v_mad_u64_u32 v[13:14], null, 0xfc2757d1, v17, v[1:2]
	s_delay_alu instid0(VALU_DEP_2) | instskip(NEXT) | instid1(VALU_DEP_2)
	v_cndmask_b32_e64 v9, v10, v9, s0
	v_mov_b32_e32 v1, v14
	s_delay_alu instid0(VALU_DEP_1) | instskip(NEXT) | instid1(VALU_DEP_1)
	v_mad_u64_u32 v[14:15], null, 0x4e441529, v17, v[1:2]
	v_mov_b32_e32 v1, v15
	s_delay_alu instid0(VALU_DEP_1) | instskip(SKIP_1) | instid1(VALU_DEP_4)
	v_mad_u64_u32 v[15:16], null, 0xa2f9836e, v17, v[1:2]
	v_cndmask_b32_e64 v1, 0, 0xffffffe0, s1
	v_cndmask_b32_e32 v17, v14, v12, vcc_lo
	s_delay_alu instid0(VALU_DEP_2) | instskip(NEXT) | instid1(VALU_DEP_4)
	v_add_nc_u32_e32 v1, v1, v18
	v_dual_cndmask_b32 v15, v15, v13 :: v_dual_cndmask_b32 v14, v16, v14
	v_cndmask_b32_e32 v13, v13, v11, vcc_lo
	s_delay_alu instid0(VALU_DEP_3) | instskip(NEXT) | instid1(VALU_DEP_3)
	v_sub_nc_u32_e32 v16, 32, v1
	v_cndmask_b32_e64 v12, v15, v17, s0
	s_delay_alu instid0(VALU_DEP_4) | instskip(NEXT) | instid1(VALU_DEP_4)
	v_cndmask_b32_e64 v14, v14, v15, s0
	v_cndmask_b32_e64 v15, v17, v13, s0
	;; [unrolled: 1-line block ×3, first 2 shown]
	v_cmp_eq_u32_e64 s2, 0, v1
	s_delay_alu instid0(VALU_DEP_4) | instskip(NEXT) | instid1(VALU_DEP_4)
	v_cndmask_b32_e64 v14, v14, v12, s1
	v_cndmask_b32_e64 v12, v12, v15, s1
	s_delay_alu instid0(VALU_DEP_4) | instskip(SKIP_1) | instid1(VALU_DEP_3)
	v_cndmask_b32_e64 v15, v15, v13, s1
	v_cndmask_b32_e64 v9, v13, v9, s1
	v_alignbit_b32 v17, v14, v12, v16
	s_delay_alu instid0(VALU_DEP_3) | instskip(NEXT) | instid1(VALU_DEP_3)
	v_alignbit_b32 v18, v12, v15, v16
	v_alignbit_b32 v16, v15, v9, v16
	s_delay_alu instid0(VALU_DEP_3) | instskip(NEXT) | instid1(VALU_DEP_3)
	v_cndmask_b32_e64 v1, v17, v14, s2
	v_cndmask_b32_e64 v11, v18, v12, s2
	s_delay_alu instid0(VALU_DEP_3) | instskip(NEXT) | instid1(VALU_DEP_3)
	v_cndmask_b32_e64 v15, v16, v15, s2
	v_bfe_u32 v12, v1, 29, 1
	s_delay_alu instid0(VALU_DEP_3) | instskip(NEXT) | instid1(VALU_DEP_3)
	v_alignbit_b32 v10, v1, v11, 30
	v_alignbit_b32 v11, v11, v15, 30
	;; [unrolled: 1-line block ×3, first 2 shown]
	s_delay_alu instid0(VALU_DEP_4) | instskip(NEXT) | instid1(VALU_DEP_1)
	v_sub_nc_u32_e32 v14, 0, v12
	v_xor_b32_e32 v13, v10, v14
	v_cmp_ne_u32_e32 vcc_lo, v10, v14
	v_xor_b32_e32 v11, v11, v14
	v_xor_b32_e32 v9, v9, v14
	s_delay_alu instid0(VALU_DEP_4) | instskip(NEXT) | instid1(VALU_DEP_1)
	v_clz_i32_u32_e32 v17, v13
	v_add_nc_u32_e32 v16, 1, v17
	s_delay_alu instid0(VALU_DEP_1) | instskip(NEXT) | instid1(VALU_DEP_1)
	v_cndmask_b32_e32 v10, 33, v16, vcc_lo
	v_sub_nc_u32_e32 v15, 32, v10
	s_delay_alu instid0(VALU_DEP_1) | instskip(SKIP_3) | instid1(VALU_DEP_3)
	v_alignbit_b32 v13, v13, v11, v15
	v_alignbit_b32 v9, v11, v9, v15
	v_lshrrev_b32_e32 v11, 29, v1
	v_lshrrev_b32_e32 v1, 30, v1
	v_alignbit_b32 v14, v13, v9, 9
	s_delay_alu instid0(VALU_DEP_3) | instskip(SKIP_1) | instid1(VALU_DEP_3)
	v_lshlrev_b32_e32 v11, 31, v11
	v_alignbit_b32 v13, v10, v13, 9
	v_clz_i32_u32_e32 v15, v14
	s_delay_alu instid0(VALU_DEP_2) | instskip(SKIP_1) | instid1(VALU_DEP_3)
	v_or_b32_e32 v13, v13, v11
	v_or_b32_e32 v11, 0x33800000, v11
	v_min_u32_e32 v15, 32, v15
	s_delay_alu instid0(VALU_DEP_3) | instskip(NEXT) | instid1(VALU_DEP_2)
	v_xor_b32_e32 v13, 1.0, v13
	v_sub_nc_u32_e32 v16, 31, v15
	v_add_lshl_u32 v10, v15, v10, 23
	s_delay_alu instid0(VALU_DEP_3) | instskip(NEXT) | instid1(VALU_DEP_3)
	v_mul_f32_e32 v15, 0x3fc90fda, v13
	v_alignbit_b32 v9, v14, v9, v16
	s_delay_alu instid0(VALU_DEP_3) | instskip(NEXT) | instid1(VALU_DEP_3)
	v_sub_nc_u32_e32 v10, v11, v10
	v_fma_f32 v11, 0x3fc90fda, v13, -v15
	s_delay_alu instid0(VALU_DEP_3) | instskip(NEXT) | instid1(VALU_DEP_2)
	v_lshrrev_b32_e32 v9, 9, v9
	v_fmac_f32_e32 v11, 0x33a22168, v13
	s_delay_alu instid0(VALU_DEP_2) | instskip(SKIP_1) | instid1(VALU_DEP_2)
	v_or_b32_e32 v9, v10, v9
	v_add_nc_u32_e32 v10, v12, v1
	v_fmac_f32_e32 v11, 0x3fc90fda, v9
	s_delay_alu instid0(VALU_DEP_1)
	v_add_f32_e32 v9, v15, v11
.LBB225_43:                             ;   in Loop: Header=BB225_41 Depth=1
	s_and_not1_saveexec_b32 s0, s9
; %bb.44:                               ;   in Loop: Header=BB225_41 Depth=1
	v_mul_f32_e64 v1, 0x3f22f983, |v0|
	s_delay_alu instid0(VALU_DEP_1) | instskip(NEXT) | instid1(VALU_DEP_1)
	v_rndne_f32_e32 v1, v1
	v_fma_f32 v9, 0xbfc90fda, v1, |v0|
	v_cvt_i32_f32_e32 v10, v1
	s_delay_alu instid0(VALU_DEP_2) | instskip(NEXT) | instid1(VALU_DEP_1)
	v_fmac_f32_e32 v9, 0xb3a22168, v1
	v_fmac_f32_e32 v9, 0xa7c234c4, v1
; %bb.45:                               ;   in Loop: Header=BB225_41 Depth=1
	s_or_b32 exec_lo, exec_lo, s0
	v_and_b32_e32 v11, 0xffff0000, v7
                                        ; implicit-def: $vgpr12
                                        ; implicit-def: $vgpr13
	s_mov_b32 s1, exec_lo
	s_delay_alu instid0(VALU_DEP_1)
	v_cmpx_ngt_f32_e64 0x48000000, |v11|
	s_xor_b32 s9, exec_lo, s1
	s_cbranch_execz .LBB225_47
; %bb.46:                               ;   in Loop: Header=BB225_41 Depth=1
	v_and_b32_e32 v17, 0x7fffffff, v11
	s_delay_alu instid0(VALU_DEP_1) | instskip(SKIP_1) | instid1(VALU_DEP_2)
	v_and_or_b32 v20, v17, s6, 0x800000
	v_lshrrev_b32_e32 v17, 23, v17
	v_mad_u64_u32 v[12:13], null, 0xfe5163ab, v20, 0
	s_delay_alu instid0(VALU_DEP_2) | instskip(NEXT) | instid1(VALU_DEP_1)
	v_add_nc_u32_e32 v18, 0xffffff88, v17
	v_cmp_lt_u32_e32 vcc_lo, 63, v18
	s_delay_alu instid0(VALU_DEP_3) | instskip(SKIP_1) | instid1(VALU_DEP_2)
	v_mov_b32_e32 v1, v13
	v_cndmask_b32_e64 v19, 0, 0xffffffc0, vcc_lo
	v_mad_u64_u32 v[13:14], null, 0x3c439041, v20, v[1:2]
	s_delay_alu instid0(VALU_DEP_2) | instskip(NEXT) | instid1(VALU_DEP_2)
	v_add_nc_u32_e32 v19, v19, v18
	v_mov_b32_e32 v1, v14
	s_delay_alu instid0(VALU_DEP_2) | instskip(NEXT) | instid1(VALU_DEP_2)
	v_cmp_lt_u32_e64 s0, 31, v19
	v_mad_u64_u32 v[14:15], null, 0xdb629599, v20, v[1:2]
	s_delay_alu instid0(VALU_DEP_2) | instskip(NEXT) | instid1(VALU_DEP_1)
	v_cndmask_b32_e64 v21, 0, 0xffffffe0, s0
	v_add_nc_u32_e32 v21, v21, v19
	s_delay_alu instid0(VALU_DEP_3) | instskip(NEXT) | instid1(VALU_DEP_2)
	v_dual_mov_b32 v1, v15 :: v_dual_cndmask_b32 v12, v14, v12
	v_cmp_lt_u32_e64 s1, 31, v21
	s_delay_alu instid0(VALU_DEP_2) | instskip(NEXT) | instid1(VALU_DEP_1)
	v_mad_u64_u32 v[15:16], null, 0xf534ddc0, v20, v[1:2]
	v_mov_b32_e32 v1, v16
	s_delay_alu instid0(VALU_DEP_2) | instskip(NEXT) | instid1(VALU_DEP_2)
	v_cndmask_b32_e32 v13, v15, v13, vcc_lo
	v_mad_u64_u32 v[16:17], null, 0xfc2757d1, v20, v[1:2]
	s_delay_alu instid0(VALU_DEP_2) | instskip(NEXT) | instid1(VALU_DEP_2)
	v_cndmask_b32_e64 v12, v13, v12, s0
	v_mov_b32_e32 v1, v17
	s_delay_alu instid0(VALU_DEP_1) | instskip(NEXT) | instid1(VALU_DEP_1)
	v_mad_u64_u32 v[17:18], null, 0x4e441529, v20, v[1:2]
	v_mov_b32_e32 v1, v18
	s_delay_alu instid0(VALU_DEP_1) | instskip(SKIP_1) | instid1(VALU_DEP_4)
	v_mad_u64_u32 v[18:19], null, 0xa2f9836e, v20, v[1:2]
	v_cndmask_b32_e64 v1, 0, 0xffffffe0, s1
	v_cndmask_b32_e32 v20, v17, v15, vcc_lo
	s_delay_alu instid0(VALU_DEP_2) | instskip(NEXT) | instid1(VALU_DEP_4)
	v_dual_cndmask_b32 v18, v18, v16 :: v_dual_add_nc_u32 v1, v1, v21
	v_dual_cndmask_b32 v17, v19, v17 :: v_dual_cndmask_b32 v16, v16, v14
	s_delay_alu instid0(VALU_DEP_2) | instskip(NEXT) | instid1(VALU_DEP_3)
	v_sub_nc_u32_e32 v19, 32, v1
	v_cndmask_b32_e64 v15, v18, v20, s0
	s_delay_alu instid0(VALU_DEP_3) | instskip(NEXT) | instid1(VALU_DEP_4)
	v_cndmask_b32_e64 v17, v17, v18, s0
	v_cndmask_b32_e64 v18, v20, v16, s0
	;; [unrolled: 1-line block ×3, first 2 shown]
	v_cmp_eq_u32_e64 s2, 0, v1
	s_delay_alu instid0(VALU_DEP_4) | instskip(NEXT) | instid1(VALU_DEP_4)
	v_cndmask_b32_e64 v17, v17, v15, s1
	v_cndmask_b32_e64 v15, v15, v18, s1
	s_delay_alu instid0(VALU_DEP_4) | instskip(SKIP_1) | instid1(VALU_DEP_3)
	v_cndmask_b32_e64 v18, v18, v16, s1
	v_cndmask_b32_e64 v12, v16, v12, s1
	v_alignbit_b32 v20, v17, v15, v19
	s_delay_alu instid0(VALU_DEP_3) | instskip(NEXT) | instid1(VALU_DEP_3)
	v_alignbit_b32 v21, v15, v18, v19
	v_alignbit_b32 v19, v18, v12, v19
	s_delay_alu instid0(VALU_DEP_3) | instskip(NEXT) | instid1(VALU_DEP_3)
	v_cndmask_b32_e64 v1, v20, v17, s2
	v_cndmask_b32_e64 v14, v21, v15, s2
	s_delay_alu instid0(VALU_DEP_3) | instskip(NEXT) | instid1(VALU_DEP_3)
	v_cndmask_b32_e64 v18, v19, v18, s2
	v_bfe_u32 v15, v1, 29, 1
	s_delay_alu instid0(VALU_DEP_3) | instskip(NEXT) | instid1(VALU_DEP_3)
	v_alignbit_b32 v13, v1, v14, 30
	v_alignbit_b32 v14, v14, v18, 30
	;; [unrolled: 1-line block ×3, first 2 shown]
	s_delay_alu instid0(VALU_DEP_4) | instskip(NEXT) | instid1(VALU_DEP_1)
	v_sub_nc_u32_e32 v17, 0, v15
	v_xor_b32_e32 v16, v13, v17
	v_cmp_ne_u32_e32 vcc_lo, v13, v17
	v_xor_b32_e32 v14, v14, v17
	v_xor_b32_e32 v12, v12, v17
	s_delay_alu instid0(VALU_DEP_4) | instskip(NEXT) | instid1(VALU_DEP_1)
	v_clz_i32_u32_e32 v20, v16
	v_add_nc_u32_e32 v19, 1, v20
	s_delay_alu instid0(VALU_DEP_1) | instskip(NEXT) | instid1(VALU_DEP_1)
	v_cndmask_b32_e32 v13, 33, v19, vcc_lo
	v_sub_nc_u32_e32 v18, 32, v13
	s_delay_alu instid0(VALU_DEP_1) | instskip(SKIP_3) | instid1(VALU_DEP_3)
	v_alignbit_b32 v16, v16, v14, v18
	v_alignbit_b32 v12, v14, v12, v18
	v_lshrrev_b32_e32 v14, 29, v1
	v_lshrrev_b32_e32 v1, 30, v1
	v_alignbit_b32 v17, v16, v12, 9
	s_delay_alu instid0(VALU_DEP_3) | instskip(SKIP_1) | instid1(VALU_DEP_3)
	v_lshlrev_b32_e32 v14, 31, v14
	v_alignbit_b32 v16, v13, v16, 9
	v_clz_i32_u32_e32 v18, v17
	s_delay_alu instid0(VALU_DEP_2) | instskip(SKIP_1) | instid1(VALU_DEP_3)
	v_or_b32_e32 v16, v16, v14
	v_or_b32_e32 v14, 0x33800000, v14
	v_min_u32_e32 v18, 32, v18
	s_delay_alu instid0(VALU_DEP_3) | instskip(NEXT) | instid1(VALU_DEP_2)
	v_xor_b32_e32 v16, 1.0, v16
	v_sub_nc_u32_e32 v19, 31, v18
	v_add_lshl_u32 v13, v18, v13, 23
	s_delay_alu instid0(VALU_DEP_3) | instskip(NEXT) | instid1(VALU_DEP_3)
	v_mul_f32_e32 v18, 0x3fc90fda, v16
	v_alignbit_b32 v12, v17, v12, v19
	s_delay_alu instid0(VALU_DEP_3) | instskip(NEXT) | instid1(VALU_DEP_3)
	v_sub_nc_u32_e32 v13, v14, v13
	v_fma_f32 v14, 0x3fc90fda, v16, -v18
	s_delay_alu instid0(VALU_DEP_3) | instskip(NEXT) | instid1(VALU_DEP_2)
	v_lshrrev_b32_e32 v12, 9, v12
	v_fmac_f32_e32 v14, 0x33a22168, v16
	s_delay_alu instid0(VALU_DEP_2) | instskip(NEXT) | instid1(VALU_DEP_1)
	v_or_b32_e32 v12, v13, v12
	v_fmac_f32_e32 v14, 0x3fc90fda, v12
	s_delay_alu instid0(VALU_DEP_1)
	v_dual_add_f32 v13, v18, v14 :: v_dual_add_nc_u32 v12, v15, v1
.LBB225_47:                             ;   in Loop: Header=BB225_41 Depth=1
	s_and_not1_saveexec_b32 s0, s9
; %bb.48:                               ;   in Loop: Header=BB225_41 Depth=1
	v_mul_f32_e64 v1, 0x3f22f983, |v11|
	s_delay_alu instid0(VALU_DEP_1) | instskip(NEXT) | instid1(VALU_DEP_1)
	v_rndne_f32_e32 v1, v1
	v_fma_f32 v13, 0xbfc90fda, v1, |v11|
	v_cvt_i32_f32_e32 v12, v1
	s_delay_alu instid0(VALU_DEP_2) | instskip(NEXT) | instid1(VALU_DEP_1)
	v_fmac_f32_e32 v13, 0xb3a22168, v1
	v_fmac_f32_e32 v13, 0xa7c234c4, v1
; %bb.49:                               ;   in Loop: Header=BB225_41 Depth=1
	s_or_b32 exec_lo, exec_lo, s0
	v_alignbit_b32 v1, v8, v7, 16
                                        ; implicit-def: $vgpr15
                                        ; implicit-def: $vgpr14
	s_mov_b32 s1, exec_lo
	s_delay_alu instid0(VALU_DEP_1) | instskip(NEXT) | instid1(VALU_DEP_1)
	v_and_b32_e32 v7, 0xffff0000, v1
	v_cmpx_ngt_f32_e64 0x48000000, |v7|
	s_xor_b32 s9, exec_lo, s1
	s_cbranch_execz .LBB225_51
; %bb.50:                               ;   in Loop: Header=BB225_41 Depth=1
	v_and_b32_e32 v19, 0x7fffffff, v7
	s_delay_alu instid0(VALU_DEP_1) | instskip(SKIP_1) | instid1(VALU_DEP_2)
	v_and_or_b32 v22, v19, s6, 0x800000
	v_lshrrev_b32_e32 v19, 23, v19
	v_mad_u64_u32 v[14:15], null, 0xfe5163ab, v22, 0
	s_delay_alu instid0(VALU_DEP_2) | instskip(NEXT) | instid1(VALU_DEP_1)
	v_add_nc_u32_e32 v20, 0xffffff88, v19
	v_cmp_lt_u32_e32 vcc_lo, 63, v20
	s_delay_alu instid0(VALU_DEP_3) | instskip(SKIP_1) | instid1(VALU_DEP_2)
	v_mov_b32_e32 v1, v15
	v_cndmask_b32_e64 v21, 0, 0xffffffc0, vcc_lo
	v_mad_u64_u32 v[15:16], null, 0x3c439041, v22, v[1:2]
	s_delay_alu instid0(VALU_DEP_2) | instskip(NEXT) | instid1(VALU_DEP_2)
	v_add_nc_u32_e32 v21, v21, v20
	v_mov_b32_e32 v1, v16
	s_delay_alu instid0(VALU_DEP_2) | instskip(NEXT) | instid1(VALU_DEP_2)
	v_cmp_lt_u32_e64 s0, 31, v21
	v_mad_u64_u32 v[16:17], null, 0xdb629599, v22, v[1:2]
	s_delay_alu instid0(VALU_DEP_2) | instskip(NEXT) | instid1(VALU_DEP_1)
	v_cndmask_b32_e64 v23, 0, 0xffffffe0, s0
	v_add_nc_u32_e32 v23, v23, v21
	s_delay_alu instid0(VALU_DEP_3) | instskip(NEXT) | instid1(VALU_DEP_2)
	v_dual_mov_b32 v1, v17 :: v_dual_cndmask_b32 v14, v16, v14
	v_cmp_lt_u32_e64 s1, 31, v23
	s_delay_alu instid0(VALU_DEP_2) | instskip(NEXT) | instid1(VALU_DEP_1)
	v_mad_u64_u32 v[17:18], null, 0xf534ddc0, v22, v[1:2]
	v_mov_b32_e32 v1, v18
	s_delay_alu instid0(VALU_DEP_2) | instskip(NEXT) | instid1(VALU_DEP_2)
	v_cndmask_b32_e32 v15, v17, v15, vcc_lo
	v_mad_u64_u32 v[18:19], null, 0xfc2757d1, v22, v[1:2]
	s_delay_alu instid0(VALU_DEP_2) | instskip(NEXT) | instid1(VALU_DEP_2)
	v_cndmask_b32_e64 v14, v15, v14, s0
	v_mov_b32_e32 v1, v19
	s_delay_alu instid0(VALU_DEP_1) | instskip(NEXT) | instid1(VALU_DEP_1)
	v_mad_u64_u32 v[19:20], null, 0x4e441529, v22, v[1:2]
	v_mov_b32_e32 v1, v20
	s_delay_alu instid0(VALU_DEP_1) | instskip(SKIP_1) | instid1(VALU_DEP_1)
	v_mad_u64_u32 v[20:21], null, 0xa2f9836e, v22, v[1:2]
	v_cndmask_b32_e64 v1, 0, 0xffffffe0, s1
	v_dual_cndmask_b32 v22, v19, v17 :: v_dual_add_nc_u32 v1, v1, v23
	s_delay_alu instid0(VALU_DEP_3) | instskip(SKIP_1) | instid1(VALU_DEP_3)
	v_dual_cndmask_b32 v20, v20, v18 :: v_dual_cndmask_b32 v19, v21, v19
	v_cndmask_b32_e32 v18, v18, v16, vcc_lo
	v_sub_nc_u32_e32 v21, 32, v1
	s_delay_alu instid0(VALU_DEP_3) | instskip(NEXT) | instid1(VALU_DEP_4)
	v_cndmask_b32_e64 v17, v20, v22, s0
	v_cndmask_b32_e64 v19, v19, v20, s0
	s_delay_alu instid0(VALU_DEP_4) | instskip(SKIP_2) | instid1(VALU_DEP_4)
	v_cndmask_b32_e64 v20, v22, v18, s0
	v_cndmask_b32_e64 v18, v18, v15, s0
	v_cmp_eq_u32_e64 s2, 0, v1
	v_cndmask_b32_e64 v19, v19, v17, s1
	s_delay_alu instid0(VALU_DEP_4) | instskip(NEXT) | instid1(VALU_DEP_4)
	v_cndmask_b32_e64 v17, v17, v20, s1
	v_cndmask_b32_e64 v20, v20, v18, s1
	;; [unrolled: 1-line block ×3, first 2 shown]
	s_delay_alu instid0(VALU_DEP_3) | instskip(NEXT) | instid1(VALU_DEP_3)
	v_alignbit_b32 v22, v19, v17, v21
	v_alignbit_b32 v23, v17, v20, v21
	s_delay_alu instid0(VALU_DEP_3) | instskip(NEXT) | instid1(VALU_DEP_3)
	v_alignbit_b32 v21, v20, v14, v21
	v_cndmask_b32_e64 v1, v22, v19, s2
	s_delay_alu instid0(VALU_DEP_3) | instskip(NEXT) | instid1(VALU_DEP_3)
	v_cndmask_b32_e64 v16, v23, v17, s2
	v_cndmask_b32_e64 v20, v21, v20, s2
	s_delay_alu instid0(VALU_DEP_3) | instskip(NEXT) | instid1(VALU_DEP_3)
	v_bfe_u32 v17, v1, 29, 1
	v_alignbit_b32 v15, v1, v16, 30
	s_delay_alu instid0(VALU_DEP_3) | instskip(SKIP_1) | instid1(VALU_DEP_4)
	v_alignbit_b32 v16, v16, v20, 30
	v_alignbit_b32 v14, v20, v14, 30
	v_sub_nc_u32_e32 v19, 0, v17
	s_delay_alu instid0(VALU_DEP_1) | instskip(SKIP_3) | instid1(VALU_DEP_4)
	v_xor_b32_e32 v18, v15, v19
	v_cmp_ne_u32_e32 vcc_lo, v15, v19
	v_xor_b32_e32 v16, v16, v19
	v_xor_b32_e32 v14, v14, v19
	v_clz_i32_u32_e32 v22, v18
	s_delay_alu instid0(VALU_DEP_1) | instskip(NEXT) | instid1(VALU_DEP_1)
	v_add_nc_u32_e32 v21, 1, v22
	v_cndmask_b32_e32 v15, 33, v21, vcc_lo
	s_delay_alu instid0(VALU_DEP_1) | instskip(NEXT) | instid1(VALU_DEP_1)
	v_sub_nc_u32_e32 v20, 32, v15
	v_alignbit_b32 v18, v18, v16, v20
	v_alignbit_b32 v14, v16, v14, v20
	v_lshrrev_b32_e32 v16, 29, v1
	v_lshrrev_b32_e32 v1, 30, v1
	s_delay_alu instid0(VALU_DEP_3) | instskip(NEXT) | instid1(VALU_DEP_3)
	v_alignbit_b32 v19, v18, v14, 9
	v_lshlrev_b32_e32 v16, 31, v16
	v_alignbit_b32 v18, v15, v18, 9
	s_delay_alu instid0(VALU_DEP_3) | instskip(NEXT) | instid1(VALU_DEP_2)
	v_clz_i32_u32_e32 v20, v19
	v_or_b32_e32 v18, v18, v16
	v_or_b32_e32 v16, 0x33800000, v16
	s_delay_alu instid0(VALU_DEP_3) | instskip(NEXT) | instid1(VALU_DEP_3)
	v_min_u32_e32 v20, 32, v20
	v_xor_b32_e32 v18, 1.0, v18
	s_delay_alu instid0(VALU_DEP_2) | instskip(SKIP_1) | instid1(VALU_DEP_3)
	v_sub_nc_u32_e32 v21, 31, v20
	v_add_lshl_u32 v15, v20, v15, 23
	v_mul_f32_e32 v20, 0x3fc90fda, v18
	s_delay_alu instid0(VALU_DEP_3) | instskip(NEXT) | instid1(VALU_DEP_3)
	v_alignbit_b32 v14, v19, v14, v21
	v_sub_nc_u32_e32 v15, v16, v15
	s_delay_alu instid0(VALU_DEP_3) | instskip(NEXT) | instid1(VALU_DEP_3)
	v_fma_f32 v16, 0x3fc90fda, v18, -v20
	v_lshrrev_b32_e32 v14, 9, v14
	s_delay_alu instid0(VALU_DEP_2) | instskip(NEXT) | instid1(VALU_DEP_2)
	v_fmac_f32_e32 v16, 0x33a22168, v18
	v_or_b32_e32 v14, v15, v14
	s_delay_alu instid0(VALU_DEP_1) | instskip(NEXT) | instid1(VALU_DEP_1)
	v_dual_fmac_f32 v16, 0x3fc90fda, v14 :: v_dual_add_nc_u32 v15, v17, v1
	v_add_f32_e32 v14, v20, v16
.LBB225_51:                             ;   in Loop: Header=BB225_41 Depth=1
	s_and_not1_saveexec_b32 s0, s9
; %bb.52:                               ;   in Loop: Header=BB225_41 Depth=1
	v_mul_f32_e64 v1, 0x3f22f983, |v7|
	s_delay_alu instid0(VALU_DEP_1) | instskip(NEXT) | instid1(VALU_DEP_1)
	v_rndne_f32_e32 v1, v1
	v_fma_f32 v14, 0xbfc90fda, v1, |v7|
	v_cvt_i32_f32_e32 v15, v1
	s_delay_alu instid0(VALU_DEP_2) | instskip(NEXT) | instid1(VALU_DEP_1)
	v_fmac_f32_e32 v14, 0xb3a22168, v1
	v_fmac_f32_e32 v14, 0xa7c234c4, v1
; %bb.53:                               ;   in Loop: Header=BB225_41 Depth=1
	s_or_b32 exec_lo, exec_lo, s0
	v_and_b32_e32 v8, 0xffff0000, v8
                                        ; implicit-def: $vgpr16
                                        ; implicit-def: $vgpr1
	s_mov_b32 s1, exec_lo
	s_delay_alu instid0(VALU_DEP_1)
	v_cmpx_ngt_f32_e64 0x48000000, |v8|
	s_xor_b32 s9, exec_lo, s1
	s_cbranch_execz .LBB225_55
; %bb.54:                               ;   in Loop: Header=BB225_41 Depth=1
	v_and_b32_e32 v21, 0x7fffffff, v8
	s_delay_alu instid0(VALU_DEP_1) | instskip(SKIP_1) | instid1(VALU_DEP_2)
	v_and_or_b32 v24, v21, s6, 0x800000
	v_lshrrev_b32_e32 v21, 23, v21
	v_mad_u64_u32 v[16:17], null, 0xfe5163ab, v24, 0
	s_delay_alu instid0(VALU_DEP_2) | instskip(NEXT) | instid1(VALU_DEP_1)
	v_add_nc_u32_e32 v22, 0xffffff88, v21
	v_cmp_lt_u32_e32 vcc_lo, 63, v22
	s_delay_alu instid0(VALU_DEP_3) | instskip(SKIP_1) | instid1(VALU_DEP_2)
	v_mov_b32_e32 v1, v17
	v_cndmask_b32_e64 v23, 0, 0xffffffc0, vcc_lo
	v_mad_u64_u32 v[17:18], null, 0x3c439041, v24, v[1:2]
	s_delay_alu instid0(VALU_DEP_2) | instskip(NEXT) | instid1(VALU_DEP_2)
	v_add_nc_u32_e32 v23, v23, v22
	v_mov_b32_e32 v1, v18
	s_delay_alu instid0(VALU_DEP_2) | instskip(NEXT) | instid1(VALU_DEP_2)
	v_cmp_lt_u32_e64 s0, 31, v23
	v_mad_u64_u32 v[18:19], null, 0xdb629599, v24, v[1:2]
	s_delay_alu instid0(VALU_DEP_2) | instskip(NEXT) | instid1(VALU_DEP_1)
	v_cndmask_b32_e64 v25, 0, 0xffffffe0, s0
	v_add_nc_u32_e32 v25, v25, v23
	s_delay_alu instid0(VALU_DEP_3) | instskip(NEXT) | instid1(VALU_DEP_2)
	v_dual_mov_b32 v1, v19 :: v_dual_cndmask_b32 v16, v18, v16
	v_cmp_lt_u32_e64 s1, 31, v25
	s_delay_alu instid0(VALU_DEP_2) | instskip(NEXT) | instid1(VALU_DEP_1)
	v_mad_u64_u32 v[19:20], null, 0xf534ddc0, v24, v[1:2]
	v_mov_b32_e32 v1, v20
	s_delay_alu instid0(VALU_DEP_2) | instskip(NEXT) | instid1(VALU_DEP_2)
	v_cndmask_b32_e32 v17, v19, v17, vcc_lo
	v_mad_u64_u32 v[20:21], null, 0xfc2757d1, v24, v[1:2]
	s_delay_alu instid0(VALU_DEP_2) | instskip(NEXT) | instid1(VALU_DEP_2)
	v_cndmask_b32_e64 v16, v17, v16, s0
	v_mov_b32_e32 v1, v21
	s_delay_alu instid0(VALU_DEP_1) | instskip(NEXT) | instid1(VALU_DEP_1)
	v_mad_u64_u32 v[21:22], null, 0x4e441529, v24, v[1:2]
	v_mov_b32_e32 v1, v22
	s_delay_alu instid0(VALU_DEP_1) | instskip(SKIP_1) | instid1(VALU_DEP_4)
	v_mad_u64_u32 v[22:23], null, 0xa2f9836e, v24, v[1:2]
	v_cndmask_b32_e64 v1, 0, 0xffffffe0, s1
	v_cndmask_b32_e32 v24, v21, v19, vcc_lo
	s_delay_alu instid0(VALU_DEP_2) | instskip(NEXT) | instid1(VALU_DEP_4)
	v_dual_cndmask_b32 v22, v22, v20 :: v_dual_add_nc_u32 v1, v1, v25
	v_dual_cndmask_b32 v21, v23, v21 :: v_dual_cndmask_b32 v20, v20, v18
	s_delay_alu instid0(VALU_DEP_2) | instskip(NEXT) | instid1(VALU_DEP_3)
	v_sub_nc_u32_e32 v23, 32, v1
	v_cndmask_b32_e64 v19, v22, v24, s0
	s_delay_alu instid0(VALU_DEP_3) | instskip(NEXT) | instid1(VALU_DEP_4)
	v_cndmask_b32_e64 v21, v21, v22, s0
	v_cndmask_b32_e64 v22, v24, v20, s0
	;; [unrolled: 1-line block ×3, first 2 shown]
	v_cmp_eq_u32_e64 s2, 0, v1
	s_delay_alu instid0(VALU_DEP_4) | instskip(NEXT) | instid1(VALU_DEP_4)
	v_cndmask_b32_e64 v21, v21, v19, s1
	v_cndmask_b32_e64 v19, v19, v22, s1
	s_delay_alu instid0(VALU_DEP_4) | instskip(SKIP_1) | instid1(VALU_DEP_3)
	v_cndmask_b32_e64 v22, v22, v20, s1
	v_cndmask_b32_e64 v16, v20, v16, s1
	v_alignbit_b32 v24, v21, v19, v23
	s_delay_alu instid0(VALU_DEP_3) | instskip(NEXT) | instid1(VALU_DEP_3)
	v_alignbit_b32 v25, v19, v22, v23
	v_alignbit_b32 v23, v22, v16, v23
	s_delay_alu instid0(VALU_DEP_3) | instskip(NEXT) | instid1(VALU_DEP_3)
	v_cndmask_b32_e64 v1, v24, v21, s2
	v_cndmask_b32_e64 v18, v25, v19, s2
	s_delay_alu instid0(VALU_DEP_3) | instskip(NEXT) | instid1(VALU_DEP_3)
	v_cndmask_b32_e64 v22, v23, v22, s2
	v_bfe_u32 v19, v1, 29, 1
	s_delay_alu instid0(VALU_DEP_3) | instskip(NEXT) | instid1(VALU_DEP_3)
	v_alignbit_b32 v17, v1, v18, 30
	v_alignbit_b32 v18, v18, v22, 30
	;; [unrolled: 1-line block ×3, first 2 shown]
	s_delay_alu instid0(VALU_DEP_4) | instskip(NEXT) | instid1(VALU_DEP_1)
	v_sub_nc_u32_e32 v21, 0, v19
	v_xor_b32_e32 v20, v17, v21
	v_cmp_ne_u32_e32 vcc_lo, v17, v21
	v_xor_b32_e32 v18, v18, v21
	v_xor_b32_e32 v16, v16, v21
	s_delay_alu instid0(VALU_DEP_4) | instskip(NEXT) | instid1(VALU_DEP_1)
	v_clz_i32_u32_e32 v24, v20
	v_add_nc_u32_e32 v23, 1, v24
	s_delay_alu instid0(VALU_DEP_1) | instskip(NEXT) | instid1(VALU_DEP_1)
	v_cndmask_b32_e32 v17, 33, v23, vcc_lo
	v_sub_nc_u32_e32 v22, 32, v17
	s_delay_alu instid0(VALU_DEP_1) | instskip(SKIP_2) | instid1(VALU_DEP_2)
	v_alignbit_b32 v20, v20, v18, v22
	v_alignbit_b32 v16, v18, v16, v22
	v_lshrrev_b32_e32 v18, 29, v1
	v_alignbit_b32 v21, v20, v16, 9
	s_delay_alu instid0(VALU_DEP_2) | instskip(SKIP_1) | instid1(VALU_DEP_3)
	v_lshlrev_b32_e32 v18, 31, v18
	v_alignbit_b32 v20, v17, v20, 9
	v_clz_i32_u32_e32 v22, v21
	s_delay_alu instid0(VALU_DEP_2) | instskip(SKIP_1) | instid1(VALU_DEP_3)
	v_or_b32_e32 v20, v20, v18
	v_or_b32_e32 v18, 0x33800000, v18
	v_min_u32_e32 v22, 32, v22
	s_delay_alu instid0(VALU_DEP_3) | instskip(NEXT) | instid1(VALU_DEP_2)
	v_xor_b32_e32 v20, 1.0, v20
	v_sub_nc_u32_e32 v23, 31, v22
	v_add_lshl_u32 v17, v22, v17, 23
	s_delay_alu instid0(VALU_DEP_3) | instskip(NEXT) | instid1(VALU_DEP_3)
	v_mul_f32_e32 v22, 0x3fc90fda, v20
	v_alignbit_b32 v16, v21, v16, v23
	s_delay_alu instid0(VALU_DEP_3) | instskip(NEXT) | instid1(VALU_DEP_3)
	v_sub_nc_u32_e32 v17, v18, v17
	v_fma_f32 v18, 0x3fc90fda, v20, -v22
	s_delay_alu instid0(VALU_DEP_3) | instskip(NEXT) | instid1(VALU_DEP_2)
	v_lshrrev_b32_e32 v16, 9, v16
	v_fmac_f32_e32 v18, 0x33a22168, v20
	s_delay_alu instid0(VALU_DEP_2) | instskip(NEXT) | instid1(VALU_DEP_1)
	v_or_b32_e32 v16, v17, v16
	v_fmac_f32_e32 v18, 0x3fc90fda, v16
	v_lshrrev_b32_e32 v16, 30, v1
	s_delay_alu instid0(VALU_DEP_1)
	v_dual_add_f32 v1, v22, v18 :: v_dual_add_nc_u32 v16, v19, v16
.LBB225_55:                             ;   in Loop: Header=BB225_41 Depth=1
	s_and_not1_saveexec_b32 s0, s9
	s_cbranch_execz .LBB225_40
; %bb.56:                               ;   in Loop: Header=BB225_41 Depth=1
	v_mul_f32_e64 v1, 0x3f22f983, |v8|
	s_delay_alu instid0(VALU_DEP_1) | instskip(NEXT) | instid1(VALU_DEP_1)
	v_rndne_f32_e32 v16, v1
	v_fma_f32 v1, 0xbfc90fda, v16, |v8|
	s_delay_alu instid0(VALU_DEP_1) | instskip(NEXT) | instid1(VALU_DEP_1)
	v_fmac_f32_e32 v1, 0xb3a22168, v16
	v_fmac_f32_e32 v1, 0xa7c234c4, v16
	v_cvt_i32_f32_e32 v16, v16
	s_branch .LBB225_40
.LBB225_57:
	s_nop 0
	s_sendmsg sendmsg(MSG_DEALLOC_VGPRS)
	s_endpgm
	.section	.rodata,"a",@progbits
	.p2align	6, 0x0
	.amdhsa_kernel _ZN2at6native12_GLOBAL__N_125multi_tensor_apply_kernelINS1_18TensorListMetadataILi1EEENS1_14UnaryOpFunctorIN3c108BFloat16ELi1ELi1ELi0EEEJNS0_3CosIfEEEEEvT_T0_DpT1_
		.amdhsa_group_segment_fixed_size 0
		.amdhsa_private_segment_fixed_size 0
		.amdhsa_kernarg_size 3632
		.amdhsa_user_sgpr_count 15
		.amdhsa_user_sgpr_dispatch_ptr 0
		.amdhsa_user_sgpr_queue_ptr 0
		.amdhsa_user_sgpr_kernarg_segment_ptr 1
		.amdhsa_user_sgpr_dispatch_id 0
		.amdhsa_user_sgpr_private_segment_size 0
		.amdhsa_wavefront_size32 1
		.amdhsa_uses_dynamic_stack 0
		.amdhsa_enable_private_segment 0
		.amdhsa_system_sgpr_workgroup_id_x 1
		.amdhsa_system_sgpr_workgroup_id_y 0
		.amdhsa_system_sgpr_workgroup_id_z 0
		.amdhsa_system_sgpr_workgroup_info 0
		.amdhsa_system_vgpr_workitem_id 0
		.amdhsa_next_free_vgpr 33
		.amdhsa_next_free_sgpr 26
		.amdhsa_reserve_vcc 1
		.amdhsa_float_round_mode_32 0
		.amdhsa_float_round_mode_16_64 0
		.amdhsa_float_denorm_mode_32 3
		.amdhsa_float_denorm_mode_16_64 3
		.amdhsa_dx10_clamp 1
		.amdhsa_ieee_mode 1
		.amdhsa_fp16_overflow 0
		.amdhsa_workgroup_processor_mode 1
		.amdhsa_memory_ordered 1
		.amdhsa_forward_progress 0
		.amdhsa_shared_vgpr_count 0
		.amdhsa_exception_fp_ieee_invalid_op 0
		.amdhsa_exception_fp_denorm_src 0
		.amdhsa_exception_fp_ieee_div_zero 0
		.amdhsa_exception_fp_ieee_overflow 0
		.amdhsa_exception_fp_ieee_underflow 0
		.amdhsa_exception_fp_ieee_inexact 0
		.amdhsa_exception_int_div_zero 0
	.end_amdhsa_kernel
	.section	.text._ZN2at6native12_GLOBAL__N_125multi_tensor_apply_kernelINS1_18TensorListMetadataILi1EEENS1_14UnaryOpFunctorIN3c108BFloat16ELi1ELi1ELi0EEEJNS0_3CosIfEEEEEvT_T0_DpT1_,"axG",@progbits,_ZN2at6native12_GLOBAL__N_125multi_tensor_apply_kernelINS1_18TensorListMetadataILi1EEENS1_14UnaryOpFunctorIN3c108BFloat16ELi1ELi1ELi0EEEJNS0_3CosIfEEEEEvT_T0_DpT1_,comdat
.Lfunc_end225:
	.size	_ZN2at6native12_GLOBAL__N_125multi_tensor_apply_kernelINS1_18TensorListMetadataILi1EEENS1_14UnaryOpFunctorIN3c108BFloat16ELi1ELi1ELi0EEEJNS0_3CosIfEEEEEvT_T0_DpT1_, .Lfunc_end225-_ZN2at6native12_GLOBAL__N_125multi_tensor_apply_kernelINS1_18TensorListMetadataILi1EEENS1_14UnaryOpFunctorIN3c108BFloat16ELi1ELi1ELi0EEEJNS0_3CosIfEEEEEvT_T0_DpT1_
                                        ; -- End function
	.section	.AMDGPU.csdata,"",@progbits
; Kernel info:
; codeLenInByte = 9144
; NumSgprs: 28
; NumVgprs: 33
; ScratchSize: 0
; MemoryBound: 0
; FloatMode: 240
; IeeeMode: 1
; LDSByteSize: 0 bytes/workgroup (compile time only)
; SGPRBlocks: 3
; VGPRBlocks: 4
; NumSGPRsForWavesPerEU: 28
; NumVGPRsForWavesPerEU: 33
; Occupancy: 16
; WaveLimiterHint : 0
; COMPUTE_PGM_RSRC2:SCRATCH_EN: 0
; COMPUTE_PGM_RSRC2:USER_SGPR: 15
; COMPUTE_PGM_RSRC2:TRAP_HANDLER: 0
; COMPUTE_PGM_RSRC2:TGID_X_EN: 1
; COMPUTE_PGM_RSRC2:TGID_Y_EN: 0
; COMPUTE_PGM_RSRC2:TGID_Z_EN: 0
; COMPUTE_PGM_RSRC2:TIDIG_COMP_CNT: 0
	.section	.text._ZN2at6native12_GLOBAL__N_125multi_tensor_apply_kernelINS1_18TensorListMetadataILi2EEENS1_14UnaryOpFunctorIdLi2ELi1ELi1EEEJNS0_4SqrtIdEEEEEvT_T0_DpT1_,"axG",@progbits,_ZN2at6native12_GLOBAL__N_125multi_tensor_apply_kernelINS1_18TensorListMetadataILi2EEENS1_14UnaryOpFunctorIdLi2ELi1ELi1EEEJNS0_4SqrtIdEEEEEvT_T0_DpT1_,comdat
	.globl	_ZN2at6native12_GLOBAL__N_125multi_tensor_apply_kernelINS1_18TensorListMetadataILi2EEENS1_14UnaryOpFunctorIdLi2ELi1ELi1EEEJNS0_4SqrtIdEEEEEvT_T0_DpT1_ ; -- Begin function _ZN2at6native12_GLOBAL__N_125multi_tensor_apply_kernelINS1_18TensorListMetadataILi2EEENS1_14UnaryOpFunctorIdLi2ELi1ELi1EEEJNS0_4SqrtIdEEEEEvT_T0_DpT1_
	.p2align	8
	.type	_ZN2at6native12_GLOBAL__N_125multi_tensor_apply_kernelINS1_18TensorListMetadataILi2EEENS1_14UnaryOpFunctorIdLi2ELi1ELi1EEEJNS0_4SqrtIdEEEEEvT_T0_DpT1_,@function
_ZN2at6native12_GLOBAL__N_125multi_tensor_apply_kernelINS1_18TensorListMetadataILi2EEENS1_14UnaryOpFunctorIdLi2ELi1ELi1EEEJNS0_4SqrtIdEEEEEvT_T0_DpT1_: ; @_ZN2at6native12_GLOBAL__N_125multi_tensor_apply_kernelINS1_18TensorListMetadataILi2EEENS1_14UnaryOpFunctorIdLi2ELi1ELi1EEEJNS0_4SqrtIdEEEEEvT_T0_DpT1_
; %bb.0:
	v_mov_b32_e32 v1, s15
	s_add_u32 s2, s0, s15
	s_mul_hi_u32 s3, s15, 3
	s_mul_i32 s15, s15, 3
	s_addc_u32 s4, s1, 0
	global_load_u8 v1, v1, s[0:1] offset:1536
	s_add_u32 s2, s2, s15
	s_addc_u32 s3, s4, s3
	s_mov_b32 s7, 0
	s_load_b32 s2, s[2:3], 0x740
	s_mov_b32 s11, s7
	s_mov_b32 s21, s7
	s_waitcnt vmcnt(0)
	v_readfirstlane_b32 s5, v1
	s_delay_alu instid0(VALU_DEP_1)
	s_lshl_b32 s3, s5, 3
	s_clause 0x2
	s_load_b64 s[12:13], s[0:1], s3 offset:0x0
	s_load_b64 s[14:15], s[0:1], s3 offset:0x200
	;; [unrolled: 1-line block ×3, first 2 shown]
	s_waitcnt lgkmcnt(0)
	s_ashr_i32 s3, s2, 31
	s_delay_alu instid0(SALU_CYCLE_1) | instskip(NEXT) | instid1(SALU_CYCLE_1)
	s_lshl_b64 s[8:9], s[2:3], 19
	s_add_u32 s16, s12, s8
	s_addc_u32 s17, s13, s9
	s_and_b32 s6, s16, 31
	s_add_u32 s18, s14, s8
	s_addc_u32 s19, s15, s9
	s_and_b32 s10, s4, 3
	s_and_b32 s20, s18, 31
	s_or_b64 s[6:7], s[6:7], s[10:11]
	s_lshl_b64 s[2:3], s[2:3], 16
	s_or_b64 s[6:7], s[20:21], s[6:7]
	s_sub_u32 s10, s4, s2
	s_subb_u32 s11, s5, s3
	s_cmp_eq_u64 s[6:7], 0
	s_mov_b32 s2, -1
	s_cbranch_scc0 .LBB226_5
; %bb.1:
	v_dual_mov_b32 v2, 0 :: v_dual_lshlrev_b32 v1, 2, v0
	s_mov_b32 s20, exec_lo
	s_delay_alu instid0(VALU_DEP_1)
	v_cmpx_gt_i64_e64 s[10:11], v[1:2]
	s_cbranch_execz .LBB226_4
; %bb.2:
	s_load_b32 s2, s[0:1], 0xc5c
	v_lshlrev_b32_e32 v3, 5, v0
	s_mov_b32 s21, 0
	s_waitcnt lgkmcnt(0)
	s_and_b32 s2, s2, 0xffff
	s_delay_alu instid0(SALU_CYCLE_1)
	v_add_lshl_u32 v1, v0, s2, 2
	s_lshl_b32 s22, s2, 2
	s_lshl_b32 s23, s2, 5
.LBB226_3:                              ; =>This Inner Loop Header: Depth=1
	v_add_co_u32 v8, s2, s16, v3
	s_delay_alu instid0(VALU_DEP_1)
	v_add_co_ci_u32_e64 v9, null, s17, 0, s2
	v_cmp_le_i64_e64 s5, s[10:11], v[1:2]
	v_cmp_lt_u64_e64 s6, 0xffff, v[1:2]
	s_clause 0x1
	global_load_b128 v[4:7], v[8:9], off
	global_load_b128 v[8:11], v[8:9], off offset:16
	s_or_b32 s5, s5, s6
	s_add_u32 s16, s16, s23
	s_addc_u32 s17, s17, 0
	s_waitcnt vmcnt(1)
	v_cmp_gt_f64_e32 vcc_lo, 0x10000000, v[4:5]
	v_cmp_gt_f64_e64 s2, 0x10000000, v[6:7]
	s_waitcnt vmcnt(0)
	v_cmp_gt_f64_e64 s3, 0x10000000, v[8:9]
	v_cmp_gt_f64_e64 s4, 0x10000000, v[10:11]
	v_cndmask_b32_e64 v12, 0, 1, vcc_lo
	s_delay_alu instid0(VALU_DEP_4) | instskip(NEXT) | instid1(VALU_DEP_4)
	v_cndmask_b32_e64 v13, 0, 1, s2
	v_cndmask_b32_e64 v14, 0, 1, s3
	s_delay_alu instid0(VALU_DEP_4) | instskip(NEXT) | instid1(VALU_DEP_4)
	v_cndmask_b32_e64 v15, 0, 1, s4
	v_lshlrev_b32_e32 v12, 8, v12
	s_delay_alu instid0(VALU_DEP_3) | instskip(NEXT) | instid1(VALU_DEP_3)
	v_lshlrev_b32_e32 v14, 8, v14
	v_lshlrev_b32_e32 v15, 8, v15
	s_delay_alu instid0(VALU_DEP_3) | instskip(SKIP_1) | instid1(VALU_DEP_4)
	v_ldexp_f64 v[4:5], v[4:5], v12
	v_lshlrev_b32_e32 v13, 8, v13
	v_ldexp_f64 v[8:9], v[8:9], v14
	s_delay_alu instid0(VALU_DEP_4) | instskip(NEXT) | instid1(VALU_DEP_3)
	v_ldexp_f64 v[10:11], v[10:11], v15
	v_ldexp_f64 v[6:7], v[6:7], v13
	v_rsq_f64_e32 v[12:13], v[4:5]
	s_delay_alu instid0(VALU_DEP_3) | instskip(NEXT) | instid1(VALU_DEP_2)
	v_rsq_f64_e32 v[16:17], v[8:9]
	v_rsq_f64_e32 v[18:19], v[10:11]
	s_delay_alu instid0(VALU_DEP_1) | instskip(SKIP_2) | instid1(TRANS32_DEP_3)
	v_rsq_f64_e32 v[14:15], v[6:7]
	v_mul_f64 v[20:21], v[4:5], v[12:13]
	v_mul_f64 v[12:13], v[12:13], 0.5
	v_mul_f64 v[24:25], v[8:9], v[16:17]
	v_mul_f64 v[16:17], v[16:17], 0.5
	s_waitcnt_depctr 0xfff
	v_mul_f64 v[26:27], v[10:11], v[18:19]
	v_mul_f64 v[18:19], v[18:19], 0.5
	v_mul_f64 v[22:23], v[6:7], v[14:15]
	v_mul_f64 v[14:15], v[14:15], 0.5
	v_fma_f64 v[28:29], -v[12:13], v[20:21], 0.5
	v_fma_f64 v[32:33], -v[16:17], v[24:25], 0.5
	;; [unrolled: 1-line block ×3, first 2 shown]
	s_delay_alu instid0(VALU_DEP_4) | instskip(NEXT) | instid1(VALU_DEP_4)
	v_fma_f64 v[30:31], -v[14:15], v[22:23], 0.5
	v_fma_f64 v[20:21], v[20:21], v[28:29], v[20:21]
	v_fma_f64 v[12:13], v[12:13], v[28:29], v[12:13]
	v_fma_f64 v[24:25], v[24:25], v[32:33], v[24:25]
	v_fma_f64 v[16:17], v[16:17], v[32:33], v[16:17]
	v_fma_f64 v[26:27], v[26:27], v[34:35], v[26:27]
	v_fma_f64 v[18:19], v[18:19], v[34:35], v[18:19]
	v_fma_f64 v[22:23], v[22:23], v[30:31], v[22:23]
	v_fma_f64 v[14:15], v[14:15], v[30:31], v[14:15]
	v_fma_f64 v[28:29], -v[20:21], v[20:21], v[4:5]
	v_fma_f64 v[32:33], -v[24:25], v[24:25], v[8:9]
	;; [unrolled: 1-line block ×4, first 2 shown]
	s_delay_alu instid0(VALU_DEP_4) | instskip(NEXT) | instid1(VALU_DEP_4)
	v_fma_f64 v[20:21], v[28:29], v[12:13], v[20:21]
	v_fma_f64 v[24:25], v[32:33], v[16:17], v[24:25]
	s_delay_alu instid0(VALU_DEP_4) | instskip(NEXT) | instid1(VALU_DEP_4)
	v_fma_f64 v[26:27], v[34:35], v[18:19], v[26:27]
	v_fma_f64 v[22:23], v[30:31], v[14:15], v[22:23]
	s_delay_alu instid0(VALU_DEP_4) | instskip(NEXT) | instid1(VALU_DEP_4)
	v_fma_f64 v[28:29], -v[20:21], v[20:21], v[4:5]
	v_fma_f64 v[32:33], -v[24:25], v[24:25], v[8:9]
	s_delay_alu instid0(VALU_DEP_4) | instskip(NEXT) | instid1(VALU_DEP_4)
	v_fma_f64 v[34:35], -v[26:27], v[26:27], v[10:11]
	v_fma_f64 v[30:31], -v[22:23], v[22:23], v[6:7]
	s_delay_alu instid0(VALU_DEP_4)
	v_fma_f64 v[12:13], v[28:29], v[12:13], v[20:21]
	v_cndmask_b32_e64 v20, 0, 0xffffff80, vcc_lo
	v_fma_f64 v[16:17], v[32:33], v[16:17], v[24:25]
	v_cndmask_b32_e64 v21, 0, 0xffffff80, s2
	v_fma_f64 v[18:19], v[34:35], v[18:19], v[26:27]
	v_cmp_class_f64_e64 vcc_lo, v[4:5], 0x260
	v_fma_f64 v[14:15], v[30:31], v[14:15], v[22:23]
	v_cndmask_b32_e64 v22, 0, 0xffffff80, s3
	v_cndmask_b32_e64 v23, 0, 0xffffff80, s4
	v_cmp_class_f64_e64 s2, v[6:7], 0x260
	v_cmp_class_f64_e64 s3, v[8:9], 0x260
	v_cmp_class_f64_e64 s4, v[10:11], 0x260
	v_ldexp_f64 v[12:13], v[12:13], v20
	v_add_co_u32 v20, s7, s18, v3
	v_ldexp_f64 v[16:17], v[16:17], v22
	v_ldexp_f64 v[18:19], v[18:19], v23
	s_add_u32 s18, s18, s23
	v_ldexp_f64 v[14:15], v[14:15], v21
	v_add_co_ci_u32_e64 v21, null, s19, 0, s7
	v_add_co_u32 v1, s7, v1, s22
	s_delay_alu instid0(VALU_DEP_1)
	v_add_co_ci_u32_e64 v2, s7, 0, v2, s7
	s_addc_u32 s19, s19, 0
	v_dual_cndmask_b32 v4, v12, v4 :: v_dual_cndmask_b32 v5, v13, v5
	v_cndmask_b32_e64 v9, v17, v9, s3
	v_cndmask_b32_e64 v8, v16, v8, s3
	;; [unrolled: 1-line block ×6, first 2 shown]
	s_and_b32 s2, exec_lo, s5
	s_clause 0x1
	global_store_b128 v[20:21], v[4:7], off
	global_store_b128 v[20:21], v[8:11], off offset:16
	s_or_b32 s21, s2, s21
	s_delay_alu instid0(SALU_CYCLE_1)
	s_and_not1_b32 exec_lo, exec_lo, s21
	s_cbranch_execnz .LBB226_3
.LBB226_4:
	s_or_b32 exec_lo, exec_lo, s20
	s_mov_b32 s2, 0
.LBB226_5:
	s_delay_alu instid0(SALU_CYCLE_1)
	s_and_not1_b32 vcc_lo, exec_lo, s2
	s_cbranch_vccnz .LBB226_25
; %bb.6:
	v_cmp_lt_i64_e64 s2, s[10:11], 1
	s_delay_alu instid0(VALU_DEP_1)
	s_and_b32 vcc_lo, exec_lo, s2
	s_cbranch_vccnz .LBB226_25
; %bb.7:
	s_load_b32 s0, s[0:1], 0xc5c
	v_dual_mov_b32 v2, 0 :: v_dual_lshlrev_b32 v1, 3, v0
	v_cmp_gt_u64_e64 s1, 0x10000, s[10:11]
	s_mov_b64 s[6:7], 0
	s_delay_alu instid0(VALU_DEP_2) | instskip(NEXT) | instid1(VALU_DEP_1)
	v_add_co_u32 v9, s2, s12, v1
	v_add_co_ci_u32_e64 v10, null, s13, 0, s2
	v_add_co_u32 v11, s2, s14, v1
	s_delay_alu instid0(VALU_DEP_1)
	v_add_co_ci_u32_e64 v12, null, s15, 0, s2
	s_waitcnt lgkmcnt(0)
	s_and_b32 s0, s0, 0xffff
	s_and_b32 s1, s1, exec_lo
	v_mad_u64_u32 v[3:4], null, s0, 24, v[1:2]
	s_cselect_b32 s5, s11, 0
	s_cselect_b32 s4, s10, 0x10000
	s_lshl_b32 s3, s0, 4
	s_mul_i32 s2, s0, 3
	v_add_co_u32 v1, s3, s3, v1
	s_delay_alu instid0(VALU_DEP_2) | instskip(NEXT) | instid1(VALU_DEP_3)
	v_add_co_u32 v13, vcc_lo, s12, v3
	v_add_co_ci_u32_e32 v14, vcc_lo, s13, v4, vcc_lo
	v_add_co_u32 v17, s2, s2, v0
	v_add_co_u32 v15, vcc_lo, s14, v3
	v_add_co_ci_u32_e64 v2, null, 0, 0, s3
	v_add_co_ci_u32_e64 v18, null, 0, 0, s2
	v_add_co_u32 v21, s2, v0, s0
	v_add_co_ci_u32_e32 v16, vcc_lo, s15, v4, vcc_lo
	v_add_co_u32 v19, vcc_lo, s12, v1
	v_add_co_ci_u32_e32 v20, vcc_lo, s13, v2, vcc_lo
	v_add_co_u32 v22, vcc_lo, s14, v1
	v_lshlrev_b32_e32 v1, 3, v21
	s_lshl_b32 s1, s0, 1
	v_add_co_ci_u32_e32 v23, vcc_lo, s15, v2, vcc_lo
	v_add_co_u32 v25, s1, s1, v0
	s_delay_alu instid0(VALU_DEP_1) | instskip(SKIP_1) | instid1(VALU_DEP_1)
	v_add_co_ci_u32_e64 v26, null, 0, 0, s1
	v_add_co_u32 v27, s1, s12, v1
	v_add_co_ci_u32_e64 v28, null, s13, 0, s1
	v_add_co_u32 v29, s1, s14, v1
	v_add_co_ci_u32_e64 v24, null, 0, 0, s2
	v_add_co_ci_u32_e64 v30, null, s15, 0, s1
	s_lshl_b32 s12, s0, 2
	s_lshl_b32 s13, s0, 5
	s_branch .LBB226_9
.LBB226_8:                              ;   in Loop: Header=BB226_9 Depth=1
	s_or_b32 exec_lo, exec_lo, s0
	v_add_co_u32 v9, vcc_lo, v9, s13
	v_add_co_ci_u32_e32 v10, vcc_lo, 0, v10, vcc_lo
	v_add_co_u32 v11, vcc_lo, v11, s13
	v_add_co_ci_u32_e32 v12, vcc_lo, 0, v12, vcc_lo
	;; [unrolled: 2-line block ×5, first 2 shown]
	s_add_u32 s6, s6, s12
	v_add_co_u32 v22, vcc_lo, v22, s13
	s_addc_u32 s7, s7, 0
	v_add_co_ci_u32_e32 v23, vcc_lo, 0, v23, vcc_lo
	v_cmp_ge_i64_e64 s0, s[6:7], s[10:11]
	v_cmp_lt_u64_e64 s1, 0xffff, s[6:7]
	v_add_co_u32 v27, vcc_lo, v27, s13
	v_add_co_ci_u32_e32 v28, vcc_lo, 0, v28, vcc_lo
	v_add_co_u32 v29, vcc_lo, v29, s13
	v_add_co_ci_u32_e32 v30, vcc_lo, 0, v30, vcc_lo
	s_or_b32 s0, s0, s1
	s_delay_alu instid0(SALU_CYCLE_1)
	s_and_b32 vcc_lo, exec_lo, s0
	s_cbranch_vccnz .LBB226_25
.LBB226_9:                              ; =>This Inner Loop Header: Depth=1
	s_waitcnt vmcnt(0)
	v_add_co_u32 v1, s0, v0, s6
	s_delay_alu instid0(VALU_DEP_1) | instskip(SKIP_2) | instid1(VALU_DEP_3)
	v_add_co_ci_u32_e64 v2, null, 0, s7, s0
	v_mov_b32_e32 v3, 0
	v_mov_b32_e32 v4, 0
	v_cmp_gt_u64_e64 s2, s[4:5], v[1:2]
	s_delay_alu instid0(VALU_DEP_2) | instskip(NEXT) | instid1(VALU_DEP_2)
	v_dual_mov_b32 v8, v4 :: v_dual_mov_b32 v7, v3
	s_and_saveexec_b32 s0, s2
	s_cbranch_execz .LBB226_11
; %bb.10:                               ;   in Loop: Header=BB226_9 Depth=1
	v_add_co_u32 v1, vcc_lo, v9, s8
	v_add_co_ci_u32_e32 v2, vcc_lo, s9, v10, vcc_lo
	global_load_b64 v[7:8], v[1:2], off
.LBB226_11:                             ;   in Loop: Header=BB226_9 Depth=1
	s_or_b32 exec_lo, exec_lo, s0
	v_add_co_u32 v1, vcc_lo, v21, s6
	v_add_co_ci_u32_e32 v2, vcc_lo, s7, v24, vcc_lo
	s_delay_alu instid0(VALU_DEP_1) | instskip(NEXT) | instid1(VALU_DEP_1)
	v_cmp_gt_u64_e64 s1, s[4:5], v[1:2]
	s_and_saveexec_b32 s0, s1
	s_cbranch_execz .LBB226_13
; %bb.12:                               ;   in Loop: Header=BB226_9 Depth=1
	v_add_co_u32 v1, vcc_lo, v27, s8
	v_add_co_ci_u32_e32 v2, vcc_lo, s9, v28, vcc_lo
	global_load_b64 v[3:4], v[1:2], off
.LBB226_13:                             ;   in Loop: Header=BB226_9 Depth=1
	s_or_b32 exec_lo, exec_lo, s0
	v_add_co_u32 v5, vcc_lo, v25, s6
	v_add_co_ci_u32_e32 v6, vcc_lo, s7, v26, vcc_lo
	v_mov_b32_e32 v1, 0
	v_mov_b32_e32 v2, 0
	s_delay_alu instid0(VALU_DEP_3) | instskip(NEXT) | instid1(VALU_DEP_2)
	v_cmp_gt_u64_e64 s0, s[4:5], v[5:6]
	v_dual_mov_b32 v6, v2 :: v_dual_mov_b32 v5, v1
	s_delay_alu instid0(VALU_DEP_2)
	s_and_saveexec_b32 s3, s0
	s_cbranch_execz .LBB226_15
; %bb.14:                               ;   in Loop: Header=BB226_9 Depth=1
	v_add_co_u32 v5, vcc_lo, v19, s8
	v_add_co_ci_u32_e32 v6, vcc_lo, s9, v20, vcc_lo
	global_load_b64 v[5:6], v[5:6], off
.LBB226_15:                             ;   in Loop: Header=BB226_9 Depth=1
	s_or_b32 exec_lo, exec_lo, s3
	v_add_co_u32 v31, vcc_lo, v17, s6
	v_add_co_ci_u32_e32 v32, vcc_lo, s7, v18, vcc_lo
	s_delay_alu instid0(VALU_DEP_1)
	v_cmp_gt_u64_e32 vcc_lo, s[4:5], v[31:32]
	s_and_saveexec_b32 s14, vcc_lo
	s_cbranch_execnz .LBB226_20
; %bb.16:                               ;   in Loop: Header=BB226_9 Depth=1
	s_or_b32 exec_lo, exec_lo, s14
	s_and_saveexec_b32 s14, s2
	s_cbranch_execnz .LBB226_21
.LBB226_17:                             ;   in Loop: Header=BB226_9 Depth=1
	s_or_b32 exec_lo, exec_lo, s14
	s_and_saveexec_b32 s2, s1
	s_cbranch_execnz .LBB226_22
.LBB226_18:                             ;   in Loop: Header=BB226_9 Depth=1
	s_or_b32 exec_lo, exec_lo, s2
	s_and_saveexec_b32 s1, s0
	s_cbranch_execnz .LBB226_23
.LBB226_19:                             ;   in Loop: Header=BB226_9 Depth=1
	s_or_b32 exec_lo, exec_lo, s1
	s_and_saveexec_b32 s0, vcc_lo
	s_cbranch_execz .LBB226_8
	s_branch .LBB226_24
.LBB226_20:                             ;   in Loop: Header=BB226_9 Depth=1
	v_add_co_u32 v1, s3, v13, s8
	s_delay_alu instid0(VALU_DEP_1)
	v_add_co_ci_u32_e64 v2, s3, s9, v14, s3
	global_load_b64 v[1:2], v[1:2], off
	s_or_b32 exec_lo, exec_lo, s14
	s_and_saveexec_b32 s14, s2
	s_cbranch_execz .LBB226_17
.LBB226_21:                             ;   in Loop: Header=BB226_9 Depth=1
	s_waitcnt vmcnt(0)
	v_cmp_gt_f64_e64 s2, 0x10000000, v[7:8]
	s_delay_alu instid0(VALU_DEP_1) | instskip(NEXT) | instid1(VALU_DEP_1)
	v_cndmask_b32_e64 v31, 0, 1, s2
	v_lshlrev_b32_e32 v31, 8, v31
	s_delay_alu instid0(VALU_DEP_1) | instskip(NEXT) | instid1(VALU_DEP_1)
	v_ldexp_f64 v[7:8], v[7:8], v31
	v_rsq_f64_e32 v[31:32], v[7:8]
	s_waitcnt_depctr 0xfff
	v_mul_f64 v[33:34], v[7:8], v[31:32]
	v_mul_f64 v[31:32], v[31:32], 0.5
	s_delay_alu instid0(VALU_DEP_1) | instskip(NEXT) | instid1(VALU_DEP_1)
	v_fma_f64 v[35:36], -v[31:32], v[33:34], 0.5
	v_fma_f64 v[33:34], v[33:34], v[35:36], v[33:34]
	v_fma_f64 v[31:32], v[31:32], v[35:36], v[31:32]
	s_delay_alu instid0(VALU_DEP_2) | instskip(NEXT) | instid1(VALU_DEP_1)
	v_fma_f64 v[35:36], -v[33:34], v[33:34], v[7:8]
	v_fma_f64 v[33:34], v[35:36], v[31:32], v[33:34]
	s_delay_alu instid0(VALU_DEP_1) | instskip(NEXT) | instid1(VALU_DEP_1)
	v_fma_f64 v[35:36], -v[33:34], v[33:34], v[7:8]
	v_fma_f64 v[31:32], v[35:36], v[31:32], v[33:34]
	v_cndmask_b32_e64 v33, 0, 0xffffff80, s2
	v_cmp_class_f64_e64 s2, v[7:8], 0x260
	s_delay_alu instid0(VALU_DEP_2) | instskip(SKIP_1) | instid1(VALU_DEP_1)
	v_ldexp_f64 v[31:32], v[31:32], v33
	v_add_co_u32 v33, s3, v11, s8
	v_add_co_ci_u32_e64 v34, s3, s9, v12, s3
	s_delay_alu instid0(VALU_DEP_3) | instskip(NEXT) | instid1(VALU_DEP_4)
	v_cndmask_b32_e64 v8, v32, v8, s2
	v_cndmask_b32_e64 v7, v31, v7, s2
	global_store_b64 v[33:34], v[7:8], off
	s_or_b32 exec_lo, exec_lo, s14
	s_and_saveexec_b32 s2, s1
	s_cbranch_execz .LBB226_18
.LBB226_22:                             ;   in Loop: Header=BB226_9 Depth=1
	s_waitcnt vmcnt(0)
	v_cmp_gt_f64_e64 s1, 0x10000000, v[3:4]
	s_delay_alu instid0(VALU_DEP_1) | instskip(NEXT) | instid1(VALU_DEP_1)
	v_cndmask_b32_e64 v7, 0, 1, s1
	v_lshlrev_b32_e32 v7, 8, v7
	s_delay_alu instid0(VALU_DEP_1) | instskip(NEXT) | instid1(VALU_DEP_1)
	v_ldexp_f64 v[3:4], v[3:4], v7
	v_rsq_f64_e32 v[7:8], v[3:4]
	s_waitcnt_depctr 0xfff
	v_mul_f64 v[31:32], v[3:4], v[7:8]
	v_mul_f64 v[7:8], v[7:8], 0.5
	s_delay_alu instid0(VALU_DEP_1) | instskip(NEXT) | instid1(VALU_DEP_1)
	v_fma_f64 v[33:34], -v[7:8], v[31:32], 0.5
	v_fma_f64 v[31:32], v[31:32], v[33:34], v[31:32]
	v_fma_f64 v[7:8], v[7:8], v[33:34], v[7:8]
	s_delay_alu instid0(VALU_DEP_2) | instskip(NEXT) | instid1(VALU_DEP_1)
	v_fma_f64 v[33:34], -v[31:32], v[31:32], v[3:4]
	v_fma_f64 v[31:32], v[33:34], v[7:8], v[31:32]
	s_delay_alu instid0(VALU_DEP_1) | instskip(NEXT) | instid1(VALU_DEP_1)
	v_fma_f64 v[33:34], -v[31:32], v[31:32], v[3:4]
	v_fma_f64 v[7:8], v[33:34], v[7:8], v[31:32]
	v_cndmask_b32_e64 v31, 0, 0xffffff80, s1
	v_cmp_class_f64_e64 s1, v[3:4], 0x260
	s_delay_alu instid0(VALU_DEP_2) | instskip(NEXT) | instid1(VALU_DEP_1)
	v_ldexp_f64 v[7:8], v[7:8], v31
	v_cndmask_b32_e64 v4, v8, v4, s1
	s_delay_alu instid0(VALU_DEP_2) | instskip(SKIP_1) | instid1(VALU_DEP_1)
	v_cndmask_b32_e64 v3, v7, v3, s1
	v_add_co_u32 v7, s1, v29, s8
	v_add_co_ci_u32_e64 v8, s1, s9, v30, s1
	global_store_b64 v[7:8], v[3:4], off
	s_or_b32 exec_lo, exec_lo, s2
	s_and_saveexec_b32 s1, s0
	s_cbranch_execz .LBB226_19
.LBB226_23:                             ;   in Loop: Header=BB226_9 Depth=1
	s_waitcnt vmcnt(0)
	v_cmp_gt_f64_e64 s0, 0x10000000, v[5:6]
	s_delay_alu instid0(VALU_DEP_1) | instskip(NEXT) | instid1(VALU_DEP_1)
	v_cndmask_b32_e64 v3, 0, 1, s0
	v_lshlrev_b32_e32 v3, 8, v3
	s_delay_alu instid0(VALU_DEP_1) | instskip(NEXT) | instid1(VALU_DEP_1)
	v_ldexp_f64 v[3:4], v[5:6], v3
	v_rsq_f64_e32 v[5:6], v[3:4]
	s_waitcnt_depctr 0xfff
	v_mul_f64 v[7:8], v[3:4], v[5:6]
	v_mul_f64 v[5:6], v[5:6], 0.5
	s_delay_alu instid0(VALU_DEP_1) | instskip(NEXT) | instid1(VALU_DEP_1)
	v_fma_f64 v[31:32], -v[5:6], v[7:8], 0.5
	v_fma_f64 v[7:8], v[7:8], v[31:32], v[7:8]
	v_fma_f64 v[5:6], v[5:6], v[31:32], v[5:6]
	s_delay_alu instid0(VALU_DEP_2) | instskip(NEXT) | instid1(VALU_DEP_1)
	v_fma_f64 v[31:32], -v[7:8], v[7:8], v[3:4]
	v_fma_f64 v[7:8], v[31:32], v[5:6], v[7:8]
	s_delay_alu instid0(VALU_DEP_1) | instskip(NEXT) | instid1(VALU_DEP_1)
	v_fma_f64 v[31:32], -v[7:8], v[7:8], v[3:4]
	v_fma_f64 v[5:6], v[31:32], v[5:6], v[7:8]
	v_cndmask_b32_e64 v7, 0, 0xffffff80, s0
	v_cmp_class_f64_e64 s0, v[3:4], 0x260
	s_delay_alu instid0(VALU_DEP_2) | instskip(NEXT) | instid1(VALU_DEP_1)
	v_ldexp_f64 v[5:6], v[5:6], v7
	v_cndmask_b32_e64 v4, v6, v4, s0
	s_delay_alu instid0(VALU_DEP_2) | instskip(SKIP_1) | instid1(VALU_DEP_1)
	v_cndmask_b32_e64 v3, v5, v3, s0
	v_add_co_u32 v5, s0, v22, s8
	v_add_co_ci_u32_e64 v6, s0, s9, v23, s0
	global_store_b64 v[5:6], v[3:4], off
	s_or_b32 exec_lo, exec_lo, s1
	s_and_saveexec_b32 s0, vcc_lo
	s_cbranch_execz .LBB226_8
.LBB226_24:                             ;   in Loop: Header=BB226_9 Depth=1
	s_waitcnt vmcnt(0)
	v_cmp_gt_f64_e32 vcc_lo, 0x10000000, v[1:2]
	v_cndmask_b32_e64 v3, 0, 1, vcc_lo
	s_delay_alu instid0(VALU_DEP_1) | instskip(NEXT) | instid1(VALU_DEP_1)
	v_lshlrev_b32_e32 v3, 8, v3
	v_ldexp_f64 v[1:2], v[1:2], v3
	s_delay_alu instid0(VALU_DEP_1) | instskip(SKIP_3) | instid1(VALU_DEP_1)
	v_rsq_f64_e32 v[3:4], v[1:2]
	s_waitcnt_depctr 0xfff
	v_mul_f64 v[5:6], v[1:2], v[3:4]
	v_mul_f64 v[3:4], v[3:4], 0.5
	v_fma_f64 v[7:8], -v[3:4], v[5:6], 0.5
	s_delay_alu instid0(VALU_DEP_1) | instskip(SKIP_1) | instid1(VALU_DEP_2)
	v_fma_f64 v[5:6], v[5:6], v[7:8], v[5:6]
	v_fma_f64 v[3:4], v[3:4], v[7:8], v[3:4]
	v_fma_f64 v[7:8], -v[5:6], v[5:6], v[1:2]
	s_delay_alu instid0(VALU_DEP_1) | instskip(NEXT) | instid1(VALU_DEP_1)
	v_fma_f64 v[5:6], v[7:8], v[3:4], v[5:6]
	v_fma_f64 v[7:8], -v[5:6], v[5:6], v[1:2]
	s_delay_alu instid0(VALU_DEP_1) | instskip(SKIP_2) | instid1(VALU_DEP_2)
	v_fma_f64 v[3:4], v[7:8], v[3:4], v[5:6]
	v_cndmask_b32_e64 v5, 0, 0xffffff80, vcc_lo
	v_cmp_class_f64_e64 vcc_lo, v[1:2], 0x260
	v_ldexp_f64 v[3:4], v[3:4], v5
	s_delay_alu instid0(VALU_DEP_1)
	v_dual_cndmask_b32 v2, v4, v2 :: v_dual_cndmask_b32 v1, v3, v1
	v_add_co_u32 v3, vcc_lo, v15, s8
	v_add_co_ci_u32_e32 v4, vcc_lo, s9, v16, vcc_lo
	global_store_b64 v[3:4], v[1:2], off
	s_branch .LBB226_8
.LBB226_25:
	s_nop 0
	s_sendmsg sendmsg(MSG_DEALLOC_VGPRS)
	s_endpgm
	.section	.rodata,"a",@progbits
	.p2align	6, 0x0
	.amdhsa_kernel _ZN2at6native12_GLOBAL__N_125multi_tensor_apply_kernelINS1_18TensorListMetadataILi2EEENS1_14UnaryOpFunctorIdLi2ELi1ELi1EEEJNS0_4SqrtIdEEEEEvT_T0_DpT1_
		.amdhsa_group_segment_fixed_size 0
		.amdhsa_private_segment_fixed_size 0
		.amdhsa_kernarg_size 3408
		.amdhsa_user_sgpr_count 15
		.amdhsa_user_sgpr_dispatch_ptr 0
		.amdhsa_user_sgpr_queue_ptr 0
		.amdhsa_user_sgpr_kernarg_segment_ptr 1
		.amdhsa_user_sgpr_dispatch_id 0
		.amdhsa_user_sgpr_private_segment_size 0
		.amdhsa_wavefront_size32 1
		.amdhsa_uses_dynamic_stack 0
		.amdhsa_enable_private_segment 0
		.amdhsa_system_sgpr_workgroup_id_x 1
		.amdhsa_system_sgpr_workgroup_id_y 0
		.amdhsa_system_sgpr_workgroup_id_z 0
		.amdhsa_system_sgpr_workgroup_info 0
		.amdhsa_system_vgpr_workitem_id 0
		.amdhsa_next_free_vgpr 37
		.amdhsa_next_free_sgpr 24
		.amdhsa_reserve_vcc 1
		.amdhsa_float_round_mode_32 0
		.amdhsa_float_round_mode_16_64 0
		.amdhsa_float_denorm_mode_32 3
		.amdhsa_float_denorm_mode_16_64 3
		.amdhsa_dx10_clamp 1
		.amdhsa_ieee_mode 1
		.amdhsa_fp16_overflow 0
		.amdhsa_workgroup_processor_mode 1
		.amdhsa_memory_ordered 1
		.amdhsa_forward_progress 0
		.amdhsa_shared_vgpr_count 0
		.amdhsa_exception_fp_ieee_invalid_op 0
		.amdhsa_exception_fp_denorm_src 0
		.amdhsa_exception_fp_ieee_div_zero 0
		.amdhsa_exception_fp_ieee_overflow 0
		.amdhsa_exception_fp_ieee_underflow 0
		.amdhsa_exception_fp_ieee_inexact 0
		.amdhsa_exception_int_div_zero 0
	.end_amdhsa_kernel
	.section	.text._ZN2at6native12_GLOBAL__N_125multi_tensor_apply_kernelINS1_18TensorListMetadataILi2EEENS1_14UnaryOpFunctorIdLi2ELi1ELi1EEEJNS0_4SqrtIdEEEEEvT_T0_DpT1_,"axG",@progbits,_ZN2at6native12_GLOBAL__N_125multi_tensor_apply_kernelINS1_18TensorListMetadataILi2EEENS1_14UnaryOpFunctorIdLi2ELi1ELi1EEEJNS0_4SqrtIdEEEEEvT_T0_DpT1_,comdat
.Lfunc_end226:
	.size	_ZN2at6native12_GLOBAL__N_125multi_tensor_apply_kernelINS1_18TensorListMetadataILi2EEENS1_14UnaryOpFunctorIdLi2ELi1ELi1EEEJNS0_4SqrtIdEEEEEvT_T0_DpT1_, .Lfunc_end226-_ZN2at6native12_GLOBAL__N_125multi_tensor_apply_kernelINS1_18TensorListMetadataILi2EEENS1_14UnaryOpFunctorIdLi2ELi1ELi1EEEJNS0_4SqrtIdEEEEEvT_T0_DpT1_
                                        ; -- End function
	.section	.AMDGPU.csdata,"",@progbits
; Kernel info:
; codeLenInByte = 2788
; NumSgprs: 26
; NumVgprs: 37
; ScratchSize: 0
; MemoryBound: 0
; FloatMode: 240
; IeeeMode: 1
; LDSByteSize: 0 bytes/workgroup (compile time only)
; SGPRBlocks: 3
; VGPRBlocks: 4
; NumSGPRsForWavesPerEU: 26
; NumVGPRsForWavesPerEU: 37
; Occupancy: 16
; WaveLimiterHint : 0
; COMPUTE_PGM_RSRC2:SCRATCH_EN: 0
; COMPUTE_PGM_RSRC2:USER_SGPR: 15
; COMPUTE_PGM_RSRC2:TRAP_HANDLER: 0
; COMPUTE_PGM_RSRC2:TGID_X_EN: 1
; COMPUTE_PGM_RSRC2:TGID_Y_EN: 0
; COMPUTE_PGM_RSRC2:TGID_Z_EN: 0
; COMPUTE_PGM_RSRC2:TIDIG_COMP_CNT: 0
	.section	.text._ZN2at6native12_GLOBAL__N_125multi_tensor_apply_kernelINS1_18TensorListMetadataILi2EEENS1_14UnaryOpFunctorIfLi2ELi1ELi1EEEJNS0_4SqrtIfEEEEEvT_T0_DpT1_,"axG",@progbits,_ZN2at6native12_GLOBAL__N_125multi_tensor_apply_kernelINS1_18TensorListMetadataILi2EEENS1_14UnaryOpFunctorIfLi2ELi1ELi1EEEJNS0_4SqrtIfEEEEEvT_T0_DpT1_,comdat
	.globl	_ZN2at6native12_GLOBAL__N_125multi_tensor_apply_kernelINS1_18TensorListMetadataILi2EEENS1_14UnaryOpFunctorIfLi2ELi1ELi1EEEJNS0_4SqrtIfEEEEEvT_T0_DpT1_ ; -- Begin function _ZN2at6native12_GLOBAL__N_125multi_tensor_apply_kernelINS1_18TensorListMetadataILi2EEENS1_14UnaryOpFunctorIfLi2ELi1ELi1EEEJNS0_4SqrtIfEEEEEvT_T0_DpT1_
	.p2align	8
	.type	_ZN2at6native12_GLOBAL__N_125multi_tensor_apply_kernelINS1_18TensorListMetadataILi2EEENS1_14UnaryOpFunctorIfLi2ELi1ELi1EEEJNS0_4SqrtIfEEEEEvT_T0_DpT1_,@function
_ZN2at6native12_GLOBAL__N_125multi_tensor_apply_kernelINS1_18TensorListMetadataILi2EEENS1_14UnaryOpFunctorIfLi2ELi1ELi1EEEJNS0_4SqrtIfEEEEEvT_T0_DpT1_: ; @_ZN2at6native12_GLOBAL__N_125multi_tensor_apply_kernelINS1_18TensorListMetadataILi2EEENS1_14UnaryOpFunctorIfLi2ELi1ELi1EEEJNS0_4SqrtIfEEEEEvT_T0_DpT1_
; %bb.0:
	v_mov_b32_e32 v1, s15
	s_add_u32 s2, s0, s15
	s_mul_hi_u32 s3, s15, 3
	s_mul_i32 s15, s15, 3
	s_addc_u32 s4, s1, 0
	global_load_u8 v1, v1, s[0:1] offset:1536
	s_add_u32 s2, s2, s15
	s_addc_u32 s3, s4, s3
	s_mov_b32 s7, 0
	s_load_b32 s2, s[2:3], 0x740
	s_mov_b32 s13, s7
	s_mov_b32 s23, s7
	s_waitcnt vmcnt(0)
	v_readfirstlane_b32 s5, v1
	s_delay_alu instid0(VALU_DEP_1)
	s_lshl_b32 s3, s5, 3
	s_clause 0x2
	s_load_b64 s[14:15], s[0:1], s3 offset:0x0
	s_load_b64 s[16:17], s[0:1], s3 offset:0x200
	;; [unrolled: 1-line block ×3, first 2 shown]
	s_waitcnt lgkmcnt(0)
	s_ashr_i32 s3, s2, 31
	s_delay_alu instid0(SALU_CYCLE_1) | instskip(NEXT) | instid1(SALU_CYCLE_1)
	s_lshl_b64 s[10:11], s[2:3], 18
	s_add_u32 s9, s14, s10
	s_addc_u32 s18, s15, s11
	s_and_b32 s6, s9, 15
	s_add_u32 s19, s16, s10
	s_addc_u32 s20, s17, s11
	s_and_b32 s12, s4, 3
	s_and_b32 s22, s19, 15
	s_or_b64 s[6:7], s[6:7], s[12:13]
	s_lshl_b64 s[2:3], s[2:3], 16
	s_or_b64 s[6:7], s[22:23], s[6:7]
	s_sub_u32 s12, s4, s2
	s_subb_u32 s13, s5, s3
	s_cmp_eq_u64 s[6:7], 0
	s_mov_b32 s2, -1
	s_cbranch_scc0 .LBB227_5
; %bb.1:
	v_dual_mov_b32 v2, 0 :: v_dual_lshlrev_b32 v1, 2, v0
	s_mov_b32 s21, exec_lo
	s_delay_alu instid0(VALU_DEP_1)
	v_cmpx_gt_i64_e64 s[12:13], v[1:2]
	s_cbranch_execz .LBB227_4
; %bb.2:
	s_load_b32 s2, s[0:1], 0xc5c
	v_lshlrev_b32_e32 v3, 4, v0
	s_mov_b32 s22, 0
	s_waitcnt lgkmcnt(0)
	s_and_b32 s2, s2, 0xffff
	s_delay_alu instid0(SALU_CYCLE_1)
	v_add_lshl_u32 v1, v0, s2, 2
	s_lshl_b32 s23, s2, 2
	s_lshl_b32 s24, s2, 4
.LBB227_3:                              ; =>This Inner Loop Header: Depth=1
	v_add_co_u32 v4, s2, s9, v3
	s_delay_alu instid0(VALU_DEP_1)
	v_add_co_ci_u32_e64 v5, null, s18, 0, s2
	v_cmp_le_i64_e32 vcc_lo, s[12:13], v[1:2]
	v_cmp_lt_u64_e64 s2, 0xffff, v[1:2]
	v_add_co_u32 v8, s3, s19, v3
	global_load_b128 v[4:7], v[4:5], off
	v_add_co_ci_u32_e64 v9, null, s20, 0, s3
	v_add_co_u32 v1, s3, v1, s23
	s_delay_alu instid0(VALU_DEP_1)
	v_add_co_ci_u32_e64 v2, s3, 0, v2, s3
	s_or_b32 s25, vcc_lo, s2
	s_add_u32 s9, s9, s24
	s_addc_u32 s18, s18, 0
	s_add_u32 s19, s19, s24
	s_addc_u32 s20, s20, 0
	s_waitcnt vmcnt(0)
	v_dual_mul_f32 v12, 0x4f800000, v6 :: v_dual_mul_f32 v13, 0x4f800000, v7
	v_cmp_gt_f32_e64 s2, 0xf800000, v6
	v_cmp_gt_f32_e64 s3, 0xf800000, v7
	v_dual_mul_f32 v10, 0x4f800000, v4 :: v_dual_mul_f32 v11, 0x4f800000, v5
	v_cmp_gt_f32_e64 s4, 0xf800000, v4
	s_delay_alu instid0(VALU_DEP_4) | instskip(NEXT) | instid1(VALU_DEP_4)
	v_cndmask_b32_e64 v6, v6, v12, s2
	v_cndmask_b32_e64 v7, v7, v13, s3
	v_cmp_gt_f32_e32 vcc_lo, 0xf800000, v5
	s_delay_alu instid0(VALU_DEP_4) | instskip(NEXT) | instid1(VALU_DEP_4)
	v_cndmask_b32_e64 v4, v4, v10, s4
	v_sqrt_f32_e32 v12, v6
	s_delay_alu instid0(VALU_DEP_3) | instskip(NEXT) | instid1(VALU_DEP_1)
	v_sqrt_f32_e32 v13, v7
	v_sqrt_f32_e32 v10, v4
	s_delay_alu instid0(TRANS32_DEP_3)
	v_dual_cndmask_b32 v5, v5, v11 :: v_dual_add_nc_u32 v18, -1, v12
	s_waitcnt_depctr 0xfff
	v_add_nc_u32_e32 v20, -1, v13
	v_add_nc_u32_e32 v19, 1, v12
	v_add_nc_u32_e32 v21, 1, v13
	v_add_nc_u32_e32 v14, -1, v10
	v_fma_f32 v26, -v18, v12, v6
	v_fma_f32 v28, -v20, v13, v7
	v_sqrt_f32_e32 v11, v5
	v_fma_f32 v27, -v19, v12, v6
	v_fma_f32 v29, -v21, v13, v7
	v_cmp_ge_f32_e64 s6, 0, v26
	v_cmp_ge_f32_e64 s7, 0, v28
	v_fma_f32 v22, -v14, v10, v4
	s_delay_alu instid0(VALU_DEP_3) | instskip(SKIP_1) | instid1(VALU_DEP_4)
	v_cndmask_b32_e64 v12, v12, v18, s6
	v_cmp_lt_f32_e64 s6, 0, v27
	v_cndmask_b32_e64 v13, v13, v20, s7
	v_cmp_lt_f32_e64 s7, 0, v29
	v_add_nc_u32_e32 v17, 1, v11
	v_cmp_ge_f32_e64 s5, 0, v22
	v_cndmask_b32_e64 v12, v12, v19, s6
	v_add_nc_u32_e32 v15, 1, v10
	v_cndmask_b32_e64 v13, v13, v21, s7
	v_add_nc_u32_e32 v16, -1, v11
	v_fma_f32 v25, -v17, v11, v5
	s_delay_alu instid0(VALU_DEP_4) | instskip(SKIP_1) | instid1(VALU_DEP_4)
	v_fma_f32 v23, -v15, v10, v4
	v_cndmask_b32_e64 v10, v10, v14, s5
	v_fma_f32 v24, -v16, v11, v5
	s_delay_alu instid0(VALU_DEP_3) | instskip(NEXT) | instid1(VALU_DEP_2)
	v_cmp_lt_f32_e64 s8, 0, v23
	v_cmp_ge_f32_e64 s5, 0, v24
	s_delay_alu instid0(VALU_DEP_1) | instskip(SKIP_3) | instid1(VALU_DEP_2)
	v_cndmask_b32_e64 v11, v11, v16, s5
	v_cmp_lt_f32_e64 s5, 0, v25
	v_mul_f32_e32 v16, 0x37800000, v12
	v_cndmask_b32_e64 v10, v10, v15, s8
	v_cndmask_b32_e64 v12, v12, v16, s2
	s_delay_alu instid0(VALU_DEP_2) | instskip(SKIP_3) | instid1(VALU_DEP_4)
	v_mul_f32_e32 v14, 0x37800000, v10
	v_cndmask_b32_e64 v11, v11, v17, s5
	v_mul_f32_e32 v17, 0x37800000, v13
	v_cmp_class_f32_e64 s2, v6, 0x260
	v_cndmask_b32_e64 v10, v10, v14, s4
	s_delay_alu instid0(VALU_DEP_4) | instskip(NEXT) | instid1(VALU_DEP_4)
	v_mul_f32_e32 v15, 0x37800000, v11
	v_cndmask_b32_e64 v13, v13, v17, s3
	v_cmp_class_f32_e64 s3, v7, 0x260
	v_cmp_class_f32_e64 s4, v4, 0x260
	v_cndmask_b32_e64 v6, v12, v6, s2
	v_cndmask_b32_e32 v11, v11, v15, vcc_lo
	v_cmp_class_f32_e64 vcc_lo, v5, 0x260
	v_cndmask_b32_e64 v7, v13, v7, s3
	v_cndmask_b32_e64 v4, v10, v4, s4
	s_and_b32 s2, exec_lo, s25
	v_cndmask_b32_e32 v5, v11, v5, vcc_lo
	s_or_b32 s22, s2, s22
	global_store_b128 v[8:9], v[4:7], off
	s_and_not1_b32 exec_lo, exec_lo, s22
	s_cbranch_execnz .LBB227_3
.LBB227_4:
	s_or_b32 exec_lo, exec_lo, s21
	s_mov_b32 s2, 0
.LBB227_5:
	s_delay_alu instid0(SALU_CYCLE_1)
	s_and_not1_b32 vcc_lo, exec_lo, s2
	s_cbranch_vccnz .LBB227_25
; %bb.6:
	v_cmp_lt_i64_e64 s2, s[12:13], 1
	s_delay_alu instid0(VALU_DEP_1)
	s_and_b32 vcc_lo, exec_lo, s2
	s_cbranch_vccnz .LBB227_25
; %bb.7:
	s_load_b32 s0, s[0:1], 0xc5c
	v_dual_mov_b32 v10, 0 :: v_dual_lshlrev_b32 v9, 2, v0
	v_cmp_gt_u64_e64 s1, 0x10000, s[12:13]
	s_mov_b64 s[6:7], 0
	s_delay_alu instid0(VALU_DEP_2) | instskip(NEXT) | instid1(VALU_DEP_1)
	v_add_co_u32 v1, s2, s14, v9
	v_add_co_ci_u32_e64 v2, null, s15, 0, s2
	v_add_co_u32 v3, s2, s16, v9
	s_delay_alu instid0(VALU_DEP_1)
	v_add_co_ci_u32_e64 v4, null, s17, 0, s2
	s_waitcnt lgkmcnt(0)
	s_and_b32 s0, s0, 0xffff
	s_and_b32 s1, s1, exec_lo
	v_mad_u64_u32 v[7:8], null, s0, 12, v[9:10]
	s_cselect_b32 s5, s13, 0
	s_cselect_b32 s4, s12, 0x10000
	s_mul_i32 s2, s0, 3
	s_lshl_b32 s3, s0, 3
	s_lshl_b32 s1, s0, 1
	v_add_co_u32 v14, s3, s3, v9
	v_add_co_u32 v9, s2, s2, v0
	s_delay_alu instid0(VALU_DEP_1) | instskip(SKIP_3) | instid1(VALU_DEP_3)
	v_add_co_ci_u32_e64 v10, null, 0, 0, s2
	v_add_co_u32 v13, s2, v0, s0
	v_add_co_u32 v5, vcc_lo, s14, v7
	v_add_co_ci_u32_e32 v6, vcc_lo, s15, v8, vcc_lo
	v_lshlrev_b32_e32 v21, 2, v13
	v_add_co_u32 v7, vcc_lo, s16, v7
	v_add_co_ci_u32_e64 v15, null, 0, 0, s3
	v_add_co_ci_u32_e32 v8, vcc_lo, s17, v8, vcc_lo
	v_add_co_u32 v17, s1, s1, v0
	v_add_co_u32 v11, vcc_lo, s14, v14
	v_add_co_ci_u32_e64 v18, null, 0, 0, s1
	v_add_co_u32 v19, s1, s14, v21
	v_add_co_ci_u32_e32 v12, vcc_lo, s15, v15, vcc_lo
	v_add_co_u32 v14, vcc_lo, s16, v14
	v_add_co_ci_u32_e64 v20, null, s15, 0, s1
	v_add_co_u32 v21, s1, s16, v21
	v_add_co_ci_u32_e32 v15, vcc_lo, s17, v15, vcc_lo
	v_add_co_ci_u32_e64 v16, null, 0, 0, s2
	v_add_co_ci_u32_e64 v22, null, s17, 0, s1
	s_lshl_b32 s8, s0, 2
	s_lshl_b32 s9, s0, 4
	s_branch .LBB227_9
.LBB227_8:                              ;   in Loop: Header=BB227_9 Depth=1
	s_or_b32 exec_lo, exec_lo, s1
	v_add_co_u32 v1, vcc_lo, v1, s9
	v_add_co_ci_u32_e32 v2, vcc_lo, 0, v2, vcc_lo
	v_add_co_u32 v3, vcc_lo, v3, s9
	v_add_co_ci_u32_e32 v4, vcc_lo, 0, v4, vcc_lo
	;; [unrolled: 2-line block ×5, first 2 shown]
	s_add_u32 s6, s6, s8
	v_add_co_u32 v14, vcc_lo, v14, s9
	s_addc_u32 s7, s7, 0
	v_add_co_ci_u32_e32 v15, vcc_lo, 0, v15, vcc_lo
	v_cmp_ge_i64_e64 s0, s[6:7], s[12:13]
	v_cmp_lt_u64_e64 s1, 0xffff, s[6:7]
	v_add_co_u32 v19, vcc_lo, v19, s9
	v_add_co_ci_u32_e32 v20, vcc_lo, 0, v20, vcc_lo
	v_add_co_u32 v21, vcc_lo, v21, s9
	v_add_co_ci_u32_e32 v22, vcc_lo, 0, v22, vcc_lo
	s_or_b32 s0, s0, s1
	s_delay_alu instid0(SALU_CYCLE_1)
	s_and_b32 vcc_lo, exec_lo, s0
	s_cbranch_vccnz .LBB227_25
.LBB227_9:                              ; =>This Inner Loop Header: Depth=1
	s_waitcnt vmcnt(0)
	v_add_co_u32 v23, s0, v0, s6
	s_delay_alu instid0(VALU_DEP_1) | instskip(SKIP_1) | instid1(VALU_DEP_2)
	v_add_co_ci_u32_e64 v24, null, 0, s7, s0
	v_mov_b32_e32 v26, 0
	v_cmp_gt_u64_e64 s2, s[4:5], v[23:24]
	s_delay_alu instid0(VALU_DEP_1)
	s_and_saveexec_b32 s0, s2
	s_cbranch_execz .LBB227_11
; %bb.10:                               ;   in Loop: Header=BB227_9 Depth=1
	v_add_co_u32 v23, vcc_lo, v1, s10
	v_add_co_ci_u32_e32 v24, vcc_lo, s11, v2, vcc_lo
	global_load_b32 v26, v[23:24], off
.LBB227_11:                             ;   in Loop: Header=BB227_9 Depth=1
	s_or_b32 exec_lo, exec_lo, s0
	v_add_co_u32 v23, vcc_lo, v13, s6
	v_add_co_ci_u32_e32 v24, vcc_lo, s7, v16, vcc_lo
	v_mov_b32_e32 v25, 0
	s_delay_alu instid0(VALU_DEP_2) | instskip(NEXT) | instid1(VALU_DEP_1)
	v_cmp_gt_u64_e64 s1, s[4:5], v[23:24]
	s_and_saveexec_b32 s0, s1
	s_cbranch_execz .LBB227_13
; %bb.12:                               ;   in Loop: Header=BB227_9 Depth=1
	v_add_co_u32 v23, vcc_lo, v19, s10
	v_add_co_ci_u32_e32 v24, vcc_lo, s11, v20, vcc_lo
	global_load_b32 v25, v[23:24], off
.LBB227_13:                             ;   in Loop: Header=BB227_9 Depth=1
	s_or_b32 exec_lo, exec_lo, s0
	v_add_co_u32 v23, vcc_lo, v17, s6
	v_add_co_ci_u32_e32 v24, vcc_lo, s7, v18, vcc_lo
	s_delay_alu instid0(VALU_DEP_1) | instskip(SKIP_1) | instid1(VALU_DEP_2)
	v_cmp_gt_u64_e64 s0, s[4:5], v[23:24]
	v_dual_mov_b32 v23, 0 :: v_dual_mov_b32 v24, 0
	s_and_saveexec_b32 s3, s0
	s_cbranch_execz .LBB227_15
; %bb.14:                               ;   in Loop: Header=BB227_9 Depth=1
	v_add_co_u32 v27, vcc_lo, v11, s10
	v_add_co_ci_u32_e32 v28, vcc_lo, s11, v12, vcc_lo
	global_load_b32 v24, v[27:28], off
.LBB227_15:                             ;   in Loop: Header=BB227_9 Depth=1
	s_or_b32 exec_lo, exec_lo, s3
	v_add_co_u32 v27, vcc_lo, v9, s6
	v_add_co_ci_u32_e32 v28, vcc_lo, s7, v10, vcc_lo
	s_delay_alu instid0(VALU_DEP_1)
	v_cmp_gt_u64_e32 vcc_lo, s[4:5], v[27:28]
	s_and_saveexec_b32 s14, vcc_lo
	s_cbranch_execnz .LBB227_20
; %bb.16:                               ;   in Loop: Header=BB227_9 Depth=1
	s_or_b32 exec_lo, exec_lo, s14
	s_and_saveexec_b32 s14, s2
	s_cbranch_execnz .LBB227_21
.LBB227_17:                             ;   in Loop: Header=BB227_9 Depth=1
	s_or_b32 exec_lo, exec_lo, s14
	s_and_saveexec_b32 s3, s1
	s_cbranch_execnz .LBB227_22
.LBB227_18:                             ;   in Loop: Header=BB227_9 Depth=1
	s_or_b32 exec_lo, exec_lo, s3
	s_and_saveexec_b32 s2, s0
	s_cbranch_execnz .LBB227_23
.LBB227_19:                             ;   in Loop: Header=BB227_9 Depth=1
	s_or_b32 exec_lo, exec_lo, s2
	s_and_saveexec_b32 s1, vcc_lo
	s_cbranch_execz .LBB227_8
	s_branch .LBB227_24
.LBB227_20:                             ;   in Loop: Header=BB227_9 Depth=1
	v_add_co_u32 v27, s3, v5, s10
	s_delay_alu instid0(VALU_DEP_1)
	v_add_co_ci_u32_e64 v28, s3, s11, v6, s3
	global_load_b32 v23, v[27:28], off
	s_or_b32 exec_lo, exec_lo, s14
	s_and_saveexec_b32 s14, s2
	s_cbranch_execz .LBB227_17
.LBB227_21:                             ;   in Loop: Header=BB227_9 Depth=1
	s_waitcnt vmcnt(0)
	v_mul_f32_e32 v27, 0x4f800000, v26
	v_cmp_gt_f32_e64 s2, 0xf800000, v26
	s_delay_alu instid0(VALU_DEP_1) | instskip(NEXT) | instid1(VALU_DEP_1)
	v_cndmask_b32_e64 v28, v26, v27, s2
	v_sqrt_f32_e32 v26, v28
	s_waitcnt_depctr 0xfff
	v_add_nc_u32_e32 v27, -1, v26
	v_add_nc_u32_e32 v29, 1, v26
	s_delay_alu instid0(VALU_DEP_2) | instskip(NEXT) | instid1(VALU_DEP_2)
	v_fma_f32 v30, -v27, v26, v28
	v_fma_f32 v31, -v29, v26, v28
	s_delay_alu instid0(VALU_DEP_2) | instskip(NEXT) | instid1(VALU_DEP_1)
	v_cmp_ge_f32_e64 s3, 0, v30
	v_cndmask_b32_e64 v26, v26, v27, s3
	s_delay_alu instid0(VALU_DEP_3) | instskip(NEXT) | instid1(VALU_DEP_1)
	v_cmp_lt_f32_e64 s3, 0, v31
	v_cndmask_b32_e64 v26, v26, v29, s3
	s_delay_alu instid0(VALU_DEP_1) | instskip(NEXT) | instid1(VALU_DEP_1)
	v_mul_f32_e32 v27, 0x37800000, v26
	v_cndmask_b32_e64 v29, v26, v27, s2
	v_add_co_u32 v26, s2, v3, s10
	s_delay_alu instid0(VALU_DEP_1) | instskip(SKIP_1) | instid1(VALU_DEP_1)
	v_add_co_ci_u32_e64 v27, s2, s11, v4, s2
	v_cmp_class_f32_e64 s2, v28, 0x260
	v_cndmask_b32_e64 v28, v29, v28, s2
	global_store_b32 v[26:27], v28, off
	s_or_b32 exec_lo, exec_lo, s14
	s_and_saveexec_b32 s3, s1
	s_cbranch_execz .LBB227_18
.LBB227_22:                             ;   in Loop: Header=BB227_9 Depth=1
	s_waitcnt vmcnt(0)
	v_mul_f32_e32 v26, 0x4f800000, v25
	v_cmp_gt_f32_e64 s1, 0xf800000, v25
	s_delay_alu instid0(VALU_DEP_1) | instskip(NEXT) | instid1(VALU_DEP_1)
	v_cndmask_b32_e64 v25, v25, v26, s1
	v_sqrt_f32_e32 v26, v25
	s_waitcnt_depctr 0xfff
	v_add_nc_u32_e32 v27, -1, v26
	v_add_nc_u32_e32 v28, 1, v26
	s_delay_alu instid0(VALU_DEP_2) | instskip(NEXT) | instid1(VALU_DEP_2)
	v_fma_f32 v29, -v27, v26, v25
	v_fma_f32 v30, -v28, v26, v25
	s_delay_alu instid0(VALU_DEP_2) | instskip(NEXT) | instid1(VALU_DEP_1)
	v_cmp_ge_f32_e64 s2, 0, v29
	v_cndmask_b32_e64 v26, v26, v27, s2
	s_delay_alu instid0(VALU_DEP_3) | instskip(NEXT) | instid1(VALU_DEP_1)
	v_cmp_lt_f32_e64 s2, 0, v30
	v_cndmask_b32_e64 v26, v26, v28, s2
	s_delay_alu instid0(VALU_DEP_1) | instskip(NEXT) | instid1(VALU_DEP_1)
	v_mul_f32_e32 v27, 0x37800000, v26
	v_cndmask_b32_e64 v26, v26, v27, s1
	v_cmp_class_f32_e64 s1, v25, 0x260
	s_delay_alu instid0(VALU_DEP_1) | instskip(SKIP_1) | instid1(VALU_DEP_1)
	v_cndmask_b32_e64 v27, v26, v25, s1
	v_add_co_u32 v25, s1, v21, s10
	v_add_co_ci_u32_e64 v26, s1, s11, v22, s1
	global_store_b32 v[25:26], v27, off
	s_or_b32 exec_lo, exec_lo, s3
	s_and_saveexec_b32 s2, s0
	s_cbranch_execz .LBB227_19
.LBB227_23:                             ;   in Loop: Header=BB227_9 Depth=1
	s_waitcnt vmcnt(0)
	v_mul_f32_e32 v25, 0x4f800000, v24
	v_cmp_gt_f32_e64 s0, 0xf800000, v24
	s_delay_alu instid0(VALU_DEP_1) | instskip(NEXT) | instid1(VALU_DEP_1)
	v_cndmask_b32_e64 v24, v24, v25, s0
	v_sqrt_f32_e32 v25, v24
	s_waitcnt_depctr 0xfff
	v_add_nc_u32_e32 v26, -1, v25
	v_add_nc_u32_e32 v27, 1, v25
	s_delay_alu instid0(VALU_DEP_2) | instskip(NEXT) | instid1(VALU_DEP_2)
	v_fma_f32 v28, -v26, v25, v24
	v_fma_f32 v29, -v27, v25, v24
	s_delay_alu instid0(VALU_DEP_2) | instskip(NEXT) | instid1(VALU_DEP_1)
	v_cmp_ge_f32_e64 s1, 0, v28
	v_cndmask_b32_e64 v25, v25, v26, s1
	s_delay_alu instid0(VALU_DEP_3) | instskip(NEXT) | instid1(VALU_DEP_1)
	v_cmp_lt_f32_e64 s1, 0, v29
	v_cndmask_b32_e64 v25, v25, v27, s1
	s_delay_alu instid0(VALU_DEP_1) | instskip(NEXT) | instid1(VALU_DEP_1)
	v_mul_f32_e32 v26, 0x37800000, v25
	v_cndmask_b32_e64 v25, v25, v26, s0
	v_cmp_class_f32_e64 s0, v24, 0x260
	s_delay_alu instid0(VALU_DEP_1) | instskip(SKIP_1) | instid1(VALU_DEP_1)
	v_cndmask_b32_e64 v26, v25, v24, s0
	v_add_co_u32 v24, s0, v14, s10
	v_add_co_ci_u32_e64 v25, s0, s11, v15, s0
	global_store_b32 v[24:25], v26, off
	s_or_b32 exec_lo, exec_lo, s2
	s_and_saveexec_b32 s1, vcc_lo
	s_cbranch_execz .LBB227_8
.LBB227_24:                             ;   in Loop: Header=BB227_9 Depth=1
	s_waitcnt vmcnt(0)
	v_mul_f32_e32 v24, 0x4f800000, v23
	v_cmp_gt_f32_e32 vcc_lo, 0xf800000, v23
	s_delay_alu instid0(VALU_DEP_2) | instskip(NEXT) | instid1(VALU_DEP_1)
	v_cndmask_b32_e32 v23, v23, v24, vcc_lo
	v_sqrt_f32_e32 v24, v23
	s_waitcnt_depctr 0xfff
	v_add_nc_u32_e32 v25, -1, v24
	v_add_nc_u32_e32 v26, 1, v24
	s_delay_alu instid0(VALU_DEP_2) | instskip(NEXT) | instid1(VALU_DEP_2)
	v_fma_f32 v27, -v25, v24, v23
	v_fma_f32 v28, -v26, v24, v23
	s_delay_alu instid0(VALU_DEP_2) | instskip(NEXT) | instid1(VALU_DEP_1)
	v_cmp_ge_f32_e64 s0, 0, v27
	v_cndmask_b32_e64 v24, v24, v25, s0
	s_delay_alu instid0(VALU_DEP_3) | instskip(NEXT) | instid1(VALU_DEP_1)
	v_cmp_lt_f32_e64 s0, 0, v28
	v_cndmask_b32_e64 v24, v24, v26, s0
	s_delay_alu instid0(VALU_DEP_1) | instskip(NEXT) | instid1(VALU_DEP_1)
	v_mul_f32_e32 v25, 0x37800000, v24
	v_cndmask_b32_e32 v24, v24, v25, vcc_lo
	v_cmp_class_f32_e64 vcc_lo, v23, 0x260
	s_delay_alu instid0(VALU_DEP_2)
	v_cndmask_b32_e32 v25, v24, v23, vcc_lo
	v_add_co_u32 v23, vcc_lo, v7, s10
	v_add_co_ci_u32_e32 v24, vcc_lo, s11, v8, vcc_lo
	global_store_b32 v[23:24], v25, off
	s_branch .LBB227_8
.LBB227_25:
	s_nop 0
	s_sendmsg sendmsg(MSG_DEALLOC_VGPRS)
	s_endpgm
	.section	.rodata,"a",@progbits
	.p2align	6, 0x0
	.amdhsa_kernel _ZN2at6native12_GLOBAL__N_125multi_tensor_apply_kernelINS1_18TensorListMetadataILi2EEENS1_14UnaryOpFunctorIfLi2ELi1ELi1EEEJNS0_4SqrtIfEEEEEvT_T0_DpT1_
		.amdhsa_group_segment_fixed_size 0
		.amdhsa_private_segment_fixed_size 0
		.amdhsa_kernarg_size 3408
		.amdhsa_user_sgpr_count 15
		.amdhsa_user_sgpr_dispatch_ptr 0
		.amdhsa_user_sgpr_queue_ptr 0
		.amdhsa_user_sgpr_kernarg_segment_ptr 1
		.amdhsa_user_sgpr_dispatch_id 0
		.amdhsa_user_sgpr_private_segment_size 0
		.amdhsa_wavefront_size32 1
		.amdhsa_uses_dynamic_stack 0
		.amdhsa_enable_private_segment 0
		.amdhsa_system_sgpr_workgroup_id_x 1
		.amdhsa_system_sgpr_workgroup_id_y 0
		.amdhsa_system_sgpr_workgroup_id_z 0
		.amdhsa_system_sgpr_workgroup_info 0
		.amdhsa_system_vgpr_workitem_id 0
		.amdhsa_next_free_vgpr 32
		.amdhsa_next_free_sgpr 26
		.amdhsa_reserve_vcc 1
		.amdhsa_float_round_mode_32 0
		.amdhsa_float_round_mode_16_64 0
		.amdhsa_float_denorm_mode_32 3
		.amdhsa_float_denorm_mode_16_64 3
		.amdhsa_dx10_clamp 1
		.amdhsa_ieee_mode 1
		.amdhsa_fp16_overflow 0
		.amdhsa_workgroup_processor_mode 1
		.amdhsa_memory_ordered 1
		.amdhsa_forward_progress 0
		.amdhsa_shared_vgpr_count 0
		.amdhsa_exception_fp_ieee_invalid_op 0
		.amdhsa_exception_fp_denorm_src 0
		.amdhsa_exception_fp_ieee_div_zero 0
		.amdhsa_exception_fp_ieee_overflow 0
		.amdhsa_exception_fp_ieee_underflow 0
		.amdhsa_exception_fp_ieee_inexact 0
		.amdhsa_exception_int_div_zero 0
	.end_amdhsa_kernel
	.section	.text._ZN2at6native12_GLOBAL__N_125multi_tensor_apply_kernelINS1_18TensorListMetadataILi2EEENS1_14UnaryOpFunctorIfLi2ELi1ELi1EEEJNS0_4SqrtIfEEEEEvT_T0_DpT1_,"axG",@progbits,_ZN2at6native12_GLOBAL__N_125multi_tensor_apply_kernelINS1_18TensorListMetadataILi2EEENS1_14UnaryOpFunctorIfLi2ELi1ELi1EEEJNS0_4SqrtIfEEEEEvT_T0_DpT1_,comdat
.Lfunc_end227:
	.size	_ZN2at6native12_GLOBAL__N_125multi_tensor_apply_kernelINS1_18TensorListMetadataILi2EEENS1_14UnaryOpFunctorIfLi2ELi1ELi1EEEJNS0_4SqrtIfEEEEEvT_T0_DpT1_, .Lfunc_end227-_ZN2at6native12_GLOBAL__N_125multi_tensor_apply_kernelINS1_18TensorListMetadataILi2EEENS1_14UnaryOpFunctorIfLi2ELi1ELi1EEEJNS0_4SqrtIfEEEEEvT_T0_DpT1_
                                        ; -- End function
	.section	.AMDGPU.csdata,"",@progbits
; Kernel info:
; codeLenInByte = 2432
; NumSgprs: 28
; NumVgprs: 32
; ScratchSize: 0
; MemoryBound: 0
; FloatMode: 240
; IeeeMode: 1
; LDSByteSize: 0 bytes/workgroup (compile time only)
; SGPRBlocks: 3
; VGPRBlocks: 3
; NumSGPRsForWavesPerEU: 28
; NumVGPRsForWavesPerEU: 32
; Occupancy: 16
; WaveLimiterHint : 0
; COMPUTE_PGM_RSRC2:SCRATCH_EN: 0
; COMPUTE_PGM_RSRC2:USER_SGPR: 15
; COMPUTE_PGM_RSRC2:TRAP_HANDLER: 0
; COMPUTE_PGM_RSRC2:TGID_X_EN: 1
; COMPUTE_PGM_RSRC2:TGID_Y_EN: 0
; COMPUTE_PGM_RSRC2:TGID_Z_EN: 0
; COMPUTE_PGM_RSRC2:TIDIG_COMP_CNT: 0
	.section	.text._ZN2at6native12_GLOBAL__N_125multi_tensor_apply_kernelINS1_18TensorListMetadataILi2EEENS1_14UnaryOpFunctorIN3c107complexIdEELi2ELi1ELi1EEEJNS0_4SqrtIS8_EEEEEvT_T0_DpT1_,"axG",@progbits,_ZN2at6native12_GLOBAL__N_125multi_tensor_apply_kernelINS1_18TensorListMetadataILi2EEENS1_14UnaryOpFunctorIN3c107complexIdEELi2ELi1ELi1EEEJNS0_4SqrtIS8_EEEEEvT_T0_DpT1_,comdat
	.globl	_ZN2at6native12_GLOBAL__N_125multi_tensor_apply_kernelINS1_18TensorListMetadataILi2EEENS1_14UnaryOpFunctorIN3c107complexIdEELi2ELi1ELi1EEEJNS0_4SqrtIS8_EEEEEvT_T0_DpT1_ ; -- Begin function _ZN2at6native12_GLOBAL__N_125multi_tensor_apply_kernelINS1_18TensorListMetadataILi2EEENS1_14UnaryOpFunctorIN3c107complexIdEELi2ELi1ELi1EEEJNS0_4SqrtIS8_EEEEEvT_T0_DpT1_
	.p2align	8
	.type	_ZN2at6native12_GLOBAL__N_125multi_tensor_apply_kernelINS1_18TensorListMetadataILi2EEENS1_14UnaryOpFunctorIN3c107complexIdEELi2ELi1ELi1EEEJNS0_4SqrtIS8_EEEEEvT_T0_DpT1_,@function
_ZN2at6native12_GLOBAL__N_125multi_tensor_apply_kernelINS1_18TensorListMetadataILi2EEENS1_14UnaryOpFunctorIN3c107complexIdEELi2ELi1ELi1EEEJNS0_4SqrtIS8_EEEEEvT_T0_DpT1_: ; @_ZN2at6native12_GLOBAL__N_125multi_tensor_apply_kernelINS1_18TensorListMetadataILi2EEENS1_14UnaryOpFunctorIN3c107complexIdEELi2ELi1ELi1EEEJNS0_4SqrtIS8_EEEEEvT_T0_DpT1_
; %bb.0:
	v_mov_b32_e32 v1, s15
	s_add_u32 s2, s0, s15
	s_mul_hi_u32 s3, s15, 3
	s_mul_i32 s15, s15, 3
	s_addc_u32 s4, s1, 0
	global_load_u8 v1, v1, s[0:1] offset:1536
	s_add_u32 s2, s2, s15
	s_addc_u32 s3, s4, s3
	s_mov_b32 s11, 0
	s_load_b32 s2, s[2:3], 0x740
	s_mov_b32 s13, s11
	s_mov_b32 s21, s11
	s_waitcnt vmcnt(0)
	v_readfirstlane_b32 s5, v1
	s_delay_alu instid0(VALU_DEP_1)
	s_lshl_b32 s3, s5, 3
	s_clause 0x2
	s_load_b64 s[14:15], s[0:1], s3 offset:0x0
	s_load_b64 s[4:5], s[0:1], s3 offset:0x200
	;; [unrolled: 1-line block ×3, first 2 shown]
	s_waitcnt lgkmcnt(0)
	s_ashr_i32 s3, s2, 31
	s_delay_alu instid0(SALU_CYCLE_1) | instskip(NEXT) | instid1(SALU_CYCLE_1)
	s_lshl_b64 s[6:7], s[2:3], 20
	s_add_u32 s16, s14, s6
	s_addc_u32 s17, s15, s7
	s_add_u32 s18, s4, s6
	s_addc_u32 s19, s5, s7
	s_and_b32 s12, s16, 63
	s_and_b32 s20, s8, 3
	;; [unrolled: 1-line block ×3, first 2 shown]
	s_or_b64 s[12:13], s[12:13], s[20:21]
	s_lshl_b64 s[2:3], s[2:3], 16
	s_or_b64 s[10:11], s[10:11], s[12:13]
	s_sub_u32 s8, s8, s2
	s_subb_u32 s9, s9, s3
	s_cmp_eq_u64 s[10:11], 0
	s_mov_b32 s2, -1
	s_cbranch_scc0 .LBB228_133
; %bb.1:
	v_dual_mov_b32 v26, 0 :: v_dual_lshlrev_b32 v25, 2, v0
	s_mov_b32 s20, exec_lo
	s_delay_alu instid0(VALU_DEP_1)
	v_cmpx_gt_i64_e64 s[8:9], v[25:26]
	s_cbranch_execz .LBB228_132
; %bb.2:
	s_load_b32 s2, s[0:1], 0xc5c
	v_lshlrev_b32_e32 v27, 6, v0
	s_mov_b32 s10, 0x99fcef32
	s_mov_b32 s12, 0
	;; [unrolled: 1-line block ×5, first 2 shown]
	s_waitcnt lgkmcnt(0)
	s_and_b32 s2, s2, 0xffff
	s_delay_alu instid0(SALU_CYCLE_1)
	v_add_lshl_u32 v25, v0, s2, 2
	s_lshl_b32 s22, s2, 2
	s_lshl_b32 s23, s2, 6
	s_branch .LBB228_6
.LBB228_3:                              ;   in Loop: Header=BB228_6 Depth=1
	s_or_b32 exec_lo, exec_lo, s2
	s_delay_alu instid0(VALU_DEP_1)
	v_dual_mov_b32 v10, v2 :: v_dual_mov_b32 v9, v1
.LBB228_4:                              ;   in Loop: Header=BB228_6 Depth=1
	s_or_b32 exec_lo, exec_lo, s25
.LBB228_5:                              ;   in Loop: Header=BB228_6 Depth=1
	s_delay_alu instid0(SALU_CYCLE_1) | instskip(SKIP_1) | instid1(VALU_DEP_1)
	s_or_b32 exec_lo, exec_lo, s24
	v_add_co_u32 v1, s2, s18, v27
	v_add_co_ci_u32_e64 v2, null, s19, 0, s2
	v_cmp_le_i64_e32 vcc_lo, s[8:9], v[25:26]
	v_cmp_lt_u64_e64 s2, 0xffff, v[25:26]
	v_dual_mov_b32 v23, v15 :: v_dual_mov_b32 v24, v16
	v_dual_mov_b32 v15, v7 :: v_dual_mov_b32 v16, v8
	;; [unrolled: 1-line block ×3, first 2 shown]
	s_delay_alu instid0(VALU_DEP_4)
	s_or_b32 s2, vcc_lo, s2
	s_add_u32 s16, s16, s23
	v_add_co_u32 v25, vcc_lo, v25, s22
	s_addc_u32 s17, s17, 0
	s_add_u32 s18, s18, s23
	v_add_co_ci_u32_e32 v26, vcc_lo, 0, v26, vcc_lo
	s_addc_u32 s19, s19, 0
	v_dual_mov_b32 v11, v3 :: v_dual_mov_b32 v12, v4
	s_and_b32 s2, exec_lo, s2
	s_clause 0x1
	global_store_b128 v[1:2], v[21:24], off
	global_store_b128 v[1:2], v[17:20], off offset:16
	s_or_b32 s21, s2, s21
	s_clause 0x1
	global_store_b128 v[1:2], v[13:16], off offset:32
	global_store_b128 v[1:2], v[9:12], off offset:48
	s_and_not1_b32 exec_lo, exec_lo, s21
	s_cbranch_execz .LBB228_132
.LBB228_6:                              ; =>This Inner Loop Header: Depth=1
	v_add_co_u32 v5, s2, s16, v27
	s_delay_alu instid0(VALU_DEP_1)
	v_add_co_ci_u32_e64 v6, null, s17, 0, s2
	v_mov_b32_e32 v17, 0
	v_mov_b32_e32 v18, 0
	s_clause 0x3
	global_load_b128 v[13:16], v[5:6], off
	global_load_b128 v[9:12], v[5:6], off offset:16
	global_load_b128 v[1:4], v[5:6], off offset:48
	;; [unrolled: 1-line block ×3, first 2 shown]
	v_dual_mov_b32 v22, v18 :: v_dual_mov_b32 v21, v17
	s_waitcnt vmcnt(3)
	v_cmp_neq_f64_e32 vcc_lo, 0, v[13:14]
	v_cmp_neq_f64_e64 s2, 0, v[15:16]
	s_delay_alu instid0(VALU_DEP_1) | instskip(NEXT) | instid1(SALU_CYCLE_1)
	s_or_b32 s2, vcc_lo, s2
	s_and_saveexec_b32 s24, s2
	s_cbranch_execz .LBB228_32
; %bb.7:                                ;   in Loop: Header=BB228_6 Depth=1
	v_mov_b32_e32 v21, s12
	v_mov_b32_e32 v22, s13
	s_mov_b32 s25, exec_lo
	v_cmpx_neq_f64_e64 0x7ff00000, |v[15:16]|
	s_cbranch_execz .LBB228_31
; %bb.8:                                ;   in Loop: Header=BB228_6 Depth=1
	s_mov_b32 s2, exec_lo
	v_cmpx_o_f64_e32 v[13:14], v[13:14]
	s_xor_b32 s26, exec_lo, s2
	s_cbranch_execz .LBB228_28
; %bb.9:                                ;   in Loop: Header=BB228_6 Depth=1
	s_mov_b32 s3, exec_lo
	v_cmpx_neq_f64_e64 0x7ff00000, |v[13:14]|
	s_xor_b32 s27, exec_lo, s3
	s_cbranch_execz .LBB228_22
; %bb.10:                               ;   in Loop: Header=BB228_6 Depth=1
	v_max_f64 v[19:20], |v[15:16]|, |v[15:16]|
	v_max_f64 v[21:22], |v[13:14]|, |v[13:14]|
                                        ; implicit-def: $sgpr28
	s_delay_alu instid0(VALU_DEP_1) | instskip(NEXT) | instid1(VALU_DEP_1)
	v_max_f64 v[19:20], v[21:22], v[19:20]
	v_cmp_nle_f64_e64 s2, s[10:11], v[19:20]
	s_delay_alu instid0(VALU_DEP_1) | instskip(NEXT) | instid1(SALU_CYCLE_1)
	s_and_saveexec_b32 s3, s2
	s_xor_b32 s3, exec_lo, s3
	s_cbranch_execz .LBB228_14
; %bb.11:                               ;   in Loop: Header=BB228_6 Depth=1
	v_cmp_ge_f64_e64 s28, 0x200000, |v[13:14]|
	v_cmp_ge_f64_e64 s29, 0x200000, |v[15:16]|
	s_delay_alu instid0(VALU_DEP_1)
	s_and_b32 s30, s28, s29
	s_mov_b32 s28, 0
	s_and_saveexec_b32 s29, s30
; %bb.12:                               ;   in Loop: Header=BB228_6 Depth=1
	v_mul_f64 v[13:14], v[13:14], 4.0
	v_mul_f64 v[15:16], v[15:16], 4.0
	s_mov_b32 s28, exec_lo
; %bb.13:                               ;   in Loop: Header=BB228_6 Depth=1
	s_or_b32 exec_lo, exec_lo, s29
	s_delay_alu instid0(SALU_CYCLE_1)
	s_and_b32 s28, s28, exec_lo
.LBB228_14:                             ;   in Loop: Header=BB228_6 Depth=1
	s_and_not1_saveexec_b32 s3, s3
; %bb.15:                               ;   in Loop: Header=BB228_6 Depth=1
	s_delay_alu instid0(VALU_DEP_2) | instskip(NEXT) | instid1(VALU_DEP_2)
	v_ldexp_f64 v[13:14], v[13:14], -2
	v_ldexp_f64 v[15:16], v[15:16], -2
	s_and_not1_b32 s28, s28, exec_lo
; %bb.16:                               ;   in Loop: Header=BB228_6 Depth=1
	s_or_b32 exec_lo, exec_lo, s3
	s_delay_alu instid0(VALU_DEP_1) | instskip(NEXT) | instid1(VALU_DEP_3)
	v_max_f64 v[19:20], |v[15:16]|, |v[15:16]|
	v_max_f64 v[21:22], |v[13:14]|, |v[13:14]|
	v_cmp_class_f64_e64 s29, v[13:14], 0x204
	v_cmp_class_f64_e64 s30, v[15:16], 0x204
	v_cmp_le_f64_e64 s3, 0, v[13:14]
	s_delay_alu instid0(VALU_DEP_4) | instskip(NEXT) | instid1(VALU_DEP_3)
	v_max_f64 v[19:20], v[21:22], v[19:20]
	s_or_b32 s29, s30, s29
	s_delay_alu instid0(VALU_DEP_1) | instskip(NEXT) | instid1(VALU_DEP_1)
	v_frexp_exp_i32_f64_e32 v30, v[19:20]
	v_sub_nc_u32_e32 v21, 0, v30
	s_delay_alu instid0(VALU_DEP_1) | instskip(SKIP_1) | instid1(VALU_DEP_2)
	v_ldexp_f64 v[19:20], |v[15:16]|, v21
	v_ldexp_f64 v[21:22], |v[13:14]|, v21
	v_mul_f64 v[19:20], v[19:20], v[19:20]
	s_delay_alu instid0(VALU_DEP_1) | instskip(NEXT) | instid1(VALU_DEP_1)
	v_fma_f64 v[19:20], v[21:22], v[21:22], v[19:20]
	v_rsq_f64_e32 v[21:22], v[19:20]
	v_cmp_eq_f64_e32 vcc_lo, 0, v[19:20]
	s_waitcnt_depctr 0xfff
	v_mul_f64 v[23:24], v[19:20], v[21:22]
	v_mul_f64 v[21:22], v[21:22], 0.5
	s_delay_alu instid0(VALU_DEP_1) | instskip(NEXT) | instid1(VALU_DEP_1)
	v_fma_f64 v[28:29], -v[21:22], v[23:24], 0.5
	v_fma_f64 v[23:24], v[23:24], v[28:29], v[23:24]
	v_fma_f64 v[21:22], v[21:22], v[28:29], v[21:22]
	s_delay_alu instid0(VALU_DEP_2) | instskip(NEXT) | instid1(VALU_DEP_1)
	v_fma_f64 v[28:29], -v[23:24], v[23:24], v[19:20]
	v_fma_f64 v[21:22], v[28:29], v[21:22], v[23:24]
	s_delay_alu instid0(VALU_DEP_1) | instskip(SKIP_1) | instid1(VALU_DEP_2)
	v_dual_cndmask_b32 v20, v22, v20 :: v_dual_cndmask_b32 v19, v21, v19
	v_cmp_o_f64_e32 vcc_lo, v[15:16], v[15:16]
	v_ldexp_f64 v[19:20], v[19:20], v30
	s_delay_alu instid0(VALU_DEP_1) | instskip(NEXT) | instid1(VALU_DEP_2)
	v_cndmask_b32_e32 v19, 0, v19, vcc_lo
	v_cndmask_b32_e32 v20, 0x7ff80000, v20, vcc_lo
	s_delay_alu instid0(VALU_DEP_2) | instskip(NEXT) | instid1(VALU_DEP_2)
	v_cndmask_b32_e64 v19, v19, 0, s29
	v_cndmask_b32_e64 v20, v20, 0x7ff00000, s29
	s_and_saveexec_b32 s29, s3
	s_delay_alu instid0(SALU_CYCLE_1)
	s_xor_b32 s3, exec_lo, s29
	s_cbranch_execnz .LBB228_112
; %bb.17:                               ;   in Loop: Header=BB228_6 Depth=1
	s_and_not1_saveexec_b32 s3, s3
	s_cbranch_execnz .LBB228_113
.LBB228_18:                             ;   in Loop: Header=BB228_6 Depth=1
	s_or_b32 exec_lo, exec_lo, s3
	s_and_saveexec_b32 s3, s2
	s_delay_alu instid0(SALU_CYCLE_1)
	s_xor_b32 s2, exec_lo, s3
	s_cbranch_execnz .LBB228_114
.LBB228_19:                             ;   in Loop: Header=BB228_6 Depth=1
	s_and_not1_saveexec_b32 s2, s2
.LBB228_20:                             ;   in Loop: Header=BB228_6 Depth=1
	s_delay_alu instid0(VALU_DEP_2) | instskip(NEXT) | instid1(VALU_DEP_2)
	v_add_f64 v[13:14], v[13:14], v[13:14]
	v_add_f64 v[15:16], v[15:16], v[15:16]
.LBB228_21:                             ;   in Loop: Header=BB228_6 Depth=1
	s_or_b32 exec_lo, exec_lo, s2
.LBB228_22:                             ;   in Loop: Header=BB228_6 Depth=1
	s_and_not1_saveexec_b32 s2, s27
	s_cbranch_execz .LBB228_111
; %bb.23:                               ;   in Loop: Header=BB228_6 Depth=1
	s_delay_alu instid0(VALU_DEP_1) | instskip(SKIP_1) | instid1(VALU_DEP_3)
	v_add_f64 v[19:20], v[15:16], -v[15:16]
	s_mov_b32 s3, exec_lo
	v_cmpx_lt_i64_e32 -1, v[13:14]
	s_xor_b32 s3, exec_lo, s3
; %bb.24:                               ;   in Loop: Header=BB228_6 Depth=1
	s_delay_alu instid0(VALU_DEP_2) | instskip(NEXT) | instid1(VALU_DEP_1)
	v_bfi_b32 v20, 0x7fffffff, v20, v16
	v_dual_mov_b32 v15, v19 :: v_dual_mov_b32 v16, v20
                                        ; implicit-def: $vgpr19_vgpr20
; %bb.25:                               ;   in Loop: Header=BB228_6 Depth=1
	s_and_not1_saveexec_b32 s3, s3
; %bb.26:                               ;   in Loop: Header=BB228_6 Depth=1
	s_delay_alu instid0(VALU_DEP_1) | instskip(SKIP_1) | instid1(VALU_DEP_2)
	v_bfi_b32 v14, 0x7fffffff, v14, v16
	v_and_b32_e32 v20, 0x7fffffff, v20
	v_dual_mov_b32 v16, v14 :: v_dual_mov_b32 v15, v13
	s_delay_alu instid0(VALU_DEP_2)
	v_dual_mov_b32 v13, v19 :: v_dual_mov_b32 v14, v20
; %bb.27:                               ;   in Loop: Header=BB228_6 Depth=1
	s_or_b32 exec_lo, exec_lo, s3
	s_delay_alu instid0(SALU_CYCLE_1)
	s_or_b32 exec_lo, exec_lo, s2
.LBB228_28:                             ;   in Loop: Header=BB228_6 Depth=1
	s_and_not1_saveexec_b32 s2, s26
.LBB228_29:                             ;   in Loop: Header=BB228_6 Depth=1
	s_delay_alu instid0(VALU_DEP_1) | instskip(NEXT) | instid1(VALU_DEP_1)
	v_add_f64 v[15:16], v[15:16], -v[15:16]
	v_div_scale_f64 v[19:20], vcc_lo, v[15:16], v[15:16], v[15:16]
	s_delay_alu instid0(VALU_DEP_1) | instskip(SKIP_2) | instid1(VALU_DEP_1)
	v_rcp_f64_e32 v[21:22], v[19:20]
	s_waitcnt_depctr 0xfff
	v_fma_f64 v[23:24], -v[19:20], v[21:22], 1.0
	v_fma_f64 v[21:22], v[21:22], v[23:24], v[21:22]
	s_delay_alu instid0(VALU_DEP_1) | instskip(NEXT) | instid1(VALU_DEP_1)
	v_fma_f64 v[23:24], -v[19:20], v[21:22], 1.0
	v_fma_f64 v[21:22], v[21:22], v[23:24], v[21:22]
	s_delay_alu instid0(VALU_DEP_1) | instskip(NEXT) | instid1(VALU_DEP_1)
	v_mul_f64 v[23:24], v[19:20], v[21:22]
	v_fma_f64 v[19:20], -v[19:20], v[23:24], v[19:20]
	s_delay_alu instid0(VALU_DEP_1) | instskip(NEXT) | instid1(VALU_DEP_1)
	v_div_fmas_f64 v[19:20], v[19:20], v[21:22], v[23:24]
	v_div_fixup_f64 v[15:16], v[19:20], v[15:16], v[15:16]
.LBB228_30:                             ;   in Loop: Header=BB228_6 Depth=1
	s_or_b32 exec_lo, exec_lo, s2
	s_delay_alu instid0(VALU_DEP_2)
	v_dual_mov_b32 v22, v14 :: v_dual_mov_b32 v21, v13
.LBB228_31:                             ;   in Loop: Header=BB228_6 Depth=1
	s_or_b32 exec_lo, exec_lo, s25
.LBB228_32:                             ;   in Loop: Header=BB228_6 Depth=1
	s_delay_alu instid0(SALU_CYCLE_1) | instskip(SKIP_3) | instid1(VALU_DEP_1)
	s_or_b32 exec_lo, exec_lo, s24
	s_waitcnt vmcnt(2)
	v_cmp_neq_f64_e32 vcc_lo, 0, v[9:10]
	v_cmp_neq_f64_e64 s2, 0, v[11:12]
	s_or_b32 s2, vcc_lo, s2
	s_delay_alu instid0(SALU_CYCLE_1)
	s_and_saveexec_b32 s24, s2
	s_cbranch_execz .LBB228_59
; %bb.33:                               ;   in Loop: Header=BB228_6 Depth=1
	v_mov_b32_e32 v17, s12
	v_mov_b32_e32 v18, s13
	s_mov_b32 s25, exec_lo
	v_cmpx_neq_f64_e64 0x7ff00000, |v[11:12]|
	s_cbranch_execz .LBB228_58
; %bb.34:                               ;   in Loop: Header=BB228_6 Depth=1
	s_mov_b32 s2, exec_lo
	v_cmpx_o_f64_e32 v[9:10], v[9:10]
	s_xor_b32 s26, exec_lo, s2
	s_cbranch_execz .LBB228_55
; %bb.35:                               ;   in Loop: Header=BB228_6 Depth=1
	s_mov_b32 s3, exec_lo
	v_cmpx_neq_f64_e64 0x7ff00000, |v[9:10]|
	s_xor_b32 s27, exec_lo, s3
	s_cbranch_execz .LBB228_48
; %bb.36:                               ;   in Loop: Header=BB228_6 Depth=1
	v_max_f64 v[13:14], |v[11:12]|, |v[11:12]|
	v_max_f64 v[17:18], |v[9:10]|, |v[9:10]|
                                        ; implicit-def: $sgpr28
	s_delay_alu instid0(VALU_DEP_1) | instskip(NEXT) | instid1(VALU_DEP_1)
	v_max_f64 v[13:14], v[17:18], v[13:14]
	v_cmp_nle_f64_e64 s2, s[10:11], v[13:14]
	s_delay_alu instid0(VALU_DEP_1) | instskip(NEXT) | instid1(SALU_CYCLE_1)
	s_and_saveexec_b32 s3, s2
	s_xor_b32 s3, exec_lo, s3
	s_cbranch_execz .LBB228_40
; %bb.37:                               ;   in Loop: Header=BB228_6 Depth=1
	v_cmp_ge_f64_e64 s28, 0x200000, |v[9:10]|
	v_cmp_ge_f64_e64 s29, 0x200000, |v[11:12]|
	s_delay_alu instid0(VALU_DEP_1)
	s_and_b32 s30, s28, s29
	s_mov_b32 s28, 0
	s_and_saveexec_b32 s29, s30
; %bb.38:                               ;   in Loop: Header=BB228_6 Depth=1
	v_mul_f64 v[9:10], v[9:10], 4.0
	v_mul_f64 v[11:12], v[11:12], 4.0
	s_mov_b32 s28, exec_lo
; %bb.39:                               ;   in Loop: Header=BB228_6 Depth=1
	s_or_b32 exec_lo, exec_lo, s29
	s_delay_alu instid0(SALU_CYCLE_1)
	s_and_b32 s28, s28, exec_lo
.LBB228_40:                             ;   in Loop: Header=BB228_6 Depth=1
	s_and_not1_saveexec_b32 s3, s3
; %bb.41:                               ;   in Loop: Header=BB228_6 Depth=1
	s_delay_alu instid0(VALU_DEP_2) | instskip(NEXT) | instid1(VALU_DEP_2)
	v_ldexp_f64 v[9:10], v[9:10], -2
	v_ldexp_f64 v[11:12], v[11:12], -2
	s_and_not1_b32 s28, s28, exec_lo
; %bb.42:                               ;   in Loop: Header=BB228_6 Depth=1
	s_or_b32 exec_lo, exec_lo, s3
	s_delay_alu instid0(VALU_DEP_1) | instskip(NEXT) | instid1(VALU_DEP_3)
	v_max_f64 v[13:14], |v[11:12]|, |v[11:12]|
	v_max_f64 v[17:18], |v[9:10]|, |v[9:10]|
	v_cmp_class_f64_e64 s29, v[9:10], 0x204
	v_cmp_class_f64_e64 s30, v[11:12], 0x204
	v_cmp_le_f64_e64 s3, 0, v[9:10]
	s_delay_alu instid0(VALU_DEP_4) | instskip(NEXT) | instid1(VALU_DEP_3)
	v_max_f64 v[13:14], v[17:18], v[13:14]
	s_or_b32 s29, s30, s29
	s_delay_alu instid0(VALU_DEP_1) | instskip(NEXT) | instid1(VALU_DEP_1)
	v_frexp_exp_i32_f64_e32 v28, v[13:14]
	v_sub_nc_u32_e32 v17, 0, v28
	s_delay_alu instid0(VALU_DEP_1) | instskip(SKIP_1) | instid1(VALU_DEP_2)
	v_ldexp_f64 v[13:14], |v[11:12]|, v17
	v_ldexp_f64 v[17:18], |v[9:10]|, v17
	v_mul_f64 v[13:14], v[13:14], v[13:14]
	s_delay_alu instid0(VALU_DEP_1) | instskip(NEXT) | instid1(VALU_DEP_1)
	v_fma_f64 v[13:14], v[17:18], v[17:18], v[13:14]
	v_rsq_f64_e32 v[17:18], v[13:14]
	v_cmp_eq_f64_e32 vcc_lo, 0, v[13:14]
	s_waitcnt_depctr 0xfff
	v_mul_f64 v[19:20], v[13:14], v[17:18]
	v_mul_f64 v[17:18], v[17:18], 0.5
	s_delay_alu instid0(VALU_DEP_1) | instskip(NEXT) | instid1(VALU_DEP_1)
	v_fma_f64 v[23:24], -v[17:18], v[19:20], 0.5
	v_fma_f64 v[19:20], v[19:20], v[23:24], v[19:20]
	v_fma_f64 v[17:18], v[17:18], v[23:24], v[17:18]
	s_delay_alu instid0(VALU_DEP_2) | instskip(NEXT) | instid1(VALU_DEP_1)
	v_fma_f64 v[23:24], -v[19:20], v[19:20], v[13:14]
	v_fma_f64 v[17:18], v[23:24], v[17:18], v[19:20]
	s_delay_alu instid0(VALU_DEP_1) | instskip(SKIP_1) | instid1(VALU_DEP_2)
	v_dual_cndmask_b32 v14, v18, v14 :: v_dual_cndmask_b32 v13, v17, v13
	v_cmp_o_f64_e32 vcc_lo, v[11:12], v[11:12]
	v_ldexp_f64 v[13:14], v[13:14], v28
	s_delay_alu instid0(VALU_DEP_1) | instskip(NEXT) | instid1(VALU_DEP_2)
	v_cndmask_b32_e32 v13, 0, v13, vcc_lo
	v_cndmask_b32_e32 v14, 0x7ff80000, v14, vcc_lo
	s_delay_alu instid0(VALU_DEP_2) | instskip(NEXT) | instid1(VALU_DEP_2)
	v_cndmask_b32_e64 v13, v13, 0, s29
	v_cndmask_b32_e64 v14, v14, 0x7ff00000, s29
	s_and_saveexec_b32 s29, s3
	s_delay_alu instid0(SALU_CYCLE_1)
	s_xor_b32 s3, exec_lo, s29
	s_cbranch_execnz .LBB228_117
; %bb.43:                               ;   in Loop: Header=BB228_6 Depth=1
	s_and_not1_saveexec_b32 s3, s3
	s_cbranch_execnz .LBB228_118
.LBB228_44:                             ;   in Loop: Header=BB228_6 Depth=1
	s_or_b32 exec_lo, exec_lo, s3
	s_and_saveexec_b32 s3, s2
	s_delay_alu instid0(SALU_CYCLE_1)
	s_xor_b32 s2, exec_lo, s3
	s_cbranch_execnz .LBB228_119
.LBB228_45:                             ;   in Loop: Header=BB228_6 Depth=1
	s_and_not1_saveexec_b32 s2, s2
.LBB228_46:                             ;   in Loop: Header=BB228_6 Depth=1
	s_delay_alu instid0(VALU_DEP_2) | instskip(NEXT) | instid1(VALU_DEP_2)
	v_add_f64 v[9:10], v[9:10], v[9:10]
	v_add_f64 v[11:12], v[11:12], v[11:12]
.LBB228_47:                             ;   in Loop: Header=BB228_6 Depth=1
	s_or_b32 exec_lo, exec_lo, s2
.LBB228_48:                             ;   in Loop: Header=BB228_6 Depth=1
	s_and_not1_saveexec_b32 s2, s27
	s_cbranch_execz .LBB228_54
; %bb.49:                               ;   in Loop: Header=BB228_6 Depth=1
	s_delay_alu instid0(VALU_DEP_1) | instskip(SKIP_1) | instid1(VALU_DEP_3)
	v_add_f64 v[13:14], v[11:12], -v[11:12]
	s_mov_b32 s3, exec_lo
	v_cmpx_lt_i64_e32 -1, v[9:10]
	s_xor_b32 s3, exec_lo, s3
; %bb.50:                               ;   in Loop: Header=BB228_6 Depth=1
	s_delay_alu instid0(VALU_DEP_2) | instskip(NEXT) | instid1(VALU_DEP_1)
	v_bfi_b32 v14, 0x7fffffff, v14, v12
	v_dual_mov_b32 v11, v13 :: v_dual_mov_b32 v12, v14
                                        ; implicit-def: $vgpr13_vgpr14
; %bb.51:                               ;   in Loop: Header=BB228_6 Depth=1
	s_and_not1_saveexec_b32 s3, s3
; %bb.52:                               ;   in Loop: Header=BB228_6 Depth=1
	s_delay_alu instid0(VALU_DEP_1) | instskip(SKIP_1) | instid1(VALU_DEP_2)
	v_bfi_b32 v10, 0x7fffffff, v10, v12
	v_and_b32_e32 v14, 0x7fffffff, v14
	v_dual_mov_b32 v12, v10 :: v_dual_mov_b32 v11, v9
	s_delay_alu instid0(VALU_DEP_2)
	v_dual_mov_b32 v9, v13 :: v_dual_mov_b32 v10, v14
; %bb.53:                               ;   in Loop: Header=BB228_6 Depth=1
	s_or_b32 exec_lo, exec_lo, s3
.LBB228_54:                             ;   in Loop: Header=BB228_6 Depth=1
	s_delay_alu instid0(SALU_CYCLE_1)
	s_or_b32 exec_lo, exec_lo, s2
.LBB228_55:                             ;   in Loop: Header=BB228_6 Depth=1
	s_and_not1_saveexec_b32 s2, s26
; %bb.56:                               ;   in Loop: Header=BB228_6 Depth=1
	s_delay_alu instid0(VALU_DEP_1) | instskip(NEXT) | instid1(VALU_DEP_1)
	v_add_f64 v[11:12], v[11:12], -v[11:12]
	v_div_scale_f64 v[13:14], vcc_lo, v[11:12], v[11:12], v[11:12]
	s_delay_alu instid0(VALU_DEP_1) | instskip(SKIP_2) | instid1(VALU_DEP_1)
	v_rcp_f64_e32 v[17:18], v[13:14]
	s_waitcnt_depctr 0xfff
	v_fma_f64 v[19:20], -v[13:14], v[17:18], 1.0
	v_fma_f64 v[17:18], v[17:18], v[19:20], v[17:18]
	s_delay_alu instid0(VALU_DEP_1) | instskip(NEXT) | instid1(VALU_DEP_1)
	v_fma_f64 v[19:20], -v[13:14], v[17:18], 1.0
	v_fma_f64 v[17:18], v[17:18], v[19:20], v[17:18]
	s_delay_alu instid0(VALU_DEP_1) | instskip(NEXT) | instid1(VALU_DEP_1)
	v_mul_f64 v[19:20], v[13:14], v[17:18]
	v_fma_f64 v[13:14], -v[13:14], v[19:20], v[13:14]
	s_delay_alu instid0(VALU_DEP_1) | instskip(NEXT) | instid1(VALU_DEP_1)
	v_div_fmas_f64 v[13:14], v[13:14], v[17:18], v[19:20]
	v_div_fixup_f64 v[11:12], v[13:14], v[11:12], v[11:12]
; %bb.57:                               ;   in Loop: Header=BB228_6 Depth=1
	s_or_b32 exec_lo, exec_lo, s2
	v_dual_mov_b32 v18, v10 :: v_dual_mov_b32 v17, v9
.LBB228_58:                             ;   in Loop: Header=BB228_6 Depth=1
	s_or_b32 exec_lo, exec_lo, s25
.LBB228_59:                             ;   in Loop: Header=BB228_6 Depth=1
	s_delay_alu instid0(SALU_CYCLE_1)
	s_or_b32 exec_lo, exec_lo, s24
	s_waitcnt vmcnt(0)
	v_cmp_neq_f64_e32 vcc_lo, 0, v[5:6]
	v_cmp_neq_f64_e64 s2, 0, v[7:8]
	v_mov_b32_e32 v9, 0
	v_mov_b32_e32 v10, 0
	s_delay_alu instid0(VALU_DEP_1) | instskip(NEXT) | instid1(VALU_DEP_4)
	v_dual_mov_b32 v14, v10 :: v_dual_mov_b32 v13, v9
	s_or_b32 s2, vcc_lo, s2
	s_delay_alu instid0(SALU_CYCLE_1)
	s_and_saveexec_b32 s24, s2
	s_cbranch_execz .LBB228_86
; %bb.60:                               ;   in Loop: Header=BB228_6 Depth=1
	v_mov_b32_e32 v13, s12
	v_mov_b32_e32 v14, s13
	s_mov_b32 s25, exec_lo
	v_cmpx_neq_f64_e64 0x7ff00000, |v[7:8]|
	s_cbranch_execz .LBB228_85
; %bb.61:                               ;   in Loop: Header=BB228_6 Depth=1
	s_mov_b32 s2, exec_lo
	v_cmpx_o_f64_e32 v[5:6], v[5:6]
	s_xor_b32 s26, exec_lo, s2
	s_cbranch_execz .LBB228_82
; %bb.62:                               ;   in Loop: Header=BB228_6 Depth=1
	s_mov_b32 s3, exec_lo
	v_cmpx_neq_f64_e64 0x7ff00000, |v[5:6]|
	s_xor_b32 s27, exec_lo, s3
	s_cbranch_execz .LBB228_75
; %bb.63:                               ;   in Loop: Header=BB228_6 Depth=1
	v_max_f64 v[13:14], |v[7:8]|, |v[7:8]|
	v_max_f64 v[19:20], |v[5:6]|, |v[5:6]|
                                        ; implicit-def: $sgpr28
	s_delay_alu instid0(VALU_DEP_1) | instskip(NEXT) | instid1(VALU_DEP_1)
	v_max_f64 v[13:14], v[19:20], v[13:14]
	v_cmp_nle_f64_e64 s2, s[10:11], v[13:14]
	s_delay_alu instid0(VALU_DEP_1) | instskip(NEXT) | instid1(SALU_CYCLE_1)
	s_and_saveexec_b32 s3, s2
	s_xor_b32 s3, exec_lo, s3
	s_cbranch_execz .LBB228_67
; %bb.64:                               ;   in Loop: Header=BB228_6 Depth=1
	v_cmp_ge_f64_e64 s28, 0x200000, |v[5:6]|
	v_cmp_ge_f64_e64 s29, 0x200000, |v[7:8]|
	s_delay_alu instid0(VALU_DEP_1)
	s_and_b32 s30, s28, s29
	s_mov_b32 s28, 0
	s_and_saveexec_b32 s29, s30
; %bb.65:                               ;   in Loop: Header=BB228_6 Depth=1
	v_mul_f64 v[5:6], v[5:6], 4.0
	v_mul_f64 v[7:8], v[7:8], 4.0
	s_mov_b32 s28, exec_lo
; %bb.66:                               ;   in Loop: Header=BB228_6 Depth=1
	s_or_b32 exec_lo, exec_lo, s29
	s_delay_alu instid0(SALU_CYCLE_1)
	s_and_b32 s28, s28, exec_lo
.LBB228_67:                             ;   in Loop: Header=BB228_6 Depth=1
	s_and_not1_saveexec_b32 s3, s3
; %bb.68:                               ;   in Loop: Header=BB228_6 Depth=1
	s_delay_alu instid0(VALU_DEP_2) | instskip(NEXT) | instid1(VALU_DEP_2)
	v_ldexp_f64 v[5:6], v[5:6], -2
	v_ldexp_f64 v[7:8], v[7:8], -2
	s_and_not1_b32 s28, s28, exec_lo
; %bb.69:                               ;   in Loop: Header=BB228_6 Depth=1
	s_or_b32 exec_lo, exec_lo, s3
	s_delay_alu instid0(VALU_DEP_1) | instskip(NEXT) | instid1(VALU_DEP_3)
	v_max_f64 v[13:14], |v[7:8]|, |v[7:8]|
	v_max_f64 v[19:20], |v[5:6]|, |v[5:6]|
	v_cmp_class_f64_e64 s29, v[5:6], 0x204
	v_cmp_class_f64_e64 s30, v[7:8], 0x204
	v_cmp_le_f64_e64 s3, 0, v[5:6]
	s_delay_alu instid0(VALU_DEP_4) | instskip(NEXT) | instid1(VALU_DEP_3)
	v_max_f64 v[13:14], v[19:20], v[13:14]
	s_or_b32 s29, s30, s29
	s_delay_alu instid0(VALU_DEP_1) | instskip(NEXT) | instid1(VALU_DEP_1)
	v_frexp_exp_i32_f64_e32 v30, v[13:14]
	v_sub_nc_u32_e32 v19, 0, v30
	s_delay_alu instid0(VALU_DEP_1) | instskip(SKIP_1) | instid1(VALU_DEP_2)
	v_ldexp_f64 v[13:14], |v[7:8]|, v19
	v_ldexp_f64 v[19:20], |v[5:6]|, v19
	v_mul_f64 v[13:14], v[13:14], v[13:14]
	s_delay_alu instid0(VALU_DEP_1) | instskip(NEXT) | instid1(VALU_DEP_1)
	v_fma_f64 v[13:14], v[19:20], v[19:20], v[13:14]
	v_rsq_f64_e32 v[19:20], v[13:14]
	v_cmp_eq_f64_e32 vcc_lo, 0, v[13:14]
	s_waitcnt_depctr 0xfff
	v_mul_f64 v[23:24], v[13:14], v[19:20]
	v_mul_f64 v[19:20], v[19:20], 0.5
	s_delay_alu instid0(VALU_DEP_1) | instskip(NEXT) | instid1(VALU_DEP_1)
	v_fma_f64 v[28:29], -v[19:20], v[23:24], 0.5
	v_fma_f64 v[23:24], v[23:24], v[28:29], v[23:24]
	v_fma_f64 v[19:20], v[19:20], v[28:29], v[19:20]
	s_delay_alu instid0(VALU_DEP_2) | instskip(NEXT) | instid1(VALU_DEP_1)
	v_fma_f64 v[28:29], -v[23:24], v[23:24], v[13:14]
	v_fma_f64 v[19:20], v[28:29], v[19:20], v[23:24]
	s_delay_alu instid0(VALU_DEP_1) | instskip(SKIP_1) | instid1(VALU_DEP_2)
	v_dual_cndmask_b32 v14, v20, v14 :: v_dual_cndmask_b32 v13, v19, v13
	v_cmp_o_f64_e32 vcc_lo, v[7:8], v[7:8]
	v_ldexp_f64 v[13:14], v[13:14], v30
	s_delay_alu instid0(VALU_DEP_1) | instskip(NEXT) | instid1(VALU_DEP_2)
	v_cndmask_b32_e32 v13, 0, v13, vcc_lo
	v_cndmask_b32_e32 v14, 0x7ff80000, v14, vcc_lo
	s_delay_alu instid0(VALU_DEP_2) | instskip(NEXT) | instid1(VALU_DEP_2)
	v_cndmask_b32_e64 v13, v13, 0, s29
	v_cndmask_b32_e64 v14, v14, 0x7ff00000, s29
	s_and_saveexec_b32 s29, s3
	s_delay_alu instid0(SALU_CYCLE_1)
	s_xor_b32 s3, exec_lo, s29
	s_cbranch_execnz .LBB228_122
; %bb.70:                               ;   in Loop: Header=BB228_6 Depth=1
	s_and_not1_saveexec_b32 s3, s3
	s_cbranch_execnz .LBB228_123
.LBB228_71:                             ;   in Loop: Header=BB228_6 Depth=1
	s_or_b32 exec_lo, exec_lo, s3
	s_and_saveexec_b32 s3, s2
	s_delay_alu instid0(SALU_CYCLE_1)
	s_xor_b32 s2, exec_lo, s3
	s_cbranch_execnz .LBB228_124
.LBB228_72:                             ;   in Loop: Header=BB228_6 Depth=1
	s_and_not1_saveexec_b32 s2, s2
.LBB228_73:                             ;   in Loop: Header=BB228_6 Depth=1
	s_delay_alu instid0(VALU_DEP_2) | instskip(NEXT) | instid1(VALU_DEP_2)
	v_add_f64 v[5:6], v[5:6], v[5:6]
	v_add_f64 v[7:8], v[7:8], v[7:8]
.LBB228_74:                             ;   in Loop: Header=BB228_6 Depth=1
	s_or_b32 exec_lo, exec_lo, s2
.LBB228_75:                             ;   in Loop: Header=BB228_6 Depth=1
	s_and_not1_saveexec_b32 s2, s27
	s_cbranch_execz .LBB228_81
; %bb.76:                               ;   in Loop: Header=BB228_6 Depth=1
	s_delay_alu instid0(VALU_DEP_1) | instskip(SKIP_1) | instid1(VALU_DEP_3)
	v_add_f64 v[13:14], v[7:8], -v[7:8]
	s_mov_b32 s3, exec_lo
	v_cmpx_lt_i64_e32 -1, v[5:6]
	s_xor_b32 s3, exec_lo, s3
; %bb.77:                               ;   in Loop: Header=BB228_6 Depth=1
	s_delay_alu instid0(VALU_DEP_2) | instskip(NEXT) | instid1(VALU_DEP_1)
	v_bfi_b32 v14, 0x7fffffff, v14, v8
	v_dual_mov_b32 v7, v13 :: v_dual_mov_b32 v8, v14
                                        ; implicit-def: $vgpr13_vgpr14
; %bb.78:                               ;   in Loop: Header=BB228_6 Depth=1
	s_and_not1_saveexec_b32 s3, s3
; %bb.79:                               ;   in Loop: Header=BB228_6 Depth=1
	s_delay_alu instid0(VALU_DEP_1) | instskip(SKIP_1) | instid1(VALU_DEP_2)
	v_bfi_b32 v6, 0x7fffffff, v6, v8
	v_and_b32_e32 v14, 0x7fffffff, v14
	v_dual_mov_b32 v8, v6 :: v_dual_mov_b32 v7, v5
	s_delay_alu instid0(VALU_DEP_2)
	v_dual_mov_b32 v5, v13 :: v_dual_mov_b32 v6, v14
; %bb.80:                               ;   in Loop: Header=BB228_6 Depth=1
	s_or_b32 exec_lo, exec_lo, s3
.LBB228_81:                             ;   in Loop: Header=BB228_6 Depth=1
	s_delay_alu instid0(SALU_CYCLE_1)
	s_or_b32 exec_lo, exec_lo, s2
.LBB228_82:                             ;   in Loop: Header=BB228_6 Depth=1
	s_and_not1_saveexec_b32 s2, s26
; %bb.83:                               ;   in Loop: Header=BB228_6 Depth=1
	s_delay_alu instid0(VALU_DEP_1) | instskip(NEXT) | instid1(VALU_DEP_1)
	v_add_f64 v[7:8], v[7:8], -v[7:8]
	v_div_scale_f64 v[13:14], vcc_lo, v[7:8], v[7:8], v[7:8]
	s_delay_alu instid0(VALU_DEP_1) | instskip(SKIP_2) | instid1(VALU_DEP_1)
	v_rcp_f64_e32 v[19:20], v[13:14]
	s_waitcnt_depctr 0xfff
	v_fma_f64 v[23:24], -v[13:14], v[19:20], 1.0
	v_fma_f64 v[19:20], v[19:20], v[23:24], v[19:20]
	s_delay_alu instid0(VALU_DEP_1) | instskip(NEXT) | instid1(VALU_DEP_1)
	v_fma_f64 v[23:24], -v[13:14], v[19:20], 1.0
	v_fma_f64 v[19:20], v[19:20], v[23:24], v[19:20]
	s_delay_alu instid0(VALU_DEP_1) | instskip(NEXT) | instid1(VALU_DEP_1)
	v_mul_f64 v[23:24], v[13:14], v[19:20]
	v_fma_f64 v[13:14], -v[13:14], v[23:24], v[13:14]
	s_delay_alu instid0(VALU_DEP_1) | instskip(NEXT) | instid1(VALU_DEP_1)
	v_div_fmas_f64 v[13:14], v[13:14], v[19:20], v[23:24]
	v_div_fixup_f64 v[7:8], v[13:14], v[7:8], v[7:8]
; %bb.84:                               ;   in Loop: Header=BB228_6 Depth=1
	s_or_b32 exec_lo, exec_lo, s2
	v_dual_mov_b32 v14, v6 :: v_dual_mov_b32 v13, v5
.LBB228_85:                             ;   in Loop: Header=BB228_6 Depth=1
	s_or_b32 exec_lo, exec_lo, s25
.LBB228_86:                             ;   in Loop: Header=BB228_6 Depth=1
	s_delay_alu instid0(SALU_CYCLE_1) | instskip(SKIP_2) | instid1(VALU_DEP_1)
	s_or_b32 exec_lo, exec_lo, s24
	v_cmp_neq_f64_e32 vcc_lo, 0, v[1:2]
	v_cmp_neq_f64_e64 s2, 0, v[3:4]
	s_or_b32 s2, vcc_lo, s2
	s_delay_alu instid0(SALU_CYCLE_1)
	s_and_saveexec_b32 s24, s2
	s_cbranch_execz .LBB228_5
; %bb.87:                               ;   in Loop: Header=BB228_6 Depth=1
	v_mov_b32_e32 v9, s12
	v_mov_b32_e32 v10, s13
	s_mov_b32 s25, exec_lo
	v_cmpx_neq_f64_e64 0x7ff00000, |v[3:4]|
	s_cbranch_execz .LBB228_4
; %bb.88:                               ;   in Loop: Header=BB228_6 Depth=1
	s_mov_b32 s2, exec_lo
	v_cmpx_o_f64_e32 v[1:2], v[1:2]
	s_xor_b32 s26, exec_lo, s2
	s_cbranch_execz .LBB228_109
; %bb.89:                               ;   in Loop: Header=BB228_6 Depth=1
	s_mov_b32 s3, exec_lo
	v_cmpx_neq_f64_e64 0x7ff00000, |v[1:2]|
	s_xor_b32 s27, exec_lo, s3
	s_cbranch_execz .LBB228_102
; %bb.90:                               ;   in Loop: Header=BB228_6 Depth=1
	v_max_f64 v[5:6], |v[3:4]|, |v[3:4]|
	v_max_f64 v[9:10], |v[1:2]|, |v[1:2]|
                                        ; implicit-def: $sgpr28
	s_delay_alu instid0(VALU_DEP_1) | instskip(NEXT) | instid1(VALU_DEP_1)
	v_max_f64 v[5:6], v[9:10], v[5:6]
	v_cmp_nle_f64_e64 s2, s[10:11], v[5:6]
	s_delay_alu instid0(VALU_DEP_1) | instskip(NEXT) | instid1(SALU_CYCLE_1)
	s_and_saveexec_b32 s3, s2
	s_xor_b32 s3, exec_lo, s3
	s_cbranch_execz .LBB228_94
; %bb.91:                               ;   in Loop: Header=BB228_6 Depth=1
	v_cmp_ge_f64_e64 s28, 0x200000, |v[1:2]|
	v_cmp_ge_f64_e64 s29, 0x200000, |v[3:4]|
	s_delay_alu instid0(VALU_DEP_1)
	s_and_b32 s30, s28, s29
	s_mov_b32 s28, 0
	s_and_saveexec_b32 s29, s30
; %bb.92:                               ;   in Loop: Header=BB228_6 Depth=1
	v_mul_f64 v[1:2], v[1:2], 4.0
	v_mul_f64 v[3:4], v[3:4], 4.0
	s_mov_b32 s28, exec_lo
; %bb.93:                               ;   in Loop: Header=BB228_6 Depth=1
	s_or_b32 exec_lo, exec_lo, s29
	s_delay_alu instid0(SALU_CYCLE_1)
	s_and_b32 s28, s28, exec_lo
.LBB228_94:                             ;   in Loop: Header=BB228_6 Depth=1
	s_and_not1_saveexec_b32 s3, s3
; %bb.95:                               ;   in Loop: Header=BB228_6 Depth=1
	s_delay_alu instid0(VALU_DEP_2) | instskip(NEXT) | instid1(VALU_DEP_2)
	v_ldexp_f64 v[1:2], v[1:2], -2
	v_ldexp_f64 v[3:4], v[3:4], -2
	s_and_not1_b32 s28, s28, exec_lo
; %bb.96:                               ;   in Loop: Header=BB228_6 Depth=1
	s_or_b32 exec_lo, exec_lo, s3
	s_delay_alu instid0(VALU_DEP_1) | instskip(NEXT) | instid1(VALU_DEP_3)
	v_max_f64 v[5:6], |v[3:4]|, |v[3:4]|
	v_max_f64 v[9:10], |v[1:2]|, |v[1:2]|
	v_cmp_class_f64_e64 s29, v[1:2], 0x204
	v_cmp_class_f64_e64 s30, v[3:4], 0x204
	v_cmp_le_f64_e64 s3, 0, v[1:2]
	s_delay_alu instid0(VALU_DEP_4) | instskip(NEXT) | instid1(VALU_DEP_3)
	v_max_f64 v[5:6], v[9:10], v[5:6]
	s_or_b32 s29, s30, s29
	s_delay_alu instid0(VALU_DEP_1) | instskip(NEXT) | instid1(VALU_DEP_1)
	v_frexp_exp_i32_f64_e32 v28, v[5:6]
	v_sub_nc_u32_e32 v9, 0, v28
	s_delay_alu instid0(VALU_DEP_1) | instskip(SKIP_1) | instid1(VALU_DEP_2)
	v_ldexp_f64 v[5:6], |v[3:4]|, v9
	v_ldexp_f64 v[9:10], |v[1:2]|, v9
	v_mul_f64 v[5:6], v[5:6], v[5:6]
	s_delay_alu instid0(VALU_DEP_1) | instskip(NEXT) | instid1(VALU_DEP_1)
	v_fma_f64 v[5:6], v[9:10], v[9:10], v[5:6]
	v_rsq_f64_e32 v[9:10], v[5:6]
	v_cmp_eq_f64_e32 vcc_lo, 0, v[5:6]
	s_waitcnt_depctr 0xfff
	v_mul_f64 v[19:20], v[5:6], v[9:10]
	v_mul_f64 v[9:10], v[9:10], 0.5
	s_delay_alu instid0(VALU_DEP_1) | instskip(NEXT) | instid1(VALU_DEP_1)
	v_fma_f64 v[23:24], -v[9:10], v[19:20], 0.5
	v_fma_f64 v[19:20], v[19:20], v[23:24], v[19:20]
	v_fma_f64 v[9:10], v[9:10], v[23:24], v[9:10]
	s_delay_alu instid0(VALU_DEP_2) | instskip(NEXT) | instid1(VALU_DEP_1)
	v_fma_f64 v[23:24], -v[19:20], v[19:20], v[5:6]
	v_fma_f64 v[9:10], v[23:24], v[9:10], v[19:20]
	s_delay_alu instid0(VALU_DEP_1) | instskip(SKIP_1) | instid1(VALU_DEP_2)
	v_dual_cndmask_b32 v6, v10, v6 :: v_dual_cndmask_b32 v5, v9, v5
	v_cmp_o_f64_e32 vcc_lo, v[3:4], v[3:4]
	v_ldexp_f64 v[5:6], v[5:6], v28
	s_delay_alu instid0(VALU_DEP_1) | instskip(NEXT) | instid1(VALU_DEP_2)
	v_cndmask_b32_e32 v5, 0, v5, vcc_lo
	v_cndmask_b32_e32 v6, 0x7ff80000, v6, vcc_lo
	s_delay_alu instid0(VALU_DEP_2) | instskip(NEXT) | instid1(VALU_DEP_2)
	v_cndmask_b32_e64 v5, v5, 0, s29
	v_cndmask_b32_e64 v6, v6, 0x7ff00000, s29
	s_and_saveexec_b32 s29, s3
	s_delay_alu instid0(SALU_CYCLE_1)
	s_xor_b32 s3, exec_lo, s29
	s_cbranch_execnz .LBB228_127
; %bb.97:                               ;   in Loop: Header=BB228_6 Depth=1
	s_and_not1_saveexec_b32 s3, s3
	s_cbranch_execnz .LBB228_128
.LBB228_98:                             ;   in Loop: Header=BB228_6 Depth=1
	s_or_b32 exec_lo, exec_lo, s3
	s_and_saveexec_b32 s3, s2
	s_delay_alu instid0(SALU_CYCLE_1)
	s_xor_b32 s2, exec_lo, s3
	s_cbranch_execnz .LBB228_129
.LBB228_99:                             ;   in Loop: Header=BB228_6 Depth=1
	s_and_not1_saveexec_b32 s2, s2
.LBB228_100:                            ;   in Loop: Header=BB228_6 Depth=1
	s_delay_alu instid0(VALU_DEP_2) | instskip(NEXT) | instid1(VALU_DEP_2)
	v_add_f64 v[1:2], v[1:2], v[1:2]
	v_add_f64 v[3:4], v[3:4], v[3:4]
.LBB228_101:                            ;   in Loop: Header=BB228_6 Depth=1
	s_or_b32 exec_lo, exec_lo, s2
.LBB228_102:                            ;   in Loop: Header=BB228_6 Depth=1
	s_and_not1_saveexec_b32 s2, s27
	s_cbranch_execz .LBB228_108
; %bb.103:                              ;   in Loop: Header=BB228_6 Depth=1
	s_delay_alu instid0(VALU_DEP_1) | instskip(SKIP_1) | instid1(VALU_DEP_3)
	v_add_f64 v[5:6], v[3:4], -v[3:4]
	s_mov_b32 s3, exec_lo
	v_cmpx_lt_i64_e32 -1, v[1:2]
	s_xor_b32 s3, exec_lo, s3
; %bb.104:                              ;   in Loop: Header=BB228_6 Depth=1
	s_delay_alu instid0(VALU_DEP_2) | instskip(NEXT) | instid1(VALU_DEP_1)
	v_bfi_b32 v6, 0x7fffffff, v6, v4
	v_dual_mov_b32 v3, v5 :: v_dual_mov_b32 v4, v6
                                        ; implicit-def: $vgpr5_vgpr6
; %bb.105:                              ;   in Loop: Header=BB228_6 Depth=1
	s_and_not1_saveexec_b32 s3, s3
; %bb.106:                              ;   in Loop: Header=BB228_6 Depth=1
	s_delay_alu instid0(VALU_DEP_1) | instskip(SKIP_1) | instid1(VALU_DEP_2)
	v_bfi_b32 v2, 0x7fffffff, v2, v4
	v_and_b32_e32 v6, 0x7fffffff, v6
	v_dual_mov_b32 v4, v2 :: v_dual_mov_b32 v3, v1
	s_delay_alu instid0(VALU_DEP_2)
	v_dual_mov_b32 v1, v5 :: v_dual_mov_b32 v2, v6
; %bb.107:                              ;   in Loop: Header=BB228_6 Depth=1
	s_or_b32 exec_lo, exec_lo, s3
.LBB228_108:                            ;   in Loop: Header=BB228_6 Depth=1
	s_delay_alu instid0(SALU_CYCLE_1)
	s_or_b32 exec_lo, exec_lo, s2
.LBB228_109:                            ;   in Loop: Header=BB228_6 Depth=1
	s_and_not1_saveexec_b32 s2, s26
	s_cbranch_execz .LBB228_3
; %bb.110:                              ;   in Loop: Header=BB228_6 Depth=1
	s_delay_alu instid0(VALU_DEP_1) | instskip(NEXT) | instid1(VALU_DEP_1)
	v_add_f64 v[3:4], v[3:4], -v[3:4]
	v_div_scale_f64 v[5:6], vcc_lo, v[3:4], v[3:4], v[3:4]
	s_delay_alu instid0(VALU_DEP_1) | instskip(SKIP_2) | instid1(VALU_DEP_1)
	v_rcp_f64_e32 v[9:10], v[5:6]
	s_waitcnt_depctr 0xfff
	v_fma_f64 v[19:20], -v[5:6], v[9:10], 1.0
	v_fma_f64 v[9:10], v[9:10], v[19:20], v[9:10]
	s_delay_alu instid0(VALU_DEP_1) | instskip(NEXT) | instid1(VALU_DEP_1)
	v_fma_f64 v[19:20], -v[5:6], v[9:10], 1.0
	v_fma_f64 v[9:10], v[9:10], v[19:20], v[9:10]
	s_delay_alu instid0(VALU_DEP_1) | instskip(NEXT) | instid1(VALU_DEP_1)
	v_mul_f64 v[19:20], v[5:6], v[9:10]
	v_fma_f64 v[5:6], -v[5:6], v[19:20], v[5:6]
	s_delay_alu instid0(VALU_DEP_1) | instskip(NEXT) | instid1(VALU_DEP_1)
	v_div_fmas_f64 v[5:6], v[5:6], v[9:10], v[19:20]
	v_div_fixup_f64 v[3:4], v[5:6], v[3:4], v[3:4]
	s_branch .LBB228_3
.LBB228_111:                            ;   in Loop: Header=BB228_6 Depth=1
	s_or_b32 exec_lo, exec_lo, s2
	s_and_not1_saveexec_b32 s2, s26
	s_cbranch_execnz .LBB228_29
	s_branch .LBB228_30
.LBB228_112:                            ;   in Loop: Header=BB228_6 Depth=1
	s_delay_alu instid0(VALU_DEP_1) | instskip(NEXT) | instid1(VALU_DEP_1)
	v_add_f64 v[13:14], v[13:14], v[19:20]
	v_mul_f64 v[13:14], v[13:14], 0.5
	s_delay_alu instid0(VALU_DEP_1) | instskip(SKIP_1) | instid1(VALU_DEP_1)
	v_cmp_gt_f64_e32 vcc_lo, 0x10000000, v[13:14]
	v_cndmask_b32_e64 v19, 0, 1, vcc_lo
	v_lshlrev_b32_e32 v19, 8, v19
	s_delay_alu instid0(VALU_DEP_1) | instskip(NEXT) | instid1(VALU_DEP_1)
	v_ldexp_f64 v[13:14], v[13:14], v19
	v_rsq_f64_e32 v[19:20], v[13:14]
	s_waitcnt_depctr 0xfff
	v_mul_f64 v[21:22], v[13:14], v[19:20]
	v_mul_f64 v[19:20], v[19:20], 0.5
	s_delay_alu instid0(VALU_DEP_1) | instskip(NEXT) | instid1(VALU_DEP_1)
	v_fma_f64 v[23:24], -v[19:20], v[21:22], 0.5
	v_fma_f64 v[21:22], v[21:22], v[23:24], v[21:22]
	v_fma_f64 v[19:20], v[19:20], v[23:24], v[19:20]
	s_delay_alu instid0(VALU_DEP_2) | instskip(NEXT) | instid1(VALU_DEP_1)
	v_fma_f64 v[23:24], -v[21:22], v[21:22], v[13:14]
	v_fma_f64 v[21:22], v[23:24], v[19:20], v[21:22]
	s_delay_alu instid0(VALU_DEP_1) | instskip(NEXT) | instid1(VALU_DEP_1)
	v_fma_f64 v[23:24], -v[21:22], v[21:22], v[13:14]
	v_fma_f64 v[19:20], v[23:24], v[19:20], v[21:22]
	v_cndmask_b32_e64 v21, 0, 0xffffff80, vcc_lo
	v_cmp_class_f64_e64 vcc_lo, v[13:14], 0x260
	s_delay_alu instid0(VALU_DEP_2) | instskip(NEXT) | instid1(VALU_DEP_1)
	v_ldexp_f64 v[19:20], v[19:20], v21
	v_dual_cndmask_b32 v14, v20, v14 :: v_dual_cndmask_b32 v13, v19, v13
	s_delay_alu instid0(VALU_DEP_1) | instskip(NEXT) | instid1(VALU_DEP_1)
	v_add_f64 v[19:20], v[13:14], v[13:14]
	v_div_scale_f64 v[21:22], null, v[19:20], v[19:20], v[15:16]
	s_delay_alu instid0(VALU_DEP_1) | instskip(SKIP_2) | instid1(VALU_DEP_1)
	v_rcp_f64_e32 v[23:24], v[21:22]
	s_waitcnt_depctr 0xfff
	v_fma_f64 v[28:29], -v[21:22], v[23:24], 1.0
	v_fma_f64 v[23:24], v[23:24], v[28:29], v[23:24]
	s_delay_alu instid0(VALU_DEP_1) | instskip(NEXT) | instid1(VALU_DEP_1)
	v_fma_f64 v[28:29], -v[21:22], v[23:24], 1.0
	v_fma_f64 v[23:24], v[23:24], v[28:29], v[23:24]
	v_div_scale_f64 v[28:29], vcc_lo, v[15:16], v[19:20], v[15:16]
	s_delay_alu instid0(VALU_DEP_1) | instskip(NEXT) | instid1(VALU_DEP_1)
	v_mul_f64 v[30:31], v[28:29], v[23:24]
	v_fma_f64 v[21:22], -v[21:22], v[30:31], v[28:29]
	s_delay_alu instid0(VALU_DEP_1) | instskip(NEXT) | instid1(VALU_DEP_1)
	v_div_fmas_f64 v[21:22], v[21:22], v[23:24], v[30:31]
	v_div_fixup_f64 v[15:16], v[21:22], v[19:20], v[15:16]
                                        ; implicit-def: $vgpr19_vgpr20
	s_and_not1_saveexec_b32 s3, s3
	s_cbranch_execz .LBB228_18
.LBB228_113:                            ;   in Loop: Header=BB228_6 Depth=1
	v_add_f64 v[13:14], v[19:20], -v[13:14]
	s_delay_alu instid0(VALU_DEP_1) | instskip(NEXT) | instid1(VALU_DEP_1)
	v_mul_f64 v[13:14], v[13:14], 0.5
	v_cmp_gt_f64_e32 vcc_lo, 0x10000000, v[13:14]
	v_cndmask_b32_e64 v19, 0, 1, vcc_lo
	s_delay_alu instid0(VALU_DEP_1) | instskip(NEXT) | instid1(VALU_DEP_1)
	v_lshlrev_b32_e32 v19, 8, v19
	v_ldexp_f64 v[13:14], v[13:14], v19
	s_delay_alu instid0(VALU_DEP_1) | instskip(SKIP_3) | instid1(VALU_DEP_1)
	v_rsq_f64_e32 v[19:20], v[13:14]
	s_waitcnt_depctr 0xfff
	v_mul_f64 v[21:22], v[13:14], v[19:20]
	v_mul_f64 v[19:20], v[19:20], 0.5
	v_fma_f64 v[23:24], -v[19:20], v[21:22], 0.5
	s_delay_alu instid0(VALU_DEP_1) | instskip(SKIP_1) | instid1(VALU_DEP_2)
	v_fma_f64 v[21:22], v[21:22], v[23:24], v[21:22]
	v_fma_f64 v[19:20], v[19:20], v[23:24], v[19:20]
	v_fma_f64 v[23:24], -v[21:22], v[21:22], v[13:14]
	s_delay_alu instid0(VALU_DEP_1) | instskip(NEXT) | instid1(VALU_DEP_1)
	v_fma_f64 v[21:22], v[23:24], v[19:20], v[21:22]
	v_fma_f64 v[23:24], -v[21:22], v[21:22], v[13:14]
	s_delay_alu instid0(VALU_DEP_1) | instskip(SKIP_3) | instid1(VALU_DEP_3)
	v_fma_f64 v[19:20], v[23:24], v[19:20], v[21:22]
	v_cndmask_b32_e64 v21, 0, 0xffffff80, vcc_lo
	v_cmp_class_f64_e64 vcc_lo, v[13:14], 0x260
	v_and_b32_e32 v22, 0x7fffffff, v16
	v_ldexp_f64 v[19:20], v[19:20], v21
	s_delay_alu instid0(VALU_DEP_1) | instskip(NEXT) | instid1(VALU_DEP_1)
	v_dual_cndmask_b32 v20, v20, v14 :: v_dual_cndmask_b32 v19, v19, v13
	v_add_f64 v[13:14], v[19:20], v[19:20]
	v_bfi_b32 v20, 0x7fffffff, v20, v16
	v_mov_b32_e32 v21, v15
	s_delay_alu instid0(VALU_DEP_1) | instskip(SKIP_1) | instid1(VALU_DEP_2)
	v_div_scale_f64 v[23:24], null, v[13:14], v[13:14], v[21:22]
	v_div_scale_f64 v[21:22], vcc_lo, v[21:22], v[13:14], v[21:22]
	v_rcp_f64_e32 v[28:29], v[23:24]
	s_waitcnt_depctr 0xfff
	v_fma_f64 v[30:31], -v[23:24], v[28:29], 1.0
	s_delay_alu instid0(VALU_DEP_1) | instskip(NEXT) | instid1(VALU_DEP_1)
	v_fma_f64 v[28:29], v[28:29], v[30:31], v[28:29]
	v_fma_f64 v[30:31], -v[23:24], v[28:29], 1.0
	s_delay_alu instid0(VALU_DEP_1) | instskip(NEXT) | instid1(VALU_DEP_1)
	v_fma_f64 v[28:29], v[28:29], v[30:31], v[28:29]
	v_mul_f64 v[30:31], v[21:22], v[28:29]
	s_delay_alu instid0(VALU_DEP_1) | instskip(NEXT) | instid1(VALU_DEP_1)
	v_fma_f64 v[21:22], -v[23:24], v[30:31], v[21:22]
	v_div_fmas_f64 v[21:22], v[21:22], v[28:29], v[30:31]
	s_delay_alu instid0(VALU_DEP_1) | instskip(SKIP_3) | instid1(SALU_CYCLE_1)
	v_div_fixup_f64 v[13:14], v[21:22], v[13:14], |v[15:16]|
	v_dual_mov_b32 v15, v19 :: v_dual_mov_b32 v16, v20
	s_or_b32 exec_lo, exec_lo, s3
	s_and_saveexec_b32 s3, s2
	s_xor_b32 s2, exec_lo, s3
	s_cbranch_execz .LBB228_19
.LBB228_114:                            ;   in Loop: Header=BB228_6 Depth=1
	s_and_saveexec_b32 s3, s28
; %bb.115:                              ;   in Loop: Header=BB228_6 Depth=1
	s_delay_alu instid0(VALU_DEP_2) | instskip(NEXT) | instid1(VALU_DEP_2)
	v_mul_f64 v[13:14], v[13:14], 0.5
	v_mul_f64 v[15:16], v[15:16], 0.5
; %bb.116:                              ;   in Loop: Header=BB228_6 Depth=1
	s_or_b32 exec_lo, exec_lo, s3
	s_and_not1_saveexec_b32 s2, s2
	s_cbranch_execnz .LBB228_20
	s_branch .LBB228_21
.LBB228_117:                            ;   in Loop: Header=BB228_6 Depth=1
	s_delay_alu instid0(VALU_DEP_1) | instskip(NEXT) | instid1(VALU_DEP_1)
	v_add_f64 v[9:10], v[9:10], v[13:14]
	v_mul_f64 v[9:10], v[9:10], 0.5
	s_delay_alu instid0(VALU_DEP_1) | instskip(SKIP_1) | instid1(VALU_DEP_1)
	v_cmp_gt_f64_e32 vcc_lo, 0x10000000, v[9:10]
	v_cndmask_b32_e64 v13, 0, 1, vcc_lo
	v_lshlrev_b32_e32 v13, 8, v13
	s_delay_alu instid0(VALU_DEP_1) | instskip(NEXT) | instid1(VALU_DEP_1)
	v_ldexp_f64 v[9:10], v[9:10], v13
	v_rsq_f64_e32 v[13:14], v[9:10]
	s_waitcnt_depctr 0xfff
	v_mul_f64 v[17:18], v[9:10], v[13:14]
	v_mul_f64 v[13:14], v[13:14], 0.5
	s_delay_alu instid0(VALU_DEP_1) | instskip(NEXT) | instid1(VALU_DEP_1)
	v_fma_f64 v[19:20], -v[13:14], v[17:18], 0.5
	v_fma_f64 v[17:18], v[17:18], v[19:20], v[17:18]
	v_fma_f64 v[13:14], v[13:14], v[19:20], v[13:14]
	s_delay_alu instid0(VALU_DEP_2) | instskip(NEXT) | instid1(VALU_DEP_1)
	v_fma_f64 v[19:20], -v[17:18], v[17:18], v[9:10]
	v_fma_f64 v[17:18], v[19:20], v[13:14], v[17:18]
	s_delay_alu instid0(VALU_DEP_1) | instskip(NEXT) | instid1(VALU_DEP_1)
	v_fma_f64 v[19:20], -v[17:18], v[17:18], v[9:10]
	v_fma_f64 v[13:14], v[19:20], v[13:14], v[17:18]
	v_cndmask_b32_e64 v17, 0, 0xffffff80, vcc_lo
	v_cmp_class_f64_e64 vcc_lo, v[9:10], 0x260
	s_delay_alu instid0(VALU_DEP_2) | instskip(NEXT) | instid1(VALU_DEP_1)
	v_ldexp_f64 v[13:14], v[13:14], v17
	v_dual_cndmask_b32 v10, v14, v10 :: v_dual_cndmask_b32 v9, v13, v9
	s_delay_alu instid0(VALU_DEP_1) | instskip(NEXT) | instid1(VALU_DEP_1)
	v_add_f64 v[13:14], v[9:10], v[9:10]
	v_div_scale_f64 v[17:18], null, v[13:14], v[13:14], v[11:12]
	s_delay_alu instid0(VALU_DEP_1) | instskip(SKIP_2) | instid1(VALU_DEP_1)
	v_rcp_f64_e32 v[19:20], v[17:18]
	s_waitcnt_depctr 0xfff
	v_fma_f64 v[23:24], -v[17:18], v[19:20], 1.0
	v_fma_f64 v[19:20], v[19:20], v[23:24], v[19:20]
	s_delay_alu instid0(VALU_DEP_1) | instskip(NEXT) | instid1(VALU_DEP_1)
	v_fma_f64 v[23:24], -v[17:18], v[19:20], 1.0
	v_fma_f64 v[19:20], v[19:20], v[23:24], v[19:20]
	v_div_scale_f64 v[23:24], vcc_lo, v[11:12], v[13:14], v[11:12]
	s_delay_alu instid0(VALU_DEP_1) | instskip(NEXT) | instid1(VALU_DEP_1)
	v_mul_f64 v[28:29], v[23:24], v[19:20]
	v_fma_f64 v[17:18], -v[17:18], v[28:29], v[23:24]
	s_delay_alu instid0(VALU_DEP_1) | instskip(NEXT) | instid1(VALU_DEP_1)
	v_div_fmas_f64 v[17:18], v[17:18], v[19:20], v[28:29]
	v_div_fixup_f64 v[11:12], v[17:18], v[13:14], v[11:12]
                                        ; implicit-def: $vgpr13_vgpr14
	s_and_not1_saveexec_b32 s3, s3
	s_cbranch_execz .LBB228_44
.LBB228_118:                            ;   in Loop: Header=BB228_6 Depth=1
	v_add_f64 v[9:10], v[13:14], -v[9:10]
	s_delay_alu instid0(VALU_DEP_1) | instskip(NEXT) | instid1(VALU_DEP_1)
	v_mul_f64 v[9:10], v[9:10], 0.5
	v_cmp_gt_f64_e32 vcc_lo, 0x10000000, v[9:10]
	v_cndmask_b32_e64 v13, 0, 1, vcc_lo
	s_delay_alu instid0(VALU_DEP_1) | instskip(NEXT) | instid1(VALU_DEP_1)
	v_lshlrev_b32_e32 v13, 8, v13
	v_ldexp_f64 v[9:10], v[9:10], v13
	s_delay_alu instid0(VALU_DEP_1) | instskip(SKIP_3) | instid1(VALU_DEP_1)
	v_rsq_f64_e32 v[13:14], v[9:10]
	s_waitcnt_depctr 0xfff
	v_mul_f64 v[17:18], v[9:10], v[13:14]
	v_mul_f64 v[13:14], v[13:14], 0.5
	v_fma_f64 v[19:20], -v[13:14], v[17:18], 0.5
	s_delay_alu instid0(VALU_DEP_1) | instskip(SKIP_1) | instid1(VALU_DEP_2)
	v_fma_f64 v[17:18], v[17:18], v[19:20], v[17:18]
	v_fma_f64 v[13:14], v[13:14], v[19:20], v[13:14]
	v_fma_f64 v[19:20], -v[17:18], v[17:18], v[9:10]
	s_delay_alu instid0(VALU_DEP_1) | instskip(NEXT) | instid1(VALU_DEP_1)
	v_fma_f64 v[17:18], v[19:20], v[13:14], v[17:18]
	v_fma_f64 v[19:20], -v[17:18], v[17:18], v[9:10]
	s_delay_alu instid0(VALU_DEP_1) | instskip(SKIP_3) | instid1(VALU_DEP_3)
	v_fma_f64 v[13:14], v[19:20], v[13:14], v[17:18]
	v_cndmask_b32_e64 v17, 0, 0xffffff80, vcc_lo
	v_cmp_class_f64_e64 vcc_lo, v[9:10], 0x260
	v_and_b32_e32 v18, 0x7fffffff, v12
	v_ldexp_f64 v[13:14], v[13:14], v17
	s_delay_alu instid0(VALU_DEP_1) | instskip(NEXT) | instid1(VALU_DEP_1)
	v_dual_cndmask_b32 v14, v14, v10 :: v_dual_cndmask_b32 v13, v13, v9
	v_add_f64 v[9:10], v[13:14], v[13:14]
	v_bfi_b32 v14, 0x7fffffff, v14, v12
	v_mov_b32_e32 v17, v11
	s_delay_alu instid0(VALU_DEP_1) | instskip(SKIP_1) | instid1(VALU_DEP_2)
	v_div_scale_f64 v[19:20], null, v[9:10], v[9:10], v[17:18]
	v_div_scale_f64 v[17:18], vcc_lo, v[17:18], v[9:10], v[17:18]
	v_rcp_f64_e32 v[23:24], v[19:20]
	s_waitcnt_depctr 0xfff
	v_fma_f64 v[28:29], -v[19:20], v[23:24], 1.0
	s_delay_alu instid0(VALU_DEP_1) | instskip(NEXT) | instid1(VALU_DEP_1)
	v_fma_f64 v[23:24], v[23:24], v[28:29], v[23:24]
	v_fma_f64 v[28:29], -v[19:20], v[23:24], 1.0
	s_delay_alu instid0(VALU_DEP_1) | instskip(NEXT) | instid1(VALU_DEP_1)
	v_fma_f64 v[23:24], v[23:24], v[28:29], v[23:24]
	v_mul_f64 v[28:29], v[17:18], v[23:24]
	s_delay_alu instid0(VALU_DEP_1) | instskip(NEXT) | instid1(VALU_DEP_1)
	v_fma_f64 v[17:18], -v[19:20], v[28:29], v[17:18]
	v_div_fmas_f64 v[17:18], v[17:18], v[23:24], v[28:29]
	s_delay_alu instid0(VALU_DEP_1) | instskip(SKIP_3) | instid1(SALU_CYCLE_1)
	v_div_fixup_f64 v[9:10], v[17:18], v[9:10], |v[11:12]|
	v_dual_mov_b32 v11, v13 :: v_dual_mov_b32 v12, v14
	s_or_b32 exec_lo, exec_lo, s3
	s_and_saveexec_b32 s3, s2
	s_xor_b32 s2, exec_lo, s3
	s_cbranch_execz .LBB228_45
.LBB228_119:                            ;   in Loop: Header=BB228_6 Depth=1
	s_and_saveexec_b32 s3, s28
; %bb.120:                              ;   in Loop: Header=BB228_6 Depth=1
	s_delay_alu instid0(VALU_DEP_2) | instskip(NEXT) | instid1(VALU_DEP_2)
	v_mul_f64 v[9:10], v[9:10], 0.5
	v_mul_f64 v[11:12], v[11:12], 0.5
; %bb.121:                              ;   in Loop: Header=BB228_6 Depth=1
	s_or_b32 exec_lo, exec_lo, s3
	s_and_not1_saveexec_b32 s2, s2
	s_cbranch_execnz .LBB228_46
	s_branch .LBB228_47
.LBB228_122:                            ;   in Loop: Header=BB228_6 Depth=1
	s_delay_alu instid0(VALU_DEP_1) | instskip(NEXT) | instid1(VALU_DEP_1)
	v_add_f64 v[5:6], v[5:6], v[13:14]
	v_mul_f64 v[5:6], v[5:6], 0.5
	s_delay_alu instid0(VALU_DEP_1) | instskip(SKIP_1) | instid1(VALU_DEP_1)
	v_cmp_gt_f64_e32 vcc_lo, 0x10000000, v[5:6]
	v_cndmask_b32_e64 v13, 0, 1, vcc_lo
	v_lshlrev_b32_e32 v13, 8, v13
	s_delay_alu instid0(VALU_DEP_1) | instskip(NEXT) | instid1(VALU_DEP_1)
	v_ldexp_f64 v[5:6], v[5:6], v13
	v_rsq_f64_e32 v[13:14], v[5:6]
	s_waitcnt_depctr 0xfff
	v_mul_f64 v[19:20], v[5:6], v[13:14]
	v_mul_f64 v[13:14], v[13:14], 0.5
	s_delay_alu instid0(VALU_DEP_1) | instskip(NEXT) | instid1(VALU_DEP_1)
	v_fma_f64 v[23:24], -v[13:14], v[19:20], 0.5
	v_fma_f64 v[19:20], v[19:20], v[23:24], v[19:20]
	v_fma_f64 v[13:14], v[13:14], v[23:24], v[13:14]
	s_delay_alu instid0(VALU_DEP_2) | instskip(NEXT) | instid1(VALU_DEP_1)
	v_fma_f64 v[23:24], -v[19:20], v[19:20], v[5:6]
	v_fma_f64 v[19:20], v[23:24], v[13:14], v[19:20]
	s_delay_alu instid0(VALU_DEP_1) | instskip(NEXT) | instid1(VALU_DEP_1)
	v_fma_f64 v[23:24], -v[19:20], v[19:20], v[5:6]
	v_fma_f64 v[13:14], v[23:24], v[13:14], v[19:20]
	v_cndmask_b32_e64 v19, 0, 0xffffff80, vcc_lo
	v_cmp_class_f64_e64 vcc_lo, v[5:6], 0x260
	s_delay_alu instid0(VALU_DEP_2) | instskip(NEXT) | instid1(VALU_DEP_1)
	v_ldexp_f64 v[13:14], v[13:14], v19
	v_dual_cndmask_b32 v6, v14, v6 :: v_dual_cndmask_b32 v5, v13, v5
	s_delay_alu instid0(VALU_DEP_1) | instskip(NEXT) | instid1(VALU_DEP_1)
	v_add_f64 v[13:14], v[5:6], v[5:6]
	v_div_scale_f64 v[19:20], null, v[13:14], v[13:14], v[7:8]
	s_delay_alu instid0(VALU_DEP_1) | instskip(SKIP_2) | instid1(VALU_DEP_1)
	v_rcp_f64_e32 v[23:24], v[19:20]
	s_waitcnt_depctr 0xfff
	v_fma_f64 v[28:29], -v[19:20], v[23:24], 1.0
	v_fma_f64 v[23:24], v[23:24], v[28:29], v[23:24]
	s_delay_alu instid0(VALU_DEP_1) | instskip(NEXT) | instid1(VALU_DEP_1)
	v_fma_f64 v[28:29], -v[19:20], v[23:24], 1.0
	v_fma_f64 v[23:24], v[23:24], v[28:29], v[23:24]
	v_div_scale_f64 v[28:29], vcc_lo, v[7:8], v[13:14], v[7:8]
	s_delay_alu instid0(VALU_DEP_1) | instskip(NEXT) | instid1(VALU_DEP_1)
	v_mul_f64 v[30:31], v[28:29], v[23:24]
	v_fma_f64 v[19:20], -v[19:20], v[30:31], v[28:29]
	s_delay_alu instid0(VALU_DEP_1) | instskip(NEXT) | instid1(VALU_DEP_1)
	v_div_fmas_f64 v[19:20], v[19:20], v[23:24], v[30:31]
	v_div_fixup_f64 v[7:8], v[19:20], v[13:14], v[7:8]
                                        ; implicit-def: $vgpr13_vgpr14
	s_and_not1_saveexec_b32 s3, s3
	s_cbranch_execz .LBB228_71
.LBB228_123:                            ;   in Loop: Header=BB228_6 Depth=1
	v_add_f64 v[5:6], v[13:14], -v[5:6]
	s_delay_alu instid0(VALU_DEP_1) | instskip(NEXT) | instid1(VALU_DEP_1)
	v_mul_f64 v[5:6], v[5:6], 0.5
	v_cmp_gt_f64_e32 vcc_lo, 0x10000000, v[5:6]
	v_cndmask_b32_e64 v13, 0, 1, vcc_lo
	s_delay_alu instid0(VALU_DEP_1) | instskip(NEXT) | instid1(VALU_DEP_1)
	v_lshlrev_b32_e32 v13, 8, v13
	v_ldexp_f64 v[5:6], v[5:6], v13
	s_delay_alu instid0(VALU_DEP_1) | instskip(SKIP_3) | instid1(VALU_DEP_1)
	v_rsq_f64_e32 v[13:14], v[5:6]
	s_waitcnt_depctr 0xfff
	v_mul_f64 v[19:20], v[5:6], v[13:14]
	v_mul_f64 v[13:14], v[13:14], 0.5
	v_fma_f64 v[23:24], -v[13:14], v[19:20], 0.5
	s_delay_alu instid0(VALU_DEP_1) | instskip(SKIP_1) | instid1(VALU_DEP_2)
	v_fma_f64 v[19:20], v[19:20], v[23:24], v[19:20]
	v_fma_f64 v[13:14], v[13:14], v[23:24], v[13:14]
	v_fma_f64 v[23:24], -v[19:20], v[19:20], v[5:6]
	s_delay_alu instid0(VALU_DEP_1) | instskip(NEXT) | instid1(VALU_DEP_1)
	v_fma_f64 v[19:20], v[23:24], v[13:14], v[19:20]
	v_fma_f64 v[23:24], -v[19:20], v[19:20], v[5:6]
	s_delay_alu instid0(VALU_DEP_1) | instskip(SKIP_3) | instid1(VALU_DEP_3)
	v_fma_f64 v[13:14], v[23:24], v[13:14], v[19:20]
	v_cndmask_b32_e64 v19, 0, 0xffffff80, vcc_lo
	v_cmp_class_f64_e64 vcc_lo, v[5:6], 0x260
	v_and_b32_e32 v20, 0x7fffffff, v8
	v_ldexp_f64 v[13:14], v[13:14], v19
	s_delay_alu instid0(VALU_DEP_1) | instskip(NEXT) | instid1(VALU_DEP_1)
	v_dual_cndmask_b32 v14, v14, v6 :: v_dual_cndmask_b32 v13, v13, v5
	v_add_f64 v[5:6], v[13:14], v[13:14]
	v_bfi_b32 v14, 0x7fffffff, v14, v8
	v_mov_b32_e32 v19, v7
	s_delay_alu instid0(VALU_DEP_1) | instskip(SKIP_1) | instid1(VALU_DEP_2)
	v_div_scale_f64 v[23:24], null, v[5:6], v[5:6], v[19:20]
	v_div_scale_f64 v[19:20], vcc_lo, v[19:20], v[5:6], v[19:20]
	v_rcp_f64_e32 v[28:29], v[23:24]
	s_waitcnt_depctr 0xfff
	v_fma_f64 v[30:31], -v[23:24], v[28:29], 1.0
	s_delay_alu instid0(VALU_DEP_1) | instskip(NEXT) | instid1(VALU_DEP_1)
	v_fma_f64 v[28:29], v[28:29], v[30:31], v[28:29]
	v_fma_f64 v[30:31], -v[23:24], v[28:29], 1.0
	s_delay_alu instid0(VALU_DEP_1) | instskip(NEXT) | instid1(VALU_DEP_1)
	v_fma_f64 v[28:29], v[28:29], v[30:31], v[28:29]
	v_mul_f64 v[30:31], v[19:20], v[28:29]
	s_delay_alu instid0(VALU_DEP_1) | instskip(NEXT) | instid1(VALU_DEP_1)
	v_fma_f64 v[19:20], -v[23:24], v[30:31], v[19:20]
	v_div_fmas_f64 v[19:20], v[19:20], v[28:29], v[30:31]
	s_delay_alu instid0(VALU_DEP_1) | instskip(SKIP_3) | instid1(SALU_CYCLE_1)
	v_div_fixup_f64 v[5:6], v[19:20], v[5:6], |v[7:8]|
	v_dual_mov_b32 v7, v13 :: v_dual_mov_b32 v8, v14
	s_or_b32 exec_lo, exec_lo, s3
	s_and_saveexec_b32 s3, s2
	s_xor_b32 s2, exec_lo, s3
	s_cbranch_execz .LBB228_72
.LBB228_124:                            ;   in Loop: Header=BB228_6 Depth=1
	s_and_saveexec_b32 s3, s28
; %bb.125:                              ;   in Loop: Header=BB228_6 Depth=1
	s_delay_alu instid0(VALU_DEP_2) | instskip(NEXT) | instid1(VALU_DEP_2)
	v_mul_f64 v[5:6], v[5:6], 0.5
	v_mul_f64 v[7:8], v[7:8], 0.5
; %bb.126:                              ;   in Loop: Header=BB228_6 Depth=1
	s_or_b32 exec_lo, exec_lo, s3
	s_and_not1_saveexec_b32 s2, s2
	s_cbranch_execnz .LBB228_73
	s_branch .LBB228_74
.LBB228_127:                            ;   in Loop: Header=BB228_6 Depth=1
	s_delay_alu instid0(VALU_DEP_1) | instskip(NEXT) | instid1(VALU_DEP_1)
	v_add_f64 v[1:2], v[1:2], v[5:6]
	v_mul_f64 v[1:2], v[1:2], 0.5
	s_delay_alu instid0(VALU_DEP_1) | instskip(SKIP_1) | instid1(VALU_DEP_1)
	v_cmp_gt_f64_e32 vcc_lo, 0x10000000, v[1:2]
	v_cndmask_b32_e64 v5, 0, 1, vcc_lo
	v_lshlrev_b32_e32 v5, 8, v5
	s_delay_alu instid0(VALU_DEP_1) | instskip(NEXT) | instid1(VALU_DEP_1)
	v_ldexp_f64 v[1:2], v[1:2], v5
	v_rsq_f64_e32 v[5:6], v[1:2]
	s_waitcnt_depctr 0xfff
	v_mul_f64 v[9:10], v[1:2], v[5:6]
	v_mul_f64 v[5:6], v[5:6], 0.5
	s_delay_alu instid0(VALU_DEP_1) | instskip(NEXT) | instid1(VALU_DEP_1)
	v_fma_f64 v[19:20], -v[5:6], v[9:10], 0.5
	v_fma_f64 v[9:10], v[9:10], v[19:20], v[9:10]
	v_fma_f64 v[5:6], v[5:6], v[19:20], v[5:6]
	s_delay_alu instid0(VALU_DEP_2) | instskip(NEXT) | instid1(VALU_DEP_1)
	v_fma_f64 v[19:20], -v[9:10], v[9:10], v[1:2]
	v_fma_f64 v[9:10], v[19:20], v[5:6], v[9:10]
	s_delay_alu instid0(VALU_DEP_1) | instskip(NEXT) | instid1(VALU_DEP_1)
	v_fma_f64 v[19:20], -v[9:10], v[9:10], v[1:2]
	v_fma_f64 v[5:6], v[19:20], v[5:6], v[9:10]
	v_cndmask_b32_e64 v9, 0, 0xffffff80, vcc_lo
	v_cmp_class_f64_e64 vcc_lo, v[1:2], 0x260
	s_delay_alu instid0(VALU_DEP_2) | instskip(NEXT) | instid1(VALU_DEP_1)
	v_ldexp_f64 v[5:6], v[5:6], v9
	v_dual_cndmask_b32 v2, v6, v2 :: v_dual_cndmask_b32 v1, v5, v1
	s_delay_alu instid0(VALU_DEP_1) | instskip(NEXT) | instid1(VALU_DEP_1)
	v_add_f64 v[5:6], v[1:2], v[1:2]
	v_div_scale_f64 v[9:10], null, v[5:6], v[5:6], v[3:4]
	s_delay_alu instid0(VALU_DEP_1) | instskip(SKIP_2) | instid1(VALU_DEP_1)
	v_rcp_f64_e32 v[19:20], v[9:10]
	s_waitcnt_depctr 0xfff
	v_fma_f64 v[23:24], -v[9:10], v[19:20], 1.0
	v_fma_f64 v[19:20], v[19:20], v[23:24], v[19:20]
	s_delay_alu instid0(VALU_DEP_1) | instskip(NEXT) | instid1(VALU_DEP_1)
	v_fma_f64 v[23:24], -v[9:10], v[19:20], 1.0
	v_fma_f64 v[19:20], v[19:20], v[23:24], v[19:20]
	v_div_scale_f64 v[23:24], vcc_lo, v[3:4], v[5:6], v[3:4]
	s_delay_alu instid0(VALU_DEP_1) | instskip(NEXT) | instid1(VALU_DEP_1)
	v_mul_f64 v[28:29], v[23:24], v[19:20]
	v_fma_f64 v[9:10], -v[9:10], v[28:29], v[23:24]
	s_delay_alu instid0(VALU_DEP_1) | instskip(NEXT) | instid1(VALU_DEP_1)
	v_div_fmas_f64 v[9:10], v[9:10], v[19:20], v[28:29]
	v_div_fixup_f64 v[3:4], v[9:10], v[5:6], v[3:4]
                                        ; implicit-def: $vgpr5_vgpr6
	s_and_not1_saveexec_b32 s3, s3
	s_cbranch_execz .LBB228_98
.LBB228_128:                            ;   in Loop: Header=BB228_6 Depth=1
	v_add_f64 v[1:2], v[5:6], -v[1:2]
	s_delay_alu instid0(VALU_DEP_1) | instskip(NEXT) | instid1(VALU_DEP_1)
	v_mul_f64 v[1:2], v[1:2], 0.5
	v_cmp_gt_f64_e32 vcc_lo, 0x10000000, v[1:2]
	v_cndmask_b32_e64 v5, 0, 1, vcc_lo
	s_delay_alu instid0(VALU_DEP_1) | instskip(NEXT) | instid1(VALU_DEP_1)
	v_lshlrev_b32_e32 v5, 8, v5
	v_ldexp_f64 v[1:2], v[1:2], v5
	s_delay_alu instid0(VALU_DEP_1) | instskip(SKIP_3) | instid1(VALU_DEP_1)
	v_rsq_f64_e32 v[5:6], v[1:2]
	s_waitcnt_depctr 0xfff
	v_mul_f64 v[9:10], v[1:2], v[5:6]
	v_mul_f64 v[5:6], v[5:6], 0.5
	v_fma_f64 v[19:20], -v[5:6], v[9:10], 0.5
	s_delay_alu instid0(VALU_DEP_1) | instskip(SKIP_1) | instid1(VALU_DEP_2)
	v_fma_f64 v[9:10], v[9:10], v[19:20], v[9:10]
	v_fma_f64 v[5:6], v[5:6], v[19:20], v[5:6]
	v_fma_f64 v[19:20], -v[9:10], v[9:10], v[1:2]
	s_delay_alu instid0(VALU_DEP_1) | instskip(NEXT) | instid1(VALU_DEP_1)
	v_fma_f64 v[9:10], v[19:20], v[5:6], v[9:10]
	v_fma_f64 v[19:20], -v[9:10], v[9:10], v[1:2]
	s_delay_alu instid0(VALU_DEP_1) | instskip(SKIP_3) | instid1(VALU_DEP_3)
	v_fma_f64 v[5:6], v[19:20], v[5:6], v[9:10]
	v_cndmask_b32_e64 v9, 0, 0xffffff80, vcc_lo
	v_cmp_class_f64_e64 vcc_lo, v[1:2], 0x260
	v_and_b32_e32 v10, 0x7fffffff, v4
	v_ldexp_f64 v[5:6], v[5:6], v9
	s_delay_alu instid0(VALU_DEP_1) | instskip(NEXT) | instid1(VALU_DEP_1)
	v_dual_cndmask_b32 v6, v6, v2 :: v_dual_cndmask_b32 v5, v5, v1
	v_add_f64 v[1:2], v[5:6], v[5:6]
	v_bfi_b32 v6, 0x7fffffff, v6, v4
	v_mov_b32_e32 v9, v3
	s_delay_alu instid0(VALU_DEP_1) | instskip(SKIP_1) | instid1(VALU_DEP_2)
	v_div_scale_f64 v[19:20], null, v[1:2], v[1:2], v[9:10]
	v_div_scale_f64 v[9:10], vcc_lo, v[9:10], v[1:2], v[9:10]
	v_rcp_f64_e32 v[23:24], v[19:20]
	s_waitcnt_depctr 0xfff
	v_fma_f64 v[28:29], -v[19:20], v[23:24], 1.0
	s_delay_alu instid0(VALU_DEP_1) | instskip(NEXT) | instid1(VALU_DEP_1)
	v_fma_f64 v[23:24], v[23:24], v[28:29], v[23:24]
	v_fma_f64 v[28:29], -v[19:20], v[23:24], 1.0
	s_delay_alu instid0(VALU_DEP_1) | instskip(NEXT) | instid1(VALU_DEP_1)
	v_fma_f64 v[23:24], v[23:24], v[28:29], v[23:24]
	v_mul_f64 v[28:29], v[9:10], v[23:24]
	s_delay_alu instid0(VALU_DEP_1) | instskip(NEXT) | instid1(VALU_DEP_1)
	v_fma_f64 v[9:10], -v[19:20], v[28:29], v[9:10]
	v_div_fmas_f64 v[9:10], v[9:10], v[23:24], v[28:29]
	s_delay_alu instid0(VALU_DEP_1) | instskip(SKIP_3) | instid1(SALU_CYCLE_1)
	v_div_fixup_f64 v[1:2], v[9:10], v[1:2], |v[3:4]|
	v_dual_mov_b32 v3, v5 :: v_dual_mov_b32 v4, v6
	s_or_b32 exec_lo, exec_lo, s3
	s_and_saveexec_b32 s3, s2
	s_xor_b32 s2, exec_lo, s3
	s_cbranch_execz .LBB228_99
.LBB228_129:                            ;   in Loop: Header=BB228_6 Depth=1
	s_and_saveexec_b32 s3, s28
; %bb.130:                              ;   in Loop: Header=BB228_6 Depth=1
	s_delay_alu instid0(VALU_DEP_2) | instskip(NEXT) | instid1(VALU_DEP_2)
	v_mul_f64 v[1:2], v[1:2], 0.5
	v_mul_f64 v[3:4], v[3:4], 0.5
; %bb.131:                              ;   in Loop: Header=BB228_6 Depth=1
	s_or_b32 exec_lo, exec_lo, s3
	s_and_not1_saveexec_b32 s2, s2
	s_cbranch_execnz .LBB228_100
	s_branch .LBB228_101
.LBB228_132:
	s_or_b32 exec_lo, exec_lo, s20
	s_mov_b32 s2, 0
.LBB228_133:
	s_delay_alu instid0(SALU_CYCLE_1)
	s_and_not1_b32 vcc_lo, exec_lo, s2
	s_cbranch_vccnz .LBB228_281
; %bb.134:
	v_cmp_lt_i64_e64 s2, s[8:9], 1
	s_delay_alu instid0(VALU_DEP_1)
	s_and_b32 vcc_lo, exec_lo, s2
	s_cbranch_vccnz .LBB228_281
; %bb.135:
	s_load_b32 s0, s[0:1], 0xc5c
	v_mov_b32_e32 v1, 0
	v_lshl_or_b32 v2, v0, 4, 8
	v_cmp_gt_u64_e64 s1, 0x10000, s[8:9]
	s_mov_b32 s11, 0
	s_mov_b32 s16, 0
	v_mov_b32_e32 v3, v1
	v_add_co_u32 v24, s2, s14, v2
	s_delay_alu instid0(VALU_DEP_1) | instskip(SKIP_1) | instid1(VALU_DEP_1)
	v_add_co_ci_u32_e64 v25, null, s15, 0, s2
	v_add_co_u32 v26, s2, s4, v2
	v_add_co_ci_u32_e64 v27, null, s5, 0, s2
	s_mov_b32 s17, 0x7ff00000
	s_waitcnt lgkmcnt(0)
	s_and_b32 s20, s0, 0xffff
	s_and_b32 s0, s1, exec_lo
	v_add_lshl_u32 v6, v0, s20, 4
	v_mad_u64_u32 v[4:5], null, s20, 48, v[2:3]
	s_cselect_b32 s13, s9, 0
	s_cselect_b32 s12, s8, 0x10000
	s_delay_alu instid0(VALU_DEP_2) | instskip(NEXT) | instid1(VALU_DEP_1)
	v_add_co_u32 v28, s0, s4, v6
	v_add_co_ci_u32_e64 v29, null, s5, 0, s0
	v_add_co_u32 v32, s0, s14, v6
	s_delay_alu instid0(VALU_DEP_1)
	v_add_co_ci_u32_e64 v33, null, s15, 0, s0
	s_lshl_b32 s0, s20, 5
	v_add_co_u32 v30, vcc_lo, s14, v4
	v_add_co_u32 v2, s0, v2, s0
	v_add_co_ci_u32_e32 v31, vcc_lo, s15, v5, vcc_lo
	v_add_co_ci_u32_e64 v3, null, 0, 0, s0
	v_add_co_u32 v34, vcc_lo, s4, v4
	v_add_co_ci_u32_e32 v35, vcc_lo, s5, v5, vcc_lo
	v_add_co_u32 v36, vcc_lo, s14, v2
	s_delay_alu instid0(VALU_DEP_4)
	v_add_co_ci_u32_e32 v37, vcc_lo, s15, v3, vcc_lo
	v_add_co_u32 v38, vcc_lo, s4, v2
	v_add_co_ci_u32_e32 v39, vcc_lo, s5, v3, vcc_lo
	s_lshl_b32 s10, s20, 2
	s_mov_b32 s14, 0x99fcef32
	s_lshl_b32 s21, s20, 1
	s_mul_i32 s22, s20, 3
	s_mov_b32 s15, 0x7fda8279
	s_lshl_b32 s23, s20, 6
	s_mov_b64 s[18:19], s[10:11]
	s_branch .LBB228_137
.LBB228_136:                            ;   in Loop: Header=BB228_137 Depth=1
	s_or_b32 exec_lo, exec_lo, s0
	v_add_co_u32 v0, vcc_lo, v0, s10
	v_add_co_ci_u32_e32 v1, vcc_lo, 0, v1, vcc_lo
	v_add_co_u32 v24, vcc_lo, v24, s23
	v_add_co_ci_u32_e32 v25, vcc_lo, 0, v25, vcc_lo
	;; [unrolled: 2-line block ×7, first 2 shown]
	v_cmp_ge_i64_e64 s0, s[18:19], s[8:9]
	v_cmp_lt_u64_e64 s1, 0xffff, s[18:19]
	v_add_co_u32 v36, vcc_lo, v36, s23
	v_add_co_ci_u32_e32 v37, vcc_lo, 0, v37, vcc_lo
	v_add_co_u32 v38, vcc_lo, v38, s23
	v_add_co_ci_u32_e32 v39, vcc_lo, 0, v39, vcc_lo
	s_or_b32 s0, s0, s1
	s_add_u32 s18, s18, s10
	s_addc_u32 s19, s19, 0
	s_and_b32 vcc_lo, exec_lo, s0
	s_cbranch_vccnz .LBB228_281
.LBB228_137:                            ; =>This Inner Loop Header: Depth=1
	v_mov_b32_e32 v4, 0
	v_mov_b32_e32 v5, 0
	v_cmp_gt_u64_e64 s0, s[12:13], v[0:1]
	s_delay_alu instid0(VALU_DEP_2) | instskip(SKIP_1) | instid1(VALU_DEP_3)
	v_dual_mov_b32 v9, v5 :: v_dual_mov_b32 v8, v4
	v_dual_mov_b32 v7, v5 :: v_dual_mov_b32 v6, v4
	s_and_saveexec_b32 s1, s0
	s_cbranch_execz .LBB228_139
; %bb.138:                              ;   in Loop: Header=BB228_137 Depth=1
	v_add_co_u32 v2, vcc_lo, v24, s6
	v_add_co_ci_u32_e32 v3, vcc_lo, s7, v25, vcc_lo
	global_load_b128 v[6:9], v[2:3], off offset:-8
.LBB228_139:                            ;   in Loop: Header=BB228_137 Depth=1
	s_or_b32 exec_lo, exec_lo, s1
	v_add_co_u32 v2, vcc_lo, s20, v0
	v_add_co_ci_u32_e32 v3, vcc_lo, 0, v1, vcc_lo
	s_delay_alu instid0(VALU_DEP_1) | instskip(SKIP_1) | instid1(VALU_DEP_2)
	v_cmp_gt_u64_e64 s1, s[12:13], v[2:3]
	v_dual_mov_b32 v2, v4 :: v_dual_mov_b32 v3, v5
	s_and_saveexec_b32 s2, s1
	s_cbranch_execz .LBB228_141
; %bb.140:                              ;   in Loop: Header=BB228_137 Depth=1
	v_add_co_u32 v2, vcc_lo, v32, s6
	v_add_co_ci_u32_e32 v3, vcc_lo, s7, v33, vcc_lo
	global_load_b128 v[2:5], v[2:3], off
.LBB228_141:                            ;   in Loop: Header=BB228_137 Depth=1
	s_or_b32 exec_lo, exec_lo, s2
	v_add_co_u32 v10, vcc_lo, s21, v0
	v_add_co_ci_u32_e32 v11, vcc_lo, 0, v1, vcc_lo
	v_mov_b32_e32 v12, 0
	v_mov_b32_e32 v13, 0
	s_delay_alu instid0(VALU_DEP_3) | instskip(NEXT) | instid1(VALU_DEP_2)
	v_cmp_gt_u64_e64 s2, s[12:13], v[10:11]
	v_dual_mov_b32 v17, v13 :: v_dual_mov_b32 v16, v12
	v_dual_mov_b32 v15, v13 :: v_dual_mov_b32 v14, v12
	s_delay_alu instid0(VALU_DEP_3)
	s_and_saveexec_b32 s3, s2
	s_cbranch_execz .LBB228_143
; %bb.142:                              ;   in Loop: Header=BB228_137 Depth=1
	v_add_co_u32 v10, vcc_lo, v36, s6
	v_add_co_ci_u32_e32 v11, vcc_lo, s7, v37, vcc_lo
	global_load_b128 v[14:17], v[10:11], off offset:-8
.LBB228_143:                            ;   in Loop: Header=BB228_137 Depth=1
	s_or_b32 exec_lo, exec_lo, s3
	v_add_co_u32 v10, vcc_lo, s22, v0
	v_add_co_ci_u32_e32 v11, vcc_lo, 0, v1, vcc_lo
	s_delay_alu instid0(VALU_DEP_1) | instskip(SKIP_1) | instid1(VALU_DEP_2)
	v_cmp_gt_u64_e64 s3, s[12:13], v[10:11]
	v_dual_mov_b32 v10, v12 :: v_dual_mov_b32 v11, v13
	s_and_saveexec_b32 s4, s3
	s_cbranch_execz .LBB228_145
; %bb.144:                              ;   in Loop: Header=BB228_137 Depth=1
	v_add_co_u32 v10, vcc_lo, v30, s6
	v_add_co_ci_u32_e32 v11, vcc_lo, s7, v31, vcc_lo
	global_load_b128 v[10:13], v[10:11], off offset:-8
.LBB228_145:                            ;   in Loop: Header=BB228_137 Depth=1
	s_or_b32 exec_lo, exec_lo, s4
	s_waitcnt vmcnt(0)
	v_cmp_neq_f64_e32 vcc_lo, 0, v[6:7]
	v_cmp_neq_f64_e64 s4, 0, v[8:9]
	v_mov_b32_e32 v18, 0
	v_mov_b32_e32 v19, 0
	s_delay_alu instid0(VALU_DEP_1) | instskip(NEXT) | instid1(VALU_DEP_4)
	v_dual_mov_b32 v21, v19 :: v_dual_mov_b32 v20, v18
	s_or_b32 s4, vcc_lo, s4
	s_delay_alu instid0(SALU_CYCLE_1)
	s_and_saveexec_b32 s11, s4
	s_cbranch_execz .LBB228_171
; %bb.146:                              ;   in Loop: Header=BB228_137 Depth=1
	v_mov_b32_e32 v20, s16
	v_mov_b32_e32 v21, s17
	s_mov_b32 s24, exec_lo
	v_cmpx_neq_f64_e64 0x7ff00000, |v[8:9]|
	s_cbranch_execz .LBB228_170
; %bb.147:                              ;   in Loop: Header=BB228_137 Depth=1
	s_mov_b32 s4, exec_lo
	v_cmpx_o_f64_e32 v[6:7], v[6:7]
	s_xor_b32 s25, exec_lo, s4
	s_cbranch_execz .LBB228_167
; %bb.148:                              ;   in Loop: Header=BB228_137 Depth=1
	s_mov_b32 s5, exec_lo
	v_cmpx_neq_f64_e64 0x7ff00000, |v[6:7]|
	s_xor_b32 s26, exec_lo, s5
	s_cbranch_execz .LBB228_161
; %bb.149:                              ;   in Loop: Header=BB228_137 Depth=1
	v_max_f64 v[20:21], |v[6:7]|, |v[6:7]|
	v_max_f64 v[22:23], |v[8:9]|, |v[8:9]|
                                        ; implicit-def: $sgpr27
	s_delay_alu instid0(VALU_DEP_1) | instskip(NEXT) | instid1(VALU_DEP_1)
	v_max_f64 v[20:21], v[22:23], v[20:21]
	v_cmp_nle_f64_e64 s4, s[14:15], v[20:21]
	s_delay_alu instid0(VALU_DEP_1) | instskip(NEXT) | instid1(SALU_CYCLE_1)
	s_and_saveexec_b32 s5, s4
	s_xor_b32 s5, exec_lo, s5
	s_cbranch_execz .LBB228_153
; %bb.150:                              ;   in Loop: Header=BB228_137 Depth=1
	v_cmp_ge_f64_e64 s27, 0x200000, |v[6:7]|
	v_cmp_ge_f64_e64 s28, 0x200000, |v[8:9]|
	s_delay_alu instid0(VALU_DEP_1)
	s_and_b32 s29, s28, s27
	s_mov_b32 s27, 0
	s_and_saveexec_b32 s28, s29
; %bb.151:                              ;   in Loop: Header=BB228_137 Depth=1
	v_mul_f64 v[6:7], v[6:7], 4.0
	v_mul_f64 v[8:9], v[8:9], 4.0
	s_mov_b32 s27, exec_lo
; %bb.152:                              ;   in Loop: Header=BB228_137 Depth=1
	s_or_b32 exec_lo, exec_lo, s28
	s_delay_alu instid0(SALU_CYCLE_1)
	s_and_b32 s27, s27, exec_lo
.LBB228_153:                            ;   in Loop: Header=BB228_137 Depth=1
	s_and_not1_saveexec_b32 s5, s5
; %bb.154:                              ;   in Loop: Header=BB228_137 Depth=1
	s_delay_alu instid0(VALU_DEP_2) | instskip(NEXT) | instid1(VALU_DEP_2)
	v_ldexp_f64 v[6:7], v[6:7], -2
	v_ldexp_f64 v[8:9], v[8:9], -2
	s_and_not1_b32 s27, s27, exec_lo
; %bb.155:                              ;   in Loop: Header=BB228_137 Depth=1
	s_or_b32 exec_lo, exec_lo, s5
	s_delay_alu instid0(VALU_DEP_1) | instskip(NEXT) | instid1(VALU_DEP_3)
	v_max_f64 v[20:21], |v[8:9]|, |v[8:9]|
	v_max_f64 v[22:23], |v[6:7]|, |v[6:7]|
	v_cmp_class_f64_e64 s28, v[6:7], 0x204
	v_cmp_class_f64_e64 s29, v[8:9], 0x204
	v_cmp_le_f64_e64 s5, 0, v[6:7]
	s_delay_alu instid0(VALU_DEP_4) | instskip(NEXT) | instid1(VALU_DEP_3)
	v_max_f64 v[20:21], v[22:23], v[20:21]
	s_or_b32 s28, s29, s28
	s_delay_alu instid0(VALU_DEP_1) | instskip(NEXT) | instid1(VALU_DEP_1)
	v_frexp_exp_i32_f64_e32 v44, v[20:21]
	v_sub_nc_u32_e32 v22, 0, v44
	s_delay_alu instid0(VALU_DEP_1) | instskip(SKIP_1) | instid1(VALU_DEP_2)
	v_ldexp_f64 v[20:21], |v[8:9]|, v22
	v_ldexp_f64 v[22:23], |v[6:7]|, v22
	v_mul_f64 v[20:21], v[20:21], v[20:21]
	s_delay_alu instid0(VALU_DEP_1) | instskip(NEXT) | instid1(VALU_DEP_1)
	v_fma_f64 v[20:21], v[22:23], v[22:23], v[20:21]
	v_rsq_f64_e32 v[22:23], v[20:21]
	v_cmp_eq_f64_e32 vcc_lo, 0, v[20:21]
	s_waitcnt_depctr 0xfff
	v_mul_f64 v[40:41], v[20:21], v[22:23]
	v_mul_f64 v[22:23], v[22:23], 0.5
	s_delay_alu instid0(VALU_DEP_1) | instskip(NEXT) | instid1(VALU_DEP_1)
	v_fma_f64 v[42:43], -v[22:23], v[40:41], 0.5
	v_fma_f64 v[40:41], v[40:41], v[42:43], v[40:41]
	v_fma_f64 v[22:23], v[22:23], v[42:43], v[22:23]
	s_delay_alu instid0(VALU_DEP_2) | instskip(NEXT) | instid1(VALU_DEP_1)
	v_fma_f64 v[42:43], -v[40:41], v[40:41], v[20:21]
	v_fma_f64 v[22:23], v[42:43], v[22:23], v[40:41]
	s_delay_alu instid0(VALU_DEP_1) | instskip(SKIP_1) | instid1(VALU_DEP_2)
	v_dual_cndmask_b32 v21, v23, v21 :: v_dual_cndmask_b32 v20, v22, v20
	v_cmp_o_f64_e32 vcc_lo, v[8:9], v[8:9]
	v_ldexp_f64 v[20:21], v[20:21], v44
	s_delay_alu instid0(VALU_DEP_1) | instskip(NEXT) | instid1(VALU_DEP_2)
	v_cndmask_b32_e32 v20, 0, v20, vcc_lo
	v_cndmask_b32_e32 v21, 0x7ff80000, v21, vcc_lo
	s_delay_alu instid0(VALU_DEP_2) | instskip(NEXT) | instid1(VALU_DEP_2)
	v_cndmask_b32_e64 v20, v20, 0, s28
	v_cndmask_b32_e64 v21, v21, 0x7ff00000, s28
	s_and_saveexec_b32 s28, s5
	s_delay_alu instid0(SALU_CYCLE_1)
	s_xor_b32 s5, exec_lo, s28
	s_cbranch_execnz .LBB228_261
; %bb.156:                              ;   in Loop: Header=BB228_137 Depth=1
	s_and_not1_saveexec_b32 s5, s5
	s_cbranch_execnz .LBB228_262
.LBB228_157:                            ;   in Loop: Header=BB228_137 Depth=1
	s_or_b32 exec_lo, exec_lo, s5
	s_and_saveexec_b32 s5, s4
	s_delay_alu instid0(SALU_CYCLE_1)
	s_xor_b32 s4, exec_lo, s5
	s_cbranch_execnz .LBB228_263
.LBB228_158:                            ;   in Loop: Header=BB228_137 Depth=1
	s_and_not1_saveexec_b32 s4, s4
.LBB228_159:                            ;   in Loop: Header=BB228_137 Depth=1
	s_delay_alu instid0(VALU_DEP_2) | instskip(NEXT) | instid1(VALU_DEP_2)
	v_add_f64 v[6:7], v[6:7], v[6:7]
	v_add_f64 v[8:9], v[8:9], v[8:9]
.LBB228_160:                            ;   in Loop: Header=BB228_137 Depth=1
	s_or_b32 exec_lo, exec_lo, s4
.LBB228_161:                            ;   in Loop: Header=BB228_137 Depth=1
	s_and_not1_saveexec_b32 s4, s26
	s_cbranch_execz .LBB228_260
; %bb.162:                              ;   in Loop: Header=BB228_137 Depth=1
	s_delay_alu instid0(VALU_DEP_1) | instskip(SKIP_1) | instid1(VALU_DEP_3)
	v_add_f64 v[20:21], v[8:9], -v[8:9]
	s_mov_b32 s5, exec_lo
	v_cmpx_lt_i64_e32 -1, v[6:7]
	s_xor_b32 s5, exec_lo, s5
; %bb.163:                              ;   in Loop: Header=BB228_137 Depth=1
	s_delay_alu instid0(VALU_DEP_2) | instskip(NEXT) | instid1(VALU_DEP_1)
	v_bfi_b32 v21, 0x7fffffff, v21, v9
	v_dual_mov_b32 v8, v20 :: v_dual_mov_b32 v9, v21
                                        ; implicit-def: $vgpr20_vgpr21
; %bb.164:                              ;   in Loop: Header=BB228_137 Depth=1
	s_and_not1_saveexec_b32 s5, s5
; %bb.165:                              ;   in Loop: Header=BB228_137 Depth=1
	s_delay_alu instid0(VALU_DEP_1) | instskip(SKIP_1) | instid1(VALU_DEP_2)
	v_bfi_b32 v7, 0x7fffffff, v7, v9
	v_and_b32_e32 v21, 0x7fffffff, v21
	v_dual_mov_b32 v9, v7 :: v_dual_mov_b32 v8, v6
	s_delay_alu instid0(VALU_DEP_2)
	v_dual_mov_b32 v6, v20 :: v_dual_mov_b32 v7, v21
; %bb.166:                              ;   in Loop: Header=BB228_137 Depth=1
	s_or_b32 exec_lo, exec_lo, s5
	s_delay_alu instid0(SALU_CYCLE_1)
	s_or_b32 exec_lo, exec_lo, s4
.LBB228_167:                            ;   in Loop: Header=BB228_137 Depth=1
	s_and_not1_saveexec_b32 s4, s25
.LBB228_168:                            ;   in Loop: Header=BB228_137 Depth=1
	s_delay_alu instid0(VALU_DEP_1) | instskip(NEXT) | instid1(VALU_DEP_1)
	v_add_f64 v[8:9], v[8:9], -v[8:9]
	v_div_scale_f64 v[20:21], vcc_lo, v[8:9], v[8:9], v[8:9]
	s_delay_alu instid0(VALU_DEP_1) | instskip(SKIP_2) | instid1(VALU_DEP_1)
	v_rcp_f64_e32 v[22:23], v[20:21]
	s_waitcnt_depctr 0xfff
	v_fma_f64 v[40:41], -v[20:21], v[22:23], 1.0
	v_fma_f64 v[22:23], v[22:23], v[40:41], v[22:23]
	s_delay_alu instid0(VALU_DEP_1) | instskip(NEXT) | instid1(VALU_DEP_1)
	v_fma_f64 v[40:41], -v[20:21], v[22:23], 1.0
	v_fma_f64 v[22:23], v[22:23], v[40:41], v[22:23]
	s_delay_alu instid0(VALU_DEP_1) | instskip(NEXT) | instid1(VALU_DEP_1)
	v_mul_f64 v[40:41], v[20:21], v[22:23]
	v_fma_f64 v[20:21], -v[20:21], v[40:41], v[20:21]
	s_delay_alu instid0(VALU_DEP_1) | instskip(NEXT) | instid1(VALU_DEP_1)
	v_div_fmas_f64 v[20:21], v[20:21], v[22:23], v[40:41]
	v_div_fixup_f64 v[8:9], v[20:21], v[8:9], v[8:9]
.LBB228_169:                            ;   in Loop: Header=BB228_137 Depth=1
	s_or_b32 exec_lo, exec_lo, s4
	s_delay_alu instid0(VALU_DEP_2)
	v_dual_mov_b32 v21, v7 :: v_dual_mov_b32 v20, v6
.LBB228_170:                            ;   in Loop: Header=BB228_137 Depth=1
	s_or_b32 exec_lo, exec_lo, s24
.LBB228_171:                            ;   in Loop: Header=BB228_137 Depth=1
	s_delay_alu instid0(SALU_CYCLE_1) | instskip(SKIP_2) | instid1(VALU_DEP_1)
	s_or_b32 exec_lo, exec_lo, s11
	v_cmp_neq_f64_e32 vcc_lo, 0, v[2:3]
	v_cmp_neq_f64_e64 s4, 0, v[4:5]
	s_or_b32 s4, vcc_lo, s4
	s_delay_alu instid0(SALU_CYCLE_1)
	s_and_saveexec_b32 s11, s4
	s_cbranch_execz .LBB228_198
; %bb.172:                              ;   in Loop: Header=BB228_137 Depth=1
	v_mov_b32_e32 v18, s16
	v_mov_b32_e32 v19, s17
	s_mov_b32 s24, exec_lo
	v_cmpx_neq_f64_e64 0x7ff00000, |v[4:5]|
	s_cbranch_execz .LBB228_197
; %bb.173:                              ;   in Loop: Header=BB228_137 Depth=1
	s_mov_b32 s4, exec_lo
	v_cmpx_o_f64_e32 v[2:3], v[2:3]
	s_xor_b32 s25, exec_lo, s4
	s_cbranch_execz .LBB228_194
; %bb.174:                              ;   in Loop: Header=BB228_137 Depth=1
	s_mov_b32 s5, exec_lo
	v_cmpx_neq_f64_e64 0x7ff00000, |v[2:3]|
	s_xor_b32 s26, exec_lo, s5
	s_cbranch_execz .LBB228_187
; %bb.175:                              ;   in Loop: Header=BB228_137 Depth=1
	v_max_f64 v[6:7], |v[2:3]|, |v[2:3]|
	v_max_f64 v[18:19], |v[4:5]|, |v[4:5]|
                                        ; implicit-def: $sgpr27
	s_delay_alu instid0(VALU_DEP_1) | instskip(NEXT) | instid1(VALU_DEP_1)
	v_max_f64 v[6:7], v[18:19], v[6:7]
	v_cmp_nle_f64_e64 s4, s[14:15], v[6:7]
	s_delay_alu instid0(VALU_DEP_1) | instskip(NEXT) | instid1(SALU_CYCLE_1)
	s_and_saveexec_b32 s5, s4
	s_xor_b32 s5, exec_lo, s5
	s_cbranch_execz .LBB228_179
; %bb.176:                              ;   in Loop: Header=BB228_137 Depth=1
	v_cmp_ge_f64_e64 s27, 0x200000, |v[2:3]|
	v_cmp_ge_f64_e64 s28, 0x200000, |v[4:5]|
	s_delay_alu instid0(VALU_DEP_1)
	s_and_b32 s29, s28, s27
	s_mov_b32 s27, 0
	s_and_saveexec_b32 s28, s29
; %bb.177:                              ;   in Loop: Header=BB228_137 Depth=1
	v_mul_f64 v[2:3], v[2:3], 4.0
	v_mul_f64 v[4:5], v[4:5], 4.0
	s_mov_b32 s27, exec_lo
; %bb.178:                              ;   in Loop: Header=BB228_137 Depth=1
	s_or_b32 exec_lo, exec_lo, s28
	s_delay_alu instid0(SALU_CYCLE_1)
	s_and_b32 s27, s27, exec_lo
.LBB228_179:                            ;   in Loop: Header=BB228_137 Depth=1
	s_and_not1_saveexec_b32 s5, s5
; %bb.180:                              ;   in Loop: Header=BB228_137 Depth=1
	s_delay_alu instid0(VALU_DEP_2) | instskip(NEXT) | instid1(VALU_DEP_2)
	v_ldexp_f64 v[2:3], v[2:3], -2
	v_ldexp_f64 v[4:5], v[4:5], -2
	s_and_not1_b32 s27, s27, exec_lo
; %bb.181:                              ;   in Loop: Header=BB228_137 Depth=1
	s_or_b32 exec_lo, exec_lo, s5
	s_delay_alu instid0(VALU_DEP_1) | instskip(NEXT) | instid1(VALU_DEP_3)
	v_max_f64 v[6:7], |v[4:5]|, |v[4:5]|
	v_max_f64 v[18:19], |v[2:3]|, |v[2:3]|
	v_cmp_class_f64_e64 s28, v[2:3], 0x204
	v_cmp_class_f64_e64 s29, v[4:5], 0x204
	v_cmp_le_f64_e64 s5, 0, v[2:3]
	s_delay_alu instid0(VALU_DEP_4) | instskip(NEXT) | instid1(VALU_DEP_3)
	v_max_f64 v[6:7], v[18:19], v[6:7]
	s_or_b32 s28, s29, s28
	s_delay_alu instid0(VALU_DEP_1) | instskip(NEXT) | instid1(VALU_DEP_1)
	v_frexp_exp_i32_f64_e32 v42, v[6:7]
	v_sub_nc_u32_e32 v18, 0, v42
	s_delay_alu instid0(VALU_DEP_1) | instskip(SKIP_1) | instid1(VALU_DEP_2)
	v_ldexp_f64 v[6:7], |v[4:5]|, v18
	v_ldexp_f64 v[18:19], |v[2:3]|, v18
	v_mul_f64 v[6:7], v[6:7], v[6:7]
	s_delay_alu instid0(VALU_DEP_1) | instskip(NEXT) | instid1(VALU_DEP_1)
	v_fma_f64 v[6:7], v[18:19], v[18:19], v[6:7]
	v_rsq_f64_e32 v[18:19], v[6:7]
	v_cmp_eq_f64_e32 vcc_lo, 0, v[6:7]
	s_waitcnt_depctr 0xfff
	v_mul_f64 v[22:23], v[6:7], v[18:19]
	v_mul_f64 v[18:19], v[18:19], 0.5
	s_delay_alu instid0(VALU_DEP_1) | instskip(NEXT) | instid1(VALU_DEP_1)
	v_fma_f64 v[40:41], -v[18:19], v[22:23], 0.5
	v_fma_f64 v[22:23], v[22:23], v[40:41], v[22:23]
	v_fma_f64 v[18:19], v[18:19], v[40:41], v[18:19]
	s_delay_alu instid0(VALU_DEP_2) | instskip(NEXT) | instid1(VALU_DEP_1)
	v_fma_f64 v[40:41], -v[22:23], v[22:23], v[6:7]
	v_fma_f64 v[18:19], v[40:41], v[18:19], v[22:23]
	s_delay_alu instid0(VALU_DEP_1) | instskip(SKIP_1) | instid1(VALU_DEP_2)
	v_dual_cndmask_b32 v7, v19, v7 :: v_dual_cndmask_b32 v6, v18, v6
	v_cmp_o_f64_e32 vcc_lo, v[4:5], v[4:5]
	v_ldexp_f64 v[6:7], v[6:7], v42
	s_delay_alu instid0(VALU_DEP_1) | instskip(NEXT) | instid1(VALU_DEP_2)
	v_cndmask_b32_e32 v6, 0, v6, vcc_lo
	v_cndmask_b32_e32 v7, 0x7ff80000, v7, vcc_lo
	s_delay_alu instid0(VALU_DEP_2) | instskip(NEXT) | instid1(VALU_DEP_2)
	v_cndmask_b32_e64 v6, v6, 0, s28
	v_cndmask_b32_e64 v7, v7, 0x7ff00000, s28
	s_and_saveexec_b32 s28, s5
	s_delay_alu instid0(SALU_CYCLE_1)
	s_xor_b32 s5, exec_lo, s28
	s_cbranch_execnz .LBB228_266
; %bb.182:                              ;   in Loop: Header=BB228_137 Depth=1
	s_and_not1_saveexec_b32 s5, s5
	s_cbranch_execnz .LBB228_267
.LBB228_183:                            ;   in Loop: Header=BB228_137 Depth=1
	s_or_b32 exec_lo, exec_lo, s5
	s_and_saveexec_b32 s5, s4
	s_delay_alu instid0(SALU_CYCLE_1)
	s_xor_b32 s4, exec_lo, s5
	s_cbranch_execnz .LBB228_268
.LBB228_184:                            ;   in Loop: Header=BB228_137 Depth=1
	s_and_not1_saveexec_b32 s4, s4
.LBB228_185:                            ;   in Loop: Header=BB228_137 Depth=1
	s_delay_alu instid0(VALU_DEP_2) | instskip(NEXT) | instid1(VALU_DEP_2)
	v_add_f64 v[2:3], v[2:3], v[2:3]
	v_add_f64 v[4:5], v[4:5], v[4:5]
.LBB228_186:                            ;   in Loop: Header=BB228_137 Depth=1
	s_or_b32 exec_lo, exec_lo, s4
.LBB228_187:                            ;   in Loop: Header=BB228_137 Depth=1
	s_and_not1_saveexec_b32 s4, s26
	s_cbranch_execz .LBB228_193
; %bb.188:                              ;   in Loop: Header=BB228_137 Depth=1
	s_delay_alu instid0(VALU_DEP_1) | instskip(SKIP_1) | instid1(VALU_DEP_3)
	v_add_f64 v[6:7], v[4:5], -v[4:5]
	s_mov_b32 s5, exec_lo
	v_cmpx_lt_i64_e32 -1, v[2:3]
	s_xor_b32 s5, exec_lo, s5
; %bb.189:                              ;   in Loop: Header=BB228_137 Depth=1
	s_delay_alu instid0(VALU_DEP_2) | instskip(NEXT) | instid1(VALU_DEP_1)
	v_bfi_b32 v7, 0x7fffffff, v7, v5
	v_dual_mov_b32 v4, v6 :: v_dual_mov_b32 v5, v7
                                        ; implicit-def: $vgpr6_vgpr7
; %bb.190:                              ;   in Loop: Header=BB228_137 Depth=1
	s_and_not1_saveexec_b32 s5, s5
; %bb.191:                              ;   in Loop: Header=BB228_137 Depth=1
	s_delay_alu instid0(VALU_DEP_1) | instskip(SKIP_1) | instid1(VALU_DEP_2)
	v_bfi_b32 v3, 0x7fffffff, v3, v5
	v_and_b32_e32 v7, 0x7fffffff, v7
	v_dual_mov_b32 v5, v3 :: v_dual_mov_b32 v4, v2
	s_delay_alu instid0(VALU_DEP_2)
	v_dual_mov_b32 v2, v6 :: v_dual_mov_b32 v3, v7
; %bb.192:                              ;   in Loop: Header=BB228_137 Depth=1
	s_or_b32 exec_lo, exec_lo, s5
.LBB228_193:                            ;   in Loop: Header=BB228_137 Depth=1
	s_delay_alu instid0(SALU_CYCLE_1)
	s_or_b32 exec_lo, exec_lo, s4
.LBB228_194:                            ;   in Loop: Header=BB228_137 Depth=1
	s_and_not1_saveexec_b32 s4, s25
; %bb.195:                              ;   in Loop: Header=BB228_137 Depth=1
	s_delay_alu instid0(VALU_DEP_1) | instskip(NEXT) | instid1(VALU_DEP_1)
	v_add_f64 v[4:5], v[4:5], -v[4:5]
	v_div_scale_f64 v[6:7], vcc_lo, v[4:5], v[4:5], v[4:5]
	s_delay_alu instid0(VALU_DEP_1) | instskip(SKIP_2) | instid1(VALU_DEP_1)
	v_rcp_f64_e32 v[18:19], v[6:7]
	s_waitcnt_depctr 0xfff
	v_fma_f64 v[22:23], -v[6:7], v[18:19], 1.0
	v_fma_f64 v[18:19], v[18:19], v[22:23], v[18:19]
	s_delay_alu instid0(VALU_DEP_1) | instskip(NEXT) | instid1(VALU_DEP_1)
	v_fma_f64 v[22:23], -v[6:7], v[18:19], 1.0
	v_fma_f64 v[18:19], v[18:19], v[22:23], v[18:19]
	s_delay_alu instid0(VALU_DEP_1) | instskip(NEXT) | instid1(VALU_DEP_1)
	v_mul_f64 v[22:23], v[6:7], v[18:19]
	v_fma_f64 v[6:7], -v[6:7], v[22:23], v[6:7]
	s_delay_alu instid0(VALU_DEP_1) | instskip(NEXT) | instid1(VALU_DEP_1)
	v_div_fmas_f64 v[6:7], v[6:7], v[18:19], v[22:23]
	v_div_fixup_f64 v[4:5], v[6:7], v[4:5], v[4:5]
; %bb.196:                              ;   in Loop: Header=BB228_137 Depth=1
	s_or_b32 exec_lo, exec_lo, s4
	v_dual_mov_b32 v19, v3 :: v_dual_mov_b32 v18, v2
.LBB228_197:                            ;   in Loop: Header=BB228_137 Depth=1
	s_or_b32 exec_lo, exec_lo, s24
.LBB228_198:                            ;   in Loop: Header=BB228_137 Depth=1
	s_delay_alu instid0(SALU_CYCLE_1) | instskip(SKIP_4) | instid1(VALU_DEP_1)
	s_or_b32 exec_lo, exec_lo, s11
	v_cmp_neq_f64_e32 vcc_lo, 0, v[14:15]
	v_cmp_neq_f64_e64 s4, 0, v[16:17]
	v_mov_b32_e32 v2, 0
	v_mov_b32_e32 v3, 0
	v_dual_mov_b32 v7, v3 :: v_dual_mov_b32 v6, v2
	s_delay_alu instid0(VALU_DEP_4) | instskip(NEXT) | instid1(SALU_CYCLE_1)
	s_or_b32 s4, vcc_lo, s4
	s_and_saveexec_b32 s11, s4
	s_cbranch_execz .LBB228_225
; %bb.199:                              ;   in Loop: Header=BB228_137 Depth=1
	v_mov_b32_e32 v6, s16
	v_mov_b32_e32 v7, s17
	s_mov_b32 s24, exec_lo
	v_cmpx_neq_f64_e64 0x7ff00000, |v[16:17]|
	s_cbranch_execz .LBB228_224
; %bb.200:                              ;   in Loop: Header=BB228_137 Depth=1
	s_mov_b32 s4, exec_lo
	v_cmpx_o_f64_e32 v[14:15], v[14:15]
	s_xor_b32 s25, exec_lo, s4
	s_cbranch_execz .LBB228_221
; %bb.201:                              ;   in Loop: Header=BB228_137 Depth=1
	s_mov_b32 s5, exec_lo
	v_cmpx_neq_f64_e64 0x7ff00000, |v[14:15]|
	s_xor_b32 s26, exec_lo, s5
	s_cbranch_execz .LBB228_214
; %bb.202:                              ;   in Loop: Header=BB228_137 Depth=1
	v_max_f64 v[6:7], |v[14:15]|, |v[14:15]|
	v_max_f64 v[22:23], |v[16:17]|, |v[16:17]|
                                        ; implicit-def: $sgpr27
	s_delay_alu instid0(VALU_DEP_1) | instskip(NEXT) | instid1(VALU_DEP_1)
	v_max_f64 v[6:7], v[22:23], v[6:7]
	v_cmp_nle_f64_e64 s4, s[14:15], v[6:7]
	s_delay_alu instid0(VALU_DEP_1) | instskip(NEXT) | instid1(SALU_CYCLE_1)
	s_and_saveexec_b32 s5, s4
	s_xor_b32 s5, exec_lo, s5
	s_cbranch_execz .LBB228_206
; %bb.203:                              ;   in Loop: Header=BB228_137 Depth=1
	v_cmp_ge_f64_e64 s27, 0x200000, |v[14:15]|
	v_cmp_ge_f64_e64 s28, 0x200000, |v[16:17]|
	s_delay_alu instid0(VALU_DEP_1)
	s_and_b32 s29, s28, s27
	s_mov_b32 s27, 0
	s_and_saveexec_b32 s28, s29
; %bb.204:                              ;   in Loop: Header=BB228_137 Depth=1
	v_mul_f64 v[14:15], v[14:15], 4.0
	v_mul_f64 v[16:17], v[16:17], 4.0
	s_mov_b32 s27, exec_lo
; %bb.205:                              ;   in Loop: Header=BB228_137 Depth=1
	s_or_b32 exec_lo, exec_lo, s28
	s_delay_alu instid0(SALU_CYCLE_1)
	s_and_b32 s27, s27, exec_lo
.LBB228_206:                            ;   in Loop: Header=BB228_137 Depth=1
	s_and_not1_saveexec_b32 s5, s5
; %bb.207:                              ;   in Loop: Header=BB228_137 Depth=1
	s_delay_alu instid0(VALU_DEP_2) | instskip(NEXT) | instid1(VALU_DEP_2)
	v_ldexp_f64 v[14:15], v[14:15], -2
	v_ldexp_f64 v[16:17], v[16:17], -2
	s_and_not1_b32 s27, s27, exec_lo
; %bb.208:                              ;   in Loop: Header=BB228_137 Depth=1
	s_or_b32 exec_lo, exec_lo, s5
	s_delay_alu instid0(VALU_DEP_1) | instskip(NEXT) | instid1(VALU_DEP_3)
	v_max_f64 v[6:7], |v[16:17]|, |v[16:17]|
	v_max_f64 v[22:23], |v[14:15]|, |v[14:15]|
	v_cmp_class_f64_e64 s28, v[14:15], 0x204
	v_cmp_class_f64_e64 s29, v[16:17], 0x204
	v_cmp_le_f64_e64 s5, 0, v[14:15]
	s_delay_alu instid0(VALU_DEP_4) | instskip(NEXT) | instid1(VALU_DEP_3)
	v_max_f64 v[6:7], v[22:23], v[6:7]
	s_or_b32 s28, s29, s28
	s_delay_alu instid0(VALU_DEP_1) | instskip(NEXT) | instid1(VALU_DEP_1)
	v_frexp_exp_i32_f64_e32 v44, v[6:7]
	v_sub_nc_u32_e32 v22, 0, v44
	s_delay_alu instid0(VALU_DEP_1) | instskip(SKIP_1) | instid1(VALU_DEP_2)
	v_ldexp_f64 v[6:7], |v[16:17]|, v22
	v_ldexp_f64 v[22:23], |v[14:15]|, v22
	v_mul_f64 v[6:7], v[6:7], v[6:7]
	s_delay_alu instid0(VALU_DEP_1) | instskip(NEXT) | instid1(VALU_DEP_1)
	v_fma_f64 v[6:7], v[22:23], v[22:23], v[6:7]
	v_rsq_f64_e32 v[22:23], v[6:7]
	v_cmp_eq_f64_e32 vcc_lo, 0, v[6:7]
	s_waitcnt_depctr 0xfff
	v_mul_f64 v[40:41], v[6:7], v[22:23]
	v_mul_f64 v[22:23], v[22:23], 0.5
	s_delay_alu instid0(VALU_DEP_1) | instskip(NEXT) | instid1(VALU_DEP_1)
	v_fma_f64 v[42:43], -v[22:23], v[40:41], 0.5
	v_fma_f64 v[40:41], v[40:41], v[42:43], v[40:41]
	v_fma_f64 v[22:23], v[22:23], v[42:43], v[22:23]
	s_delay_alu instid0(VALU_DEP_2) | instskip(NEXT) | instid1(VALU_DEP_1)
	v_fma_f64 v[42:43], -v[40:41], v[40:41], v[6:7]
	v_fma_f64 v[22:23], v[42:43], v[22:23], v[40:41]
	s_delay_alu instid0(VALU_DEP_1) | instskip(SKIP_1) | instid1(VALU_DEP_2)
	v_dual_cndmask_b32 v7, v23, v7 :: v_dual_cndmask_b32 v6, v22, v6
	v_cmp_o_f64_e32 vcc_lo, v[16:17], v[16:17]
	v_ldexp_f64 v[6:7], v[6:7], v44
	s_delay_alu instid0(VALU_DEP_1) | instskip(NEXT) | instid1(VALU_DEP_2)
	v_cndmask_b32_e32 v6, 0, v6, vcc_lo
	v_cndmask_b32_e32 v7, 0x7ff80000, v7, vcc_lo
	s_delay_alu instid0(VALU_DEP_2) | instskip(NEXT) | instid1(VALU_DEP_2)
	v_cndmask_b32_e64 v6, v6, 0, s28
	v_cndmask_b32_e64 v7, v7, 0x7ff00000, s28
	s_and_saveexec_b32 s28, s5
	s_delay_alu instid0(SALU_CYCLE_1)
	s_xor_b32 s5, exec_lo, s28
	s_cbranch_execnz .LBB228_271
; %bb.209:                              ;   in Loop: Header=BB228_137 Depth=1
	s_and_not1_saveexec_b32 s5, s5
	s_cbranch_execnz .LBB228_272
.LBB228_210:                            ;   in Loop: Header=BB228_137 Depth=1
	s_or_b32 exec_lo, exec_lo, s5
	s_and_saveexec_b32 s5, s4
	s_delay_alu instid0(SALU_CYCLE_1)
	s_xor_b32 s4, exec_lo, s5
	s_cbranch_execnz .LBB228_273
.LBB228_211:                            ;   in Loop: Header=BB228_137 Depth=1
	s_and_not1_saveexec_b32 s4, s4
.LBB228_212:                            ;   in Loop: Header=BB228_137 Depth=1
	s_delay_alu instid0(VALU_DEP_2) | instskip(NEXT) | instid1(VALU_DEP_2)
	v_add_f64 v[14:15], v[14:15], v[14:15]
	v_add_f64 v[16:17], v[16:17], v[16:17]
.LBB228_213:                            ;   in Loop: Header=BB228_137 Depth=1
	s_or_b32 exec_lo, exec_lo, s4
.LBB228_214:                            ;   in Loop: Header=BB228_137 Depth=1
	s_and_not1_saveexec_b32 s4, s26
	s_cbranch_execz .LBB228_220
; %bb.215:                              ;   in Loop: Header=BB228_137 Depth=1
	s_delay_alu instid0(VALU_DEP_1) | instskip(SKIP_1) | instid1(VALU_DEP_3)
	v_add_f64 v[6:7], v[16:17], -v[16:17]
	s_mov_b32 s5, exec_lo
	v_cmpx_lt_i64_e32 -1, v[14:15]
	s_xor_b32 s5, exec_lo, s5
; %bb.216:                              ;   in Loop: Header=BB228_137 Depth=1
	s_delay_alu instid0(VALU_DEP_2) | instskip(NEXT) | instid1(VALU_DEP_1)
	v_bfi_b32 v7, 0x7fffffff, v7, v17
	v_dual_mov_b32 v17, v7 :: v_dual_mov_b32 v16, v6
                                        ; implicit-def: $vgpr6_vgpr7
; %bb.217:                              ;   in Loop: Header=BB228_137 Depth=1
	s_and_not1_saveexec_b32 s5, s5
; %bb.218:                              ;   in Loop: Header=BB228_137 Depth=1
	s_delay_alu instid0(VALU_DEP_1) | instskip(SKIP_1) | instid1(VALU_DEP_2)
	v_bfi_b32 v15, 0x7fffffff, v15, v17
	v_and_b32_e32 v7, 0x7fffffff, v7
	v_dual_mov_b32 v17, v15 :: v_dual_mov_b32 v16, v14
	s_delay_alu instid0(VALU_DEP_2)
	v_dual_mov_b32 v15, v7 :: v_dual_mov_b32 v14, v6
; %bb.219:                              ;   in Loop: Header=BB228_137 Depth=1
	s_or_b32 exec_lo, exec_lo, s5
.LBB228_220:                            ;   in Loop: Header=BB228_137 Depth=1
	s_delay_alu instid0(SALU_CYCLE_1)
	s_or_b32 exec_lo, exec_lo, s4
.LBB228_221:                            ;   in Loop: Header=BB228_137 Depth=1
	s_and_not1_saveexec_b32 s4, s25
; %bb.222:                              ;   in Loop: Header=BB228_137 Depth=1
	s_delay_alu instid0(VALU_DEP_1) | instskip(NEXT) | instid1(VALU_DEP_1)
	v_add_f64 v[6:7], v[16:17], -v[16:17]
	v_div_scale_f64 v[16:17], vcc_lo, v[6:7], v[6:7], v[6:7]
	s_delay_alu instid0(VALU_DEP_1) | instskip(SKIP_2) | instid1(VALU_DEP_1)
	v_rcp_f64_e32 v[22:23], v[16:17]
	s_waitcnt_depctr 0xfff
	v_fma_f64 v[40:41], -v[16:17], v[22:23], 1.0
	v_fma_f64 v[22:23], v[22:23], v[40:41], v[22:23]
	s_delay_alu instid0(VALU_DEP_1) | instskip(NEXT) | instid1(VALU_DEP_1)
	v_fma_f64 v[40:41], -v[16:17], v[22:23], 1.0
	v_fma_f64 v[22:23], v[22:23], v[40:41], v[22:23]
	s_delay_alu instid0(VALU_DEP_1) | instskip(NEXT) | instid1(VALU_DEP_1)
	v_mul_f64 v[40:41], v[16:17], v[22:23]
	v_fma_f64 v[16:17], -v[16:17], v[40:41], v[16:17]
	s_delay_alu instid0(VALU_DEP_1) | instskip(NEXT) | instid1(VALU_DEP_1)
	v_div_fmas_f64 v[16:17], v[16:17], v[22:23], v[40:41]
	v_div_fixup_f64 v[16:17], v[16:17], v[6:7], v[6:7]
; %bb.223:                              ;   in Loop: Header=BB228_137 Depth=1
	s_or_b32 exec_lo, exec_lo, s4
	v_dual_mov_b32 v6, v14 :: v_dual_mov_b32 v7, v15
.LBB228_224:                            ;   in Loop: Header=BB228_137 Depth=1
	s_or_b32 exec_lo, exec_lo, s24
.LBB228_225:                            ;   in Loop: Header=BB228_137 Depth=1
	s_delay_alu instid0(SALU_CYCLE_1) | instskip(SKIP_2) | instid1(VALU_DEP_1)
	s_or_b32 exec_lo, exec_lo, s11
	v_cmp_neq_f64_e32 vcc_lo, 0, v[10:11]
	v_cmp_neq_f64_e64 s4, 0, v[12:13]
	s_or_b32 s4, vcc_lo, s4
	s_delay_alu instid0(SALU_CYCLE_1)
	s_and_saveexec_b32 s11, s4
	s_cbranch_execnz .LBB228_230
; %bb.226:                              ;   in Loop: Header=BB228_137 Depth=1
	s_or_b32 exec_lo, exec_lo, s11
	s_and_saveexec_b32 s4, s0
	s_delay_alu instid0(SALU_CYCLE_1)
	s_xor_b32 s0, exec_lo, s4
	s_cbranch_execnz .LBB228_256
.LBB228_227:                            ;   in Loop: Header=BB228_137 Depth=1
	s_or_b32 exec_lo, exec_lo, s0
	s_and_saveexec_b32 s0, s1
	s_cbranch_execnz .LBB228_257
.LBB228_228:                            ;   in Loop: Header=BB228_137 Depth=1
	s_or_b32 exec_lo, exec_lo, s0
	s_and_saveexec_b32 s0, s2
	s_cbranch_execnz .LBB228_258
.LBB228_229:                            ;   in Loop: Header=BB228_137 Depth=1
	s_or_b32 exec_lo, exec_lo, s0
	s_and_saveexec_b32 s0, s3
	s_cbranch_execz .LBB228_136
	s_branch .LBB228_259
.LBB228_230:                            ;   in Loop: Header=BB228_137 Depth=1
	v_mov_b32_e32 v2, s16
	v_mov_b32_e32 v3, s17
	s_mov_b32 s24, exec_lo
	v_cmpx_neq_f64_e64 0x7ff00000, |v[12:13]|
	s_cbranch_execz .LBB228_255
; %bb.231:                              ;   in Loop: Header=BB228_137 Depth=1
	s_mov_b32 s4, exec_lo
	v_cmpx_o_f64_e32 v[10:11], v[10:11]
	s_xor_b32 s25, exec_lo, s4
	s_cbranch_execz .LBB228_252
; %bb.232:                              ;   in Loop: Header=BB228_137 Depth=1
	s_mov_b32 s5, exec_lo
	v_cmpx_neq_f64_e64 0x7ff00000, |v[10:11]|
	s_xor_b32 s26, exec_lo, s5
	s_cbranch_execz .LBB228_245
; %bb.233:                              ;   in Loop: Header=BB228_137 Depth=1
	v_max_f64 v[2:3], |v[10:11]|, |v[10:11]|
	v_max_f64 v[14:15], |v[12:13]|, |v[12:13]|
                                        ; implicit-def: $sgpr27
	s_delay_alu instid0(VALU_DEP_1) | instskip(NEXT) | instid1(VALU_DEP_1)
	v_max_f64 v[2:3], v[14:15], v[2:3]
	v_cmp_nle_f64_e64 s4, s[14:15], v[2:3]
	s_delay_alu instid0(VALU_DEP_1) | instskip(NEXT) | instid1(SALU_CYCLE_1)
	s_and_saveexec_b32 s5, s4
	s_xor_b32 s5, exec_lo, s5
	s_cbranch_execz .LBB228_237
; %bb.234:                              ;   in Loop: Header=BB228_137 Depth=1
	v_cmp_ge_f64_e64 s27, 0x200000, |v[10:11]|
	v_cmp_ge_f64_e64 s28, 0x200000, |v[12:13]|
	s_delay_alu instid0(VALU_DEP_1)
	s_and_b32 s29, s28, s27
	s_mov_b32 s27, 0
	s_and_saveexec_b32 s28, s29
; %bb.235:                              ;   in Loop: Header=BB228_137 Depth=1
	v_mul_f64 v[10:11], v[10:11], 4.0
	v_mul_f64 v[12:13], v[12:13], 4.0
	s_mov_b32 s27, exec_lo
; %bb.236:                              ;   in Loop: Header=BB228_137 Depth=1
	s_or_b32 exec_lo, exec_lo, s28
	s_delay_alu instid0(SALU_CYCLE_1)
	s_and_b32 s27, s27, exec_lo
.LBB228_237:                            ;   in Loop: Header=BB228_137 Depth=1
	s_and_not1_saveexec_b32 s5, s5
; %bb.238:                              ;   in Loop: Header=BB228_137 Depth=1
	s_delay_alu instid0(VALU_DEP_2) | instskip(NEXT) | instid1(VALU_DEP_2)
	v_ldexp_f64 v[10:11], v[10:11], -2
	v_ldexp_f64 v[12:13], v[12:13], -2
	s_and_not1_b32 s27, s27, exec_lo
; %bb.239:                              ;   in Loop: Header=BB228_137 Depth=1
	s_or_b32 exec_lo, exec_lo, s5
	s_delay_alu instid0(VALU_DEP_1) | instskip(NEXT) | instid1(VALU_DEP_3)
	v_max_f64 v[2:3], |v[12:13]|, |v[12:13]|
	v_max_f64 v[14:15], |v[10:11]|, |v[10:11]|
	v_cmp_class_f64_e64 s28, v[10:11], 0x204
	v_cmp_class_f64_e64 s29, v[12:13], 0x204
	v_cmp_le_f64_e64 s5, 0, v[10:11]
	s_delay_alu instid0(VALU_DEP_4) | instskip(NEXT) | instid1(VALU_DEP_3)
	v_max_f64 v[2:3], v[14:15], v[2:3]
	s_or_b32 s28, s29, s28
	s_delay_alu instid0(VALU_DEP_1) | instskip(NEXT) | instid1(VALU_DEP_1)
	v_frexp_exp_i32_f64_e32 v42, v[2:3]
	v_sub_nc_u32_e32 v14, 0, v42
	s_delay_alu instid0(VALU_DEP_1) | instskip(SKIP_1) | instid1(VALU_DEP_2)
	v_ldexp_f64 v[2:3], |v[12:13]|, v14
	v_ldexp_f64 v[14:15], |v[10:11]|, v14
	v_mul_f64 v[2:3], v[2:3], v[2:3]
	s_delay_alu instid0(VALU_DEP_1) | instskip(NEXT) | instid1(VALU_DEP_1)
	v_fma_f64 v[2:3], v[14:15], v[14:15], v[2:3]
	v_rsq_f64_e32 v[14:15], v[2:3]
	v_cmp_eq_f64_e32 vcc_lo, 0, v[2:3]
	s_waitcnt_depctr 0xfff
	v_mul_f64 v[22:23], v[2:3], v[14:15]
	v_mul_f64 v[14:15], v[14:15], 0.5
	s_delay_alu instid0(VALU_DEP_1) | instskip(NEXT) | instid1(VALU_DEP_1)
	v_fma_f64 v[40:41], -v[14:15], v[22:23], 0.5
	v_fma_f64 v[22:23], v[22:23], v[40:41], v[22:23]
	v_fma_f64 v[14:15], v[14:15], v[40:41], v[14:15]
	s_delay_alu instid0(VALU_DEP_2) | instskip(NEXT) | instid1(VALU_DEP_1)
	v_fma_f64 v[40:41], -v[22:23], v[22:23], v[2:3]
	v_fma_f64 v[14:15], v[40:41], v[14:15], v[22:23]
	s_delay_alu instid0(VALU_DEP_1) | instskip(SKIP_1) | instid1(VALU_DEP_2)
	v_dual_cndmask_b32 v3, v15, v3 :: v_dual_cndmask_b32 v2, v14, v2
	v_cmp_o_f64_e32 vcc_lo, v[12:13], v[12:13]
	v_ldexp_f64 v[2:3], v[2:3], v42
	s_delay_alu instid0(VALU_DEP_1) | instskip(NEXT) | instid1(VALU_DEP_2)
	v_cndmask_b32_e32 v2, 0, v2, vcc_lo
	v_cndmask_b32_e32 v3, 0x7ff80000, v3, vcc_lo
	s_delay_alu instid0(VALU_DEP_2) | instskip(NEXT) | instid1(VALU_DEP_2)
	v_cndmask_b32_e64 v2, v2, 0, s28
	v_cndmask_b32_e64 v3, v3, 0x7ff00000, s28
	s_and_saveexec_b32 s28, s5
	s_delay_alu instid0(SALU_CYCLE_1)
	s_xor_b32 s5, exec_lo, s28
	s_cbranch_execnz .LBB228_276
; %bb.240:                              ;   in Loop: Header=BB228_137 Depth=1
	s_and_not1_saveexec_b32 s5, s5
	s_cbranch_execnz .LBB228_277
.LBB228_241:                            ;   in Loop: Header=BB228_137 Depth=1
	s_or_b32 exec_lo, exec_lo, s5
	s_and_saveexec_b32 s5, s4
	s_delay_alu instid0(SALU_CYCLE_1)
	s_xor_b32 s4, exec_lo, s5
	s_cbranch_execnz .LBB228_278
.LBB228_242:                            ;   in Loop: Header=BB228_137 Depth=1
	s_and_not1_saveexec_b32 s4, s4
.LBB228_243:                            ;   in Loop: Header=BB228_137 Depth=1
	s_delay_alu instid0(VALU_DEP_2) | instskip(NEXT) | instid1(VALU_DEP_2)
	v_add_f64 v[10:11], v[10:11], v[10:11]
	v_add_f64 v[12:13], v[12:13], v[12:13]
.LBB228_244:                            ;   in Loop: Header=BB228_137 Depth=1
	s_or_b32 exec_lo, exec_lo, s4
.LBB228_245:                            ;   in Loop: Header=BB228_137 Depth=1
	s_and_not1_saveexec_b32 s4, s26
	s_cbranch_execz .LBB228_251
; %bb.246:                              ;   in Loop: Header=BB228_137 Depth=1
	s_delay_alu instid0(VALU_DEP_1) | instskip(SKIP_1) | instid1(VALU_DEP_3)
	v_add_f64 v[2:3], v[12:13], -v[12:13]
	s_mov_b32 s5, exec_lo
	v_cmpx_lt_i64_e32 -1, v[10:11]
	s_xor_b32 s5, exec_lo, s5
; %bb.247:                              ;   in Loop: Header=BB228_137 Depth=1
	s_delay_alu instid0(VALU_DEP_2) | instskip(NEXT) | instid1(VALU_DEP_1)
	v_bfi_b32 v3, 0x7fffffff, v3, v13
	v_dual_mov_b32 v13, v3 :: v_dual_mov_b32 v12, v2
                                        ; implicit-def: $vgpr2_vgpr3
; %bb.248:                              ;   in Loop: Header=BB228_137 Depth=1
	s_and_not1_saveexec_b32 s5, s5
; %bb.249:                              ;   in Loop: Header=BB228_137 Depth=1
	s_delay_alu instid0(VALU_DEP_1) | instskip(SKIP_1) | instid1(VALU_DEP_2)
	v_bfi_b32 v11, 0x7fffffff, v11, v13
	v_and_b32_e32 v3, 0x7fffffff, v3
	v_dual_mov_b32 v13, v11 :: v_dual_mov_b32 v12, v10
	s_delay_alu instid0(VALU_DEP_2)
	v_dual_mov_b32 v11, v3 :: v_dual_mov_b32 v10, v2
; %bb.250:                              ;   in Loop: Header=BB228_137 Depth=1
	s_or_b32 exec_lo, exec_lo, s5
.LBB228_251:                            ;   in Loop: Header=BB228_137 Depth=1
	s_delay_alu instid0(SALU_CYCLE_1)
	s_or_b32 exec_lo, exec_lo, s4
.LBB228_252:                            ;   in Loop: Header=BB228_137 Depth=1
	s_and_not1_saveexec_b32 s4, s25
; %bb.253:                              ;   in Loop: Header=BB228_137 Depth=1
	s_delay_alu instid0(VALU_DEP_1) | instskip(NEXT) | instid1(VALU_DEP_1)
	v_add_f64 v[2:3], v[12:13], -v[12:13]
	v_div_scale_f64 v[12:13], vcc_lo, v[2:3], v[2:3], v[2:3]
	s_delay_alu instid0(VALU_DEP_1) | instskip(SKIP_2) | instid1(VALU_DEP_1)
	v_rcp_f64_e32 v[14:15], v[12:13]
	s_waitcnt_depctr 0xfff
	v_fma_f64 v[22:23], -v[12:13], v[14:15], 1.0
	v_fma_f64 v[14:15], v[14:15], v[22:23], v[14:15]
	s_delay_alu instid0(VALU_DEP_1) | instskip(NEXT) | instid1(VALU_DEP_1)
	v_fma_f64 v[22:23], -v[12:13], v[14:15], 1.0
	v_fma_f64 v[14:15], v[14:15], v[22:23], v[14:15]
	s_delay_alu instid0(VALU_DEP_1) | instskip(NEXT) | instid1(VALU_DEP_1)
	v_mul_f64 v[22:23], v[12:13], v[14:15]
	v_fma_f64 v[12:13], -v[12:13], v[22:23], v[12:13]
	s_delay_alu instid0(VALU_DEP_1) | instskip(NEXT) | instid1(VALU_DEP_1)
	v_div_fmas_f64 v[12:13], v[12:13], v[14:15], v[22:23]
	v_div_fixup_f64 v[12:13], v[12:13], v[2:3], v[2:3]
; %bb.254:                              ;   in Loop: Header=BB228_137 Depth=1
	s_or_b32 exec_lo, exec_lo, s4
	v_dual_mov_b32 v2, v10 :: v_dual_mov_b32 v3, v11
.LBB228_255:                            ;   in Loop: Header=BB228_137 Depth=1
	s_or_b32 exec_lo, exec_lo, s24
	s_delay_alu instid0(SALU_CYCLE_1) | instskip(SKIP_1) | instid1(SALU_CYCLE_1)
	s_or_b32 exec_lo, exec_lo, s11
	s_and_saveexec_b32 s4, s0
	s_xor_b32 s0, exec_lo, s4
	s_cbranch_execz .LBB228_227
.LBB228_256:                            ;   in Loop: Header=BB228_137 Depth=1
	v_add_co_u32 v10, vcc_lo, v26, s6
	v_add_co_ci_u32_e32 v11, vcc_lo, s7, v27, vcc_lo
	v_dual_mov_b32 v22, v8 :: v_dual_mov_b32 v23, v9
	global_store_b128 v[10:11], v[20:23], off offset:-8
	s_or_b32 exec_lo, exec_lo, s0
	s_and_saveexec_b32 s0, s1
	s_cbranch_execz .LBB228_228
.LBB228_257:                            ;   in Loop: Header=BB228_137 Depth=1
	v_add_co_u32 v8, vcc_lo, v28, s6
	v_add_co_ci_u32_e32 v9, vcc_lo, s7, v29, vcc_lo
	v_dual_mov_b32 v20, v4 :: v_dual_mov_b32 v21, v5
	global_store_b128 v[8:9], v[18:21], off
	s_or_b32 exec_lo, exec_lo, s0
	s_and_saveexec_b32 s0, s2
	s_cbranch_execz .LBB228_229
.LBB228_258:                            ;   in Loop: Header=BB228_137 Depth=1
	v_add_co_u32 v4, vcc_lo, v38, s6
	v_add_co_ci_u32_e32 v5, vcc_lo, s7, v39, vcc_lo
	v_dual_mov_b32 v8, v16 :: v_dual_mov_b32 v9, v17
	global_store_b128 v[4:5], v[6:9], off offset:-8
	s_or_b32 exec_lo, exec_lo, s0
	s_and_saveexec_b32 s0, s3
	s_cbranch_execz .LBB228_136
.LBB228_259:                            ;   in Loop: Header=BB228_137 Depth=1
	v_add_co_u32 v6, vcc_lo, v34, s6
	v_add_co_ci_u32_e32 v7, vcc_lo, s7, v35, vcc_lo
	s_delay_alu instid0(VALU_DEP_4)
	v_dual_mov_b32 v4, v12 :: v_dual_mov_b32 v5, v13
	global_store_b128 v[6:7], v[2:5], off offset:-8
	s_branch .LBB228_136
.LBB228_260:                            ;   in Loop: Header=BB228_137 Depth=1
	s_or_b32 exec_lo, exec_lo, s4
	s_and_not1_saveexec_b32 s4, s25
	s_cbranch_execnz .LBB228_168
	s_branch .LBB228_169
.LBB228_261:                            ;   in Loop: Header=BB228_137 Depth=1
	s_delay_alu instid0(VALU_DEP_1) | instskip(NEXT) | instid1(VALU_DEP_1)
	v_add_f64 v[6:7], v[6:7], v[20:21]
	v_mul_f64 v[6:7], v[6:7], 0.5
	s_delay_alu instid0(VALU_DEP_1) | instskip(SKIP_1) | instid1(VALU_DEP_1)
	v_cmp_gt_f64_e32 vcc_lo, 0x10000000, v[6:7]
	v_cndmask_b32_e64 v20, 0, 1, vcc_lo
	v_lshlrev_b32_e32 v20, 8, v20
	s_delay_alu instid0(VALU_DEP_1) | instskip(NEXT) | instid1(VALU_DEP_1)
	v_ldexp_f64 v[6:7], v[6:7], v20
	v_rsq_f64_e32 v[20:21], v[6:7]
	s_waitcnt_depctr 0xfff
	v_mul_f64 v[22:23], v[6:7], v[20:21]
	v_mul_f64 v[20:21], v[20:21], 0.5
	s_delay_alu instid0(VALU_DEP_1) | instskip(NEXT) | instid1(VALU_DEP_1)
	v_fma_f64 v[40:41], -v[20:21], v[22:23], 0.5
	v_fma_f64 v[22:23], v[22:23], v[40:41], v[22:23]
	v_fma_f64 v[20:21], v[20:21], v[40:41], v[20:21]
	s_delay_alu instid0(VALU_DEP_2) | instskip(NEXT) | instid1(VALU_DEP_1)
	v_fma_f64 v[40:41], -v[22:23], v[22:23], v[6:7]
	v_fma_f64 v[22:23], v[40:41], v[20:21], v[22:23]
	s_delay_alu instid0(VALU_DEP_1) | instskip(NEXT) | instid1(VALU_DEP_1)
	v_fma_f64 v[40:41], -v[22:23], v[22:23], v[6:7]
	v_fma_f64 v[20:21], v[40:41], v[20:21], v[22:23]
	v_cndmask_b32_e64 v22, 0, 0xffffff80, vcc_lo
	v_cmp_class_f64_e64 vcc_lo, v[6:7], 0x260
	s_delay_alu instid0(VALU_DEP_2) | instskip(NEXT) | instid1(VALU_DEP_1)
	v_ldexp_f64 v[20:21], v[20:21], v22
	v_dual_cndmask_b32 v7, v21, v7 :: v_dual_cndmask_b32 v6, v20, v6
	s_delay_alu instid0(VALU_DEP_1) | instskip(NEXT) | instid1(VALU_DEP_1)
	v_add_f64 v[20:21], v[6:7], v[6:7]
	v_div_scale_f64 v[22:23], null, v[20:21], v[20:21], v[8:9]
	s_delay_alu instid0(VALU_DEP_1) | instskip(SKIP_2) | instid1(VALU_DEP_1)
	v_rcp_f64_e32 v[40:41], v[22:23]
	s_waitcnt_depctr 0xfff
	v_fma_f64 v[42:43], -v[22:23], v[40:41], 1.0
	v_fma_f64 v[40:41], v[40:41], v[42:43], v[40:41]
	s_delay_alu instid0(VALU_DEP_1) | instskip(NEXT) | instid1(VALU_DEP_1)
	v_fma_f64 v[42:43], -v[22:23], v[40:41], 1.0
	v_fma_f64 v[40:41], v[40:41], v[42:43], v[40:41]
	v_div_scale_f64 v[42:43], vcc_lo, v[8:9], v[20:21], v[8:9]
	s_delay_alu instid0(VALU_DEP_1) | instskip(NEXT) | instid1(VALU_DEP_1)
	v_mul_f64 v[44:45], v[42:43], v[40:41]
	v_fma_f64 v[22:23], -v[22:23], v[44:45], v[42:43]
	s_delay_alu instid0(VALU_DEP_1) | instskip(NEXT) | instid1(VALU_DEP_1)
	v_div_fmas_f64 v[22:23], v[22:23], v[40:41], v[44:45]
	v_div_fixup_f64 v[8:9], v[22:23], v[20:21], v[8:9]
                                        ; implicit-def: $vgpr20_vgpr21
	s_and_not1_saveexec_b32 s5, s5
	s_cbranch_execz .LBB228_157
.LBB228_262:                            ;   in Loop: Header=BB228_137 Depth=1
	v_add_f64 v[6:7], v[20:21], -v[6:7]
	s_delay_alu instid0(VALU_DEP_1) | instskip(NEXT) | instid1(VALU_DEP_1)
	v_mul_f64 v[6:7], v[6:7], 0.5
	v_cmp_gt_f64_e32 vcc_lo, 0x10000000, v[6:7]
	v_cndmask_b32_e64 v20, 0, 1, vcc_lo
	s_delay_alu instid0(VALU_DEP_1) | instskip(NEXT) | instid1(VALU_DEP_1)
	v_lshlrev_b32_e32 v20, 8, v20
	v_ldexp_f64 v[6:7], v[6:7], v20
	s_delay_alu instid0(VALU_DEP_1) | instskip(SKIP_3) | instid1(VALU_DEP_1)
	v_rsq_f64_e32 v[20:21], v[6:7]
	s_waitcnt_depctr 0xfff
	v_mul_f64 v[22:23], v[6:7], v[20:21]
	v_mul_f64 v[20:21], v[20:21], 0.5
	v_fma_f64 v[40:41], -v[20:21], v[22:23], 0.5
	s_delay_alu instid0(VALU_DEP_1) | instskip(SKIP_1) | instid1(VALU_DEP_2)
	v_fma_f64 v[22:23], v[22:23], v[40:41], v[22:23]
	v_fma_f64 v[20:21], v[20:21], v[40:41], v[20:21]
	v_fma_f64 v[40:41], -v[22:23], v[22:23], v[6:7]
	s_delay_alu instid0(VALU_DEP_1) | instskip(NEXT) | instid1(VALU_DEP_1)
	v_fma_f64 v[22:23], v[40:41], v[20:21], v[22:23]
	v_fma_f64 v[40:41], -v[22:23], v[22:23], v[6:7]
	s_delay_alu instid0(VALU_DEP_1) | instskip(SKIP_3) | instid1(VALU_DEP_3)
	v_fma_f64 v[20:21], v[40:41], v[20:21], v[22:23]
	v_cndmask_b32_e64 v22, 0, 0xffffff80, vcc_lo
	v_cmp_class_f64_e64 vcc_lo, v[6:7], 0x260
	v_and_b32_e32 v23, 0x7fffffff, v9
	v_ldexp_f64 v[20:21], v[20:21], v22
	s_delay_alu instid0(VALU_DEP_1) | instskip(NEXT) | instid1(VALU_DEP_1)
	v_dual_cndmask_b32 v21, v21, v7 :: v_dual_cndmask_b32 v20, v20, v6
	v_add_f64 v[6:7], v[20:21], v[20:21]
	v_bfi_b32 v21, 0x7fffffff, v21, v9
	v_mov_b32_e32 v22, v8
	s_delay_alu instid0(VALU_DEP_1) | instskip(SKIP_1) | instid1(VALU_DEP_2)
	v_div_scale_f64 v[40:41], null, v[6:7], v[6:7], v[22:23]
	v_div_scale_f64 v[22:23], vcc_lo, v[22:23], v[6:7], v[22:23]
	v_rcp_f64_e32 v[42:43], v[40:41]
	s_waitcnt_depctr 0xfff
	v_fma_f64 v[44:45], -v[40:41], v[42:43], 1.0
	s_delay_alu instid0(VALU_DEP_1) | instskip(NEXT) | instid1(VALU_DEP_1)
	v_fma_f64 v[42:43], v[42:43], v[44:45], v[42:43]
	v_fma_f64 v[44:45], -v[40:41], v[42:43], 1.0
	s_delay_alu instid0(VALU_DEP_1) | instskip(NEXT) | instid1(VALU_DEP_1)
	v_fma_f64 v[42:43], v[42:43], v[44:45], v[42:43]
	v_mul_f64 v[44:45], v[22:23], v[42:43]
	s_delay_alu instid0(VALU_DEP_1) | instskip(NEXT) | instid1(VALU_DEP_1)
	v_fma_f64 v[22:23], -v[40:41], v[44:45], v[22:23]
	v_div_fmas_f64 v[22:23], v[22:23], v[42:43], v[44:45]
	s_delay_alu instid0(VALU_DEP_1) | instskip(SKIP_3) | instid1(SALU_CYCLE_1)
	v_div_fixup_f64 v[6:7], v[22:23], v[6:7], |v[8:9]|
	v_dual_mov_b32 v8, v20 :: v_dual_mov_b32 v9, v21
	s_or_b32 exec_lo, exec_lo, s5
	s_and_saveexec_b32 s5, s4
	s_xor_b32 s4, exec_lo, s5
	s_cbranch_execz .LBB228_158
.LBB228_263:                            ;   in Loop: Header=BB228_137 Depth=1
	s_and_saveexec_b32 s5, s27
; %bb.264:                              ;   in Loop: Header=BB228_137 Depth=1
	s_delay_alu instid0(VALU_DEP_2) | instskip(NEXT) | instid1(VALU_DEP_2)
	v_mul_f64 v[6:7], v[6:7], 0.5
	v_mul_f64 v[8:9], v[8:9], 0.5
; %bb.265:                              ;   in Loop: Header=BB228_137 Depth=1
	s_or_b32 exec_lo, exec_lo, s5
	s_and_not1_saveexec_b32 s4, s4
	s_cbranch_execnz .LBB228_159
	s_branch .LBB228_160
.LBB228_266:                            ;   in Loop: Header=BB228_137 Depth=1
	s_delay_alu instid0(VALU_DEP_1) | instskip(NEXT) | instid1(VALU_DEP_1)
	v_add_f64 v[2:3], v[2:3], v[6:7]
	v_mul_f64 v[2:3], v[2:3], 0.5
	s_delay_alu instid0(VALU_DEP_1) | instskip(SKIP_1) | instid1(VALU_DEP_1)
	v_cmp_gt_f64_e32 vcc_lo, 0x10000000, v[2:3]
	v_cndmask_b32_e64 v6, 0, 1, vcc_lo
	v_lshlrev_b32_e32 v6, 8, v6
	s_delay_alu instid0(VALU_DEP_1) | instskip(NEXT) | instid1(VALU_DEP_1)
	v_ldexp_f64 v[2:3], v[2:3], v6
	v_rsq_f64_e32 v[6:7], v[2:3]
	s_waitcnt_depctr 0xfff
	v_mul_f64 v[18:19], v[2:3], v[6:7]
	v_mul_f64 v[6:7], v[6:7], 0.5
	s_delay_alu instid0(VALU_DEP_1) | instskip(NEXT) | instid1(VALU_DEP_1)
	v_fma_f64 v[22:23], -v[6:7], v[18:19], 0.5
	v_fma_f64 v[18:19], v[18:19], v[22:23], v[18:19]
	v_fma_f64 v[6:7], v[6:7], v[22:23], v[6:7]
	s_delay_alu instid0(VALU_DEP_2) | instskip(NEXT) | instid1(VALU_DEP_1)
	v_fma_f64 v[22:23], -v[18:19], v[18:19], v[2:3]
	v_fma_f64 v[18:19], v[22:23], v[6:7], v[18:19]
	s_delay_alu instid0(VALU_DEP_1) | instskip(NEXT) | instid1(VALU_DEP_1)
	v_fma_f64 v[22:23], -v[18:19], v[18:19], v[2:3]
	v_fma_f64 v[6:7], v[22:23], v[6:7], v[18:19]
	v_cndmask_b32_e64 v18, 0, 0xffffff80, vcc_lo
	v_cmp_class_f64_e64 vcc_lo, v[2:3], 0x260
	s_delay_alu instid0(VALU_DEP_2) | instskip(NEXT) | instid1(VALU_DEP_1)
	v_ldexp_f64 v[6:7], v[6:7], v18
	v_dual_cndmask_b32 v3, v7, v3 :: v_dual_cndmask_b32 v2, v6, v2
	s_delay_alu instid0(VALU_DEP_1) | instskip(NEXT) | instid1(VALU_DEP_1)
	v_add_f64 v[6:7], v[2:3], v[2:3]
	v_div_scale_f64 v[18:19], null, v[6:7], v[6:7], v[4:5]
	s_delay_alu instid0(VALU_DEP_1) | instskip(SKIP_2) | instid1(VALU_DEP_1)
	v_rcp_f64_e32 v[22:23], v[18:19]
	s_waitcnt_depctr 0xfff
	v_fma_f64 v[40:41], -v[18:19], v[22:23], 1.0
	v_fma_f64 v[22:23], v[22:23], v[40:41], v[22:23]
	s_delay_alu instid0(VALU_DEP_1) | instskip(NEXT) | instid1(VALU_DEP_1)
	v_fma_f64 v[40:41], -v[18:19], v[22:23], 1.0
	v_fma_f64 v[22:23], v[22:23], v[40:41], v[22:23]
	v_div_scale_f64 v[40:41], vcc_lo, v[4:5], v[6:7], v[4:5]
	s_delay_alu instid0(VALU_DEP_1) | instskip(NEXT) | instid1(VALU_DEP_1)
	v_mul_f64 v[42:43], v[40:41], v[22:23]
	v_fma_f64 v[18:19], -v[18:19], v[42:43], v[40:41]
	s_delay_alu instid0(VALU_DEP_1) | instskip(NEXT) | instid1(VALU_DEP_1)
	v_div_fmas_f64 v[18:19], v[18:19], v[22:23], v[42:43]
	v_div_fixup_f64 v[4:5], v[18:19], v[6:7], v[4:5]
                                        ; implicit-def: $vgpr6_vgpr7
	s_and_not1_saveexec_b32 s5, s5
	s_cbranch_execz .LBB228_183
.LBB228_267:                            ;   in Loop: Header=BB228_137 Depth=1
	v_add_f64 v[2:3], v[6:7], -v[2:3]
	s_delay_alu instid0(VALU_DEP_1) | instskip(NEXT) | instid1(VALU_DEP_1)
	v_mul_f64 v[2:3], v[2:3], 0.5
	v_cmp_gt_f64_e32 vcc_lo, 0x10000000, v[2:3]
	v_cndmask_b32_e64 v6, 0, 1, vcc_lo
	s_delay_alu instid0(VALU_DEP_1) | instskip(NEXT) | instid1(VALU_DEP_1)
	v_lshlrev_b32_e32 v6, 8, v6
	v_ldexp_f64 v[2:3], v[2:3], v6
	s_delay_alu instid0(VALU_DEP_1) | instskip(SKIP_3) | instid1(VALU_DEP_1)
	v_rsq_f64_e32 v[6:7], v[2:3]
	s_waitcnt_depctr 0xfff
	v_mul_f64 v[18:19], v[2:3], v[6:7]
	v_mul_f64 v[6:7], v[6:7], 0.5
	v_fma_f64 v[22:23], -v[6:7], v[18:19], 0.5
	s_delay_alu instid0(VALU_DEP_1) | instskip(SKIP_1) | instid1(VALU_DEP_2)
	v_fma_f64 v[18:19], v[18:19], v[22:23], v[18:19]
	v_fma_f64 v[6:7], v[6:7], v[22:23], v[6:7]
	v_fma_f64 v[22:23], -v[18:19], v[18:19], v[2:3]
	s_delay_alu instid0(VALU_DEP_1) | instskip(NEXT) | instid1(VALU_DEP_1)
	v_fma_f64 v[18:19], v[22:23], v[6:7], v[18:19]
	v_fma_f64 v[22:23], -v[18:19], v[18:19], v[2:3]
	s_delay_alu instid0(VALU_DEP_1) | instskip(SKIP_3) | instid1(VALU_DEP_3)
	v_fma_f64 v[6:7], v[22:23], v[6:7], v[18:19]
	v_cndmask_b32_e64 v18, 0, 0xffffff80, vcc_lo
	v_cmp_class_f64_e64 vcc_lo, v[2:3], 0x260
	v_and_b32_e32 v19, 0x7fffffff, v5
	v_ldexp_f64 v[6:7], v[6:7], v18
	s_delay_alu instid0(VALU_DEP_1) | instskip(NEXT) | instid1(VALU_DEP_1)
	v_dual_cndmask_b32 v7, v7, v3 :: v_dual_cndmask_b32 v6, v6, v2
	v_add_f64 v[2:3], v[6:7], v[6:7]
	v_bfi_b32 v7, 0x7fffffff, v7, v5
	v_mov_b32_e32 v18, v4
	s_delay_alu instid0(VALU_DEP_1) | instskip(SKIP_1) | instid1(VALU_DEP_2)
	v_div_scale_f64 v[22:23], null, v[2:3], v[2:3], v[18:19]
	v_div_scale_f64 v[18:19], vcc_lo, v[18:19], v[2:3], v[18:19]
	v_rcp_f64_e32 v[40:41], v[22:23]
	s_waitcnt_depctr 0xfff
	v_fma_f64 v[42:43], -v[22:23], v[40:41], 1.0
	s_delay_alu instid0(VALU_DEP_1) | instskip(NEXT) | instid1(VALU_DEP_1)
	v_fma_f64 v[40:41], v[40:41], v[42:43], v[40:41]
	v_fma_f64 v[42:43], -v[22:23], v[40:41], 1.0
	s_delay_alu instid0(VALU_DEP_1) | instskip(NEXT) | instid1(VALU_DEP_1)
	v_fma_f64 v[40:41], v[40:41], v[42:43], v[40:41]
	v_mul_f64 v[42:43], v[18:19], v[40:41]
	s_delay_alu instid0(VALU_DEP_1) | instskip(NEXT) | instid1(VALU_DEP_1)
	v_fma_f64 v[18:19], -v[22:23], v[42:43], v[18:19]
	v_div_fmas_f64 v[18:19], v[18:19], v[40:41], v[42:43]
	s_delay_alu instid0(VALU_DEP_1) | instskip(SKIP_3) | instid1(SALU_CYCLE_1)
	v_div_fixup_f64 v[2:3], v[18:19], v[2:3], |v[4:5]|
	v_dual_mov_b32 v4, v6 :: v_dual_mov_b32 v5, v7
	s_or_b32 exec_lo, exec_lo, s5
	s_and_saveexec_b32 s5, s4
	s_xor_b32 s4, exec_lo, s5
	s_cbranch_execz .LBB228_184
.LBB228_268:                            ;   in Loop: Header=BB228_137 Depth=1
	s_and_saveexec_b32 s5, s27
; %bb.269:                              ;   in Loop: Header=BB228_137 Depth=1
	s_delay_alu instid0(VALU_DEP_2) | instskip(NEXT) | instid1(VALU_DEP_2)
	v_mul_f64 v[2:3], v[2:3], 0.5
	v_mul_f64 v[4:5], v[4:5], 0.5
; %bb.270:                              ;   in Loop: Header=BB228_137 Depth=1
	s_or_b32 exec_lo, exec_lo, s5
	s_and_not1_saveexec_b32 s4, s4
	s_cbranch_execnz .LBB228_185
	s_branch .LBB228_186
.LBB228_271:                            ;   in Loop: Header=BB228_137 Depth=1
	s_delay_alu instid0(VALU_DEP_1) | instskip(NEXT) | instid1(VALU_DEP_1)
	v_add_f64 v[6:7], v[14:15], v[6:7]
	v_mul_f64 v[6:7], v[6:7], 0.5
	s_delay_alu instid0(VALU_DEP_1) | instskip(SKIP_1) | instid1(VALU_DEP_1)
	v_cmp_gt_f64_e32 vcc_lo, 0x10000000, v[6:7]
	v_cndmask_b32_e64 v14, 0, 1, vcc_lo
	v_lshlrev_b32_e32 v14, 8, v14
	s_delay_alu instid0(VALU_DEP_1) | instskip(NEXT) | instid1(VALU_DEP_1)
	v_ldexp_f64 v[6:7], v[6:7], v14
	v_rsq_f64_e32 v[14:15], v[6:7]
	s_waitcnt_depctr 0xfff
	v_mul_f64 v[22:23], v[6:7], v[14:15]
	v_mul_f64 v[14:15], v[14:15], 0.5
	s_delay_alu instid0(VALU_DEP_1) | instskip(NEXT) | instid1(VALU_DEP_1)
	v_fma_f64 v[40:41], -v[14:15], v[22:23], 0.5
	v_fma_f64 v[22:23], v[22:23], v[40:41], v[22:23]
	v_fma_f64 v[14:15], v[14:15], v[40:41], v[14:15]
	s_delay_alu instid0(VALU_DEP_2) | instskip(NEXT) | instid1(VALU_DEP_1)
	v_fma_f64 v[40:41], -v[22:23], v[22:23], v[6:7]
	v_fma_f64 v[22:23], v[40:41], v[14:15], v[22:23]
	s_delay_alu instid0(VALU_DEP_1) | instskip(NEXT) | instid1(VALU_DEP_1)
	v_fma_f64 v[40:41], -v[22:23], v[22:23], v[6:7]
	v_fma_f64 v[14:15], v[40:41], v[14:15], v[22:23]
	v_cndmask_b32_e64 v22, 0, 0xffffff80, vcc_lo
	v_cmp_class_f64_e64 vcc_lo, v[6:7], 0x260
	s_delay_alu instid0(VALU_DEP_2) | instskip(NEXT) | instid1(VALU_DEP_1)
	v_ldexp_f64 v[14:15], v[14:15], v22
	v_dual_cndmask_b32 v15, v15, v7 :: v_dual_cndmask_b32 v14, v14, v6
	s_delay_alu instid0(VALU_DEP_1) | instskip(NEXT) | instid1(VALU_DEP_1)
	v_add_f64 v[6:7], v[14:15], v[14:15]
	v_div_scale_f64 v[22:23], null, v[6:7], v[6:7], v[16:17]
	s_delay_alu instid0(VALU_DEP_1) | instskip(SKIP_2) | instid1(VALU_DEP_1)
	v_rcp_f64_e32 v[40:41], v[22:23]
	s_waitcnt_depctr 0xfff
	v_fma_f64 v[42:43], -v[22:23], v[40:41], 1.0
	v_fma_f64 v[40:41], v[40:41], v[42:43], v[40:41]
	s_delay_alu instid0(VALU_DEP_1) | instskip(NEXT) | instid1(VALU_DEP_1)
	v_fma_f64 v[42:43], -v[22:23], v[40:41], 1.0
	v_fma_f64 v[40:41], v[40:41], v[42:43], v[40:41]
	v_div_scale_f64 v[42:43], vcc_lo, v[16:17], v[6:7], v[16:17]
	s_delay_alu instid0(VALU_DEP_1) | instskip(NEXT) | instid1(VALU_DEP_1)
	v_mul_f64 v[44:45], v[42:43], v[40:41]
	v_fma_f64 v[22:23], -v[22:23], v[44:45], v[42:43]
	s_delay_alu instid0(VALU_DEP_1) | instskip(NEXT) | instid1(VALU_DEP_1)
	v_div_fmas_f64 v[22:23], v[22:23], v[40:41], v[44:45]
	v_div_fixup_f64 v[16:17], v[22:23], v[6:7], v[16:17]
                                        ; implicit-def: $vgpr6_vgpr7
	s_and_not1_saveexec_b32 s5, s5
	s_cbranch_execz .LBB228_210
.LBB228_272:                            ;   in Loop: Header=BB228_137 Depth=1
	v_add_f64 v[6:7], v[6:7], -v[14:15]
	s_delay_alu instid0(VALU_DEP_1) | instskip(NEXT) | instid1(VALU_DEP_1)
	v_mul_f64 v[6:7], v[6:7], 0.5
	v_cmp_gt_f64_e32 vcc_lo, 0x10000000, v[6:7]
	v_cndmask_b32_e64 v14, 0, 1, vcc_lo
	s_delay_alu instid0(VALU_DEP_1) | instskip(NEXT) | instid1(VALU_DEP_1)
	v_lshlrev_b32_e32 v14, 8, v14
	v_ldexp_f64 v[6:7], v[6:7], v14
	s_delay_alu instid0(VALU_DEP_1) | instskip(SKIP_3) | instid1(VALU_DEP_1)
	v_rsq_f64_e32 v[14:15], v[6:7]
	s_waitcnt_depctr 0xfff
	v_mul_f64 v[22:23], v[6:7], v[14:15]
	v_mul_f64 v[14:15], v[14:15], 0.5
	v_fma_f64 v[40:41], -v[14:15], v[22:23], 0.5
	s_delay_alu instid0(VALU_DEP_1) | instskip(SKIP_1) | instid1(VALU_DEP_2)
	v_fma_f64 v[22:23], v[22:23], v[40:41], v[22:23]
	v_fma_f64 v[14:15], v[14:15], v[40:41], v[14:15]
	v_fma_f64 v[40:41], -v[22:23], v[22:23], v[6:7]
	s_delay_alu instid0(VALU_DEP_1) | instskip(NEXT) | instid1(VALU_DEP_1)
	v_fma_f64 v[22:23], v[40:41], v[14:15], v[22:23]
	v_fma_f64 v[40:41], -v[22:23], v[22:23], v[6:7]
	s_delay_alu instid0(VALU_DEP_1) | instskip(SKIP_3) | instid1(VALU_DEP_3)
	v_fma_f64 v[14:15], v[40:41], v[14:15], v[22:23]
	v_cndmask_b32_e64 v22, 0, 0xffffff80, vcc_lo
	v_cmp_class_f64_e64 vcc_lo, v[6:7], 0x260
	v_and_b32_e32 v23, 0x7fffffff, v17
	v_ldexp_f64 v[14:15], v[14:15], v22
	s_delay_alu instid0(VALU_DEP_1) | instskip(NEXT) | instid1(VALU_DEP_1)
	v_dual_cndmask_b32 v7, v15, v7 :: v_dual_cndmask_b32 v6, v14, v6
	v_add_f64 v[14:15], v[6:7], v[6:7]
	v_bfi_b32 v7, 0x7fffffff, v7, v17
	v_mov_b32_e32 v22, v16
	s_delay_alu instid0(VALU_DEP_1) | instskip(SKIP_1) | instid1(VALU_DEP_2)
	v_div_scale_f64 v[40:41], null, v[14:15], v[14:15], v[22:23]
	v_div_scale_f64 v[22:23], vcc_lo, v[22:23], v[14:15], v[22:23]
	v_rcp_f64_e32 v[42:43], v[40:41]
	s_waitcnt_depctr 0xfff
	v_fma_f64 v[44:45], -v[40:41], v[42:43], 1.0
	s_delay_alu instid0(VALU_DEP_1) | instskip(NEXT) | instid1(VALU_DEP_1)
	v_fma_f64 v[42:43], v[42:43], v[44:45], v[42:43]
	v_fma_f64 v[44:45], -v[40:41], v[42:43], 1.0
	s_delay_alu instid0(VALU_DEP_1) | instskip(NEXT) | instid1(VALU_DEP_1)
	v_fma_f64 v[42:43], v[42:43], v[44:45], v[42:43]
	v_mul_f64 v[44:45], v[22:23], v[42:43]
	s_delay_alu instid0(VALU_DEP_1) | instskip(NEXT) | instid1(VALU_DEP_1)
	v_fma_f64 v[22:23], -v[40:41], v[44:45], v[22:23]
	v_div_fmas_f64 v[22:23], v[22:23], v[42:43], v[44:45]
	s_delay_alu instid0(VALU_DEP_1) | instskip(SKIP_3) | instid1(SALU_CYCLE_1)
	v_div_fixup_f64 v[14:15], v[22:23], v[14:15], |v[16:17]|
	v_dual_mov_b32 v17, v7 :: v_dual_mov_b32 v16, v6
	s_or_b32 exec_lo, exec_lo, s5
	s_and_saveexec_b32 s5, s4
	s_xor_b32 s4, exec_lo, s5
	s_cbranch_execz .LBB228_211
.LBB228_273:                            ;   in Loop: Header=BB228_137 Depth=1
	s_and_saveexec_b32 s5, s27
; %bb.274:                              ;   in Loop: Header=BB228_137 Depth=1
	s_delay_alu instid0(VALU_DEP_2) | instskip(NEXT) | instid1(VALU_DEP_2)
	v_mul_f64 v[14:15], v[14:15], 0.5
	v_mul_f64 v[16:17], v[16:17], 0.5
; %bb.275:                              ;   in Loop: Header=BB228_137 Depth=1
	s_or_b32 exec_lo, exec_lo, s5
	s_and_not1_saveexec_b32 s4, s4
	s_cbranch_execnz .LBB228_212
	s_branch .LBB228_213
.LBB228_276:                            ;   in Loop: Header=BB228_137 Depth=1
	s_delay_alu instid0(VALU_DEP_1) | instskip(NEXT) | instid1(VALU_DEP_1)
	v_add_f64 v[2:3], v[10:11], v[2:3]
	v_mul_f64 v[2:3], v[2:3], 0.5
	s_delay_alu instid0(VALU_DEP_1) | instskip(SKIP_1) | instid1(VALU_DEP_1)
	v_cmp_gt_f64_e32 vcc_lo, 0x10000000, v[2:3]
	v_cndmask_b32_e64 v10, 0, 1, vcc_lo
	v_lshlrev_b32_e32 v10, 8, v10
	s_delay_alu instid0(VALU_DEP_1) | instskip(NEXT) | instid1(VALU_DEP_1)
	v_ldexp_f64 v[2:3], v[2:3], v10
	v_rsq_f64_e32 v[10:11], v[2:3]
	s_waitcnt_depctr 0xfff
	v_mul_f64 v[14:15], v[2:3], v[10:11]
	v_mul_f64 v[10:11], v[10:11], 0.5
	s_delay_alu instid0(VALU_DEP_1) | instskip(NEXT) | instid1(VALU_DEP_1)
	v_fma_f64 v[22:23], -v[10:11], v[14:15], 0.5
	v_fma_f64 v[14:15], v[14:15], v[22:23], v[14:15]
	v_fma_f64 v[10:11], v[10:11], v[22:23], v[10:11]
	s_delay_alu instid0(VALU_DEP_2) | instskip(NEXT) | instid1(VALU_DEP_1)
	v_fma_f64 v[22:23], -v[14:15], v[14:15], v[2:3]
	v_fma_f64 v[14:15], v[22:23], v[10:11], v[14:15]
	s_delay_alu instid0(VALU_DEP_1) | instskip(NEXT) | instid1(VALU_DEP_1)
	v_fma_f64 v[22:23], -v[14:15], v[14:15], v[2:3]
	v_fma_f64 v[10:11], v[22:23], v[10:11], v[14:15]
	v_cndmask_b32_e64 v14, 0, 0xffffff80, vcc_lo
	v_cmp_class_f64_e64 vcc_lo, v[2:3], 0x260
	s_delay_alu instid0(VALU_DEP_2) | instskip(NEXT) | instid1(VALU_DEP_1)
	v_ldexp_f64 v[10:11], v[10:11], v14
	v_dual_cndmask_b32 v11, v11, v3 :: v_dual_cndmask_b32 v10, v10, v2
	s_delay_alu instid0(VALU_DEP_1) | instskip(NEXT) | instid1(VALU_DEP_1)
	v_add_f64 v[2:3], v[10:11], v[10:11]
	v_div_scale_f64 v[14:15], null, v[2:3], v[2:3], v[12:13]
	s_delay_alu instid0(VALU_DEP_1) | instskip(SKIP_2) | instid1(VALU_DEP_1)
	v_rcp_f64_e32 v[22:23], v[14:15]
	s_waitcnt_depctr 0xfff
	v_fma_f64 v[40:41], -v[14:15], v[22:23], 1.0
	v_fma_f64 v[22:23], v[22:23], v[40:41], v[22:23]
	s_delay_alu instid0(VALU_DEP_1) | instskip(NEXT) | instid1(VALU_DEP_1)
	v_fma_f64 v[40:41], -v[14:15], v[22:23], 1.0
	v_fma_f64 v[22:23], v[22:23], v[40:41], v[22:23]
	v_div_scale_f64 v[40:41], vcc_lo, v[12:13], v[2:3], v[12:13]
	s_delay_alu instid0(VALU_DEP_1) | instskip(NEXT) | instid1(VALU_DEP_1)
	v_mul_f64 v[42:43], v[40:41], v[22:23]
	v_fma_f64 v[14:15], -v[14:15], v[42:43], v[40:41]
	s_delay_alu instid0(VALU_DEP_1) | instskip(NEXT) | instid1(VALU_DEP_1)
	v_div_fmas_f64 v[14:15], v[14:15], v[22:23], v[42:43]
	v_div_fixup_f64 v[12:13], v[14:15], v[2:3], v[12:13]
                                        ; implicit-def: $vgpr2_vgpr3
	s_and_not1_saveexec_b32 s5, s5
	s_cbranch_execz .LBB228_241
.LBB228_277:                            ;   in Loop: Header=BB228_137 Depth=1
	v_add_f64 v[2:3], v[2:3], -v[10:11]
	s_delay_alu instid0(VALU_DEP_1) | instskip(NEXT) | instid1(VALU_DEP_1)
	v_mul_f64 v[2:3], v[2:3], 0.5
	v_cmp_gt_f64_e32 vcc_lo, 0x10000000, v[2:3]
	v_cndmask_b32_e64 v10, 0, 1, vcc_lo
	s_delay_alu instid0(VALU_DEP_1) | instskip(NEXT) | instid1(VALU_DEP_1)
	v_lshlrev_b32_e32 v10, 8, v10
	v_ldexp_f64 v[2:3], v[2:3], v10
	s_delay_alu instid0(VALU_DEP_1) | instskip(SKIP_3) | instid1(VALU_DEP_1)
	v_rsq_f64_e32 v[10:11], v[2:3]
	s_waitcnt_depctr 0xfff
	v_mul_f64 v[14:15], v[2:3], v[10:11]
	v_mul_f64 v[10:11], v[10:11], 0.5
	v_fma_f64 v[22:23], -v[10:11], v[14:15], 0.5
	s_delay_alu instid0(VALU_DEP_1) | instskip(SKIP_1) | instid1(VALU_DEP_2)
	v_fma_f64 v[14:15], v[14:15], v[22:23], v[14:15]
	v_fma_f64 v[10:11], v[10:11], v[22:23], v[10:11]
	v_fma_f64 v[22:23], -v[14:15], v[14:15], v[2:3]
	s_delay_alu instid0(VALU_DEP_1) | instskip(NEXT) | instid1(VALU_DEP_1)
	v_fma_f64 v[14:15], v[22:23], v[10:11], v[14:15]
	v_fma_f64 v[22:23], -v[14:15], v[14:15], v[2:3]
	s_delay_alu instid0(VALU_DEP_1) | instskip(SKIP_3) | instid1(VALU_DEP_3)
	v_fma_f64 v[10:11], v[22:23], v[10:11], v[14:15]
	v_cndmask_b32_e64 v14, 0, 0xffffff80, vcc_lo
	v_cmp_class_f64_e64 vcc_lo, v[2:3], 0x260
	v_and_b32_e32 v15, 0x7fffffff, v13
	v_ldexp_f64 v[10:11], v[10:11], v14
	s_delay_alu instid0(VALU_DEP_1) | instskip(NEXT) | instid1(VALU_DEP_1)
	v_dual_cndmask_b32 v3, v11, v3 :: v_dual_cndmask_b32 v2, v10, v2
	v_add_f64 v[10:11], v[2:3], v[2:3]
	v_bfi_b32 v3, 0x7fffffff, v3, v13
	v_mov_b32_e32 v14, v12
	s_delay_alu instid0(VALU_DEP_1) | instskip(SKIP_1) | instid1(VALU_DEP_2)
	v_div_scale_f64 v[22:23], null, v[10:11], v[10:11], v[14:15]
	v_div_scale_f64 v[14:15], vcc_lo, v[14:15], v[10:11], v[14:15]
	v_rcp_f64_e32 v[40:41], v[22:23]
	s_waitcnt_depctr 0xfff
	v_fma_f64 v[42:43], -v[22:23], v[40:41], 1.0
	s_delay_alu instid0(VALU_DEP_1) | instskip(NEXT) | instid1(VALU_DEP_1)
	v_fma_f64 v[40:41], v[40:41], v[42:43], v[40:41]
	v_fma_f64 v[42:43], -v[22:23], v[40:41], 1.0
	s_delay_alu instid0(VALU_DEP_1) | instskip(NEXT) | instid1(VALU_DEP_1)
	v_fma_f64 v[40:41], v[40:41], v[42:43], v[40:41]
	v_mul_f64 v[42:43], v[14:15], v[40:41]
	s_delay_alu instid0(VALU_DEP_1) | instskip(NEXT) | instid1(VALU_DEP_1)
	v_fma_f64 v[14:15], -v[22:23], v[42:43], v[14:15]
	v_div_fmas_f64 v[14:15], v[14:15], v[40:41], v[42:43]
	s_delay_alu instid0(VALU_DEP_1) | instskip(SKIP_3) | instid1(SALU_CYCLE_1)
	v_div_fixup_f64 v[10:11], v[14:15], v[10:11], |v[12:13]|
	v_dual_mov_b32 v13, v3 :: v_dual_mov_b32 v12, v2
	s_or_b32 exec_lo, exec_lo, s5
	s_and_saveexec_b32 s5, s4
	s_xor_b32 s4, exec_lo, s5
	s_cbranch_execz .LBB228_242
.LBB228_278:                            ;   in Loop: Header=BB228_137 Depth=1
	s_and_saveexec_b32 s5, s27
; %bb.279:                              ;   in Loop: Header=BB228_137 Depth=1
	s_delay_alu instid0(VALU_DEP_2) | instskip(NEXT) | instid1(VALU_DEP_2)
	v_mul_f64 v[10:11], v[10:11], 0.5
	v_mul_f64 v[12:13], v[12:13], 0.5
; %bb.280:                              ;   in Loop: Header=BB228_137 Depth=1
	s_or_b32 exec_lo, exec_lo, s5
	s_and_not1_saveexec_b32 s4, s4
	s_cbranch_execnz .LBB228_243
	s_branch .LBB228_244
.LBB228_281:
	s_nop 0
	s_sendmsg sendmsg(MSG_DEALLOC_VGPRS)
	s_endpgm
	.section	.rodata,"a",@progbits
	.p2align	6, 0x0
	.amdhsa_kernel _ZN2at6native12_GLOBAL__N_125multi_tensor_apply_kernelINS1_18TensorListMetadataILi2EEENS1_14UnaryOpFunctorIN3c107complexIdEELi2ELi1ELi1EEEJNS0_4SqrtIS8_EEEEEvT_T0_DpT1_
		.amdhsa_group_segment_fixed_size 0
		.amdhsa_private_segment_fixed_size 0
		.amdhsa_kernarg_size 3408
		.amdhsa_user_sgpr_count 15
		.amdhsa_user_sgpr_dispatch_ptr 0
		.amdhsa_user_sgpr_queue_ptr 0
		.amdhsa_user_sgpr_kernarg_segment_ptr 1
		.amdhsa_user_sgpr_dispatch_id 0
		.amdhsa_user_sgpr_private_segment_size 0
		.amdhsa_wavefront_size32 1
		.amdhsa_uses_dynamic_stack 0
		.amdhsa_enable_private_segment 0
		.amdhsa_system_sgpr_workgroup_id_x 1
		.amdhsa_system_sgpr_workgroup_id_y 0
		.amdhsa_system_sgpr_workgroup_id_z 0
		.amdhsa_system_sgpr_workgroup_info 0
		.amdhsa_system_vgpr_workitem_id 0
		.amdhsa_next_free_vgpr 46
		.amdhsa_next_free_sgpr 31
		.amdhsa_reserve_vcc 1
		.amdhsa_float_round_mode_32 0
		.amdhsa_float_round_mode_16_64 0
		.amdhsa_float_denorm_mode_32 3
		.amdhsa_float_denorm_mode_16_64 3
		.amdhsa_dx10_clamp 1
		.amdhsa_ieee_mode 1
		.amdhsa_fp16_overflow 0
		.amdhsa_workgroup_processor_mode 1
		.amdhsa_memory_ordered 1
		.amdhsa_forward_progress 0
		.amdhsa_shared_vgpr_count 0
		.amdhsa_exception_fp_ieee_invalid_op 0
		.amdhsa_exception_fp_denorm_src 0
		.amdhsa_exception_fp_ieee_div_zero 0
		.amdhsa_exception_fp_ieee_overflow 0
		.amdhsa_exception_fp_ieee_underflow 0
		.amdhsa_exception_fp_ieee_inexact 0
		.amdhsa_exception_int_div_zero 0
	.end_amdhsa_kernel
	.section	.text._ZN2at6native12_GLOBAL__N_125multi_tensor_apply_kernelINS1_18TensorListMetadataILi2EEENS1_14UnaryOpFunctorIN3c107complexIdEELi2ELi1ELi1EEEJNS0_4SqrtIS8_EEEEEvT_T0_DpT1_,"axG",@progbits,_ZN2at6native12_GLOBAL__N_125multi_tensor_apply_kernelINS1_18TensorListMetadataILi2EEENS1_14UnaryOpFunctorIN3c107complexIdEELi2ELi1ELi1EEEJNS0_4SqrtIS8_EEEEEvT_T0_DpT1_,comdat
.Lfunc_end228:
	.size	_ZN2at6native12_GLOBAL__N_125multi_tensor_apply_kernelINS1_18TensorListMetadataILi2EEENS1_14UnaryOpFunctorIN3c107complexIdEELi2ELi1ELi1EEEJNS0_4SqrtIS8_EEEEEvT_T0_DpT1_, .Lfunc_end228-_ZN2at6native12_GLOBAL__N_125multi_tensor_apply_kernelINS1_18TensorListMetadataILi2EEENS1_14UnaryOpFunctorIN3c107complexIdEELi2ELi1ELi1EEEJNS0_4SqrtIS8_EEEEEvT_T0_DpT1_
                                        ; -- End function
	.section	.AMDGPU.csdata,"",@progbits
; Kernel info:
; codeLenInByte = 14016
; NumSgprs: 33
; NumVgprs: 46
; ScratchSize: 0
; MemoryBound: 1
; FloatMode: 240
; IeeeMode: 1
; LDSByteSize: 0 bytes/workgroup (compile time only)
; SGPRBlocks: 4
; VGPRBlocks: 5
; NumSGPRsForWavesPerEU: 33
; NumVGPRsForWavesPerEU: 46
; Occupancy: 16
; WaveLimiterHint : 0
; COMPUTE_PGM_RSRC2:SCRATCH_EN: 0
; COMPUTE_PGM_RSRC2:USER_SGPR: 15
; COMPUTE_PGM_RSRC2:TRAP_HANDLER: 0
; COMPUTE_PGM_RSRC2:TGID_X_EN: 1
; COMPUTE_PGM_RSRC2:TGID_Y_EN: 0
; COMPUTE_PGM_RSRC2:TGID_Z_EN: 0
; COMPUTE_PGM_RSRC2:TIDIG_COMP_CNT: 0
	.section	.text._ZN2at6native12_GLOBAL__N_125multi_tensor_apply_kernelINS1_18TensorListMetadataILi2EEENS1_14UnaryOpFunctorIN3c107complexIfEELi2ELi1ELi1EEEJNS0_4SqrtIS8_EEEEEvT_T0_DpT1_,"axG",@progbits,_ZN2at6native12_GLOBAL__N_125multi_tensor_apply_kernelINS1_18TensorListMetadataILi2EEENS1_14UnaryOpFunctorIN3c107complexIfEELi2ELi1ELi1EEEJNS0_4SqrtIS8_EEEEEvT_T0_DpT1_,comdat
	.globl	_ZN2at6native12_GLOBAL__N_125multi_tensor_apply_kernelINS1_18TensorListMetadataILi2EEENS1_14UnaryOpFunctorIN3c107complexIfEELi2ELi1ELi1EEEJNS0_4SqrtIS8_EEEEEvT_T0_DpT1_ ; -- Begin function _ZN2at6native12_GLOBAL__N_125multi_tensor_apply_kernelINS1_18TensorListMetadataILi2EEENS1_14UnaryOpFunctorIN3c107complexIfEELi2ELi1ELi1EEEJNS0_4SqrtIS8_EEEEEvT_T0_DpT1_
	.p2align	8
	.type	_ZN2at6native12_GLOBAL__N_125multi_tensor_apply_kernelINS1_18TensorListMetadataILi2EEENS1_14UnaryOpFunctorIN3c107complexIfEELi2ELi1ELi1EEEJNS0_4SqrtIS8_EEEEEvT_T0_DpT1_,@function
_ZN2at6native12_GLOBAL__N_125multi_tensor_apply_kernelINS1_18TensorListMetadataILi2EEENS1_14UnaryOpFunctorIN3c107complexIfEELi2ELi1ELi1EEEJNS0_4SqrtIS8_EEEEEvT_T0_DpT1_: ; @_ZN2at6native12_GLOBAL__N_125multi_tensor_apply_kernelINS1_18TensorListMetadataILi2EEENS1_14UnaryOpFunctorIN3c107complexIfEELi2ELi1ELi1EEEJNS0_4SqrtIS8_EEEEEvT_T0_DpT1_
; %bb.0:
	v_mov_b32_e32 v1, s15
	s_add_u32 s2, s0, s15
	s_mul_hi_u32 s3, s15, 3
	s_mul_i32 s15, s15, 3
	s_addc_u32 s4, s1, 0
	global_load_u8 v1, v1, s[0:1] offset:1536
	s_add_u32 s2, s2, s15
	s_addc_u32 s3, s4, s3
	s_mov_b32 s17, 0
	s_load_b32 s2, s[2:3], 0x740
	s_mov_b32 s19, s17
	s_mov_b32 s21, s17
	s_waitcnt vmcnt(0)
	v_readfirstlane_b32 s5, v1
	s_delay_alu instid0(VALU_DEP_1)
	s_lshl_b32 s3, s5, 3
	s_clause 0x2
	s_load_b64 s[4:5], s[0:1], s3 offset:0x0
	s_load_b64 s[14:15], s[0:1], s3 offset:0x200
	;; [unrolled: 1-line block ×3, first 2 shown]
	s_waitcnt lgkmcnt(0)
	s_ashr_i32 s3, s2, 31
	s_delay_alu instid0(SALU_CYCLE_1) | instskip(NEXT) | instid1(SALU_CYCLE_1)
	s_lshl_b64 s[6:7], s[2:3], 19
	s_add_u32 s10, s4, s6
	s_addc_u32 s11, s5, s7
	s_add_u32 s12, s14, s6
	s_addc_u32 s13, s15, s7
	s_and_b32 s18, s10, 31
	s_and_b32 s20, s8, 3
	;; [unrolled: 1-line block ×3, first 2 shown]
	s_or_b64 s[18:19], s[18:19], s[20:21]
	s_lshl_b64 s[2:3], s[2:3], 16
	s_or_b64 s[16:17], s[16:17], s[18:19]
	s_sub_u32 s8, s8, s2
	s_subb_u32 s9, s9, s3
	s_cmp_eq_u64 s[16:17], 0
	s_mov_b32 s2, -1
	s_cbranch_scc0 .LBB229_125
; %bb.1:
	v_dual_mov_b32 v13, 0 :: v_dual_lshlrev_b32 v12, 2, v0
	s_mov_b32 s16, exec_lo
	s_delay_alu instid0(VALU_DEP_1)
	v_cmpx_gt_i64_e64 s[8:9], v[12:13]
	s_cbranch_execz .LBB229_124
; %bb.2:
	s_load_b32 s2, s[0:1], 0xc5c
	v_lshlrev_b32_e32 v14, 5, v0
	s_mov_b32 s17, 0
	s_waitcnt lgkmcnt(0)
	s_and_b32 s2, s2, 0xffff
	s_delay_alu instid0(SALU_CYCLE_1)
	v_add_lshl_u32 v12, v0, s2, 2
	s_lshl_b32 s18, s2, 2
	s_lshl_b32 s19, s2, 5
	s_branch .LBB229_6
.LBB229_3:                              ;   in Loop: Header=BB229_6 Depth=1
	s_or_b32 exec_lo, exec_lo, s2
	v_mov_b32_e32 v10, v6
.LBB229_4:                              ;   in Loop: Header=BB229_6 Depth=1
	s_or_b32 exec_lo, exec_lo, s21
.LBB229_5:                              ;   in Loop: Header=BB229_6 Depth=1
	s_delay_alu instid0(SALU_CYCLE_1) | instskip(SKIP_3) | instid1(VALU_DEP_1)
	s_or_b32 exec_lo, exec_lo, s20
	v_cmp_le_i64_e32 vcc_lo, s[8:9], v[12:13]
	v_cmp_lt_u64_e64 s2, 0xffff, v[12:13]
	v_add_co_u32 v5, s3, s12, v14
	v_add_co_ci_u32_e64 v6, null, s13, 0, s3
	v_mov_b32_e32 v4, v11
	s_delay_alu instid0(VALU_DEP_4)
	s_or_b32 s2, vcc_lo, s2
	s_add_u32 s10, s10, s19
	v_add_co_u32 v12, vcc_lo, v12, s18
	s_addc_u32 s11, s11, 0
	s_add_u32 s12, s12, s19
	v_add_co_ci_u32_e32 v13, vcc_lo, 0, v13, vcc_lo
	s_addc_u32 s13, s13, 0
	v_mov_b32_e32 v11, v7
	s_and_b32 s2, exec_lo, s2
	s_clause 0x1
	global_store_b128 v[5:6], v[1:4], off
	global_store_b128 v[5:6], v[8:11], off offset:16
	s_or_b32 s17, s2, s17
	s_delay_alu instid0(SALU_CYCLE_1)
	s_and_not1_b32 exec_lo, exec_lo, s17
	s_cbranch_execz .LBB229_124
.LBB229_6:                              ; =>This Inner Loop Header: Depth=1
	v_add_co_u32 v1, s2, s10, v14
	s_delay_alu instid0(VALU_DEP_1)
	v_add_co_ci_u32_e64 v2, null, s11, 0, s2
	s_clause 0x1
	global_load_b128 v[8:11], v[1:2], off
	global_load_b128 v[4:7], v[1:2], off offset:16
	v_mov_b32_e32 v3, 0
	s_waitcnt vmcnt(1)
	v_dual_mov_b32 v1, 0 :: v_dual_mov_b32 v2, v9
	v_cmp_neq_f32_e32 vcc_lo, 0, v8
	v_cmp_neq_f32_e64 s2, 0, v9
	s_delay_alu instid0(VALU_DEP_1) | instskip(NEXT) | instid1(SALU_CYCLE_1)
	s_or_b32 s2, vcc_lo, s2
	s_and_saveexec_b32 s20, s2
	s_cbranch_execz .LBB229_35
; %bb.7:                                ;   in Loop: Header=BB229_6 Depth=1
	v_dual_mov_b32 v1, 0x7f800000 :: v_dual_mov_b32 v2, v9
	s_mov_b32 s21, exec_lo
	v_cmpx_neq_f32_e64 0x7f800000, |v9|
	s_cbranch_execz .LBB229_34
; %bb.8:                                ;   in Loop: Header=BB229_6 Depth=1
	s_mov_b32 s2, exec_lo
	v_cmpx_o_f32_e32 v8, v8
	s_xor_b32 s22, exec_lo, s2
	s_cbranch_execz .LBB229_31
; %bb.9:                                ;   in Loop: Header=BB229_6 Depth=1
	s_mov_b32 s3, exec_lo
	v_cmpx_neq_f32_e64 0x7f800000, |v8|
	s_xor_b32 s23, exec_lo, s3
	s_cbranch_execz .LBB229_25
; %bb.10:                               ;   in Loop: Header=BB229_6 Depth=1
	v_max_f32_e64 v1, |v9|, |v9|
	v_max_f32_e64 v2, |v8|, |v8|
                                        ; implicit-def: $sgpr24
	s_delay_alu instid0(VALU_DEP_1) | instskip(NEXT) | instid1(VALU_DEP_1)
	v_max_f32_e32 v1, v2, v1
                                        ; implicit-def: $vgpr2
	v_cmp_nle_f32_e64 s2, 0x7ed413cb, v1
                                        ; implicit-def: $vgpr1
	s_delay_alu instid0(VALU_DEP_1) | instskip(NEXT) | instid1(SALU_CYCLE_1)
	s_and_saveexec_b32 s3, s2
	s_xor_b32 s3, exec_lo, s3
	s_cbranch_execz .LBB229_14
; %bb.11:                               ;   in Loop: Header=BB229_6 Depth=1
	v_cmp_ge_f32_e64 s24, 0x1000000, |v8|
	v_cmp_ge_f32_e64 s25, 0x1000000, |v9|
	v_dual_mov_b32 v2, v8 :: v_dual_mov_b32 v1, v9
	s_delay_alu instid0(VALU_DEP_2)
	s_and_b32 s26, s24, s25
	s_mov_b32 s24, 0
	s_and_saveexec_b32 s25, s26
; %bb.12:                               ;   in Loop: Header=BB229_6 Depth=1
	v_dual_mul_f32 v2, 4.0, v8 :: v_dual_mul_f32 v1, 4.0, v9
	s_mov_b32 s24, exec_lo
; %bb.13:                               ;   in Loop: Header=BB229_6 Depth=1
	s_or_b32 exec_lo, exec_lo, s25
	s_delay_alu instid0(SALU_CYCLE_1)
	s_and_b32 s24, s24, exec_lo
.LBB229_14:                             ;   in Loop: Header=BB229_6 Depth=1
	s_and_not1_saveexec_b32 s3, s3
; %bb.15:                               ;   in Loop: Header=BB229_6 Depth=1
	v_dual_mul_f32 v2, 0x3e800000, v8 :: v_dual_mul_f32 v1, 0x3e800000, v9
	s_and_not1_b32 s24, s24, exec_lo
; %bb.16:                               ;   in Loop: Header=BB229_6 Depth=1
	s_or_b32 exec_lo, exec_lo, s3
	s_delay_alu instid0(VALU_DEP_1) | instskip(NEXT) | instid1(VALU_DEP_2)
	v_max_f32_e64 v15, |v1|, |v1|
	v_max_f32_e64 v16, |v2|, |v2|
	s_delay_alu instid0(VALU_DEP_1) | instskip(NEXT) | instid1(VALU_DEP_1)
	v_max_f32_e32 v17, v16, v15
	v_cvt_f64_f32_e32 v[15:16], v17
	s_delay_alu instid0(VALU_DEP_1) | instskip(NEXT) | instid1(VALU_DEP_1)
	v_frexp_exp_i32_f64_e32 v15, v[15:16]
	v_sub_nc_u32_e32 v16, 0, v15
	s_delay_alu instid0(VALU_DEP_1) | instskip(SKIP_1) | instid1(VALU_DEP_2)
	v_ldexp_f32 v18, |v1|, v16
	v_ldexp_f32 v16, |v2|, v16
	v_mul_f32_e32 v18, v18, v18
	v_cmp_neq_f32_e64 s3, 0x7f800000, v17
	s_delay_alu instid0(VALU_DEP_2) | instskip(NEXT) | instid1(VALU_DEP_1)
	v_fmac_f32_e32 v18, v16, v16
	v_sqrt_f32_e32 v16, v18
	s_waitcnt_depctr 0xfff
	v_ldexp_f32 v15, v16, v15
                                        ; implicit-def: $vgpr16
	s_delay_alu instid0(VALU_DEP_1)
	v_cndmask_b32_e64 v17, 0x7f800000, v15, s3
                                        ; implicit-def: $vgpr15
	s_mov_b32 s3, exec_lo
	v_cmpx_le_f32_e32 0, v2
	s_xor_b32 s25, exec_lo, s3
	s_cbranch_execz .LBB229_20
; %bb.17:                               ;   in Loop: Header=BB229_6 Depth=1
	v_add_f32_e32 v2, v2, v17
	s_delay_alu instid0(VALU_DEP_1) | instskip(NEXT) | instid1(VALU_DEP_1)
	v_mul_f32_e32 v2, 0.5, v2
	v_mul_f32_e32 v15, 0x4f800000, v2
	v_cmp_gt_f32_e32 vcc_lo, 0xf800000, v2
	s_delay_alu instid0(VALU_DEP_2) | instskip(NEXT) | instid1(VALU_DEP_1)
	v_cndmask_b32_e32 v2, v2, v15, vcc_lo
	v_sqrt_f32_e32 v15, v2
	s_waitcnt_depctr 0xfff
	v_add_nc_u32_e32 v16, -1, v15
	v_add_nc_u32_e32 v17, 1, v15
	s_delay_alu instid0(VALU_DEP_2) | instskip(NEXT) | instid1(VALU_DEP_2)
	v_fma_f32 v18, -v16, v15, v2
	v_fma_f32 v19, -v17, v15, v2
	s_delay_alu instid0(VALU_DEP_2) | instskip(NEXT) | instid1(VALU_DEP_1)
	v_cmp_ge_f32_e64 s3, 0, v18
	v_cndmask_b32_e64 v15, v15, v16, s3
	s_delay_alu instid0(VALU_DEP_3) | instskip(NEXT) | instid1(VALU_DEP_1)
	v_cmp_lt_f32_e64 s3, 0, v19
	v_cndmask_b32_e64 v15, v15, v17, s3
	s_delay_alu instid0(VALU_DEP_1) | instskip(NEXT) | instid1(VALU_DEP_1)
	v_mul_f32_e32 v16, 0x37800000, v15
	v_cndmask_b32_e32 v15, v15, v16, vcc_lo
	v_cmp_class_f32_e64 vcc_lo, v2, 0x260
	s_delay_alu instid0(VALU_DEP_2) | instskip(NEXT) | instid1(VALU_DEP_1)
	v_cndmask_b32_e32 v15, v15, v2, vcc_lo
	v_add_f32_e32 v2, v15, v15
	s_delay_alu instid0(VALU_DEP_1) | instskip(NEXT) | instid1(VALU_DEP_1)
	v_div_scale_f32 v16, null, v2, v2, v1
	v_rcp_f32_e32 v17, v16
	s_waitcnt_depctr 0xfff
	v_fma_f32 v18, -v16, v17, 1.0
	s_delay_alu instid0(VALU_DEP_1) | instskip(SKIP_1) | instid1(VALU_DEP_1)
	v_fmac_f32_e32 v17, v18, v17
	v_div_scale_f32 v18, vcc_lo, v1, v2, v1
	v_mul_f32_e32 v19, v18, v17
	s_delay_alu instid0(VALU_DEP_1) | instskip(NEXT) | instid1(VALU_DEP_1)
	v_fma_f32 v20, -v16, v19, v18
	v_fmac_f32_e32 v19, v20, v17
	s_delay_alu instid0(VALU_DEP_1) | instskip(NEXT) | instid1(VALU_DEP_1)
	v_fma_f32 v16, -v16, v19, v18
	v_div_fmas_f32 v16, v16, v17, v19
                                        ; implicit-def: $vgpr17
	s_delay_alu instid0(VALU_DEP_1)
	v_div_fixup_f32 v16, v16, v2, v1
                                        ; implicit-def: $vgpr2
                                        ; implicit-def: $vgpr1
	s_and_not1_saveexec_b32 s25, s25
	s_cbranch_execnz .LBB229_21
.LBB229_18:                             ;   in Loop: Header=BB229_6 Depth=1
	s_or_b32 exec_lo, exec_lo, s25
	s_and_saveexec_b32 s3, s2
	s_delay_alu instid0(SALU_CYCLE_1)
	s_xor_b32 s2, exec_lo, s3
	s_cbranch_execz .LBB229_22
.LBB229_19:                             ;   in Loop: Header=BB229_6 Depth=1
	v_dual_mul_f32 v1, 0.5, v15 :: v_dual_mul_f32 v2, 0.5, v16
	s_delay_alu instid0(VALU_DEP_1) | instskip(NEXT) | instid1(VALU_DEP_2)
	v_cndmask_b32_e64 v1, v15, v1, s24
	v_cndmask_b32_e64 v2, v16, v2, s24
                                        ; implicit-def: $vgpr15
                                        ; implicit-def: $vgpr16
	s_and_not1_saveexec_b32 s2, s2
	s_cbranch_execnz .LBB229_23
	s_branch .LBB229_24
.LBB229_20:                             ;   in Loop: Header=BB229_6 Depth=1
	s_and_not1_saveexec_b32 s25, s25
	s_cbranch_execz .LBB229_18
.LBB229_21:                             ;   in Loop: Header=BB229_6 Depth=1
	v_sub_f32_e32 v2, v17, v2
	s_delay_alu instid0(VALU_DEP_1) | instskip(NEXT) | instid1(VALU_DEP_1)
	v_mul_f32_e32 v2, 0.5, v2
	v_mul_f32_e32 v15, 0x4f800000, v2
	v_cmp_gt_f32_e32 vcc_lo, 0xf800000, v2
	s_delay_alu instid0(VALU_DEP_2) | instskip(NEXT) | instid1(VALU_DEP_1)
	v_cndmask_b32_e32 v2, v2, v15, vcc_lo
	v_sqrt_f32_e32 v15, v2
	s_waitcnt_depctr 0xfff
	v_add_nc_u32_e32 v16, -1, v15
	v_add_nc_u32_e32 v17, 1, v15
	s_delay_alu instid0(VALU_DEP_2) | instskip(NEXT) | instid1(VALU_DEP_2)
	v_fma_f32 v18, -v16, v15, v2
	v_fma_f32 v19, -v17, v15, v2
	s_delay_alu instid0(VALU_DEP_2) | instskip(NEXT) | instid1(VALU_DEP_1)
	v_cmp_ge_f32_e64 s3, 0, v18
	v_cndmask_b32_e64 v15, v15, v16, s3
	s_delay_alu instid0(VALU_DEP_3) | instskip(NEXT) | instid1(VALU_DEP_1)
	v_cmp_lt_f32_e64 s3, 0, v19
	v_cndmask_b32_e64 v15, v15, v17, s3
	s_delay_alu instid0(VALU_DEP_1) | instskip(NEXT) | instid1(VALU_DEP_1)
	v_mul_f32_e32 v16, 0x37800000, v15
	v_cndmask_b32_e32 v15, v15, v16, vcc_lo
	v_cmp_class_f32_e64 vcc_lo, v2, 0x260
	s_delay_alu instid0(VALU_DEP_2) | instskip(NEXT) | instid1(VALU_DEP_1)
	v_dual_cndmask_b32 v2, v15, v2 :: v_dual_and_b32 v15, 0x7fffffff, v1
	v_add_f32_e32 v16, v2, v2
	s_delay_alu instid0(VALU_DEP_1) | instskip(SKIP_1) | instid1(VALU_DEP_2)
	v_div_scale_f32 v17, null, v16, v16, v15
	v_div_scale_f32 v15, vcc_lo, v15, v16, v15
	v_rcp_f32_e32 v18, v17
	s_waitcnt_depctr 0xfff
	v_fma_f32 v19, -v17, v18, 1.0
	s_delay_alu instid0(VALU_DEP_1) | instskip(NEXT) | instid1(VALU_DEP_1)
	v_fmac_f32_e32 v18, v19, v18
	v_mul_f32_e32 v19, v15, v18
	s_delay_alu instid0(VALU_DEP_1) | instskip(NEXT) | instid1(VALU_DEP_1)
	v_fma_f32 v20, -v17, v19, v15
	v_fmac_f32_e32 v19, v20, v18
	s_delay_alu instid0(VALU_DEP_1) | instskip(NEXT) | instid1(VALU_DEP_1)
	v_fma_f32 v15, -v17, v19, v15
	v_div_fmas_f32 v15, v15, v18, v19
	s_delay_alu instid0(VALU_DEP_1) | instskip(SKIP_3) | instid1(SALU_CYCLE_1)
	v_div_fixup_f32 v15, v15, v16, |v1|
	v_bfi_b32 v16, 0x7fffffff, v2, v1
	s_or_b32 exec_lo, exec_lo, s25
	s_and_saveexec_b32 s3, s2
	s_xor_b32 s2, exec_lo, s3
	s_cbranch_execnz .LBB229_19
.LBB229_22:                             ;   in Loop: Header=BB229_6 Depth=1
	s_and_not1_saveexec_b32 s2, s2
.LBB229_23:                             ;   in Loop: Header=BB229_6 Depth=1
	v_dual_add_f32 v1, v15, v15 :: v_dual_add_f32 v2, v16, v16
.LBB229_24:                             ;   in Loop: Header=BB229_6 Depth=1
	s_or_b32 exec_lo, exec_lo, s2
.LBB229_25:                             ;   in Loop: Header=BB229_6 Depth=1
	s_and_not1_saveexec_b32 s2, s23
	s_cbranch_execz .LBB229_47
; %bb.26:                               ;   in Loop: Header=BB229_6 Depth=1
	v_sub_f32_e32 v15, v9, v9
	s_mov_b32 s3, exec_lo
	v_cmpx_lt_i32_e32 -1, v8
	s_xor_b32 s3, exec_lo, s3
; %bb.27:                               ;   in Loop: Header=BB229_6 Depth=1
	s_delay_alu instid0(VALU_DEP_2)
	v_bfi_b32 v2, 0x7fffffff, v15, v9
                                        ; implicit-def: $vgpr15
; %bb.28:                               ;   in Loop: Header=BB229_6 Depth=1
	s_or_saveexec_b32 s3, s3
	v_mov_b32_e32 v1, v8
	s_xor_b32 exec_lo, exec_lo, s3
; %bb.29:                               ;   in Loop: Header=BB229_6 Depth=1
	v_and_b32_e32 v1, 0x7fffffff, v15
	v_bfi_b32 v2, 0x7fffffff, v8, v9
; %bb.30:                               ;   in Loop: Header=BB229_6 Depth=1
	s_or_b32 exec_lo, exec_lo, s3
	s_delay_alu instid0(SALU_CYCLE_1)
	s_or_b32 exec_lo, exec_lo, s2
.LBB229_31:                             ;   in Loop: Header=BB229_6 Depth=1
	s_and_not1_saveexec_b32 s2, s22
	s_cbranch_execz .LBB229_33
.LBB229_32:                             ;   in Loop: Header=BB229_6 Depth=1
	v_sub_f32_e32 v1, v9, v9
	s_delay_alu instid0(VALU_DEP_1) | instskip(NEXT) | instid1(VALU_DEP_1)
	v_div_scale_f32 v2, vcc_lo, v1, v1, v1
	v_rcp_f32_e32 v9, v2
	s_waitcnt_depctr 0xfff
	v_fma_f32 v15, -v2, v9, 1.0
	s_delay_alu instid0(VALU_DEP_1) | instskip(NEXT) | instid1(VALU_DEP_1)
	v_fmac_f32_e32 v9, v15, v9
	v_mul_f32_e32 v15, v2, v9
	s_delay_alu instid0(VALU_DEP_1) | instskip(NEXT) | instid1(VALU_DEP_1)
	v_fma_f32 v16, -v2, v15, v2
	v_fmac_f32_e32 v15, v16, v9
	s_delay_alu instid0(VALU_DEP_1) | instskip(NEXT) | instid1(VALU_DEP_1)
	v_fma_f32 v2, -v2, v15, v2
	v_div_fmas_f32 v2, v2, v9, v15
	s_delay_alu instid0(VALU_DEP_1)
	v_div_fixup_f32 v2, v2, v1, v1
	v_mov_b32_e32 v1, v8
.LBB229_33:                             ;   in Loop: Header=BB229_6 Depth=1
	s_or_b32 exec_lo, exec_lo, s2
.LBB229_34:                             ;   in Loop: Header=BB229_6 Depth=1
	s_delay_alu instid0(SALU_CYCLE_1)
	s_or_b32 exec_lo, exec_lo, s21
.LBB229_35:                             ;   in Loop: Header=BB229_6 Depth=1
	s_delay_alu instid0(SALU_CYCLE_1) | instskip(SKIP_2) | instid1(VALU_DEP_1)
	s_or_b32 exec_lo, exec_lo, s20
	v_cmp_neq_f32_e32 vcc_lo, 0, v10
	v_cmp_neq_f32_e64 s2, 0, v11
	s_or_b32 s2, vcc_lo, s2
	s_delay_alu instid0(SALU_CYCLE_1)
	s_and_saveexec_b32 s20, s2
	s_cbranch_execz .LBB229_66
; %bb.36:                               ;   in Loop: Header=BB229_6 Depth=1
	v_mov_b32_e32 v3, 0x7f800000
	s_mov_b32 s21, exec_lo
	v_cmpx_neq_f32_e64 0x7f800000, |v11|
	s_cbranch_execz .LBB229_65
; %bb.37:                               ;   in Loop: Header=BB229_6 Depth=1
	s_mov_b32 s2, exec_lo
	v_cmpx_o_f32_e32 v10, v10
	s_xor_b32 s22, exec_lo, s2
	s_cbranch_execz .LBB229_62
; %bb.38:                               ;   in Loop: Header=BB229_6 Depth=1
	s_mov_b32 s3, exec_lo
	v_cmpx_neq_f32_e64 0x7f800000, |v10|
	s_xor_b32 s23, exec_lo, s3
	s_cbranch_execz .LBB229_55
; %bb.39:                               ;   in Loop: Header=BB229_6 Depth=1
	v_max_f32_e64 v3, |v11|, |v11|
	v_max_f32_e64 v8, |v10|, |v10|
                                        ; implicit-def: $sgpr24
	s_delay_alu instid0(VALU_DEP_1) | instskip(NEXT) | instid1(VALU_DEP_1)
	v_max_f32_e32 v3, v8, v3
	v_cmp_nle_f32_e64 s2, 0x7ed413cb, v3
	s_delay_alu instid0(VALU_DEP_1) | instskip(NEXT) | instid1(SALU_CYCLE_1)
	s_and_saveexec_b32 s3, s2
	s_xor_b32 s3, exec_lo, s3
	s_cbranch_execz .LBB229_43
; %bb.40:                               ;   in Loop: Header=BB229_6 Depth=1
	v_cmp_ge_f32_e64 s24, 0x1000000, |v10|
	v_cmp_ge_f32_e64 s25, 0x1000000, |v11|
	s_delay_alu instid0(VALU_DEP_1)
	s_and_b32 s26, s24, s25
	s_mov_b32 s24, 0
	s_and_saveexec_b32 s25, s26
; %bb.41:                               ;   in Loop: Header=BB229_6 Depth=1
	v_dual_mul_f32 v10, 4.0, v10 :: v_dual_mul_f32 v11, 4.0, v11
	s_mov_b32 s24, exec_lo
; %bb.42:                               ;   in Loop: Header=BB229_6 Depth=1
	s_or_b32 exec_lo, exec_lo, s25
	s_delay_alu instid0(SALU_CYCLE_1)
	s_and_b32 s24, s24, exec_lo
.LBB229_43:                             ;   in Loop: Header=BB229_6 Depth=1
	s_and_not1_saveexec_b32 s3, s3
; %bb.44:                               ;   in Loop: Header=BB229_6 Depth=1
	v_dual_mul_f32 v10, 0x3e800000, v10 :: v_dual_mul_f32 v11, 0x3e800000, v11
	s_and_not1_b32 s24, s24, exec_lo
; %bb.45:                               ;   in Loop: Header=BB229_6 Depth=1
	s_or_b32 exec_lo, exec_lo, s3
	s_delay_alu instid0(VALU_DEP_1) | instskip(NEXT) | instid1(VALU_DEP_2)
	v_max_f32_e64 v3, |v11|, |v11|
	v_max_f32_e64 v8, |v10|, |v10|
	s_delay_alu instid0(VALU_DEP_1) | instskip(NEXT) | instid1(VALU_DEP_1)
	v_max_f32_e32 v3, v8, v3
	v_cvt_f64_f32_e32 v[8:9], v3
	v_cmp_neq_f32_e64 s3, 0x7f800000, v3
                                        ; implicit-def: $vgpr3
	s_delay_alu instid0(VALU_DEP_2) | instskip(NEXT) | instid1(VALU_DEP_1)
	v_frexp_exp_i32_f64_e32 v8, v[8:9]
	v_sub_nc_u32_e32 v9, 0, v8
	s_delay_alu instid0(VALU_DEP_1) | instskip(SKIP_1) | instid1(VALU_DEP_2)
	v_ldexp_f32 v15, |v11|, v9
	v_ldexp_f32 v9, |v10|, v9
	v_mul_f32_e32 v15, v15, v15
	s_delay_alu instid0(VALU_DEP_1) | instskip(NEXT) | instid1(VALU_DEP_1)
	v_fmac_f32_e32 v15, v9, v9
	v_sqrt_f32_e32 v9, v15
	s_waitcnt_depctr 0xfff
	v_ldexp_f32 v8, v9, v8
	s_delay_alu instid0(VALU_DEP_1)
	v_cndmask_b32_e64 v9, 0x7f800000, v8, s3
                                        ; implicit-def: $vgpr8
	s_mov_b32 s3, exec_lo
	v_cmpx_le_f32_e32 0, v10
	s_xor_b32 s25, exec_lo, s3
	s_cbranch_execz .LBB229_48
; %bb.46:                               ;   in Loop: Header=BB229_6 Depth=1
	v_add_f32_e32 v3, v10, v9
	s_delay_alu instid0(VALU_DEP_1) | instskip(NEXT) | instid1(VALU_DEP_1)
	v_mul_f32_e32 v3, 0.5, v3
	v_mul_f32_e32 v8, 0x4f800000, v3
	v_cmp_gt_f32_e32 vcc_lo, 0xf800000, v3
	s_delay_alu instid0(VALU_DEP_2) | instskip(NEXT) | instid1(VALU_DEP_1)
	v_cndmask_b32_e32 v3, v3, v8, vcc_lo
	v_sqrt_f32_e32 v8, v3
	s_waitcnt_depctr 0xfff
	v_add_nc_u32_e32 v9, -1, v8
	v_add_nc_u32_e32 v10, 1, v8
	s_delay_alu instid0(VALU_DEP_2) | instskip(NEXT) | instid1(VALU_DEP_2)
	v_fma_f32 v15, -v9, v8, v3
	v_fma_f32 v16, -v10, v8, v3
	s_delay_alu instid0(VALU_DEP_2) | instskip(NEXT) | instid1(VALU_DEP_1)
	v_cmp_ge_f32_e64 s3, 0, v15
	v_cndmask_b32_e64 v8, v8, v9, s3
	s_delay_alu instid0(VALU_DEP_3) | instskip(NEXT) | instid1(VALU_DEP_1)
	v_cmp_lt_f32_e64 s3, 0, v16
	v_cndmask_b32_e64 v8, v8, v10, s3
	s_delay_alu instid0(VALU_DEP_1) | instskip(NEXT) | instid1(VALU_DEP_1)
	v_mul_f32_e32 v9, 0x37800000, v8
	v_cndmask_b32_e32 v8, v8, v9, vcc_lo
	v_cmp_class_f32_e64 vcc_lo, v3, 0x260
	s_delay_alu instid0(VALU_DEP_2) | instskip(NEXT) | instid1(VALU_DEP_1)
	v_cndmask_b32_e32 v3, v8, v3, vcc_lo
	v_add_f32_e32 v8, v3, v3
	s_delay_alu instid0(VALU_DEP_1) | instskip(NEXT) | instid1(VALU_DEP_1)
	v_div_scale_f32 v9, null, v8, v8, v11
	v_rcp_f32_e32 v10, v9
	s_waitcnt_depctr 0xfff
	v_fma_f32 v15, -v9, v10, 1.0
	s_delay_alu instid0(VALU_DEP_1) | instskip(SKIP_1) | instid1(VALU_DEP_1)
	v_fmac_f32_e32 v10, v15, v10
	v_div_scale_f32 v15, vcc_lo, v11, v8, v11
	v_mul_f32_e32 v16, v15, v10
	s_delay_alu instid0(VALU_DEP_1) | instskip(NEXT) | instid1(VALU_DEP_1)
	v_fma_f32 v17, -v9, v16, v15
	v_fmac_f32_e32 v16, v17, v10
	s_delay_alu instid0(VALU_DEP_1) | instskip(NEXT) | instid1(VALU_DEP_1)
	v_fma_f32 v9, -v9, v16, v15
	v_div_fmas_f32 v9, v9, v10, v16
                                        ; implicit-def: $vgpr10
	s_delay_alu instid0(VALU_DEP_1)
	v_div_fixup_f32 v8, v9, v8, v11
                                        ; implicit-def: $vgpr9
	s_and_not1_saveexec_b32 s25, s25
	s_cbranch_execz .LBB229_50
	s_branch .LBB229_49
.LBB229_47:                             ;   in Loop: Header=BB229_6 Depth=1
	s_or_b32 exec_lo, exec_lo, s2
	s_and_not1_saveexec_b32 s2, s22
	s_cbranch_execnz .LBB229_32
	s_branch .LBB229_33
.LBB229_48:                             ;   in Loop: Header=BB229_6 Depth=1
	s_and_not1_saveexec_b32 s25, s25
	s_cbranch_execz .LBB229_50
.LBB229_49:                             ;   in Loop: Header=BB229_6 Depth=1
	v_sub_f32_e32 v3, v9, v10
	s_delay_alu instid0(VALU_DEP_1) | instskip(NEXT) | instid1(VALU_DEP_1)
	v_mul_f32_e32 v3, 0.5, v3
	v_mul_f32_e32 v8, 0x4f800000, v3
	v_cmp_gt_f32_e32 vcc_lo, 0xf800000, v3
	s_delay_alu instid0(VALU_DEP_2) | instskip(NEXT) | instid1(VALU_DEP_1)
	v_cndmask_b32_e32 v3, v3, v8, vcc_lo
	v_sqrt_f32_e32 v8, v3
	s_waitcnt_depctr 0xfff
	v_add_nc_u32_e32 v9, -1, v8
	v_add_nc_u32_e32 v10, 1, v8
	s_delay_alu instid0(VALU_DEP_2) | instskip(NEXT) | instid1(VALU_DEP_2)
	v_fma_f32 v15, -v9, v8, v3
	v_fma_f32 v16, -v10, v8, v3
	s_delay_alu instid0(VALU_DEP_2) | instskip(NEXT) | instid1(VALU_DEP_1)
	v_cmp_ge_f32_e64 s3, 0, v15
	v_cndmask_b32_e64 v8, v8, v9, s3
	s_delay_alu instid0(VALU_DEP_3) | instskip(NEXT) | instid1(VALU_DEP_1)
	v_cmp_lt_f32_e64 s3, 0, v16
	v_cndmask_b32_e64 v8, v8, v10, s3
	s_delay_alu instid0(VALU_DEP_1) | instskip(NEXT) | instid1(VALU_DEP_1)
	v_mul_f32_e32 v9, 0x37800000, v8
	v_cndmask_b32_e32 v8, v8, v9, vcc_lo
	v_cmp_class_f32_e64 vcc_lo, v3, 0x260
	s_delay_alu instid0(VALU_DEP_2) | instskip(SKIP_1) | instid1(VALU_DEP_2)
	v_cndmask_b32_e32 v8, v8, v3, vcc_lo
	v_and_b32_e32 v3, 0x7fffffff, v11
	v_add_f32_e32 v9, v8, v8
	v_bfi_b32 v8, 0x7fffffff, v8, v11
	s_delay_alu instid0(VALU_DEP_2) | instskip(SKIP_1) | instid1(VALU_DEP_2)
	v_div_scale_f32 v10, null, v9, v9, v3
	v_div_scale_f32 v3, vcc_lo, v3, v9, v3
	v_rcp_f32_e32 v15, v10
	s_waitcnt_depctr 0xfff
	v_fma_f32 v16, -v10, v15, 1.0
	s_delay_alu instid0(VALU_DEP_1) | instskip(NEXT) | instid1(VALU_DEP_1)
	v_fmac_f32_e32 v15, v16, v15
	v_mul_f32_e32 v16, v3, v15
	s_delay_alu instid0(VALU_DEP_1) | instskip(NEXT) | instid1(VALU_DEP_1)
	v_fma_f32 v17, -v10, v16, v3
	v_fmac_f32_e32 v16, v17, v15
	s_delay_alu instid0(VALU_DEP_1) | instskip(NEXT) | instid1(VALU_DEP_1)
	v_fma_f32 v3, -v10, v16, v3
	v_div_fmas_f32 v3, v3, v15, v16
	s_delay_alu instid0(VALU_DEP_1)
	v_div_fixup_f32 v3, v3, v9, |v11|
.LBB229_50:                             ;   in Loop: Header=BB229_6 Depth=1
	s_or_b32 exec_lo, exec_lo, s25
                                        ; implicit-def: $vgpr11
	s_and_saveexec_b32 s3, s2
	s_delay_alu instid0(SALU_CYCLE_1)
	s_xor_b32 s2, exec_lo, s3
	s_cbranch_execz .LBB229_52
; %bb.51:                               ;   in Loop: Header=BB229_6 Depth=1
	v_mul_f32_e32 v9, 0.5, v3
	v_mul_f32_e32 v11, 0.5, v8
	s_delay_alu instid0(VALU_DEP_2) | instskip(NEXT) | instid1(VALU_DEP_2)
	v_cndmask_b32_e64 v10, v3, v9, s24
	v_cndmask_b32_e64 v11, v8, v11, s24
                                        ; implicit-def: $vgpr3
                                        ; implicit-def: $vgpr8
	s_and_not1_saveexec_b32 s2, s2
	s_cbranch_execnz .LBB229_53
	s_branch .LBB229_54
.LBB229_52:                             ;   in Loop: Header=BB229_6 Depth=1
	s_and_not1_saveexec_b32 s2, s2
.LBB229_53:                             ;   in Loop: Header=BB229_6 Depth=1
	v_dual_add_f32 v10, v3, v3 :: v_dual_add_f32 v11, v8, v8
.LBB229_54:                             ;   in Loop: Header=BB229_6 Depth=1
	s_or_b32 exec_lo, exec_lo, s2
.LBB229_55:                             ;   in Loop: Header=BB229_6 Depth=1
	s_and_not1_saveexec_b32 s2, s23
	s_cbranch_execz .LBB229_61
; %bb.56:                               ;   in Loop: Header=BB229_6 Depth=1
	s_delay_alu instid0(VALU_DEP_1)
	v_sub_f32_e32 v3, v11, v11
	s_mov_b32 s3, exec_lo
	v_cmpx_lt_i32_e32 -1, v10
	s_xor_b32 s3, exec_lo, s3
; %bb.57:                               ;   in Loop: Header=BB229_6 Depth=1
	s_delay_alu instid0(VALU_DEP_2)
	v_bfi_b32 v11, 0x7fffffff, v3, v11
                                        ; implicit-def: $vgpr3
; %bb.58:                               ;   in Loop: Header=BB229_6 Depth=1
	s_and_not1_saveexec_b32 s3, s3
; %bb.59:                               ;   in Loop: Header=BB229_6 Depth=1
	v_and_b32_e32 v3, 0x7fffffff, v3
	s_delay_alu instid0(VALU_DEP_2) | instskip(NEXT) | instid1(VALU_DEP_2)
	v_bfi_b32 v11, 0x7fffffff, v10, v11
	v_mov_b32_e32 v10, v3
; %bb.60:                               ;   in Loop: Header=BB229_6 Depth=1
	s_or_b32 exec_lo, exec_lo, s3
.LBB229_61:                             ;   in Loop: Header=BB229_6 Depth=1
	s_delay_alu instid0(SALU_CYCLE_1)
	s_or_b32 exec_lo, exec_lo, s2
.LBB229_62:                             ;   in Loop: Header=BB229_6 Depth=1
	s_and_not1_saveexec_b32 s2, s22
; %bb.63:                               ;   in Loop: Header=BB229_6 Depth=1
	v_sub_f32_e32 v3, v11, v11
	s_delay_alu instid0(VALU_DEP_1) | instskip(NEXT) | instid1(VALU_DEP_1)
	v_div_scale_f32 v8, vcc_lo, v3, v3, v3
	v_rcp_f32_e32 v9, v8
	s_waitcnt_depctr 0xfff
	v_fma_f32 v11, -v8, v9, 1.0
	s_delay_alu instid0(VALU_DEP_1) | instskip(NEXT) | instid1(VALU_DEP_1)
	v_fmac_f32_e32 v9, v11, v9
	v_mul_f32_e32 v11, v8, v9
	s_delay_alu instid0(VALU_DEP_1) | instskip(NEXT) | instid1(VALU_DEP_1)
	v_fma_f32 v15, -v8, v11, v8
	v_fmac_f32_e32 v11, v15, v9
	s_delay_alu instid0(VALU_DEP_1) | instskip(NEXT) | instid1(VALU_DEP_1)
	v_fma_f32 v8, -v8, v11, v8
	v_div_fmas_f32 v8, v8, v9, v11
	s_delay_alu instid0(VALU_DEP_1)
	v_div_fixup_f32 v11, v8, v3, v3
; %bb.64:                               ;   in Loop: Header=BB229_6 Depth=1
	s_or_b32 exec_lo, exec_lo, s2
	v_mov_b32_e32 v3, v10
.LBB229_65:                             ;   in Loop: Header=BB229_6 Depth=1
	s_or_b32 exec_lo, exec_lo, s21
.LBB229_66:                             ;   in Loop: Header=BB229_6 Depth=1
	s_delay_alu instid0(SALU_CYCLE_1)
	s_or_b32 exec_lo, exec_lo, s20
	s_waitcnt vmcnt(0)
	v_cmp_neq_f32_e32 vcc_lo, 0, v4
	v_cmp_neq_f32_e64 s2, 0, v5
	v_dual_mov_b32 v10, 0 :: v_dual_mov_b32 v9, v5
	v_mov_b32_e32 v8, 0
	s_delay_alu instid0(VALU_DEP_3) | instskip(NEXT) | instid1(SALU_CYCLE_1)
	s_or_b32 s2, vcc_lo, s2
	s_and_saveexec_b32 s20, s2
	s_cbranch_execz .LBB229_96
; %bb.67:                               ;   in Loop: Header=BB229_6 Depth=1
	v_dual_mov_b32 v8, 0x7f800000 :: v_dual_mov_b32 v9, v5
	s_mov_b32 s21, exec_lo
	v_cmpx_neq_f32_e64 0x7f800000, |v5|
	s_cbranch_execz .LBB229_95
; %bb.68:                               ;   in Loop: Header=BB229_6 Depth=1
	s_mov_b32 s2, exec_lo
	v_cmpx_o_f32_e32 v4, v4
	s_xor_b32 s22, exec_lo, s2
	s_cbranch_execz .LBB229_92
; %bb.69:                               ;   in Loop: Header=BB229_6 Depth=1
	s_mov_b32 s3, exec_lo
	v_cmpx_neq_f32_e64 0x7f800000, |v4|
	s_xor_b32 s23, exec_lo, s3
	s_cbranch_execz .LBB229_85
; %bb.70:                               ;   in Loop: Header=BB229_6 Depth=1
	v_max_f32_e64 v8, |v5|, |v5|
	v_max_f32_e64 v9, |v4|, |v4|
                                        ; implicit-def: $sgpr24
	s_delay_alu instid0(VALU_DEP_1) | instskip(NEXT) | instid1(VALU_DEP_1)
	v_max_f32_e32 v8, v9, v8
                                        ; implicit-def: $vgpr9
	v_cmp_nle_f32_e64 s2, 0x7ed413cb, v8
                                        ; implicit-def: $vgpr8
	s_delay_alu instid0(VALU_DEP_1) | instskip(NEXT) | instid1(SALU_CYCLE_1)
	s_and_saveexec_b32 s3, s2
	s_xor_b32 s3, exec_lo, s3
	s_cbranch_execz .LBB229_74
; %bb.71:                               ;   in Loop: Header=BB229_6 Depth=1
	v_cmp_ge_f32_e64 s24, 0x1000000, |v4|
	v_cmp_ge_f32_e64 s25, 0x1000000, |v5|
	v_dual_mov_b32 v9, v4 :: v_dual_mov_b32 v8, v5
	s_delay_alu instid0(VALU_DEP_2)
	s_and_b32 s26, s24, s25
	s_mov_b32 s24, 0
	s_and_saveexec_b32 s25, s26
; %bb.72:                               ;   in Loop: Header=BB229_6 Depth=1
	v_dual_mul_f32 v9, 4.0, v4 :: v_dual_mul_f32 v8, 4.0, v5
	s_mov_b32 s24, exec_lo
; %bb.73:                               ;   in Loop: Header=BB229_6 Depth=1
	s_or_b32 exec_lo, exec_lo, s25
	s_delay_alu instid0(SALU_CYCLE_1)
	s_and_b32 s24, s24, exec_lo
.LBB229_74:                             ;   in Loop: Header=BB229_6 Depth=1
	s_and_not1_saveexec_b32 s3, s3
; %bb.75:                               ;   in Loop: Header=BB229_6 Depth=1
	v_dual_mul_f32 v9, 0x3e800000, v4 :: v_dual_mul_f32 v8, 0x3e800000, v5
	s_and_not1_b32 s24, s24, exec_lo
; %bb.76:                               ;   in Loop: Header=BB229_6 Depth=1
	s_or_b32 exec_lo, exec_lo, s3
	s_delay_alu instid0(VALU_DEP_1) | instskip(NEXT) | instid1(VALU_DEP_2)
	v_max_f32_e64 v15, |v8|, |v8|
	v_max_f32_e64 v16, |v9|, |v9|
	s_delay_alu instid0(VALU_DEP_1) | instskip(NEXT) | instid1(VALU_DEP_1)
	v_max_f32_e32 v17, v16, v15
	v_cvt_f64_f32_e32 v[15:16], v17
	s_delay_alu instid0(VALU_DEP_1) | instskip(NEXT) | instid1(VALU_DEP_1)
	v_frexp_exp_i32_f64_e32 v15, v[15:16]
	v_sub_nc_u32_e32 v16, 0, v15
	s_delay_alu instid0(VALU_DEP_1) | instskip(SKIP_1) | instid1(VALU_DEP_2)
	v_ldexp_f32 v18, |v8|, v16
	v_ldexp_f32 v16, |v9|, v16
	v_mul_f32_e32 v18, v18, v18
	v_cmp_neq_f32_e64 s3, 0x7f800000, v17
	s_delay_alu instid0(VALU_DEP_2) | instskip(NEXT) | instid1(VALU_DEP_1)
	v_fmac_f32_e32 v18, v16, v16
	v_sqrt_f32_e32 v16, v18
	s_waitcnt_depctr 0xfff
	v_ldexp_f32 v15, v16, v15
                                        ; implicit-def: $vgpr16
	s_delay_alu instid0(VALU_DEP_1)
	v_cndmask_b32_e64 v17, 0x7f800000, v15, s3
                                        ; implicit-def: $vgpr15
	s_mov_b32 s3, exec_lo
	v_cmpx_le_f32_e32 0, v9
	s_xor_b32 s25, exec_lo, s3
	s_cbranch_execz .LBB229_80
; %bb.77:                               ;   in Loop: Header=BB229_6 Depth=1
	v_add_f32_e32 v9, v9, v17
	s_delay_alu instid0(VALU_DEP_1) | instskip(NEXT) | instid1(VALU_DEP_1)
	v_mul_f32_e32 v9, 0.5, v9
	v_mul_f32_e32 v15, 0x4f800000, v9
	v_cmp_gt_f32_e32 vcc_lo, 0xf800000, v9
	s_delay_alu instid0(VALU_DEP_2) | instskip(NEXT) | instid1(VALU_DEP_1)
	v_cndmask_b32_e32 v9, v9, v15, vcc_lo
	v_sqrt_f32_e32 v15, v9
	s_waitcnt_depctr 0xfff
	v_add_nc_u32_e32 v16, -1, v15
	v_add_nc_u32_e32 v17, 1, v15
	s_delay_alu instid0(VALU_DEP_2) | instskip(NEXT) | instid1(VALU_DEP_2)
	v_fma_f32 v18, -v16, v15, v9
	v_fma_f32 v19, -v17, v15, v9
	s_delay_alu instid0(VALU_DEP_2) | instskip(NEXT) | instid1(VALU_DEP_1)
	v_cmp_ge_f32_e64 s3, 0, v18
	v_cndmask_b32_e64 v15, v15, v16, s3
	s_delay_alu instid0(VALU_DEP_3) | instskip(NEXT) | instid1(VALU_DEP_1)
	v_cmp_lt_f32_e64 s3, 0, v19
	v_cndmask_b32_e64 v15, v15, v17, s3
	s_delay_alu instid0(VALU_DEP_1) | instskip(NEXT) | instid1(VALU_DEP_1)
	v_mul_f32_e32 v16, 0x37800000, v15
	v_cndmask_b32_e32 v15, v15, v16, vcc_lo
	v_cmp_class_f32_e64 vcc_lo, v9, 0x260
	s_delay_alu instid0(VALU_DEP_2) | instskip(NEXT) | instid1(VALU_DEP_1)
	v_cndmask_b32_e32 v15, v15, v9, vcc_lo
	v_add_f32_e32 v9, v15, v15
	s_delay_alu instid0(VALU_DEP_1) | instskip(NEXT) | instid1(VALU_DEP_1)
	v_div_scale_f32 v16, null, v9, v9, v8
	v_rcp_f32_e32 v17, v16
	s_waitcnt_depctr 0xfff
	v_fma_f32 v18, -v16, v17, 1.0
	s_delay_alu instid0(VALU_DEP_1) | instskip(SKIP_1) | instid1(VALU_DEP_1)
	v_fmac_f32_e32 v17, v18, v17
	v_div_scale_f32 v18, vcc_lo, v8, v9, v8
	v_mul_f32_e32 v19, v18, v17
	s_delay_alu instid0(VALU_DEP_1) | instskip(NEXT) | instid1(VALU_DEP_1)
	v_fma_f32 v20, -v16, v19, v18
	v_fmac_f32_e32 v19, v20, v17
	s_delay_alu instid0(VALU_DEP_1) | instskip(NEXT) | instid1(VALU_DEP_1)
	v_fma_f32 v16, -v16, v19, v18
	v_div_fmas_f32 v16, v16, v17, v19
                                        ; implicit-def: $vgpr17
	s_delay_alu instid0(VALU_DEP_1)
	v_div_fixup_f32 v16, v16, v9, v8
                                        ; implicit-def: $vgpr9
                                        ; implicit-def: $vgpr8
	s_and_not1_saveexec_b32 s25, s25
	s_cbranch_execnz .LBB229_81
.LBB229_78:                             ;   in Loop: Header=BB229_6 Depth=1
	s_or_b32 exec_lo, exec_lo, s25
	s_and_saveexec_b32 s3, s2
	s_delay_alu instid0(SALU_CYCLE_1)
	s_xor_b32 s2, exec_lo, s3
	s_cbranch_execz .LBB229_82
.LBB229_79:                             ;   in Loop: Header=BB229_6 Depth=1
	v_dual_mul_f32 v8, 0.5, v15 :: v_dual_mul_f32 v9, 0.5, v16
	s_delay_alu instid0(VALU_DEP_1) | instskip(NEXT) | instid1(VALU_DEP_2)
	v_cndmask_b32_e64 v8, v15, v8, s24
	v_cndmask_b32_e64 v9, v16, v9, s24
                                        ; implicit-def: $vgpr15
                                        ; implicit-def: $vgpr16
	s_and_not1_saveexec_b32 s2, s2
	s_cbranch_execnz .LBB229_83
	s_branch .LBB229_84
.LBB229_80:                             ;   in Loop: Header=BB229_6 Depth=1
	s_and_not1_saveexec_b32 s25, s25
	s_cbranch_execz .LBB229_78
.LBB229_81:                             ;   in Loop: Header=BB229_6 Depth=1
	v_sub_f32_e32 v9, v17, v9
	s_delay_alu instid0(VALU_DEP_1) | instskip(NEXT) | instid1(VALU_DEP_1)
	v_mul_f32_e32 v9, 0.5, v9
	v_mul_f32_e32 v15, 0x4f800000, v9
	v_cmp_gt_f32_e32 vcc_lo, 0xf800000, v9
	s_delay_alu instid0(VALU_DEP_2) | instskip(NEXT) | instid1(VALU_DEP_1)
	v_cndmask_b32_e32 v9, v9, v15, vcc_lo
	v_sqrt_f32_e32 v15, v9
	s_waitcnt_depctr 0xfff
	v_add_nc_u32_e32 v16, -1, v15
	v_add_nc_u32_e32 v17, 1, v15
	s_delay_alu instid0(VALU_DEP_2) | instskip(NEXT) | instid1(VALU_DEP_2)
	v_fma_f32 v18, -v16, v15, v9
	v_fma_f32 v19, -v17, v15, v9
	s_delay_alu instid0(VALU_DEP_2) | instskip(NEXT) | instid1(VALU_DEP_1)
	v_cmp_ge_f32_e64 s3, 0, v18
	v_cndmask_b32_e64 v15, v15, v16, s3
	s_delay_alu instid0(VALU_DEP_3) | instskip(NEXT) | instid1(VALU_DEP_1)
	v_cmp_lt_f32_e64 s3, 0, v19
	v_cndmask_b32_e64 v15, v15, v17, s3
	s_delay_alu instid0(VALU_DEP_1) | instskip(NEXT) | instid1(VALU_DEP_1)
	v_mul_f32_e32 v16, 0x37800000, v15
	v_cndmask_b32_e32 v15, v15, v16, vcc_lo
	v_cmp_class_f32_e64 vcc_lo, v9, 0x260
	s_delay_alu instid0(VALU_DEP_2) | instskip(NEXT) | instid1(VALU_DEP_1)
	v_cndmask_b32_e32 v9, v15, v9, vcc_lo
	v_dual_add_f32 v16, v9, v9 :: v_dual_and_b32 v15, 0x7fffffff, v8
	s_delay_alu instid0(VALU_DEP_1) | instskip(SKIP_1) | instid1(VALU_DEP_2)
	v_div_scale_f32 v17, null, v16, v16, v15
	v_div_scale_f32 v15, vcc_lo, v15, v16, v15
	v_rcp_f32_e32 v18, v17
	s_waitcnt_depctr 0xfff
	v_fma_f32 v19, -v17, v18, 1.0
	s_delay_alu instid0(VALU_DEP_1) | instskip(NEXT) | instid1(VALU_DEP_1)
	v_fmac_f32_e32 v18, v19, v18
	v_mul_f32_e32 v19, v15, v18
	s_delay_alu instid0(VALU_DEP_1) | instskip(NEXT) | instid1(VALU_DEP_1)
	v_fma_f32 v20, -v17, v19, v15
	v_fmac_f32_e32 v19, v20, v18
	s_delay_alu instid0(VALU_DEP_1) | instskip(NEXT) | instid1(VALU_DEP_1)
	v_fma_f32 v15, -v17, v19, v15
	v_div_fmas_f32 v15, v15, v18, v19
	s_delay_alu instid0(VALU_DEP_1) | instskip(SKIP_3) | instid1(SALU_CYCLE_1)
	v_div_fixup_f32 v15, v15, v16, |v8|
	v_bfi_b32 v16, 0x7fffffff, v9, v8
	s_or_b32 exec_lo, exec_lo, s25
	s_and_saveexec_b32 s3, s2
	s_xor_b32 s2, exec_lo, s3
	s_cbranch_execnz .LBB229_79
.LBB229_82:                             ;   in Loop: Header=BB229_6 Depth=1
	s_and_not1_saveexec_b32 s2, s2
.LBB229_83:                             ;   in Loop: Header=BB229_6 Depth=1
	v_dual_add_f32 v8, v15, v15 :: v_dual_add_f32 v9, v16, v16
.LBB229_84:                             ;   in Loop: Header=BB229_6 Depth=1
	s_or_b32 exec_lo, exec_lo, s2
.LBB229_85:                             ;   in Loop: Header=BB229_6 Depth=1
	s_and_not1_saveexec_b32 s2, s23
	s_cbranch_execz .LBB229_91
; %bb.86:                               ;   in Loop: Header=BB229_6 Depth=1
	v_sub_f32_e32 v15, v5, v5
	s_mov_b32 s3, exec_lo
	v_cmpx_lt_i32_e32 -1, v4
	s_xor_b32 s3, exec_lo, s3
; %bb.87:                               ;   in Loop: Header=BB229_6 Depth=1
	s_delay_alu instid0(VALU_DEP_2)
	v_bfi_b32 v9, 0x7fffffff, v15, v5
                                        ; implicit-def: $vgpr15
; %bb.88:                               ;   in Loop: Header=BB229_6 Depth=1
	s_or_saveexec_b32 s3, s3
	v_mov_b32_e32 v8, v4
	s_xor_b32 exec_lo, exec_lo, s3
; %bb.89:                               ;   in Loop: Header=BB229_6 Depth=1
	v_and_b32_e32 v8, 0x7fffffff, v15
	v_bfi_b32 v9, 0x7fffffff, v4, v5
; %bb.90:                               ;   in Loop: Header=BB229_6 Depth=1
	s_or_b32 exec_lo, exec_lo, s3
.LBB229_91:                             ;   in Loop: Header=BB229_6 Depth=1
	s_delay_alu instid0(SALU_CYCLE_1)
	s_or_b32 exec_lo, exec_lo, s2
.LBB229_92:                             ;   in Loop: Header=BB229_6 Depth=1
	s_and_not1_saveexec_b32 s2, s22
	s_cbranch_execz .LBB229_94
; %bb.93:                               ;   in Loop: Header=BB229_6 Depth=1
	v_sub_f32_e32 v5, v5, v5
	s_delay_alu instid0(VALU_DEP_1) | instskip(NEXT) | instid1(VALU_DEP_1)
	v_div_scale_f32 v8, vcc_lo, v5, v5, v5
	v_rcp_f32_e32 v9, v8
	s_waitcnt_depctr 0xfff
	v_fma_f32 v15, -v8, v9, 1.0
	s_delay_alu instid0(VALU_DEP_1) | instskip(NEXT) | instid1(VALU_DEP_1)
	v_fmac_f32_e32 v9, v15, v9
	v_mul_f32_e32 v15, v8, v9
	s_delay_alu instid0(VALU_DEP_1) | instskip(NEXT) | instid1(VALU_DEP_1)
	v_fma_f32 v16, -v8, v15, v8
	v_fmac_f32_e32 v15, v16, v9
	s_delay_alu instid0(VALU_DEP_1) | instskip(NEXT) | instid1(VALU_DEP_1)
	v_fma_f32 v8, -v8, v15, v8
	v_div_fmas_f32 v8, v8, v9, v15
	s_delay_alu instid0(VALU_DEP_1)
	v_div_fixup_f32 v9, v8, v5, v5
	v_mov_b32_e32 v8, v4
.LBB229_94:                             ;   in Loop: Header=BB229_6 Depth=1
	s_or_b32 exec_lo, exec_lo, s2
.LBB229_95:                             ;   in Loop: Header=BB229_6 Depth=1
	s_delay_alu instid0(SALU_CYCLE_1)
	s_or_b32 exec_lo, exec_lo, s21
.LBB229_96:                             ;   in Loop: Header=BB229_6 Depth=1
	s_delay_alu instid0(SALU_CYCLE_1) | instskip(SKIP_2) | instid1(VALU_DEP_1)
	s_or_b32 exec_lo, exec_lo, s20
	v_cmp_neq_f32_e32 vcc_lo, 0, v6
	v_cmp_neq_f32_e64 s2, 0, v7
	s_or_b32 s2, vcc_lo, s2
	s_delay_alu instid0(SALU_CYCLE_1)
	s_and_saveexec_b32 s20, s2
	s_cbranch_execz .LBB229_5
; %bb.97:                               ;   in Loop: Header=BB229_6 Depth=1
	v_mov_b32_e32 v10, 0x7f800000
	s_mov_b32 s21, exec_lo
	v_cmpx_neq_f32_e64 0x7f800000, |v7|
	s_cbranch_execz .LBB229_4
; %bb.98:                               ;   in Loop: Header=BB229_6 Depth=1
	s_mov_b32 s2, exec_lo
	v_cmpx_o_f32_e32 v6, v6
	s_xor_b32 s22, exec_lo, s2
	s_cbranch_execz .LBB229_122
; %bb.99:                               ;   in Loop: Header=BB229_6 Depth=1
	s_mov_b32 s3, exec_lo
	v_cmpx_neq_f32_e64 0x7f800000, |v6|
	s_xor_b32 s23, exec_lo, s3
	s_cbranch_execz .LBB229_115
; %bb.100:                              ;   in Loop: Header=BB229_6 Depth=1
	v_max_f32_e64 v4, |v7|, |v7|
	v_max_f32_e64 v5, |v6|, |v6|
                                        ; implicit-def: $sgpr24
	s_delay_alu instid0(VALU_DEP_1) | instskip(NEXT) | instid1(VALU_DEP_1)
	v_max_f32_e32 v4, v5, v4
	v_cmp_nle_f32_e64 s2, 0x7ed413cb, v4
	s_delay_alu instid0(VALU_DEP_1) | instskip(NEXT) | instid1(SALU_CYCLE_1)
	s_and_saveexec_b32 s3, s2
	s_xor_b32 s3, exec_lo, s3
	s_cbranch_execz .LBB229_104
; %bb.101:                              ;   in Loop: Header=BB229_6 Depth=1
	v_cmp_ge_f32_e64 s24, 0x1000000, |v6|
	v_cmp_ge_f32_e64 s25, 0x1000000, |v7|
	s_delay_alu instid0(VALU_DEP_1)
	s_and_b32 s26, s24, s25
	s_mov_b32 s24, 0
	s_and_saveexec_b32 s25, s26
; %bb.102:                              ;   in Loop: Header=BB229_6 Depth=1
	v_dual_mul_f32 v6, 4.0, v6 :: v_dual_mul_f32 v7, 4.0, v7
	s_mov_b32 s24, exec_lo
; %bb.103:                              ;   in Loop: Header=BB229_6 Depth=1
	s_or_b32 exec_lo, exec_lo, s25
	s_delay_alu instid0(SALU_CYCLE_1)
	s_and_b32 s24, s24, exec_lo
.LBB229_104:                            ;   in Loop: Header=BB229_6 Depth=1
	s_and_not1_saveexec_b32 s3, s3
; %bb.105:                              ;   in Loop: Header=BB229_6 Depth=1
	v_dual_mul_f32 v6, 0x3e800000, v6 :: v_dual_mul_f32 v7, 0x3e800000, v7
	s_and_not1_b32 s24, s24, exec_lo
; %bb.106:                              ;   in Loop: Header=BB229_6 Depth=1
	s_or_b32 exec_lo, exec_lo, s3
	s_delay_alu instid0(VALU_DEP_1) | instskip(NEXT) | instid1(VALU_DEP_2)
	v_max_f32_e64 v4, |v7|, |v7|
	v_max_f32_e64 v5, |v6|, |v6|
	s_delay_alu instid0(VALU_DEP_1) | instskip(NEXT) | instid1(VALU_DEP_1)
	v_max_f32_e32 v10, v5, v4
	v_cvt_f64_f32_e32 v[4:5], v10
	s_delay_alu instid0(VALU_DEP_1) | instskip(NEXT) | instid1(VALU_DEP_1)
	v_frexp_exp_i32_f64_e32 v4, v[4:5]
	v_sub_nc_u32_e32 v5, 0, v4
	s_delay_alu instid0(VALU_DEP_1) | instskip(SKIP_1) | instid1(VALU_DEP_2)
	v_ldexp_f32 v15, |v7|, v5
	v_ldexp_f32 v5, |v6|, v5
	v_mul_f32_e32 v15, v15, v15
	v_cmp_neq_f32_e64 s3, 0x7f800000, v10
	s_delay_alu instid0(VALU_DEP_2) | instskip(NEXT) | instid1(VALU_DEP_1)
	v_fmac_f32_e32 v15, v5, v5
	v_sqrt_f32_e32 v5, v15
	s_waitcnt_depctr 0xfff
	v_ldexp_f32 v4, v5, v4
                                        ; implicit-def: $vgpr5
	s_delay_alu instid0(VALU_DEP_1)
	v_cndmask_b32_e64 v10, 0x7f800000, v4, s3
                                        ; implicit-def: $vgpr4
	s_mov_b32 s3, exec_lo
	v_cmpx_le_f32_e32 0, v6
	s_xor_b32 s25, exec_lo, s3
	s_cbranch_execz .LBB229_108
; %bb.107:                              ;   in Loop: Header=BB229_6 Depth=1
	v_add_f32_e32 v4, v6, v10
	s_delay_alu instid0(VALU_DEP_1) | instskip(NEXT) | instid1(VALU_DEP_1)
	v_mul_f32_e32 v4, 0.5, v4
	v_mul_f32_e32 v5, 0x4f800000, v4
	v_cmp_gt_f32_e32 vcc_lo, 0xf800000, v4
	s_delay_alu instid0(VALU_DEP_2) | instskip(NEXT) | instid1(VALU_DEP_1)
	v_cndmask_b32_e32 v4, v4, v5, vcc_lo
	v_sqrt_f32_e32 v5, v4
	s_waitcnt_depctr 0xfff
	v_add_nc_u32_e32 v6, -1, v5
	v_add_nc_u32_e32 v10, 1, v5
	s_delay_alu instid0(VALU_DEP_2) | instskip(NEXT) | instid1(VALU_DEP_2)
	v_fma_f32 v15, -v6, v5, v4
	v_fma_f32 v16, -v10, v5, v4
	s_delay_alu instid0(VALU_DEP_2) | instskip(NEXT) | instid1(VALU_DEP_1)
	v_cmp_ge_f32_e64 s3, 0, v15
	v_cndmask_b32_e64 v5, v5, v6, s3
	s_delay_alu instid0(VALU_DEP_3) | instskip(NEXT) | instid1(VALU_DEP_1)
	v_cmp_lt_f32_e64 s3, 0, v16
	v_cndmask_b32_e64 v5, v5, v10, s3
	s_delay_alu instid0(VALU_DEP_1) | instskip(NEXT) | instid1(VALU_DEP_1)
	v_mul_f32_e32 v6, 0x37800000, v5
	v_cndmask_b32_e32 v5, v5, v6, vcc_lo
	v_cmp_class_f32_e64 vcc_lo, v4, 0x260
	s_delay_alu instid0(VALU_DEP_2) | instskip(NEXT) | instid1(VALU_DEP_1)
	v_cndmask_b32_e32 v4, v5, v4, vcc_lo
	v_add_f32_e32 v5, v4, v4
	s_delay_alu instid0(VALU_DEP_1) | instskip(NEXT) | instid1(VALU_DEP_1)
	v_div_scale_f32 v6, null, v5, v5, v7
	v_rcp_f32_e32 v10, v6
	s_waitcnt_depctr 0xfff
	v_fma_f32 v15, -v6, v10, 1.0
	s_delay_alu instid0(VALU_DEP_1) | instskip(SKIP_1) | instid1(VALU_DEP_1)
	v_fmac_f32_e32 v10, v15, v10
	v_div_scale_f32 v15, vcc_lo, v7, v5, v7
	v_mul_f32_e32 v16, v15, v10
	s_delay_alu instid0(VALU_DEP_1) | instskip(NEXT) | instid1(VALU_DEP_1)
	v_fma_f32 v17, -v6, v16, v15
	v_fmac_f32_e32 v16, v17, v10
	s_delay_alu instid0(VALU_DEP_1) | instskip(NEXT) | instid1(VALU_DEP_1)
	v_fma_f32 v6, -v6, v16, v15
	v_div_fmas_f32 v6, v6, v10, v16
                                        ; implicit-def: $vgpr10
	s_delay_alu instid0(VALU_DEP_1)
	v_div_fixup_f32 v5, v6, v5, v7
                                        ; implicit-def: $vgpr6
	s_and_not1_saveexec_b32 s25, s25
	s_cbranch_execz .LBB229_110
	s_branch .LBB229_109
.LBB229_108:                            ;   in Loop: Header=BB229_6 Depth=1
	s_and_not1_saveexec_b32 s25, s25
	s_cbranch_execz .LBB229_110
.LBB229_109:                            ;   in Loop: Header=BB229_6 Depth=1
	v_sub_f32_e32 v4, v10, v6
	s_delay_alu instid0(VALU_DEP_1) | instskip(NEXT) | instid1(VALU_DEP_1)
	v_mul_f32_e32 v4, 0.5, v4
	v_mul_f32_e32 v5, 0x4f800000, v4
	v_cmp_gt_f32_e32 vcc_lo, 0xf800000, v4
	s_delay_alu instid0(VALU_DEP_2) | instskip(NEXT) | instid1(VALU_DEP_1)
	v_cndmask_b32_e32 v4, v4, v5, vcc_lo
	v_sqrt_f32_e32 v5, v4
	s_waitcnt_depctr 0xfff
	v_add_nc_u32_e32 v6, -1, v5
	v_add_nc_u32_e32 v10, 1, v5
	s_delay_alu instid0(VALU_DEP_2) | instskip(NEXT) | instid1(VALU_DEP_2)
	v_fma_f32 v15, -v6, v5, v4
	v_fma_f32 v16, -v10, v5, v4
	s_delay_alu instid0(VALU_DEP_2) | instskip(NEXT) | instid1(VALU_DEP_1)
	v_cmp_ge_f32_e64 s3, 0, v15
	v_cndmask_b32_e64 v5, v5, v6, s3
	s_delay_alu instid0(VALU_DEP_3) | instskip(NEXT) | instid1(VALU_DEP_1)
	v_cmp_lt_f32_e64 s3, 0, v16
	v_cndmask_b32_e64 v5, v5, v10, s3
	s_delay_alu instid0(VALU_DEP_1) | instskip(NEXT) | instid1(VALU_DEP_1)
	v_mul_f32_e32 v6, 0x37800000, v5
	v_cndmask_b32_e32 v5, v5, v6, vcc_lo
	v_cmp_class_f32_e64 vcc_lo, v4, 0x260
	s_delay_alu instid0(VALU_DEP_2) | instskip(NEXT) | instid1(VALU_DEP_1)
	v_dual_cndmask_b32 v5, v5, v4 :: v_dual_and_b32 v4, 0x7fffffff, v7
	v_add_f32_e32 v6, v5, v5
	v_bfi_b32 v5, 0x7fffffff, v5, v7
	s_delay_alu instid0(VALU_DEP_2) | instskip(SKIP_1) | instid1(VALU_DEP_2)
	v_div_scale_f32 v10, null, v6, v6, v4
	v_div_scale_f32 v4, vcc_lo, v4, v6, v4
	v_rcp_f32_e32 v15, v10
	s_waitcnt_depctr 0xfff
	v_fma_f32 v16, -v10, v15, 1.0
	s_delay_alu instid0(VALU_DEP_1) | instskip(NEXT) | instid1(VALU_DEP_1)
	v_fmac_f32_e32 v15, v16, v15
	v_mul_f32_e32 v16, v4, v15
	s_delay_alu instid0(VALU_DEP_1) | instskip(NEXT) | instid1(VALU_DEP_1)
	v_fma_f32 v17, -v10, v16, v4
	v_fmac_f32_e32 v16, v17, v15
	s_delay_alu instid0(VALU_DEP_1) | instskip(NEXT) | instid1(VALU_DEP_1)
	v_fma_f32 v4, -v10, v16, v4
	v_div_fmas_f32 v4, v4, v15, v16
	s_delay_alu instid0(VALU_DEP_1)
	v_div_fixup_f32 v4, v4, v6, |v7|
.LBB229_110:                            ;   in Loop: Header=BB229_6 Depth=1
	s_or_b32 exec_lo, exec_lo, s25
                                        ; implicit-def: $vgpr7
	s_and_saveexec_b32 s3, s2
	s_delay_alu instid0(SALU_CYCLE_1)
	s_xor_b32 s2, exec_lo, s3
	s_cbranch_execz .LBB229_112
; %bb.111:                              ;   in Loop: Header=BB229_6 Depth=1
	v_dual_mul_f32 v6, 0.5, v4 :: v_dual_mul_f32 v7, 0.5, v5
	s_delay_alu instid0(VALU_DEP_1) | instskip(NEXT) | instid1(VALU_DEP_2)
	v_cndmask_b32_e64 v6, v4, v6, s24
	v_cndmask_b32_e64 v7, v5, v7, s24
                                        ; implicit-def: $vgpr4
                                        ; implicit-def: $vgpr5
	s_and_not1_saveexec_b32 s2, s2
	s_cbranch_execnz .LBB229_113
	s_branch .LBB229_114
.LBB229_112:                            ;   in Loop: Header=BB229_6 Depth=1
	s_and_not1_saveexec_b32 s2, s2
.LBB229_113:                            ;   in Loop: Header=BB229_6 Depth=1
	v_dual_add_f32 v6, v4, v4 :: v_dual_add_f32 v7, v5, v5
.LBB229_114:                            ;   in Loop: Header=BB229_6 Depth=1
	s_or_b32 exec_lo, exec_lo, s2
.LBB229_115:                            ;   in Loop: Header=BB229_6 Depth=1
	s_and_not1_saveexec_b32 s2, s23
	s_cbranch_execz .LBB229_121
; %bb.116:                              ;   in Loop: Header=BB229_6 Depth=1
	s_delay_alu instid0(VALU_DEP_1)
	v_sub_f32_e32 v4, v7, v7
	s_mov_b32 s3, exec_lo
	v_cmpx_lt_i32_e32 -1, v6
	s_xor_b32 s3, exec_lo, s3
; %bb.117:                              ;   in Loop: Header=BB229_6 Depth=1
	s_delay_alu instid0(VALU_DEP_2)
	v_bfi_b32 v7, 0x7fffffff, v4, v7
                                        ; implicit-def: $vgpr4
; %bb.118:                              ;   in Loop: Header=BB229_6 Depth=1
	s_and_not1_saveexec_b32 s3, s3
; %bb.119:                              ;   in Loop: Header=BB229_6 Depth=1
	v_and_b32_e32 v4, 0x7fffffff, v4
	s_delay_alu instid0(VALU_DEP_2) | instskip(NEXT) | instid1(VALU_DEP_2)
	v_bfi_b32 v7, 0x7fffffff, v6, v7
	v_mov_b32_e32 v6, v4
; %bb.120:                              ;   in Loop: Header=BB229_6 Depth=1
	s_or_b32 exec_lo, exec_lo, s3
.LBB229_121:                            ;   in Loop: Header=BB229_6 Depth=1
	s_delay_alu instid0(SALU_CYCLE_1)
	s_or_b32 exec_lo, exec_lo, s2
.LBB229_122:                            ;   in Loop: Header=BB229_6 Depth=1
	s_and_not1_saveexec_b32 s2, s22
	s_cbranch_execz .LBB229_3
; %bb.123:                              ;   in Loop: Header=BB229_6 Depth=1
	v_sub_f32_e32 v4, v7, v7
	s_delay_alu instid0(VALU_DEP_1) | instskip(NEXT) | instid1(VALU_DEP_1)
	v_div_scale_f32 v5, vcc_lo, v4, v4, v4
	v_rcp_f32_e32 v7, v5
	s_waitcnt_depctr 0xfff
	v_fma_f32 v10, -v5, v7, 1.0
	s_delay_alu instid0(VALU_DEP_1) | instskip(NEXT) | instid1(VALU_DEP_1)
	v_fmac_f32_e32 v7, v10, v7
	v_mul_f32_e32 v10, v5, v7
	s_delay_alu instid0(VALU_DEP_1) | instskip(NEXT) | instid1(VALU_DEP_1)
	v_fma_f32 v15, -v5, v10, v5
	v_fmac_f32_e32 v10, v15, v7
	s_delay_alu instid0(VALU_DEP_1) | instskip(NEXT) | instid1(VALU_DEP_1)
	v_fma_f32 v5, -v5, v10, v5
	v_div_fmas_f32 v5, v5, v7, v10
	s_delay_alu instid0(VALU_DEP_1)
	v_div_fixup_f32 v7, v5, v4, v4
	s_branch .LBB229_3
.LBB229_124:
	s_or_b32 exec_lo, exec_lo, s16
	s_mov_b32 s2, 0
.LBB229_125:
	s_delay_alu instid0(SALU_CYCLE_1)
	s_and_not1_b32 vcc_lo, exec_lo, s2
	s_cbranch_vccnz .LBB229_265
; %bb.126:
	v_cmp_lt_i64_e64 s2, s[8:9], 1
	s_delay_alu instid0(VALU_DEP_1)
	s_and_b32 vcc_lo, exec_lo, s2
	s_cbranch_vccnz .LBB229_265
; %bb.127:
	s_load_b32 s0, s[0:1], 0xc5c
	v_mov_b32_e32 v1, 0
	v_lshl_or_b32 v2, v0, 3, 4
	v_cmp_gt_u64_e64 s1, 0x10000, s[8:9]
	s_mov_b32 s11, 0
	s_delay_alu instid0(VALU_DEP_3) | instskip(NEXT) | instid1(VALU_DEP_3)
	v_mov_b32_e32 v3, v1
	v_add_co_u32 v14, s2, s4, v2
	s_delay_alu instid0(VALU_DEP_1) | instskip(SKIP_1) | instid1(VALU_DEP_1)
	v_add_co_ci_u32_e64 v15, null, s5, 0, s2
	v_add_co_u32 v16, s2, s14, v2
	v_add_co_ci_u32_e64 v17, null, s15, 0, s2
	s_waitcnt lgkmcnt(0)
	s_and_b32 s16, s0, 0xffff
	s_and_b32 s0, s1, exec_lo
	v_add_lshl_u32 v6, v0, s16, 3
	v_mad_u64_u32 v[4:5], null, s16, 24, v[2:3]
	s_cselect_b32 s13, s9, 0
	s_cselect_b32 s12, s8, 0x10000
	s_delay_alu instid0(VALU_DEP_2) | instskip(NEXT) | instid1(VALU_DEP_1)
	v_add_co_u32 v18, s0, s14, v6
	v_add_co_ci_u32_e64 v19, null, s15, 0, s0
	v_add_co_u32 v22, s0, s4, v6
	s_delay_alu instid0(VALU_DEP_1)
	v_add_co_ci_u32_e64 v23, null, s5, 0, s0
	s_lshl_b32 s0, s16, 4
	v_add_co_u32 v20, vcc_lo, s4, v4
	v_add_co_u32 v2, s0, v2, s0
	v_add_co_ci_u32_e32 v21, vcc_lo, s5, v5, vcc_lo
	v_add_co_ci_u32_e64 v3, null, 0, 0, s0
	v_add_co_u32 v24, vcc_lo, s14, v4
	v_add_co_ci_u32_e32 v25, vcc_lo, s15, v5, vcc_lo
	v_add_co_u32 v26, vcc_lo, s4, v2
	s_delay_alu instid0(VALU_DEP_4)
	v_add_co_ci_u32_e32 v27, vcc_lo, s5, v3, vcc_lo
	v_add_co_u32 v28, vcc_lo, s14, v2
	v_add_co_ci_u32_e32 v29, vcc_lo, s15, v3, vcc_lo
	s_lshl_b32 s10, s16, 2
	s_lshl_b32 s17, s16, 1
	s_mul_i32 s18, s16, 3
	s_lshl_b32 s19, s16, 5
	s_mov_b64 s[14:15], s[10:11]
	s_branch .LBB229_129
.LBB229_128:                            ;   in Loop: Header=BB229_129 Depth=1
	s_or_b32 exec_lo, exec_lo, s0
	v_add_co_u32 v0, vcc_lo, v0, s10
	v_add_co_ci_u32_e32 v1, vcc_lo, 0, v1, vcc_lo
	v_add_co_u32 v14, vcc_lo, v14, s19
	v_add_co_ci_u32_e32 v15, vcc_lo, 0, v15, vcc_lo
	;; [unrolled: 2-line block ×7, first 2 shown]
	v_cmp_ge_i64_e64 s0, s[14:15], s[8:9]
	v_cmp_lt_u64_e64 s1, 0xffff, s[14:15]
	v_add_co_u32 v26, vcc_lo, v26, s19
	v_add_co_ci_u32_e32 v27, vcc_lo, 0, v27, vcc_lo
	v_add_co_u32 v28, vcc_lo, v28, s19
	v_add_co_ci_u32_e32 v29, vcc_lo, 0, v29, vcc_lo
	s_or_b32 s0, s0, s1
	s_add_u32 s14, s14, s10
	s_addc_u32 s15, s15, 0
	s_and_b32 vcc_lo, exec_lo, s0
	s_cbranch_vccnz .LBB229_265
.LBB229_129:                            ; =>This Inner Loop Header: Depth=1
	v_cmp_gt_u64_e64 s0, s[12:13], v[0:1]
	v_dual_mov_b32 v5, 0 :: v_dual_mov_b32 v4, 0
	s_delay_alu instid0(VALU_DEP_2)
	s_and_saveexec_b32 s1, s0
	s_cbranch_execz .LBB229_131
; %bb.130:                              ;   in Loop: Header=BB229_129 Depth=1
	v_add_co_u32 v2, vcc_lo, v14, s6
	v_add_co_ci_u32_e32 v3, vcc_lo, s7, v15, vcc_lo
	global_load_b64 v[4:5], v[2:3], off offset:-4
.LBB229_131:                            ;   in Loop: Header=BB229_129 Depth=1
	s_or_b32 exec_lo, exec_lo, s1
	v_add_co_u32 v6, vcc_lo, s16, v0
	v_add_co_ci_u32_e32 v7, vcc_lo, 0, v1, vcc_lo
	v_mov_b32_e32 v3, 0
	s_delay_alu instid0(VALU_DEP_2) | instskip(SKIP_1) | instid1(VALU_DEP_2)
	v_cmp_gt_u64_e64 s1, s[12:13], v[6:7]
	v_dual_mov_b32 v6, 0 :: v_dual_mov_b32 v7, 0
	s_and_saveexec_b32 s2, s1
	s_cbranch_execz .LBB229_133
; %bb.132:                              ;   in Loop: Header=BB229_129 Depth=1
	v_add_co_u32 v6, vcc_lo, v22, s6
	v_add_co_ci_u32_e32 v7, vcc_lo, s7, v23, vcc_lo
	global_load_b64 v[6:7], v[6:7], off
.LBB229_133:                            ;   in Loop: Header=BB229_129 Depth=1
	s_or_b32 exec_lo, exec_lo, s2
	v_add_co_u32 v8, vcc_lo, s17, v0
	v_add_co_ci_u32_e32 v9, vcc_lo, 0, v1, vcc_lo
	v_mov_b32_e32 v2, 0
	s_delay_alu instid0(VALU_DEP_2) | instskip(NEXT) | instid1(VALU_DEP_1)
	v_cmp_gt_u64_e64 s2, s[12:13], v[8:9]
	s_and_saveexec_b32 s3, s2
	s_cbranch_execz .LBB229_135
; %bb.134:                              ;   in Loop: Header=BB229_129 Depth=1
	v_add_co_u32 v2, vcc_lo, v26, s6
	v_add_co_ci_u32_e32 v3, vcc_lo, s7, v27, vcc_lo
	global_load_b64 v[2:3], v[2:3], off offset:-4
.LBB229_135:                            ;   in Loop: Header=BB229_129 Depth=1
	s_or_b32 exec_lo, exec_lo, s3
	v_add_co_u32 v8, vcc_lo, s18, v0
	v_add_co_ci_u32_e32 v9, vcc_lo, 0, v1, vcc_lo
	v_mov_b32_e32 v10, 0
	s_delay_alu instid0(VALU_DEP_2) | instskip(SKIP_1) | instid1(VALU_DEP_2)
	v_cmp_gt_u64_e64 s3, s[12:13], v[8:9]
	v_dual_mov_b32 v9, 0 :: v_dual_mov_b32 v8, 0
	s_and_saveexec_b32 s4, s3
	s_cbranch_execz .LBB229_137
; %bb.136:                              ;   in Loop: Header=BB229_129 Depth=1
	v_add_co_u32 v8, vcc_lo, v20, s6
	v_add_co_ci_u32_e32 v9, vcc_lo, s7, v21, vcc_lo
	global_load_b64 v[8:9], v[8:9], off offset:-4
.LBB229_137:                            ;   in Loop: Header=BB229_129 Depth=1
	s_or_b32 exec_lo, exec_lo, s4
	s_waitcnt vmcnt(0)
	v_cmp_neq_f32_e32 vcc_lo, 0, v4
	v_cmp_neq_f32_e64 s4, 0, v5
	s_delay_alu instid0(VALU_DEP_1) | instskip(NEXT) | instid1(SALU_CYCLE_1)
	s_or_b32 s4, vcc_lo, s4
	s_and_saveexec_b32 s11, s4
	s_cbranch_execz .LBB229_166
; %bb.138:                              ;   in Loop: Header=BB229_129 Depth=1
	v_mov_b32_e32 v10, 0x7f800000
	s_mov_b32 s20, exec_lo
	v_cmpx_neq_f32_e64 0x7f800000, |v5|
	s_cbranch_execz .LBB229_165
; %bb.139:                              ;   in Loop: Header=BB229_129 Depth=1
	s_mov_b32 s4, exec_lo
	v_cmpx_o_f32_e32 v4, v4
	s_xor_b32 s21, exec_lo, s4
	s_cbranch_execz .LBB229_162
; %bb.140:                              ;   in Loop: Header=BB229_129 Depth=1
	s_mov_b32 s5, exec_lo
	v_cmpx_neq_f32_e64 0x7f800000, |v4|
	s_xor_b32 s22, exec_lo, s5
	s_cbranch_execz .LBB229_156
; %bb.141:                              ;   in Loop: Header=BB229_129 Depth=1
	v_max_f32_e64 v10, |v4|, |v4|
	v_max_f32_e64 v11, |v5|, |v5|
                                        ; implicit-def: $sgpr23
	s_delay_alu instid0(VALU_DEP_1) | instskip(NEXT) | instid1(VALU_DEP_1)
	v_max_f32_e32 v10, v11, v10
	v_cmp_nle_f32_e64 s4, 0x7ed413cb, v10
	s_delay_alu instid0(VALU_DEP_1) | instskip(NEXT) | instid1(SALU_CYCLE_1)
	s_and_saveexec_b32 s5, s4
	s_xor_b32 s5, exec_lo, s5
	s_cbranch_execz .LBB229_145
; %bb.142:                              ;   in Loop: Header=BB229_129 Depth=1
	v_cmp_ge_f32_e64 s23, 0x1000000, |v4|
	v_cmp_ge_f32_e64 s24, 0x1000000, |v5|
	s_delay_alu instid0(VALU_DEP_1)
	s_and_b32 s25, s24, s23
	s_mov_b32 s23, 0
	s_and_saveexec_b32 s24, s25
; %bb.143:                              ;   in Loop: Header=BB229_129 Depth=1
	v_dual_mul_f32 v4, 4.0, v4 :: v_dual_mul_f32 v5, 4.0, v5
	s_mov_b32 s23, exec_lo
; %bb.144:                              ;   in Loop: Header=BB229_129 Depth=1
	s_or_b32 exec_lo, exec_lo, s24
	s_delay_alu instid0(SALU_CYCLE_1)
	s_and_b32 s23, s23, exec_lo
.LBB229_145:                            ;   in Loop: Header=BB229_129 Depth=1
	s_and_not1_saveexec_b32 s5, s5
; %bb.146:                              ;   in Loop: Header=BB229_129 Depth=1
	v_dual_mul_f32 v4, 0x3e800000, v4 :: v_dual_mul_f32 v5, 0x3e800000, v5
	s_and_not1_b32 s23, s23, exec_lo
; %bb.147:                              ;   in Loop: Header=BB229_129 Depth=1
	s_or_b32 exec_lo, exec_lo, s5
	s_delay_alu instid0(VALU_DEP_1) | instskip(NEXT) | instid1(VALU_DEP_2)
	v_max_f32_e64 v10, |v5|, |v5|
	v_max_f32_e64 v11, |v4|, |v4|
	s_delay_alu instid0(VALU_DEP_1) | instskip(NEXT) | instid1(VALU_DEP_1)
	v_max_f32_e32 v12, v11, v10
	v_cvt_f64_f32_e32 v[10:11], v12
	s_delay_alu instid0(VALU_DEP_1) | instskip(NEXT) | instid1(VALU_DEP_1)
	v_frexp_exp_i32_f64_e32 v10, v[10:11]
	v_sub_nc_u32_e32 v11, 0, v10
	s_delay_alu instid0(VALU_DEP_1) | instskip(SKIP_1) | instid1(VALU_DEP_2)
	v_ldexp_f32 v13, |v5|, v11
	v_ldexp_f32 v11, |v4|, v11
	v_mul_f32_e32 v13, v13, v13
	v_cmp_neq_f32_e64 s5, 0x7f800000, v12
	s_delay_alu instid0(VALU_DEP_2) | instskip(NEXT) | instid1(VALU_DEP_1)
	v_fmac_f32_e32 v13, v11, v11
	v_sqrt_f32_e32 v11, v13
	s_waitcnt_depctr 0xfff
	v_ldexp_f32 v10, v11, v10
                                        ; implicit-def: $vgpr11
	s_delay_alu instid0(VALU_DEP_1)
	v_cndmask_b32_e64 v12, 0x7f800000, v10, s5
                                        ; implicit-def: $vgpr10
	s_mov_b32 s5, exec_lo
	v_cmpx_le_f32_e32 0, v4
	s_xor_b32 s24, exec_lo, s5
	s_cbranch_execz .LBB229_149
; %bb.148:                              ;   in Loop: Header=BB229_129 Depth=1
	v_add_f32_e32 v4, v4, v12
	s_delay_alu instid0(VALU_DEP_1) | instskip(NEXT) | instid1(VALU_DEP_1)
	v_mul_f32_e32 v4, 0.5, v4
	v_mul_f32_e32 v10, 0x4f800000, v4
	v_cmp_gt_f32_e32 vcc_lo, 0xf800000, v4
	s_delay_alu instid0(VALU_DEP_2) | instskip(NEXT) | instid1(VALU_DEP_1)
	v_cndmask_b32_e32 v4, v4, v10, vcc_lo
	v_sqrt_f32_e32 v10, v4
	s_waitcnt_depctr 0xfff
	v_add_nc_u32_e32 v11, -1, v10
	v_add_nc_u32_e32 v12, 1, v10
	s_delay_alu instid0(VALU_DEP_2) | instskip(NEXT) | instid1(VALU_DEP_2)
	v_fma_f32 v13, -v11, v10, v4
	v_fma_f32 v30, -v12, v10, v4
	s_delay_alu instid0(VALU_DEP_2) | instskip(NEXT) | instid1(VALU_DEP_1)
	v_cmp_ge_f32_e64 s5, 0, v13
	v_cndmask_b32_e64 v10, v10, v11, s5
	s_delay_alu instid0(VALU_DEP_3) | instskip(NEXT) | instid1(VALU_DEP_1)
	v_cmp_lt_f32_e64 s5, 0, v30
	v_cndmask_b32_e64 v10, v10, v12, s5
	s_delay_alu instid0(VALU_DEP_1) | instskip(NEXT) | instid1(VALU_DEP_1)
	v_mul_f32_e32 v11, 0x37800000, v10
	v_cndmask_b32_e32 v10, v10, v11, vcc_lo
	v_cmp_class_f32_e64 vcc_lo, v4, 0x260
	s_delay_alu instid0(VALU_DEP_2) | instskip(NEXT) | instid1(VALU_DEP_1)
	v_cndmask_b32_e32 v10, v10, v4, vcc_lo
	v_add_f32_e32 v4, v10, v10
	s_delay_alu instid0(VALU_DEP_1) | instskip(NEXT) | instid1(VALU_DEP_1)
	v_div_scale_f32 v11, null, v4, v4, v5
	v_rcp_f32_e32 v12, v11
	s_waitcnt_depctr 0xfff
	v_fma_f32 v13, -v11, v12, 1.0
	s_delay_alu instid0(VALU_DEP_1) | instskip(SKIP_1) | instid1(VALU_DEP_1)
	v_fmac_f32_e32 v12, v13, v12
	v_div_scale_f32 v13, vcc_lo, v5, v4, v5
	v_mul_f32_e32 v30, v13, v12
	s_delay_alu instid0(VALU_DEP_1) | instskip(NEXT) | instid1(VALU_DEP_1)
	v_fma_f32 v31, -v11, v30, v13
	v_fmac_f32_e32 v30, v31, v12
	s_delay_alu instid0(VALU_DEP_1) | instskip(NEXT) | instid1(VALU_DEP_1)
	v_fma_f32 v11, -v11, v30, v13
	v_div_fmas_f32 v11, v11, v12, v30
                                        ; implicit-def: $vgpr12
	s_delay_alu instid0(VALU_DEP_1)
	v_div_fixup_f32 v11, v11, v4, v5
                                        ; implicit-def: $vgpr4
	s_and_not1_saveexec_b32 s24, s24
	s_cbranch_execz .LBB229_151
	s_branch .LBB229_150
.LBB229_149:                            ;   in Loop: Header=BB229_129 Depth=1
	s_and_not1_saveexec_b32 s24, s24
	s_cbranch_execz .LBB229_151
.LBB229_150:                            ;   in Loop: Header=BB229_129 Depth=1
	v_sub_f32_e32 v4, v12, v4
	s_delay_alu instid0(VALU_DEP_1) | instskip(NEXT) | instid1(VALU_DEP_1)
	v_mul_f32_e32 v4, 0.5, v4
	v_mul_f32_e32 v10, 0x4f800000, v4
	v_cmp_gt_f32_e32 vcc_lo, 0xf800000, v4
	s_delay_alu instid0(VALU_DEP_2) | instskip(NEXT) | instid1(VALU_DEP_1)
	v_cndmask_b32_e32 v4, v4, v10, vcc_lo
	v_sqrt_f32_e32 v10, v4
	s_waitcnt_depctr 0xfff
	v_add_nc_u32_e32 v11, -1, v10
	v_add_nc_u32_e32 v12, 1, v10
	s_delay_alu instid0(VALU_DEP_2) | instskip(NEXT) | instid1(VALU_DEP_2)
	v_fma_f32 v13, -v11, v10, v4
	v_fma_f32 v30, -v12, v10, v4
	s_delay_alu instid0(VALU_DEP_2) | instskip(NEXT) | instid1(VALU_DEP_1)
	v_cmp_ge_f32_e64 s5, 0, v13
	v_cndmask_b32_e64 v10, v10, v11, s5
	s_delay_alu instid0(VALU_DEP_3) | instskip(NEXT) | instid1(VALU_DEP_1)
	v_cmp_lt_f32_e64 s5, 0, v30
	v_cndmask_b32_e64 v10, v10, v12, s5
	s_delay_alu instid0(VALU_DEP_1) | instskip(NEXT) | instid1(VALU_DEP_1)
	v_mul_f32_e32 v11, 0x37800000, v10
	v_cndmask_b32_e32 v10, v10, v11, vcc_lo
	v_cmp_class_f32_e64 vcc_lo, v4, 0x260
	s_delay_alu instid0(VALU_DEP_2) | instskip(NEXT) | instid1(VALU_DEP_1)
	v_cndmask_b32_e32 v4, v10, v4, vcc_lo
	v_dual_add_f32 v11, v4, v4 :: v_dual_and_b32 v10, 0x7fffffff, v5
	s_delay_alu instid0(VALU_DEP_1) | instskip(SKIP_1) | instid1(VALU_DEP_2)
	v_div_scale_f32 v12, null, v11, v11, v10
	v_div_scale_f32 v10, vcc_lo, v10, v11, v10
	v_rcp_f32_e32 v13, v12
	s_waitcnt_depctr 0xfff
	v_fma_f32 v30, -v12, v13, 1.0
	s_delay_alu instid0(VALU_DEP_1) | instskip(NEXT) | instid1(VALU_DEP_1)
	v_fmac_f32_e32 v13, v30, v13
	v_mul_f32_e32 v30, v10, v13
	s_delay_alu instid0(VALU_DEP_1) | instskip(NEXT) | instid1(VALU_DEP_1)
	v_fma_f32 v31, -v12, v30, v10
	v_fmac_f32_e32 v30, v31, v13
	s_delay_alu instid0(VALU_DEP_1) | instskip(NEXT) | instid1(VALU_DEP_1)
	v_fma_f32 v10, -v12, v30, v10
	v_div_fmas_f32 v10, v10, v13, v30
	s_delay_alu instid0(VALU_DEP_1)
	v_div_fixup_f32 v10, v10, v11, |v5|
	v_bfi_b32 v11, 0x7fffffff, v4, v5
.LBB229_151:                            ;   in Loop: Header=BB229_129 Depth=1
	s_or_b32 exec_lo, exec_lo, s24
                                        ; implicit-def: $vgpr5
	s_and_saveexec_b32 s5, s4
	s_delay_alu instid0(SALU_CYCLE_1)
	s_xor_b32 s4, exec_lo, s5
	s_cbranch_execz .LBB229_153
; %bb.152:                              ;   in Loop: Header=BB229_129 Depth=1
	v_dual_mul_f32 v4, 0.5, v10 :: v_dual_mul_f32 v5, 0.5, v11
	s_delay_alu instid0(VALU_DEP_1) | instskip(NEXT) | instid1(VALU_DEP_2)
	v_cndmask_b32_e64 v4, v10, v4, s23
	v_cndmask_b32_e64 v5, v11, v5, s23
                                        ; implicit-def: $vgpr10
                                        ; implicit-def: $vgpr11
	s_and_not1_saveexec_b32 s4, s4
	s_cbranch_execnz .LBB229_154
	s_branch .LBB229_155
.LBB229_153:                            ;   in Loop: Header=BB229_129 Depth=1
	s_and_not1_saveexec_b32 s4, s4
.LBB229_154:                            ;   in Loop: Header=BB229_129 Depth=1
	v_dual_add_f32 v4, v10, v10 :: v_dual_add_f32 v5, v11, v11
.LBB229_155:                            ;   in Loop: Header=BB229_129 Depth=1
	s_or_b32 exec_lo, exec_lo, s4
.LBB229_156:                            ;   in Loop: Header=BB229_129 Depth=1
	s_and_not1_saveexec_b32 s4, s22
	s_cbranch_execz .LBB229_178
; %bb.157:                              ;   in Loop: Header=BB229_129 Depth=1
	s_delay_alu instid0(VALU_DEP_1)
	v_sub_f32_e32 v10, v5, v5
	s_mov_b32 s5, exec_lo
	v_cmpx_lt_i32_e32 -1, v4
	s_xor_b32 s5, exec_lo, s5
; %bb.158:                              ;   in Loop: Header=BB229_129 Depth=1
	s_delay_alu instid0(VALU_DEP_2)
	v_bfi_b32 v5, 0x7fffffff, v10, v5
                                        ; implicit-def: $vgpr10
; %bb.159:                              ;   in Loop: Header=BB229_129 Depth=1
	s_and_not1_saveexec_b32 s5, s5
; %bb.160:                              ;   in Loop: Header=BB229_129 Depth=1
	v_and_b32_e32 v10, 0x7fffffff, v10
	s_delay_alu instid0(VALU_DEP_2) | instskip(NEXT) | instid1(VALU_DEP_2)
	v_bfi_b32 v5, 0x7fffffff, v4, v5
	v_mov_b32_e32 v4, v10
; %bb.161:                              ;   in Loop: Header=BB229_129 Depth=1
	s_or_b32 exec_lo, exec_lo, s5
	s_delay_alu instid0(SALU_CYCLE_1)
	s_or_b32 exec_lo, exec_lo, s4
.LBB229_162:                            ;   in Loop: Header=BB229_129 Depth=1
	s_and_not1_saveexec_b32 s4, s21
.LBB229_163:                            ;   in Loop: Header=BB229_129 Depth=1
	v_sub_f32_e32 v5, v5, v5
	s_delay_alu instid0(VALU_DEP_1) | instskip(NEXT) | instid1(VALU_DEP_1)
	v_div_scale_f32 v10, vcc_lo, v5, v5, v5
	v_rcp_f32_e32 v11, v10
	s_waitcnt_depctr 0xfff
	v_fma_f32 v12, -v10, v11, 1.0
	s_delay_alu instid0(VALU_DEP_1) | instskip(NEXT) | instid1(VALU_DEP_1)
	v_fmac_f32_e32 v11, v12, v11
	v_mul_f32_e32 v12, v10, v11
	s_delay_alu instid0(VALU_DEP_1) | instskip(NEXT) | instid1(VALU_DEP_1)
	v_fma_f32 v13, -v10, v12, v10
	v_fmac_f32_e32 v12, v13, v11
	s_delay_alu instid0(VALU_DEP_1) | instskip(NEXT) | instid1(VALU_DEP_1)
	v_fma_f32 v10, -v10, v12, v10
	v_div_fmas_f32 v10, v10, v11, v12
	s_delay_alu instid0(VALU_DEP_1)
	v_div_fixup_f32 v5, v10, v5, v5
.LBB229_164:                            ;   in Loop: Header=BB229_129 Depth=1
	s_or_b32 exec_lo, exec_lo, s4
	v_mov_b32_e32 v10, v4
.LBB229_165:                            ;   in Loop: Header=BB229_129 Depth=1
	s_or_b32 exec_lo, exec_lo, s20
.LBB229_166:                            ;   in Loop: Header=BB229_129 Depth=1
	s_delay_alu instid0(SALU_CYCLE_1) | instskip(SKIP_4) | instid1(VALU_DEP_3)
	s_or_b32 exec_lo, exec_lo, s11
	v_cmp_neq_f32_e32 vcc_lo, 0, v6
	v_cmp_neq_f32_e64 s4, 0, v7
	v_mov_b32_e32 v4, 0
	v_mov_b32_e32 v12, 0
	s_or_b32 s4, vcc_lo, s4
	s_delay_alu instid0(SALU_CYCLE_1)
	s_and_saveexec_b32 s11, s4
	s_cbranch_execz .LBB229_197
; %bb.167:                              ;   in Loop: Header=BB229_129 Depth=1
	v_mov_b32_e32 v12, 0x7f800000
	s_mov_b32 s20, exec_lo
	v_cmpx_neq_f32_e64 0x7f800000, |v7|
	s_cbranch_execz .LBB229_196
; %bb.168:                              ;   in Loop: Header=BB229_129 Depth=1
	s_mov_b32 s4, exec_lo
	v_cmpx_o_f32_e32 v6, v6
	s_xor_b32 s21, exec_lo, s4
	s_cbranch_execz .LBB229_193
; %bb.169:                              ;   in Loop: Header=BB229_129 Depth=1
	s_mov_b32 s5, exec_lo
	v_cmpx_neq_f32_e64 0x7f800000, |v6|
	s_xor_b32 s22, exec_lo, s5
	s_cbranch_execz .LBB229_186
; %bb.170:                              ;   in Loop: Header=BB229_129 Depth=1
	v_max_f32_e64 v11, |v6|, |v6|
	v_max_f32_e64 v12, |v7|, |v7|
                                        ; implicit-def: $sgpr23
	s_delay_alu instid0(VALU_DEP_1) | instskip(NEXT) | instid1(VALU_DEP_1)
	v_max_f32_e32 v11, v12, v11
	v_cmp_nle_f32_e64 s4, 0x7ed413cb, v11
	s_delay_alu instid0(VALU_DEP_1) | instskip(NEXT) | instid1(SALU_CYCLE_1)
	s_and_saveexec_b32 s5, s4
	s_xor_b32 s5, exec_lo, s5
	s_cbranch_execz .LBB229_174
; %bb.171:                              ;   in Loop: Header=BB229_129 Depth=1
	v_cmp_ge_f32_e64 s23, 0x1000000, |v6|
	v_cmp_ge_f32_e64 s24, 0x1000000, |v7|
	s_delay_alu instid0(VALU_DEP_1)
	s_and_b32 s25, s24, s23
	s_mov_b32 s23, 0
	s_and_saveexec_b32 s24, s25
; %bb.172:                              ;   in Loop: Header=BB229_129 Depth=1
	v_dual_mul_f32 v6, 4.0, v6 :: v_dual_mul_f32 v7, 4.0, v7
	s_mov_b32 s23, exec_lo
; %bb.173:                              ;   in Loop: Header=BB229_129 Depth=1
	s_or_b32 exec_lo, exec_lo, s24
	s_delay_alu instid0(SALU_CYCLE_1)
	s_and_b32 s23, s23, exec_lo
.LBB229_174:                            ;   in Loop: Header=BB229_129 Depth=1
	s_and_not1_saveexec_b32 s5, s5
; %bb.175:                              ;   in Loop: Header=BB229_129 Depth=1
	v_dual_mul_f32 v6, 0x3e800000, v6 :: v_dual_mul_f32 v7, 0x3e800000, v7
	s_and_not1_b32 s23, s23, exec_lo
; %bb.176:                              ;   in Loop: Header=BB229_129 Depth=1
	s_or_b32 exec_lo, exec_lo, s5
	s_delay_alu instid0(VALU_DEP_1) | instskip(NEXT) | instid1(VALU_DEP_2)
	v_max_f32_e64 v11, |v7|, |v7|
	v_max_f32_e64 v12, |v6|, |v6|
	s_delay_alu instid0(VALU_DEP_1) | instskip(NEXT) | instid1(VALU_DEP_1)
	v_max_f32_e32 v13, v12, v11
	v_cvt_f64_f32_e32 v[11:12], v13
	s_delay_alu instid0(VALU_DEP_1) | instskip(NEXT) | instid1(VALU_DEP_1)
	v_frexp_exp_i32_f64_e32 v11, v[11:12]
	v_sub_nc_u32_e32 v12, 0, v11
	s_delay_alu instid0(VALU_DEP_1) | instskip(SKIP_1) | instid1(VALU_DEP_2)
	v_ldexp_f32 v30, |v7|, v12
	v_ldexp_f32 v12, |v6|, v12
	v_mul_f32_e32 v30, v30, v30
	v_cmp_neq_f32_e64 s5, 0x7f800000, v13
	s_delay_alu instid0(VALU_DEP_2) | instskip(NEXT) | instid1(VALU_DEP_1)
	v_fmac_f32_e32 v30, v12, v12
	v_sqrt_f32_e32 v12, v30
	s_waitcnt_depctr 0xfff
	v_ldexp_f32 v11, v12, v11
                                        ; implicit-def: $vgpr12
	s_delay_alu instid0(VALU_DEP_1)
	v_cndmask_b32_e64 v13, 0x7f800000, v11, s5
                                        ; implicit-def: $vgpr11
	s_mov_b32 s5, exec_lo
	v_cmpx_le_f32_e32 0, v6
	s_xor_b32 s24, exec_lo, s5
	s_cbranch_execz .LBB229_179
; %bb.177:                              ;   in Loop: Header=BB229_129 Depth=1
	v_add_f32_e32 v6, v6, v13
	s_delay_alu instid0(VALU_DEP_1) | instskip(NEXT) | instid1(VALU_DEP_1)
	v_mul_f32_e32 v6, 0.5, v6
	v_mul_f32_e32 v11, 0x4f800000, v6
	v_cmp_gt_f32_e32 vcc_lo, 0xf800000, v6
	s_delay_alu instid0(VALU_DEP_2) | instskip(NEXT) | instid1(VALU_DEP_1)
	v_cndmask_b32_e32 v6, v6, v11, vcc_lo
	v_sqrt_f32_e32 v11, v6
	s_waitcnt_depctr 0xfff
	v_add_nc_u32_e32 v12, -1, v11
	v_add_nc_u32_e32 v13, 1, v11
	s_delay_alu instid0(VALU_DEP_2) | instskip(NEXT) | instid1(VALU_DEP_2)
	v_fma_f32 v30, -v12, v11, v6
	v_fma_f32 v31, -v13, v11, v6
	s_delay_alu instid0(VALU_DEP_2) | instskip(NEXT) | instid1(VALU_DEP_1)
	v_cmp_ge_f32_e64 s5, 0, v30
	v_cndmask_b32_e64 v11, v11, v12, s5
	s_delay_alu instid0(VALU_DEP_3) | instskip(NEXT) | instid1(VALU_DEP_1)
	v_cmp_lt_f32_e64 s5, 0, v31
	v_cndmask_b32_e64 v11, v11, v13, s5
	s_delay_alu instid0(VALU_DEP_1) | instskip(NEXT) | instid1(VALU_DEP_1)
	v_mul_f32_e32 v12, 0x37800000, v11
	v_cndmask_b32_e32 v11, v11, v12, vcc_lo
	v_cmp_class_f32_e64 vcc_lo, v6, 0x260
	s_delay_alu instid0(VALU_DEP_2) | instskip(NEXT) | instid1(VALU_DEP_1)
	v_cndmask_b32_e32 v11, v11, v6, vcc_lo
	v_add_f32_e32 v6, v11, v11
	s_delay_alu instid0(VALU_DEP_1) | instskip(NEXT) | instid1(VALU_DEP_1)
	v_div_scale_f32 v12, null, v6, v6, v7
	v_rcp_f32_e32 v13, v12
	s_waitcnt_depctr 0xfff
	v_fma_f32 v30, -v12, v13, 1.0
	s_delay_alu instid0(VALU_DEP_1) | instskip(SKIP_1) | instid1(VALU_DEP_1)
	v_fmac_f32_e32 v13, v30, v13
	v_div_scale_f32 v30, vcc_lo, v7, v6, v7
	v_mul_f32_e32 v31, v30, v13
	s_delay_alu instid0(VALU_DEP_1) | instskip(NEXT) | instid1(VALU_DEP_1)
	v_fma_f32 v32, -v12, v31, v30
	v_fmac_f32_e32 v31, v32, v13
	s_delay_alu instid0(VALU_DEP_1) | instskip(NEXT) | instid1(VALU_DEP_1)
	v_fma_f32 v12, -v12, v31, v30
	v_div_fmas_f32 v12, v12, v13, v31
                                        ; implicit-def: $vgpr13
	s_delay_alu instid0(VALU_DEP_1)
	v_div_fixup_f32 v12, v12, v6, v7
                                        ; implicit-def: $vgpr6
	s_and_not1_saveexec_b32 s24, s24
	s_cbranch_execz .LBB229_181
	s_branch .LBB229_180
.LBB229_178:                            ;   in Loop: Header=BB229_129 Depth=1
	s_or_b32 exec_lo, exec_lo, s4
	s_and_not1_saveexec_b32 s4, s21
	s_cbranch_execnz .LBB229_163
	s_branch .LBB229_164
.LBB229_179:                            ;   in Loop: Header=BB229_129 Depth=1
	s_and_not1_saveexec_b32 s24, s24
	s_cbranch_execz .LBB229_181
.LBB229_180:                            ;   in Loop: Header=BB229_129 Depth=1
	v_sub_f32_e32 v6, v13, v6
	s_delay_alu instid0(VALU_DEP_1) | instskip(NEXT) | instid1(VALU_DEP_1)
	v_mul_f32_e32 v6, 0.5, v6
	v_mul_f32_e32 v11, 0x4f800000, v6
	v_cmp_gt_f32_e32 vcc_lo, 0xf800000, v6
	s_delay_alu instid0(VALU_DEP_2) | instskip(NEXT) | instid1(VALU_DEP_1)
	v_cndmask_b32_e32 v6, v6, v11, vcc_lo
	v_sqrt_f32_e32 v11, v6
	s_waitcnt_depctr 0xfff
	v_add_nc_u32_e32 v12, -1, v11
	v_add_nc_u32_e32 v13, 1, v11
	s_delay_alu instid0(VALU_DEP_2) | instskip(NEXT) | instid1(VALU_DEP_2)
	v_fma_f32 v30, -v12, v11, v6
	v_fma_f32 v31, -v13, v11, v6
	s_delay_alu instid0(VALU_DEP_2) | instskip(NEXT) | instid1(VALU_DEP_1)
	v_cmp_ge_f32_e64 s5, 0, v30
	v_cndmask_b32_e64 v11, v11, v12, s5
	s_delay_alu instid0(VALU_DEP_3) | instskip(NEXT) | instid1(VALU_DEP_1)
	v_cmp_lt_f32_e64 s5, 0, v31
	v_cndmask_b32_e64 v11, v11, v13, s5
	s_delay_alu instid0(VALU_DEP_1) | instskip(NEXT) | instid1(VALU_DEP_1)
	v_mul_f32_e32 v12, 0x37800000, v11
	v_cndmask_b32_e32 v11, v11, v12, vcc_lo
	v_cmp_class_f32_e64 vcc_lo, v6, 0x260
	s_delay_alu instid0(VALU_DEP_2) | instskip(NEXT) | instid1(VALU_DEP_1)
	v_dual_cndmask_b32 v6, v11, v6 :: v_dual_and_b32 v11, 0x7fffffff, v7
	v_add_f32_e32 v12, v6, v6
	s_delay_alu instid0(VALU_DEP_1) | instskip(SKIP_1) | instid1(VALU_DEP_2)
	v_div_scale_f32 v13, null, v12, v12, v11
	v_div_scale_f32 v11, vcc_lo, v11, v12, v11
	v_rcp_f32_e32 v30, v13
	s_waitcnt_depctr 0xfff
	v_fma_f32 v31, -v13, v30, 1.0
	s_delay_alu instid0(VALU_DEP_1) | instskip(NEXT) | instid1(VALU_DEP_1)
	v_fmac_f32_e32 v30, v31, v30
	v_mul_f32_e32 v31, v11, v30
	s_delay_alu instid0(VALU_DEP_1) | instskip(NEXT) | instid1(VALU_DEP_1)
	v_fma_f32 v32, -v13, v31, v11
	v_fmac_f32_e32 v31, v32, v30
	s_delay_alu instid0(VALU_DEP_1) | instskip(NEXT) | instid1(VALU_DEP_1)
	v_fma_f32 v11, -v13, v31, v11
	v_div_fmas_f32 v11, v11, v30, v31
	s_delay_alu instid0(VALU_DEP_1)
	v_div_fixup_f32 v11, v11, v12, |v7|
	v_bfi_b32 v12, 0x7fffffff, v6, v7
.LBB229_181:                            ;   in Loop: Header=BB229_129 Depth=1
	s_or_b32 exec_lo, exec_lo, s24
                                        ; implicit-def: $vgpr7
	s_and_saveexec_b32 s5, s4
	s_delay_alu instid0(SALU_CYCLE_1)
	s_xor_b32 s4, exec_lo, s5
	s_cbranch_execz .LBB229_183
; %bb.182:                              ;   in Loop: Header=BB229_129 Depth=1
	v_dual_mul_f32 v6, 0.5, v11 :: v_dual_mul_f32 v7, 0.5, v12
	s_delay_alu instid0(VALU_DEP_1) | instskip(NEXT) | instid1(VALU_DEP_2)
	v_cndmask_b32_e64 v6, v11, v6, s23
	v_cndmask_b32_e64 v7, v12, v7, s23
                                        ; implicit-def: $vgpr11
                                        ; implicit-def: $vgpr12
	s_and_not1_saveexec_b32 s4, s4
	s_cbranch_execnz .LBB229_184
	s_branch .LBB229_185
.LBB229_183:                            ;   in Loop: Header=BB229_129 Depth=1
	s_and_not1_saveexec_b32 s4, s4
.LBB229_184:                            ;   in Loop: Header=BB229_129 Depth=1
	v_dual_add_f32 v6, v11, v11 :: v_dual_add_f32 v7, v12, v12
.LBB229_185:                            ;   in Loop: Header=BB229_129 Depth=1
	s_or_b32 exec_lo, exec_lo, s4
.LBB229_186:                            ;   in Loop: Header=BB229_129 Depth=1
	s_and_not1_saveexec_b32 s4, s22
	s_cbranch_execz .LBB229_192
; %bb.187:                              ;   in Loop: Header=BB229_129 Depth=1
	s_delay_alu instid0(VALU_DEP_1)
	v_sub_f32_e32 v11, v7, v7
	s_mov_b32 s5, exec_lo
	v_cmpx_lt_i32_e32 -1, v6
	s_xor_b32 s5, exec_lo, s5
; %bb.188:                              ;   in Loop: Header=BB229_129 Depth=1
	s_delay_alu instid0(VALU_DEP_2)
	v_bfi_b32 v7, 0x7fffffff, v11, v7
                                        ; implicit-def: $vgpr11
; %bb.189:                              ;   in Loop: Header=BB229_129 Depth=1
	s_and_not1_saveexec_b32 s5, s5
; %bb.190:                              ;   in Loop: Header=BB229_129 Depth=1
	v_and_b32_e32 v11, 0x7fffffff, v11
	s_delay_alu instid0(VALU_DEP_2) | instskip(NEXT) | instid1(VALU_DEP_2)
	v_bfi_b32 v7, 0x7fffffff, v6, v7
	v_mov_b32_e32 v6, v11
; %bb.191:                              ;   in Loop: Header=BB229_129 Depth=1
	s_or_b32 exec_lo, exec_lo, s5
.LBB229_192:                            ;   in Loop: Header=BB229_129 Depth=1
	s_delay_alu instid0(SALU_CYCLE_1)
	s_or_b32 exec_lo, exec_lo, s4
.LBB229_193:                            ;   in Loop: Header=BB229_129 Depth=1
	s_and_not1_saveexec_b32 s4, s21
; %bb.194:                              ;   in Loop: Header=BB229_129 Depth=1
	v_sub_f32_e32 v7, v7, v7
	s_delay_alu instid0(VALU_DEP_1) | instskip(NEXT) | instid1(VALU_DEP_1)
	v_div_scale_f32 v11, vcc_lo, v7, v7, v7
	v_rcp_f32_e32 v12, v11
	s_waitcnt_depctr 0xfff
	v_fma_f32 v13, -v11, v12, 1.0
	s_delay_alu instid0(VALU_DEP_1) | instskip(NEXT) | instid1(VALU_DEP_1)
	v_fmac_f32_e32 v12, v13, v12
	v_mul_f32_e32 v13, v11, v12
	s_delay_alu instid0(VALU_DEP_1) | instskip(NEXT) | instid1(VALU_DEP_1)
	v_fma_f32 v30, -v11, v13, v11
	v_fmac_f32_e32 v13, v30, v12
	s_delay_alu instid0(VALU_DEP_1) | instskip(NEXT) | instid1(VALU_DEP_1)
	v_fma_f32 v11, -v11, v13, v11
	v_div_fmas_f32 v11, v11, v12, v13
	s_delay_alu instid0(VALU_DEP_1)
	v_div_fixup_f32 v7, v11, v7, v7
; %bb.195:                              ;   in Loop: Header=BB229_129 Depth=1
	s_or_b32 exec_lo, exec_lo, s4
	v_mov_b32_e32 v12, v6
.LBB229_196:                            ;   in Loop: Header=BB229_129 Depth=1
	s_or_b32 exec_lo, exec_lo, s20
.LBB229_197:                            ;   in Loop: Header=BB229_129 Depth=1
	s_delay_alu instid0(SALU_CYCLE_1) | instskip(SKIP_2) | instid1(VALU_DEP_1)
	s_or_b32 exec_lo, exec_lo, s11
	v_cmp_neq_f32_e32 vcc_lo, 0, v2
	v_cmp_neq_f32_e64 s4, 0, v3
	s_or_b32 s4, vcc_lo, s4
	s_delay_alu instid0(SALU_CYCLE_1)
	s_and_saveexec_b32 s11, s4
	s_cbranch_execz .LBB229_227
; %bb.198:                              ;   in Loop: Header=BB229_129 Depth=1
	v_mov_b32_e32 v4, 0x7f800000
	s_mov_b32 s20, exec_lo
	v_cmpx_neq_f32_e64 0x7f800000, |v3|
	s_cbranch_execz .LBB229_226
; %bb.199:                              ;   in Loop: Header=BB229_129 Depth=1
	s_mov_b32 s4, exec_lo
	v_cmpx_o_f32_e32 v2, v2
	s_xor_b32 s21, exec_lo, s4
	s_cbranch_execz .LBB229_223
; %bb.200:                              ;   in Loop: Header=BB229_129 Depth=1
	s_mov_b32 s5, exec_lo
	v_cmpx_neq_f32_e64 0x7f800000, |v2|
	s_xor_b32 s22, exec_lo, s5
	s_cbranch_execz .LBB229_216
; %bb.201:                              ;   in Loop: Header=BB229_129 Depth=1
	v_max_f32_e64 v4, |v2|, |v2|
	v_max_f32_e64 v6, |v3|, |v3|
                                        ; implicit-def: $sgpr23
	s_delay_alu instid0(VALU_DEP_1) | instskip(NEXT) | instid1(VALU_DEP_1)
	v_max_f32_e32 v4, v6, v4
	v_cmp_nle_f32_e64 s4, 0x7ed413cb, v4
	s_delay_alu instid0(VALU_DEP_1) | instskip(NEXT) | instid1(SALU_CYCLE_1)
	s_and_saveexec_b32 s5, s4
	s_xor_b32 s5, exec_lo, s5
	s_cbranch_execz .LBB229_205
; %bb.202:                              ;   in Loop: Header=BB229_129 Depth=1
	v_cmp_ge_f32_e64 s23, 0x1000000, |v2|
	v_cmp_ge_f32_e64 s24, 0x1000000, |v3|
	s_delay_alu instid0(VALU_DEP_1)
	s_and_b32 s25, s24, s23
	s_mov_b32 s23, 0
	s_and_saveexec_b32 s24, s25
; %bb.203:                              ;   in Loop: Header=BB229_129 Depth=1
	v_dual_mul_f32 v2, 4.0, v2 :: v_dual_mul_f32 v3, 4.0, v3
	s_mov_b32 s23, exec_lo
; %bb.204:                              ;   in Loop: Header=BB229_129 Depth=1
	s_or_b32 exec_lo, exec_lo, s24
	s_delay_alu instid0(SALU_CYCLE_1)
	s_and_b32 s23, s23, exec_lo
.LBB229_205:                            ;   in Loop: Header=BB229_129 Depth=1
	s_and_not1_saveexec_b32 s5, s5
; %bb.206:                              ;   in Loop: Header=BB229_129 Depth=1
	v_dual_mul_f32 v2, 0x3e800000, v2 :: v_dual_mul_f32 v3, 0x3e800000, v3
	s_and_not1_b32 s23, s23, exec_lo
; %bb.207:                              ;   in Loop: Header=BB229_129 Depth=1
	s_or_b32 exec_lo, exec_lo, s5
	s_delay_alu instid0(VALU_DEP_1) | instskip(NEXT) | instid1(VALU_DEP_2)
	v_max_f32_e64 v4, |v3|, |v3|
	v_max_f32_e64 v6, |v2|, |v2|
	s_delay_alu instid0(VALU_DEP_1) | instskip(NEXT) | instid1(VALU_DEP_1)
	v_max_f32_e32 v4, v6, v4
	v_cvt_f64_f32_e32 v[30:31], v4
	s_delay_alu instid0(VALU_DEP_1) | instskip(NEXT) | instid1(VALU_DEP_1)
	v_frexp_exp_i32_f64_e32 v6, v[30:31]
	v_sub_nc_u32_e32 v11, 0, v6
	s_delay_alu instid0(VALU_DEP_1) | instskip(SKIP_1) | instid1(VALU_DEP_2)
	v_ldexp_f32 v13, |v3|, v11
	v_ldexp_f32 v11, |v2|, v11
	v_mul_f32_e32 v13, v13, v13
	v_cmp_neq_f32_e64 s5, 0x7f800000, v4
                                        ; implicit-def: $vgpr4
	s_delay_alu instid0(VALU_DEP_2) | instskip(NEXT) | instid1(VALU_DEP_1)
	v_fmac_f32_e32 v13, v11, v11
	v_sqrt_f32_e32 v11, v13
	s_waitcnt_depctr 0xfff
	v_ldexp_f32 v6, v11, v6
	s_delay_alu instid0(VALU_DEP_1)
	v_cndmask_b32_e64 v11, 0x7f800000, v6, s5
                                        ; implicit-def: $vgpr6
	s_mov_b32 s5, exec_lo
	v_cmpx_le_f32_e32 0, v2
	s_xor_b32 s24, exec_lo, s5
	s_cbranch_execz .LBB229_209
; %bb.208:                              ;   in Loop: Header=BB229_129 Depth=1
	v_add_f32_e32 v2, v2, v11
	s_delay_alu instid0(VALU_DEP_1) | instskip(NEXT) | instid1(VALU_DEP_1)
	v_mul_f32_e32 v2, 0.5, v2
	v_mul_f32_e32 v4, 0x4f800000, v2
	v_cmp_gt_f32_e32 vcc_lo, 0xf800000, v2
	s_delay_alu instid0(VALU_DEP_2) | instskip(NEXT) | instid1(VALU_DEP_1)
	v_cndmask_b32_e32 v2, v2, v4, vcc_lo
	v_sqrt_f32_e32 v4, v2
	s_waitcnt_depctr 0xfff
	v_add_nc_u32_e32 v6, -1, v4
	v_add_nc_u32_e32 v11, 1, v4
	s_delay_alu instid0(VALU_DEP_2) | instskip(NEXT) | instid1(VALU_DEP_2)
	v_fma_f32 v13, -v6, v4, v2
	v_fma_f32 v30, -v11, v4, v2
	s_delay_alu instid0(VALU_DEP_2) | instskip(NEXT) | instid1(VALU_DEP_1)
	v_cmp_ge_f32_e64 s5, 0, v13
	v_cndmask_b32_e64 v4, v4, v6, s5
	s_delay_alu instid0(VALU_DEP_3) | instskip(NEXT) | instid1(VALU_DEP_1)
	v_cmp_lt_f32_e64 s5, 0, v30
	v_cndmask_b32_e64 v4, v4, v11, s5
	s_delay_alu instid0(VALU_DEP_1) | instskip(NEXT) | instid1(VALU_DEP_1)
	v_mul_f32_e32 v6, 0x37800000, v4
	v_cndmask_b32_e32 v4, v4, v6, vcc_lo
	v_cmp_class_f32_e64 vcc_lo, v2, 0x260
	s_delay_alu instid0(VALU_DEP_2) | instskip(NEXT) | instid1(VALU_DEP_1)
	v_cndmask_b32_e32 v4, v4, v2, vcc_lo
	v_add_f32_e32 v2, v4, v4
	s_delay_alu instid0(VALU_DEP_1) | instskip(NEXT) | instid1(VALU_DEP_1)
	v_div_scale_f32 v6, null, v2, v2, v3
	v_rcp_f32_e32 v11, v6
	s_waitcnt_depctr 0xfff
	v_fma_f32 v13, -v6, v11, 1.0
	s_delay_alu instid0(VALU_DEP_1) | instskip(SKIP_1) | instid1(VALU_DEP_1)
	v_fmac_f32_e32 v11, v13, v11
	v_div_scale_f32 v13, vcc_lo, v3, v2, v3
	v_mul_f32_e32 v30, v13, v11
	s_delay_alu instid0(VALU_DEP_1) | instskip(NEXT) | instid1(VALU_DEP_1)
	v_fma_f32 v31, -v6, v30, v13
	v_fmac_f32_e32 v30, v31, v11
	s_delay_alu instid0(VALU_DEP_1) | instskip(NEXT) | instid1(VALU_DEP_1)
	v_fma_f32 v6, -v6, v30, v13
	v_div_fmas_f32 v6, v6, v11, v30
                                        ; implicit-def: $vgpr11
	s_delay_alu instid0(VALU_DEP_1)
	v_div_fixup_f32 v6, v6, v2, v3
                                        ; implicit-def: $vgpr2
	s_and_not1_saveexec_b32 s24, s24
	s_cbranch_execz .LBB229_211
	s_branch .LBB229_210
.LBB229_209:                            ;   in Loop: Header=BB229_129 Depth=1
	s_and_not1_saveexec_b32 s24, s24
	s_cbranch_execz .LBB229_211
.LBB229_210:                            ;   in Loop: Header=BB229_129 Depth=1
	v_sub_f32_e32 v2, v11, v2
	s_delay_alu instid0(VALU_DEP_1) | instskip(NEXT) | instid1(VALU_DEP_1)
	v_mul_f32_e32 v2, 0.5, v2
	v_mul_f32_e32 v4, 0x4f800000, v2
	v_cmp_gt_f32_e32 vcc_lo, 0xf800000, v2
	s_delay_alu instid0(VALU_DEP_2) | instskip(NEXT) | instid1(VALU_DEP_1)
	v_cndmask_b32_e32 v2, v2, v4, vcc_lo
	v_sqrt_f32_e32 v4, v2
	s_waitcnt_depctr 0xfff
	v_add_nc_u32_e32 v6, -1, v4
	v_add_nc_u32_e32 v11, 1, v4
	s_delay_alu instid0(VALU_DEP_2) | instskip(NEXT) | instid1(VALU_DEP_2)
	v_fma_f32 v13, -v6, v4, v2
	v_fma_f32 v30, -v11, v4, v2
	s_delay_alu instid0(VALU_DEP_2) | instskip(NEXT) | instid1(VALU_DEP_1)
	v_cmp_ge_f32_e64 s5, 0, v13
	v_cndmask_b32_e64 v4, v4, v6, s5
	s_delay_alu instid0(VALU_DEP_3) | instskip(NEXT) | instid1(VALU_DEP_1)
	v_cmp_lt_f32_e64 s5, 0, v30
	v_cndmask_b32_e64 v4, v4, v11, s5
	s_delay_alu instid0(VALU_DEP_1) | instskip(NEXT) | instid1(VALU_DEP_1)
	v_mul_f32_e32 v6, 0x37800000, v4
	v_cndmask_b32_e32 v4, v4, v6, vcc_lo
	v_cmp_class_f32_e64 vcc_lo, v2, 0x260
	s_delay_alu instid0(VALU_DEP_2) | instskip(SKIP_1) | instid1(VALU_DEP_2)
	v_cndmask_b32_e32 v2, v4, v2, vcc_lo
	v_and_b32_e32 v4, 0x7fffffff, v3
	v_add_f32_e32 v6, v2, v2
	s_delay_alu instid0(VALU_DEP_1) | instskip(SKIP_1) | instid1(VALU_DEP_2)
	v_div_scale_f32 v11, null, v6, v6, v4
	v_div_scale_f32 v4, vcc_lo, v4, v6, v4
	v_rcp_f32_e32 v13, v11
	s_waitcnt_depctr 0xfff
	v_fma_f32 v30, -v11, v13, 1.0
	s_delay_alu instid0(VALU_DEP_1) | instskip(NEXT) | instid1(VALU_DEP_1)
	v_fmac_f32_e32 v13, v30, v13
	v_mul_f32_e32 v30, v4, v13
	s_delay_alu instid0(VALU_DEP_1) | instskip(NEXT) | instid1(VALU_DEP_1)
	v_fma_f32 v31, -v11, v30, v4
	v_fmac_f32_e32 v30, v31, v13
	s_delay_alu instid0(VALU_DEP_1) | instskip(NEXT) | instid1(VALU_DEP_1)
	v_fma_f32 v4, -v11, v30, v4
	v_div_fmas_f32 v4, v4, v13, v30
	s_delay_alu instid0(VALU_DEP_1)
	v_div_fixup_f32 v4, v4, v6, |v3|
	v_bfi_b32 v6, 0x7fffffff, v2, v3
.LBB229_211:                            ;   in Loop: Header=BB229_129 Depth=1
	s_or_b32 exec_lo, exec_lo, s24
                                        ; implicit-def: $vgpr3
	s_and_saveexec_b32 s5, s4
	s_delay_alu instid0(SALU_CYCLE_1)
	s_xor_b32 s4, exec_lo, s5
	s_cbranch_execz .LBB229_213
; %bb.212:                              ;   in Loop: Header=BB229_129 Depth=1
	v_dual_mul_f32 v2, 0.5, v4 :: v_dual_mul_f32 v3, 0.5, v6
	s_delay_alu instid0(VALU_DEP_1) | instskip(NEXT) | instid1(VALU_DEP_2)
	v_cndmask_b32_e64 v2, v4, v2, s23
	v_cndmask_b32_e64 v3, v6, v3, s23
                                        ; implicit-def: $vgpr4
                                        ; implicit-def: $vgpr6
	s_and_not1_saveexec_b32 s4, s4
	s_cbranch_execnz .LBB229_214
	s_branch .LBB229_215
.LBB229_213:                            ;   in Loop: Header=BB229_129 Depth=1
	s_and_not1_saveexec_b32 s4, s4
.LBB229_214:                            ;   in Loop: Header=BB229_129 Depth=1
	v_dual_add_f32 v2, v4, v4 :: v_dual_add_f32 v3, v6, v6
.LBB229_215:                            ;   in Loop: Header=BB229_129 Depth=1
	s_or_b32 exec_lo, exec_lo, s4
.LBB229_216:                            ;   in Loop: Header=BB229_129 Depth=1
	s_and_not1_saveexec_b32 s4, s22
	s_cbranch_execz .LBB229_222
; %bb.217:                              ;   in Loop: Header=BB229_129 Depth=1
	s_delay_alu instid0(VALU_DEP_1)
	v_sub_f32_e32 v4, v3, v3
	s_mov_b32 s5, exec_lo
	v_cmpx_lt_i32_e32 -1, v2
	s_xor_b32 s5, exec_lo, s5
; %bb.218:                              ;   in Loop: Header=BB229_129 Depth=1
	s_delay_alu instid0(VALU_DEP_2)
	v_bfi_b32 v3, 0x7fffffff, v4, v3
                                        ; implicit-def: $vgpr4
; %bb.219:                              ;   in Loop: Header=BB229_129 Depth=1
	s_and_not1_saveexec_b32 s5, s5
; %bb.220:                              ;   in Loop: Header=BB229_129 Depth=1
	v_and_b32_e32 v4, 0x7fffffff, v4
	s_delay_alu instid0(VALU_DEP_2) | instskip(NEXT) | instid1(VALU_DEP_2)
	v_bfi_b32 v3, 0x7fffffff, v2, v3
	v_mov_b32_e32 v2, v4
; %bb.221:                              ;   in Loop: Header=BB229_129 Depth=1
	s_or_b32 exec_lo, exec_lo, s5
.LBB229_222:                            ;   in Loop: Header=BB229_129 Depth=1
	s_delay_alu instid0(SALU_CYCLE_1)
	s_or_b32 exec_lo, exec_lo, s4
.LBB229_223:                            ;   in Loop: Header=BB229_129 Depth=1
	s_and_not1_saveexec_b32 s4, s21
; %bb.224:                              ;   in Loop: Header=BB229_129 Depth=1
	v_sub_f32_e32 v3, v3, v3
	s_delay_alu instid0(VALU_DEP_1) | instskip(NEXT) | instid1(VALU_DEP_1)
	v_div_scale_f32 v4, vcc_lo, v3, v3, v3
	v_rcp_f32_e32 v6, v4
	s_waitcnt_depctr 0xfff
	v_fma_f32 v11, -v4, v6, 1.0
	s_delay_alu instid0(VALU_DEP_1) | instskip(NEXT) | instid1(VALU_DEP_1)
	v_fmac_f32_e32 v6, v11, v6
	v_mul_f32_e32 v11, v4, v6
	s_delay_alu instid0(VALU_DEP_1) | instskip(NEXT) | instid1(VALU_DEP_1)
	v_fma_f32 v13, -v4, v11, v4
	v_fmac_f32_e32 v11, v13, v6
	s_delay_alu instid0(VALU_DEP_1) | instskip(NEXT) | instid1(VALU_DEP_1)
	v_fma_f32 v4, -v4, v11, v4
	v_div_fmas_f32 v4, v4, v6, v11
	s_delay_alu instid0(VALU_DEP_1)
	v_div_fixup_f32 v3, v4, v3, v3
; %bb.225:                              ;   in Loop: Header=BB229_129 Depth=1
	s_or_b32 exec_lo, exec_lo, s4
	v_mov_b32_e32 v4, v2
.LBB229_226:                            ;   in Loop: Header=BB229_129 Depth=1
	s_or_b32 exec_lo, exec_lo, s20
.LBB229_227:                            ;   in Loop: Header=BB229_129 Depth=1
	s_delay_alu instid0(SALU_CYCLE_1) | instskip(SKIP_3) | instid1(VALU_DEP_2)
	s_or_b32 exec_lo, exec_lo, s11
	v_cmp_neq_f32_e32 vcc_lo, 0, v8
	v_cmp_neq_f32_e64 s4, 0, v9
	v_mov_b32_e32 v2, 0
	s_or_b32 s4, vcc_lo, s4
	s_delay_alu instid0(SALU_CYCLE_1)
	s_and_saveexec_b32 s11, s4
	s_cbranch_execz .LBB229_239
; %bb.228:                              ;   in Loop: Header=BB229_129 Depth=1
	v_mov_b32_e32 v2, 0x7f800000
	s_mov_b32 s20, exec_lo
	v_cmpx_neq_f32_e64 0x7f800000, |v9|
	s_cbranch_execz .LBB229_260
; %bb.229:                              ;   in Loop: Header=BB229_129 Depth=1
	s_mov_b32 s4, exec_lo
	v_cmpx_o_f32_e32 v8, v8
	s_xor_b32 s21, exec_lo, s4
	s_cbranch_execz .LBB229_257
; %bb.230:                              ;   in Loop: Header=BB229_129 Depth=1
	s_mov_b32 s5, exec_lo
	v_cmpx_neq_f32_e64 0x7f800000, |v8|
	s_xor_b32 s22, exec_lo, s5
	s_cbranch_execz .LBB229_250
; %bb.231:                              ;   in Loop: Header=BB229_129 Depth=1
	v_max_f32_e64 v2, |v8|, |v8|
	v_max_f32_e64 v6, |v9|, |v9|
                                        ; implicit-def: $sgpr23
	s_delay_alu instid0(VALU_DEP_1) | instskip(NEXT) | instid1(VALU_DEP_1)
	v_max_f32_e32 v2, v6, v2
	v_cmp_nle_f32_e64 s4, 0x7ed413cb, v2
	s_delay_alu instid0(VALU_DEP_1) | instskip(NEXT) | instid1(SALU_CYCLE_1)
	s_and_saveexec_b32 s5, s4
	s_xor_b32 s5, exec_lo, s5
	s_cbranch_execz .LBB229_235
; %bb.232:                              ;   in Loop: Header=BB229_129 Depth=1
	v_cmp_ge_f32_e64 s23, 0x1000000, |v8|
	v_cmp_ge_f32_e64 s24, 0x1000000, |v9|
	s_delay_alu instid0(VALU_DEP_1)
	s_and_b32 s25, s24, s23
	s_mov_b32 s23, 0
	s_and_saveexec_b32 s24, s25
; %bb.233:                              ;   in Loop: Header=BB229_129 Depth=1
	v_dual_mul_f32 v8, 4.0, v8 :: v_dual_mul_f32 v9, 4.0, v9
	s_mov_b32 s23, exec_lo
; %bb.234:                              ;   in Loop: Header=BB229_129 Depth=1
	s_or_b32 exec_lo, exec_lo, s24
	s_delay_alu instid0(SALU_CYCLE_1)
	s_and_b32 s23, s23, exec_lo
.LBB229_235:                            ;   in Loop: Header=BB229_129 Depth=1
	s_and_not1_saveexec_b32 s5, s5
; %bb.236:                              ;   in Loop: Header=BB229_129 Depth=1
	v_dual_mul_f32 v8, 0x3e800000, v8 :: v_dual_mul_f32 v9, 0x3e800000, v9
	s_and_not1_b32 s23, s23, exec_lo
; %bb.237:                              ;   in Loop: Header=BB229_129 Depth=1
	s_or_b32 exec_lo, exec_lo, s5
	s_delay_alu instid0(VALU_DEP_1) | instskip(NEXT) | instid1(VALU_DEP_2)
	v_max_f32_e64 v2, |v9|, |v9|
	v_max_f32_e64 v6, |v8|, |v8|
	s_delay_alu instid0(VALU_DEP_1) | instskip(NEXT) | instid1(VALU_DEP_1)
	v_max_f32_e32 v2, v6, v2
	v_cvt_f64_f32_e32 v[30:31], v2
	s_delay_alu instid0(VALU_DEP_1) | instskip(NEXT) | instid1(VALU_DEP_1)
	v_frexp_exp_i32_f64_e32 v6, v[30:31]
	v_sub_nc_u32_e32 v11, 0, v6
	s_delay_alu instid0(VALU_DEP_1) | instskip(SKIP_1) | instid1(VALU_DEP_2)
	v_ldexp_f32 v13, |v9|, v11
	v_ldexp_f32 v11, |v8|, v11
	v_mul_f32_e32 v13, v13, v13
	v_cmp_neq_f32_e64 s5, 0x7f800000, v2
                                        ; implicit-def: $vgpr2
	s_delay_alu instid0(VALU_DEP_2) | instskip(NEXT) | instid1(VALU_DEP_1)
	v_fmac_f32_e32 v13, v11, v11
	v_sqrt_f32_e32 v11, v13
	s_waitcnt_depctr 0xfff
	v_ldexp_f32 v6, v11, v6
	s_delay_alu instid0(VALU_DEP_1)
	v_cndmask_b32_e64 v11, 0x7f800000, v6, s5
                                        ; implicit-def: $vgpr6
	s_mov_b32 s5, exec_lo
	v_cmpx_le_f32_e32 0, v8
	s_xor_b32 s24, exec_lo, s5
	s_cbranch_execz .LBB229_243
; %bb.238:                              ;   in Loop: Header=BB229_129 Depth=1
	v_add_f32_e32 v2, v8, v11
	s_delay_alu instid0(VALU_DEP_1) | instskip(NEXT) | instid1(VALU_DEP_1)
	v_mul_f32_e32 v2, 0.5, v2
	v_mul_f32_e32 v6, 0x4f800000, v2
	v_cmp_gt_f32_e32 vcc_lo, 0xf800000, v2
	s_delay_alu instid0(VALU_DEP_2) | instskip(NEXT) | instid1(VALU_DEP_1)
	v_cndmask_b32_e32 v2, v2, v6, vcc_lo
	v_sqrt_f32_e32 v6, v2
	s_waitcnt_depctr 0xfff
	v_add_nc_u32_e32 v8, -1, v6
	v_add_nc_u32_e32 v11, 1, v6
	s_delay_alu instid0(VALU_DEP_2) | instskip(NEXT) | instid1(VALU_DEP_2)
	v_fma_f32 v13, -v8, v6, v2
	v_fma_f32 v30, -v11, v6, v2
	s_delay_alu instid0(VALU_DEP_2) | instskip(NEXT) | instid1(VALU_DEP_1)
	v_cmp_ge_f32_e64 s5, 0, v13
	v_cndmask_b32_e64 v6, v6, v8, s5
	s_delay_alu instid0(VALU_DEP_3) | instskip(NEXT) | instid1(VALU_DEP_1)
	v_cmp_lt_f32_e64 s5, 0, v30
	v_cndmask_b32_e64 v6, v6, v11, s5
	s_delay_alu instid0(VALU_DEP_1) | instskip(NEXT) | instid1(VALU_DEP_1)
	v_mul_f32_e32 v8, 0x37800000, v6
	v_cndmask_b32_e32 v6, v6, v8, vcc_lo
	v_cmp_class_f32_e64 vcc_lo, v2, 0x260
	s_delay_alu instid0(VALU_DEP_2) | instskip(NEXT) | instid1(VALU_DEP_1)
	v_cndmask_b32_e32 v2, v6, v2, vcc_lo
	v_add_f32_e32 v6, v2, v2
	s_delay_alu instid0(VALU_DEP_1) | instskip(NEXT) | instid1(VALU_DEP_1)
	v_div_scale_f32 v8, null, v6, v6, v9
	v_rcp_f32_e32 v11, v8
	s_waitcnt_depctr 0xfff
	v_fma_f32 v13, -v8, v11, 1.0
	s_delay_alu instid0(VALU_DEP_1) | instskip(SKIP_1) | instid1(VALU_DEP_1)
	v_fmac_f32_e32 v11, v13, v11
	v_div_scale_f32 v13, vcc_lo, v9, v6, v9
	v_mul_f32_e32 v30, v13, v11
	s_delay_alu instid0(VALU_DEP_1) | instskip(NEXT) | instid1(VALU_DEP_1)
	v_fma_f32 v31, -v8, v30, v13
	v_fmac_f32_e32 v30, v31, v11
	s_delay_alu instid0(VALU_DEP_1) | instskip(NEXT) | instid1(VALU_DEP_1)
	v_fma_f32 v8, -v8, v30, v13
	v_div_fmas_f32 v8, v8, v11, v30
                                        ; implicit-def: $vgpr11
	s_delay_alu instid0(VALU_DEP_1)
	v_div_fixup_f32 v6, v8, v6, v9
                                        ; implicit-def: $vgpr8
	s_and_not1_saveexec_b32 s24, s24
	s_cbranch_execz .LBB229_245
	s_branch .LBB229_244
.LBB229_239:                            ;   in Loop: Header=BB229_129 Depth=1
	s_or_b32 exec_lo, exec_lo, s11
	s_and_saveexec_b32 s4, s0
	s_delay_alu instid0(SALU_CYCLE_1)
	s_xor_b32 s0, exec_lo, s4
	s_cbranch_execz .LBB229_261
.LBB229_240:                            ;   in Loop: Header=BB229_129 Depth=1
	v_add_co_u32 v30, vcc_lo, v16, s6
	v_add_co_ci_u32_e32 v31, vcc_lo, s7, v17, vcc_lo
	v_mov_b32_e32 v11, v5
	global_store_b64 v[30:31], v[10:11], off offset:-4
	s_or_b32 exec_lo, exec_lo, s0
	s_and_saveexec_b32 s0, s1
	s_cbranch_execnz .LBB229_262
.LBB229_241:                            ;   in Loop: Header=BB229_129 Depth=1
	s_or_b32 exec_lo, exec_lo, s0
	s_and_saveexec_b32 s0, s2
	s_cbranch_execz .LBB229_263
.LBB229_242:                            ;   in Loop: Header=BB229_129 Depth=1
	v_add_co_u32 v6, vcc_lo, v28, s6
	v_add_co_ci_u32_e32 v7, vcc_lo, s7, v29, vcc_lo
	v_mov_b32_e32 v5, v3
	global_store_b64 v[6:7], v[4:5], off offset:-4
	s_or_b32 exec_lo, exec_lo, s0
	s_and_saveexec_b32 s0, s3
	s_cbranch_execz .LBB229_128
	s_branch .LBB229_264
.LBB229_243:                            ;   in Loop: Header=BB229_129 Depth=1
	s_and_not1_saveexec_b32 s24, s24
	s_cbranch_execz .LBB229_245
.LBB229_244:                            ;   in Loop: Header=BB229_129 Depth=1
	v_sub_f32_e32 v2, v11, v8
	s_delay_alu instid0(VALU_DEP_1) | instskip(NEXT) | instid1(VALU_DEP_1)
	v_mul_f32_e32 v2, 0.5, v2
	v_mul_f32_e32 v6, 0x4f800000, v2
	v_cmp_gt_f32_e32 vcc_lo, 0xf800000, v2
	s_delay_alu instid0(VALU_DEP_2) | instskip(NEXT) | instid1(VALU_DEP_1)
	v_cndmask_b32_e32 v2, v2, v6, vcc_lo
	v_sqrt_f32_e32 v6, v2
	s_waitcnt_depctr 0xfff
	v_add_nc_u32_e32 v8, -1, v6
	v_add_nc_u32_e32 v11, 1, v6
	s_delay_alu instid0(VALU_DEP_2) | instskip(NEXT) | instid1(VALU_DEP_2)
	v_fma_f32 v13, -v8, v6, v2
	v_fma_f32 v30, -v11, v6, v2
	s_delay_alu instid0(VALU_DEP_2) | instskip(NEXT) | instid1(VALU_DEP_1)
	v_cmp_ge_f32_e64 s5, 0, v13
	v_cndmask_b32_e64 v6, v6, v8, s5
	s_delay_alu instid0(VALU_DEP_3) | instskip(NEXT) | instid1(VALU_DEP_1)
	v_cmp_lt_f32_e64 s5, 0, v30
	v_cndmask_b32_e64 v6, v6, v11, s5
	s_delay_alu instid0(VALU_DEP_1) | instskip(NEXT) | instid1(VALU_DEP_1)
	v_mul_f32_e32 v8, 0x37800000, v6
	v_cndmask_b32_e32 v6, v6, v8, vcc_lo
	v_cmp_class_f32_e64 vcc_lo, v2, 0x260
	s_delay_alu instid0(VALU_DEP_2) | instskip(SKIP_1) | instid1(VALU_DEP_2)
	v_cndmask_b32_e32 v6, v6, v2, vcc_lo
	v_and_b32_e32 v2, 0x7fffffff, v9
	v_add_f32_e32 v8, v6, v6
	v_bfi_b32 v6, 0x7fffffff, v6, v9
	s_delay_alu instid0(VALU_DEP_2) | instskip(SKIP_1) | instid1(VALU_DEP_2)
	v_div_scale_f32 v11, null, v8, v8, v2
	v_div_scale_f32 v2, vcc_lo, v2, v8, v2
	v_rcp_f32_e32 v13, v11
	s_waitcnt_depctr 0xfff
	v_fma_f32 v30, -v11, v13, 1.0
	s_delay_alu instid0(VALU_DEP_1) | instskip(NEXT) | instid1(VALU_DEP_1)
	v_fmac_f32_e32 v13, v30, v13
	v_mul_f32_e32 v30, v2, v13
	s_delay_alu instid0(VALU_DEP_1) | instskip(NEXT) | instid1(VALU_DEP_1)
	v_fma_f32 v31, -v11, v30, v2
	v_fmac_f32_e32 v30, v31, v13
	s_delay_alu instid0(VALU_DEP_1) | instskip(NEXT) | instid1(VALU_DEP_1)
	v_fma_f32 v2, -v11, v30, v2
	v_div_fmas_f32 v2, v2, v13, v30
	s_delay_alu instid0(VALU_DEP_1)
	v_div_fixup_f32 v2, v2, v8, |v9|
.LBB229_245:                            ;   in Loop: Header=BB229_129 Depth=1
	s_or_b32 exec_lo, exec_lo, s24
                                        ; implicit-def: $vgpr9
	s_and_saveexec_b32 s5, s4
	s_delay_alu instid0(SALU_CYCLE_1)
	s_xor_b32 s4, exec_lo, s5
	s_cbranch_execz .LBB229_247
; %bb.246:                              ;   in Loop: Header=BB229_129 Depth=1
	v_mul_f32_e32 v8, 0.5, v2
	v_mul_f32_e32 v9, 0.5, v6
	s_delay_alu instid0(VALU_DEP_2) | instskip(NEXT) | instid1(VALU_DEP_2)
	v_cndmask_b32_e64 v8, v2, v8, s23
	v_cndmask_b32_e64 v9, v6, v9, s23
                                        ; implicit-def: $vgpr2
                                        ; implicit-def: $vgpr6
	s_and_not1_saveexec_b32 s4, s4
	s_cbranch_execnz .LBB229_248
	s_branch .LBB229_249
.LBB229_247:                            ;   in Loop: Header=BB229_129 Depth=1
	s_and_not1_saveexec_b32 s4, s4
.LBB229_248:                            ;   in Loop: Header=BB229_129 Depth=1
	v_add_f32_e32 v8, v2, v2
	v_add_f32_e32 v9, v6, v6
.LBB229_249:                            ;   in Loop: Header=BB229_129 Depth=1
	s_or_b32 exec_lo, exec_lo, s4
.LBB229_250:                            ;   in Loop: Header=BB229_129 Depth=1
	s_and_not1_saveexec_b32 s4, s22
	s_cbranch_execz .LBB229_256
; %bb.251:                              ;   in Loop: Header=BB229_129 Depth=1
	s_delay_alu instid0(VALU_DEP_1)
	v_sub_f32_e32 v2, v9, v9
	s_mov_b32 s5, exec_lo
	v_cmpx_lt_i32_e32 -1, v8
	s_xor_b32 s5, exec_lo, s5
; %bb.252:                              ;   in Loop: Header=BB229_129 Depth=1
	s_delay_alu instid0(VALU_DEP_2)
	v_bfi_b32 v9, 0x7fffffff, v2, v9
                                        ; implicit-def: $vgpr2
; %bb.253:                              ;   in Loop: Header=BB229_129 Depth=1
	s_and_not1_saveexec_b32 s5, s5
; %bb.254:                              ;   in Loop: Header=BB229_129 Depth=1
	v_and_b32_e32 v2, 0x7fffffff, v2
	s_delay_alu instid0(VALU_DEP_2) | instskip(NEXT) | instid1(VALU_DEP_2)
	v_bfi_b32 v9, 0x7fffffff, v8, v9
	v_mov_b32_e32 v8, v2
; %bb.255:                              ;   in Loop: Header=BB229_129 Depth=1
	s_or_b32 exec_lo, exec_lo, s5
.LBB229_256:                            ;   in Loop: Header=BB229_129 Depth=1
	s_delay_alu instid0(SALU_CYCLE_1)
	s_or_b32 exec_lo, exec_lo, s4
.LBB229_257:                            ;   in Loop: Header=BB229_129 Depth=1
	s_and_not1_saveexec_b32 s4, s21
; %bb.258:                              ;   in Loop: Header=BB229_129 Depth=1
	v_sub_f32_e32 v2, v9, v9
	s_delay_alu instid0(VALU_DEP_1) | instskip(NEXT) | instid1(VALU_DEP_1)
	v_div_scale_f32 v6, vcc_lo, v2, v2, v2
	v_rcp_f32_e32 v9, v6
	s_waitcnt_depctr 0xfff
	v_fma_f32 v11, -v6, v9, 1.0
	s_delay_alu instid0(VALU_DEP_1) | instskip(NEXT) | instid1(VALU_DEP_1)
	v_fmac_f32_e32 v9, v11, v9
	v_mul_f32_e32 v11, v6, v9
	s_delay_alu instid0(VALU_DEP_1) | instskip(NEXT) | instid1(VALU_DEP_1)
	v_fma_f32 v13, -v6, v11, v6
	v_fmac_f32_e32 v11, v13, v9
	s_delay_alu instid0(VALU_DEP_1) | instskip(NEXT) | instid1(VALU_DEP_1)
	v_fma_f32 v6, -v6, v11, v6
	v_div_fmas_f32 v6, v6, v9, v11
	s_delay_alu instid0(VALU_DEP_1)
	v_div_fixup_f32 v9, v6, v2, v2
; %bb.259:                              ;   in Loop: Header=BB229_129 Depth=1
	s_or_b32 exec_lo, exec_lo, s4
	v_mov_b32_e32 v2, v8
.LBB229_260:                            ;   in Loop: Header=BB229_129 Depth=1
	s_or_b32 exec_lo, exec_lo, s20
	s_delay_alu instid0(SALU_CYCLE_1) | instskip(SKIP_1) | instid1(SALU_CYCLE_1)
	s_or_b32 exec_lo, exec_lo, s11
	s_and_saveexec_b32 s4, s0
	s_xor_b32 s0, exec_lo, s4
	s_cbranch_execnz .LBB229_240
.LBB229_261:                            ;   in Loop: Header=BB229_129 Depth=1
	s_or_b32 exec_lo, exec_lo, s0
	s_and_saveexec_b32 s0, s1
	s_cbranch_execz .LBB229_241
.LBB229_262:                            ;   in Loop: Header=BB229_129 Depth=1
	v_add_co_u32 v5, vcc_lo, v18, s6
	v_add_co_ci_u32_e32 v6, vcc_lo, s7, v19, vcc_lo
	v_mov_b32_e32 v13, v7
	global_store_b64 v[5:6], v[12:13], off
	s_or_b32 exec_lo, exec_lo, s0
	s_and_saveexec_b32 s0, s2
	s_cbranch_execnz .LBB229_242
.LBB229_263:                            ;   in Loop: Header=BB229_129 Depth=1
	s_or_b32 exec_lo, exec_lo, s0
	s_and_saveexec_b32 s0, s3
	s_cbranch_execz .LBB229_128
.LBB229_264:                            ;   in Loop: Header=BB229_129 Depth=1
	v_add_co_u32 v4, vcc_lo, v24, s6
	v_add_co_ci_u32_e32 v5, vcc_lo, s7, v25, vcc_lo
	v_mov_b32_e32 v3, v9
	global_store_b64 v[4:5], v[2:3], off offset:-4
	s_branch .LBB229_128
.LBB229_265:
	s_nop 0
	s_sendmsg sendmsg(MSG_DEALLOC_VGPRS)
	s_endpgm
	.section	.rodata,"a",@progbits
	.p2align	6, 0x0
	.amdhsa_kernel _ZN2at6native12_GLOBAL__N_125multi_tensor_apply_kernelINS1_18TensorListMetadataILi2EEENS1_14UnaryOpFunctorIN3c107complexIfEELi2ELi1ELi1EEEJNS0_4SqrtIS8_EEEEEvT_T0_DpT1_
		.amdhsa_group_segment_fixed_size 0
		.amdhsa_private_segment_fixed_size 0
		.amdhsa_kernarg_size 3408
		.amdhsa_user_sgpr_count 15
		.amdhsa_user_sgpr_dispatch_ptr 0
		.amdhsa_user_sgpr_queue_ptr 0
		.amdhsa_user_sgpr_kernarg_segment_ptr 1
		.amdhsa_user_sgpr_dispatch_id 0
		.amdhsa_user_sgpr_private_segment_size 0
		.amdhsa_wavefront_size32 1
		.amdhsa_uses_dynamic_stack 0
		.amdhsa_enable_private_segment 0
		.amdhsa_system_sgpr_workgroup_id_x 1
		.amdhsa_system_sgpr_workgroup_id_y 0
		.amdhsa_system_sgpr_workgroup_id_z 0
		.amdhsa_system_sgpr_workgroup_info 0
		.amdhsa_system_vgpr_workitem_id 0
		.amdhsa_next_free_vgpr 33
		.amdhsa_next_free_sgpr 27
		.amdhsa_reserve_vcc 1
		.amdhsa_float_round_mode_32 0
		.amdhsa_float_round_mode_16_64 0
		.amdhsa_float_denorm_mode_32 3
		.amdhsa_float_denorm_mode_16_64 3
		.amdhsa_dx10_clamp 1
		.amdhsa_ieee_mode 1
		.amdhsa_fp16_overflow 0
		.amdhsa_workgroup_processor_mode 1
		.amdhsa_memory_ordered 1
		.amdhsa_forward_progress 0
		.amdhsa_shared_vgpr_count 0
		.amdhsa_exception_fp_ieee_invalid_op 0
		.amdhsa_exception_fp_denorm_src 0
		.amdhsa_exception_fp_ieee_div_zero 0
		.amdhsa_exception_fp_ieee_overflow 0
		.amdhsa_exception_fp_ieee_underflow 0
		.amdhsa_exception_fp_ieee_inexact 0
		.amdhsa_exception_int_div_zero 0
	.end_amdhsa_kernel
	.section	.text._ZN2at6native12_GLOBAL__N_125multi_tensor_apply_kernelINS1_18TensorListMetadataILi2EEENS1_14UnaryOpFunctorIN3c107complexIfEELi2ELi1ELi1EEEJNS0_4SqrtIS8_EEEEEvT_T0_DpT1_,"axG",@progbits,_ZN2at6native12_GLOBAL__N_125multi_tensor_apply_kernelINS1_18TensorListMetadataILi2EEENS1_14UnaryOpFunctorIN3c107complexIfEELi2ELi1ELi1EEEJNS0_4SqrtIS8_EEEEEvT_T0_DpT1_,comdat
.Lfunc_end229:
	.size	_ZN2at6native12_GLOBAL__N_125multi_tensor_apply_kernelINS1_18TensorListMetadataILi2EEENS1_14UnaryOpFunctorIN3c107complexIfEELi2ELi1ELi1EEEJNS0_4SqrtIS8_EEEEEvT_T0_DpT1_, .Lfunc_end229-_ZN2at6native12_GLOBAL__N_125multi_tensor_apply_kernelINS1_18TensorListMetadataILi2EEENS1_14UnaryOpFunctorIN3c107complexIfEELi2ELi1ELi1EEEJNS0_4SqrtIS8_EEEEEvT_T0_DpT1_
                                        ; -- End function
	.section	.AMDGPU.csdata,"",@progbits
; Kernel info:
; codeLenInByte = 10980
; NumSgprs: 29
; NumVgprs: 33
; ScratchSize: 0
; MemoryBound: 0
; FloatMode: 240
; IeeeMode: 1
; LDSByteSize: 0 bytes/workgroup (compile time only)
; SGPRBlocks: 3
; VGPRBlocks: 4
; NumSGPRsForWavesPerEU: 29
; NumVGPRsForWavesPerEU: 33
; Occupancy: 16
; WaveLimiterHint : 0
; COMPUTE_PGM_RSRC2:SCRATCH_EN: 0
; COMPUTE_PGM_RSRC2:USER_SGPR: 15
; COMPUTE_PGM_RSRC2:TRAP_HANDLER: 0
; COMPUTE_PGM_RSRC2:TGID_X_EN: 1
; COMPUTE_PGM_RSRC2:TGID_Y_EN: 0
; COMPUTE_PGM_RSRC2:TGID_Z_EN: 0
; COMPUTE_PGM_RSRC2:TIDIG_COMP_CNT: 0
	.section	.text._ZN2at6native12_GLOBAL__N_125multi_tensor_apply_kernelINS1_18TensorListMetadataILi2EEENS1_14UnaryOpFunctorIN3c104HalfELi2ELi1ELi1EEEJNS0_4SqrtIfEEEEEvT_T0_DpT1_,"axG",@progbits,_ZN2at6native12_GLOBAL__N_125multi_tensor_apply_kernelINS1_18TensorListMetadataILi2EEENS1_14UnaryOpFunctorIN3c104HalfELi2ELi1ELi1EEEJNS0_4SqrtIfEEEEEvT_T0_DpT1_,comdat
	.globl	_ZN2at6native12_GLOBAL__N_125multi_tensor_apply_kernelINS1_18TensorListMetadataILi2EEENS1_14UnaryOpFunctorIN3c104HalfELi2ELi1ELi1EEEJNS0_4SqrtIfEEEEEvT_T0_DpT1_ ; -- Begin function _ZN2at6native12_GLOBAL__N_125multi_tensor_apply_kernelINS1_18TensorListMetadataILi2EEENS1_14UnaryOpFunctorIN3c104HalfELi2ELi1ELi1EEEJNS0_4SqrtIfEEEEEvT_T0_DpT1_
	.p2align	8
	.type	_ZN2at6native12_GLOBAL__N_125multi_tensor_apply_kernelINS1_18TensorListMetadataILi2EEENS1_14UnaryOpFunctorIN3c104HalfELi2ELi1ELi1EEEJNS0_4SqrtIfEEEEEvT_T0_DpT1_,@function
_ZN2at6native12_GLOBAL__N_125multi_tensor_apply_kernelINS1_18TensorListMetadataILi2EEENS1_14UnaryOpFunctorIN3c104HalfELi2ELi1ELi1EEEJNS0_4SqrtIfEEEEEvT_T0_DpT1_: ; @_ZN2at6native12_GLOBAL__N_125multi_tensor_apply_kernelINS1_18TensorListMetadataILi2EEENS1_14UnaryOpFunctorIN3c104HalfELi2ELi1ELi1EEEJNS0_4SqrtIfEEEEEvT_T0_DpT1_
; %bb.0:
	v_mov_b32_e32 v1, s15
	s_add_u32 s2, s0, s15
	s_mul_hi_u32 s3, s15, 3
	s_mul_i32 s15, s15, 3
	s_addc_u32 s4, s1, 0
	global_load_u8 v1, v1, s[0:1] offset:1536
	s_add_u32 s2, s2, s15
	s_addc_u32 s3, s4, s3
	s_mov_b32 s19, 0
	s_load_b32 s2, s[2:3], 0x740
	s_mov_b32 s21, s19
	s_mov_b32 s23, s19
	s_waitcnt vmcnt(0)
	v_readfirstlane_b32 s5, v1
	s_delay_alu instid0(VALU_DEP_1)
	s_lshl_b32 s3, s5, 3
	s_clause 0x2
	s_load_b64 s[10:11], s[0:1], s3 offset:0x0
	s_load_b64 s[12:13], s[0:1], s3 offset:0x200
	s_load_b64 s[8:9], s[0:1], s3 offset:0x400
	s_waitcnt lgkmcnt(0)
	s_ashr_i32 s3, s2, 31
	s_delay_alu instid0(SALU_CYCLE_1) | instskip(NEXT) | instid1(SALU_CYCLE_1)
	s_lshl_b64 s[6:7], s[2:3], 17
	s_add_u32 s5, s10, s6
	s_addc_u32 s14, s11, s7
	s_and_b32 s18, s5, 7
	s_add_u32 s15, s12, s6
	s_addc_u32 s16, s13, s7
	s_and_b32 s20, s8, 3
	s_and_b32 s22, s15, 7
	s_or_b64 s[18:19], s[18:19], s[20:21]
	s_lshl_b64 s[2:3], s[2:3], 16
	s_or_b64 s[18:19], s[22:23], s[18:19]
	s_sub_u32 s8, s8, s2
	s_subb_u32 s9, s9, s3
	s_cmp_eq_u64 s[18:19], 0
	s_mov_b32 s2, -1
	s_cbranch_scc0 .LBB230_5
; %bb.1:
	v_dual_mov_b32 v2, 0 :: v_dual_lshlrev_b32 v1, 2, v0
	s_mov_b32 s17, exec_lo
	s_delay_alu instid0(VALU_DEP_1)
	v_cmpx_gt_i64_e64 s[8:9], v[1:2]
	s_cbranch_execz .LBB230_4
; %bb.2:
	s_load_b32 s2, s[0:1], 0xc5c
	v_lshlrev_b32_e32 v3, 3, v0
	s_mov_b32 s18, 0
	s_waitcnt lgkmcnt(0)
	s_and_b32 s2, s2, 0xffff
	s_delay_alu instid0(SALU_CYCLE_1)
	v_add_lshl_u32 v1, v0, s2, 2
	s_lshl_b32 s19, s2, 2
	s_lshl_b32 s20, s2, 3
.LBB230_3:                              ; =>This Inner Loop Header: Depth=1
	v_add_co_u32 v4, s2, s5, v3
	s_delay_alu instid0(VALU_DEP_1)
	v_add_co_ci_u32_e64 v5, null, s14, 0, s2
	v_cmp_le_i64_e32 vcc_lo, s[8:9], v[1:2]
	v_cmp_lt_u64_e64 s2, 0xffff, v[1:2]
	v_add_co_u32 v6, s3, s15, v3
	global_load_b64 v[4:5], v[4:5], off
	v_add_co_ci_u32_e64 v7, null, s16, 0, s3
	s_or_b32 s21, vcc_lo, s2
	v_add_co_u32 v1, s3, v1, s19
	s_delay_alu instid0(VALU_DEP_1)
	v_add_co_ci_u32_e64 v2, s3, 0, v2, s3
	s_add_u32 s5, s5, s20
	s_addc_u32 s14, s14, 0
	s_add_u32 s15, s15, s20
	s_addc_u32 s16, s16, 0
	s_waitcnt vmcnt(0)
	v_cvt_f32_f16_e32 v8, v4
	v_cvt_f32_f16_e32 v9, v5
	v_lshrrev_b32_e32 v4, 16, v4
	v_lshrrev_b32_e32 v5, 16, v5
	s_delay_alu instid0(VALU_DEP_3) | instskip(SKIP_1) | instid1(VALU_DEP_4)
	v_dual_mul_f32 v10, 0x4f800000, v8 :: v_dual_mul_f32 v11, 0x4f800000, v9
	v_cmp_gt_f32_e64 s2, 0xf800000, v8
	v_cvt_f32_f16_e32 v4, v4
	v_cmp_gt_f32_e32 vcc_lo, 0xf800000, v9
	v_cvt_f32_f16_e32 v5, v5
	s_delay_alu instid0(VALU_DEP_4) | instskip(NEXT) | instid1(VALU_DEP_4)
	v_cndmask_b32_e64 v8, v8, v10, s2
	v_dual_mul_f32 v10, 0x4f800000, v4 :: v_dual_cndmask_b32 v9, v9, v11
	s_delay_alu instid0(VALU_DEP_3) | instskip(SKIP_1) | instid1(VALU_DEP_4)
	v_cmp_gt_f32_e64 s3, 0xf800000, v5
	v_cmp_gt_f32_e64 s4, 0xf800000, v4
	v_rsq_f32_e32 v12, v8
	v_mul_f32_e32 v11, 0x4f800000, v5
	s_delay_alu instid0(VALU_DEP_2)
	v_cndmask_b32_e64 v4, v4, v10, s4
	v_rsq_f32_e32 v10, v9
	s_waitcnt_depctr 0xfff
	v_mul_f32_e32 v14, v8, v12
	v_cndmask_b32_e64 v5, v5, v11, s3
	v_rsq_f32_e32 v11, v4
	v_dual_mul_f32 v12, 0.5, v12 :: v_dual_mul_f32 v15, v9, v10
	s_delay_alu instid0(VALU_DEP_2) | instskip(SKIP_1) | instid1(VALU_DEP_2)
	v_rsq_f32_e32 v13, v5
	v_mul_f32_e32 v10, 0.5, v10
	v_fma_f32 v16, -v12, v14, 0.5
	s_waitcnt_depctr 0xfff
	v_mul_f32_e32 v17, v4, v11
	v_dual_mul_f32 v11, 0.5, v11 :: v_dual_fmac_f32 v14, v14, v16
	v_fma_f32 v18, -v10, v15, 0.5
	v_dual_mul_f32 v19, v5, v13 :: v_dual_fmac_f32 v12, v12, v16
	v_mul_f32_e32 v13, 0.5, v13
	s_delay_alu instid0(VALU_DEP_4) | instskip(NEXT) | instid1(VALU_DEP_4)
	v_fma_f32 v16, -v11, v17, 0.5
	v_fmac_f32_e32 v10, v10, v18
	v_fmac_f32_e32 v15, v15, v18
	v_fma_f32 v18, -v14, v14, v8
	v_fma_f32 v20, -v13, v19, 0.5
	v_fmac_f32_e32 v11, v11, v16
	s_delay_alu instid0(VALU_DEP_3) | instskip(SKIP_1) | instid1(VALU_DEP_4)
	v_fmac_f32_e32 v14, v18, v12
	v_fmac_f32_e32 v17, v17, v16
	;; [unrolled: 1-line block ×3, first 2 shown]
	v_fma_f32 v16, -v15, v15, v9
	v_fmac_f32_e32 v13, v13, v20
	s_delay_alu instid0(VALU_DEP_3) | instskip(NEXT) | instid1(VALU_DEP_3)
	v_fma_f32 v18, -v19, v19, v5
	v_fmac_f32_e32 v15, v16, v10
	v_mul_f32_e32 v10, 0x37800000, v14
	v_fma_f32 v12, -v17, v17, v4
	s_delay_alu instid0(VALU_DEP_4) | instskip(NEXT) | instid1(VALU_DEP_3)
	v_fmac_f32_e32 v19, v18, v13
	v_cndmask_b32_e64 v10, v14, v10, s2
	s_delay_alu instid0(VALU_DEP_3) | instskip(SKIP_1) | instid1(VALU_DEP_4)
	v_fmac_f32_e32 v17, v12, v11
	v_mul_f32_e32 v11, 0x37800000, v15
	v_mul_f32_e32 v13, 0x37800000, v19
	v_cmp_class_f32_e64 s2, v8, 0x260
	s_delay_alu instid0(VALU_DEP_3) | instskip(SKIP_1) | instid1(VALU_DEP_3)
	v_dual_mul_f32 v12, 0x37800000, v17 :: v_dual_cndmask_b32 v11, v15, v11
	v_cmp_class_f32_e64 vcc_lo, v9, 0x260
	v_cndmask_b32_e64 v8, v10, v8, s2
	v_cndmask_b32_e64 v10, v19, v13, s3
	s_delay_alu instid0(VALU_DEP_4) | instskip(SKIP_4) | instid1(VALU_DEP_4)
	v_cndmask_b32_e64 v12, v17, v12, s4
	v_cmp_class_f32_e64 s2, v4, 0x260
	v_cndmask_b32_e32 v9, v11, v9, vcc_lo
	v_cmp_class_f32_e64 vcc_lo, v5, 0x260
	v_cvt_f16_f32_e32 v8, v8
	v_cndmask_b32_e64 v4, v12, v4, s2
	s_delay_alu instid0(VALU_DEP_4) | instskip(SKIP_2) | instid1(VALU_DEP_3)
	v_cvt_f16_f32_e32 v9, v9
	v_cndmask_b32_e32 v5, v10, v5, vcc_lo
	s_and_b32 s2, exec_lo, s21
	v_cvt_f16_f32_e32 v4, v4
	s_or_b32 s18, s2, s18
	s_delay_alu instid0(VALU_DEP_2) | instskip(NEXT) | instid1(VALU_DEP_2)
	v_cvt_f16_f32_e32 v5, v5
	v_pack_b32_f16 v4, v8, v4
	s_delay_alu instid0(VALU_DEP_2)
	v_pack_b32_f16 v5, v9, v5
	global_store_b64 v[6:7], v[4:5], off
	s_and_not1_b32 exec_lo, exec_lo, s18
	s_cbranch_execnz .LBB230_3
.LBB230_4:
	s_or_b32 exec_lo, exec_lo, s17
	s_mov_b32 s2, 0
.LBB230_5:
	s_delay_alu instid0(SALU_CYCLE_1)
	s_and_not1_b32 vcc_lo, exec_lo, s2
	s_cbranch_vccnz .LBB230_25
; %bb.6:
	v_cmp_lt_i64_e64 s2, s[8:9], 1
	s_delay_alu instid0(VALU_DEP_1)
	s_and_b32 vcc_lo, exec_lo, s2
	s_cbranch_vccnz .LBB230_25
; %bb.7:
	s_load_b32 s0, s[0:1], 0xc5c
	v_dual_mov_b32 v10, 0 :: v_dual_lshlrev_b32 v9, 1, v0
	v_cmp_gt_u64_e64 s1, 0x10000, s[8:9]
	s_delay_alu instid0(VALU_DEP_2) | instskip(NEXT) | instid1(VALU_DEP_1)
	v_add_co_u32 v1, s2, s10, v9
	v_add_co_ci_u32_e64 v2, null, s11, 0, s2
	v_add_co_u32 v3, s2, s12, v9
	s_delay_alu instid0(VALU_DEP_1)
	v_add_co_ci_u32_e64 v4, null, s13, 0, s2
	s_waitcnt lgkmcnt(0)
	s_and_b32 s0, s0, 0xffff
	s_and_b32 s1, s1, exec_lo
	v_mad_u64_u32 v[7:8], null, s0, 6, v[9:10]
	s_cselect_b32 s5, s9, 0
	s_cselect_b32 s4, s8, 0x10000
	s_mul_i32 s2, s0, 3
	s_lshl_b32 s14, s0, 2
	s_lshl_b32 s1, s0, 1
	v_add_co_u32 v14, s3, s14, v9
	v_add_co_u32 v9, s2, s2, v0
	s_delay_alu instid0(VALU_DEP_1) | instskip(SKIP_3) | instid1(VALU_DEP_3)
	v_add_co_ci_u32_e64 v10, null, 0, 0, s2
	v_add_co_u32 v13, s2, v0, s0
	v_add_co_u32 v5, vcc_lo, s10, v7
	v_add_co_ci_u32_e32 v6, vcc_lo, s11, v8, vcc_lo
	v_lshlrev_b32_e32 v21, 1, v13
	v_add_co_u32 v7, vcc_lo, s12, v7
	v_add_co_ci_u32_e64 v15, null, 0, 0, s3
	v_add_co_ci_u32_e32 v8, vcc_lo, s13, v8, vcc_lo
	v_add_co_u32 v17, s1, s1, v0
	v_add_co_u32 v11, vcc_lo, s10, v14
	v_add_co_ci_u32_e64 v18, null, 0, 0, s1
	v_add_co_u32 v19, s1, s10, v21
	v_add_co_ci_u32_e32 v12, vcc_lo, s11, v15, vcc_lo
	v_add_co_u32 v14, vcc_lo, s12, v14
	v_add_co_ci_u32_e64 v20, null, s11, 0, s1
	v_add_co_u32 v21, s1, s12, v21
	v_add_co_ci_u32_e32 v15, vcc_lo, s13, v15, vcc_lo
	v_add_co_ci_u32_e64 v16, null, 0, 0, s2
	v_add_co_ci_u32_e64 v22, null, s13, 0, s1
	s_lshl_b32 s12, s0, 3
	s_mov_b64 s[10:11], 0
	s_branch .LBB230_9
.LBB230_8:                              ;   in Loop: Header=BB230_9 Depth=1
	s_or_b32 exec_lo, exec_lo, s0
	v_add_co_u32 v1, vcc_lo, v1, s12
	v_add_co_ci_u32_e32 v2, vcc_lo, 0, v2, vcc_lo
	v_add_co_u32 v3, vcc_lo, v3, s12
	v_add_co_ci_u32_e32 v4, vcc_lo, 0, v4, vcc_lo
	;; [unrolled: 2-line block ×5, first 2 shown]
	s_add_u32 s10, s10, s14
	v_add_co_u32 v14, vcc_lo, v14, s12
	s_addc_u32 s11, s11, 0
	v_add_co_ci_u32_e32 v15, vcc_lo, 0, v15, vcc_lo
	v_cmp_ge_i64_e64 s0, s[10:11], s[8:9]
	v_cmp_lt_u64_e64 s1, 0xffff, s[10:11]
	v_add_co_u32 v19, vcc_lo, v19, s12
	v_add_co_ci_u32_e32 v20, vcc_lo, 0, v20, vcc_lo
	v_add_co_u32 v21, vcc_lo, v21, s12
	v_add_co_ci_u32_e32 v22, vcc_lo, 0, v22, vcc_lo
	s_or_b32 s0, s0, s1
	s_delay_alu instid0(SALU_CYCLE_1)
	s_and_b32 vcc_lo, exec_lo, s0
	s_cbranch_vccnz .LBB230_25
.LBB230_9:                              ; =>This Inner Loop Header: Depth=1
	s_waitcnt vmcnt(0)
	v_add_co_u32 v23, s0, v0, s10
	s_delay_alu instid0(VALU_DEP_1) | instskip(SKIP_1) | instid1(VALU_DEP_2)
	v_add_co_ci_u32_e64 v24, null, 0, s11, s0
	v_mov_b32_e32 v26, 0
	v_cmp_gt_u64_e64 s2, s[4:5], v[23:24]
	s_delay_alu instid0(VALU_DEP_1)
	s_and_saveexec_b32 s0, s2
	s_cbranch_execz .LBB230_11
; %bb.10:                               ;   in Loop: Header=BB230_9 Depth=1
	v_add_co_u32 v23, vcc_lo, v1, s6
	v_add_co_ci_u32_e32 v24, vcc_lo, s7, v2, vcc_lo
	global_load_u16 v26, v[23:24], off
.LBB230_11:                             ;   in Loop: Header=BB230_9 Depth=1
	s_or_b32 exec_lo, exec_lo, s0
	v_add_co_u32 v23, vcc_lo, v13, s10
	v_add_co_ci_u32_e32 v24, vcc_lo, s11, v16, vcc_lo
	v_mov_b32_e32 v25, 0
	s_delay_alu instid0(VALU_DEP_2) | instskip(NEXT) | instid1(VALU_DEP_1)
	v_cmp_gt_u64_e64 s1, s[4:5], v[23:24]
	s_and_saveexec_b32 s0, s1
	s_cbranch_execz .LBB230_13
; %bb.12:                               ;   in Loop: Header=BB230_9 Depth=1
	v_add_co_u32 v23, vcc_lo, v19, s6
	v_add_co_ci_u32_e32 v24, vcc_lo, s7, v20, vcc_lo
	global_load_u16 v25, v[23:24], off
.LBB230_13:                             ;   in Loop: Header=BB230_9 Depth=1
	s_or_b32 exec_lo, exec_lo, s0
	v_add_co_u32 v23, vcc_lo, v17, s10
	v_add_co_ci_u32_e32 v24, vcc_lo, s11, v18, vcc_lo
	s_delay_alu instid0(VALU_DEP_1) | instskip(SKIP_1) | instid1(VALU_DEP_2)
	v_cmp_gt_u64_e64 s0, s[4:5], v[23:24]
	v_dual_mov_b32 v23, 0 :: v_dual_mov_b32 v24, 0
	s_and_saveexec_b32 s3, s0
	s_cbranch_execz .LBB230_15
; %bb.14:                               ;   in Loop: Header=BB230_9 Depth=1
	v_add_co_u32 v27, vcc_lo, v11, s6
	v_add_co_ci_u32_e32 v28, vcc_lo, s7, v12, vcc_lo
	global_load_u16 v24, v[27:28], off
.LBB230_15:                             ;   in Loop: Header=BB230_9 Depth=1
	s_or_b32 exec_lo, exec_lo, s3
	v_add_co_u32 v27, vcc_lo, v9, s10
	v_add_co_ci_u32_e32 v28, vcc_lo, s11, v10, vcc_lo
	s_delay_alu instid0(VALU_DEP_1)
	v_cmp_gt_u64_e32 vcc_lo, s[4:5], v[27:28]
	s_and_saveexec_b32 s13, vcc_lo
	s_cbranch_execnz .LBB230_20
; %bb.16:                               ;   in Loop: Header=BB230_9 Depth=1
	s_or_b32 exec_lo, exec_lo, s13
	s_and_saveexec_b32 s3, s2
	s_cbranch_execnz .LBB230_21
.LBB230_17:                             ;   in Loop: Header=BB230_9 Depth=1
	s_or_b32 exec_lo, exec_lo, s3
	s_and_saveexec_b32 s2, s1
	s_cbranch_execnz .LBB230_22
.LBB230_18:                             ;   in Loop: Header=BB230_9 Depth=1
	s_or_b32 exec_lo, exec_lo, s2
	s_and_saveexec_b32 s1, s0
	s_cbranch_execnz .LBB230_23
.LBB230_19:                             ;   in Loop: Header=BB230_9 Depth=1
	s_or_b32 exec_lo, exec_lo, s1
	s_and_saveexec_b32 s0, vcc_lo
	s_cbranch_execz .LBB230_8
	s_branch .LBB230_24
.LBB230_20:                             ;   in Loop: Header=BB230_9 Depth=1
	v_add_co_u32 v27, s3, v5, s6
	s_delay_alu instid0(VALU_DEP_1)
	v_add_co_ci_u32_e64 v28, s3, s7, v6, s3
	global_load_u16 v23, v[27:28], off
	s_or_b32 exec_lo, exec_lo, s13
	s_and_saveexec_b32 s3, s2
	s_cbranch_execz .LBB230_17
.LBB230_21:                             ;   in Loop: Header=BB230_9 Depth=1
	s_waitcnt vmcnt(0)
	v_cvt_f32_f16_e32 v26, v26
	s_delay_alu instid0(VALU_DEP_1) | instskip(SKIP_1) | instid1(VALU_DEP_1)
	v_mul_f32_e32 v27, 0x4f800000, v26
	v_cmp_gt_f32_e64 s2, 0xf800000, v26
	v_cndmask_b32_e64 v26, v26, v27, s2
	s_delay_alu instid0(VALU_DEP_1) | instskip(SKIP_3) | instid1(VALU_DEP_1)
	v_rsq_f32_e32 v27, v26
	s_waitcnt_depctr 0xfff
	v_mul_f32_e32 v28, v26, v27
	v_mul_f32_e32 v27, 0.5, v27
	v_fma_f32 v29, -v27, v28, 0.5
	s_delay_alu instid0(VALU_DEP_1) | instskip(SKIP_1) | instid1(VALU_DEP_1)
	v_fmac_f32_e32 v27, v27, v29
	v_fmac_f32_e32 v28, v28, v29
	v_fma_f32 v30, -v28, v28, v26
	s_delay_alu instid0(VALU_DEP_1) | instskip(NEXT) | instid1(VALU_DEP_1)
	v_fmac_f32_e32 v28, v30, v27
	v_mul_f32_e32 v27, 0x37800000, v28
	s_delay_alu instid0(VALU_DEP_1) | instskip(SKIP_1) | instid1(VALU_DEP_1)
	v_cndmask_b32_e64 v27, v28, v27, s2
	v_cmp_class_f32_e64 s2, v26, 0x260
	v_cndmask_b32_e64 v28, v27, v26, s2
	v_add_co_u32 v26, s2, v3, s6
	s_delay_alu instid0(VALU_DEP_1) | instskip(NEXT) | instid1(VALU_DEP_3)
	v_add_co_ci_u32_e64 v27, s2, s7, v4, s2
	v_cvt_f16_f32_e32 v28, v28
	global_store_b16 v[26:27], v28, off
	s_or_b32 exec_lo, exec_lo, s3
	s_and_saveexec_b32 s2, s1
	s_cbranch_execz .LBB230_18
.LBB230_22:                             ;   in Loop: Header=BB230_9 Depth=1
	s_waitcnt vmcnt(0)
	v_cvt_f32_f16_e32 v25, v25
	s_delay_alu instid0(VALU_DEP_1) | instskip(SKIP_1) | instid1(VALU_DEP_1)
	v_mul_f32_e32 v26, 0x4f800000, v25
	v_cmp_gt_f32_e64 s1, 0xf800000, v25
	v_cndmask_b32_e64 v25, v25, v26, s1
	s_delay_alu instid0(VALU_DEP_1) | instskip(SKIP_3) | instid1(VALU_DEP_1)
	v_rsq_f32_e32 v26, v25
	s_waitcnt_depctr 0xfff
	v_mul_f32_e32 v27, v25, v26
	v_mul_f32_e32 v26, 0.5, v26
	v_fma_f32 v28, -v26, v27, 0.5
	s_delay_alu instid0(VALU_DEP_1) | instskip(SKIP_1) | instid1(VALU_DEP_1)
	v_fmac_f32_e32 v26, v26, v28
	v_fmac_f32_e32 v27, v27, v28
	v_fma_f32 v28, -v27, v27, v25
	s_delay_alu instid0(VALU_DEP_1) | instskip(NEXT) | instid1(VALU_DEP_1)
	v_fmac_f32_e32 v27, v28, v26
	v_mul_f32_e32 v26, 0x37800000, v27
	s_delay_alu instid0(VALU_DEP_1) | instskip(SKIP_1) | instid1(VALU_DEP_1)
	v_cndmask_b32_e64 v26, v27, v26, s1
	v_cmp_class_f32_e64 s1, v25, 0x260
	v_cndmask_b32_e64 v25, v26, v25, s1
	s_delay_alu instid0(VALU_DEP_1) | instskip(SKIP_1) | instid1(VALU_DEP_1)
	v_cvt_f16_f32_e32 v27, v25
	v_add_co_u32 v25, s1, v21, s6
	v_add_co_ci_u32_e64 v26, s1, s7, v22, s1
	global_store_b16 v[25:26], v27, off
	s_or_b32 exec_lo, exec_lo, s2
	s_and_saveexec_b32 s1, s0
	s_cbranch_execz .LBB230_19
.LBB230_23:                             ;   in Loop: Header=BB230_9 Depth=1
	s_waitcnt vmcnt(0)
	v_cvt_f32_f16_e32 v24, v24
	s_delay_alu instid0(VALU_DEP_1) | instskip(SKIP_1) | instid1(VALU_DEP_1)
	v_mul_f32_e32 v25, 0x4f800000, v24
	v_cmp_gt_f32_e64 s0, 0xf800000, v24
	v_cndmask_b32_e64 v24, v24, v25, s0
	s_delay_alu instid0(VALU_DEP_1) | instskip(SKIP_3) | instid1(VALU_DEP_1)
	v_rsq_f32_e32 v25, v24
	s_waitcnt_depctr 0xfff
	v_mul_f32_e32 v26, v24, v25
	v_mul_f32_e32 v25, 0.5, v25
	v_fma_f32 v27, -v25, v26, 0.5
	s_delay_alu instid0(VALU_DEP_1) | instskip(SKIP_1) | instid1(VALU_DEP_1)
	v_fmac_f32_e32 v25, v25, v27
	v_fmac_f32_e32 v26, v26, v27
	v_fma_f32 v27, -v26, v26, v24
	s_delay_alu instid0(VALU_DEP_1) | instskip(NEXT) | instid1(VALU_DEP_1)
	v_fmac_f32_e32 v26, v27, v25
	v_mul_f32_e32 v25, 0x37800000, v26
	s_delay_alu instid0(VALU_DEP_1) | instskip(SKIP_1) | instid1(VALU_DEP_1)
	v_cndmask_b32_e64 v25, v26, v25, s0
	v_cmp_class_f32_e64 s0, v24, 0x260
	v_cndmask_b32_e64 v24, v25, v24, s0
	s_delay_alu instid0(VALU_DEP_1) | instskip(SKIP_1) | instid1(VALU_DEP_1)
	v_cvt_f16_f32_e32 v26, v24
	v_add_co_u32 v24, s0, v14, s6
	v_add_co_ci_u32_e64 v25, s0, s7, v15, s0
	global_store_b16 v[24:25], v26, off
	s_or_b32 exec_lo, exec_lo, s1
	s_and_saveexec_b32 s0, vcc_lo
	s_cbranch_execz .LBB230_8
.LBB230_24:                             ;   in Loop: Header=BB230_9 Depth=1
	s_waitcnt vmcnt(0)
	v_cvt_f32_f16_e32 v23, v23
	s_delay_alu instid0(VALU_DEP_1) | instskip(SKIP_1) | instid1(VALU_DEP_2)
	v_mul_f32_e32 v24, 0x4f800000, v23
	v_cmp_gt_f32_e32 vcc_lo, 0xf800000, v23
	v_cndmask_b32_e32 v23, v23, v24, vcc_lo
	s_delay_alu instid0(VALU_DEP_1) | instskip(SKIP_3) | instid1(VALU_DEP_1)
	v_rsq_f32_e32 v24, v23
	s_waitcnt_depctr 0xfff
	v_mul_f32_e32 v25, v23, v24
	v_mul_f32_e32 v24, 0.5, v24
	v_fma_f32 v26, -v24, v25, 0.5
	s_delay_alu instid0(VALU_DEP_1) | instskip(SKIP_1) | instid1(VALU_DEP_1)
	v_fmac_f32_e32 v24, v24, v26
	v_fmac_f32_e32 v25, v25, v26
	v_fma_f32 v26, -v25, v25, v23
	s_delay_alu instid0(VALU_DEP_1) | instskip(NEXT) | instid1(VALU_DEP_1)
	v_fmac_f32_e32 v25, v26, v24
	v_mul_f32_e32 v24, 0x37800000, v25
	s_delay_alu instid0(VALU_DEP_1) | instskip(SKIP_1) | instid1(VALU_DEP_2)
	v_cndmask_b32_e32 v24, v25, v24, vcc_lo
	v_cmp_class_f32_e64 vcc_lo, v23, 0x260
	v_cndmask_b32_e32 v23, v24, v23, vcc_lo
	s_delay_alu instid0(VALU_DEP_1)
	v_cvt_f16_f32_e32 v25, v23
	v_add_co_u32 v23, vcc_lo, v7, s6
	v_add_co_ci_u32_e32 v24, vcc_lo, s7, v8, vcc_lo
	global_store_b16 v[23:24], v25, off
	s_branch .LBB230_8
.LBB230_25:
	s_nop 0
	s_sendmsg sendmsg(MSG_DEALLOC_VGPRS)
	s_endpgm
	.section	.rodata,"a",@progbits
	.p2align	6, 0x0
	.amdhsa_kernel _ZN2at6native12_GLOBAL__N_125multi_tensor_apply_kernelINS1_18TensorListMetadataILi2EEENS1_14UnaryOpFunctorIN3c104HalfELi2ELi1ELi1EEEJNS0_4SqrtIfEEEEEvT_T0_DpT1_
		.amdhsa_group_segment_fixed_size 0
		.amdhsa_private_segment_fixed_size 0
		.amdhsa_kernarg_size 3408
		.amdhsa_user_sgpr_count 15
		.amdhsa_user_sgpr_dispatch_ptr 0
		.amdhsa_user_sgpr_queue_ptr 0
		.amdhsa_user_sgpr_kernarg_segment_ptr 1
		.amdhsa_user_sgpr_dispatch_id 0
		.amdhsa_user_sgpr_private_segment_size 0
		.amdhsa_wavefront_size32 1
		.amdhsa_uses_dynamic_stack 0
		.amdhsa_enable_private_segment 0
		.amdhsa_system_sgpr_workgroup_id_x 1
		.amdhsa_system_sgpr_workgroup_id_y 0
		.amdhsa_system_sgpr_workgroup_id_z 0
		.amdhsa_system_sgpr_workgroup_info 0
		.amdhsa_system_vgpr_workitem_id 0
		.amdhsa_next_free_vgpr 31
		.amdhsa_next_free_sgpr 24
		.amdhsa_reserve_vcc 1
		.amdhsa_float_round_mode_32 0
		.amdhsa_float_round_mode_16_64 0
		.amdhsa_float_denorm_mode_32 3
		.amdhsa_float_denorm_mode_16_64 3
		.amdhsa_dx10_clamp 1
		.amdhsa_ieee_mode 1
		.amdhsa_fp16_overflow 0
		.amdhsa_workgroup_processor_mode 1
		.amdhsa_memory_ordered 1
		.amdhsa_forward_progress 0
		.amdhsa_shared_vgpr_count 0
		.amdhsa_exception_fp_ieee_invalid_op 0
		.amdhsa_exception_fp_denorm_src 0
		.amdhsa_exception_fp_ieee_div_zero 0
		.amdhsa_exception_fp_ieee_overflow 0
		.amdhsa_exception_fp_ieee_underflow 0
		.amdhsa_exception_fp_ieee_inexact 0
		.amdhsa_exception_int_div_zero 0
	.end_amdhsa_kernel
	.section	.text._ZN2at6native12_GLOBAL__N_125multi_tensor_apply_kernelINS1_18TensorListMetadataILi2EEENS1_14UnaryOpFunctorIN3c104HalfELi2ELi1ELi1EEEJNS0_4SqrtIfEEEEEvT_T0_DpT1_,"axG",@progbits,_ZN2at6native12_GLOBAL__N_125multi_tensor_apply_kernelINS1_18TensorListMetadataILi2EEENS1_14UnaryOpFunctorIN3c104HalfELi2ELi1ELi1EEEJNS0_4SqrtIfEEEEEvT_T0_DpT1_,comdat
.Lfunc_end230:
	.size	_ZN2at6native12_GLOBAL__N_125multi_tensor_apply_kernelINS1_18TensorListMetadataILi2EEENS1_14UnaryOpFunctorIN3c104HalfELi2ELi1ELi1EEEJNS0_4SqrtIfEEEEEvT_T0_DpT1_, .Lfunc_end230-_ZN2at6native12_GLOBAL__N_125multi_tensor_apply_kernelINS1_18TensorListMetadataILi2EEENS1_14UnaryOpFunctorIN3c104HalfELi2ELi1ELi1EEEJNS0_4SqrtIfEEEEEvT_T0_DpT1_
                                        ; -- End function
	.section	.AMDGPU.csdata,"",@progbits
; Kernel info:
; codeLenInByte = 2380
; NumSgprs: 26
; NumVgprs: 31
; ScratchSize: 0
; MemoryBound: 0
; FloatMode: 240
; IeeeMode: 1
; LDSByteSize: 0 bytes/workgroup (compile time only)
; SGPRBlocks: 3
; VGPRBlocks: 3
; NumSGPRsForWavesPerEU: 26
; NumVGPRsForWavesPerEU: 31
; Occupancy: 16
; WaveLimiterHint : 0
; COMPUTE_PGM_RSRC2:SCRATCH_EN: 0
; COMPUTE_PGM_RSRC2:USER_SGPR: 15
; COMPUTE_PGM_RSRC2:TRAP_HANDLER: 0
; COMPUTE_PGM_RSRC2:TGID_X_EN: 1
; COMPUTE_PGM_RSRC2:TGID_Y_EN: 0
; COMPUTE_PGM_RSRC2:TGID_Z_EN: 0
; COMPUTE_PGM_RSRC2:TIDIG_COMP_CNT: 0
	.section	.text._ZN2at6native12_GLOBAL__N_125multi_tensor_apply_kernelINS1_18TensorListMetadataILi2EEENS1_14UnaryOpFunctorIN3c108BFloat16ELi2ELi1ELi1EEEJNS0_4SqrtIfEEEEEvT_T0_DpT1_,"axG",@progbits,_ZN2at6native12_GLOBAL__N_125multi_tensor_apply_kernelINS1_18TensorListMetadataILi2EEENS1_14UnaryOpFunctorIN3c108BFloat16ELi2ELi1ELi1EEEJNS0_4SqrtIfEEEEEvT_T0_DpT1_,comdat
	.globl	_ZN2at6native12_GLOBAL__N_125multi_tensor_apply_kernelINS1_18TensorListMetadataILi2EEENS1_14UnaryOpFunctorIN3c108BFloat16ELi2ELi1ELi1EEEJNS0_4SqrtIfEEEEEvT_T0_DpT1_ ; -- Begin function _ZN2at6native12_GLOBAL__N_125multi_tensor_apply_kernelINS1_18TensorListMetadataILi2EEENS1_14UnaryOpFunctorIN3c108BFloat16ELi2ELi1ELi1EEEJNS0_4SqrtIfEEEEEvT_T0_DpT1_
	.p2align	8
	.type	_ZN2at6native12_GLOBAL__N_125multi_tensor_apply_kernelINS1_18TensorListMetadataILi2EEENS1_14UnaryOpFunctorIN3c108BFloat16ELi2ELi1ELi1EEEJNS0_4SqrtIfEEEEEvT_T0_DpT1_,@function
_ZN2at6native12_GLOBAL__N_125multi_tensor_apply_kernelINS1_18TensorListMetadataILi2EEENS1_14UnaryOpFunctorIN3c108BFloat16ELi2ELi1ELi1EEEJNS0_4SqrtIfEEEEEvT_T0_DpT1_: ; @_ZN2at6native12_GLOBAL__N_125multi_tensor_apply_kernelINS1_18TensorListMetadataILi2EEENS1_14UnaryOpFunctorIN3c108BFloat16ELi2ELi1ELi1EEEJNS0_4SqrtIfEEEEEvT_T0_DpT1_
; %bb.0:
	v_mov_b32_e32 v1, s15
	s_add_u32 s2, s0, s15
	s_mul_hi_u32 s3, s15, 3
	s_mul_i32 s15, s15, 3
	s_addc_u32 s4, s1, 0
	global_load_u8 v1, v1, s[0:1] offset:1536
	s_add_u32 s2, s2, s15
	s_addc_u32 s3, s4, s3
	s_mov_b32 s7, 0
	s_load_b32 s2, s[2:3], 0x740
	s_mov_b32 s11, s7
	s_mov_b32 s9, s7
	s_waitcnt vmcnt(0)
	v_readfirstlane_b32 s5, v1
	s_delay_alu instid0(VALU_DEP_1)
	s_lshl_b32 s3, s5, 3
	s_clause 0x2
	s_load_b64 s[16:17], s[0:1], s3 offset:0x0
	s_load_b64 s[18:19], s[0:1], s3 offset:0x200
	;; [unrolled: 1-line block ×3, first 2 shown]
	s_waitcnt lgkmcnt(0)
	s_ashr_i32 s3, s2, 31
	s_delay_alu instid0(SALU_CYCLE_1) | instskip(SKIP_4) | instid1(SALU_CYCLE_1)
	s_lshl_b64 s[12:13], s[2:3], 17
	s_lshl_b64 s[2:3], s[2:3], 16
	s_and_b32 s6, s16, 7
	s_and_b32 s8, s18, 7
	;; [unrolled: 1-line block ×3, first 2 shown]
	s_or_b64 s[6:7], s[6:7], s[10:11]
	s_delay_alu instid0(SALU_CYCLE_1)
	s_or_b64 s[6:7], s[8:9], s[6:7]
	s_sub_u32 s14, s4, s2
	s_subb_u32 s15, s5, s3
	s_cmp_eq_u64 s[6:7], 0
	s_mov_b32 s2, -1
	s_cbranch_scc0 .LBB231_5
; %bb.1:
	v_dual_mov_b32 v2, 0 :: v_dual_lshlrev_b32 v1, 2, v0
	s_mov_b32 s11, exec_lo
	s_delay_alu instid0(VALU_DEP_1)
	v_cmpx_gt_i64_e64 s[14:15], v[1:2]
	s_cbranch_execz .LBB231_4
; %bb.2:
	s_load_b32 s2, s[0:1], 0xc5c
	v_lshlrev_b32_e32 v1, 3, v0
	s_mov_b32 s20, 0
	s_delay_alu instid0(VALU_DEP_1) | instskip(NEXT) | instid1(VALU_DEP_1)
	v_add_co_u32 v3, s3, s12, v1
	v_add_co_ci_u32_e64 v4, null, s13, 0, s3
	s_waitcnt lgkmcnt(0)
	s_and_b32 s2, s2, 0xffff
	s_delay_alu instid0(SALU_CYCLE_1)
	v_add_lshl_u32 v1, v0, s2, 2
	s_lshl_b32 s21, s2, 3
	s_lshl_b32 s22, s2, 2
.LBB231_3:                              ; =>This Inner Loop Header: Depth=1
	v_add_co_u32 v5, vcc_lo, s16, v3
	v_add_co_ci_u32_e32 v6, vcc_lo, s17, v4, vcc_lo
	v_add_co_u32 v7, vcc_lo, s18, v3
	v_add_co_ci_u32_e32 v8, vcc_lo, s19, v4, vcc_lo
	global_load_b64 v[5:6], v[5:6], off
	v_cmp_le_i64_e32 vcc_lo, s[14:15], v[1:2]
	v_cmp_lt_u64_e64 s2, 0xffff, v[1:2]
	v_add_co_u32 v3, s3, v3, s21
	s_delay_alu instid0(VALU_DEP_1) | instskip(SKIP_1) | instid1(VALU_DEP_4)
	v_add_co_ci_u32_e64 v4, s3, 0, v4, s3
	v_add_co_u32 v1, s3, v1, s22
	s_or_b32 s2, vcc_lo, s2
	v_add_co_ci_u32_e64 v2, s3, 0, v2, s3
	s_and_b32 s2, exec_lo, s2
	s_delay_alu instid0(SALU_CYCLE_1)
	s_or_b32 s20, s2, s20
	s_waitcnt vmcnt(0)
	v_and_b32_e32 v10, 0xffff0000, v5
	v_lshlrev_b32_e32 v9, 16, v5
	v_alignbit_b32 v5, v6, v5, 16
	v_and_b32_e32 v6, 0xffff0000, v6
	s_delay_alu instid0(VALU_DEP_3)
	v_dual_mul_f32 v12, 0x4f800000, v10 :: v_dual_mul_f32 v11, 0x4f800000, v9
	v_cmp_gt_f32_e64 s6, 0xf800000, v9
	v_cmp_gt_f32_e64 s4, 0xf800000, v10
	v_and_b32_e32 v5, 0xffff0000, v5
	v_mul_f32_e32 v13, 0x4f800000, v6
	v_cmp_gt_f32_e64 s5, 0xf800000, v6
	v_cndmask_b32_e64 v9, v9, v11, s6
	v_cndmask_b32_e64 v10, v10, v12, s4
	v_mul_f32_e32 v11, 0x4f800000, v5
	v_cmp_gt_f32_e64 s7, 0xf800000, v5
	v_cndmask_b32_e64 v6, v6, v13, s5
	v_sqrt_f32_e32 v12, v9
	v_sqrt_f32_e32 v13, v10
	s_delay_alu instid0(VALU_DEP_2) | instskip(NEXT) | instid1(VALU_DEP_2)
	v_cndmask_b32_e64 v5, v5, v11, s7
	v_sqrt_f32_e32 v11, v6
	s_delay_alu instid0(VALU_DEP_1) | instskip(SKIP_2) | instid1(TRANS32_DEP_3)
	v_sqrt_f32_e32 v14, v5
	v_add_nc_u32_e32 v15, -1, v12
	v_add_nc_u32_e32 v16, 1, v12
	v_add_nc_u32_e32 v17, -1, v13
	s_waitcnt_depctr 0xfff
	v_add_nc_u32_e32 v19, -1, v11
	v_fma_f32 v21, -v15, v12, v9
	v_fma_f32 v22, -v16, v12, v9
	;; [unrolled: 1-line block ×3, first 2 shown]
	v_add_nc_u32_e32 v20, 1, v11
	v_add_nc_u32_e32 v25, -1, v14
	v_cmp_ge_f32_e64 s8, 0, v21
	v_cmp_lt_f32_e64 s10, 0, v22
	v_fma_f32 v27, -v19, v11, v6
	v_add_nc_u32_e32 v26, 1, v14
	v_fma_f32 v28, -v20, v11, v6
	v_cndmask_b32_e64 v12, v12, v15, s8
	v_cmp_ge_f32_e64 s8, 0, v23
	v_fma_f32 v15, -v25, v14, v5
	v_cmp_ge_f32_e64 s9, 0, v27
	s_delay_alu instid0(VALU_DEP_4) | instskip(SKIP_1) | instid1(VALU_DEP_3)
	v_cndmask_b32_e64 v12, v12, v16, s10
	v_add_nc_u32_e32 v18, 1, v13
	v_cndmask_b32_e64 v11, v11, v19, s9
	v_cmp_lt_f32_e64 s9, 0, v28
	s_delay_alu instid0(VALU_DEP_3) | instskip(SKIP_2) | instid1(VALU_DEP_4)
	v_fma_f32 v24, -v18, v13, v10
	v_cndmask_b32_e64 v13, v13, v17, s8
	v_fma_f32 v17, -v26, v14, v5
	v_cndmask_b32_e64 v11, v11, v20, s9
	s_delay_alu instid0(VALU_DEP_4) | instskip(NEXT) | instid1(VALU_DEP_1)
	v_cmp_lt_f32_e64 s8, 0, v24
	v_cndmask_b32_e64 v13, v13, v18, s8
	v_cmp_ge_f32_e64 s8, 0, v15
	s_delay_alu instid0(VALU_DEP_2) | instskip(NEXT) | instid1(VALU_DEP_2)
	v_dual_mul_f32 v15, 0x37800000, v12 :: v_dual_mul_f32 v16, 0x37800000, v13
	v_cndmask_b32_e64 v14, v14, v25, s8
	v_cmp_lt_f32_e64 s8, 0, v17
	v_mul_f32_e32 v17, 0x37800000, v11
	s_delay_alu instid0(VALU_DEP_4)
	v_cndmask_b32_e64 v12, v12, v15, s6
	v_cmp_class_f32_e64 s6, v9, 0x260
	v_cndmask_b32_e64 v13, v13, v16, s4
	v_cndmask_b32_e64 v14, v14, v26, s8
	v_cmp_class_f32_e64 s4, v10, 0x260
	v_cndmask_b32_e64 v11, v11, v17, s5
	v_cmp_class_f32_e64 s5, v6, 0x260
	v_cndmask_b32_e64 v9, v12, v9, s6
	v_mul_f32_e32 v15, 0x37800000, v14
	v_cndmask_b32_e64 v10, v13, v10, s4
	v_cmp_class_f32_e64 s4, v5, 0x260
	v_cndmask_b32_e64 v6, v11, v6, s5
	v_bfe_u32 v11, v9, 16, 1
	v_cndmask_b32_e64 v12, v14, v15, s7
	v_cmp_o_f32_e64 s5, v10, v10
	s_delay_alu instid0(VALU_DEP_4) | instskip(NEXT) | instid1(VALU_DEP_4)
	v_bfe_u32 v13, v6, 16, 1
	v_add3_u32 v11, v9, v11, 0x7fff
	s_delay_alu instid0(VALU_DEP_4)
	v_cndmask_b32_e64 v5, v12, v5, s4
	v_bfe_u32 v12, v10, 16, 1
	v_cmp_o_f32_e64 s4, v9, v9
	v_add3_u32 v13, v6, v13, 0x7fff
	v_lshrrev_b32_e32 v11, 16, v11
	v_bfe_u32 v14, v5, 16, 1
	v_add3_u32 v12, v10, v12, 0x7fff
	s_delay_alu instid0(VALU_DEP_4) | instskip(NEXT) | instid1(VALU_DEP_4)
	v_and_b32_e32 v13, 0xffff0000, v13
	v_cndmask_b32_e64 v11, 0x7fc0, v11, s4
	s_delay_alu instid0(VALU_DEP_4) | instskip(NEXT) | instid1(VALU_DEP_4)
	v_add3_u32 v14, v5, v14, 0x7fff
	v_and_b32_e32 v12, 0xffff0000, v12
	v_cmp_o_f32_e64 s4, v6, v6
	s_delay_alu instid0(VALU_DEP_3) | instskip(NEXT) | instid1(VALU_DEP_3)
	v_lshrrev_b32_e32 v9, 16, v14
	v_cndmask_b32_e64 v10, 0x7fc00000, v12, s5
	s_delay_alu instid0(VALU_DEP_3) | instskip(SKIP_1) | instid1(VALU_DEP_1)
	v_cndmask_b32_e64 v6, 0x7fc00000, v13, s4
	v_cmp_o_f32_e64 s4, v5, v5
	v_cndmask_b32_e64 v5, 0x7fc0, v9, s4
	s_delay_alu instid0(VALU_DEP_4) | instskip(NEXT) | instid1(VALU_DEP_2)
	v_or_b32_e32 v9, v11, v10
	v_or3_b32 v6, 0, v5, v6
	s_delay_alu instid0(VALU_DEP_2)
	v_or3_b32 v5, v9, 0, 0
	global_store_b64 v[7:8], v[5:6], off
	s_and_not1_b32 exec_lo, exec_lo, s20
	s_cbranch_execnz .LBB231_3
.LBB231_4:
	s_or_b32 exec_lo, exec_lo, s11
	s_mov_b32 s2, 0
.LBB231_5:
	s_delay_alu instid0(SALU_CYCLE_1)
	s_and_not1_b32 vcc_lo, exec_lo, s2
	s_cbranch_vccnz .LBB231_25
; %bb.6:
	v_cmp_lt_i64_e64 s2, s[14:15], 1
	s_delay_alu instid0(VALU_DEP_1)
	s_and_b32 vcc_lo, exec_lo, s2
	s_cbranch_vccnz .LBB231_25
; %bb.7:
	s_load_b32 s0, s[0:1], 0xc5c
	v_dual_mov_b32 v10, 0 :: v_dual_lshlrev_b32 v9, 1, v0
	v_cmp_gt_u64_e64 s1, 0x10000, s[14:15]
	s_mov_b64 s[6:7], 0
	s_delay_alu instid0(VALU_DEP_2) | instskip(NEXT) | instid1(VALU_DEP_1)
	v_add_co_u32 v1, s2, s16, v9
	v_add_co_ci_u32_e64 v2, null, s17, 0, s2
	v_add_co_u32 v3, s2, s18, v9
	s_delay_alu instid0(VALU_DEP_1)
	v_add_co_ci_u32_e64 v4, null, s19, 0, s2
	s_waitcnt lgkmcnt(0)
	s_and_b32 s0, s0, 0xffff
	s_and_b32 s1, s1, exec_lo
	v_mad_u64_u32 v[7:8], null, s0, 6, v[9:10]
	s_cselect_b32 s5, s15, 0
	s_cselect_b32 s4, s14, 0x10000
	s_mul_i32 s2, s0, 3
	s_lshl_b32 s8, s0, 2
	s_lshl_b32 s1, s0, 1
	v_add_co_u32 v14, s3, s8, v9
	v_add_co_u32 v9, s2, s2, v0
	s_delay_alu instid0(VALU_DEP_1) | instskip(SKIP_3) | instid1(VALU_DEP_3)
	v_add_co_ci_u32_e64 v10, null, 0, 0, s2
	v_add_co_u32 v13, s2, v0, s0
	v_add_co_u32 v5, vcc_lo, s16, v7
	v_add_co_ci_u32_e32 v6, vcc_lo, s17, v8, vcc_lo
	v_lshlrev_b32_e32 v21, 1, v13
	v_add_co_u32 v7, vcc_lo, s18, v7
	v_add_co_ci_u32_e64 v15, null, 0, 0, s3
	v_add_co_ci_u32_e32 v8, vcc_lo, s19, v8, vcc_lo
	v_add_co_u32 v17, s1, s1, v0
	v_add_co_u32 v11, vcc_lo, s16, v14
	v_add_co_ci_u32_e64 v18, null, 0, 0, s1
	v_add_co_u32 v19, s1, s16, v21
	v_add_co_ci_u32_e32 v12, vcc_lo, s17, v15, vcc_lo
	v_add_co_u32 v14, vcc_lo, s18, v14
	v_add_co_ci_u32_e64 v20, null, s17, 0, s1
	v_add_co_u32 v21, s1, s18, v21
	v_add_co_ci_u32_e32 v15, vcc_lo, s19, v15, vcc_lo
	v_add_co_ci_u32_e64 v16, null, 0, 0, s2
	v_add_co_ci_u32_e64 v22, null, s19, 0, s1
	s_lshl_b32 s9, s0, 3
	s_branch .LBB231_9
.LBB231_8:                              ;   in Loop: Header=BB231_9 Depth=1
	s_or_b32 exec_lo, exec_lo, s1
	v_add_co_u32 v1, vcc_lo, v1, s9
	v_add_co_ci_u32_e32 v2, vcc_lo, 0, v2, vcc_lo
	v_add_co_u32 v3, vcc_lo, v3, s9
	v_add_co_ci_u32_e32 v4, vcc_lo, 0, v4, vcc_lo
	;; [unrolled: 2-line block ×5, first 2 shown]
	s_add_u32 s6, s6, s8
	v_add_co_u32 v14, vcc_lo, v14, s9
	s_addc_u32 s7, s7, 0
	v_add_co_ci_u32_e32 v15, vcc_lo, 0, v15, vcc_lo
	v_cmp_ge_i64_e64 s0, s[6:7], s[14:15]
	v_cmp_lt_u64_e64 s1, 0xffff, s[6:7]
	v_add_co_u32 v19, vcc_lo, v19, s9
	v_add_co_ci_u32_e32 v20, vcc_lo, 0, v20, vcc_lo
	v_add_co_u32 v21, vcc_lo, v21, s9
	v_add_co_ci_u32_e32 v22, vcc_lo, 0, v22, vcc_lo
	s_or_b32 s0, s0, s1
	s_delay_alu instid0(SALU_CYCLE_1)
	s_and_b32 vcc_lo, exec_lo, s0
	s_cbranch_vccnz .LBB231_25
.LBB231_9:                              ; =>This Inner Loop Header: Depth=1
	s_waitcnt vmcnt(0)
	v_add_co_u32 v23, s0, v0, s6
	s_delay_alu instid0(VALU_DEP_1) | instskip(SKIP_1) | instid1(VALU_DEP_2)
	v_add_co_ci_u32_e64 v24, null, 0, s7, s0
	v_mov_b32_e32 v26, 0
	v_cmp_gt_u64_e64 s2, s[4:5], v[23:24]
	s_delay_alu instid0(VALU_DEP_1)
	s_and_saveexec_b32 s0, s2
	s_cbranch_execz .LBB231_11
; %bb.10:                               ;   in Loop: Header=BB231_9 Depth=1
	v_add_co_u32 v23, vcc_lo, v1, s12
	v_add_co_ci_u32_e32 v24, vcc_lo, s13, v2, vcc_lo
	global_load_u16 v26, v[23:24], off
.LBB231_11:                             ;   in Loop: Header=BB231_9 Depth=1
	s_or_b32 exec_lo, exec_lo, s0
	v_add_co_u32 v23, vcc_lo, v13, s6
	v_add_co_ci_u32_e32 v24, vcc_lo, s7, v16, vcc_lo
	v_mov_b32_e32 v25, 0
	s_delay_alu instid0(VALU_DEP_2) | instskip(NEXT) | instid1(VALU_DEP_1)
	v_cmp_gt_u64_e64 s1, s[4:5], v[23:24]
	s_and_saveexec_b32 s0, s1
	s_cbranch_execz .LBB231_13
; %bb.12:                               ;   in Loop: Header=BB231_9 Depth=1
	v_add_co_u32 v23, vcc_lo, v19, s12
	v_add_co_ci_u32_e32 v24, vcc_lo, s13, v20, vcc_lo
	global_load_u16 v25, v[23:24], off
.LBB231_13:                             ;   in Loop: Header=BB231_9 Depth=1
	s_or_b32 exec_lo, exec_lo, s0
	v_add_co_u32 v23, vcc_lo, v17, s6
	v_add_co_ci_u32_e32 v24, vcc_lo, s7, v18, vcc_lo
	s_delay_alu instid0(VALU_DEP_1) | instskip(SKIP_1) | instid1(VALU_DEP_2)
	v_cmp_gt_u64_e64 s0, s[4:5], v[23:24]
	v_dual_mov_b32 v23, 0 :: v_dual_mov_b32 v24, 0
	s_and_saveexec_b32 s3, s0
	s_cbranch_execz .LBB231_15
; %bb.14:                               ;   in Loop: Header=BB231_9 Depth=1
	v_add_co_u32 v27, vcc_lo, v11, s12
	v_add_co_ci_u32_e32 v28, vcc_lo, s13, v12, vcc_lo
	global_load_u16 v24, v[27:28], off
.LBB231_15:                             ;   in Loop: Header=BB231_9 Depth=1
	s_or_b32 exec_lo, exec_lo, s3
	v_add_co_u32 v27, vcc_lo, v9, s6
	v_add_co_ci_u32_e32 v28, vcc_lo, s7, v10, vcc_lo
	s_delay_alu instid0(VALU_DEP_1)
	v_cmp_gt_u64_e32 vcc_lo, s[4:5], v[27:28]
	s_and_saveexec_b32 s10, vcc_lo
	s_cbranch_execnz .LBB231_20
; %bb.16:                               ;   in Loop: Header=BB231_9 Depth=1
	s_or_b32 exec_lo, exec_lo, s10
	s_and_saveexec_b32 s10, s2
	s_cbranch_execnz .LBB231_21
.LBB231_17:                             ;   in Loop: Header=BB231_9 Depth=1
	s_or_b32 exec_lo, exec_lo, s10
	s_and_saveexec_b32 s3, s1
	s_cbranch_execnz .LBB231_22
.LBB231_18:                             ;   in Loop: Header=BB231_9 Depth=1
	s_or_b32 exec_lo, exec_lo, s3
	s_and_saveexec_b32 s2, s0
	s_cbranch_execnz .LBB231_23
.LBB231_19:                             ;   in Loop: Header=BB231_9 Depth=1
	s_or_b32 exec_lo, exec_lo, s2
	s_and_saveexec_b32 s1, vcc_lo
	s_cbranch_execz .LBB231_8
	s_branch .LBB231_24
.LBB231_20:                             ;   in Loop: Header=BB231_9 Depth=1
	v_add_co_u32 v27, s3, v5, s12
	s_delay_alu instid0(VALU_DEP_1)
	v_add_co_ci_u32_e64 v28, s3, s13, v6, s3
	global_load_u16 v23, v[27:28], off
	s_or_b32 exec_lo, exec_lo, s10
	s_and_saveexec_b32 s10, s2
	s_cbranch_execz .LBB231_17
.LBB231_21:                             ;   in Loop: Header=BB231_9 Depth=1
	s_waitcnt vmcnt(0)
	v_lshlrev_b32_e32 v26, 16, v26
	s_delay_alu instid0(VALU_DEP_1) | instskip(SKIP_1) | instid1(VALU_DEP_1)
	v_mul_f32_e32 v27, 0x4f800000, v26
	v_cmp_gt_f32_e64 s2, 0xf800000, v26
	v_cndmask_b32_e64 v26, v26, v27, s2
	s_delay_alu instid0(VALU_DEP_1) | instskip(SKIP_3) | instid1(VALU_DEP_2)
	v_sqrt_f32_e32 v27, v26
	s_waitcnt_depctr 0xfff
	v_add_nc_u32_e32 v28, -1, v27
	v_add_nc_u32_e32 v29, 1, v27
	v_fma_f32 v30, -v28, v27, v26
	s_delay_alu instid0(VALU_DEP_2) | instskip(NEXT) | instid1(VALU_DEP_2)
	v_fma_f32 v31, -v29, v27, v26
	v_cmp_ge_f32_e64 s3, 0, v30
	s_delay_alu instid0(VALU_DEP_1) | instskip(NEXT) | instid1(VALU_DEP_3)
	v_cndmask_b32_e64 v27, v27, v28, s3
	v_cmp_lt_f32_e64 s3, 0, v31
	s_delay_alu instid0(VALU_DEP_1) | instskip(NEXT) | instid1(VALU_DEP_1)
	v_cndmask_b32_e64 v27, v27, v29, s3
	v_mul_f32_e32 v28, 0x37800000, v27
	s_delay_alu instid0(VALU_DEP_1) | instskip(SKIP_1) | instid1(VALU_DEP_1)
	v_cndmask_b32_e64 v27, v27, v28, s2
	v_cmp_class_f32_e64 s2, v26, 0x260
	v_cndmask_b32_e64 v26, v27, v26, s2
	s_delay_alu instid0(VALU_DEP_1) | instskip(SKIP_1) | instid1(VALU_DEP_2)
	v_bfe_u32 v27, v26, 16, 1
	v_cmp_o_f32_e64 s2, v26, v26
	v_add3_u32 v27, v26, v27, 0x7fff
	s_delay_alu instid0(VALU_DEP_1) | instskip(NEXT) | instid1(VALU_DEP_1)
	v_lshrrev_b32_e32 v27, 16, v27
	v_cndmask_b32_e64 v28, 0x7fc0, v27, s2
	v_add_co_u32 v26, s2, v3, s12
	s_delay_alu instid0(VALU_DEP_1)
	v_add_co_ci_u32_e64 v27, s2, s13, v4, s2
	global_store_b16 v[26:27], v28, off
	s_or_b32 exec_lo, exec_lo, s10
	s_and_saveexec_b32 s3, s1
	s_cbranch_execz .LBB231_18
.LBB231_22:                             ;   in Loop: Header=BB231_9 Depth=1
	s_waitcnt vmcnt(0)
	v_lshlrev_b32_e32 v25, 16, v25
	s_delay_alu instid0(VALU_DEP_1) | instskip(SKIP_1) | instid1(VALU_DEP_1)
	v_mul_f32_e32 v26, 0x4f800000, v25
	v_cmp_gt_f32_e64 s1, 0xf800000, v25
	v_cndmask_b32_e64 v25, v25, v26, s1
	s_delay_alu instid0(VALU_DEP_1) | instskip(SKIP_3) | instid1(VALU_DEP_2)
	v_sqrt_f32_e32 v26, v25
	s_waitcnt_depctr 0xfff
	v_add_nc_u32_e32 v27, -1, v26
	v_add_nc_u32_e32 v28, 1, v26
	v_fma_f32 v29, -v27, v26, v25
	s_delay_alu instid0(VALU_DEP_2) | instskip(NEXT) | instid1(VALU_DEP_2)
	v_fma_f32 v30, -v28, v26, v25
	v_cmp_ge_f32_e64 s2, 0, v29
	s_delay_alu instid0(VALU_DEP_1) | instskip(NEXT) | instid1(VALU_DEP_3)
	v_cndmask_b32_e64 v26, v26, v27, s2
	v_cmp_lt_f32_e64 s2, 0, v30
	s_delay_alu instid0(VALU_DEP_1) | instskip(NEXT) | instid1(VALU_DEP_1)
	v_cndmask_b32_e64 v26, v26, v28, s2
	v_mul_f32_e32 v27, 0x37800000, v26
	s_delay_alu instid0(VALU_DEP_1) | instskip(SKIP_1) | instid1(VALU_DEP_1)
	v_cndmask_b32_e64 v26, v26, v27, s1
	v_cmp_class_f32_e64 s1, v25, 0x260
	v_cndmask_b32_e64 v25, v26, v25, s1
	s_delay_alu instid0(VALU_DEP_1) | instskip(SKIP_1) | instid1(VALU_DEP_2)
	v_bfe_u32 v26, v25, 16, 1
	v_cmp_o_f32_e64 s1, v25, v25
	v_add3_u32 v26, v25, v26, 0x7fff
	s_delay_alu instid0(VALU_DEP_1) | instskip(NEXT) | instid1(VALU_DEP_1)
	v_lshrrev_b32_e32 v26, 16, v26
	v_cndmask_b32_e64 v27, 0x7fc0, v26, s1
	v_add_co_u32 v25, s1, v21, s12
	s_delay_alu instid0(VALU_DEP_1)
	v_add_co_ci_u32_e64 v26, s1, s13, v22, s1
	global_store_b16 v[25:26], v27, off
	s_or_b32 exec_lo, exec_lo, s3
	s_and_saveexec_b32 s2, s0
	s_cbranch_execz .LBB231_19
.LBB231_23:                             ;   in Loop: Header=BB231_9 Depth=1
	s_waitcnt vmcnt(0)
	v_lshlrev_b32_e32 v24, 16, v24
	s_delay_alu instid0(VALU_DEP_1) | instskip(SKIP_1) | instid1(VALU_DEP_1)
	v_mul_f32_e32 v25, 0x4f800000, v24
	v_cmp_gt_f32_e64 s0, 0xf800000, v24
	v_cndmask_b32_e64 v24, v24, v25, s0
	s_delay_alu instid0(VALU_DEP_1) | instskip(SKIP_3) | instid1(VALU_DEP_2)
	v_sqrt_f32_e32 v25, v24
	s_waitcnt_depctr 0xfff
	v_add_nc_u32_e32 v26, -1, v25
	v_add_nc_u32_e32 v27, 1, v25
	v_fma_f32 v28, -v26, v25, v24
	s_delay_alu instid0(VALU_DEP_2) | instskip(NEXT) | instid1(VALU_DEP_2)
	v_fma_f32 v29, -v27, v25, v24
	v_cmp_ge_f32_e64 s1, 0, v28
	s_delay_alu instid0(VALU_DEP_1) | instskip(NEXT) | instid1(VALU_DEP_3)
	v_cndmask_b32_e64 v25, v25, v26, s1
	v_cmp_lt_f32_e64 s1, 0, v29
	s_delay_alu instid0(VALU_DEP_1) | instskip(NEXT) | instid1(VALU_DEP_1)
	v_cndmask_b32_e64 v25, v25, v27, s1
	v_mul_f32_e32 v26, 0x37800000, v25
	s_delay_alu instid0(VALU_DEP_1) | instskip(SKIP_1) | instid1(VALU_DEP_1)
	v_cndmask_b32_e64 v25, v25, v26, s0
	v_cmp_class_f32_e64 s0, v24, 0x260
	v_cndmask_b32_e64 v24, v25, v24, s0
	s_delay_alu instid0(VALU_DEP_1) | instskip(SKIP_1) | instid1(VALU_DEP_2)
	v_bfe_u32 v25, v24, 16, 1
	v_cmp_o_f32_e64 s0, v24, v24
	v_add3_u32 v25, v24, v25, 0x7fff
	s_delay_alu instid0(VALU_DEP_1) | instskip(NEXT) | instid1(VALU_DEP_1)
	v_lshrrev_b32_e32 v25, 16, v25
	v_cndmask_b32_e64 v26, 0x7fc0, v25, s0
	v_add_co_u32 v24, s0, v14, s12
	s_delay_alu instid0(VALU_DEP_1)
	v_add_co_ci_u32_e64 v25, s0, s13, v15, s0
	global_store_b16 v[24:25], v26, off
	s_or_b32 exec_lo, exec_lo, s2
	s_and_saveexec_b32 s1, vcc_lo
	s_cbranch_execz .LBB231_8
.LBB231_24:                             ;   in Loop: Header=BB231_9 Depth=1
	s_waitcnt vmcnt(0)
	v_lshlrev_b32_e32 v23, 16, v23
	s_delay_alu instid0(VALU_DEP_1) | instskip(SKIP_1) | instid1(VALU_DEP_2)
	v_mul_f32_e32 v24, 0x4f800000, v23
	v_cmp_gt_f32_e32 vcc_lo, 0xf800000, v23
	v_cndmask_b32_e32 v23, v23, v24, vcc_lo
	s_delay_alu instid0(VALU_DEP_1) | instskip(SKIP_3) | instid1(VALU_DEP_2)
	v_sqrt_f32_e32 v24, v23
	s_waitcnt_depctr 0xfff
	v_add_nc_u32_e32 v25, -1, v24
	v_add_nc_u32_e32 v26, 1, v24
	v_fma_f32 v27, -v25, v24, v23
	s_delay_alu instid0(VALU_DEP_2) | instskip(NEXT) | instid1(VALU_DEP_2)
	v_fma_f32 v28, -v26, v24, v23
	v_cmp_ge_f32_e64 s0, 0, v27
	s_delay_alu instid0(VALU_DEP_1) | instskip(NEXT) | instid1(VALU_DEP_3)
	v_cndmask_b32_e64 v24, v24, v25, s0
	v_cmp_lt_f32_e64 s0, 0, v28
	s_delay_alu instid0(VALU_DEP_1) | instskip(NEXT) | instid1(VALU_DEP_1)
	v_cndmask_b32_e64 v24, v24, v26, s0
	v_mul_f32_e32 v25, 0x37800000, v24
	s_delay_alu instid0(VALU_DEP_1) | instskip(SKIP_1) | instid1(VALU_DEP_2)
	v_cndmask_b32_e32 v24, v24, v25, vcc_lo
	v_cmp_class_f32_e64 vcc_lo, v23, 0x260
	v_cndmask_b32_e32 v23, v24, v23, vcc_lo
	s_delay_alu instid0(VALU_DEP_1) | instskip(SKIP_1) | instid1(VALU_DEP_2)
	v_bfe_u32 v24, v23, 16, 1
	v_cmp_o_f32_e32 vcc_lo, v23, v23
	v_add3_u32 v24, v23, v24, 0x7fff
	s_delay_alu instid0(VALU_DEP_1) | instskip(NEXT) | instid1(VALU_DEP_1)
	v_lshrrev_b32_e32 v24, 16, v24
	v_cndmask_b32_e32 v25, 0x7fc0, v24, vcc_lo
	v_add_co_u32 v23, vcc_lo, v7, s12
	v_add_co_ci_u32_e32 v24, vcc_lo, s13, v8, vcc_lo
	global_store_b16 v[23:24], v25, off
	s_branch .LBB231_8
.LBB231_25:
	s_nop 0
	s_sendmsg sendmsg(MSG_DEALLOC_VGPRS)
	s_endpgm
	.section	.rodata,"a",@progbits
	.p2align	6, 0x0
	.amdhsa_kernel _ZN2at6native12_GLOBAL__N_125multi_tensor_apply_kernelINS1_18TensorListMetadataILi2EEENS1_14UnaryOpFunctorIN3c108BFloat16ELi2ELi1ELi1EEEJNS0_4SqrtIfEEEEEvT_T0_DpT1_
		.amdhsa_group_segment_fixed_size 0
		.amdhsa_private_segment_fixed_size 0
		.amdhsa_kernarg_size 3408
		.amdhsa_user_sgpr_count 15
		.amdhsa_user_sgpr_dispatch_ptr 0
		.amdhsa_user_sgpr_queue_ptr 0
		.amdhsa_user_sgpr_kernarg_segment_ptr 1
		.amdhsa_user_sgpr_dispatch_id 0
		.amdhsa_user_sgpr_private_segment_size 0
		.amdhsa_wavefront_size32 1
		.amdhsa_uses_dynamic_stack 0
		.amdhsa_enable_private_segment 0
		.amdhsa_system_sgpr_workgroup_id_x 1
		.amdhsa_system_sgpr_workgroup_id_y 0
		.amdhsa_system_sgpr_workgroup_id_z 0
		.amdhsa_system_sgpr_workgroup_info 0
		.amdhsa_system_vgpr_workitem_id 0
		.amdhsa_next_free_vgpr 32
		.amdhsa_next_free_sgpr 23
		.amdhsa_reserve_vcc 1
		.amdhsa_float_round_mode_32 0
		.amdhsa_float_round_mode_16_64 0
		.amdhsa_float_denorm_mode_32 3
		.amdhsa_float_denorm_mode_16_64 3
		.amdhsa_dx10_clamp 1
		.amdhsa_ieee_mode 1
		.amdhsa_fp16_overflow 0
		.amdhsa_workgroup_processor_mode 1
		.amdhsa_memory_ordered 1
		.amdhsa_forward_progress 0
		.amdhsa_shared_vgpr_count 0
		.amdhsa_exception_fp_ieee_invalid_op 0
		.amdhsa_exception_fp_denorm_src 0
		.amdhsa_exception_fp_ieee_div_zero 0
		.amdhsa_exception_fp_ieee_overflow 0
		.amdhsa_exception_fp_ieee_underflow 0
		.amdhsa_exception_fp_ieee_inexact 0
		.amdhsa_exception_int_div_zero 0
	.end_amdhsa_kernel
	.section	.text._ZN2at6native12_GLOBAL__N_125multi_tensor_apply_kernelINS1_18TensorListMetadataILi2EEENS1_14UnaryOpFunctorIN3c108BFloat16ELi2ELi1ELi1EEEJNS0_4SqrtIfEEEEEvT_T0_DpT1_,"axG",@progbits,_ZN2at6native12_GLOBAL__N_125multi_tensor_apply_kernelINS1_18TensorListMetadataILi2EEENS1_14UnaryOpFunctorIN3c108BFloat16ELi2ELi1ELi1EEEJNS0_4SqrtIfEEEEEvT_T0_DpT1_,comdat
.Lfunc_end231:
	.size	_ZN2at6native12_GLOBAL__N_125multi_tensor_apply_kernelINS1_18TensorListMetadataILi2EEENS1_14UnaryOpFunctorIN3c108BFloat16ELi2ELi1ELi1EEEJNS0_4SqrtIfEEEEEvT_T0_DpT1_, .Lfunc_end231-_ZN2at6native12_GLOBAL__N_125multi_tensor_apply_kernelINS1_18TensorListMetadataILi2EEENS1_14UnaryOpFunctorIN3c108BFloat16ELi2ELi1ELi1EEEJNS0_4SqrtIfEEEEEvT_T0_DpT1_
                                        ; -- End function
	.section	.AMDGPU.csdata,"",@progbits
; Kernel info:
; codeLenInByte = 2936
; NumSgprs: 25
; NumVgprs: 32
; ScratchSize: 0
; MemoryBound: 0
; FloatMode: 240
; IeeeMode: 1
; LDSByteSize: 0 bytes/workgroup (compile time only)
; SGPRBlocks: 3
; VGPRBlocks: 3
; NumSGPRsForWavesPerEU: 25
; NumVGPRsForWavesPerEU: 32
; Occupancy: 16
; WaveLimiterHint : 0
; COMPUTE_PGM_RSRC2:SCRATCH_EN: 0
; COMPUTE_PGM_RSRC2:USER_SGPR: 15
; COMPUTE_PGM_RSRC2:TRAP_HANDLER: 0
; COMPUTE_PGM_RSRC2:TGID_X_EN: 1
; COMPUTE_PGM_RSRC2:TGID_Y_EN: 0
; COMPUTE_PGM_RSRC2:TGID_Z_EN: 0
; COMPUTE_PGM_RSRC2:TIDIG_COMP_CNT: 0
	.section	.text._ZN2at6native12_GLOBAL__N_125multi_tensor_apply_kernelINS1_18TensorListMetadataILi1EEENS1_14UnaryOpFunctorIdLi1ELi1ELi0EEEJNS0_4SqrtIdEEEEEvT_T0_DpT1_,"axG",@progbits,_ZN2at6native12_GLOBAL__N_125multi_tensor_apply_kernelINS1_18TensorListMetadataILi1EEENS1_14UnaryOpFunctorIdLi1ELi1ELi0EEEJNS0_4SqrtIdEEEEEvT_T0_DpT1_,comdat
	.globl	_ZN2at6native12_GLOBAL__N_125multi_tensor_apply_kernelINS1_18TensorListMetadataILi1EEENS1_14UnaryOpFunctorIdLi1ELi1ELi0EEEJNS0_4SqrtIdEEEEEvT_T0_DpT1_ ; -- Begin function _ZN2at6native12_GLOBAL__N_125multi_tensor_apply_kernelINS1_18TensorListMetadataILi1EEENS1_14UnaryOpFunctorIdLi1ELi1ELi0EEEJNS0_4SqrtIdEEEEEvT_T0_DpT1_
	.p2align	8
	.type	_ZN2at6native12_GLOBAL__N_125multi_tensor_apply_kernelINS1_18TensorListMetadataILi1EEENS1_14UnaryOpFunctorIdLi1ELi1ELi0EEEJNS0_4SqrtIdEEEEEvT_T0_DpT1_,@function
_ZN2at6native12_GLOBAL__N_125multi_tensor_apply_kernelINS1_18TensorListMetadataILi1EEENS1_14UnaryOpFunctorIdLi1ELi1ELi0EEEJNS0_4SqrtIdEEEEEvT_T0_DpT1_: ; @_ZN2at6native12_GLOBAL__N_125multi_tensor_apply_kernelINS1_18TensorListMetadataILi1EEENS1_14UnaryOpFunctorIdLi1ELi1ELi0EEEJNS0_4SqrtIdEEEEEvT_T0_DpT1_
; %bb.0:
	v_mov_b32_e32 v1, s15
	s_add_u32 s2, s0, s15
	s_mul_hi_u32 s3, s15, 3
	s_mul_i32 s15, s15, 3
	s_addc_u32 s4, s1, 0
	global_load_u8 v1, v1, s[0:1] offset:1760
	s_add_u32 s2, s2, s15
	s_addc_u32 s3, s4, s3
	s_mov_b32 s13, 0
	s_load_b32 s2, s[2:3], 0x820
	s_waitcnt vmcnt(0)
	v_readfirstlane_b32 s5, v1
	s_delay_alu instid0(VALU_DEP_1)
	s_lshl_b32 s3, s5, 3
	s_clause 0x1
	s_load_b64 s[8:9], s[0:1], s3 offset:0x0
	s_load_b64 s[4:5], s[0:1], s3 offset:0x370
	s_waitcnt lgkmcnt(0)
	s_ashr_i32 s3, s2, 31
	s_delay_alu instid0(SALU_CYCLE_1)
	s_lshl_b64 s[10:11], s[2:3], 19
	s_lshl_b64 s[2:3], s[2:3], 16
	s_and_b32 s12, s8, 31
	s_sub_u32 s6, s4, s2
	s_subb_u32 s7, s5, s3
	s_and_b32 s2, s4, 3
	s_mov_b32 s3, s13
	s_delay_alu instid0(SALU_CYCLE_1) | instskip(NEXT) | instid1(SALU_CYCLE_1)
	s_or_b64 s[2:3], s[12:13], s[2:3]
	s_cmp_eq_u64 s[2:3], 0
	s_cbranch_scc1 .LBB232_21
; %bb.1:
	v_cmp_lt_i64_e64 s2, s[6:7], 1
	s_delay_alu instid0(VALU_DEP_1)
	s_and_b32 vcc_lo, exec_lo, s2
	s_cbranch_vccnz .LBB232_20
; %bb.2:
	s_load_b32 s2, s[0:1], 0xd3c
	v_cmp_gt_u64_e64 s3, 0x10000, s[6:7]
	v_lshlrev_b32_e32 v1, 3, v0
	s_waitcnt lgkmcnt(0)
	s_and_b32 s2, s2, 0xffff
	s_delay_alu instid0(VALU_DEP_2)
	s_and_b32 s3, s3, exec_lo
	v_add_co_u32 v13, s5, v0, s2
	s_cselect_b32 s13, s7, 0
	s_cselect_b32 s12, s6, 0x10000
	s_lshl_b32 s3, s2, 1
	s_lshl_b32 s16, s2, 2
	v_lshlrev_b32_e32 v3, 3, v13
	v_add_co_ci_u32_e64 v14, null, 0, 0, s5
	s_add_u32 s5, s8, s10
	v_add_co_u32 v17, s3, s3, v0
	s_mul_i32 s4, s2, 3
	s_addc_u32 s14, s9, s11
	v_add_co_ci_u32_e64 v18, null, 0, 0, s3
	v_add_co_u32 v1, s3, s5, v1
	v_add_co_u32 v15, s4, s4, v0
	v_add_co_ci_u32_e64 v2, null, s14, 0, s3
	v_add_co_u32 v3, s3, s5, v3
	v_add_co_ci_u32_e64 v16, null, 0, 0, s4
	v_add_co_ci_u32_e64 v4, null, s14, 0, s3
	s_lshl_b32 s17, s2, 5
	s_mul_i32 s18, s2, 24
	s_lshl_b32 s19, s2, 4
	s_mov_b64 s[14:15], 0
	s_branch .LBB232_4
.LBB232_3:                              ;   in Loop: Header=BB232_4 Depth=1
	s_or_b32 exec_lo, exec_lo, s2
	s_add_u32 s14, s14, s16
	s_addc_u32 s15, s15, 0
	v_add_co_u32 v1, vcc_lo, v1, s17
	v_cmp_lt_i64_e64 s2, s[14:15], s[6:7]
	v_cmp_gt_u64_e64 s3, 0x10000, s[14:15]
	v_add_co_ci_u32_e32 v2, vcc_lo, 0, v2, vcc_lo
	v_add_co_u32 v3, vcc_lo, v3, s17
	v_add_co_ci_u32_e32 v4, vcc_lo, 0, v4, vcc_lo
	s_delay_alu instid0(VALU_DEP_4) | instskip(NEXT) | instid1(SALU_CYCLE_1)
	s_and_b32 s2, s2, s3
	s_and_b32 vcc_lo, exec_lo, s2
	s_cbranch_vccz .LBB232_20
.LBB232_4:                              ; =>This Inner Loop Header: Depth=1
	s_waitcnt vmcnt(0)
	v_add_co_u32 v5, s2, v0, s14
	s_delay_alu instid0(VALU_DEP_1) | instskip(SKIP_2) | instid1(VALU_DEP_3)
	v_add_co_ci_u32_e64 v6, null, 0, s15, s2
	v_mov_b32_e32 v7, 0
	v_mov_b32_e32 v8, 0
	v_cmp_gt_u64_e64 s4, s[12:13], v[5:6]
	s_delay_alu instid0(VALU_DEP_2) | instskip(NEXT) | instid1(VALU_DEP_2)
	v_dual_mov_b32 v12, v8 :: v_dual_mov_b32 v11, v7
	s_and_saveexec_b32 s2, s4
	s_cbranch_execz .LBB232_6
; %bb.5:                                ;   in Loop: Header=BB232_4 Depth=1
	global_load_b64 v[11:12], v[1:2], off
.LBB232_6:                              ;   in Loop: Header=BB232_4 Depth=1
	s_or_b32 exec_lo, exec_lo, s2
	v_add_co_u32 v5, vcc_lo, v13, s14
	v_add_co_ci_u32_e32 v6, vcc_lo, s15, v14, vcc_lo
	s_delay_alu instid0(VALU_DEP_1) | instskip(NEXT) | instid1(VALU_DEP_1)
	v_cmp_gt_u64_e64 s3, s[12:13], v[5:6]
	s_and_saveexec_b32 s2, s3
	s_cbranch_execz .LBB232_8
; %bb.7:                                ;   in Loop: Header=BB232_4 Depth=1
	global_load_b64 v[7:8], v[3:4], off
.LBB232_8:                              ;   in Loop: Header=BB232_4 Depth=1
	s_or_b32 exec_lo, exec_lo, s2
	v_add_co_u32 v9, vcc_lo, v17, s14
	v_add_co_ci_u32_e32 v10, vcc_lo, s15, v18, vcc_lo
	v_mov_b32_e32 v5, 0
	v_mov_b32_e32 v6, 0
	s_delay_alu instid0(VALU_DEP_3) | instskip(NEXT) | instid1(VALU_DEP_2)
	v_cmp_gt_u64_e64 s2, s[12:13], v[9:10]
	v_dual_mov_b32 v10, v6 :: v_dual_mov_b32 v9, v5
	s_delay_alu instid0(VALU_DEP_2)
	s_and_saveexec_b32 s5, s2
	s_cbranch_execz .LBB232_10
; %bb.9:                                ;   in Loop: Header=BB232_4 Depth=1
	v_add_co_u32 v9, vcc_lo, v1, s19
	v_add_co_ci_u32_e32 v10, vcc_lo, 0, v2, vcc_lo
	global_load_b64 v[9:10], v[9:10], off
.LBB232_10:                             ;   in Loop: Header=BB232_4 Depth=1
	s_or_b32 exec_lo, exec_lo, s5
	v_add_co_u32 v19, vcc_lo, v15, s14
	v_add_co_ci_u32_e32 v20, vcc_lo, s15, v16, vcc_lo
	s_delay_alu instid0(VALU_DEP_1)
	v_cmp_gt_u64_e32 vcc_lo, s[12:13], v[19:20]
	s_and_saveexec_b32 s20, vcc_lo
	s_cbranch_execnz .LBB232_15
; %bb.11:                               ;   in Loop: Header=BB232_4 Depth=1
	s_or_b32 exec_lo, exec_lo, s20
	s_and_saveexec_b32 s5, s4
	s_cbranch_execnz .LBB232_16
.LBB232_12:                             ;   in Loop: Header=BB232_4 Depth=1
	s_or_b32 exec_lo, exec_lo, s5
	s_and_saveexec_b32 s4, s3
	s_cbranch_execnz .LBB232_17
.LBB232_13:                             ;   in Loop: Header=BB232_4 Depth=1
	s_or_b32 exec_lo, exec_lo, s4
	s_and_saveexec_b32 s3, s2
	s_cbranch_execnz .LBB232_18
.LBB232_14:                             ;   in Loop: Header=BB232_4 Depth=1
	s_or_b32 exec_lo, exec_lo, s3
	s_and_saveexec_b32 s2, vcc_lo
	s_cbranch_execz .LBB232_3
	s_branch .LBB232_19
.LBB232_15:                             ;   in Loop: Header=BB232_4 Depth=1
	v_add_co_u32 v5, s5, v1, s18
	s_delay_alu instid0(VALU_DEP_1)
	v_add_co_ci_u32_e64 v6, s5, 0, v2, s5
	global_load_b64 v[5:6], v[5:6], off
	s_or_b32 exec_lo, exec_lo, s20
	s_and_saveexec_b32 s5, s4
	s_cbranch_execz .LBB232_12
.LBB232_16:                             ;   in Loop: Header=BB232_4 Depth=1
	s_waitcnt vmcnt(0)
	v_cmp_gt_f64_e64 s4, 0x10000000, v[11:12]
	s_delay_alu instid0(VALU_DEP_1) | instskip(NEXT) | instid1(VALU_DEP_1)
	v_cndmask_b32_e64 v19, 0, 1, s4
	v_lshlrev_b32_e32 v19, 8, v19
	s_delay_alu instid0(VALU_DEP_1) | instskip(NEXT) | instid1(VALU_DEP_1)
	v_ldexp_f64 v[11:12], v[11:12], v19
	v_rsq_f64_e32 v[19:20], v[11:12]
	s_waitcnt_depctr 0xfff
	v_mul_f64 v[21:22], v[11:12], v[19:20]
	v_mul_f64 v[19:20], v[19:20], 0.5
	s_delay_alu instid0(VALU_DEP_1) | instskip(NEXT) | instid1(VALU_DEP_1)
	v_fma_f64 v[23:24], -v[19:20], v[21:22], 0.5
	v_fma_f64 v[21:22], v[21:22], v[23:24], v[21:22]
	v_fma_f64 v[19:20], v[19:20], v[23:24], v[19:20]
	s_delay_alu instid0(VALU_DEP_2) | instskip(NEXT) | instid1(VALU_DEP_1)
	v_fma_f64 v[23:24], -v[21:22], v[21:22], v[11:12]
	v_fma_f64 v[21:22], v[23:24], v[19:20], v[21:22]
	s_delay_alu instid0(VALU_DEP_1) | instskip(NEXT) | instid1(VALU_DEP_1)
	v_fma_f64 v[23:24], -v[21:22], v[21:22], v[11:12]
	v_fma_f64 v[19:20], v[23:24], v[19:20], v[21:22]
	v_cndmask_b32_e64 v21, 0, 0xffffff80, s4
	v_cmp_class_f64_e64 s4, v[11:12], 0x260
	s_delay_alu instid0(VALU_DEP_2) | instskip(NEXT) | instid1(VALU_DEP_1)
	v_ldexp_f64 v[19:20], v[19:20], v21
	v_cndmask_b32_e64 v12, v20, v12, s4
	s_delay_alu instid0(VALU_DEP_2)
	v_cndmask_b32_e64 v11, v19, v11, s4
	global_store_b64 v[1:2], v[11:12], off
	s_or_b32 exec_lo, exec_lo, s5
	s_and_saveexec_b32 s4, s3
	s_cbranch_execz .LBB232_13
.LBB232_17:                             ;   in Loop: Header=BB232_4 Depth=1
	s_waitcnt vmcnt(0)
	v_cmp_gt_f64_e64 s3, 0x10000000, v[7:8]
	s_delay_alu instid0(VALU_DEP_1) | instskip(NEXT) | instid1(VALU_DEP_1)
	v_cndmask_b32_e64 v11, 0, 1, s3
	v_lshlrev_b32_e32 v11, 8, v11
	s_delay_alu instid0(VALU_DEP_1) | instskip(NEXT) | instid1(VALU_DEP_1)
	v_ldexp_f64 v[7:8], v[7:8], v11
	v_rsq_f64_e32 v[11:12], v[7:8]
	s_waitcnt_depctr 0xfff
	v_mul_f64 v[19:20], v[7:8], v[11:12]
	v_mul_f64 v[11:12], v[11:12], 0.5
	s_delay_alu instid0(VALU_DEP_1) | instskip(NEXT) | instid1(VALU_DEP_1)
	v_fma_f64 v[21:22], -v[11:12], v[19:20], 0.5
	v_fma_f64 v[19:20], v[19:20], v[21:22], v[19:20]
	v_fma_f64 v[11:12], v[11:12], v[21:22], v[11:12]
	s_delay_alu instid0(VALU_DEP_2) | instskip(NEXT) | instid1(VALU_DEP_1)
	v_fma_f64 v[21:22], -v[19:20], v[19:20], v[7:8]
	v_fma_f64 v[19:20], v[21:22], v[11:12], v[19:20]
	s_delay_alu instid0(VALU_DEP_1) | instskip(NEXT) | instid1(VALU_DEP_1)
	v_fma_f64 v[21:22], -v[19:20], v[19:20], v[7:8]
	v_fma_f64 v[11:12], v[21:22], v[11:12], v[19:20]
	v_cndmask_b32_e64 v19, 0, 0xffffff80, s3
	v_cmp_class_f64_e64 s3, v[7:8], 0x260
	s_delay_alu instid0(VALU_DEP_2) | instskip(NEXT) | instid1(VALU_DEP_1)
	v_ldexp_f64 v[11:12], v[11:12], v19
	v_cndmask_b32_e64 v8, v12, v8, s3
	s_delay_alu instid0(VALU_DEP_2)
	v_cndmask_b32_e64 v7, v11, v7, s3
	global_store_b64 v[3:4], v[7:8], off
	s_or_b32 exec_lo, exec_lo, s4
	s_and_saveexec_b32 s3, s2
	s_cbranch_execz .LBB232_14
.LBB232_18:                             ;   in Loop: Header=BB232_4 Depth=1
	s_waitcnt vmcnt(0)
	v_cmp_gt_f64_e64 s2, 0x10000000, v[9:10]
	s_delay_alu instid0(VALU_DEP_1) | instskip(NEXT) | instid1(VALU_DEP_1)
	v_cndmask_b32_e64 v7, 0, 1, s2
	v_lshlrev_b32_e32 v7, 8, v7
	s_delay_alu instid0(VALU_DEP_1) | instskip(NEXT) | instid1(VALU_DEP_1)
	v_ldexp_f64 v[7:8], v[9:10], v7
	v_rsq_f64_e32 v[9:10], v[7:8]
	s_waitcnt_depctr 0xfff
	v_mul_f64 v[11:12], v[7:8], v[9:10]
	v_mul_f64 v[9:10], v[9:10], 0.5
	s_delay_alu instid0(VALU_DEP_1) | instskip(NEXT) | instid1(VALU_DEP_1)
	v_fma_f64 v[19:20], -v[9:10], v[11:12], 0.5
	v_fma_f64 v[11:12], v[11:12], v[19:20], v[11:12]
	v_fma_f64 v[9:10], v[9:10], v[19:20], v[9:10]
	s_delay_alu instid0(VALU_DEP_2) | instskip(NEXT) | instid1(VALU_DEP_1)
	v_fma_f64 v[19:20], -v[11:12], v[11:12], v[7:8]
	v_fma_f64 v[11:12], v[19:20], v[9:10], v[11:12]
	s_delay_alu instid0(VALU_DEP_1) | instskip(NEXT) | instid1(VALU_DEP_1)
	v_fma_f64 v[19:20], -v[11:12], v[11:12], v[7:8]
	v_fma_f64 v[9:10], v[19:20], v[9:10], v[11:12]
	v_cndmask_b32_e64 v11, 0, 0xffffff80, s2
	v_cmp_class_f64_e64 s2, v[7:8], 0x260
	s_delay_alu instid0(VALU_DEP_2) | instskip(NEXT) | instid1(VALU_DEP_1)
	v_ldexp_f64 v[9:10], v[9:10], v11
	v_cndmask_b32_e64 v8, v10, v8, s2
	s_delay_alu instid0(VALU_DEP_2) | instskip(SKIP_1) | instid1(VALU_DEP_1)
	v_cndmask_b32_e64 v7, v9, v7, s2
	v_add_co_u32 v9, s2, v1, s19
	v_add_co_ci_u32_e64 v10, s2, 0, v2, s2
	global_store_b64 v[9:10], v[7:8], off
	s_or_b32 exec_lo, exec_lo, s3
	s_and_saveexec_b32 s2, vcc_lo
	s_cbranch_execz .LBB232_3
.LBB232_19:                             ;   in Loop: Header=BB232_4 Depth=1
	s_waitcnt vmcnt(0)
	v_cmp_gt_f64_e32 vcc_lo, 0x10000000, v[5:6]
	v_cndmask_b32_e64 v7, 0, 1, vcc_lo
	s_delay_alu instid0(VALU_DEP_1) | instskip(NEXT) | instid1(VALU_DEP_1)
	v_lshlrev_b32_e32 v7, 8, v7
	v_ldexp_f64 v[5:6], v[5:6], v7
	s_delay_alu instid0(VALU_DEP_1) | instskip(SKIP_3) | instid1(VALU_DEP_1)
	v_rsq_f64_e32 v[7:8], v[5:6]
	s_waitcnt_depctr 0xfff
	v_mul_f64 v[9:10], v[5:6], v[7:8]
	v_mul_f64 v[7:8], v[7:8], 0.5
	v_fma_f64 v[11:12], -v[7:8], v[9:10], 0.5
	s_delay_alu instid0(VALU_DEP_1) | instskip(SKIP_1) | instid1(VALU_DEP_2)
	v_fma_f64 v[9:10], v[9:10], v[11:12], v[9:10]
	v_fma_f64 v[7:8], v[7:8], v[11:12], v[7:8]
	v_fma_f64 v[11:12], -v[9:10], v[9:10], v[5:6]
	s_delay_alu instid0(VALU_DEP_1) | instskip(NEXT) | instid1(VALU_DEP_1)
	v_fma_f64 v[9:10], v[11:12], v[7:8], v[9:10]
	v_fma_f64 v[11:12], -v[9:10], v[9:10], v[5:6]
	s_delay_alu instid0(VALU_DEP_1) | instskip(SKIP_2) | instid1(VALU_DEP_2)
	v_fma_f64 v[7:8], v[11:12], v[7:8], v[9:10]
	v_cndmask_b32_e64 v9, 0, 0xffffff80, vcc_lo
	v_cmp_class_f64_e64 vcc_lo, v[5:6], 0x260
	v_ldexp_f64 v[7:8], v[7:8], v9
	s_delay_alu instid0(VALU_DEP_1)
	v_dual_cndmask_b32 v6, v8, v6 :: v_dual_cndmask_b32 v5, v7, v5
	v_add_co_u32 v7, vcc_lo, v1, s18
	v_add_co_ci_u32_e32 v8, vcc_lo, 0, v2, vcc_lo
	global_store_b64 v[7:8], v[5:6], off
	s_branch .LBB232_3
.LBB232_20:
	s_cbranch_execz .LBB232_22
	s_branch .LBB232_25
.LBB232_21:
.LBB232_22:
	v_dual_mov_b32 v2, 0 :: v_dual_lshlrev_b32 v1, 2, v0
	s_mov_b32 s5, 0
	s_mov_b32 s2, exec_lo
	s_delay_alu instid0(VALU_DEP_1)
	v_cmpx_gt_i64_e64 s[6:7], v[1:2]
	s_cbranch_execz .LBB232_25
; %bb.23:
	s_load_b32 s0, s[0:1], 0xd3c
	v_lshlrev_b32_e32 v1, 5, v0
	s_waitcnt lgkmcnt(0)
	s_and_b32 s0, s0, 0xffff
	s_delay_alu instid0(SALU_CYCLE_1) | instskip(SKIP_3) | instid1(VALU_DEP_1)
	s_lshl_b32 s12, s0, 2
	s_add_u32 s1, s8, s10
	s_addc_u32 s2, s9, s11
	v_add_co_u32 v3, s1, s1, v1
	v_add_co_ci_u32_e64 v4, null, s2, 0, s1
	v_add_lshl_u32 v1, v0, s0, 2
	s_delay_alu instid0(VALU_DEP_3) | instskip(NEXT) | instid1(VALU_DEP_3)
	v_add_co_u32 v3, vcc_lo, v3, 16
	v_add_co_ci_u32_e32 v4, vcc_lo, 0, v4, vcc_lo
	s_lshl_b32 s8, s0, 5
.LBB232_24:                             ; =>This Inner Loop Header: Depth=1
	s_clause 0x1
	global_load_b128 v[5:8], v[3:4], off offset:-16
	global_load_b128 v[9:12], v[3:4], off
	v_cmp_le_i64_e64 s3, s[6:7], v[1:2]
	v_cmp_lt_u64_e64 s4, 0xffff, v[1:2]
	s_waitcnt vmcnt(1)
	v_cmp_gt_f64_e32 vcc_lo, 0x10000000, v[5:6]
	s_waitcnt vmcnt(0)
	v_cmp_gt_f64_e64 s2, 0x10000000, v[11:12]
	v_cmp_gt_f64_e64 s0, 0x10000000, v[7:8]
	;; [unrolled: 1-line block ×3, first 2 shown]
	v_cndmask_b32_e64 v0, 0, 1, vcc_lo
	s_delay_alu instid0(VALU_DEP_4) | instskip(NEXT) | instid1(VALU_DEP_4)
	v_cndmask_b32_e64 v15, 0, 1, s2
	v_cndmask_b32_e64 v13, 0, 1, s0
	s_delay_alu instid0(VALU_DEP_4) | instskip(NEXT) | instid1(VALU_DEP_4)
	v_cndmask_b32_e64 v14, 0, 1, s1
	v_lshlrev_b32_e32 v0, 8, v0
	s_delay_alu instid0(VALU_DEP_2) | instskip(NEXT) | instid1(VALU_DEP_2)
	v_lshlrev_b32_e32 v14, 8, v14
	v_ldexp_f64 v[5:6], v[5:6], v0
	v_lshlrev_b32_e32 v0, 8, v15
	s_delay_alu instid0(VALU_DEP_3) | instskip(NEXT) | instid1(VALU_DEP_2)
	v_ldexp_f64 v[9:10], v[9:10], v14
	v_ldexp_f64 v[11:12], v[11:12], v0
	v_cndmask_b32_e64 v0, 0, 0xffffff80, vcc_lo
	v_cmp_class_f64_e64 vcc_lo, v[5:6], 0x260
	v_lshlrev_b32_e32 v13, 8, v13
	v_rsq_f64_e32 v[17:18], v[9:10]
	s_delay_alu instid0(VALU_DEP_1) | instskip(SKIP_2) | instid1(TRANS32_DEP_3)
	v_ldexp_f64 v[7:8], v[7:8], v13
	v_rsq_f64_e32 v[13:14], v[5:6]
	v_rsq_f64_e32 v[19:20], v[11:12]
	v_mul_f64 v[25:26], v[9:10], v[17:18]
	s_delay_alu instid0(VALU_DEP_2) | instskip(SKIP_1) | instid1(TRANS32_DEP_3)
	v_rsq_f64_e32 v[15:16], v[7:8]
	v_mul_f64 v[17:18], v[17:18], 0.5
	v_mul_f64 v[21:22], v[5:6], v[13:14]
	v_mul_f64 v[13:14], v[13:14], 0.5
	s_waitcnt_depctr 0xfff
	v_mul_f64 v[27:28], v[11:12], v[19:20]
	v_mul_f64 v[19:20], v[19:20], 0.5
	v_fma_f64 v[33:34], -v[17:18], v[25:26], 0.5
	v_mul_f64 v[23:24], v[7:8], v[15:16]
	v_mul_f64 v[15:16], v[15:16], 0.5
	v_fma_f64 v[29:30], -v[13:14], v[21:22], 0.5
	v_fma_f64 v[35:36], -v[19:20], v[27:28], 0.5
	v_fma_f64 v[25:26], v[25:26], v[33:34], v[25:26]
	v_fma_f64 v[17:18], v[17:18], v[33:34], v[17:18]
	v_fma_f64 v[31:32], -v[15:16], v[23:24], 0.5
	v_fma_f64 v[21:22], v[21:22], v[29:30], v[21:22]
	v_fma_f64 v[13:14], v[13:14], v[29:30], v[13:14]
	;; [unrolled: 1-line block ×4, first 2 shown]
	v_fma_f64 v[33:34], -v[25:26], v[25:26], v[9:10]
	v_fma_f64 v[23:24], v[23:24], v[31:32], v[23:24]
	v_fma_f64 v[29:30], -v[21:22], v[21:22], v[5:6]
	v_fma_f64 v[15:16], v[15:16], v[31:32], v[15:16]
	;; [unrolled: 2-line block ×4, first 2 shown]
	s_delay_alu instid0(VALU_DEP_4) | instskip(NEXT) | instid1(VALU_DEP_4)
	v_fma_f64 v[27:28], v[35:36], v[19:20], v[27:28]
	v_fma_f64 v[33:34], -v[25:26], v[25:26], v[9:10]
	s_delay_alu instid0(VALU_DEP_4) | instskip(NEXT) | instid1(VALU_DEP_4)
	v_fma_f64 v[23:24], v[31:32], v[15:16], v[23:24]
	v_fma_f64 v[29:30], -v[21:22], v[21:22], v[5:6]
	s_delay_alu instid0(VALU_DEP_4) | instskip(NEXT) | instid1(VALU_DEP_4)
	v_fma_f64 v[35:36], -v[27:28], v[27:28], v[11:12]
	v_fma_f64 v[17:18], v[33:34], v[17:18], v[25:26]
	s_delay_alu instid0(VALU_DEP_4) | instskip(NEXT) | instid1(VALU_DEP_4)
	v_fma_f64 v[31:32], -v[23:24], v[23:24], v[7:8]
	v_fma_f64 v[13:14], v[29:30], v[13:14], v[21:22]
	v_cndmask_b32_e64 v21, 0, 0xffffff80, s0
	v_fma_f64 v[19:20], v[35:36], v[19:20], v[27:28]
	v_cndmask_b32_e64 v22, 0, 0xffffff80, s1
	v_cmp_class_f64_e64 s0, v[7:8], 0x260
	v_cmp_class_f64_e64 s1, v[9:10], 0x260
	s_delay_alu instid0(VALU_DEP_3) | instskip(SKIP_4) | instid1(VALU_DEP_3)
	v_ldexp_f64 v[17:18], v[17:18], v22
	v_fma_f64 v[15:16], v[31:32], v[15:16], v[23:24]
	v_cndmask_b32_e64 v23, 0, 0xffffff80, s2
	v_ldexp_f64 v[13:14], v[13:14], v0
	v_cmp_class_f64_e64 s2, v[11:12], 0x260
	v_ldexp_f64 v[19:20], v[19:20], v23
	v_cndmask_b32_e64 v10, v18, v10, s1
	v_cndmask_b32_e64 v9, v17, v9, s1
	v_ldexp_f64 v[15:16], v[15:16], v21
	v_dual_cndmask_b32 v6, v14, v6 :: v_dual_cndmask_b32 v5, v13, v5
	v_add_co_u32 v1, vcc_lo, v1, s12
	v_cndmask_b32_e64 v12, v20, v12, s2
	v_cndmask_b32_e64 v11, v19, v11, s2
	v_add_co_ci_u32_e32 v2, vcc_lo, 0, v2, vcc_lo
	v_cndmask_b32_e64 v8, v16, v8, s0
	v_cndmask_b32_e64 v7, v15, v7, s0
	s_or_b32 s0, s3, s4
	s_clause 0x1
	global_store_b128 v[3:4], v[5:8], off offset:-16
	global_store_b128 v[3:4], v[9:12], off
	v_add_co_u32 v3, vcc_lo, v3, s8
	v_add_co_ci_u32_e32 v4, vcc_lo, 0, v4, vcc_lo
	s_and_b32 s0, exec_lo, s0
	s_delay_alu instid0(SALU_CYCLE_1) | instskip(NEXT) | instid1(SALU_CYCLE_1)
	s_or_b32 s5, s0, s5
	s_and_not1_b32 exec_lo, exec_lo, s5
	s_cbranch_execnz .LBB232_24
.LBB232_25:
	s_nop 0
	s_sendmsg sendmsg(MSG_DEALLOC_VGPRS)
	s_endpgm
	.section	.rodata,"a",@progbits
	.p2align	6, 0x0
	.amdhsa_kernel _ZN2at6native12_GLOBAL__N_125multi_tensor_apply_kernelINS1_18TensorListMetadataILi1EEENS1_14UnaryOpFunctorIdLi1ELi1ELi0EEEJNS0_4SqrtIdEEEEEvT_T0_DpT1_
		.amdhsa_group_segment_fixed_size 0
		.amdhsa_private_segment_fixed_size 0
		.amdhsa_kernarg_size 3632
		.amdhsa_user_sgpr_count 15
		.amdhsa_user_sgpr_dispatch_ptr 0
		.amdhsa_user_sgpr_queue_ptr 0
		.amdhsa_user_sgpr_kernarg_segment_ptr 1
		.amdhsa_user_sgpr_dispatch_id 0
		.amdhsa_user_sgpr_private_segment_size 0
		.amdhsa_wavefront_size32 1
		.amdhsa_uses_dynamic_stack 0
		.amdhsa_enable_private_segment 0
		.amdhsa_system_sgpr_workgroup_id_x 1
		.amdhsa_system_sgpr_workgroup_id_y 0
		.amdhsa_system_sgpr_workgroup_id_z 0
		.amdhsa_system_sgpr_workgroup_info 0
		.amdhsa_system_vgpr_workitem_id 0
		.amdhsa_next_free_vgpr 37
		.amdhsa_next_free_sgpr 21
		.amdhsa_reserve_vcc 1
		.amdhsa_float_round_mode_32 0
		.amdhsa_float_round_mode_16_64 0
		.amdhsa_float_denorm_mode_32 3
		.amdhsa_float_denorm_mode_16_64 3
		.amdhsa_dx10_clamp 1
		.amdhsa_ieee_mode 1
		.amdhsa_fp16_overflow 0
		.amdhsa_workgroup_processor_mode 1
		.amdhsa_memory_ordered 1
		.amdhsa_forward_progress 0
		.amdhsa_shared_vgpr_count 0
		.amdhsa_exception_fp_ieee_invalid_op 0
		.amdhsa_exception_fp_denorm_src 0
		.amdhsa_exception_fp_ieee_div_zero 0
		.amdhsa_exception_fp_ieee_overflow 0
		.amdhsa_exception_fp_ieee_underflow 0
		.amdhsa_exception_fp_ieee_inexact 0
		.amdhsa_exception_int_div_zero 0
	.end_amdhsa_kernel
	.section	.text._ZN2at6native12_GLOBAL__N_125multi_tensor_apply_kernelINS1_18TensorListMetadataILi1EEENS1_14UnaryOpFunctorIdLi1ELi1ELi0EEEJNS0_4SqrtIdEEEEEvT_T0_DpT1_,"axG",@progbits,_ZN2at6native12_GLOBAL__N_125multi_tensor_apply_kernelINS1_18TensorListMetadataILi1EEENS1_14UnaryOpFunctorIdLi1ELi1ELi0EEEJNS0_4SqrtIdEEEEEvT_T0_DpT1_,comdat
.Lfunc_end232:
	.size	_ZN2at6native12_GLOBAL__N_125multi_tensor_apply_kernelINS1_18TensorListMetadataILi1EEENS1_14UnaryOpFunctorIdLi1ELi1ELi0EEEJNS0_4SqrtIdEEEEEvT_T0_DpT1_, .Lfunc_end232-_ZN2at6native12_GLOBAL__N_125multi_tensor_apply_kernelINS1_18TensorListMetadataILi1EEENS1_14UnaryOpFunctorIdLi1ELi1ELi0EEEJNS0_4SqrtIdEEEEEvT_T0_DpT1_
                                        ; -- End function
	.section	.AMDGPU.csdata,"",@progbits
; Kernel info:
; codeLenInByte = 2488
; NumSgprs: 23
; NumVgprs: 37
; ScratchSize: 0
; MemoryBound: 0
; FloatMode: 240
; IeeeMode: 1
; LDSByteSize: 0 bytes/workgroup (compile time only)
; SGPRBlocks: 2
; VGPRBlocks: 4
; NumSGPRsForWavesPerEU: 23
; NumVGPRsForWavesPerEU: 37
; Occupancy: 16
; WaveLimiterHint : 0
; COMPUTE_PGM_RSRC2:SCRATCH_EN: 0
; COMPUTE_PGM_RSRC2:USER_SGPR: 15
; COMPUTE_PGM_RSRC2:TRAP_HANDLER: 0
; COMPUTE_PGM_RSRC2:TGID_X_EN: 1
; COMPUTE_PGM_RSRC2:TGID_Y_EN: 0
; COMPUTE_PGM_RSRC2:TGID_Z_EN: 0
; COMPUTE_PGM_RSRC2:TIDIG_COMP_CNT: 0
	.section	.text._ZN2at6native12_GLOBAL__N_125multi_tensor_apply_kernelINS1_18TensorListMetadataILi1EEENS1_14UnaryOpFunctorIfLi1ELi1ELi0EEEJNS0_4SqrtIfEEEEEvT_T0_DpT1_,"axG",@progbits,_ZN2at6native12_GLOBAL__N_125multi_tensor_apply_kernelINS1_18TensorListMetadataILi1EEENS1_14UnaryOpFunctorIfLi1ELi1ELi0EEEJNS0_4SqrtIfEEEEEvT_T0_DpT1_,comdat
	.globl	_ZN2at6native12_GLOBAL__N_125multi_tensor_apply_kernelINS1_18TensorListMetadataILi1EEENS1_14UnaryOpFunctorIfLi1ELi1ELi0EEEJNS0_4SqrtIfEEEEEvT_T0_DpT1_ ; -- Begin function _ZN2at6native12_GLOBAL__N_125multi_tensor_apply_kernelINS1_18TensorListMetadataILi1EEENS1_14UnaryOpFunctorIfLi1ELi1ELi0EEEJNS0_4SqrtIfEEEEEvT_T0_DpT1_
	.p2align	8
	.type	_ZN2at6native12_GLOBAL__N_125multi_tensor_apply_kernelINS1_18TensorListMetadataILi1EEENS1_14UnaryOpFunctorIfLi1ELi1ELi0EEEJNS0_4SqrtIfEEEEEvT_T0_DpT1_,@function
_ZN2at6native12_GLOBAL__N_125multi_tensor_apply_kernelINS1_18TensorListMetadataILi1EEENS1_14UnaryOpFunctorIfLi1ELi1ELi0EEEJNS0_4SqrtIfEEEEEvT_T0_DpT1_: ; @_ZN2at6native12_GLOBAL__N_125multi_tensor_apply_kernelINS1_18TensorListMetadataILi1EEENS1_14UnaryOpFunctorIfLi1ELi1ELi0EEEJNS0_4SqrtIfEEEEEvT_T0_DpT1_
; %bb.0:
	v_mov_b32_e32 v1, s15
	s_add_u32 s2, s0, s15
	s_mul_hi_u32 s3, s15, 3
	s_mul_i32 s15, s15, 3
	s_addc_u32 s4, s1, 0
	global_load_u8 v1, v1, s[0:1] offset:1760
	s_add_u32 s2, s2, s15
	s_addc_u32 s3, s4, s3
	s_mov_b32 s13, 0
	s_load_b32 s2, s[2:3], 0x820
	s_waitcnt vmcnt(0)
	v_readfirstlane_b32 s5, v1
	s_delay_alu instid0(VALU_DEP_1)
	s_lshl_b32 s3, s5, 3
	s_clause 0x1
	s_load_b64 s[8:9], s[0:1], s3 offset:0x0
	s_load_b64 s[4:5], s[0:1], s3 offset:0x370
	s_waitcnt lgkmcnt(0)
	s_ashr_i32 s3, s2, 31
	s_delay_alu instid0(SALU_CYCLE_1)
	s_lshl_b64 s[10:11], s[2:3], 18
	s_lshl_b64 s[2:3], s[2:3], 16
	s_and_b32 s12, s8, 15
	s_sub_u32 s6, s4, s2
	s_subb_u32 s7, s5, s3
	s_and_b32 s2, s4, 3
	s_mov_b32 s3, s13
	s_delay_alu instid0(SALU_CYCLE_1) | instskip(NEXT) | instid1(SALU_CYCLE_1)
	s_or_b64 s[2:3], s[12:13], s[2:3]
	s_cmp_eq_u64 s[2:3], 0
	s_cbranch_scc1 .LBB233_21
; %bb.1:
	v_cmp_lt_i64_e64 s2, s[6:7], 1
	s_delay_alu instid0(VALU_DEP_1)
	s_and_b32 vcc_lo, exec_lo, s2
	s_cbranch_vccnz .LBB233_20
; %bb.2:
	s_load_b32 s2, s[0:1], 0xd3c
	v_cmp_gt_u64_e64 s3, 0x10000, s[6:7]
	v_lshlrev_b32_e32 v1, 2, v0
	s_waitcnt lgkmcnt(0)
	s_and_b32 s2, s2, 0xffff
	s_delay_alu instid0(VALU_DEP_2)
	s_and_b32 s3, s3, exec_lo
	v_add_co_u32 v5, s5, v0, s2
	s_cselect_b32 s13, s7, 0
	s_cselect_b32 s12, s6, 0x10000
	s_lshl_b32 s3, s2, 1
	s_lshl_b32 s16, s2, 2
	v_lshlrev_b32_e32 v3, 2, v5
	v_add_co_ci_u32_e64 v6, null, 0, 0, s5
	s_add_u32 s5, s8, s10
	v_add_co_u32 v9, s3, s3, v0
	s_mul_i32 s4, s2, 3
	s_addc_u32 s14, s9, s11
	v_add_co_ci_u32_e64 v10, null, 0, 0, s3
	v_add_co_u32 v1, s3, s5, v1
	v_add_co_u32 v7, s4, s4, v0
	v_add_co_ci_u32_e64 v2, null, s14, 0, s3
	v_add_co_u32 v3, s3, s5, v3
	v_add_co_ci_u32_e64 v8, null, 0, 0, s4
	v_add_co_ci_u32_e64 v4, null, s14, 0, s3
	s_lshl_b32 s17, s2, 4
	s_mul_i32 s18, s2, 12
	s_lshl_b32 s19, s2, 3
	s_mov_b64 s[14:15], 0
	s_branch .LBB233_4
.LBB233_3:                              ;   in Loop: Header=BB233_4 Depth=1
	s_or_b32 exec_lo, exec_lo, s3
	s_add_u32 s14, s14, s16
	s_addc_u32 s15, s15, 0
	v_add_co_u32 v1, vcc_lo, v1, s17
	v_cmp_lt_i64_e64 s2, s[14:15], s[6:7]
	v_cmp_gt_u64_e64 s3, 0x10000, s[14:15]
	v_add_co_ci_u32_e32 v2, vcc_lo, 0, v2, vcc_lo
	v_add_co_u32 v3, vcc_lo, v3, s17
	v_add_co_ci_u32_e32 v4, vcc_lo, 0, v4, vcc_lo
	s_delay_alu instid0(VALU_DEP_4) | instskip(NEXT) | instid1(SALU_CYCLE_1)
	s_and_b32 s2, s2, s3
	s_and_b32 vcc_lo, exec_lo, s2
	s_cbranch_vccz .LBB233_20
.LBB233_4:                              ; =>This Inner Loop Header: Depth=1
	s_waitcnt vmcnt(0)
	v_add_co_u32 v11, s2, v0, s14
	s_delay_alu instid0(VALU_DEP_1) | instskip(SKIP_1) | instid1(VALU_DEP_2)
	v_add_co_ci_u32_e64 v12, null, 0, s15, s2
	v_mov_b32_e32 v14, 0
	v_cmp_gt_u64_e64 s4, s[12:13], v[11:12]
	s_delay_alu instid0(VALU_DEP_1)
	s_and_saveexec_b32 s2, s4
	s_cbranch_execz .LBB233_6
; %bb.5:                                ;   in Loop: Header=BB233_4 Depth=1
	global_load_b32 v14, v[1:2], off
.LBB233_6:                              ;   in Loop: Header=BB233_4 Depth=1
	s_or_b32 exec_lo, exec_lo, s2
	v_add_co_u32 v11, vcc_lo, v5, s14
	v_add_co_ci_u32_e32 v12, vcc_lo, s15, v6, vcc_lo
	v_mov_b32_e32 v13, 0
	s_delay_alu instid0(VALU_DEP_2) | instskip(NEXT) | instid1(VALU_DEP_1)
	v_cmp_gt_u64_e64 s3, s[12:13], v[11:12]
	s_and_saveexec_b32 s2, s3
	s_cbranch_execz .LBB233_8
; %bb.7:                                ;   in Loop: Header=BB233_4 Depth=1
	global_load_b32 v13, v[3:4], off
.LBB233_8:                              ;   in Loop: Header=BB233_4 Depth=1
	s_or_b32 exec_lo, exec_lo, s2
	v_add_co_u32 v11, vcc_lo, v9, s14
	v_add_co_ci_u32_e32 v12, vcc_lo, s15, v10, vcc_lo
	s_delay_alu instid0(VALU_DEP_1) | instskip(SKIP_1) | instid1(VALU_DEP_2)
	v_cmp_gt_u64_e64 s2, s[12:13], v[11:12]
	v_dual_mov_b32 v11, 0 :: v_dual_mov_b32 v12, 0
	s_and_saveexec_b32 s5, s2
	s_cbranch_execz .LBB233_10
; %bb.9:                                ;   in Loop: Header=BB233_4 Depth=1
	v_add_co_u32 v15, vcc_lo, v1, s19
	v_add_co_ci_u32_e32 v16, vcc_lo, 0, v2, vcc_lo
	global_load_b32 v12, v[15:16], off
.LBB233_10:                             ;   in Loop: Header=BB233_4 Depth=1
	s_or_b32 exec_lo, exec_lo, s5
	v_add_co_u32 v15, vcc_lo, v7, s14
	v_add_co_ci_u32_e32 v16, vcc_lo, s15, v8, vcc_lo
	s_delay_alu instid0(VALU_DEP_1)
	v_cmp_gt_u64_e32 vcc_lo, s[12:13], v[15:16]
	s_and_saveexec_b32 s20, vcc_lo
	s_cbranch_execnz .LBB233_15
; %bb.11:                               ;   in Loop: Header=BB233_4 Depth=1
	s_or_b32 exec_lo, exec_lo, s20
	s_and_saveexec_b32 s20, s4
	s_cbranch_execnz .LBB233_16
.LBB233_12:                             ;   in Loop: Header=BB233_4 Depth=1
	s_or_b32 exec_lo, exec_lo, s20
	s_and_saveexec_b32 s5, s3
	s_cbranch_execnz .LBB233_17
.LBB233_13:                             ;   in Loop: Header=BB233_4 Depth=1
	s_or_b32 exec_lo, exec_lo, s5
	s_and_saveexec_b32 s4, s2
	s_cbranch_execnz .LBB233_18
.LBB233_14:                             ;   in Loop: Header=BB233_4 Depth=1
	s_or_b32 exec_lo, exec_lo, s4
	s_and_saveexec_b32 s3, vcc_lo
	s_cbranch_execz .LBB233_3
	s_branch .LBB233_19
.LBB233_15:                             ;   in Loop: Header=BB233_4 Depth=1
	v_add_co_u32 v15, s5, v1, s18
	s_delay_alu instid0(VALU_DEP_1)
	v_add_co_ci_u32_e64 v16, s5, 0, v2, s5
	global_load_b32 v11, v[15:16], off
	s_or_b32 exec_lo, exec_lo, s20
	s_and_saveexec_b32 s20, s4
	s_cbranch_execz .LBB233_12
.LBB233_16:                             ;   in Loop: Header=BB233_4 Depth=1
	s_waitcnt vmcnt(0)
	v_mul_f32_e32 v15, 0x4f800000, v14
	v_cmp_gt_f32_e64 s4, 0xf800000, v14
	s_delay_alu instid0(VALU_DEP_1) | instskip(NEXT) | instid1(VALU_DEP_1)
	v_cndmask_b32_e64 v14, v14, v15, s4
	v_sqrt_f32_e32 v15, v14
	s_waitcnt_depctr 0xfff
	v_add_nc_u32_e32 v16, -1, v15
	v_add_nc_u32_e32 v17, 1, v15
	s_delay_alu instid0(VALU_DEP_2) | instskip(NEXT) | instid1(VALU_DEP_2)
	v_fma_f32 v18, -v16, v15, v14
	v_fma_f32 v19, -v17, v15, v14
	s_delay_alu instid0(VALU_DEP_2) | instskip(NEXT) | instid1(VALU_DEP_1)
	v_cmp_ge_f32_e64 s5, 0, v18
	v_cndmask_b32_e64 v15, v15, v16, s5
	s_delay_alu instid0(VALU_DEP_3) | instskip(NEXT) | instid1(VALU_DEP_1)
	v_cmp_lt_f32_e64 s5, 0, v19
	v_cndmask_b32_e64 v15, v15, v17, s5
	s_delay_alu instid0(VALU_DEP_1) | instskip(NEXT) | instid1(VALU_DEP_1)
	v_mul_f32_e32 v16, 0x37800000, v15
	v_cndmask_b32_e64 v15, v15, v16, s4
	v_cmp_class_f32_e64 s4, v14, 0x260
	s_delay_alu instid0(VALU_DEP_1)
	v_cndmask_b32_e64 v14, v15, v14, s4
	global_store_b32 v[1:2], v14, off
	s_or_b32 exec_lo, exec_lo, s20
	s_and_saveexec_b32 s5, s3
	s_cbranch_execz .LBB233_13
.LBB233_17:                             ;   in Loop: Header=BB233_4 Depth=1
	s_waitcnt vmcnt(0)
	v_mul_f32_e32 v14, 0x4f800000, v13
	v_cmp_gt_f32_e64 s3, 0xf800000, v13
	s_delay_alu instid0(VALU_DEP_1) | instskip(NEXT) | instid1(VALU_DEP_1)
	v_cndmask_b32_e64 v13, v13, v14, s3
	v_sqrt_f32_e32 v14, v13
	s_waitcnt_depctr 0xfff
	v_add_nc_u32_e32 v15, -1, v14
	v_add_nc_u32_e32 v16, 1, v14
	s_delay_alu instid0(VALU_DEP_2) | instskip(NEXT) | instid1(VALU_DEP_2)
	v_fma_f32 v17, -v15, v14, v13
	v_fma_f32 v18, -v16, v14, v13
	s_delay_alu instid0(VALU_DEP_2) | instskip(NEXT) | instid1(VALU_DEP_1)
	v_cmp_ge_f32_e64 s4, 0, v17
	v_cndmask_b32_e64 v14, v14, v15, s4
	s_delay_alu instid0(VALU_DEP_3) | instskip(NEXT) | instid1(VALU_DEP_1)
	v_cmp_lt_f32_e64 s4, 0, v18
	v_cndmask_b32_e64 v14, v14, v16, s4
	s_delay_alu instid0(VALU_DEP_1) | instskip(NEXT) | instid1(VALU_DEP_1)
	v_mul_f32_e32 v15, 0x37800000, v14
	v_cndmask_b32_e64 v14, v14, v15, s3
	v_cmp_class_f32_e64 s3, v13, 0x260
	s_delay_alu instid0(VALU_DEP_1)
	v_cndmask_b32_e64 v13, v14, v13, s3
	global_store_b32 v[3:4], v13, off
	s_or_b32 exec_lo, exec_lo, s5
	s_and_saveexec_b32 s4, s2
	s_cbranch_execz .LBB233_14
.LBB233_18:                             ;   in Loop: Header=BB233_4 Depth=1
	s_waitcnt vmcnt(0)
	v_mul_f32_e32 v13, 0x4f800000, v12
	v_cmp_gt_f32_e64 s2, 0xf800000, v12
	s_delay_alu instid0(VALU_DEP_1) | instskip(NEXT) | instid1(VALU_DEP_1)
	v_cndmask_b32_e64 v12, v12, v13, s2
	v_sqrt_f32_e32 v13, v12
	s_waitcnt_depctr 0xfff
	v_add_nc_u32_e32 v14, -1, v13
	v_add_nc_u32_e32 v15, 1, v13
	s_delay_alu instid0(VALU_DEP_2) | instskip(NEXT) | instid1(VALU_DEP_2)
	v_fma_f32 v16, -v14, v13, v12
	v_fma_f32 v17, -v15, v13, v12
	s_delay_alu instid0(VALU_DEP_2) | instskip(NEXT) | instid1(VALU_DEP_1)
	v_cmp_ge_f32_e64 s3, 0, v16
	v_cndmask_b32_e64 v13, v13, v14, s3
	s_delay_alu instid0(VALU_DEP_3) | instskip(NEXT) | instid1(VALU_DEP_1)
	v_cmp_lt_f32_e64 s3, 0, v17
	v_cndmask_b32_e64 v13, v13, v15, s3
	s_delay_alu instid0(VALU_DEP_1) | instskip(NEXT) | instid1(VALU_DEP_1)
	v_mul_f32_e32 v14, 0x37800000, v13
	v_cndmask_b32_e64 v13, v13, v14, s2
	v_cmp_class_f32_e64 s2, v12, 0x260
	s_delay_alu instid0(VALU_DEP_1) | instskip(SKIP_1) | instid1(VALU_DEP_1)
	v_cndmask_b32_e64 v14, v13, v12, s2
	v_add_co_u32 v12, s2, v1, s19
	v_add_co_ci_u32_e64 v13, s2, 0, v2, s2
	global_store_b32 v[12:13], v14, off
	s_or_b32 exec_lo, exec_lo, s4
	s_and_saveexec_b32 s3, vcc_lo
	s_cbranch_execz .LBB233_3
.LBB233_19:                             ;   in Loop: Header=BB233_4 Depth=1
	s_waitcnt vmcnt(0)
	v_mul_f32_e32 v12, 0x4f800000, v11
	v_cmp_gt_f32_e32 vcc_lo, 0xf800000, v11
	s_delay_alu instid0(VALU_DEP_2) | instskip(NEXT) | instid1(VALU_DEP_1)
	v_cndmask_b32_e32 v11, v11, v12, vcc_lo
	v_sqrt_f32_e32 v12, v11
	s_waitcnt_depctr 0xfff
	v_add_nc_u32_e32 v13, -1, v12
	v_add_nc_u32_e32 v14, 1, v12
	s_delay_alu instid0(VALU_DEP_2) | instskip(NEXT) | instid1(VALU_DEP_2)
	v_fma_f32 v15, -v13, v12, v11
	v_fma_f32 v16, -v14, v12, v11
	s_delay_alu instid0(VALU_DEP_2) | instskip(NEXT) | instid1(VALU_DEP_1)
	v_cmp_ge_f32_e64 s2, 0, v15
	v_cndmask_b32_e64 v12, v12, v13, s2
	s_delay_alu instid0(VALU_DEP_3) | instskip(NEXT) | instid1(VALU_DEP_1)
	v_cmp_lt_f32_e64 s2, 0, v16
	v_cndmask_b32_e64 v12, v12, v14, s2
	s_delay_alu instid0(VALU_DEP_1) | instskip(NEXT) | instid1(VALU_DEP_1)
	v_mul_f32_e32 v13, 0x37800000, v12
	v_cndmask_b32_e32 v12, v12, v13, vcc_lo
	v_cmp_class_f32_e64 vcc_lo, v11, 0x260
	s_delay_alu instid0(VALU_DEP_2)
	v_cndmask_b32_e32 v13, v12, v11, vcc_lo
	v_add_co_u32 v11, vcc_lo, v1, s18
	v_add_co_ci_u32_e32 v12, vcc_lo, 0, v2, vcc_lo
	global_store_b32 v[11:12], v13, off
	s_branch .LBB233_3
.LBB233_20:
	s_cbranch_execz .LBB233_22
	s_branch .LBB233_25
.LBB233_21:
.LBB233_22:
	v_dual_mov_b32 v2, 0 :: v_dual_lshlrev_b32 v1, 2, v0
	s_mov_b32 s5, 0
	s_mov_b32 s2, exec_lo
	s_delay_alu instid0(VALU_DEP_1)
	v_cmpx_gt_i64_e64 s[6:7], v[1:2]
	s_cbranch_execz .LBB233_25
; %bb.23:
	s_load_b32 s0, s[0:1], 0xd3c
	v_lshlrev_b32_e32 v1, 4, v0
	s_waitcnt lgkmcnt(0)
	s_and_b32 s0, s0, 0xffff
	s_delay_alu instid0(SALU_CYCLE_1) | instskip(SKIP_3) | instid1(VALU_DEP_1)
	s_lshl_b32 s12, s0, 2
	s_add_u32 s1, s8, s10
	s_addc_u32 s2, s9, s11
	v_add_co_u32 v3, s1, s1, v1
	v_add_co_ci_u32_e64 v4, null, s2, 0, s1
	v_add_lshl_u32 v1, v0, s0, 2
	s_delay_alu instid0(VALU_DEP_3) | instskip(NEXT) | instid1(VALU_DEP_3)
	v_add_co_u32 v3, vcc_lo, v3, 8
	v_add_co_ci_u32_e32 v4, vcc_lo, 0, v4, vcc_lo
	s_lshl_b32 s8, s0, 4
.LBB233_24:                             ; =>This Inner Loop Header: Depth=1
	global_load_b128 v[5:8], v[3:4], off offset:-8
	v_cmp_lt_u64_e64 s4, 0xffff, v[1:2]
	s_waitcnt vmcnt(0)
	v_dual_mul_f32 v0, 0x4f800000, v5 :: v_dual_mul_f32 v9, 0x4f800000, v6
	v_cmp_gt_f32_e32 vcc_lo, 0xf800000, v5
	v_cmp_gt_f32_e64 s0, 0xf800000, v6
	v_dual_mul_f32 v10, 0x4f800000, v7 :: v_dual_mul_f32 v11, 0x4f800000, v8
	v_cmp_gt_f32_e64 s1, 0xf800000, v7
	v_cndmask_b32_e32 v0, v5, v0, vcc_lo
	s_delay_alu instid0(VALU_DEP_4) | instskip(SKIP_1) | instid1(VALU_DEP_4)
	v_cndmask_b32_e64 v6, v6, v9, s0
	v_cmp_gt_f32_e64 s2, 0xf800000, v8
	v_cndmask_b32_e64 v7, v7, v10, s1
	s_delay_alu instid0(VALU_DEP_4) | instskip(NEXT) | instid1(VALU_DEP_3)
	v_sqrt_f32_e32 v5, v0
	v_sqrt_f32_e32 v9, v6
	s_delay_alu instid0(VALU_DEP_2) | instskip(NEXT) | instid1(VALU_DEP_2)
	v_cndmask_b32_e64 v8, v8, v11, s2
	v_sqrt_f32_e32 v10, v7
	s_delay_alu instid0(VALU_DEP_1) | instskip(SKIP_2) | instid1(TRANS32_DEP_3)
	v_sqrt_f32_e32 v11, v8
	v_add_nc_u32_e32 v13, 1, v5
	v_add_nc_u32_e32 v12, -1, v5
	v_add_nc_u32_e32 v14, -1, v9
	v_add_nc_u32_e32 v15, 1, v9
	s_waitcnt_depctr 0xfff
	v_add_nc_u32_e32 v16, -1, v10
	v_fma_f32 v21, -v13, v5, v0
	v_fma_f32 v20, -v12, v5, v0
	v_fma_f32 v22, -v14, v9, v6
	v_add_nc_u32_e32 v18, -1, v11
	v_fma_f32 v24, -v16, v10, v7
	v_add_nc_u32_e32 v17, 1, v10
	v_cmp_ge_f32_e64 s3, 0, v20
	v_fma_f32 v23, -v15, v9, v6
	v_fma_f32 v26, -v18, v11, v8
	v_add_nc_u32_e32 v19, 1, v11
	v_fma_f32 v25, -v17, v10, v7
	v_cndmask_b32_e64 v5, v5, v12, s3
	v_cmp_ge_f32_e64 s3, 0, v22
	s_delay_alu instid0(VALU_DEP_4) | instskip(NEXT) | instid1(VALU_DEP_2)
	v_fma_f32 v27, -v19, v11, v8
	v_cndmask_b32_e64 v9, v9, v14, s3
	v_cmp_ge_f32_e64 s3, 0, v24
	s_delay_alu instid0(VALU_DEP_1) | instskip(SKIP_1) | instid1(VALU_DEP_1)
	v_cndmask_b32_e64 v10, v10, v16, s3
	v_cmp_ge_f32_e64 s3, 0, v26
	v_cndmask_b32_e64 v11, v11, v18, s3
	v_cmp_lt_f32_e64 s3, 0, v21
	s_delay_alu instid0(VALU_DEP_1) | instskip(SKIP_1) | instid1(VALU_DEP_2)
	v_cndmask_b32_e64 v5, v5, v13, s3
	v_cmp_lt_f32_e64 s3, 0, v23
	v_mul_f32_e32 v12, 0x37800000, v5
	s_delay_alu instid0(VALU_DEP_2) | instskip(SKIP_1) | instid1(VALU_DEP_3)
	v_cndmask_b32_e64 v9, v9, v15, s3
	v_cmp_lt_f32_e64 s3, 0, v25
	v_cndmask_b32_e32 v5, v5, v12, vcc_lo
	s_delay_alu instid0(VALU_DEP_3) | instskip(SKIP_1) | instid1(VALU_DEP_4)
	v_mul_f32_e32 v13, 0x37800000, v9
	v_cmp_class_f32_e64 vcc_lo, v0, 0x260
	v_cndmask_b32_e64 v10, v10, v17, s3
	v_cmp_lt_f32_e64 s3, 0, v27
	s_delay_alu instid0(VALU_DEP_4) | instskip(SKIP_3) | instid1(VALU_DEP_4)
	v_cndmask_b32_e64 v9, v9, v13, s0
	v_cndmask_b32_e32 v5, v5, v0, vcc_lo
	v_cmp_class_f32_e64 vcc_lo, v6, 0x260
	v_mul_f32_e32 v14, 0x37800000, v10
	v_cndmask_b32_e32 v6, v9, v6, vcc_lo
	v_cndmask_b32_e64 v11, v11, v19, s3
	s_delay_alu instid0(VALU_DEP_3) | instskip(SKIP_2) | instid1(VALU_DEP_4)
	v_cndmask_b32_e64 v10, v10, v14, s1
	v_cmp_class_f32_e64 vcc_lo, v7, 0x260
	v_cmp_le_i64_e64 s3, s[6:7], v[1:2]
	v_mul_f32_e32 v15, 0x37800000, v11
	s_delay_alu instid0(VALU_DEP_2) | instskip(NEXT) | instid1(VALU_DEP_1)
	s_or_b32 s0, s3, s4
	v_cndmask_b32_e64 v11, v11, v15, s2
	v_cndmask_b32_e32 v7, v10, v7, vcc_lo
	v_cmp_class_f32_e64 vcc_lo, v8, 0x260
	s_and_b32 s0, exec_lo, s0
	s_delay_alu instid0(SALU_CYCLE_1)
	s_or_b32 s5, s0, s5
	v_cndmask_b32_e32 v8, v11, v8, vcc_lo
	v_add_co_u32 v1, vcc_lo, v1, s12
	v_add_co_ci_u32_e32 v2, vcc_lo, 0, v2, vcc_lo
	global_store_b128 v[3:4], v[5:8], off offset:-8
	v_add_co_u32 v3, vcc_lo, v3, s8
	v_add_co_ci_u32_e32 v4, vcc_lo, 0, v4, vcc_lo
	s_and_not1_b32 exec_lo, exec_lo, s5
	s_cbranch_execnz .LBB233_24
.LBB233_25:
	s_nop 0
	s_sendmsg sendmsg(MSG_DEALLOC_VGPRS)
	s_endpgm
	.section	.rodata,"a",@progbits
	.p2align	6, 0x0
	.amdhsa_kernel _ZN2at6native12_GLOBAL__N_125multi_tensor_apply_kernelINS1_18TensorListMetadataILi1EEENS1_14UnaryOpFunctorIfLi1ELi1ELi0EEEJNS0_4SqrtIfEEEEEvT_T0_DpT1_
		.amdhsa_group_segment_fixed_size 0
		.amdhsa_private_segment_fixed_size 0
		.amdhsa_kernarg_size 3632
		.amdhsa_user_sgpr_count 15
		.amdhsa_user_sgpr_dispatch_ptr 0
		.amdhsa_user_sgpr_queue_ptr 0
		.amdhsa_user_sgpr_kernarg_segment_ptr 1
		.amdhsa_user_sgpr_dispatch_id 0
		.amdhsa_user_sgpr_private_segment_size 0
		.amdhsa_wavefront_size32 1
		.amdhsa_uses_dynamic_stack 0
		.amdhsa_enable_private_segment 0
		.amdhsa_system_sgpr_workgroup_id_x 1
		.amdhsa_system_sgpr_workgroup_id_y 0
		.amdhsa_system_sgpr_workgroup_id_z 0
		.amdhsa_system_sgpr_workgroup_info 0
		.amdhsa_system_vgpr_workitem_id 0
		.amdhsa_next_free_vgpr 28
		.amdhsa_next_free_sgpr 21
		.amdhsa_reserve_vcc 1
		.amdhsa_float_round_mode_32 0
		.amdhsa_float_round_mode_16_64 0
		.amdhsa_float_denorm_mode_32 3
		.amdhsa_float_denorm_mode_16_64 3
		.amdhsa_dx10_clamp 1
		.amdhsa_ieee_mode 1
		.amdhsa_fp16_overflow 0
		.amdhsa_workgroup_processor_mode 1
		.amdhsa_memory_ordered 1
		.amdhsa_forward_progress 0
		.amdhsa_shared_vgpr_count 0
		.amdhsa_exception_fp_ieee_invalid_op 0
		.amdhsa_exception_fp_denorm_src 0
		.amdhsa_exception_fp_ieee_div_zero 0
		.amdhsa_exception_fp_ieee_overflow 0
		.amdhsa_exception_fp_ieee_underflow 0
		.amdhsa_exception_fp_ieee_inexact 0
		.amdhsa_exception_int_div_zero 0
	.end_amdhsa_kernel
	.section	.text._ZN2at6native12_GLOBAL__N_125multi_tensor_apply_kernelINS1_18TensorListMetadataILi1EEENS1_14UnaryOpFunctorIfLi1ELi1ELi0EEEJNS0_4SqrtIfEEEEEvT_T0_DpT1_,"axG",@progbits,_ZN2at6native12_GLOBAL__N_125multi_tensor_apply_kernelINS1_18TensorListMetadataILi1EEENS1_14UnaryOpFunctorIfLi1ELi1ELi0EEEJNS0_4SqrtIfEEEEEvT_T0_DpT1_,comdat
.Lfunc_end233:
	.size	_ZN2at6native12_GLOBAL__N_125multi_tensor_apply_kernelINS1_18TensorListMetadataILi1EEENS1_14UnaryOpFunctorIfLi1ELi1ELi0EEEJNS0_4SqrtIfEEEEEvT_T0_DpT1_, .Lfunc_end233-_ZN2at6native12_GLOBAL__N_125multi_tensor_apply_kernelINS1_18TensorListMetadataILi1EEENS1_14UnaryOpFunctorIfLi1ELi1ELi0EEEJNS0_4SqrtIfEEEEEvT_T0_DpT1_
                                        ; -- End function
	.section	.AMDGPU.csdata,"",@progbits
; Kernel info:
; codeLenInByte = 2148
; NumSgprs: 23
; NumVgprs: 28
; ScratchSize: 0
; MemoryBound: 0
; FloatMode: 240
; IeeeMode: 1
; LDSByteSize: 0 bytes/workgroup (compile time only)
; SGPRBlocks: 2
; VGPRBlocks: 3
; NumSGPRsForWavesPerEU: 23
; NumVGPRsForWavesPerEU: 28
; Occupancy: 16
; WaveLimiterHint : 0
; COMPUTE_PGM_RSRC2:SCRATCH_EN: 0
; COMPUTE_PGM_RSRC2:USER_SGPR: 15
; COMPUTE_PGM_RSRC2:TRAP_HANDLER: 0
; COMPUTE_PGM_RSRC2:TGID_X_EN: 1
; COMPUTE_PGM_RSRC2:TGID_Y_EN: 0
; COMPUTE_PGM_RSRC2:TGID_Z_EN: 0
; COMPUTE_PGM_RSRC2:TIDIG_COMP_CNT: 0
	.section	.text._ZN2at6native12_GLOBAL__N_125multi_tensor_apply_kernelINS1_18TensorListMetadataILi1EEENS1_14UnaryOpFunctorIN3c107complexIdEELi1ELi1ELi0EEEJNS0_4SqrtIS8_EEEEEvT_T0_DpT1_,"axG",@progbits,_ZN2at6native12_GLOBAL__N_125multi_tensor_apply_kernelINS1_18TensorListMetadataILi1EEENS1_14UnaryOpFunctorIN3c107complexIdEELi1ELi1ELi0EEEJNS0_4SqrtIS8_EEEEEvT_T0_DpT1_,comdat
	.globl	_ZN2at6native12_GLOBAL__N_125multi_tensor_apply_kernelINS1_18TensorListMetadataILi1EEENS1_14UnaryOpFunctorIN3c107complexIdEELi1ELi1ELi0EEEJNS0_4SqrtIS8_EEEEEvT_T0_DpT1_ ; -- Begin function _ZN2at6native12_GLOBAL__N_125multi_tensor_apply_kernelINS1_18TensorListMetadataILi1EEENS1_14UnaryOpFunctorIN3c107complexIdEELi1ELi1ELi0EEEJNS0_4SqrtIS8_EEEEEvT_T0_DpT1_
	.p2align	8
	.type	_ZN2at6native12_GLOBAL__N_125multi_tensor_apply_kernelINS1_18TensorListMetadataILi1EEENS1_14UnaryOpFunctorIN3c107complexIdEELi1ELi1ELi0EEEJNS0_4SqrtIS8_EEEEEvT_T0_DpT1_,@function
_ZN2at6native12_GLOBAL__N_125multi_tensor_apply_kernelINS1_18TensorListMetadataILi1EEENS1_14UnaryOpFunctorIN3c107complexIdEELi1ELi1ELi0EEEJNS0_4SqrtIS8_EEEEEvT_T0_DpT1_: ; @_ZN2at6native12_GLOBAL__N_125multi_tensor_apply_kernelINS1_18TensorListMetadataILi1EEENS1_14UnaryOpFunctorIN3c107complexIdEELi1ELi1ELi0EEEJNS0_4SqrtIS8_EEEEEvT_T0_DpT1_
; %bb.0:
	v_mov_b32_e32 v1, s15
	s_add_u32 s2, s0, s15
	s_mul_hi_u32 s3, s15, 3
	s_mul_i32 s15, s15, 3
	s_addc_u32 s4, s1, 0
	global_load_u8 v1, v1, s[0:1] offset:1760
	s_add_u32 s2, s2, s15
	s_addc_u32 s3, s4, s3
	s_mov_b32 s7, 0
	s_load_b32 s2, s[2:3], 0x820
	s_waitcnt vmcnt(0)
	v_readfirstlane_b32 s5, v1
	s_delay_alu instid0(VALU_DEP_1)
	s_lshl_b32 s3, s5, 3
	s_clause 0x1
	s_load_b64 s[10:11], s[0:1], s3 offset:0x0
	s_load_b64 s[4:5], s[0:1], s3 offset:0x370
	s_waitcnt lgkmcnt(0)
	s_ashr_i32 s3, s2, 31
	s_delay_alu instid0(SALU_CYCLE_1) | instskip(NEXT) | instid1(SALU_CYCLE_1)
	s_lshl_b64 s[12:13], s[2:3], 20
	s_add_u32 s22, s10, s12
	s_addc_u32 s23, s11, s13
	s_lshl_b64 s[2:3], s[2:3], 16
	s_and_b32 s6, s22, 63
	s_sub_u32 s8, s4, s2
	s_subb_u32 s9, s5, s3
	s_and_b32 s2, s4, 3
	s_mov_b32 s3, s7
	s_delay_alu instid0(SALU_CYCLE_1) | instskip(NEXT) | instid1(SALU_CYCLE_1)
	s_or_b64 s[2:3], s[6:7], s[2:3]
	s_cmp_eq_u64 s[2:3], 0
	s_cbranch_scc1 .LBB234_149
; %bb.1:
	v_cmp_lt_i64_e64 s2, s[8:9], 1
	s_delay_alu instid0(VALU_DEP_1)
	s_and_b32 vcc_lo, exec_lo, s2
	s_cbranch_vccnz .LBB234_148
; %bb.2:
	s_load_b32 s2, s[0:1], 0xd3c
	v_cmp_gt_u64_e64 s3, 0x10000, s[8:9]
	v_dual_mov_b32 v24, 0 :: v_dual_lshlrev_b32 v23, 4, v0
	s_mov_b32 s14, 0x99fcef32
	s_mov_b32 s18, 0
	;; [unrolled: 1-line block ×4, first 2 shown]
	s_mov_b64 s[20:21], 0
	s_waitcnt lgkmcnt(0)
	s_and_b32 s2, s2, 0xffff
	s_and_b32 s3, s3, exec_lo
	v_add_co_u32 v27, s5, v0, s2
	v_mad_u64_u32 v[25:26], null, s2, 48, v[23:24]
	s_cselect_b32 s17, s9, 0
	s_cselect_b32 s16, s8, 0x10000
	v_add_co_ci_u32_e64 v28, null, 0, 0, s5
	s_lshl_b32 s5, s2, 5
	s_lshl_b32 s3, s2, 1
	v_add_co_u32 v1, s5, s5, v23
	s_mul_i32 s4, s2, 3
	v_add_co_u32 v33, s3, s3, v0
	v_add_co_u32 v24, s4, s4, v0
	s_delay_alu instid0(VALU_DEP_1)
	v_add_co_ci_u32_e64 v29, null, 0, 0, s4
	v_add_co_ci_u32_e64 v30, null, 0, 0, s5
	v_lshlrev_b32_e32 v31, 4, v27
	v_or_b32_e32 v32, 8, v1
	v_or_b32_e32 v25, 8, v25
	v_add_co_ci_u32_e64 v34, null, 0, 0, s3
	s_lshl_b32 s24, s2, 2
	s_lshl_b32 s25, s2, 6
	s_branch .LBB234_4
.LBB234_3:                              ;   in Loop: Header=BB234_4 Depth=1
	s_or_b32 exec_lo, exec_lo, s2
	s_add_u32 s20, s20, s24
	s_addc_u32 s21, s21, 0
	s_delay_alu instid0(SALU_CYCLE_1) | instskip(SKIP_1) | instid1(VALU_DEP_1)
	v_cmp_ge_i64_e64 s2, s[20:21], s[8:9]
	v_cmp_lt_u64_e64 s3, 0xffff, s[20:21]
	s_or_b32 s2, s2, s3
	s_add_u32 s22, s22, s25
	s_addc_u32 s23, s23, 0
	s_and_b32 vcc_lo, exec_lo, s2
	s_cbranch_vccnz .LBB234_148
.LBB234_4:                              ; =>This Inner Loop Header: Depth=1
	v_add_co_u32 v1, s2, v0, s20
	s_delay_alu instid0(VALU_DEP_1) | instskip(SKIP_2) | instid1(VALU_DEP_3)
	v_add_co_ci_u32_e64 v2, null, 0, s21, s2
	v_mov_b32_e32 v3, 0
	v_mov_b32_e32 v4, 0
	v_cmp_gt_u64_e64 s2, s[16:17], v[1:2]
	s_delay_alu instid0(VALU_DEP_2) | instskip(SKIP_1) | instid1(VALU_DEP_3)
	v_dual_mov_b32 v8, v4 :: v_dual_mov_b32 v7, v3
	v_dual_mov_b32 v6, v4 :: v_dual_mov_b32 v5, v3
	s_and_saveexec_b32 s3, s2
	s_cbranch_execz .LBB234_6
; %bb.5:                                ;   in Loop: Header=BB234_4 Depth=1
	v_add_co_u32 v1, s4, s22, v23
	s_delay_alu instid0(VALU_DEP_1)
	v_add_co_ci_u32_e64 v2, null, s23, 0, s4
	global_load_b128 v[5:8], v[1:2], off
.LBB234_6:                              ;   in Loop: Header=BB234_4 Depth=1
	s_or_b32 exec_lo, exec_lo, s3
	v_add_co_u32 v1, vcc_lo, v27, s20
	v_add_co_ci_u32_e32 v2, vcc_lo, s21, v28, vcc_lo
	s_delay_alu instid0(VALU_DEP_1) | instskip(SKIP_1) | instid1(VALU_DEP_2)
	v_cmp_gt_u64_e64 s3, s[16:17], v[1:2]
	v_dual_mov_b32 v1, v3 :: v_dual_mov_b32 v2, v4
	s_and_saveexec_b32 s4, s3
	s_cbranch_execz .LBB234_8
; %bb.7:                                ;   in Loop: Header=BB234_4 Depth=1
	v_add_co_u32 v1, s5, s22, v31
	s_delay_alu instid0(VALU_DEP_1)
	v_add_co_ci_u32_e64 v2, null, s23, 0, s5
	global_load_b128 v[1:4], v[1:2], off
.LBB234_8:                              ;   in Loop: Header=BB234_4 Depth=1
	s_or_b32 exec_lo, exec_lo, s4
	v_add_co_u32 v9, vcc_lo, v33, s20
	v_add_co_ci_u32_e32 v10, vcc_lo, s21, v34, vcc_lo
	v_mov_b32_e32 v11, 0
	v_mov_b32_e32 v12, 0
	s_delay_alu instid0(VALU_DEP_3) | instskip(NEXT) | instid1(VALU_DEP_2)
	v_cmp_gt_u64_e64 s4, s[16:17], v[9:10]
	v_dual_mov_b32 v16, v12 :: v_dual_mov_b32 v15, v11
	v_dual_mov_b32 v14, v12 :: v_dual_mov_b32 v13, v11
	s_delay_alu instid0(VALU_DEP_3)
	s_and_saveexec_b32 s5, s4
	s_cbranch_execz .LBB234_10
; %bb.9:                                ;   in Loop: Header=BB234_4 Depth=1
	v_add_co_u32 v9, vcc_lo, s22, v32
	v_add_co_ci_u32_e32 v10, vcc_lo, s23, v30, vcc_lo
	global_load_b128 v[13:16], v[9:10], off offset:-8
.LBB234_10:                             ;   in Loop: Header=BB234_4 Depth=1
	s_or_b32 exec_lo, exec_lo, s5
	v_add_co_u32 v9, vcc_lo, v24, s20
	v_add_co_ci_u32_e32 v10, vcc_lo, s21, v29, vcc_lo
	s_delay_alu instid0(VALU_DEP_1) | instskip(SKIP_1) | instid1(VALU_DEP_2)
	v_cmp_gt_u64_e64 s5, s[16:17], v[9:10]
	v_dual_mov_b32 v9, v11 :: v_dual_mov_b32 v10, v12
	s_and_saveexec_b32 s6, s5
	s_cbranch_execz .LBB234_12
; %bb.11:                               ;   in Loop: Header=BB234_4 Depth=1
	v_add_co_u32 v9, vcc_lo, s22, v25
	v_add_co_ci_u32_e32 v10, vcc_lo, s23, v26, vcc_lo
	global_load_b128 v[9:12], v[9:10], off offset:-8
.LBB234_12:                             ;   in Loop: Header=BB234_4 Depth=1
	s_or_b32 exec_lo, exec_lo, s6
	s_waitcnt vmcnt(0)
	v_cmp_neq_f64_e32 vcc_lo, 0, v[5:6]
	v_cmp_neq_f64_e64 s6, 0, v[7:8]
	v_mov_b32_e32 v17, 0
	v_mov_b32_e32 v18, 0
	s_delay_alu instid0(VALU_DEP_1) | instskip(NEXT) | instid1(VALU_DEP_4)
	v_dual_mov_b32 v20, v18 :: v_dual_mov_b32 v19, v17
	s_or_b32 s6, vcc_lo, s6
	s_delay_alu instid0(SALU_CYCLE_1)
	s_and_saveexec_b32 s26, s6
	s_cbranch_execz .LBB234_38
; %bb.13:                               ;   in Loop: Header=BB234_4 Depth=1
	v_mov_b32_e32 v19, s18
	v_mov_b32_e32 v20, s19
	s_mov_b32 s27, exec_lo
	v_cmpx_neq_f64_e64 0x7ff00000, |v[7:8]|
	s_cbranch_execz .LBB234_37
; %bb.14:                               ;   in Loop: Header=BB234_4 Depth=1
	s_mov_b32 s6, exec_lo
	v_cmpx_o_f64_e32 v[5:6], v[5:6]
	s_xor_b32 s28, exec_lo, s6
	s_cbranch_execz .LBB234_34
; %bb.15:                               ;   in Loop: Header=BB234_4 Depth=1
	s_mov_b32 s7, exec_lo
	v_cmpx_neq_f64_e64 0x7ff00000, |v[5:6]|
	s_xor_b32 s29, exec_lo, s7
	s_cbranch_execz .LBB234_28
; %bb.16:                               ;   in Loop: Header=BB234_4 Depth=1
	v_max_f64 v[19:20], |v[5:6]|, |v[5:6]|
	v_max_f64 v[21:22], |v[7:8]|, |v[7:8]|
                                        ; implicit-def: $sgpr30
	s_delay_alu instid0(VALU_DEP_1) | instskip(NEXT) | instid1(VALU_DEP_1)
	v_max_f64 v[19:20], v[21:22], v[19:20]
	v_cmp_nle_f64_e64 s6, s[14:15], v[19:20]
	s_delay_alu instid0(VALU_DEP_1) | instskip(NEXT) | instid1(SALU_CYCLE_1)
	s_and_saveexec_b32 s7, s6
	s_xor_b32 s7, exec_lo, s7
	s_cbranch_execz .LBB234_20
; %bb.17:                               ;   in Loop: Header=BB234_4 Depth=1
	v_cmp_ge_f64_e64 s30, 0x200000, |v[5:6]|
	v_cmp_ge_f64_e64 s31, 0x200000, |v[7:8]|
	s_delay_alu instid0(VALU_DEP_1)
	s_and_b32 s33, s31, s30
	s_mov_b32 s30, 0
	s_and_saveexec_b32 s31, s33
; %bb.18:                               ;   in Loop: Header=BB234_4 Depth=1
	v_mul_f64 v[5:6], v[5:6], 4.0
	v_mul_f64 v[7:8], v[7:8], 4.0
	s_mov_b32 s30, exec_lo
; %bb.19:                               ;   in Loop: Header=BB234_4 Depth=1
	s_or_b32 exec_lo, exec_lo, s31
	s_delay_alu instid0(SALU_CYCLE_1)
	s_and_b32 s30, s30, exec_lo
.LBB234_20:                             ;   in Loop: Header=BB234_4 Depth=1
	s_and_not1_saveexec_b32 s7, s7
; %bb.21:                               ;   in Loop: Header=BB234_4 Depth=1
	s_delay_alu instid0(VALU_DEP_2) | instskip(NEXT) | instid1(VALU_DEP_2)
	v_ldexp_f64 v[5:6], v[5:6], -2
	v_ldexp_f64 v[7:8], v[7:8], -2
	s_and_not1_b32 s30, s30, exec_lo
; %bb.22:                               ;   in Loop: Header=BB234_4 Depth=1
	s_or_b32 exec_lo, exec_lo, s7
	s_delay_alu instid0(VALU_DEP_1) | instskip(NEXT) | instid1(VALU_DEP_3)
	v_max_f64 v[19:20], |v[7:8]|, |v[7:8]|
	v_max_f64 v[21:22], |v[5:6]|, |v[5:6]|
	v_cmp_class_f64_e64 s31, v[5:6], 0x204
	v_cmp_class_f64_e64 s33, v[7:8], 0x204
	v_cmp_le_f64_e64 s7, 0, v[5:6]
	s_delay_alu instid0(VALU_DEP_4) | instskip(NEXT) | instid1(VALU_DEP_3)
	v_max_f64 v[19:20], v[21:22], v[19:20]
	s_or_b32 s31, s33, s31
	s_delay_alu instid0(VALU_DEP_1) | instskip(NEXT) | instid1(VALU_DEP_1)
	v_frexp_exp_i32_f64_e32 v39, v[19:20]
	v_sub_nc_u32_e32 v21, 0, v39
	s_delay_alu instid0(VALU_DEP_1) | instskip(SKIP_1) | instid1(VALU_DEP_2)
	v_ldexp_f64 v[19:20], |v[7:8]|, v21
	v_ldexp_f64 v[21:22], |v[5:6]|, v21
	v_mul_f64 v[19:20], v[19:20], v[19:20]
	s_delay_alu instid0(VALU_DEP_1) | instskip(NEXT) | instid1(VALU_DEP_1)
	v_fma_f64 v[19:20], v[21:22], v[21:22], v[19:20]
	v_rsq_f64_e32 v[21:22], v[19:20]
	v_cmp_eq_f64_e32 vcc_lo, 0, v[19:20]
	s_waitcnt_depctr 0xfff
	v_mul_f64 v[35:36], v[19:20], v[21:22]
	v_mul_f64 v[21:22], v[21:22], 0.5
	s_delay_alu instid0(VALU_DEP_1) | instskip(NEXT) | instid1(VALU_DEP_1)
	v_fma_f64 v[37:38], -v[21:22], v[35:36], 0.5
	v_fma_f64 v[35:36], v[35:36], v[37:38], v[35:36]
	v_fma_f64 v[21:22], v[21:22], v[37:38], v[21:22]
	s_delay_alu instid0(VALU_DEP_2) | instskip(NEXT) | instid1(VALU_DEP_1)
	v_fma_f64 v[37:38], -v[35:36], v[35:36], v[19:20]
	v_fma_f64 v[21:22], v[37:38], v[21:22], v[35:36]
	s_delay_alu instid0(VALU_DEP_1) | instskip(SKIP_1) | instid1(VALU_DEP_2)
	v_dual_cndmask_b32 v20, v22, v20 :: v_dual_cndmask_b32 v19, v21, v19
	v_cmp_o_f64_e32 vcc_lo, v[7:8], v[7:8]
	v_ldexp_f64 v[19:20], v[19:20], v39
	s_delay_alu instid0(VALU_DEP_1) | instskip(NEXT) | instid1(VALU_DEP_2)
	v_cndmask_b32_e32 v19, 0, v19, vcc_lo
	v_cndmask_b32_e32 v20, 0x7ff80000, v20, vcc_lo
	s_delay_alu instid0(VALU_DEP_2) | instskip(NEXT) | instid1(VALU_DEP_2)
	v_cndmask_b32_e64 v19, v19, 0, s31
	v_cndmask_b32_e64 v20, v20, 0x7ff00000, s31
	s_and_saveexec_b32 s31, s7
	s_delay_alu instid0(SALU_CYCLE_1)
	s_xor_b32 s7, exec_lo, s31
	s_cbranch_execnz .LBB234_128
; %bb.23:                               ;   in Loop: Header=BB234_4 Depth=1
	s_and_not1_saveexec_b32 s7, s7
	s_cbranch_execnz .LBB234_129
.LBB234_24:                             ;   in Loop: Header=BB234_4 Depth=1
	s_or_b32 exec_lo, exec_lo, s7
	s_and_saveexec_b32 s7, s6
	s_delay_alu instid0(SALU_CYCLE_1)
	s_xor_b32 s6, exec_lo, s7
	s_cbranch_execnz .LBB234_130
.LBB234_25:                             ;   in Loop: Header=BB234_4 Depth=1
	s_and_not1_saveexec_b32 s6, s6
.LBB234_26:                             ;   in Loop: Header=BB234_4 Depth=1
	s_delay_alu instid0(VALU_DEP_2) | instskip(NEXT) | instid1(VALU_DEP_2)
	v_add_f64 v[5:6], v[5:6], v[5:6]
	v_add_f64 v[7:8], v[7:8], v[7:8]
.LBB234_27:                             ;   in Loop: Header=BB234_4 Depth=1
	s_or_b32 exec_lo, exec_lo, s6
.LBB234_28:                             ;   in Loop: Header=BB234_4 Depth=1
	s_and_not1_saveexec_b32 s6, s29
	s_cbranch_execz .LBB234_127
; %bb.29:                               ;   in Loop: Header=BB234_4 Depth=1
	s_delay_alu instid0(VALU_DEP_1) | instskip(SKIP_1) | instid1(VALU_DEP_3)
	v_add_f64 v[19:20], v[7:8], -v[7:8]
	s_mov_b32 s7, exec_lo
	v_cmpx_lt_i64_e32 -1, v[5:6]
	s_xor_b32 s7, exec_lo, s7
; %bb.30:                               ;   in Loop: Header=BB234_4 Depth=1
	s_delay_alu instid0(VALU_DEP_2) | instskip(NEXT) | instid1(VALU_DEP_1)
	v_bfi_b32 v20, 0x7fffffff, v20, v8
	v_dual_mov_b32 v7, v19 :: v_dual_mov_b32 v8, v20
                                        ; implicit-def: $vgpr19_vgpr20
; %bb.31:                               ;   in Loop: Header=BB234_4 Depth=1
	s_and_not1_saveexec_b32 s7, s7
; %bb.32:                               ;   in Loop: Header=BB234_4 Depth=1
	s_delay_alu instid0(VALU_DEP_1) | instskip(SKIP_1) | instid1(VALU_DEP_2)
	v_bfi_b32 v6, 0x7fffffff, v6, v8
	v_and_b32_e32 v20, 0x7fffffff, v20
	v_dual_mov_b32 v8, v6 :: v_dual_mov_b32 v7, v5
	s_delay_alu instid0(VALU_DEP_2)
	v_dual_mov_b32 v5, v19 :: v_dual_mov_b32 v6, v20
; %bb.33:                               ;   in Loop: Header=BB234_4 Depth=1
	s_or_b32 exec_lo, exec_lo, s7
	s_delay_alu instid0(SALU_CYCLE_1)
	s_or_b32 exec_lo, exec_lo, s6
.LBB234_34:                             ;   in Loop: Header=BB234_4 Depth=1
	s_and_not1_saveexec_b32 s6, s28
.LBB234_35:                             ;   in Loop: Header=BB234_4 Depth=1
	s_delay_alu instid0(VALU_DEP_1) | instskip(NEXT) | instid1(VALU_DEP_1)
	v_add_f64 v[7:8], v[7:8], -v[7:8]
	v_div_scale_f64 v[19:20], vcc_lo, v[7:8], v[7:8], v[7:8]
	s_delay_alu instid0(VALU_DEP_1) | instskip(SKIP_2) | instid1(VALU_DEP_1)
	v_rcp_f64_e32 v[21:22], v[19:20]
	s_waitcnt_depctr 0xfff
	v_fma_f64 v[35:36], -v[19:20], v[21:22], 1.0
	v_fma_f64 v[21:22], v[21:22], v[35:36], v[21:22]
	s_delay_alu instid0(VALU_DEP_1) | instskip(NEXT) | instid1(VALU_DEP_1)
	v_fma_f64 v[35:36], -v[19:20], v[21:22], 1.0
	v_fma_f64 v[21:22], v[21:22], v[35:36], v[21:22]
	s_delay_alu instid0(VALU_DEP_1) | instskip(NEXT) | instid1(VALU_DEP_1)
	v_mul_f64 v[35:36], v[19:20], v[21:22]
	v_fma_f64 v[19:20], -v[19:20], v[35:36], v[19:20]
	s_delay_alu instid0(VALU_DEP_1) | instskip(NEXT) | instid1(VALU_DEP_1)
	v_div_fmas_f64 v[19:20], v[19:20], v[21:22], v[35:36]
	v_div_fixup_f64 v[7:8], v[19:20], v[7:8], v[7:8]
.LBB234_36:                             ;   in Loop: Header=BB234_4 Depth=1
	s_or_b32 exec_lo, exec_lo, s6
	s_delay_alu instid0(VALU_DEP_2)
	v_dual_mov_b32 v20, v6 :: v_dual_mov_b32 v19, v5
.LBB234_37:                             ;   in Loop: Header=BB234_4 Depth=1
	s_or_b32 exec_lo, exec_lo, s27
.LBB234_38:                             ;   in Loop: Header=BB234_4 Depth=1
	s_delay_alu instid0(SALU_CYCLE_1) | instskip(SKIP_2) | instid1(VALU_DEP_1)
	s_or_b32 exec_lo, exec_lo, s26
	v_cmp_neq_f64_e32 vcc_lo, 0, v[1:2]
	v_cmp_neq_f64_e64 s6, 0, v[3:4]
	s_or_b32 s6, vcc_lo, s6
	s_delay_alu instid0(SALU_CYCLE_1)
	s_and_saveexec_b32 s26, s6
	s_cbranch_execz .LBB234_65
; %bb.39:                               ;   in Loop: Header=BB234_4 Depth=1
	v_mov_b32_e32 v17, s18
	v_mov_b32_e32 v18, s19
	s_mov_b32 s27, exec_lo
	v_cmpx_neq_f64_e64 0x7ff00000, |v[3:4]|
	s_cbranch_execz .LBB234_64
; %bb.40:                               ;   in Loop: Header=BB234_4 Depth=1
	s_mov_b32 s6, exec_lo
	v_cmpx_o_f64_e32 v[1:2], v[1:2]
	s_xor_b32 s28, exec_lo, s6
	s_cbranch_execz .LBB234_61
; %bb.41:                               ;   in Loop: Header=BB234_4 Depth=1
	s_mov_b32 s7, exec_lo
	v_cmpx_neq_f64_e64 0x7ff00000, |v[1:2]|
	s_xor_b32 s29, exec_lo, s7
	s_cbranch_execz .LBB234_54
; %bb.42:                               ;   in Loop: Header=BB234_4 Depth=1
	v_max_f64 v[5:6], |v[1:2]|, |v[1:2]|
	v_max_f64 v[17:18], |v[3:4]|, |v[3:4]|
                                        ; implicit-def: $sgpr30
	s_delay_alu instid0(VALU_DEP_1) | instskip(NEXT) | instid1(VALU_DEP_1)
	v_max_f64 v[5:6], v[17:18], v[5:6]
	v_cmp_nle_f64_e64 s6, s[14:15], v[5:6]
	s_delay_alu instid0(VALU_DEP_1) | instskip(NEXT) | instid1(SALU_CYCLE_1)
	s_and_saveexec_b32 s7, s6
	s_xor_b32 s7, exec_lo, s7
	s_cbranch_execz .LBB234_46
; %bb.43:                               ;   in Loop: Header=BB234_4 Depth=1
	v_cmp_ge_f64_e64 s30, 0x200000, |v[1:2]|
	v_cmp_ge_f64_e64 s31, 0x200000, |v[3:4]|
	s_delay_alu instid0(VALU_DEP_1)
	s_and_b32 s33, s31, s30
	s_mov_b32 s30, 0
	s_and_saveexec_b32 s31, s33
; %bb.44:                               ;   in Loop: Header=BB234_4 Depth=1
	v_mul_f64 v[1:2], v[1:2], 4.0
	v_mul_f64 v[3:4], v[3:4], 4.0
	s_mov_b32 s30, exec_lo
; %bb.45:                               ;   in Loop: Header=BB234_4 Depth=1
	s_or_b32 exec_lo, exec_lo, s31
	s_delay_alu instid0(SALU_CYCLE_1)
	s_and_b32 s30, s30, exec_lo
.LBB234_46:                             ;   in Loop: Header=BB234_4 Depth=1
	s_and_not1_saveexec_b32 s7, s7
; %bb.47:                               ;   in Loop: Header=BB234_4 Depth=1
	s_delay_alu instid0(VALU_DEP_2) | instskip(NEXT) | instid1(VALU_DEP_2)
	v_ldexp_f64 v[1:2], v[1:2], -2
	v_ldexp_f64 v[3:4], v[3:4], -2
	s_and_not1_b32 s30, s30, exec_lo
; %bb.48:                               ;   in Loop: Header=BB234_4 Depth=1
	s_or_b32 exec_lo, exec_lo, s7
	s_delay_alu instid0(VALU_DEP_1) | instskip(NEXT) | instid1(VALU_DEP_3)
	v_max_f64 v[5:6], |v[3:4]|, |v[3:4]|
	v_max_f64 v[17:18], |v[1:2]|, |v[1:2]|
	v_cmp_class_f64_e64 s31, v[1:2], 0x204
	v_cmp_class_f64_e64 s33, v[3:4], 0x204
	v_cmp_le_f64_e64 s7, 0, v[1:2]
	s_delay_alu instid0(VALU_DEP_4) | instskip(NEXT) | instid1(VALU_DEP_3)
	v_max_f64 v[5:6], v[17:18], v[5:6]
	s_or_b32 s31, s33, s31
	s_delay_alu instid0(VALU_DEP_1) | instskip(NEXT) | instid1(VALU_DEP_1)
	v_frexp_exp_i32_f64_e32 v37, v[5:6]
	v_sub_nc_u32_e32 v17, 0, v37
	s_delay_alu instid0(VALU_DEP_1) | instskip(SKIP_1) | instid1(VALU_DEP_2)
	v_ldexp_f64 v[5:6], |v[3:4]|, v17
	v_ldexp_f64 v[17:18], |v[1:2]|, v17
	v_mul_f64 v[5:6], v[5:6], v[5:6]
	s_delay_alu instid0(VALU_DEP_1) | instskip(NEXT) | instid1(VALU_DEP_1)
	v_fma_f64 v[5:6], v[17:18], v[17:18], v[5:6]
	v_rsq_f64_e32 v[17:18], v[5:6]
	v_cmp_eq_f64_e32 vcc_lo, 0, v[5:6]
	s_waitcnt_depctr 0xfff
	v_mul_f64 v[21:22], v[5:6], v[17:18]
	v_mul_f64 v[17:18], v[17:18], 0.5
	s_delay_alu instid0(VALU_DEP_1) | instskip(NEXT) | instid1(VALU_DEP_1)
	v_fma_f64 v[35:36], -v[17:18], v[21:22], 0.5
	v_fma_f64 v[21:22], v[21:22], v[35:36], v[21:22]
	v_fma_f64 v[17:18], v[17:18], v[35:36], v[17:18]
	s_delay_alu instid0(VALU_DEP_2) | instskip(NEXT) | instid1(VALU_DEP_1)
	v_fma_f64 v[35:36], -v[21:22], v[21:22], v[5:6]
	v_fma_f64 v[17:18], v[35:36], v[17:18], v[21:22]
	s_delay_alu instid0(VALU_DEP_1) | instskip(SKIP_1) | instid1(VALU_DEP_2)
	v_dual_cndmask_b32 v6, v18, v6 :: v_dual_cndmask_b32 v5, v17, v5
	v_cmp_o_f64_e32 vcc_lo, v[3:4], v[3:4]
	v_ldexp_f64 v[5:6], v[5:6], v37
	s_delay_alu instid0(VALU_DEP_1) | instskip(NEXT) | instid1(VALU_DEP_2)
	v_cndmask_b32_e32 v5, 0, v5, vcc_lo
	v_cndmask_b32_e32 v6, 0x7ff80000, v6, vcc_lo
	s_delay_alu instid0(VALU_DEP_2) | instskip(NEXT) | instid1(VALU_DEP_2)
	v_cndmask_b32_e64 v5, v5, 0, s31
	v_cndmask_b32_e64 v6, v6, 0x7ff00000, s31
	s_and_saveexec_b32 s31, s7
	s_delay_alu instid0(SALU_CYCLE_1)
	s_xor_b32 s7, exec_lo, s31
	s_cbranch_execnz .LBB234_133
; %bb.49:                               ;   in Loop: Header=BB234_4 Depth=1
	s_and_not1_saveexec_b32 s7, s7
	s_cbranch_execnz .LBB234_134
.LBB234_50:                             ;   in Loop: Header=BB234_4 Depth=1
	s_or_b32 exec_lo, exec_lo, s7
	s_and_saveexec_b32 s7, s6
	s_delay_alu instid0(SALU_CYCLE_1)
	s_xor_b32 s6, exec_lo, s7
	s_cbranch_execnz .LBB234_135
.LBB234_51:                             ;   in Loop: Header=BB234_4 Depth=1
	s_and_not1_saveexec_b32 s6, s6
.LBB234_52:                             ;   in Loop: Header=BB234_4 Depth=1
	s_delay_alu instid0(VALU_DEP_2) | instskip(NEXT) | instid1(VALU_DEP_2)
	v_add_f64 v[1:2], v[1:2], v[1:2]
	v_add_f64 v[3:4], v[3:4], v[3:4]
.LBB234_53:                             ;   in Loop: Header=BB234_4 Depth=1
	s_or_b32 exec_lo, exec_lo, s6
.LBB234_54:                             ;   in Loop: Header=BB234_4 Depth=1
	s_and_not1_saveexec_b32 s6, s29
	s_cbranch_execz .LBB234_60
; %bb.55:                               ;   in Loop: Header=BB234_4 Depth=1
	s_delay_alu instid0(VALU_DEP_1) | instskip(SKIP_1) | instid1(VALU_DEP_3)
	v_add_f64 v[5:6], v[3:4], -v[3:4]
	s_mov_b32 s7, exec_lo
	v_cmpx_lt_i64_e32 -1, v[1:2]
	s_xor_b32 s7, exec_lo, s7
; %bb.56:                               ;   in Loop: Header=BB234_4 Depth=1
	s_delay_alu instid0(VALU_DEP_2) | instskip(NEXT) | instid1(VALU_DEP_1)
	v_bfi_b32 v6, 0x7fffffff, v6, v4
	v_dual_mov_b32 v3, v5 :: v_dual_mov_b32 v4, v6
                                        ; implicit-def: $vgpr5_vgpr6
; %bb.57:                               ;   in Loop: Header=BB234_4 Depth=1
	s_and_not1_saveexec_b32 s7, s7
; %bb.58:                               ;   in Loop: Header=BB234_4 Depth=1
	s_delay_alu instid0(VALU_DEP_1) | instskip(SKIP_1) | instid1(VALU_DEP_2)
	v_bfi_b32 v2, 0x7fffffff, v2, v4
	v_and_b32_e32 v6, 0x7fffffff, v6
	v_dual_mov_b32 v4, v2 :: v_dual_mov_b32 v3, v1
	s_delay_alu instid0(VALU_DEP_2)
	v_dual_mov_b32 v1, v5 :: v_dual_mov_b32 v2, v6
; %bb.59:                               ;   in Loop: Header=BB234_4 Depth=1
	s_or_b32 exec_lo, exec_lo, s7
.LBB234_60:                             ;   in Loop: Header=BB234_4 Depth=1
	s_delay_alu instid0(SALU_CYCLE_1)
	s_or_b32 exec_lo, exec_lo, s6
.LBB234_61:                             ;   in Loop: Header=BB234_4 Depth=1
	s_and_not1_saveexec_b32 s6, s28
; %bb.62:                               ;   in Loop: Header=BB234_4 Depth=1
	s_delay_alu instid0(VALU_DEP_1) | instskip(NEXT) | instid1(VALU_DEP_1)
	v_add_f64 v[3:4], v[3:4], -v[3:4]
	v_div_scale_f64 v[5:6], vcc_lo, v[3:4], v[3:4], v[3:4]
	s_delay_alu instid0(VALU_DEP_1) | instskip(SKIP_2) | instid1(VALU_DEP_1)
	v_rcp_f64_e32 v[17:18], v[5:6]
	s_waitcnt_depctr 0xfff
	v_fma_f64 v[21:22], -v[5:6], v[17:18], 1.0
	v_fma_f64 v[17:18], v[17:18], v[21:22], v[17:18]
	s_delay_alu instid0(VALU_DEP_1) | instskip(NEXT) | instid1(VALU_DEP_1)
	v_fma_f64 v[21:22], -v[5:6], v[17:18], 1.0
	v_fma_f64 v[17:18], v[17:18], v[21:22], v[17:18]
	s_delay_alu instid0(VALU_DEP_1) | instskip(NEXT) | instid1(VALU_DEP_1)
	v_mul_f64 v[21:22], v[5:6], v[17:18]
	v_fma_f64 v[5:6], -v[5:6], v[21:22], v[5:6]
	s_delay_alu instid0(VALU_DEP_1) | instskip(NEXT) | instid1(VALU_DEP_1)
	v_div_fmas_f64 v[5:6], v[5:6], v[17:18], v[21:22]
	v_div_fixup_f64 v[3:4], v[5:6], v[3:4], v[3:4]
; %bb.63:                               ;   in Loop: Header=BB234_4 Depth=1
	s_or_b32 exec_lo, exec_lo, s6
	v_dual_mov_b32 v18, v2 :: v_dual_mov_b32 v17, v1
.LBB234_64:                             ;   in Loop: Header=BB234_4 Depth=1
	s_or_b32 exec_lo, exec_lo, s27
.LBB234_65:                             ;   in Loop: Header=BB234_4 Depth=1
	s_delay_alu instid0(SALU_CYCLE_1) | instskip(SKIP_4) | instid1(VALU_DEP_1)
	s_or_b32 exec_lo, exec_lo, s26
	v_cmp_neq_f64_e32 vcc_lo, 0, v[13:14]
	v_cmp_neq_f64_e64 s6, 0, v[15:16]
	v_mov_b32_e32 v1, 0
	v_mov_b32_e32 v2, 0
	v_dual_mov_b32 v6, v2 :: v_dual_mov_b32 v5, v1
	s_delay_alu instid0(VALU_DEP_4) | instskip(NEXT) | instid1(SALU_CYCLE_1)
	s_or_b32 s6, vcc_lo, s6
	s_and_saveexec_b32 s26, s6
	s_cbranch_execz .LBB234_92
; %bb.66:                               ;   in Loop: Header=BB234_4 Depth=1
	v_mov_b32_e32 v5, s18
	v_mov_b32_e32 v6, s19
	s_mov_b32 s27, exec_lo
	v_cmpx_neq_f64_e64 0x7ff00000, |v[15:16]|
	s_cbranch_execz .LBB234_91
; %bb.67:                               ;   in Loop: Header=BB234_4 Depth=1
	s_mov_b32 s6, exec_lo
	v_cmpx_o_f64_e32 v[13:14], v[13:14]
	s_xor_b32 s28, exec_lo, s6
	s_cbranch_execz .LBB234_88
; %bb.68:                               ;   in Loop: Header=BB234_4 Depth=1
	s_mov_b32 s7, exec_lo
	v_cmpx_neq_f64_e64 0x7ff00000, |v[13:14]|
	s_xor_b32 s29, exec_lo, s7
	s_cbranch_execz .LBB234_81
; %bb.69:                               ;   in Loop: Header=BB234_4 Depth=1
	v_max_f64 v[5:6], |v[13:14]|, |v[13:14]|
	v_max_f64 v[21:22], |v[15:16]|, |v[15:16]|
                                        ; implicit-def: $sgpr30
	s_delay_alu instid0(VALU_DEP_1) | instskip(NEXT) | instid1(VALU_DEP_1)
	v_max_f64 v[5:6], v[21:22], v[5:6]
	v_cmp_nle_f64_e64 s6, s[14:15], v[5:6]
	s_delay_alu instid0(VALU_DEP_1) | instskip(NEXT) | instid1(SALU_CYCLE_1)
	s_and_saveexec_b32 s7, s6
	s_xor_b32 s7, exec_lo, s7
	s_cbranch_execz .LBB234_73
; %bb.70:                               ;   in Loop: Header=BB234_4 Depth=1
	v_cmp_ge_f64_e64 s30, 0x200000, |v[13:14]|
	v_cmp_ge_f64_e64 s31, 0x200000, |v[15:16]|
	s_delay_alu instid0(VALU_DEP_1)
	s_and_b32 s33, s31, s30
	s_mov_b32 s30, 0
	s_and_saveexec_b32 s31, s33
; %bb.71:                               ;   in Loop: Header=BB234_4 Depth=1
	v_mul_f64 v[13:14], v[13:14], 4.0
	v_mul_f64 v[15:16], v[15:16], 4.0
	s_mov_b32 s30, exec_lo
; %bb.72:                               ;   in Loop: Header=BB234_4 Depth=1
	s_or_b32 exec_lo, exec_lo, s31
	s_delay_alu instid0(SALU_CYCLE_1)
	s_and_b32 s30, s30, exec_lo
.LBB234_73:                             ;   in Loop: Header=BB234_4 Depth=1
	s_and_not1_saveexec_b32 s7, s7
; %bb.74:                               ;   in Loop: Header=BB234_4 Depth=1
	s_delay_alu instid0(VALU_DEP_2) | instskip(NEXT) | instid1(VALU_DEP_2)
	v_ldexp_f64 v[13:14], v[13:14], -2
	v_ldexp_f64 v[15:16], v[15:16], -2
	s_and_not1_b32 s30, s30, exec_lo
; %bb.75:                               ;   in Loop: Header=BB234_4 Depth=1
	s_or_b32 exec_lo, exec_lo, s7
	s_delay_alu instid0(VALU_DEP_1) | instskip(NEXT) | instid1(VALU_DEP_3)
	v_max_f64 v[5:6], |v[15:16]|, |v[15:16]|
	v_max_f64 v[21:22], |v[13:14]|, |v[13:14]|
	v_cmp_class_f64_e64 s31, v[13:14], 0x204
	v_cmp_class_f64_e64 s33, v[15:16], 0x204
	v_cmp_le_f64_e64 s7, 0, v[13:14]
	s_delay_alu instid0(VALU_DEP_4) | instskip(NEXT) | instid1(VALU_DEP_3)
	v_max_f64 v[5:6], v[21:22], v[5:6]
	s_or_b32 s31, s33, s31
	s_delay_alu instid0(VALU_DEP_1) | instskip(NEXT) | instid1(VALU_DEP_1)
	v_frexp_exp_i32_f64_e32 v39, v[5:6]
	v_sub_nc_u32_e32 v21, 0, v39
	s_delay_alu instid0(VALU_DEP_1) | instskip(SKIP_1) | instid1(VALU_DEP_2)
	v_ldexp_f64 v[5:6], |v[15:16]|, v21
	v_ldexp_f64 v[21:22], |v[13:14]|, v21
	v_mul_f64 v[5:6], v[5:6], v[5:6]
	s_delay_alu instid0(VALU_DEP_1) | instskip(NEXT) | instid1(VALU_DEP_1)
	v_fma_f64 v[5:6], v[21:22], v[21:22], v[5:6]
	v_rsq_f64_e32 v[21:22], v[5:6]
	v_cmp_eq_f64_e32 vcc_lo, 0, v[5:6]
	s_waitcnt_depctr 0xfff
	v_mul_f64 v[35:36], v[5:6], v[21:22]
	v_mul_f64 v[21:22], v[21:22], 0.5
	s_delay_alu instid0(VALU_DEP_1) | instskip(NEXT) | instid1(VALU_DEP_1)
	v_fma_f64 v[37:38], -v[21:22], v[35:36], 0.5
	v_fma_f64 v[35:36], v[35:36], v[37:38], v[35:36]
	v_fma_f64 v[21:22], v[21:22], v[37:38], v[21:22]
	s_delay_alu instid0(VALU_DEP_2) | instskip(NEXT) | instid1(VALU_DEP_1)
	v_fma_f64 v[37:38], -v[35:36], v[35:36], v[5:6]
	v_fma_f64 v[21:22], v[37:38], v[21:22], v[35:36]
	s_delay_alu instid0(VALU_DEP_1) | instskip(SKIP_1) | instid1(VALU_DEP_2)
	v_dual_cndmask_b32 v6, v22, v6 :: v_dual_cndmask_b32 v5, v21, v5
	v_cmp_o_f64_e32 vcc_lo, v[15:16], v[15:16]
	v_ldexp_f64 v[5:6], v[5:6], v39
	s_delay_alu instid0(VALU_DEP_1) | instskip(NEXT) | instid1(VALU_DEP_2)
	v_cndmask_b32_e32 v5, 0, v5, vcc_lo
	v_cndmask_b32_e32 v6, 0x7ff80000, v6, vcc_lo
	s_delay_alu instid0(VALU_DEP_2) | instskip(NEXT) | instid1(VALU_DEP_2)
	v_cndmask_b32_e64 v5, v5, 0, s31
	v_cndmask_b32_e64 v6, v6, 0x7ff00000, s31
	s_and_saveexec_b32 s31, s7
	s_delay_alu instid0(SALU_CYCLE_1)
	s_xor_b32 s7, exec_lo, s31
	s_cbranch_execnz .LBB234_138
; %bb.76:                               ;   in Loop: Header=BB234_4 Depth=1
	s_and_not1_saveexec_b32 s7, s7
	s_cbranch_execnz .LBB234_139
.LBB234_77:                             ;   in Loop: Header=BB234_4 Depth=1
	s_or_b32 exec_lo, exec_lo, s7
	s_and_saveexec_b32 s7, s6
	s_delay_alu instid0(SALU_CYCLE_1)
	s_xor_b32 s6, exec_lo, s7
	s_cbranch_execnz .LBB234_140
.LBB234_78:                             ;   in Loop: Header=BB234_4 Depth=1
	s_and_not1_saveexec_b32 s6, s6
.LBB234_79:                             ;   in Loop: Header=BB234_4 Depth=1
	s_delay_alu instid0(VALU_DEP_2) | instskip(NEXT) | instid1(VALU_DEP_2)
	v_add_f64 v[13:14], v[13:14], v[13:14]
	v_add_f64 v[15:16], v[15:16], v[15:16]
.LBB234_80:                             ;   in Loop: Header=BB234_4 Depth=1
	s_or_b32 exec_lo, exec_lo, s6
.LBB234_81:                             ;   in Loop: Header=BB234_4 Depth=1
	s_and_not1_saveexec_b32 s6, s29
	s_cbranch_execz .LBB234_87
; %bb.82:                               ;   in Loop: Header=BB234_4 Depth=1
	s_delay_alu instid0(VALU_DEP_1) | instskip(SKIP_1) | instid1(VALU_DEP_3)
	v_add_f64 v[5:6], v[15:16], -v[15:16]
	s_mov_b32 s7, exec_lo
	v_cmpx_lt_i64_e32 -1, v[13:14]
	s_xor_b32 s7, exec_lo, s7
; %bb.83:                               ;   in Loop: Header=BB234_4 Depth=1
	s_delay_alu instid0(VALU_DEP_2) | instskip(NEXT) | instid1(VALU_DEP_1)
	v_bfi_b32 v6, 0x7fffffff, v6, v16
	v_dual_mov_b32 v16, v6 :: v_dual_mov_b32 v15, v5
                                        ; implicit-def: $vgpr5_vgpr6
; %bb.84:                               ;   in Loop: Header=BB234_4 Depth=1
	s_and_not1_saveexec_b32 s7, s7
; %bb.85:                               ;   in Loop: Header=BB234_4 Depth=1
	s_delay_alu instid0(VALU_DEP_1) | instskip(SKIP_1) | instid1(VALU_DEP_2)
	v_bfi_b32 v14, 0x7fffffff, v14, v16
	v_and_b32_e32 v6, 0x7fffffff, v6
	v_dual_mov_b32 v16, v14 :: v_dual_mov_b32 v15, v13
	s_delay_alu instid0(VALU_DEP_2)
	v_dual_mov_b32 v14, v6 :: v_dual_mov_b32 v13, v5
; %bb.86:                               ;   in Loop: Header=BB234_4 Depth=1
	s_or_b32 exec_lo, exec_lo, s7
.LBB234_87:                             ;   in Loop: Header=BB234_4 Depth=1
	s_delay_alu instid0(SALU_CYCLE_1)
	s_or_b32 exec_lo, exec_lo, s6
.LBB234_88:                             ;   in Loop: Header=BB234_4 Depth=1
	s_and_not1_saveexec_b32 s6, s28
; %bb.89:                               ;   in Loop: Header=BB234_4 Depth=1
	s_delay_alu instid0(VALU_DEP_1) | instskip(NEXT) | instid1(VALU_DEP_1)
	v_add_f64 v[5:6], v[15:16], -v[15:16]
	v_div_scale_f64 v[15:16], vcc_lo, v[5:6], v[5:6], v[5:6]
	s_delay_alu instid0(VALU_DEP_1) | instskip(SKIP_2) | instid1(VALU_DEP_1)
	v_rcp_f64_e32 v[21:22], v[15:16]
	s_waitcnt_depctr 0xfff
	v_fma_f64 v[35:36], -v[15:16], v[21:22], 1.0
	v_fma_f64 v[21:22], v[21:22], v[35:36], v[21:22]
	s_delay_alu instid0(VALU_DEP_1) | instskip(NEXT) | instid1(VALU_DEP_1)
	v_fma_f64 v[35:36], -v[15:16], v[21:22], 1.0
	v_fma_f64 v[21:22], v[21:22], v[35:36], v[21:22]
	s_delay_alu instid0(VALU_DEP_1) | instskip(NEXT) | instid1(VALU_DEP_1)
	v_mul_f64 v[35:36], v[15:16], v[21:22]
	v_fma_f64 v[15:16], -v[15:16], v[35:36], v[15:16]
	s_delay_alu instid0(VALU_DEP_1) | instskip(NEXT) | instid1(VALU_DEP_1)
	v_div_fmas_f64 v[15:16], v[15:16], v[21:22], v[35:36]
	v_div_fixup_f64 v[15:16], v[15:16], v[5:6], v[5:6]
; %bb.90:                               ;   in Loop: Header=BB234_4 Depth=1
	s_or_b32 exec_lo, exec_lo, s6
	v_dual_mov_b32 v5, v13 :: v_dual_mov_b32 v6, v14
.LBB234_91:                             ;   in Loop: Header=BB234_4 Depth=1
	s_or_b32 exec_lo, exec_lo, s27
.LBB234_92:                             ;   in Loop: Header=BB234_4 Depth=1
	s_delay_alu instid0(SALU_CYCLE_1) | instskip(SKIP_2) | instid1(VALU_DEP_1)
	s_or_b32 exec_lo, exec_lo, s26
	v_cmp_neq_f64_e32 vcc_lo, 0, v[9:10]
	v_cmp_neq_f64_e64 s6, 0, v[11:12]
	s_or_b32 s6, vcc_lo, s6
	s_delay_alu instid0(SALU_CYCLE_1)
	s_and_saveexec_b32 s26, s6
	s_cbranch_execnz .LBB234_97
; %bb.93:                               ;   in Loop: Header=BB234_4 Depth=1
	s_or_b32 exec_lo, exec_lo, s26
	s_and_saveexec_b32 s6, s2
	s_delay_alu instid0(SALU_CYCLE_1)
	s_xor_b32 s2, exec_lo, s6
	s_cbranch_execnz .LBB234_123
.LBB234_94:                             ;   in Loop: Header=BB234_4 Depth=1
	s_or_b32 exec_lo, exec_lo, s2
	s_and_saveexec_b32 s2, s3
	s_cbranch_execnz .LBB234_124
.LBB234_95:                             ;   in Loop: Header=BB234_4 Depth=1
	s_or_b32 exec_lo, exec_lo, s2
	s_and_saveexec_b32 s2, s4
	s_cbranch_execnz .LBB234_125
.LBB234_96:                             ;   in Loop: Header=BB234_4 Depth=1
	s_or_b32 exec_lo, exec_lo, s2
	s_and_saveexec_b32 s2, s5
	s_cbranch_execz .LBB234_3
	s_branch .LBB234_126
.LBB234_97:                             ;   in Loop: Header=BB234_4 Depth=1
	v_mov_b32_e32 v1, s18
	v_mov_b32_e32 v2, s19
	s_mov_b32 s27, exec_lo
	v_cmpx_neq_f64_e64 0x7ff00000, |v[11:12]|
	s_cbranch_execz .LBB234_122
; %bb.98:                               ;   in Loop: Header=BB234_4 Depth=1
	s_mov_b32 s6, exec_lo
	v_cmpx_o_f64_e32 v[9:10], v[9:10]
	s_xor_b32 s28, exec_lo, s6
	s_cbranch_execz .LBB234_119
; %bb.99:                               ;   in Loop: Header=BB234_4 Depth=1
	s_mov_b32 s7, exec_lo
	v_cmpx_neq_f64_e64 0x7ff00000, |v[9:10]|
	s_xor_b32 s29, exec_lo, s7
	s_cbranch_execz .LBB234_112
; %bb.100:                              ;   in Loop: Header=BB234_4 Depth=1
	v_max_f64 v[1:2], |v[9:10]|, |v[9:10]|
	v_max_f64 v[13:14], |v[11:12]|, |v[11:12]|
                                        ; implicit-def: $sgpr30
	s_delay_alu instid0(VALU_DEP_1) | instskip(NEXT) | instid1(VALU_DEP_1)
	v_max_f64 v[1:2], v[13:14], v[1:2]
	v_cmp_nle_f64_e64 s6, s[14:15], v[1:2]
	s_delay_alu instid0(VALU_DEP_1) | instskip(NEXT) | instid1(SALU_CYCLE_1)
	s_and_saveexec_b32 s7, s6
	s_xor_b32 s7, exec_lo, s7
	s_cbranch_execz .LBB234_104
; %bb.101:                              ;   in Loop: Header=BB234_4 Depth=1
	v_cmp_ge_f64_e64 s30, 0x200000, |v[9:10]|
	v_cmp_ge_f64_e64 s31, 0x200000, |v[11:12]|
	s_delay_alu instid0(VALU_DEP_1)
	s_and_b32 s33, s31, s30
	s_mov_b32 s30, 0
	s_and_saveexec_b32 s31, s33
; %bb.102:                              ;   in Loop: Header=BB234_4 Depth=1
	v_mul_f64 v[9:10], v[9:10], 4.0
	v_mul_f64 v[11:12], v[11:12], 4.0
	s_mov_b32 s30, exec_lo
; %bb.103:                              ;   in Loop: Header=BB234_4 Depth=1
	s_or_b32 exec_lo, exec_lo, s31
	s_delay_alu instid0(SALU_CYCLE_1)
	s_and_b32 s30, s30, exec_lo
.LBB234_104:                            ;   in Loop: Header=BB234_4 Depth=1
	s_and_not1_saveexec_b32 s7, s7
; %bb.105:                              ;   in Loop: Header=BB234_4 Depth=1
	s_delay_alu instid0(VALU_DEP_2) | instskip(NEXT) | instid1(VALU_DEP_2)
	v_ldexp_f64 v[9:10], v[9:10], -2
	v_ldexp_f64 v[11:12], v[11:12], -2
	s_and_not1_b32 s30, s30, exec_lo
; %bb.106:                              ;   in Loop: Header=BB234_4 Depth=1
	s_or_b32 exec_lo, exec_lo, s7
	s_delay_alu instid0(VALU_DEP_1) | instskip(NEXT) | instid1(VALU_DEP_3)
	v_max_f64 v[1:2], |v[11:12]|, |v[11:12]|
	v_max_f64 v[13:14], |v[9:10]|, |v[9:10]|
	v_cmp_class_f64_e64 s31, v[9:10], 0x204
	v_cmp_class_f64_e64 s33, v[11:12], 0x204
	v_cmp_le_f64_e64 s7, 0, v[9:10]
	s_delay_alu instid0(VALU_DEP_4) | instskip(NEXT) | instid1(VALU_DEP_3)
	v_max_f64 v[1:2], v[13:14], v[1:2]
	s_or_b32 s31, s33, s31
	s_delay_alu instid0(VALU_DEP_1) | instskip(NEXT) | instid1(VALU_DEP_1)
	v_frexp_exp_i32_f64_e32 v37, v[1:2]
	v_sub_nc_u32_e32 v13, 0, v37
	s_delay_alu instid0(VALU_DEP_1) | instskip(SKIP_1) | instid1(VALU_DEP_2)
	v_ldexp_f64 v[1:2], |v[11:12]|, v13
	v_ldexp_f64 v[13:14], |v[9:10]|, v13
	v_mul_f64 v[1:2], v[1:2], v[1:2]
	s_delay_alu instid0(VALU_DEP_1) | instskip(NEXT) | instid1(VALU_DEP_1)
	v_fma_f64 v[1:2], v[13:14], v[13:14], v[1:2]
	v_rsq_f64_e32 v[13:14], v[1:2]
	v_cmp_eq_f64_e32 vcc_lo, 0, v[1:2]
	s_waitcnt_depctr 0xfff
	v_mul_f64 v[21:22], v[1:2], v[13:14]
	v_mul_f64 v[13:14], v[13:14], 0.5
	s_delay_alu instid0(VALU_DEP_1) | instskip(NEXT) | instid1(VALU_DEP_1)
	v_fma_f64 v[35:36], -v[13:14], v[21:22], 0.5
	v_fma_f64 v[21:22], v[21:22], v[35:36], v[21:22]
	v_fma_f64 v[13:14], v[13:14], v[35:36], v[13:14]
	s_delay_alu instid0(VALU_DEP_2) | instskip(NEXT) | instid1(VALU_DEP_1)
	v_fma_f64 v[35:36], -v[21:22], v[21:22], v[1:2]
	v_fma_f64 v[13:14], v[35:36], v[13:14], v[21:22]
	s_delay_alu instid0(VALU_DEP_1) | instskip(SKIP_1) | instid1(VALU_DEP_2)
	v_dual_cndmask_b32 v2, v14, v2 :: v_dual_cndmask_b32 v1, v13, v1
	v_cmp_o_f64_e32 vcc_lo, v[11:12], v[11:12]
	v_ldexp_f64 v[1:2], v[1:2], v37
	s_delay_alu instid0(VALU_DEP_1) | instskip(NEXT) | instid1(VALU_DEP_2)
	v_cndmask_b32_e32 v1, 0, v1, vcc_lo
	v_cndmask_b32_e32 v2, 0x7ff80000, v2, vcc_lo
	s_delay_alu instid0(VALU_DEP_2) | instskip(NEXT) | instid1(VALU_DEP_2)
	v_cndmask_b32_e64 v1, v1, 0, s31
	v_cndmask_b32_e64 v2, v2, 0x7ff00000, s31
	s_and_saveexec_b32 s31, s7
	s_delay_alu instid0(SALU_CYCLE_1)
	s_xor_b32 s7, exec_lo, s31
	s_cbranch_execnz .LBB234_143
; %bb.107:                              ;   in Loop: Header=BB234_4 Depth=1
	s_and_not1_saveexec_b32 s7, s7
	s_cbranch_execnz .LBB234_144
.LBB234_108:                            ;   in Loop: Header=BB234_4 Depth=1
	s_or_b32 exec_lo, exec_lo, s7
	s_and_saveexec_b32 s7, s6
	s_delay_alu instid0(SALU_CYCLE_1)
	s_xor_b32 s6, exec_lo, s7
	s_cbranch_execnz .LBB234_145
.LBB234_109:                            ;   in Loop: Header=BB234_4 Depth=1
	s_and_not1_saveexec_b32 s6, s6
.LBB234_110:                            ;   in Loop: Header=BB234_4 Depth=1
	s_delay_alu instid0(VALU_DEP_2) | instskip(NEXT) | instid1(VALU_DEP_2)
	v_add_f64 v[9:10], v[9:10], v[9:10]
	v_add_f64 v[11:12], v[11:12], v[11:12]
.LBB234_111:                            ;   in Loop: Header=BB234_4 Depth=1
	s_or_b32 exec_lo, exec_lo, s6
.LBB234_112:                            ;   in Loop: Header=BB234_4 Depth=1
	s_and_not1_saveexec_b32 s6, s29
	s_cbranch_execz .LBB234_118
; %bb.113:                              ;   in Loop: Header=BB234_4 Depth=1
	s_delay_alu instid0(VALU_DEP_1) | instskip(SKIP_1) | instid1(VALU_DEP_3)
	v_add_f64 v[1:2], v[11:12], -v[11:12]
	s_mov_b32 s7, exec_lo
	v_cmpx_lt_i64_e32 -1, v[9:10]
	s_xor_b32 s7, exec_lo, s7
; %bb.114:                              ;   in Loop: Header=BB234_4 Depth=1
	s_delay_alu instid0(VALU_DEP_2) | instskip(NEXT) | instid1(VALU_DEP_1)
	v_bfi_b32 v2, 0x7fffffff, v2, v12
	v_dual_mov_b32 v12, v2 :: v_dual_mov_b32 v11, v1
                                        ; implicit-def: $vgpr1_vgpr2
; %bb.115:                              ;   in Loop: Header=BB234_4 Depth=1
	s_and_not1_saveexec_b32 s7, s7
; %bb.116:                              ;   in Loop: Header=BB234_4 Depth=1
	s_delay_alu instid0(VALU_DEP_1) | instskip(SKIP_1) | instid1(VALU_DEP_2)
	v_bfi_b32 v10, 0x7fffffff, v10, v12
	v_and_b32_e32 v2, 0x7fffffff, v2
	v_dual_mov_b32 v12, v10 :: v_dual_mov_b32 v11, v9
	s_delay_alu instid0(VALU_DEP_2)
	v_dual_mov_b32 v10, v2 :: v_dual_mov_b32 v9, v1
; %bb.117:                              ;   in Loop: Header=BB234_4 Depth=1
	s_or_b32 exec_lo, exec_lo, s7
.LBB234_118:                            ;   in Loop: Header=BB234_4 Depth=1
	s_delay_alu instid0(SALU_CYCLE_1)
	s_or_b32 exec_lo, exec_lo, s6
.LBB234_119:                            ;   in Loop: Header=BB234_4 Depth=1
	s_and_not1_saveexec_b32 s6, s28
; %bb.120:                              ;   in Loop: Header=BB234_4 Depth=1
	s_delay_alu instid0(VALU_DEP_1) | instskip(NEXT) | instid1(VALU_DEP_1)
	v_add_f64 v[1:2], v[11:12], -v[11:12]
	v_div_scale_f64 v[11:12], vcc_lo, v[1:2], v[1:2], v[1:2]
	s_delay_alu instid0(VALU_DEP_1) | instskip(SKIP_2) | instid1(VALU_DEP_1)
	v_rcp_f64_e32 v[13:14], v[11:12]
	s_waitcnt_depctr 0xfff
	v_fma_f64 v[21:22], -v[11:12], v[13:14], 1.0
	v_fma_f64 v[13:14], v[13:14], v[21:22], v[13:14]
	s_delay_alu instid0(VALU_DEP_1) | instskip(NEXT) | instid1(VALU_DEP_1)
	v_fma_f64 v[21:22], -v[11:12], v[13:14], 1.0
	v_fma_f64 v[13:14], v[13:14], v[21:22], v[13:14]
	s_delay_alu instid0(VALU_DEP_1) | instskip(NEXT) | instid1(VALU_DEP_1)
	v_mul_f64 v[21:22], v[11:12], v[13:14]
	v_fma_f64 v[11:12], -v[11:12], v[21:22], v[11:12]
	s_delay_alu instid0(VALU_DEP_1) | instskip(NEXT) | instid1(VALU_DEP_1)
	v_div_fmas_f64 v[11:12], v[11:12], v[13:14], v[21:22]
	v_div_fixup_f64 v[11:12], v[11:12], v[1:2], v[1:2]
; %bb.121:                              ;   in Loop: Header=BB234_4 Depth=1
	s_or_b32 exec_lo, exec_lo, s6
	v_dual_mov_b32 v1, v9 :: v_dual_mov_b32 v2, v10
.LBB234_122:                            ;   in Loop: Header=BB234_4 Depth=1
	s_or_b32 exec_lo, exec_lo, s27
	s_delay_alu instid0(SALU_CYCLE_1) | instskip(SKIP_1) | instid1(SALU_CYCLE_1)
	s_or_b32 exec_lo, exec_lo, s26
	s_and_saveexec_b32 s6, s2
	s_xor_b32 s2, exec_lo, s6
	s_cbranch_execz .LBB234_94
.LBB234_123:                            ;   in Loop: Header=BB234_4 Depth=1
	v_add_co_u32 v9, s6, s22, v23
	s_delay_alu instid0(VALU_DEP_1)
	v_add_co_ci_u32_e64 v10, null, s23, 0, s6
	v_dual_mov_b32 v21, v7 :: v_dual_mov_b32 v22, v8
	global_store_b128 v[9:10], v[19:22], off
	s_or_b32 exec_lo, exec_lo, s2
	s_and_saveexec_b32 s2, s3
	s_cbranch_execz .LBB234_95
.LBB234_124:                            ;   in Loop: Header=BB234_4 Depth=1
	v_add_co_u32 v7, s3, s22, v31
	s_delay_alu instid0(VALU_DEP_1)
	v_add_co_ci_u32_e64 v8, null, s23, 0, s3
	v_dual_mov_b32 v19, v3 :: v_dual_mov_b32 v20, v4
	global_store_b128 v[7:8], v[17:20], off
	s_or_b32 exec_lo, exec_lo, s2
	s_and_saveexec_b32 s2, s4
	s_cbranch_execz .LBB234_96
.LBB234_125:                            ;   in Loop: Header=BB234_4 Depth=1
	v_add_co_u32 v3, vcc_lo, s22, v32
	v_add_co_ci_u32_e32 v4, vcc_lo, s23, v30, vcc_lo
	v_dual_mov_b32 v7, v15 :: v_dual_mov_b32 v8, v16
	global_store_b128 v[3:4], v[5:8], off offset:-8
	s_or_b32 exec_lo, exec_lo, s2
	s_and_saveexec_b32 s2, s5
	s_cbranch_execz .LBB234_3
.LBB234_126:                            ;   in Loop: Header=BB234_4 Depth=1
	v_add_co_u32 v5, vcc_lo, s22, v25
	v_add_co_ci_u32_e32 v6, vcc_lo, s23, v26, vcc_lo
	s_delay_alu instid0(VALU_DEP_4)
	v_dual_mov_b32 v3, v11 :: v_dual_mov_b32 v4, v12
	global_store_b128 v[5:6], v[1:4], off offset:-8
	s_branch .LBB234_3
.LBB234_127:                            ;   in Loop: Header=BB234_4 Depth=1
	s_or_b32 exec_lo, exec_lo, s6
	s_and_not1_saveexec_b32 s6, s28
	s_cbranch_execnz .LBB234_35
	s_branch .LBB234_36
.LBB234_128:                            ;   in Loop: Header=BB234_4 Depth=1
	s_delay_alu instid0(VALU_DEP_1) | instskip(NEXT) | instid1(VALU_DEP_1)
	v_add_f64 v[5:6], v[5:6], v[19:20]
	v_mul_f64 v[5:6], v[5:6], 0.5
	s_delay_alu instid0(VALU_DEP_1) | instskip(SKIP_1) | instid1(VALU_DEP_1)
	v_cmp_gt_f64_e32 vcc_lo, 0x10000000, v[5:6]
	v_cndmask_b32_e64 v19, 0, 1, vcc_lo
	v_lshlrev_b32_e32 v19, 8, v19
	s_delay_alu instid0(VALU_DEP_1) | instskip(NEXT) | instid1(VALU_DEP_1)
	v_ldexp_f64 v[5:6], v[5:6], v19
	v_rsq_f64_e32 v[19:20], v[5:6]
	s_waitcnt_depctr 0xfff
	v_mul_f64 v[21:22], v[5:6], v[19:20]
	v_mul_f64 v[19:20], v[19:20], 0.5
	s_delay_alu instid0(VALU_DEP_1) | instskip(NEXT) | instid1(VALU_DEP_1)
	v_fma_f64 v[35:36], -v[19:20], v[21:22], 0.5
	v_fma_f64 v[21:22], v[21:22], v[35:36], v[21:22]
	v_fma_f64 v[19:20], v[19:20], v[35:36], v[19:20]
	s_delay_alu instid0(VALU_DEP_2) | instskip(NEXT) | instid1(VALU_DEP_1)
	v_fma_f64 v[35:36], -v[21:22], v[21:22], v[5:6]
	v_fma_f64 v[21:22], v[35:36], v[19:20], v[21:22]
	s_delay_alu instid0(VALU_DEP_1) | instskip(NEXT) | instid1(VALU_DEP_1)
	v_fma_f64 v[35:36], -v[21:22], v[21:22], v[5:6]
	v_fma_f64 v[19:20], v[35:36], v[19:20], v[21:22]
	v_cndmask_b32_e64 v21, 0, 0xffffff80, vcc_lo
	v_cmp_class_f64_e64 vcc_lo, v[5:6], 0x260
	s_delay_alu instid0(VALU_DEP_2) | instskip(NEXT) | instid1(VALU_DEP_1)
	v_ldexp_f64 v[19:20], v[19:20], v21
	v_dual_cndmask_b32 v6, v20, v6 :: v_dual_cndmask_b32 v5, v19, v5
	s_delay_alu instid0(VALU_DEP_1) | instskip(NEXT) | instid1(VALU_DEP_1)
	v_add_f64 v[19:20], v[5:6], v[5:6]
	v_div_scale_f64 v[21:22], null, v[19:20], v[19:20], v[7:8]
	s_delay_alu instid0(VALU_DEP_1) | instskip(SKIP_2) | instid1(VALU_DEP_1)
	v_rcp_f64_e32 v[35:36], v[21:22]
	s_waitcnt_depctr 0xfff
	v_fma_f64 v[37:38], -v[21:22], v[35:36], 1.0
	v_fma_f64 v[35:36], v[35:36], v[37:38], v[35:36]
	s_delay_alu instid0(VALU_DEP_1) | instskip(NEXT) | instid1(VALU_DEP_1)
	v_fma_f64 v[37:38], -v[21:22], v[35:36], 1.0
	v_fma_f64 v[35:36], v[35:36], v[37:38], v[35:36]
	v_div_scale_f64 v[37:38], vcc_lo, v[7:8], v[19:20], v[7:8]
	s_delay_alu instid0(VALU_DEP_1) | instskip(NEXT) | instid1(VALU_DEP_1)
	v_mul_f64 v[39:40], v[37:38], v[35:36]
	v_fma_f64 v[21:22], -v[21:22], v[39:40], v[37:38]
	s_delay_alu instid0(VALU_DEP_1) | instskip(NEXT) | instid1(VALU_DEP_1)
	v_div_fmas_f64 v[21:22], v[21:22], v[35:36], v[39:40]
	v_div_fixup_f64 v[7:8], v[21:22], v[19:20], v[7:8]
                                        ; implicit-def: $vgpr19_vgpr20
	s_and_not1_saveexec_b32 s7, s7
	s_cbranch_execz .LBB234_24
.LBB234_129:                            ;   in Loop: Header=BB234_4 Depth=1
	v_add_f64 v[5:6], v[19:20], -v[5:6]
	s_delay_alu instid0(VALU_DEP_1) | instskip(NEXT) | instid1(VALU_DEP_1)
	v_mul_f64 v[5:6], v[5:6], 0.5
	v_cmp_gt_f64_e32 vcc_lo, 0x10000000, v[5:6]
	v_cndmask_b32_e64 v19, 0, 1, vcc_lo
	s_delay_alu instid0(VALU_DEP_1) | instskip(NEXT) | instid1(VALU_DEP_1)
	v_lshlrev_b32_e32 v19, 8, v19
	v_ldexp_f64 v[5:6], v[5:6], v19
	s_delay_alu instid0(VALU_DEP_1) | instskip(SKIP_3) | instid1(VALU_DEP_1)
	v_rsq_f64_e32 v[19:20], v[5:6]
	s_waitcnt_depctr 0xfff
	v_mul_f64 v[21:22], v[5:6], v[19:20]
	v_mul_f64 v[19:20], v[19:20], 0.5
	v_fma_f64 v[35:36], -v[19:20], v[21:22], 0.5
	s_delay_alu instid0(VALU_DEP_1) | instskip(SKIP_1) | instid1(VALU_DEP_2)
	v_fma_f64 v[21:22], v[21:22], v[35:36], v[21:22]
	v_fma_f64 v[19:20], v[19:20], v[35:36], v[19:20]
	v_fma_f64 v[35:36], -v[21:22], v[21:22], v[5:6]
	s_delay_alu instid0(VALU_DEP_1) | instskip(NEXT) | instid1(VALU_DEP_1)
	v_fma_f64 v[21:22], v[35:36], v[19:20], v[21:22]
	v_fma_f64 v[35:36], -v[21:22], v[21:22], v[5:6]
	s_delay_alu instid0(VALU_DEP_1) | instskip(SKIP_3) | instid1(VALU_DEP_3)
	v_fma_f64 v[19:20], v[35:36], v[19:20], v[21:22]
	v_cndmask_b32_e64 v21, 0, 0xffffff80, vcc_lo
	v_cmp_class_f64_e64 vcc_lo, v[5:6], 0x260
	v_and_b32_e32 v22, 0x7fffffff, v8
	v_ldexp_f64 v[19:20], v[19:20], v21
	s_delay_alu instid0(VALU_DEP_1) | instskip(NEXT) | instid1(VALU_DEP_1)
	v_dual_cndmask_b32 v20, v20, v6 :: v_dual_cndmask_b32 v19, v19, v5
	v_add_f64 v[5:6], v[19:20], v[19:20]
	v_bfi_b32 v20, 0x7fffffff, v20, v8
	v_mov_b32_e32 v21, v7
	s_delay_alu instid0(VALU_DEP_1) | instskip(SKIP_1) | instid1(VALU_DEP_2)
	v_div_scale_f64 v[35:36], null, v[5:6], v[5:6], v[21:22]
	v_div_scale_f64 v[21:22], vcc_lo, v[21:22], v[5:6], v[21:22]
	v_rcp_f64_e32 v[37:38], v[35:36]
	s_waitcnt_depctr 0xfff
	v_fma_f64 v[39:40], -v[35:36], v[37:38], 1.0
	s_delay_alu instid0(VALU_DEP_1) | instskip(NEXT) | instid1(VALU_DEP_1)
	v_fma_f64 v[37:38], v[37:38], v[39:40], v[37:38]
	v_fma_f64 v[39:40], -v[35:36], v[37:38], 1.0
	s_delay_alu instid0(VALU_DEP_1) | instskip(NEXT) | instid1(VALU_DEP_1)
	v_fma_f64 v[37:38], v[37:38], v[39:40], v[37:38]
	v_mul_f64 v[39:40], v[21:22], v[37:38]
	s_delay_alu instid0(VALU_DEP_1) | instskip(NEXT) | instid1(VALU_DEP_1)
	v_fma_f64 v[21:22], -v[35:36], v[39:40], v[21:22]
	v_div_fmas_f64 v[21:22], v[21:22], v[37:38], v[39:40]
	s_delay_alu instid0(VALU_DEP_1) | instskip(SKIP_3) | instid1(SALU_CYCLE_1)
	v_div_fixup_f64 v[5:6], v[21:22], v[5:6], |v[7:8]|
	v_dual_mov_b32 v7, v19 :: v_dual_mov_b32 v8, v20
	s_or_b32 exec_lo, exec_lo, s7
	s_and_saveexec_b32 s7, s6
	s_xor_b32 s6, exec_lo, s7
	s_cbranch_execz .LBB234_25
.LBB234_130:                            ;   in Loop: Header=BB234_4 Depth=1
	s_and_saveexec_b32 s7, s30
; %bb.131:                              ;   in Loop: Header=BB234_4 Depth=1
	s_delay_alu instid0(VALU_DEP_2) | instskip(NEXT) | instid1(VALU_DEP_2)
	v_mul_f64 v[5:6], v[5:6], 0.5
	v_mul_f64 v[7:8], v[7:8], 0.5
; %bb.132:                              ;   in Loop: Header=BB234_4 Depth=1
	s_or_b32 exec_lo, exec_lo, s7
	s_and_not1_saveexec_b32 s6, s6
	s_cbranch_execnz .LBB234_26
	s_branch .LBB234_27
.LBB234_133:                            ;   in Loop: Header=BB234_4 Depth=1
	s_delay_alu instid0(VALU_DEP_1) | instskip(NEXT) | instid1(VALU_DEP_1)
	v_add_f64 v[1:2], v[1:2], v[5:6]
	v_mul_f64 v[1:2], v[1:2], 0.5
	s_delay_alu instid0(VALU_DEP_1) | instskip(SKIP_1) | instid1(VALU_DEP_1)
	v_cmp_gt_f64_e32 vcc_lo, 0x10000000, v[1:2]
	v_cndmask_b32_e64 v5, 0, 1, vcc_lo
	v_lshlrev_b32_e32 v5, 8, v5
	s_delay_alu instid0(VALU_DEP_1) | instskip(NEXT) | instid1(VALU_DEP_1)
	v_ldexp_f64 v[1:2], v[1:2], v5
	v_rsq_f64_e32 v[5:6], v[1:2]
	s_waitcnt_depctr 0xfff
	v_mul_f64 v[17:18], v[1:2], v[5:6]
	v_mul_f64 v[5:6], v[5:6], 0.5
	s_delay_alu instid0(VALU_DEP_1) | instskip(NEXT) | instid1(VALU_DEP_1)
	v_fma_f64 v[21:22], -v[5:6], v[17:18], 0.5
	v_fma_f64 v[17:18], v[17:18], v[21:22], v[17:18]
	v_fma_f64 v[5:6], v[5:6], v[21:22], v[5:6]
	s_delay_alu instid0(VALU_DEP_2) | instskip(NEXT) | instid1(VALU_DEP_1)
	v_fma_f64 v[21:22], -v[17:18], v[17:18], v[1:2]
	v_fma_f64 v[17:18], v[21:22], v[5:6], v[17:18]
	s_delay_alu instid0(VALU_DEP_1) | instskip(NEXT) | instid1(VALU_DEP_1)
	v_fma_f64 v[21:22], -v[17:18], v[17:18], v[1:2]
	v_fma_f64 v[5:6], v[21:22], v[5:6], v[17:18]
	v_cndmask_b32_e64 v17, 0, 0xffffff80, vcc_lo
	v_cmp_class_f64_e64 vcc_lo, v[1:2], 0x260
	s_delay_alu instid0(VALU_DEP_2) | instskip(NEXT) | instid1(VALU_DEP_1)
	v_ldexp_f64 v[5:6], v[5:6], v17
	v_dual_cndmask_b32 v2, v6, v2 :: v_dual_cndmask_b32 v1, v5, v1
	s_delay_alu instid0(VALU_DEP_1) | instskip(NEXT) | instid1(VALU_DEP_1)
	v_add_f64 v[5:6], v[1:2], v[1:2]
	v_div_scale_f64 v[17:18], null, v[5:6], v[5:6], v[3:4]
	s_delay_alu instid0(VALU_DEP_1) | instskip(SKIP_2) | instid1(VALU_DEP_1)
	v_rcp_f64_e32 v[21:22], v[17:18]
	s_waitcnt_depctr 0xfff
	v_fma_f64 v[35:36], -v[17:18], v[21:22], 1.0
	v_fma_f64 v[21:22], v[21:22], v[35:36], v[21:22]
	s_delay_alu instid0(VALU_DEP_1) | instskip(NEXT) | instid1(VALU_DEP_1)
	v_fma_f64 v[35:36], -v[17:18], v[21:22], 1.0
	v_fma_f64 v[21:22], v[21:22], v[35:36], v[21:22]
	v_div_scale_f64 v[35:36], vcc_lo, v[3:4], v[5:6], v[3:4]
	s_delay_alu instid0(VALU_DEP_1) | instskip(NEXT) | instid1(VALU_DEP_1)
	v_mul_f64 v[37:38], v[35:36], v[21:22]
	v_fma_f64 v[17:18], -v[17:18], v[37:38], v[35:36]
	s_delay_alu instid0(VALU_DEP_1) | instskip(NEXT) | instid1(VALU_DEP_1)
	v_div_fmas_f64 v[17:18], v[17:18], v[21:22], v[37:38]
	v_div_fixup_f64 v[3:4], v[17:18], v[5:6], v[3:4]
                                        ; implicit-def: $vgpr5_vgpr6
	s_and_not1_saveexec_b32 s7, s7
	s_cbranch_execz .LBB234_50
.LBB234_134:                            ;   in Loop: Header=BB234_4 Depth=1
	v_add_f64 v[1:2], v[5:6], -v[1:2]
	s_delay_alu instid0(VALU_DEP_1) | instskip(NEXT) | instid1(VALU_DEP_1)
	v_mul_f64 v[1:2], v[1:2], 0.5
	v_cmp_gt_f64_e32 vcc_lo, 0x10000000, v[1:2]
	v_cndmask_b32_e64 v5, 0, 1, vcc_lo
	s_delay_alu instid0(VALU_DEP_1) | instskip(NEXT) | instid1(VALU_DEP_1)
	v_lshlrev_b32_e32 v5, 8, v5
	v_ldexp_f64 v[1:2], v[1:2], v5
	s_delay_alu instid0(VALU_DEP_1) | instskip(SKIP_3) | instid1(VALU_DEP_1)
	v_rsq_f64_e32 v[5:6], v[1:2]
	s_waitcnt_depctr 0xfff
	v_mul_f64 v[17:18], v[1:2], v[5:6]
	v_mul_f64 v[5:6], v[5:6], 0.5
	v_fma_f64 v[21:22], -v[5:6], v[17:18], 0.5
	s_delay_alu instid0(VALU_DEP_1) | instskip(SKIP_1) | instid1(VALU_DEP_2)
	v_fma_f64 v[17:18], v[17:18], v[21:22], v[17:18]
	v_fma_f64 v[5:6], v[5:6], v[21:22], v[5:6]
	v_fma_f64 v[21:22], -v[17:18], v[17:18], v[1:2]
	s_delay_alu instid0(VALU_DEP_1) | instskip(NEXT) | instid1(VALU_DEP_1)
	v_fma_f64 v[17:18], v[21:22], v[5:6], v[17:18]
	v_fma_f64 v[21:22], -v[17:18], v[17:18], v[1:2]
	s_delay_alu instid0(VALU_DEP_1) | instskip(SKIP_3) | instid1(VALU_DEP_3)
	v_fma_f64 v[5:6], v[21:22], v[5:6], v[17:18]
	v_cndmask_b32_e64 v17, 0, 0xffffff80, vcc_lo
	v_cmp_class_f64_e64 vcc_lo, v[1:2], 0x260
	v_and_b32_e32 v18, 0x7fffffff, v4
	v_ldexp_f64 v[5:6], v[5:6], v17
	s_delay_alu instid0(VALU_DEP_1) | instskip(NEXT) | instid1(VALU_DEP_1)
	v_dual_cndmask_b32 v6, v6, v2 :: v_dual_cndmask_b32 v5, v5, v1
	v_add_f64 v[1:2], v[5:6], v[5:6]
	v_bfi_b32 v6, 0x7fffffff, v6, v4
	v_mov_b32_e32 v17, v3
	s_delay_alu instid0(VALU_DEP_1) | instskip(SKIP_1) | instid1(VALU_DEP_2)
	v_div_scale_f64 v[21:22], null, v[1:2], v[1:2], v[17:18]
	v_div_scale_f64 v[17:18], vcc_lo, v[17:18], v[1:2], v[17:18]
	v_rcp_f64_e32 v[35:36], v[21:22]
	s_waitcnt_depctr 0xfff
	v_fma_f64 v[37:38], -v[21:22], v[35:36], 1.0
	s_delay_alu instid0(VALU_DEP_1) | instskip(NEXT) | instid1(VALU_DEP_1)
	v_fma_f64 v[35:36], v[35:36], v[37:38], v[35:36]
	v_fma_f64 v[37:38], -v[21:22], v[35:36], 1.0
	s_delay_alu instid0(VALU_DEP_1) | instskip(NEXT) | instid1(VALU_DEP_1)
	v_fma_f64 v[35:36], v[35:36], v[37:38], v[35:36]
	v_mul_f64 v[37:38], v[17:18], v[35:36]
	s_delay_alu instid0(VALU_DEP_1) | instskip(NEXT) | instid1(VALU_DEP_1)
	v_fma_f64 v[17:18], -v[21:22], v[37:38], v[17:18]
	v_div_fmas_f64 v[17:18], v[17:18], v[35:36], v[37:38]
	s_delay_alu instid0(VALU_DEP_1) | instskip(SKIP_3) | instid1(SALU_CYCLE_1)
	v_div_fixup_f64 v[1:2], v[17:18], v[1:2], |v[3:4]|
	v_dual_mov_b32 v3, v5 :: v_dual_mov_b32 v4, v6
	s_or_b32 exec_lo, exec_lo, s7
	s_and_saveexec_b32 s7, s6
	s_xor_b32 s6, exec_lo, s7
	s_cbranch_execz .LBB234_51
.LBB234_135:                            ;   in Loop: Header=BB234_4 Depth=1
	s_and_saveexec_b32 s7, s30
; %bb.136:                              ;   in Loop: Header=BB234_4 Depth=1
	s_delay_alu instid0(VALU_DEP_2) | instskip(NEXT) | instid1(VALU_DEP_2)
	v_mul_f64 v[1:2], v[1:2], 0.5
	v_mul_f64 v[3:4], v[3:4], 0.5
; %bb.137:                              ;   in Loop: Header=BB234_4 Depth=1
	s_or_b32 exec_lo, exec_lo, s7
	s_and_not1_saveexec_b32 s6, s6
	s_cbranch_execnz .LBB234_52
	s_branch .LBB234_53
.LBB234_138:                            ;   in Loop: Header=BB234_4 Depth=1
	s_delay_alu instid0(VALU_DEP_1) | instskip(NEXT) | instid1(VALU_DEP_1)
	v_add_f64 v[5:6], v[13:14], v[5:6]
	v_mul_f64 v[5:6], v[5:6], 0.5
	s_delay_alu instid0(VALU_DEP_1) | instskip(SKIP_1) | instid1(VALU_DEP_1)
	v_cmp_gt_f64_e32 vcc_lo, 0x10000000, v[5:6]
	v_cndmask_b32_e64 v13, 0, 1, vcc_lo
	v_lshlrev_b32_e32 v13, 8, v13
	s_delay_alu instid0(VALU_DEP_1) | instskip(NEXT) | instid1(VALU_DEP_1)
	v_ldexp_f64 v[5:6], v[5:6], v13
	v_rsq_f64_e32 v[13:14], v[5:6]
	s_waitcnt_depctr 0xfff
	v_mul_f64 v[21:22], v[5:6], v[13:14]
	v_mul_f64 v[13:14], v[13:14], 0.5
	s_delay_alu instid0(VALU_DEP_1) | instskip(NEXT) | instid1(VALU_DEP_1)
	v_fma_f64 v[35:36], -v[13:14], v[21:22], 0.5
	v_fma_f64 v[21:22], v[21:22], v[35:36], v[21:22]
	v_fma_f64 v[13:14], v[13:14], v[35:36], v[13:14]
	s_delay_alu instid0(VALU_DEP_2) | instskip(NEXT) | instid1(VALU_DEP_1)
	v_fma_f64 v[35:36], -v[21:22], v[21:22], v[5:6]
	v_fma_f64 v[21:22], v[35:36], v[13:14], v[21:22]
	s_delay_alu instid0(VALU_DEP_1) | instskip(NEXT) | instid1(VALU_DEP_1)
	v_fma_f64 v[35:36], -v[21:22], v[21:22], v[5:6]
	v_fma_f64 v[13:14], v[35:36], v[13:14], v[21:22]
	v_cndmask_b32_e64 v21, 0, 0xffffff80, vcc_lo
	v_cmp_class_f64_e64 vcc_lo, v[5:6], 0x260
	s_delay_alu instid0(VALU_DEP_2) | instskip(NEXT) | instid1(VALU_DEP_1)
	v_ldexp_f64 v[13:14], v[13:14], v21
	v_dual_cndmask_b32 v14, v14, v6 :: v_dual_cndmask_b32 v13, v13, v5
	s_delay_alu instid0(VALU_DEP_1) | instskip(NEXT) | instid1(VALU_DEP_1)
	v_add_f64 v[5:6], v[13:14], v[13:14]
	v_div_scale_f64 v[21:22], null, v[5:6], v[5:6], v[15:16]
	s_delay_alu instid0(VALU_DEP_1) | instskip(SKIP_2) | instid1(VALU_DEP_1)
	v_rcp_f64_e32 v[35:36], v[21:22]
	s_waitcnt_depctr 0xfff
	v_fma_f64 v[37:38], -v[21:22], v[35:36], 1.0
	v_fma_f64 v[35:36], v[35:36], v[37:38], v[35:36]
	s_delay_alu instid0(VALU_DEP_1) | instskip(NEXT) | instid1(VALU_DEP_1)
	v_fma_f64 v[37:38], -v[21:22], v[35:36], 1.0
	v_fma_f64 v[35:36], v[35:36], v[37:38], v[35:36]
	v_div_scale_f64 v[37:38], vcc_lo, v[15:16], v[5:6], v[15:16]
	s_delay_alu instid0(VALU_DEP_1) | instskip(NEXT) | instid1(VALU_DEP_1)
	v_mul_f64 v[39:40], v[37:38], v[35:36]
	v_fma_f64 v[21:22], -v[21:22], v[39:40], v[37:38]
	s_delay_alu instid0(VALU_DEP_1) | instskip(NEXT) | instid1(VALU_DEP_1)
	v_div_fmas_f64 v[21:22], v[21:22], v[35:36], v[39:40]
	v_div_fixup_f64 v[15:16], v[21:22], v[5:6], v[15:16]
                                        ; implicit-def: $vgpr5_vgpr6
	s_and_not1_saveexec_b32 s7, s7
	s_cbranch_execz .LBB234_77
.LBB234_139:                            ;   in Loop: Header=BB234_4 Depth=1
	v_add_f64 v[5:6], v[5:6], -v[13:14]
	s_delay_alu instid0(VALU_DEP_1) | instskip(NEXT) | instid1(VALU_DEP_1)
	v_mul_f64 v[5:6], v[5:6], 0.5
	v_cmp_gt_f64_e32 vcc_lo, 0x10000000, v[5:6]
	v_cndmask_b32_e64 v13, 0, 1, vcc_lo
	s_delay_alu instid0(VALU_DEP_1) | instskip(NEXT) | instid1(VALU_DEP_1)
	v_lshlrev_b32_e32 v13, 8, v13
	v_ldexp_f64 v[5:6], v[5:6], v13
	s_delay_alu instid0(VALU_DEP_1) | instskip(SKIP_3) | instid1(VALU_DEP_1)
	v_rsq_f64_e32 v[13:14], v[5:6]
	s_waitcnt_depctr 0xfff
	v_mul_f64 v[21:22], v[5:6], v[13:14]
	v_mul_f64 v[13:14], v[13:14], 0.5
	v_fma_f64 v[35:36], -v[13:14], v[21:22], 0.5
	s_delay_alu instid0(VALU_DEP_1) | instskip(SKIP_1) | instid1(VALU_DEP_2)
	v_fma_f64 v[21:22], v[21:22], v[35:36], v[21:22]
	v_fma_f64 v[13:14], v[13:14], v[35:36], v[13:14]
	v_fma_f64 v[35:36], -v[21:22], v[21:22], v[5:6]
	s_delay_alu instid0(VALU_DEP_1) | instskip(NEXT) | instid1(VALU_DEP_1)
	v_fma_f64 v[21:22], v[35:36], v[13:14], v[21:22]
	v_fma_f64 v[35:36], -v[21:22], v[21:22], v[5:6]
	s_delay_alu instid0(VALU_DEP_1) | instskip(SKIP_3) | instid1(VALU_DEP_3)
	v_fma_f64 v[13:14], v[35:36], v[13:14], v[21:22]
	v_cndmask_b32_e64 v21, 0, 0xffffff80, vcc_lo
	v_cmp_class_f64_e64 vcc_lo, v[5:6], 0x260
	v_and_b32_e32 v22, 0x7fffffff, v16
	v_ldexp_f64 v[13:14], v[13:14], v21
	s_delay_alu instid0(VALU_DEP_1) | instskip(NEXT) | instid1(VALU_DEP_1)
	v_dual_cndmask_b32 v6, v14, v6 :: v_dual_cndmask_b32 v5, v13, v5
	v_add_f64 v[13:14], v[5:6], v[5:6]
	v_bfi_b32 v6, 0x7fffffff, v6, v16
	v_mov_b32_e32 v21, v15
	s_delay_alu instid0(VALU_DEP_1) | instskip(SKIP_1) | instid1(VALU_DEP_2)
	v_div_scale_f64 v[35:36], null, v[13:14], v[13:14], v[21:22]
	v_div_scale_f64 v[21:22], vcc_lo, v[21:22], v[13:14], v[21:22]
	v_rcp_f64_e32 v[37:38], v[35:36]
	s_waitcnt_depctr 0xfff
	v_fma_f64 v[39:40], -v[35:36], v[37:38], 1.0
	s_delay_alu instid0(VALU_DEP_1) | instskip(NEXT) | instid1(VALU_DEP_1)
	v_fma_f64 v[37:38], v[37:38], v[39:40], v[37:38]
	v_fma_f64 v[39:40], -v[35:36], v[37:38], 1.0
	s_delay_alu instid0(VALU_DEP_1) | instskip(NEXT) | instid1(VALU_DEP_1)
	v_fma_f64 v[37:38], v[37:38], v[39:40], v[37:38]
	v_mul_f64 v[39:40], v[21:22], v[37:38]
	s_delay_alu instid0(VALU_DEP_1) | instskip(NEXT) | instid1(VALU_DEP_1)
	v_fma_f64 v[21:22], -v[35:36], v[39:40], v[21:22]
	v_div_fmas_f64 v[21:22], v[21:22], v[37:38], v[39:40]
	s_delay_alu instid0(VALU_DEP_1) | instskip(SKIP_3) | instid1(SALU_CYCLE_1)
	v_div_fixup_f64 v[13:14], v[21:22], v[13:14], |v[15:16]|
	v_dual_mov_b32 v16, v6 :: v_dual_mov_b32 v15, v5
	s_or_b32 exec_lo, exec_lo, s7
	s_and_saveexec_b32 s7, s6
	s_xor_b32 s6, exec_lo, s7
	s_cbranch_execz .LBB234_78
.LBB234_140:                            ;   in Loop: Header=BB234_4 Depth=1
	s_and_saveexec_b32 s7, s30
; %bb.141:                              ;   in Loop: Header=BB234_4 Depth=1
	s_delay_alu instid0(VALU_DEP_2) | instskip(NEXT) | instid1(VALU_DEP_2)
	v_mul_f64 v[13:14], v[13:14], 0.5
	v_mul_f64 v[15:16], v[15:16], 0.5
; %bb.142:                              ;   in Loop: Header=BB234_4 Depth=1
	s_or_b32 exec_lo, exec_lo, s7
	s_and_not1_saveexec_b32 s6, s6
	s_cbranch_execnz .LBB234_79
	s_branch .LBB234_80
.LBB234_143:                            ;   in Loop: Header=BB234_4 Depth=1
	s_delay_alu instid0(VALU_DEP_1) | instskip(NEXT) | instid1(VALU_DEP_1)
	v_add_f64 v[1:2], v[9:10], v[1:2]
	v_mul_f64 v[1:2], v[1:2], 0.5
	s_delay_alu instid0(VALU_DEP_1) | instskip(SKIP_1) | instid1(VALU_DEP_1)
	v_cmp_gt_f64_e32 vcc_lo, 0x10000000, v[1:2]
	v_cndmask_b32_e64 v9, 0, 1, vcc_lo
	v_lshlrev_b32_e32 v9, 8, v9
	s_delay_alu instid0(VALU_DEP_1) | instskip(NEXT) | instid1(VALU_DEP_1)
	v_ldexp_f64 v[1:2], v[1:2], v9
	v_rsq_f64_e32 v[9:10], v[1:2]
	s_waitcnt_depctr 0xfff
	v_mul_f64 v[13:14], v[1:2], v[9:10]
	v_mul_f64 v[9:10], v[9:10], 0.5
	s_delay_alu instid0(VALU_DEP_1) | instskip(NEXT) | instid1(VALU_DEP_1)
	v_fma_f64 v[21:22], -v[9:10], v[13:14], 0.5
	v_fma_f64 v[13:14], v[13:14], v[21:22], v[13:14]
	v_fma_f64 v[9:10], v[9:10], v[21:22], v[9:10]
	s_delay_alu instid0(VALU_DEP_2) | instskip(NEXT) | instid1(VALU_DEP_1)
	v_fma_f64 v[21:22], -v[13:14], v[13:14], v[1:2]
	v_fma_f64 v[13:14], v[21:22], v[9:10], v[13:14]
	s_delay_alu instid0(VALU_DEP_1) | instskip(NEXT) | instid1(VALU_DEP_1)
	v_fma_f64 v[21:22], -v[13:14], v[13:14], v[1:2]
	v_fma_f64 v[9:10], v[21:22], v[9:10], v[13:14]
	v_cndmask_b32_e64 v13, 0, 0xffffff80, vcc_lo
	v_cmp_class_f64_e64 vcc_lo, v[1:2], 0x260
	s_delay_alu instid0(VALU_DEP_2) | instskip(NEXT) | instid1(VALU_DEP_1)
	v_ldexp_f64 v[9:10], v[9:10], v13
	v_dual_cndmask_b32 v10, v10, v2 :: v_dual_cndmask_b32 v9, v9, v1
	s_delay_alu instid0(VALU_DEP_1) | instskip(NEXT) | instid1(VALU_DEP_1)
	v_add_f64 v[1:2], v[9:10], v[9:10]
	v_div_scale_f64 v[13:14], null, v[1:2], v[1:2], v[11:12]
	s_delay_alu instid0(VALU_DEP_1) | instskip(SKIP_2) | instid1(VALU_DEP_1)
	v_rcp_f64_e32 v[21:22], v[13:14]
	s_waitcnt_depctr 0xfff
	v_fma_f64 v[35:36], -v[13:14], v[21:22], 1.0
	v_fma_f64 v[21:22], v[21:22], v[35:36], v[21:22]
	s_delay_alu instid0(VALU_DEP_1) | instskip(NEXT) | instid1(VALU_DEP_1)
	v_fma_f64 v[35:36], -v[13:14], v[21:22], 1.0
	v_fma_f64 v[21:22], v[21:22], v[35:36], v[21:22]
	v_div_scale_f64 v[35:36], vcc_lo, v[11:12], v[1:2], v[11:12]
	s_delay_alu instid0(VALU_DEP_1) | instskip(NEXT) | instid1(VALU_DEP_1)
	v_mul_f64 v[37:38], v[35:36], v[21:22]
	v_fma_f64 v[13:14], -v[13:14], v[37:38], v[35:36]
	s_delay_alu instid0(VALU_DEP_1) | instskip(NEXT) | instid1(VALU_DEP_1)
	v_div_fmas_f64 v[13:14], v[13:14], v[21:22], v[37:38]
	v_div_fixup_f64 v[11:12], v[13:14], v[1:2], v[11:12]
                                        ; implicit-def: $vgpr1_vgpr2
	s_and_not1_saveexec_b32 s7, s7
	s_cbranch_execz .LBB234_108
.LBB234_144:                            ;   in Loop: Header=BB234_4 Depth=1
	v_add_f64 v[1:2], v[1:2], -v[9:10]
	s_delay_alu instid0(VALU_DEP_1) | instskip(NEXT) | instid1(VALU_DEP_1)
	v_mul_f64 v[1:2], v[1:2], 0.5
	v_cmp_gt_f64_e32 vcc_lo, 0x10000000, v[1:2]
	v_cndmask_b32_e64 v9, 0, 1, vcc_lo
	s_delay_alu instid0(VALU_DEP_1) | instskip(NEXT) | instid1(VALU_DEP_1)
	v_lshlrev_b32_e32 v9, 8, v9
	v_ldexp_f64 v[1:2], v[1:2], v9
	s_delay_alu instid0(VALU_DEP_1) | instskip(SKIP_3) | instid1(VALU_DEP_1)
	v_rsq_f64_e32 v[9:10], v[1:2]
	s_waitcnt_depctr 0xfff
	v_mul_f64 v[13:14], v[1:2], v[9:10]
	v_mul_f64 v[9:10], v[9:10], 0.5
	v_fma_f64 v[21:22], -v[9:10], v[13:14], 0.5
	s_delay_alu instid0(VALU_DEP_1) | instskip(SKIP_1) | instid1(VALU_DEP_2)
	v_fma_f64 v[13:14], v[13:14], v[21:22], v[13:14]
	v_fma_f64 v[9:10], v[9:10], v[21:22], v[9:10]
	v_fma_f64 v[21:22], -v[13:14], v[13:14], v[1:2]
	s_delay_alu instid0(VALU_DEP_1) | instskip(NEXT) | instid1(VALU_DEP_1)
	v_fma_f64 v[13:14], v[21:22], v[9:10], v[13:14]
	v_fma_f64 v[21:22], -v[13:14], v[13:14], v[1:2]
	s_delay_alu instid0(VALU_DEP_1) | instskip(SKIP_3) | instid1(VALU_DEP_3)
	v_fma_f64 v[9:10], v[21:22], v[9:10], v[13:14]
	v_cndmask_b32_e64 v13, 0, 0xffffff80, vcc_lo
	v_cmp_class_f64_e64 vcc_lo, v[1:2], 0x260
	v_and_b32_e32 v14, 0x7fffffff, v12
	v_ldexp_f64 v[9:10], v[9:10], v13
	s_delay_alu instid0(VALU_DEP_1) | instskip(NEXT) | instid1(VALU_DEP_1)
	v_dual_cndmask_b32 v2, v10, v2 :: v_dual_cndmask_b32 v1, v9, v1
	v_add_f64 v[9:10], v[1:2], v[1:2]
	v_bfi_b32 v2, 0x7fffffff, v2, v12
	v_mov_b32_e32 v13, v11
	s_delay_alu instid0(VALU_DEP_1) | instskip(SKIP_1) | instid1(VALU_DEP_2)
	v_div_scale_f64 v[21:22], null, v[9:10], v[9:10], v[13:14]
	v_div_scale_f64 v[13:14], vcc_lo, v[13:14], v[9:10], v[13:14]
	v_rcp_f64_e32 v[35:36], v[21:22]
	s_waitcnt_depctr 0xfff
	v_fma_f64 v[37:38], -v[21:22], v[35:36], 1.0
	s_delay_alu instid0(VALU_DEP_1) | instskip(NEXT) | instid1(VALU_DEP_1)
	v_fma_f64 v[35:36], v[35:36], v[37:38], v[35:36]
	v_fma_f64 v[37:38], -v[21:22], v[35:36], 1.0
	s_delay_alu instid0(VALU_DEP_1) | instskip(NEXT) | instid1(VALU_DEP_1)
	v_fma_f64 v[35:36], v[35:36], v[37:38], v[35:36]
	v_mul_f64 v[37:38], v[13:14], v[35:36]
	s_delay_alu instid0(VALU_DEP_1) | instskip(NEXT) | instid1(VALU_DEP_1)
	v_fma_f64 v[13:14], -v[21:22], v[37:38], v[13:14]
	v_div_fmas_f64 v[13:14], v[13:14], v[35:36], v[37:38]
	s_delay_alu instid0(VALU_DEP_1) | instskip(SKIP_3) | instid1(SALU_CYCLE_1)
	v_div_fixup_f64 v[9:10], v[13:14], v[9:10], |v[11:12]|
	v_dual_mov_b32 v12, v2 :: v_dual_mov_b32 v11, v1
	s_or_b32 exec_lo, exec_lo, s7
	s_and_saveexec_b32 s7, s6
	s_xor_b32 s6, exec_lo, s7
	s_cbranch_execz .LBB234_109
.LBB234_145:                            ;   in Loop: Header=BB234_4 Depth=1
	s_and_saveexec_b32 s7, s30
; %bb.146:                              ;   in Loop: Header=BB234_4 Depth=1
	s_delay_alu instid0(VALU_DEP_2) | instskip(NEXT) | instid1(VALU_DEP_2)
	v_mul_f64 v[9:10], v[9:10], 0.5
	v_mul_f64 v[11:12], v[11:12], 0.5
; %bb.147:                              ;   in Loop: Header=BB234_4 Depth=1
	s_or_b32 exec_lo, exec_lo, s7
	s_and_not1_saveexec_b32 s6, s6
	s_cbranch_execnz .LBB234_110
	s_branch .LBB234_111
.LBB234_148:
	s_cbranch_execz .LBB234_150
	s_branch .LBB234_281
.LBB234_149:
.LBB234_150:
	v_dual_mov_b32 v25, 0 :: v_dual_lshlrev_b32 v24, 2, v0
	s_mov_b32 s6, 0
	s_mov_b32 s2, exec_lo
	s_delay_alu instid0(VALU_DEP_1)
	v_cmpx_gt_i64_e64 s[8:9], v[24:25]
	s_cbranch_execz .LBB234_281
; %bb.151:
	s_load_b32 s0, s[0:1], 0xd3c
	v_lshlrev_b32_e32 v1, 6, v0
	s_mov_b32 s2, 0x99fcef32
	s_mov_b32 s4, 0
	;; [unrolled: 1-line block ×4, first 2 shown]
	s_waitcnt lgkmcnt(0)
	s_and_b32 s0, s0, 0xffff
	s_delay_alu instid0(SALU_CYCLE_1)
	s_lshl_b32 s7, s0, 2
	s_add_u32 s1, s10, s12
	s_addc_u32 s10, s11, s13
	v_add_co_u32 v26, s1, s1, v1
	v_add_lshl_u32 v24, v0, s0, 2
	v_add_co_ci_u32_e64 v27, null, s10, 0, s1
	s_lshl_b32 s10, s0, 6
	s_branch .LBB234_155
.LBB234_152:                            ;   in Loop: Header=BB234_155 Depth=1
	s_or_b32 exec_lo, exec_lo, s0
	s_delay_alu instid0(VALU_DEP_1)
	v_dual_mov_b32 v9, v1 :: v_dual_mov_b32 v8, v0
.LBB234_153:                            ;   in Loop: Header=BB234_155 Depth=1
	s_or_b32 exec_lo, exec_lo, s12
.LBB234_154:                            ;   in Loop: Header=BB234_155 Depth=1
	s_delay_alu instid0(SALU_CYCLE_1)
	s_or_b32 exec_lo, exec_lo, s11
	v_cmp_le_i64_e32 vcc_lo, s[8:9], v[24:25]
	v_cmp_lt_u64_e64 s0, 0xffff, v[24:25]
	v_dual_mov_b32 v22, v14 :: v_dual_mov_b32 v23, v15
	v_dual_mov_b32 v18, v10 :: v_dual_mov_b32 v19, v11
	;; [unrolled: 1-line block ×3, first 2 shown]
	s_delay_alu instid0(VALU_DEP_4)
	s_or_b32 s0, vcc_lo, s0
	v_add_co_u32 v24, vcc_lo, v24, s7
	v_dual_mov_b32 v10, v2 :: v_dual_mov_b32 v11, v3
	v_add_co_ci_u32_e32 v25, vcc_lo, 0, v25, vcc_lo
	s_clause 0x3
	global_store_b128 v[26:27], v[20:23], off
	global_store_b128 v[26:27], v[16:19], off offset:16
	global_store_b128 v[26:27], v[12:15], off offset:32
	;; [unrolled: 1-line block ×3, first 2 shown]
	v_add_co_u32 v26, vcc_lo, v26, s10
	v_add_co_ci_u32_e32 v27, vcc_lo, 0, v27, vcc_lo
	s_and_b32 s0, exec_lo, s0
	s_delay_alu instid0(SALU_CYCLE_1) | instskip(NEXT) | instid1(SALU_CYCLE_1)
	s_or_b32 s6, s0, s6
	s_and_not1_b32 exec_lo, exec_lo, s6
	s_cbranch_execz .LBB234_281
.LBB234_155:                            ; =>This Inner Loop Header: Depth=1
	s_clause 0x3
	global_load_b128 v[12:15], v[26:27], off
	global_load_b128 v[8:11], v[26:27], off offset:16
	global_load_b128 v[0:3], v[26:27], off offset:48
	;; [unrolled: 1-line block ×3, first 2 shown]
	v_mov_b32_e32 v16, 0
	v_mov_b32_e32 v17, 0
	s_delay_alu instid0(VALU_DEP_1) | instskip(SKIP_3) | instid1(VALU_DEP_1)
	v_dual_mov_b32 v21, v17 :: v_dual_mov_b32 v20, v16
	s_waitcnt vmcnt(3)
	v_cmp_neq_f64_e32 vcc_lo, 0, v[12:13]
	v_cmp_neq_f64_e64 s0, 0, v[14:15]
	s_or_b32 s0, vcc_lo, s0
	s_delay_alu instid0(SALU_CYCLE_1)
	s_and_saveexec_b32 s11, s0
	s_cbranch_execz .LBB234_181
; %bb.156:                              ;   in Loop: Header=BB234_155 Depth=1
	v_mov_b32_e32 v20, s4
	v_mov_b32_e32 v21, s5
	s_mov_b32 s12, exec_lo
	v_cmpx_neq_f64_e64 0x7ff00000, |v[14:15]|
	s_cbranch_execz .LBB234_180
; %bb.157:                              ;   in Loop: Header=BB234_155 Depth=1
	s_mov_b32 s0, exec_lo
	v_cmpx_o_f64_e32 v[12:13], v[12:13]
	s_xor_b32 s13, exec_lo, s0
	s_cbranch_execz .LBB234_177
; %bb.158:                              ;   in Loop: Header=BB234_155 Depth=1
	s_mov_b32 s1, exec_lo
	v_cmpx_neq_f64_e64 0x7ff00000, |v[12:13]|
	s_xor_b32 s14, exec_lo, s1
	s_cbranch_execz .LBB234_171
; %bb.159:                              ;   in Loop: Header=BB234_155 Depth=1
	v_max_f64 v[18:19], |v[14:15]|, |v[14:15]|
	v_max_f64 v[20:21], |v[12:13]|, |v[12:13]|
                                        ; implicit-def: $sgpr15
	s_delay_alu instid0(VALU_DEP_1) | instskip(NEXT) | instid1(VALU_DEP_1)
	v_max_f64 v[18:19], v[20:21], v[18:19]
	v_cmp_nle_f64_e64 s0, s[2:3], v[18:19]
	s_delay_alu instid0(VALU_DEP_1) | instskip(NEXT) | instid1(SALU_CYCLE_1)
	s_and_saveexec_b32 s1, s0
	s_xor_b32 s1, exec_lo, s1
	s_cbranch_execz .LBB234_163
; %bb.160:                              ;   in Loop: Header=BB234_155 Depth=1
	v_cmp_ge_f64_e64 s15, 0x200000, |v[12:13]|
	v_cmp_ge_f64_e64 s16, 0x200000, |v[14:15]|
	s_delay_alu instid0(VALU_DEP_1)
	s_and_b32 s17, s15, s16
	s_mov_b32 s15, 0
	s_and_saveexec_b32 s16, s17
; %bb.161:                              ;   in Loop: Header=BB234_155 Depth=1
	v_mul_f64 v[12:13], v[12:13], 4.0
	v_mul_f64 v[14:15], v[14:15], 4.0
	s_mov_b32 s15, exec_lo
; %bb.162:                              ;   in Loop: Header=BB234_155 Depth=1
	s_or_b32 exec_lo, exec_lo, s16
	s_delay_alu instid0(SALU_CYCLE_1)
	s_and_b32 s15, s15, exec_lo
.LBB234_163:                            ;   in Loop: Header=BB234_155 Depth=1
	s_and_not1_saveexec_b32 s1, s1
; %bb.164:                              ;   in Loop: Header=BB234_155 Depth=1
	s_delay_alu instid0(VALU_DEP_2) | instskip(NEXT) | instid1(VALU_DEP_2)
	v_ldexp_f64 v[12:13], v[12:13], -2
	v_ldexp_f64 v[14:15], v[14:15], -2
	s_and_not1_b32 s15, s15, exec_lo
; %bb.165:                              ;   in Loop: Header=BB234_155 Depth=1
	s_or_b32 exec_lo, exec_lo, s1
	s_delay_alu instid0(VALU_DEP_1) | instskip(NEXT) | instid1(VALU_DEP_3)
	v_max_f64 v[18:19], |v[14:15]|, |v[14:15]|
	v_max_f64 v[20:21], |v[12:13]|, |v[12:13]|
	v_cmp_class_f64_e64 s16, v[12:13], 0x204
	v_cmp_class_f64_e64 s17, v[14:15], 0x204
	v_cmp_le_f64_e64 s1, 0, v[12:13]
	s_delay_alu instid0(VALU_DEP_4) | instskip(NEXT) | instid1(VALU_DEP_3)
	v_max_f64 v[18:19], v[20:21], v[18:19]
	s_or_b32 s16, s17, s16
	s_delay_alu instid0(VALU_DEP_1) | instskip(NEXT) | instid1(VALU_DEP_1)
	v_frexp_exp_i32_f64_e32 v30, v[18:19]
	v_sub_nc_u32_e32 v20, 0, v30
	s_delay_alu instid0(VALU_DEP_1) | instskip(SKIP_1) | instid1(VALU_DEP_2)
	v_ldexp_f64 v[18:19], |v[14:15]|, v20
	v_ldexp_f64 v[20:21], |v[12:13]|, v20
	v_mul_f64 v[18:19], v[18:19], v[18:19]
	s_delay_alu instid0(VALU_DEP_1) | instskip(NEXT) | instid1(VALU_DEP_1)
	v_fma_f64 v[18:19], v[20:21], v[20:21], v[18:19]
	v_rsq_f64_e32 v[20:21], v[18:19]
	v_cmp_eq_f64_e32 vcc_lo, 0, v[18:19]
	s_waitcnt_depctr 0xfff
	v_mul_f64 v[22:23], v[18:19], v[20:21]
	v_mul_f64 v[20:21], v[20:21], 0.5
	s_delay_alu instid0(VALU_DEP_1) | instskip(NEXT) | instid1(VALU_DEP_1)
	v_fma_f64 v[28:29], -v[20:21], v[22:23], 0.5
	v_fma_f64 v[22:23], v[22:23], v[28:29], v[22:23]
	v_fma_f64 v[20:21], v[20:21], v[28:29], v[20:21]
	s_delay_alu instid0(VALU_DEP_2) | instskip(NEXT) | instid1(VALU_DEP_1)
	v_fma_f64 v[28:29], -v[22:23], v[22:23], v[18:19]
	v_fma_f64 v[20:21], v[28:29], v[20:21], v[22:23]
	s_delay_alu instid0(VALU_DEP_1) | instskip(SKIP_1) | instid1(VALU_DEP_2)
	v_dual_cndmask_b32 v19, v21, v19 :: v_dual_cndmask_b32 v18, v20, v18
	v_cmp_o_f64_e32 vcc_lo, v[14:15], v[14:15]
	v_ldexp_f64 v[18:19], v[18:19], v30
	s_delay_alu instid0(VALU_DEP_1) | instskip(NEXT) | instid1(VALU_DEP_2)
	v_cndmask_b32_e32 v18, 0, v18, vcc_lo
	v_cndmask_b32_e32 v19, 0x7ff80000, v19, vcc_lo
	s_delay_alu instid0(VALU_DEP_2) | instskip(NEXT) | instid1(VALU_DEP_2)
	v_cndmask_b32_e64 v18, v18, 0, s16
	v_cndmask_b32_e64 v19, v19, 0x7ff00000, s16
	s_and_saveexec_b32 s16, s1
	s_delay_alu instid0(SALU_CYCLE_1)
	s_xor_b32 s1, exec_lo, s16
	s_cbranch_execnz .LBB234_261
; %bb.166:                              ;   in Loop: Header=BB234_155 Depth=1
	s_and_not1_saveexec_b32 s1, s1
	s_cbranch_execnz .LBB234_262
.LBB234_167:                            ;   in Loop: Header=BB234_155 Depth=1
	s_or_b32 exec_lo, exec_lo, s1
	s_and_saveexec_b32 s1, s0
	s_delay_alu instid0(SALU_CYCLE_1)
	s_xor_b32 s0, exec_lo, s1
	s_cbranch_execnz .LBB234_263
.LBB234_168:                            ;   in Loop: Header=BB234_155 Depth=1
	s_and_not1_saveexec_b32 s0, s0
.LBB234_169:                            ;   in Loop: Header=BB234_155 Depth=1
	s_delay_alu instid0(VALU_DEP_2) | instskip(NEXT) | instid1(VALU_DEP_2)
	v_add_f64 v[12:13], v[12:13], v[12:13]
	v_add_f64 v[14:15], v[14:15], v[14:15]
.LBB234_170:                            ;   in Loop: Header=BB234_155 Depth=1
	s_or_b32 exec_lo, exec_lo, s0
.LBB234_171:                            ;   in Loop: Header=BB234_155 Depth=1
	s_and_not1_saveexec_b32 s0, s14
	s_cbranch_execz .LBB234_260
; %bb.172:                              ;   in Loop: Header=BB234_155 Depth=1
	s_delay_alu instid0(VALU_DEP_1) | instskip(SKIP_1) | instid1(VALU_DEP_3)
	v_add_f64 v[18:19], v[14:15], -v[14:15]
	s_mov_b32 s1, exec_lo
	v_cmpx_lt_i64_e32 -1, v[12:13]
	s_xor_b32 s1, exec_lo, s1
; %bb.173:                              ;   in Loop: Header=BB234_155 Depth=1
	s_delay_alu instid0(VALU_DEP_2) | instskip(NEXT) | instid1(VALU_DEP_1)
	v_bfi_b32 v19, 0x7fffffff, v19, v15
	v_dual_mov_b32 v14, v18 :: v_dual_mov_b32 v15, v19
                                        ; implicit-def: $vgpr18_vgpr19
; %bb.174:                              ;   in Loop: Header=BB234_155 Depth=1
	s_and_not1_saveexec_b32 s1, s1
; %bb.175:                              ;   in Loop: Header=BB234_155 Depth=1
	s_delay_alu instid0(VALU_DEP_1) | instskip(SKIP_1) | instid1(VALU_DEP_2)
	v_bfi_b32 v13, 0x7fffffff, v13, v15
	v_and_b32_e32 v19, 0x7fffffff, v19
	v_dual_mov_b32 v15, v13 :: v_dual_mov_b32 v14, v12
	s_delay_alu instid0(VALU_DEP_2)
	v_dual_mov_b32 v12, v18 :: v_dual_mov_b32 v13, v19
; %bb.176:                              ;   in Loop: Header=BB234_155 Depth=1
	s_or_b32 exec_lo, exec_lo, s1
	s_delay_alu instid0(SALU_CYCLE_1)
	s_or_b32 exec_lo, exec_lo, s0
.LBB234_177:                            ;   in Loop: Header=BB234_155 Depth=1
	s_and_not1_saveexec_b32 s0, s13
.LBB234_178:                            ;   in Loop: Header=BB234_155 Depth=1
	s_delay_alu instid0(VALU_DEP_1) | instskip(NEXT) | instid1(VALU_DEP_1)
	v_add_f64 v[14:15], v[14:15], -v[14:15]
	v_div_scale_f64 v[18:19], vcc_lo, v[14:15], v[14:15], v[14:15]
	s_delay_alu instid0(VALU_DEP_1) | instskip(SKIP_2) | instid1(VALU_DEP_1)
	v_rcp_f64_e32 v[20:21], v[18:19]
	s_waitcnt_depctr 0xfff
	v_fma_f64 v[22:23], -v[18:19], v[20:21], 1.0
	v_fma_f64 v[20:21], v[20:21], v[22:23], v[20:21]
	s_delay_alu instid0(VALU_DEP_1) | instskip(NEXT) | instid1(VALU_DEP_1)
	v_fma_f64 v[22:23], -v[18:19], v[20:21], 1.0
	v_fma_f64 v[20:21], v[20:21], v[22:23], v[20:21]
	s_delay_alu instid0(VALU_DEP_1) | instskip(NEXT) | instid1(VALU_DEP_1)
	v_mul_f64 v[22:23], v[18:19], v[20:21]
	v_fma_f64 v[18:19], -v[18:19], v[22:23], v[18:19]
	s_delay_alu instid0(VALU_DEP_1) | instskip(NEXT) | instid1(VALU_DEP_1)
	v_div_fmas_f64 v[18:19], v[18:19], v[20:21], v[22:23]
	v_div_fixup_f64 v[14:15], v[18:19], v[14:15], v[14:15]
.LBB234_179:                            ;   in Loop: Header=BB234_155 Depth=1
	s_or_b32 exec_lo, exec_lo, s0
	s_delay_alu instid0(VALU_DEP_2)
	v_dual_mov_b32 v21, v13 :: v_dual_mov_b32 v20, v12
.LBB234_180:                            ;   in Loop: Header=BB234_155 Depth=1
	s_or_b32 exec_lo, exec_lo, s12
.LBB234_181:                            ;   in Loop: Header=BB234_155 Depth=1
	s_delay_alu instid0(SALU_CYCLE_1) | instskip(SKIP_3) | instid1(VALU_DEP_1)
	s_or_b32 exec_lo, exec_lo, s11
	s_waitcnt vmcnt(2)
	v_cmp_neq_f64_e32 vcc_lo, 0, v[8:9]
	v_cmp_neq_f64_e64 s0, 0, v[10:11]
	s_or_b32 s0, vcc_lo, s0
	s_delay_alu instid0(SALU_CYCLE_1)
	s_and_saveexec_b32 s11, s0
	s_cbranch_execz .LBB234_208
; %bb.182:                              ;   in Loop: Header=BB234_155 Depth=1
	v_mov_b32_e32 v16, s4
	v_mov_b32_e32 v17, s5
	s_mov_b32 s12, exec_lo
	v_cmpx_neq_f64_e64 0x7ff00000, |v[10:11]|
	s_cbranch_execz .LBB234_207
; %bb.183:                              ;   in Loop: Header=BB234_155 Depth=1
	s_mov_b32 s0, exec_lo
	v_cmpx_o_f64_e32 v[8:9], v[8:9]
	s_xor_b32 s13, exec_lo, s0
	s_cbranch_execz .LBB234_204
; %bb.184:                              ;   in Loop: Header=BB234_155 Depth=1
	s_mov_b32 s1, exec_lo
	v_cmpx_neq_f64_e64 0x7ff00000, |v[8:9]|
	s_xor_b32 s14, exec_lo, s1
	s_cbranch_execz .LBB234_197
; %bb.185:                              ;   in Loop: Header=BB234_155 Depth=1
	v_max_f64 v[12:13], |v[10:11]|, |v[10:11]|
	v_max_f64 v[16:17], |v[8:9]|, |v[8:9]|
                                        ; implicit-def: $sgpr15
	s_delay_alu instid0(VALU_DEP_1) | instskip(NEXT) | instid1(VALU_DEP_1)
	v_max_f64 v[12:13], v[16:17], v[12:13]
	v_cmp_nle_f64_e64 s0, s[2:3], v[12:13]
	s_delay_alu instid0(VALU_DEP_1) | instskip(NEXT) | instid1(SALU_CYCLE_1)
	s_and_saveexec_b32 s1, s0
	s_xor_b32 s1, exec_lo, s1
	s_cbranch_execz .LBB234_189
; %bb.186:                              ;   in Loop: Header=BB234_155 Depth=1
	v_cmp_ge_f64_e64 s15, 0x200000, |v[8:9]|
	v_cmp_ge_f64_e64 s16, 0x200000, |v[10:11]|
	s_delay_alu instid0(VALU_DEP_1)
	s_and_b32 s17, s15, s16
	s_mov_b32 s15, 0
	s_and_saveexec_b32 s16, s17
; %bb.187:                              ;   in Loop: Header=BB234_155 Depth=1
	v_mul_f64 v[8:9], v[8:9], 4.0
	v_mul_f64 v[10:11], v[10:11], 4.0
	s_mov_b32 s15, exec_lo
; %bb.188:                              ;   in Loop: Header=BB234_155 Depth=1
	s_or_b32 exec_lo, exec_lo, s16
	s_delay_alu instid0(SALU_CYCLE_1)
	s_and_b32 s15, s15, exec_lo
.LBB234_189:                            ;   in Loop: Header=BB234_155 Depth=1
	s_and_not1_saveexec_b32 s1, s1
; %bb.190:                              ;   in Loop: Header=BB234_155 Depth=1
	s_delay_alu instid0(VALU_DEP_2) | instskip(NEXT) | instid1(VALU_DEP_2)
	v_ldexp_f64 v[8:9], v[8:9], -2
	v_ldexp_f64 v[10:11], v[10:11], -2
	s_and_not1_b32 s15, s15, exec_lo
; %bb.191:                              ;   in Loop: Header=BB234_155 Depth=1
	s_or_b32 exec_lo, exec_lo, s1
	s_delay_alu instid0(VALU_DEP_1) | instskip(NEXT) | instid1(VALU_DEP_3)
	v_max_f64 v[12:13], |v[10:11]|, |v[10:11]|
	v_max_f64 v[16:17], |v[8:9]|, |v[8:9]|
	v_cmp_class_f64_e64 s16, v[8:9], 0x204
	v_cmp_class_f64_e64 s17, v[10:11], 0x204
	v_cmp_le_f64_e64 s1, 0, v[8:9]
	s_delay_alu instid0(VALU_DEP_4) | instskip(NEXT) | instid1(VALU_DEP_3)
	v_max_f64 v[12:13], v[16:17], v[12:13]
	s_or_b32 s16, s17, s16
	s_delay_alu instid0(VALU_DEP_1) | instskip(NEXT) | instid1(VALU_DEP_1)
	v_frexp_exp_i32_f64_e32 v28, v[12:13]
	v_sub_nc_u32_e32 v16, 0, v28
	s_delay_alu instid0(VALU_DEP_1) | instskip(SKIP_1) | instid1(VALU_DEP_2)
	v_ldexp_f64 v[12:13], |v[10:11]|, v16
	v_ldexp_f64 v[16:17], |v[8:9]|, v16
	v_mul_f64 v[12:13], v[12:13], v[12:13]
	s_delay_alu instid0(VALU_DEP_1) | instskip(NEXT) | instid1(VALU_DEP_1)
	v_fma_f64 v[12:13], v[16:17], v[16:17], v[12:13]
	v_rsq_f64_e32 v[16:17], v[12:13]
	v_cmp_eq_f64_e32 vcc_lo, 0, v[12:13]
	s_waitcnt_depctr 0xfff
	v_mul_f64 v[18:19], v[12:13], v[16:17]
	v_mul_f64 v[16:17], v[16:17], 0.5
	s_delay_alu instid0(VALU_DEP_1) | instskip(NEXT) | instid1(VALU_DEP_1)
	v_fma_f64 v[22:23], -v[16:17], v[18:19], 0.5
	v_fma_f64 v[18:19], v[18:19], v[22:23], v[18:19]
	v_fma_f64 v[16:17], v[16:17], v[22:23], v[16:17]
	s_delay_alu instid0(VALU_DEP_2) | instskip(NEXT) | instid1(VALU_DEP_1)
	v_fma_f64 v[22:23], -v[18:19], v[18:19], v[12:13]
	v_fma_f64 v[16:17], v[22:23], v[16:17], v[18:19]
	s_delay_alu instid0(VALU_DEP_1) | instskip(SKIP_1) | instid1(VALU_DEP_2)
	v_dual_cndmask_b32 v13, v17, v13 :: v_dual_cndmask_b32 v12, v16, v12
	v_cmp_o_f64_e32 vcc_lo, v[10:11], v[10:11]
	v_ldexp_f64 v[12:13], v[12:13], v28
	s_delay_alu instid0(VALU_DEP_1) | instskip(NEXT) | instid1(VALU_DEP_2)
	v_cndmask_b32_e32 v12, 0, v12, vcc_lo
	v_cndmask_b32_e32 v13, 0x7ff80000, v13, vcc_lo
	s_delay_alu instid0(VALU_DEP_2) | instskip(NEXT) | instid1(VALU_DEP_2)
	v_cndmask_b32_e64 v12, v12, 0, s16
	v_cndmask_b32_e64 v13, v13, 0x7ff00000, s16
	s_and_saveexec_b32 s16, s1
	s_delay_alu instid0(SALU_CYCLE_1)
	s_xor_b32 s1, exec_lo, s16
	s_cbranch_execnz .LBB234_266
; %bb.192:                              ;   in Loop: Header=BB234_155 Depth=1
	s_and_not1_saveexec_b32 s1, s1
	s_cbranch_execnz .LBB234_267
.LBB234_193:                            ;   in Loop: Header=BB234_155 Depth=1
	s_or_b32 exec_lo, exec_lo, s1
	s_and_saveexec_b32 s1, s0
	s_delay_alu instid0(SALU_CYCLE_1)
	s_xor_b32 s0, exec_lo, s1
	s_cbranch_execnz .LBB234_268
.LBB234_194:                            ;   in Loop: Header=BB234_155 Depth=1
	s_and_not1_saveexec_b32 s0, s0
.LBB234_195:                            ;   in Loop: Header=BB234_155 Depth=1
	s_delay_alu instid0(VALU_DEP_2) | instskip(NEXT) | instid1(VALU_DEP_2)
	v_add_f64 v[8:9], v[8:9], v[8:9]
	v_add_f64 v[10:11], v[10:11], v[10:11]
.LBB234_196:                            ;   in Loop: Header=BB234_155 Depth=1
	s_or_b32 exec_lo, exec_lo, s0
.LBB234_197:                            ;   in Loop: Header=BB234_155 Depth=1
	s_and_not1_saveexec_b32 s0, s14
	s_cbranch_execz .LBB234_203
; %bb.198:                              ;   in Loop: Header=BB234_155 Depth=1
	s_delay_alu instid0(VALU_DEP_1) | instskip(SKIP_1) | instid1(VALU_DEP_3)
	v_add_f64 v[12:13], v[10:11], -v[10:11]
	s_mov_b32 s1, exec_lo
	v_cmpx_lt_i64_e32 -1, v[8:9]
	s_xor_b32 s1, exec_lo, s1
; %bb.199:                              ;   in Loop: Header=BB234_155 Depth=1
	s_delay_alu instid0(VALU_DEP_2) | instskip(NEXT) | instid1(VALU_DEP_1)
	v_bfi_b32 v13, 0x7fffffff, v13, v11
	v_dual_mov_b32 v10, v12 :: v_dual_mov_b32 v11, v13
                                        ; implicit-def: $vgpr12_vgpr13
; %bb.200:                              ;   in Loop: Header=BB234_155 Depth=1
	s_and_not1_saveexec_b32 s1, s1
; %bb.201:                              ;   in Loop: Header=BB234_155 Depth=1
	s_delay_alu instid0(VALU_DEP_1) | instskip(SKIP_1) | instid1(VALU_DEP_2)
	v_bfi_b32 v9, 0x7fffffff, v9, v11
	v_and_b32_e32 v13, 0x7fffffff, v13
	v_dual_mov_b32 v11, v9 :: v_dual_mov_b32 v10, v8
	s_delay_alu instid0(VALU_DEP_2)
	v_dual_mov_b32 v8, v12 :: v_dual_mov_b32 v9, v13
; %bb.202:                              ;   in Loop: Header=BB234_155 Depth=1
	s_or_b32 exec_lo, exec_lo, s1
.LBB234_203:                            ;   in Loop: Header=BB234_155 Depth=1
	s_delay_alu instid0(SALU_CYCLE_1)
	s_or_b32 exec_lo, exec_lo, s0
.LBB234_204:                            ;   in Loop: Header=BB234_155 Depth=1
	s_and_not1_saveexec_b32 s0, s13
; %bb.205:                              ;   in Loop: Header=BB234_155 Depth=1
	s_delay_alu instid0(VALU_DEP_1) | instskip(NEXT) | instid1(VALU_DEP_1)
	v_add_f64 v[10:11], v[10:11], -v[10:11]
	v_div_scale_f64 v[12:13], vcc_lo, v[10:11], v[10:11], v[10:11]
	s_delay_alu instid0(VALU_DEP_1) | instskip(SKIP_2) | instid1(VALU_DEP_1)
	v_rcp_f64_e32 v[16:17], v[12:13]
	s_waitcnt_depctr 0xfff
	v_fma_f64 v[18:19], -v[12:13], v[16:17], 1.0
	v_fma_f64 v[16:17], v[16:17], v[18:19], v[16:17]
	s_delay_alu instid0(VALU_DEP_1) | instskip(NEXT) | instid1(VALU_DEP_1)
	v_fma_f64 v[18:19], -v[12:13], v[16:17], 1.0
	v_fma_f64 v[16:17], v[16:17], v[18:19], v[16:17]
	s_delay_alu instid0(VALU_DEP_1) | instskip(NEXT) | instid1(VALU_DEP_1)
	v_mul_f64 v[18:19], v[12:13], v[16:17]
	v_fma_f64 v[12:13], -v[12:13], v[18:19], v[12:13]
	s_delay_alu instid0(VALU_DEP_1) | instskip(NEXT) | instid1(VALU_DEP_1)
	v_div_fmas_f64 v[12:13], v[12:13], v[16:17], v[18:19]
	v_div_fixup_f64 v[10:11], v[12:13], v[10:11], v[10:11]
; %bb.206:                              ;   in Loop: Header=BB234_155 Depth=1
	s_or_b32 exec_lo, exec_lo, s0
	v_dual_mov_b32 v17, v9 :: v_dual_mov_b32 v16, v8
.LBB234_207:                            ;   in Loop: Header=BB234_155 Depth=1
	s_or_b32 exec_lo, exec_lo, s12
.LBB234_208:                            ;   in Loop: Header=BB234_155 Depth=1
	s_delay_alu instid0(SALU_CYCLE_1)
	s_or_b32 exec_lo, exec_lo, s11
	s_waitcnt vmcnt(0)
	v_cmp_neq_f64_e32 vcc_lo, 0, v[4:5]
	v_cmp_neq_f64_e64 s0, 0, v[6:7]
	v_mov_b32_e32 v8, 0
	v_mov_b32_e32 v9, 0
	s_delay_alu instid0(VALU_DEP_1) | instskip(NEXT) | instid1(VALU_DEP_4)
	v_dual_mov_b32 v13, v9 :: v_dual_mov_b32 v12, v8
	s_or_b32 s0, vcc_lo, s0
	s_delay_alu instid0(SALU_CYCLE_1)
	s_and_saveexec_b32 s11, s0
	s_cbranch_execz .LBB234_235
; %bb.209:                              ;   in Loop: Header=BB234_155 Depth=1
	v_mov_b32_e32 v12, s4
	v_mov_b32_e32 v13, s5
	s_mov_b32 s12, exec_lo
	v_cmpx_neq_f64_e64 0x7ff00000, |v[6:7]|
	s_cbranch_execz .LBB234_234
; %bb.210:                              ;   in Loop: Header=BB234_155 Depth=1
	s_mov_b32 s0, exec_lo
	v_cmpx_o_f64_e32 v[4:5], v[4:5]
	s_xor_b32 s13, exec_lo, s0
	s_cbranch_execz .LBB234_231
; %bb.211:                              ;   in Loop: Header=BB234_155 Depth=1
	s_mov_b32 s1, exec_lo
	v_cmpx_neq_f64_e64 0x7ff00000, |v[4:5]|
	s_xor_b32 s14, exec_lo, s1
	s_cbranch_execz .LBB234_224
; %bb.212:                              ;   in Loop: Header=BB234_155 Depth=1
	v_max_f64 v[12:13], |v[6:7]|, |v[6:7]|
	v_max_f64 v[18:19], |v[4:5]|, |v[4:5]|
                                        ; implicit-def: $sgpr15
	s_delay_alu instid0(VALU_DEP_1) | instskip(NEXT) | instid1(VALU_DEP_1)
	v_max_f64 v[12:13], v[18:19], v[12:13]
	v_cmp_nle_f64_e64 s0, s[2:3], v[12:13]
	s_delay_alu instid0(VALU_DEP_1) | instskip(NEXT) | instid1(SALU_CYCLE_1)
	s_and_saveexec_b32 s1, s0
	s_xor_b32 s1, exec_lo, s1
	s_cbranch_execz .LBB234_216
; %bb.213:                              ;   in Loop: Header=BB234_155 Depth=1
	v_cmp_ge_f64_e64 s15, 0x200000, |v[4:5]|
	v_cmp_ge_f64_e64 s16, 0x200000, |v[6:7]|
	s_delay_alu instid0(VALU_DEP_1)
	s_and_b32 s17, s15, s16
	s_mov_b32 s15, 0
	s_and_saveexec_b32 s16, s17
; %bb.214:                              ;   in Loop: Header=BB234_155 Depth=1
	v_mul_f64 v[4:5], v[4:5], 4.0
	v_mul_f64 v[6:7], v[6:7], 4.0
	s_mov_b32 s15, exec_lo
; %bb.215:                              ;   in Loop: Header=BB234_155 Depth=1
	s_or_b32 exec_lo, exec_lo, s16
	s_delay_alu instid0(SALU_CYCLE_1)
	s_and_b32 s15, s15, exec_lo
.LBB234_216:                            ;   in Loop: Header=BB234_155 Depth=1
	s_and_not1_saveexec_b32 s1, s1
; %bb.217:                              ;   in Loop: Header=BB234_155 Depth=1
	s_delay_alu instid0(VALU_DEP_2) | instskip(NEXT) | instid1(VALU_DEP_2)
	v_ldexp_f64 v[4:5], v[4:5], -2
	v_ldexp_f64 v[6:7], v[6:7], -2
	s_and_not1_b32 s15, s15, exec_lo
; %bb.218:                              ;   in Loop: Header=BB234_155 Depth=1
	s_or_b32 exec_lo, exec_lo, s1
	s_delay_alu instid0(VALU_DEP_1) | instskip(NEXT) | instid1(VALU_DEP_3)
	v_max_f64 v[12:13], |v[6:7]|, |v[6:7]|
	v_max_f64 v[18:19], |v[4:5]|, |v[4:5]|
	v_cmp_class_f64_e64 s16, v[4:5], 0x204
	v_cmp_class_f64_e64 s17, v[6:7], 0x204
	v_cmp_le_f64_e64 s1, 0, v[4:5]
	s_delay_alu instid0(VALU_DEP_4) | instskip(NEXT) | instid1(VALU_DEP_3)
	v_max_f64 v[12:13], v[18:19], v[12:13]
	s_or_b32 s16, s17, s16
	s_delay_alu instid0(VALU_DEP_1) | instskip(NEXT) | instid1(VALU_DEP_1)
	v_frexp_exp_i32_f64_e32 v30, v[12:13]
	v_sub_nc_u32_e32 v18, 0, v30
	s_delay_alu instid0(VALU_DEP_1) | instskip(SKIP_1) | instid1(VALU_DEP_2)
	v_ldexp_f64 v[12:13], |v[6:7]|, v18
	v_ldexp_f64 v[18:19], |v[4:5]|, v18
	v_mul_f64 v[12:13], v[12:13], v[12:13]
	s_delay_alu instid0(VALU_DEP_1) | instskip(NEXT) | instid1(VALU_DEP_1)
	v_fma_f64 v[12:13], v[18:19], v[18:19], v[12:13]
	v_rsq_f64_e32 v[18:19], v[12:13]
	v_cmp_eq_f64_e32 vcc_lo, 0, v[12:13]
	s_waitcnt_depctr 0xfff
	v_mul_f64 v[22:23], v[12:13], v[18:19]
	v_mul_f64 v[18:19], v[18:19], 0.5
	s_delay_alu instid0(VALU_DEP_1) | instskip(NEXT) | instid1(VALU_DEP_1)
	v_fma_f64 v[28:29], -v[18:19], v[22:23], 0.5
	v_fma_f64 v[22:23], v[22:23], v[28:29], v[22:23]
	v_fma_f64 v[18:19], v[18:19], v[28:29], v[18:19]
	s_delay_alu instid0(VALU_DEP_2) | instskip(NEXT) | instid1(VALU_DEP_1)
	v_fma_f64 v[28:29], -v[22:23], v[22:23], v[12:13]
	v_fma_f64 v[18:19], v[28:29], v[18:19], v[22:23]
	s_delay_alu instid0(VALU_DEP_1) | instskip(SKIP_1) | instid1(VALU_DEP_2)
	v_dual_cndmask_b32 v13, v19, v13 :: v_dual_cndmask_b32 v12, v18, v12
	v_cmp_o_f64_e32 vcc_lo, v[6:7], v[6:7]
	v_ldexp_f64 v[12:13], v[12:13], v30
	s_delay_alu instid0(VALU_DEP_1) | instskip(NEXT) | instid1(VALU_DEP_2)
	v_cndmask_b32_e32 v12, 0, v12, vcc_lo
	v_cndmask_b32_e32 v13, 0x7ff80000, v13, vcc_lo
	s_delay_alu instid0(VALU_DEP_2) | instskip(NEXT) | instid1(VALU_DEP_2)
	v_cndmask_b32_e64 v12, v12, 0, s16
	v_cndmask_b32_e64 v13, v13, 0x7ff00000, s16
	s_and_saveexec_b32 s16, s1
	s_delay_alu instid0(SALU_CYCLE_1)
	s_xor_b32 s1, exec_lo, s16
	s_cbranch_execnz .LBB234_271
; %bb.219:                              ;   in Loop: Header=BB234_155 Depth=1
	s_and_not1_saveexec_b32 s1, s1
	s_cbranch_execnz .LBB234_272
.LBB234_220:                            ;   in Loop: Header=BB234_155 Depth=1
	s_or_b32 exec_lo, exec_lo, s1
	s_and_saveexec_b32 s1, s0
	s_delay_alu instid0(SALU_CYCLE_1)
	s_xor_b32 s0, exec_lo, s1
	s_cbranch_execnz .LBB234_273
.LBB234_221:                            ;   in Loop: Header=BB234_155 Depth=1
	s_and_not1_saveexec_b32 s0, s0
.LBB234_222:                            ;   in Loop: Header=BB234_155 Depth=1
	s_delay_alu instid0(VALU_DEP_2) | instskip(NEXT) | instid1(VALU_DEP_2)
	v_add_f64 v[4:5], v[4:5], v[4:5]
	v_add_f64 v[6:7], v[6:7], v[6:7]
.LBB234_223:                            ;   in Loop: Header=BB234_155 Depth=1
	s_or_b32 exec_lo, exec_lo, s0
.LBB234_224:                            ;   in Loop: Header=BB234_155 Depth=1
	s_and_not1_saveexec_b32 s0, s14
	s_cbranch_execz .LBB234_230
; %bb.225:                              ;   in Loop: Header=BB234_155 Depth=1
	s_delay_alu instid0(VALU_DEP_1) | instskip(SKIP_1) | instid1(VALU_DEP_3)
	v_add_f64 v[12:13], v[6:7], -v[6:7]
	s_mov_b32 s1, exec_lo
	v_cmpx_lt_i64_e32 -1, v[4:5]
	s_xor_b32 s1, exec_lo, s1
; %bb.226:                              ;   in Loop: Header=BB234_155 Depth=1
	s_delay_alu instid0(VALU_DEP_2) | instskip(NEXT) | instid1(VALU_DEP_1)
	v_bfi_b32 v13, 0x7fffffff, v13, v7
	v_dual_mov_b32 v6, v12 :: v_dual_mov_b32 v7, v13
                                        ; implicit-def: $vgpr12_vgpr13
; %bb.227:                              ;   in Loop: Header=BB234_155 Depth=1
	s_and_not1_saveexec_b32 s1, s1
; %bb.228:                              ;   in Loop: Header=BB234_155 Depth=1
	s_delay_alu instid0(VALU_DEP_1) | instskip(SKIP_1) | instid1(VALU_DEP_2)
	v_bfi_b32 v5, 0x7fffffff, v5, v7
	v_and_b32_e32 v13, 0x7fffffff, v13
	v_dual_mov_b32 v7, v5 :: v_dual_mov_b32 v6, v4
	s_delay_alu instid0(VALU_DEP_2)
	v_dual_mov_b32 v4, v12 :: v_dual_mov_b32 v5, v13
; %bb.229:                              ;   in Loop: Header=BB234_155 Depth=1
	s_or_b32 exec_lo, exec_lo, s1
.LBB234_230:                            ;   in Loop: Header=BB234_155 Depth=1
	s_delay_alu instid0(SALU_CYCLE_1)
	s_or_b32 exec_lo, exec_lo, s0
.LBB234_231:                            ;   in Loop: Header=BB234_155 Depth=1
	s_and_not1_saveexec_b32 s0, s13
; %bb.232:                              ;   in Loop: Header=BB234_155 Depth=1
	s_delay_alu instid0(VALU_DEP_1) | instskip(NEXT) | instid1(VALU_DEP_1)
	v_add_f64 v[6:7], v[6:7], -v[6:7]
	v_div_scale_f64 v[12:13], vcc_lo, v[6:7], v[6:7], v[6:7]
	s_delay_alu instid0(VALU_DEP_1) | instskip(SKIP_2) | instid1(VALU_DEP_1)
	v_rcp_f64_e32 v[18:19], v[12:13]
	s_waitcnt_depctr 0xfff
	v_fma_f64 v[22:23], -v[12:13], v[18:19], 1.0
	v_fma_f64 v[18:19], v[18:19], v[22:23], v[18:19]
	s_delay_alu instid0(VALU_DEP_1) | instskip(NEXT) | instid1(VALU_DEP_1)
	v_fma_f64 v[22:23], -v[12:13], v[18:19], 1.0
	v_fma_f64 v[18:19], v[18:19], v[22:23], v[18:19]
	s_delay_alu instid0(VALU_DEP_1) | instskip(NEXT) | instid1(VALU_DEP_1)
	v_mul_f64 v[22:23], v[12:13], v[18:19]
	v_fma_f64 v[12:13], -v[12:13], v[22:23], v[12:13]
	s_delay_alu instid0(VALU_DEP_1) | instskip(NEXT) | instid1(VALU_DEP_1)
	v_div_fmas_f64 v[12:13], v[12:13], v[18:19], v[22:23]
	v_div_fixup_f64 v[6:7], v[12:13], v[6:7], v[6:7]
; %bb.233:                              ;   in Loop: Header=BB234_155 Depth=1
	s_or_b32 exec_lo, exec_lo, s0
	v_dual_mov_b32 v13, v5 :: v_dual_mov_b32 v12, v4
.LBB234_234:                            ;   in Loop: Header=BB234_155 Depth=1
	s_or_b32 exec_lo, exec_lo, s12
.LBB234_235:                            ;   in Loop: Header=BB234_155 Depth=1
	s_delay_alu instid0(SALU_CYCLE_1) | instskip(SKIP_2) | instid1(VALU_DEP_1)
	s_or_b32 exec_lo, exec_lo, s11
	v_cmp_neq_f64_e32 vcc_lo, 0, v[0:1]
	v_cmp_neq_f64_e64 s0, 0, v[2:3]
	s_or_b32 s0, vcc_lo, s0
	s_delay_alu instid0(SALU_CYCLE_1)
	s_and_saveexec_b32 s11, s0
	s_cbranch_execz .LBB234_154
; %bb.236:                              ;   in Loop: Header=BB234_155 Depth=1
	v_mov_b32_e32 v8, s4
	v_mov_b32_e32 v9, s5
	s_mov_b32 s12, exec_lo
	v_cmpx_neq_f64_e64 0x7ff00000, |v[2:3]|
	s_cbranch_execz .LBB234_153
; %bb.237:                              ;   in Loop: Header=BB234_155 Depth=1
	s_mov_b32 s0, exec_lo
	v_cmpx_o_f64_e32 v[0:1], v[0:1]
	s_xor_b32 s13, exec_lo, s0
	s_cbranch_execz .LBB234_258
; %bb.238:                              ;   in Loop: Header=BB234_155 Depth=1
	s_mov_b32 s1, exec_lo
	v_cmpx_neq_f64_e64 0x7ff00000, |v[0:1]|
	s_xor_b32 s14, exec_lo, s1
	s_cbranch_execz .LBB234_251
; %bb.239:                              ;   in Loop: Header=BB234_155 Depth=1
	v_max_f64 v[4:5], |v[2:3]|, |v[2:3]|
	v_max_f64 v[8:9], |v[0:1]|, |v[0:1]|
                                        ; implicit-def: $sgpr15
	s_delay_alu instid0(VALU_DEP_1) | instskip(NEXT) | instid1(VALU_DEP_1)
	v_max_f64 v[4:5], v[8:9], v[4:5]
	v_cmp_nle_f64_e64 s0, s[2:3], v[4:5]
	s_delay_alu instid0(VALU_DEP_1) | instskip(NEXT) | instid1(SALU_CYCLE_1)
	s_and_saveexec_b32 s1, s0
	s_xor_b32 s1, exec_lo, s1
	s_cbranch_execz .LBB234_243
; %bb.240:                              ;   in Loop: Header=BB234_155 Depth=1
	v_cmp_ge_f64_e64 s15, 0x200000, |v[0:1]|
	v_cmp_ge_f64_e64 s16, 0x200000, |v[2:3]|
	s_delay_alu instid0(VALU_DEP_1)
	s_and_b32 s17, s15, s16
	s_mov_b32 s15, 0
	s_and_saveexec_b32 s16, s17
; %bb.241:                              ;   in Loop: Header=BB234_155 Depth=1
	v_mul_f64 v[0:1], v[0:1], 4.0
	v_mul_f64 v[2:3], v[2:3], 4.0
	s_mov_b32 s15, exec_lo
; %bb.242:                              ;   in Loop: Header=BB234_155 Depth=1
	s_or_b32 exec_lo, exec_lo, s16
	s_delay_alu instid0(SALU_CYCLE_1)
	s_and_b32 s15, s15, exec_lo
.LBB234_243:                            ;   in Loop: Header=BB234_155 Depth=1
	s_and_not1_saveexec_b32 s1, s1
; %bb.244:                              ;   in Loop: Header=BB234_155 Depth=1
	s_delay_alu instid0(VALU_DEP_2) | instskip(NEXT) | instid1(VALU_DEP_2)
	v_ldexp_f64 v[0:1], v[0:1], -2
	v_ldexp_f64 v[2:3], v[2:3], -2
	s_and_not1_b32 s15, s15, exec_lo
; %bb.245:                              ;   in Loop: Header=BB234_155 Depth=1
	s_or_b32 exec_lo, exec_lo, s1
	s_delay_alu instid0(VALU_DEP_1) | instskip(NEXT) | instid1(VALU_DEP_3)
	v_max_f64 v[4:5], |v[2:3]|, |v[2:3]|
	v_max_f64 v[8:9], |v[0:1]|, |v[0:1]|
	v_cmp_class_f64_e64 s16, v[0:1], 0x204
	v_cmp_class_f64_e64 s17, v[2:3], 0x204
	v_cmp_le_f64_e64 s1, 0, v[0:1]
	s_delay_alu instid0(VALU_DEP_4) | instskip(NEXT) | instid1(VALU_DEP_3)
	v_max_f64 v[4:5], v[8:9], v[4:5]
	s_or_b32 s16, s17, s16
	s_delay_alu instid0(VALU_DEP_1) | instskip(NEXT) | instid1(VALU_DEP_1)
	v_frexp_exp_i32_f64_e32 v28, v[4:5]
	v_sub_nc_u32_e32 v8, 0, v28
	s_delay_alu instid0(VALU_DEP_1) | instskip(SKIP_1) | instid1(VALU_DEP_2)
	v_ldexp_f64 v[4:5], |v[2:3]|, v8
	v_ldexp_f64 v[8:9], |v[0:1]|, v8
	v_mul_f64 v[4:5], v[4:5], v[4:5]
	s_delay_alu instid0(VALU_DEP_1) | instskip(NEXT) | instid1(VALU_DEP_1)
	v_fma_f64 v[4:5], v[8:9], v[8:9], v[4:5]
	v_rsq_f64_e32 v[8:9], v[4:5]
	v_cmp_eq_f64_e32 vcc_lo, 0, v[4:5]
	s_waitcnt_depctr 0xfff
	v_mul_f64 v[18:19], v[4:5], v[8:9]
	v_mul_f64 v[8:9], v[8:9], 0.5
	s_delay_alu instid0(VALU_DEP_1) | instskip(NEXT) | instid1(VALU_DEP_1)
	v_fma_f64 v[22:23], -v[8:9], v[18:19], 0.5
	v_fma_f64 v[18:19], v[18:19], v[22:23], v[18:19]
	v_fma_f64 v[8:9], v[8:9], v[22:23], v[8:9]
	s_delay_alu instid0(VALU_DEP_2) | instskip(NEXT) | instid1(VALU_DEP_1)
	v_fma_f64 v[22:23], -v[18:19], v[18:19], v[4:5]
	v_fma_f64 v[8:9], v[22:23], v[8:9], v[18:19]
	s_delay_alu instid0(VALU_DEP_1) | instskip(SKIP_1) | instid1(VALU_DEP_2)
	v_dual_cndmask_b32 v5, v9, v5 :: v_dual_cndmask_b32 v4, v8, v4
	v_cmp_o_f64_e32 vcc_lo, v[2:3], v[2:3]
	v_ldexp_f64 v[4:5], v[4:5], v28
	s_delay_alu instid0(VALU_DEP_1) | instskip(NEXT) | instid1(VALU_DEP_2)
	v_cndmask_b32_e32 v4, 0, v4, vcc_lo
	v_cndmask_b32_e32 v5, 0x7ff80000, v5, vcc_lo
	s_delay_alu instid0(VALU_DEP_2) | instskip(NEXT) | instid1(VALU_DEP_2)
	v_cndmask_b32_e64 v4, v4, 0, s16
	v_cndmask_b32_e64 v5, v5, 0x7ff00000, s16
	s_and_saveexec_b32 s16, s1
	s_delay_alu instid0(SALU_CYCLE_1)
	s_xor_b32 s1, exec_lo, s16
	s_cbranch_execnz .LBB234_276
; %bb.246:                              ;   in Loop: Header=BB234_155 Depth=1
	s_and_not1_saveexec_b32 s1, s1
	s_cbranch_execnz .LBB234_277
.LBB234_247:                            ;   in Loop: Header=BB234_155 Depth=1
	s_or_b32 exec_lo, exec_lo, s1
	s_and_saveexec_b32 s1, s0
	s_delay_alu instid0(SALU_CYCLE_1)
	s_xor_b32 s0, exec_lo, s1
	s_cbranch_execnz .LBB234_278
.LBB234_248:                            ;   in Loop: Header=BB234_155 Depth=1
	s_and_not1_saveexec_b32 s0, s0
.LBB234_249:                            ;   in Loop: Header=BB234_155 Depth=1
	s_delay_alu instid0(VALU_DEP_2) | instskip(NEXT) | instid1(VALU_DEP_2)
	v_add_f64 v[0:1], v[0:1], v[0:1]
	v_add_f64 v[2:3], v[2:3], v[2:3]
.LBB234_250:                            ;   in Loop: Header=BB234_155 Depth=1
	s_or_b32 exec_lo, exec_lo, s0
.LBB234_251:                            ;   in Loop: Header=BB234_155 Depth=1
	s_and_not1_saveexec_b32 s0, s14
	s_cbranch_execz .LBB234_257
; %bb.252:                              ;   in Loop: Header=BB234_155 Depth=1
	s_delay_alu instid0(VALU_DEP_1) | instskip(SKIP_1) | instid1(VALU_DEP_3)
	v_add_f64 v[4:5], v[2:3], -v[2:3]
	s_mov_b32 s1, exec_lo
	v_cmpx_lt_i64_e32 -1, v[0:1]
	s_xor_b32 s1, exec_lo, s1
; %bb.253:                              ;   in Loop: Header=BB234_155 Depth=1
	s_delay_alu instid0(VALU_DEP_2) | instskip(NEXT) | instid1(VALU_DEP_1)
	v_bfi_b32 v5, 0x7fffffff, v5, v3
	v_dual_mov_b32 v2, v4 :: v_dual_mov_b32 v3, v5
                                        ; implicit-def: $vgpr4_vgpr5
; %bb.254:                              ;   in Loop: Header=BB234_155 Depth=1
	s_and_not1_saveexec_b32 s1, s1
; %bb.255:                              ;   in Loop: Header=BB234_155 Depth=1
	s_delay_alu instid0(VALU_DEP_1) | instskip(SKIP_1) | instid1(VALU_DEP_2)
	v_bfi_b32 v1, 0x7fffffff, v1, v3
	v_and_b32_e32 v5, 0x7fffffff, v5
	v_dual_mov_b32 v3, v1 :: v_dual_mov_b32 v2, v0
	s_delay_alu instid0(VALU_DEP_2)
	v_dual_mov_b32 v0, v4 :: v_dual_mov_b32 v1, v5
; %bb.256:                              ;   in Loop: Header=BB234_155 Depth=1
	s_or_b32 exec_lo, exec_lo, s1
.LBB234_257:                            ;   in Loop: Header=BB234_155 Depth=1
	s_delay_alu instid0(SALU_CYCLE_1)
	s_or_b32 exec_lo, exec_lo, s0
.LBB234_258:                            ;   in Loop: Header=BB234_155 Depth=1
	s_and_not1_saveexec_b32 s0, s13
	s_cbranch_execz .LBB234_152
; %bb.259:                              ;   in Loop: Header=BB234_155 Depth=1
	s_delay_alu instid0(VALU_DEP_1) | instskip(NEXT) | instid1(VALU_DEP_1)
	v_add_f64 v[2:3], v[2:3], -v[2:3]
	v_div_scale_f64 v[4:5], vcc_lo, v[2:3], v[2:3], v[2:3]
	s_delay_alu instid0(VALU_DEP_1) | instskip(SKIP_2) | instid1(VALU_DEP_1)
	v_rcp_f64_e32 v[8:9], v[4:5]
	s_waitcnt_depctr 0xfff
	v_fma_f64 v[18:19], -v[4:5], v[8:9], 1.0
	v_fma_f64 v[8:9], v[8:9], v[18:19], v[8:9]
	s_delay_alu instid0(VALU_DEP_1) | instskip(NEXT) | instid1(VALU_DEP_1)
	v_fma_f64 v[18:19], -v[4:5], v[8:9], 1.0
	v_fma_f64 v[8:9], v[8:9], v[18:19], v[8:9]
	s_delay_alu instid0(VALU_DEP_1) | instskip(NEXT) | instid1(VALU_DEP_1)
	v_mul_f64 v[18:19], v[4:5], v[8:9]
	v_fma_f64 v[4:5], -v[4:5], v[18:19], v[4:5]
	s_delay_alu instid0(VALU_DEP_1) | instskip(NEXT) | instid1(VALU_DEP_1)
	v_div_fmas_f64 v[4:5], v[4:5], v[8:9], v[18:19]
	v_div_fixup_f64 v[2:3], v[4:5], v[2:3], v[2:3]
	s_branch .LBB234_152
.LBB234_260:                            ;   in Loop: Header=BB234_155 Depth=1
	s_or_b32 exec_lo, exec_lo, s0
	s_and_not1_saveexec_b32 s0, s13
	s_cbranch_execnz .LBB234_178
	s_branch .LBB234_179
.LBB234_261:                            ;   in Loop: Header=BB234_155 Depth=1
	s_delay_alu instid0(VALU_DEP_1) | instskip(NEXT) | instid1(VALU_DEP_1)
	v_add_f64 v[12:13], v[12:13], v[18:19]
	v_mul_f64 v[12:13], v[12:13], 0.5
	s_delay_alu instid0(VALU_DEP_1) | instskip(SKIP_1) | instid1(VALU_DEP_1)
	v_cmp_gt_f64_e32 vcc_lo, 0x10000000, v[12:13]
	v_cndmask_b32_e64 v18, 0, 1, vcc_lo
	v_lshlrev_b32_e32 v18, 8, v18
	s_delay_alu instid0(VALU_DEP_1) | instskip(NEXT) | instid1(VALU_DEP_1)
	v_ldexp_f64 v[12:13], v[12:13], v18
	v_rsq_f64_e32 v[18:19], v[12:13]
	s_waitcnt_depctr 0xfff
	v_mul_f64 v[20:21], v[12:13], v[18:19]
	v_mul_f64 v[18:19], v[18:19], 0.5
	s_delay_alu instid0(VALU_DEP_1) | instskip(NEXT) | instid1(VALU_DEP_1)
	v_fma_f64 v[22:23], -v[18:19], v[20:21], 0.5
	v_fma_f64 v[20:21], v[20:21], v[22:23], v[20:21]
	v_fma_f64 v[18:19], v[18:19], v[22:23], v[18:19]
	s_delay_alu instid0(VALU_DEP_2) | instskip(NEXT) | instid1(VALU_DEP_1)
	v_fma_f64 v[22:23], -v[20:21], v[20:21], v[12:13]
	v_fma_f64 v[20:21], v[22:23], v[18:19], v[20:21]
	s_delay_alu instid0(VALU_DEP_1) | instskip(NEXT) | instid1(VALU_DEP_1)
	v_fma_f64 v[22:23], -v[20:21], v[20:21], v[12:13]
	v_fma_f64 v[18:19], v[22:23], v[18:19], v[20:21]
	v_cndmask_b32_e64 v20, 0, 0xffffff80, vcc_lo
	v_cmp_class_f64_e64 vcc_lo, v[12:13], 0x260
	s_delay_alu instid0(VALU_DEP_2) | instskip(NEXT) | instid1(VALU_DEP_1)
	v_ldexp_f64 v[18:19], v[18:19], v20
	v_dual_cndmask_b32 v13, v19, v13 :: v_dual_cndmask_b32 v12, v18, v12
	s_delay_alu instid0(VALU_DEP_1) | instskip(NEXT) | instid1(VALU_DEP_1)
	v_add_f64 v[18:19], v[12:13], v[12:13]
	v_div_scale_f64 v[20:21], null, v[18:19], v[18:19], v[14:15]
	s_delay_alu instid0(VALU_DEP_1) | instskip(SKIP_2) | instid1(VALU_DEP_1)
	v_rcp_f64_e32 v[22:23], v[20:21]
	s_waitcnt_depctr 0xfff
	v_fma_f64 v[28:29], -v[20:21], v[22:23], 1.0
	v_fma_f64 v[22:23], v[22:23], v[28:29], v[22:23]
	s_delay_alu instid0(VALU_DEP_1) | instskip(NEXT) | instid1(VALU_DEP_1)
	v_fma_f64 v[28:29], -v[20:21], v[22:23], 1.0
	v_fma_f64 v[22:23], v[22:23], v[28:29], v[22:23]
	v_div_scale_f64 v[28:29], vcc_lo, v[14:15], v[18:19], v[14:15]
	s_delay_alu instid0(VALU_DEP_1) | instskip(NEXT) | instid1(VALU_DEP_1)
	v_mul_f64 v[30:31], v[28:29], v[22:23]
	v_fma_f64 v[20:21], -v[20:21], v[30:31], v[28:29]
	s_delay_alu instid0(VALU_DEP_1) | instskip(NEXT) | instid1(VALU_DEP_1)
	v_div_fmas_f64 v[20:21], v[20:21], v[22:23], v[30:31]
	v_div_fixup_f64 v[14:15], v[20:21], v[18:19], v[14:15]
                                        ; implicit-def: $vgpr18_vgpr19
	s_and_not1_saveexec_b32 s1, s1
	s_cbranch_execz .LBB234_167
.LBB234_262:                            ;   in Loop: Header=BB234_155 Depth=1
	v_add_f64 v[12:13], v[18:19], -v[12:13]
	s_delay_alu instid0(VALU_DEP_1) | instskip(NEXT) | instid1(VALU_DEP_1)
	v_mul_f64 v[12:13], v[12:13], 0.5
	v_cmp_gt_f64_e32 vcc_lo, 0x10000000, v[12:13]
	v_cndmask_b32_e64 v18, 0, 1, vcc_lo
	s_delay_alu instid0(VALU_DEP_1) | instskip(NEXT) | instid1(VALU_DEP_1)
	v_lshlrev_b32_e32 v18, 8, v18
	v_ldexp_f64 v[12:13], v[12:13], v18
	s_delay_alu instid0(VALU_DEP_1) | instskip(SKIP_3) | instid1(VALU_DEP_1)
	v_rsq_f64_e32 v[18:19], v[12:13]
	s_waitcnt_depctr 0xfff
	v_mul_f64 v[20:21], v[12:13], v[18:19]
	v_mul_f64 v[18:19], v[18:19], 0.5
	v_fma_f64 v[22:23], -v[18:19], v[20:21], 0.5
	s_delay_alu instid0(VALU_DEP_1) | instskip(SKIP_1) | instid1(VALU_DEP_2)
	v_fma_f64 v[20:21], v[20:21], v[22:23], v[20:21]
	v_fma_f64 v[18:19], v[18:19], v[22:23], v[18:19]
	v_fma_f64 v[22:23], -v[20:21], v[20:21], v[12:13]
	s_delay_alu instid0(VALU_DEP_1) | instskip(NEXT) | instid1(VALU_DEP_1)
	v_fma_f64 v[20:21], v[22:23], v[18:19], v[20:21]
	v_fma_f64 v[22:23], -v[20:21], v[20:21], v[12:13]
	s_delay_alu instid0(VALU_DEP_1) | instskip(SKIP_3) | instid1(VALU_DEP_3)
	v_fma_f64 v[18:19], v[22:23], v[18:19], v[20:21]
	v_cndmask_b32_e64 v20, 0, 0xffffff80, vcc_lo
	v_cmp_class_f64_e64 vcc_lo, v[12:13], 0x260
	v_and_b32_e32 v21, 0x7fffffff, v15
	v_ldexp_f64 v[18:19], v[18:19], v20
	s_delay_alu instid0(VALU_DEP_1) | instskip(NEXT) | instid1(VALU_DEP_1)
	v_dual_cndmask_b32 v19, v19, v13 :: v_dual_cndmask_b32 v18, v18, v12
	v_add_f64 v[12:13], v[18:19], v[18:19]
	v_bfi_b32 v19, 0x7fffffff, v19, v15
	v_mov_b32_e32 v20, v14
	s_delay_alu instid0(VALU_DEP_1) | instskip(SKIP_1) | instid1(VALU_DEP_2)
	v_div_scale_f64 v[22:23], null, v[12:13], v[12:13], v[20:21]
	v_div_scale_f64 v[20:21], vcc_lo, v[20:21], v[12:13], v[20:21]
	v_rcp_f64_e32 v[28:29], v[22:23]
	s_waitcnt_depctr 0xfff
	v_fma_f64 v[30:31], -v[22:23], v[28:29], 1.0
	s_delay_alu instid0(VALU_DEP_1) | instskip(NEXT) | instid1(VALU_DEP_1)
	v_fma_f64 v[28:29], v[28:29], v[30:31], v[28:29]
	v_fma_f64 v[30:31], -v[22:23], v[28:29], 1.0
	s_delay_alu instid0(VALU_DEP_1) | instskip(NEXT) | instid1(VALU_DEP_1)
	v_fma_f64 v[28:29], v[28:29], v[30:31], v[28:29]
	v_mul_f64 v[30:31], v[20:21], v[28:29]
	s_delay_alu instid0(VALU_DEP_1) | instskip(NEXT) | instid1(VALU_DEP_1)
	v_fma_f64 v[20:21], -v[22:23], v[30:31], v[20:21]
	v_div_fmas_f64 v[20:21], v[20:21], v[28:29], v[30:31]
	s_delay_alu instid0(VALU_DEP_1) | instskip(SKIP_3) | instid1(SALU_CYCLE_1)
	v_div_fixup_f64 v[12:13], v[20:21], v[12:13], |v[14:15]|
	v_dual_mov_b32 v14, v18 :: v_dual_mov_b32 v15, v19
	s_or_b32 exec_lo, exec_lo, s1
	s_and_saveexec_b32 s1, s0
	s_xor_b32 s0, exec_lo, s1
	s_cbranch_execz .LBB234_168
.LBB234_263:                            ;   in Loop: Header=BB234_155 Depth=1
	s_and_saveexec_b32 s1, s15
; %bb.264:                              ;   in Loop: Header=BB234_155 Depth=1
	s_delay_alu instid0(VALU_DEP_2) | instskip(NEXT) | instid1(VALU_DEP_2)
	v_mul_f64 v[12:13], v[12:13], 0.5
	v_mul_f64 v[14:15], v[14:15], 0.5
; %bb.265:                              ;   in Loop: Header=BB234_155 Depth=1
	s_or_b32 exec_lo, exec_lo, s1
	s_and_not1_saveexec_b32 s0, s0
	s_cbranch_execnz .LBB234_169
	s_branch .LBB234_170
.LBB234_266:                            ;   in Loop: Header=BB234_155 Depth=1
	s_delay_alu instid0(VALU_DEP_1) | instskip(NEXT) | instid1(VALU_DEP_1)
	v_add_f64 v[8:9], v[8:9], v[12:13]
	v_mul_f64 v[8:9], v[8:9], 0.5
	s_delay_alu instid0(VALU_DEP_1) | instskip(SKIP_1) | instid1(VALU_DEP_1)
	v_cmp_gt_f64_e32 vcc_lo, 0x10000000, v[8:9]
	v_cndmask_b32_e64 v12, 0, 1, vcc_lo
	v_lshlrev_b32_e32 v12, 8, v12
	s_delay_alu instid0(VALU_DEP_1) | instskip(NEXT) | instid1(VALU_DEP_1)
	v_ldexp_f64 v[8:9], v[8:9], v12
	v_rsq_f64_e32 v[12:13], v[8:9]
	s_waitcnt_depctr 0xfff
	v_mul_f64 v[16:17], v[8:9], v[12:13]
	v_mul_f64 v[12:13], v[12:13], 0.5
	s_delay_alu instid0(VALU_DEP_1) | instskip(NEXT) | instid1(VALU_DEP_1)
	v_fma_f64 v[18:19], -v[12:13], v[16:17], 0.5
	v_fma_f64 v[16:17], v[16:17], v[18:19], v[16:17]
	v_fma_f64 v[12:13], v[12:13], v[18:19], v[12:13]
	s_delay_alu instid0(VALU_DEP_2) | instskip(NEXT) | instid1(VALU_DEP_1)
	v_fma_f64 v[18:19], -v[16:17], v[16:17], v[8:9]
	v_fma_f64 v[16:17], v[18:19], v[12:13], v[16:17]
	s_delay_alu instid0(VALU_DEP_1) | instskip(NEXT) | instid1(VALU_DEP_1)
	v_fma_f64 v[18:19], -v[16:17], v[16:17], v[8:9]
	v_fma_f64 v[12:13], v[18:19], v[12:13], v[16:17]
	v_cndmask_b32_e64 v16, 0, 0xffffff80, vcc_lo
	v_cmp_class_f64_e64 vcc_lo, v[8:9], 0x260
	s_delay_alu instid0(VALU_DEP_2) | instskip(NEXT) | instid1(VALU_DEP_1)
	v_ldexp_f64 v[12:13], v[12:13], v16
	v_dual_cndmask_b32 v9, v13, v9 :: v_dual_cndmask_b32 v8, v12, v8
	s_delay_alu instid0(VALU_DEP_1) | instskip(NEXT) | instid1(VALU_DEP_1)
	v_add_f64 v[12:13], v[8:9], v[8:9]
	v_div_scale_f64 v[16:17], null, v[12:13], v[12:13], v[10:11]
	s_delay_alu instid0(VALU_DEP_1) | instskip(SKIP_2) | instid1(VALU_DEP_1)
	v_rcp_f64_e32 v[18:19], v[16:17]
	s_waitcnt_depctr 0xfff
	v_fma_f64 v[22:23], -v[16:17], v[18:19], 1.0
	v_fma_f64 v[18:19], v[18:19], v[22:23], v[18:19]
	s_delay_alu instid0(VALU_DEP_1) | instskip(NEXT) | instid1(VALU_DEP_1)
	v_fma_f64 v[22:23], -v[16:17], v[18:19], 1.0
	v_fma_f64 v[18:19], v[18:19], v[22:23], v[18:19]
	v_div_scale_f64 v[22:23], vcc_lo, v[10:11], v[12:13], v[10:11]
	s_delay_alu instid0(VALU_DEP_1) | instskip(NEXT) | instid1(VALU_DEP_1)
	v_mul_f64 v[28:29], v[22:23], v[18:19]
	v_fma_f64 v[16:17], -v[16:17], v[28:29], v[22:23]
	s_delay_alu instid0(VALU_DEP_1) | instskip(NEXT) | instid1(VALU_DEP_1)
	v_div_fmas_f64 v[16:17], v[16:17], v[18:19], v[28:29]
	v_div_fixup_f64 v[10:11], v[16:17], v[12:13], v[10:11]
                                        ; implicit-def: $vgpr12_vgpr13
	s_and_not1_saveexec_b32 s1, s1
	s_cbranch_execz .LBB234_193
.LBB234_267:                            ;   in Loop: Header=BB234_155 Depth=1
	v_add_f64 v[8:9], v[12:13], -v[8:9]
	s_delay_alu instid0(VALU_DEP_1) | instskip(NEXT) | instid1(VALU_DEP_1)
	v_mul_f64 v[8:9], v[8:9], 0.5
	v_cmp_gt_f64_e32 vcc_lo, 0x10000000, v[8:9]
	v_cndmask_b32_e64 v12, 0, 1, vcc_lo
	s_delay_alu instid0(VALU_DEP_1) | instskip(NEXT) | instid1(VALU_DEP_1)
	v_lshlrev_b32_e32 v12, 8, v12
	v_ldexp_f64 v[8:9], v[8:9], v12
	s_delay_alu instid0(VALU_DEP_1) | instskip(SKIP_3) | instid1(VALU_DEP_1)
	v_rsq_f64_e32 v[12:13], v[8:9]
	s_waitcnt_depctr 0xfff
	v_mul_f64 v[16:17], v[8:9], v[12:13]
	v_mul_f64 v[12:13], v[12:13], 0.5
	v_fma_f64 v[18:19], -v[12:13], v[16:17], 0.5
	s_delay_alu instid0(VALU_DEP_1) | instskip(SKIP_1) | instid1(VALU_DEP_2)
	v_fma_f64 v[16:17], v[16:17], v[18:19], v[16:17]
	v_fma_f64 v[12:13], v[12:13], v[18:19], v[12:13]
	v_fma_f64 v[18:19], -v[16:17], v[16:17], v[8:9]
	s_delay_alu instid0(VALU_DEP_1) | instskip(NEXT) | instid1(VALU_DEP_1)
	v_fma_f64 v[16:17], v[18:19], v[12:13], v[16:17]
	v_fma_f64 v[18:19], -v[16:17], v[16:17], v[8:9]
	s_delay_alu instid0(VALU_DEP_1) | instskip(SKIP_3) | instid1(VALU_DEP_3)
	v_fma_f64 v[12:13], v[18:19], v[12:13], v[16:17]
	v_cndmask_b32_e64 v16, 0, 0xffffff80, vcc_lo
	v_cmp_class_f64_e64 vcc_lo, v[8:9], 0x260
	v_and_b32_e32 v17, 0x7fffffff, v11
	v_ldexp_f64 v[12:13], v[12:13], v16
	s_delay_alu instid0(VALU_DEP_1) | instskip(NEXT) | instid1(VALU_DEP_1)
	v_dual_cndmask_b32 v13, v13, v9 :: v_dual_cndmask_b32 v12, v12, v8
	v_add_f64 v[8:9], v[12:13], v[12:13]
	v_bfi_b32 v13, 0x7fffffff, v13, v11
	v_mov_b32_e32 v16, v10
	s_delay_alu instid0(VALU_DEP_1) | instskip(SKIP_1) | instid1(VALU_DEP_2)
	v_div_scale_f64 v[18:19], null, v[8:9], v[8:9], v[16:17]
	v_div_scale_f64 v[16:17], vcc_lo, v[16:17], v[8:9], v[16:17]
	v_rcp_f64_e32 v[22:23], v[18:19]
	s_waitcnt_depctr 0xfff
	v_fma_f64 v[28:29], -v[18:19], v[22:23], 1.0
	s_delay_alu instid0(VALU_DEP_1) | instskip(NEXT) | instid1(VALU_DEP_1)
	v_fma_f64 v[22:23], v[22:23], v[28:29], v[22:23]
	v_fma_f64 v[28:29], -v[18:19], v[22:23], 1.0
	s_delay_alu instid0(VALU_DEP_1) | instskip(NEXT) | instid1(VALU_DEP_1)
	v_fma_f64 v[22:23], v[22:23], v[28:29], v[22:23]
	v_mul_f64 v[28:29], v[16:17], v[22:23]
	s_delay_alu instid0(VALU_DEP_1) | instskip(NEXT) | instid1(VALU_DEP_1)
	v_fma_f64 v[16:17], -v[18:19], v[28:29], v[16:17]
	v_div_fmas_f64 v[16:17], v[16:17], v[22:23], v[28:29]
	s_delay_alu instid0(VALU_DEP_1) | instskip(SKIP_3) | instid1(SALU_CYCLE_1)
	v_div_fixup_f64 v[8:9], v[16:17], v[8:9], |v[10:11]|
	v_dual_mov_b32 v10, v12 :: v_dual_mov_b32 v11, v13
	s_or_b32 exec_lo, exec_lo, s1
	s_and_saveexec_b32 s1, s0
	s_xor_b32 s0, exec_lo, s1
	s_cbranch_execz .LBB234_194
.LBB234_268:                            ;   in Loop: Header=BB234_155 Depth=1
	s_and_saveexec_b32 s1, s15
; %bb.269:                              ;   in Loop: Header=BB234_155 Depth=1
	s_delay_alu instid0(VALU_DEP_2) | instskip(NEXT) | instid1(VALU_DEP_2)
	v_mul_f64 v[8:9], v[8:9], 0.5
	v_mul_f64 v[10:11], v[10:11], 0.5
; %bb.270:                              ;   in Loop: Header=BB234_155 Depth=1
	s_or_b32 exec_lo, exec_lo, s1
	s_and_not1_saveexec_b32 s0, s0
	s_cbranch_execnz .LBB234_195
	s_branch .LBB234_196
.LBB234_271:                            ;   in Loop: Header=BB234_155 Depth=1
	s_delay_alu instid0(VALU_DEP_1) | instskip(NEXT) | instid1(VALU_DEP_1)
	v_add_f64 v[4:5], v[4:5], v[12:13]
	v_mul_f64 v[4:5], v[4:5], 0.5
	s_delay_alu instid0(VALU_DEP_1) | instskip(SKIP_1) | instid1(VALU_DEP_1)
	v_cmp_gt_f64_e32 vcc_lo, 0x10000000, v[4:5]
	v_cndmask_b32_e64 v12, 0, 1, vcc_lo
	v_lshlrev_b32_e32 v12, 8, v12
	s_delay_alu instid0(VALU_DEP_1) | instskip(NEXT) | instid1(VALU_DEP_1)
	v_ldexp_f64 v[4:5], v[4:5], v12
	v_rsq_f64_e32 v[12:13], v[4:5]
	s_waitcnt_depctr 0xfff
	v_mul_f64 v[18:19], v[4:5], v[12:13]
	v_mul_f64 v[12:13], v[12:13], 0.5
	s_delay_alu instid0(VALU_DEP_1) | instskip(NEXT) | instid1(VALU_DEP_1)
	v_fma_f64 v[22:23], -v[12:13], v[18:19], 0.5
	v_fma_f64 v[18:19], v[18:19], v[22:23], v[18:19]
	v_fma_f64 v[12:13], v[12:13], v[22:23], v[12:13]
	s_delay_alu instid0(VALU_DEP_2) | instskip(NEXT) | instid1(VALU_DEP_1)
	v_fma_f64 v[22:23], -v[18:19], v[18:19], v[4:5]
	v_fma_f64 v[18:19], v[22:23], v[12:13], v[18:19]
	s_delay_alu instid0(VALU_DEP_1) | instskip(NEXT) | instid1(VALU_DEP_1)
	v_fma_f64 v[22:23], -v[18:19], v[18:19], v[4:5]
	v_fma_f64 v[12:13], v[22:23], v[12:13], v[18:19]
	v_cndmask_b32_e64 v18, 0, 0xffffff80, vcc_lo
	v_cmp_class_f64_e64 vcc_lo, v[4:5], 0x260
	s_delay_alu instid0(VALU_DEP_2) | instskip(NEXT) | instid1(VALU_DEP_1)
	v_ldexp_f64 v[12:13], v[12:13], v18
	v_dual_cndmask_b32 v5, v13, v5 :: v_dual_cndmask_b32 v4, v12, v4
	s_delay_alu instid0(VALU_DEP_1) | instskip(NEXT) | instid1(VALU_DEP_1)
	v_add_f64 v[12:13], v[4:5], v[4:5]
	v_div_scale_f64 v[18:19], null, v[12:13], v[12:13], v[6:7]
	s_delay_alu instid0(VALU_DEP_1) | instskip(SKIP_2) | instid1(VALU_DEP_1)
	v_rcp_f64_e32 v[22:23], v[18:19]
	s_waitcnt_depctr 0xfff
	v_fma_f64 v[28:29], -v[18:19], v[22:23], 1.0
	v_fma_f64 v[22:23], v[22:23], v[28:29], v[22:23]
	s_delay_alu instid0(VALU_DEP_1) | instskip(NEXT) | instid1(VALU_DEP_1)
	v_fma_f64 v[28:29], -v[18:19], v[22:23], 1.0
	v_fma_f64 v[22:23], v[22:23], v[28:29], v[22:23]
	v_div_scale_f64 v[28:29], vcc_lo, v[6:7], v[12:13], v[6:7]
	s_delay_alu instid0(VALU_DEP_1) | instskip(NEXT) | instid1(VALU_DEP_1)
	v_mul_f64 v[30:31], v[28:29], v[22:23]
	v_fma_f64 v[18:19], -v[18:19], v[30:31], v[28:29]
	s_delay_alu instid0(VALU_DEP_1) | instskip(NEXT) | instid1(VALU_DEP_1)
	v_div_fmas_f64 v[18:19], v[18:19], v[22:23], v[30:31]
	v_div_fixup_f64 v[6:7], v[18:19], v[12:13], v[6:7]
                                        ; implicit-def: $vgpr12_vgpr13
	s_and_not1_saveexec_b32 s1, s1
	s_cbranch_execz .LBB234_220
.LBB234_272:                            ;   in Loop: Header=BB234_155 Depth=1
	v_add_f64 v[4:5], v[12:13], -v[4:5]
	s_delay_alu instid0(VALU_DEP_1) | instskip(NEXT) | instid1(VALU_DEP_1)
	v_mul_f64 v[4:5], v[4:5], 0.5
	v_cmp_gt_f64_e32 vcc_lo, 0x10000000, v[4:5]
	v_cndmask_b32_e64 v12, 0, 1, vcc_lo
	s_delay_alu instid0(VALU_DEP_1) | instskip(NEXT) | instid1(VALU_DEP_1)
	v_lshlrev_b32_e32 v12, 8, v12
	v_ldexp_f64 v[4:5], v[4:5], v12
	s_delay_alu instid0(VALU_DEP_1) | instskip(SKIP_3) | instid1(VALU_DEP_1)
	v_rsq_f64_e32 v[12:13], v[4:5]
	s_waitcnt_depctr 0xfff
	v_mul_f64 v[18:19], v[4:5], v[12:13]
	v_mul_f64 v[12:13], v[12:13], 0.5
	v_fma_f64 v[22:23], -v[12:13], v[18:19], 0.5
	s_delay_alu instid0(VALU_DEP_1) | instskip(SKIP_1) | instid1(VALU_DEP_2)
	v_fma_f64 v[18:19], v[18:19], v[22:23], v[18:19]
	v_fma_f64 v[12:13], v[12:13], v[22:23], v[12:13]
	v_fma_f64 v[22:23], -v[18:19], v[18:19], v[4:5]
	s_delay_alu instid0(VALU_DEP_1) | instskip(NEXT) | instid1(VALU_DEP_1)
	v_fma_f64 v[18:19], v[22:23], v[12:13], v[18:19]
	v_fma_f64 v[22:23], -v[18:19], v[18:19], v[4:5]
	s_delay_alu instid0(VALU_DEP_1) | instskip(SKIP_3) | instid1(VALU_DEP_3)
	v_fma_f64 v[12:13], v[22:23], v[12:13], v[18:19]
	v_cndmask_b32_e64 v18, 0, 0xffffff80, vcc_lo
	v_cmp_class_f64_e64 vcc_lo, v[4:5], 0x260
	v_and_b32_e32 v19, 0x7fffffff, v7
	v_ldexp_f64 v[12:13], v[12:13], v18
	s_delay_alu instid0(VALU_DEP_1) | instskip(NEXT) | instid1(VALU_DEP_1)
	v_dual_cndmask_b32 v13, v13, v5 :: v_dual_cndmask_b32 v12, v12, v4
	v_add_f64 v[4:5], v[12:13], v[12:13]
	v_bfi_b32 v13, 0x7fffffff, v13, v7
	v_mov_b32_e32 v18, v6
	s_delay_alu instid0(VALU_DEP_1) | instskip(SKIP_1) | instid1(VALU_DEP_2)
	v_div_scale_f64 v[22:23], null, v[4:5], v[4:5], v[18:19]
	v_div_scale_f64 v[18:19], vcc_lo, v[18:19], v[4:5], v[18:19]
	v_rcp_f64_e32 v[28:29], v[22:23]
	s_waitcnt_depctr 0xfff
	v_fma_f64 v[30:31], -v[22:23], v[28:29], 1.0
	s_delay_alu instid0(VALU_DEP_1) | instskip(NEXT) | instid1(VALU_DEP_1)
	v_fma_f64 v[28:29], v[28:29], v[30:31], v[28:29]
	v_fma_f64 v[30:31], -v[22:23], v[28:29], 1.0
	s_delay_alu instid0(VALU_DEP_1) | instskip(NEXT) | instid1(VALU_DEP_1)
	v_fma_f64 v[28:29], v[28:29], v[30:31], v[28:29]
	v_mul_f64 v[30:31], v[18:19], v[28:29]
	s_delay_alu instid0(VALU_DEP_1) | instskip(NEXT) | instid1(VALU_DEP_1)
	v_fma_f64 v[18:19], -v[22:23], v[30:31], v[18:19]
	v_div_fmas_f64 v[18:19], v[18:19], v[28:29], v[30:31]
	s_delay_alu instid0(VALU_DEP_1) | instskip(SKIP_3) | instid1(SALU_CYCLE_1)
	v_div_fixup_f64 v[4:5], v[18:19], v[4:5], |v[6:7]|
	v_dual_mov_b32 v6, v12 :: v_dual_mov_b32 v7, v13
	s_or_b32 exec_lo, exec_lo, s1
	s_and_saveexec_b32 s1, s0
	s_xor_b32 s0, exec_lo, s1
	s_cbranch_execz .LBB234_221
.LBB234_273:                            ;   in Loop: Header=BB234_155 Depth=1
	s_and_saveexec_b32 s1, s15
; %bb.274:                              ;   in Loop: Header=BB234_155 Depth=1
	s_delay_alu instid0(VALU_DEP_2) | instskip(NEXT) | instid1(VALU_DEP_2)
	v_mul_f64 v[4:5], v[4:5], 0.5
	v_mul_f64 v[6:7], v[6:7], 0.5
; %bb.275:                              ;   in Loop: Header=BB234_155 Depth=1
	s_or_b32 exec_lo, exec_lo, s1
	s_and_not1_saveexec_b32 s0, s0
	s_cbranch_execnz .LBB234_222
	s_branch .LBB234_223
.LBB234_276:                            ;   in Loop: Header=BB234_155 Depth=1
	s_delay_alu instid0(VALU_DEP_1) | instskip(NEXT) | instid1(VALU_DEP_1)
	v_add_f64 v[0:1], v[0:1], v[4:5]
	v_mul_f64 v[0:1], v[0:1], 0.5
	s_delay_alu instid0(VALU_DEP_1) | instskip(SKIP_1) | instid1(VALU_DEP_1)
	v_cmp_gt_f64_e32 vcc_lo, 0x10000000, v[0:1]
	v_cndmask_b32_e64 v4, 0, 1, vcc_lo
	v_lshlrev_b32_e32 v4, 8, v4
	s_delay_alu instid0(VALU_DEP_1) | instskip(NEXT) | instid1(VALU_DEP_1)
	v_ldexp_f64 v[0:1], v[0:1], v4
	v_rsq_f64_e32 v[4:5], v[0:1]
	s_waitcnt_depctr 0xfff
	v_mul_f64 v[8:9], v[0:1], v[4:5]
	v_mul_f64 v[4:5], v[4:5], 0.5
	s_delay_alu instid0(VALU_DEP_1) | instskip(NEXT) | instid1(VALU_DEP_1)
	v_fma_f64 v[18:19], -v[4:5], v[8:9], 0.5
	v_fma_f64 v[8:9], v[8:9], v[18:19], v[8:9]
	v_fma_f64 v[4:5], v[4:5], v[18:19], v[4:5]
	s_delay_alu instid0(VALU_DEP_2) | instskip(NEXT) | instid1(VALU_DEP_1)
	v_fma_f64 v[18:19], -v[8:9], v[8:9], v[0:1]
	v_fma_f64 v[8:9], v[18:19], v[4:5], v[8:9]
	s_delay_alu instid0(VALU_DEP_1) | instskip(NEXT) | instid1(VALU_DEP_1)
	v_fma_f64 v[18:19], -v[8:9], v[8:9], v[0:1]
	v_fma_f64 v[4:5], v[18:19], v[4:5], v[8:9]
	v_cndmask_b32_e64 v8, 0, 0xffffff80, vcc_lo
	v_cmp_class_f64_e64 vcc_lo, v[0:1], 0x260
	s_delay_alu instid0(VALU_DEP_2) | instskip(NEXT) | instid1(VALU_DEP_1)
	v_ldexp_f64 v[4:5], v[4:5], v8
	v_dual_cndmask_b32 v1, v5, v1 :: v_dual_cndmask_b32 v0, v4, v0
	s_delay_alu instid0(VALU_DEP_1) | instskip(NEXT) | instid1(VALU_DEP_1)
	v_add_f64 v[4:5], v[0:1], v[0:1]
	v_div_scale_f64 v[8:9], null, v[4:5], v[4:5], v[2:3]
	s_delay_alu instid0(VALU_DEP_1) | instskip(SKIP_2) | instid1(VALU_DEP_1)
	v_rcp_f64_e32 v[18:19], v[8:9]
	s_waitcnt_depctr 0xfff
	v_fma_f64 v[22:23], -v[8:9], v[18:19], 1.0
	v_fma_f64 v[18:19], v[18:19], v[22:23], v[18:19]
	s_delay_alu instid0(VALU_DEP_1) | instskip(NEXT) | instid1(VALU_DEP_1)
	v_fma_f64 v[22:23], -v[8:9], v[18:19], 1.0
	v_fma_f64 v[18:19], v[18:19], v[22:23], v[18:19]
	v_div_scale_f64 v[22:23], vcc_lo, v[2:3], v[4:5], v[2:3]
	s_delay_alu instid0(VALU_DEP_1) | instskip(NEXT) | instid1(VALU_DEP_1)
	v_mul_f64 v[28:29], v[22:23], v[18:19]
	v_fma_f64 v[8:9], -v[8:9], v[28:29], v[22:23]
	s_delay_alu instid0(VALU_DEP_1) | instskip(NEXT) | instid1(VALU_DEP_1)
	v_div_fmas_f64 v[8:9], v[8:9], v[18:19], v[28:29]
	v_div_fixup_f64 v[2:3], v[8:9], v[4:5], v[2:3]
                                        ; implicit-def: $vgpr4_vgpr5
	s_and_not1_saveexec_b32 s1, s1
	s_cbranch_execz .LBB234_247
.LBB234_277:                            ;   in Loop: Header=BB234_155 Depth=1
	v_add_f64 v[0:1], v[4:5], -v[0:1]
	s_delay_alu instid0(VALU_DEP_1) | instskip(NEXT) | instid1(VALU_DEP_1)
	v_mul_f64 v[0:1], v[0:1], 0.5
	v_cmp_gt_f64_e32 vcc_lo, 0x10000000, v[0:1]
	v_cndmask_b32_e64 v4, 0, 1, vcc_lo
	s_delay_alu instid0(VALU_DEP_1) | instskip(NEXT) | instid1(VALU_DEP_1)
	v_lshlrev_b32_e32 v4, 8, v4
	v_ldexp_f64 v[0:1], v[0:1], v4
	s_delay_alu instid0(VALU_DEP_1) | instskip(SKIP_3) | instid1(VALU_DEP_1)
	v_rsq_f64_e32 v[4:5], v[0:1]
	s_waitcnt_depctr 0xfff
	v_mul_f64 v[8:9], v[0:1], v[4:5]
	v_mul_f64 v[4:5], v[4:5], 0.5
	v_fma_f64 v[18:19], -v[4:5], v[8:9], 0.5
	s_delay_alu instid0(VALU_DEP_1) | instskip(SKIP_1) | instid1(VALU_DEP_2)
	v_fma_f64 v[8:9], v[8:9], v[18:19], v[8:9]
	v_fma_f64 v[4:5], v[4:5], v[18:19], v[4:5]
	v_fma_f64 v[18:19], -v[8:9], v[8:9], v[0:1]
	s_delay_alu instid0(VALU_DEP_1) | instskip(NEXT) | instid1(VALU_DEP_1)
	v_fma_f64 v[8:9], v[18:19], v[4:5], v[8:9]
	v_fma_f64 v[18:19], -v[8:9], v[8:9], v[0:1]
	s_delay_alu instid0(VALU_DEP_1) | instskip(SKIP_3) | instid1(VALU_DEP_3)
	v_fma_f64 v[4:5], v[18:19], v[4:5], v[8:9]
	v_cndmask_b32_e64 v8, 0, 0xffffff80, vcc_lo
	v_cmp_class_f64_e64 vcc_lo, v[0:1], 0x260
	v_and_b32_e32 v9, 0x7fffffff, v3
	v_ldexp_f64 v[4:5], v[4:5], v8
	s_delay_alu instid0(VALU_DEP_1) | instskip(NEXT) | instid1(VALU_DEP_1)
	v_dual_cndmask_b32 v5, v5, v1 :: v_dual_cndmask_b32 v4, v4, v0
	v_add_f64 v[0:1], v[4:5], v[4:5]
	v_bfi_b32 v5, 0x7fffffff, v5, v3
	v_mov_b32_e32 v8, v2
	s_delay_alu instid0(VALU_DEP_1) | instskip(SKIP_1) | instid1(VALU_DEP_2)
	v_div_scale_f64 v[18:19], null, v[0:1], v[0:1], v[8:9]
	v_div_scale_f64 v[8:9], vcc_lo, v[8:9], v[0:1], v[8:9]
	v_rcp_f64_e32 v[22:23], v[18:19]
	s_waitcnt_depctr 0xfff
	v_fma_f64 v[28:29], -v[18:19], v[22:23], 1.0
	s_delay_alu instid0(VALU_DEP_1) | instskip(NEXT) | instid1(VALU_DEP_1)
	v_fma_f64 v[22:23], v[22:23], v[28:29], v[22:23]
	v_fma_f64 v[28:29], -v[18:19], v[22:23], 1.0
	s_delay_alu instid0(VALU_DEP_1) | instskip(NEXT) | instid1(VALU_DEP_1)
	v_fma_f64 v[22:23], v[22:23], v[28:29], v[22:23]
	v_mul_f64 v[28:29], v[8:9], v[22:23]
	s_delay_alu instid0(VALU_DEP_1) | instskip(NEXT) | instid1(VALU_DEP_1)
	v_fma_f64 v[8:9], -v[18:19], v[28:29], v[8:9]
	v_div_fmas_f64 v[8:9], v[8:9], v[22:23], v[28:29]
	s_delay_alu instid0(VALU_DEP_1) | instskip(SKIP_3) | instid1(SALU_CYCLE_1)
	v_div_fixup_f64 v[0:1], v[8:9], v[0:1], |v[2:3]|
	v_dual_mov_b32 v2, v4 :: v_dual_mov_b32 v3, v5
	s_or_b32 exec_lo, exec_lo, s1
	s_and_saveexec_b32 s1, s0
	s_xor_b32 s0, exec_lo, s1
	s_cbranch_execz .LBB234_248
.LBB234_278:                            ;   in Loop: Header=BB234_155 Depth=1
	s_and_saveexec_b32 s1, s15
; %bb.279:                              ;   in Loop: Header=BB234_155 Depth=1
	s_delay_alu instid0(VALU_DEP_2) | instskip(NEXT) | instid1(VALU_DEP_2)
	v_mul_f64 v[0:1], v[0:1], 0.5
	v_mul_f64 v[2:3], v[2:3], 0.5
; %bb.280:                              ;   in Loop: Header=BB234_155 Depth=1
	s_or_b32 exec_lo, exec_lo, s1
	s_and_not1_saveexec_b32 s0, s0
	s_cbranch_execnz .LBB234_249
	s_branch .LBB234_250
.LBB234_281:
	s_nop 0
	s_sendmsg sendmsg(MSG_DEALLOC_VGPRS)
	s_endpgm
	.section	.rodata,"a",@progbits
	.p2align	6, 0x0
	.amdhsa_kernel _ZN2at6native12_GLOBAL__N_125multi_tensor_apply_kernelINS1_18TensorListMetadataILi1EEENS1_14UnaryOpFunctorIN3c107complexIdEELi1ELi1ELi0EEEJNS0_4SqrtIS8_EEEEEvT_T0_DpT1_
		.amdhsa_group_segment_fixed_size 0
		.amdhsa_private_segment_fixed_size 0
		.amdhsa_kernarg_size 3632
		.amdhsa_user_sgpr_count 15
		.amdhsa_user_sgpr_dispatch_ptr 0
		.amdhsa_user_sgpr_queue_ptr 0
		.amdhsa_user_sgpr_kernarg_segment_ptr 1
		.amdhsa_user_sgpr_dispatch_id 0
		.amdhsa_user_sgpr_private_segment_size 0
		.amdhsa_wavefront_size32 1
		.amdhsa_uses_dynamic_stack 0
		.amdhsa_enable_private_segment 0
		.amdhsa_system_sgpr_workgroup_id_x 1
		.amdhsa_system_sgpr_workgroup_id_y 0
		.amdhsa_system_sgpr_workgroup_id_z 0
		.amdhsa_system_sgpr_workgroup_info 0
		.amdhsa_system_vgpr_workitem_id 0
		.amdhsa_next_free_vgpr 41
		.amdhsa_next_free_sgpr 34
		.amdhsa_reserve_vcc 1
		.amdhsa_float_round_mode_32 0
		.amdhsa_float_round_mode_16_64 0
		.amdhsa_float_denorm_mode_32 3
		.amdhsa_float_denorm_mode_16_64 3
		.amdhsa_dx10_clamp 1
		.amdhsa_ieee_mode 1
		.amdhsa_fp16_overflow 0
		.amdhsa_workgroup_processor_mode 1
		.amdhsa_memory_ordered 1
		.amdhsa_forward_progress 0
		.amdhsa_shared_vgpr_count 0
		.amdhsa_exception_fp_ieee_invalid_op 0
		.amdhsa_exception_fp_denorm_src 0
		.amdhsa_exception_fp_ieee_div_zero 0
		.amdhsa_exception_fp_ieee_overflow 0
		.amdhsa_exception_fp_ieee_underflow 0
		.amdhsa_exception_fp_ieee_inexact 0
		.amdhsa_exception_int_div_zero 0
	.end_amdhsa_kernel
	.section	.text._ZN2at6native12_GLOBAL__N_125multi_tensor_apply_kernelINS1_18TensorListMetadataILi1EEENS1_14UnaryOpFunctorIN3c107complexIdEELi1ELi1ELi0EEEJNS0_4SqrtIS8_EEEEEvT_T0_DpT1_,"axG",@progbits,_ZN2at6native12_GLOBAL__N_125multi_tensor_apply_kernelINS1_18TensorListMetadataILi1EEENS1_14UnaryOpFunctorIN3c107complexIdEELi1ELi1ELi0EEEJNS0_4SqrtIS8_EEEEEvT_T0_DpT1_,comdat
.Lfunc_end234:
	.size	_ZN2at6native12_GLOBAL__N_125multi_tensor_apply_kernelINS1_18TensorListMetadataILi1EEENS1_14UnaryOpFunctorIN3c107complexIdEELi1ELi1ELi0EEEJNS0_4SqrtIS8_EEEEEvT_T0_DpT1_, .Lfunc_end234-_ZN2at6native12_GLOBAL__N_125multi_tensor_apply_kernelINS1_18TensorListMetadataILi1EEENS1_14UnaryOpFunctorIN3c107complexIdEELi1ELi1ELi0EEEJNS0_4SqrtIS8_EEEEEvT_T0_DpT1_
                                        ; -- End function
	.section	.AMDGPU.csdata,"",@progbits
; Kernel info:
; codeLenInByte = 13836
; NumSgprs: 36
; NumVgprs: 41
; ScratchSize: 0
; MemoryBound: 1
; FloatMode: 240
; IeeeMode: 1
; LDSByteSize: 0 bytes/workgroup (compile time only)
; SGPRBlocks: 4
; VGPRBlocks: 5
; NumSGPRsForWavesPerEU: 36
; NumVGPRsForWavesPerEU: 41
; Occupancy: 16
; WaveLimiterHint : 0
; COMPUTE_PGM_RSRC2:SCRATCH_EN: 0
; COMPUTE_PGM_RSRC2:USER_SGPR: 15
; COMPUTE_PGM_RSRC2:TRAP_HANDLER: 0
; COMPUTE_PGM_RSRC2:TGID_X_EN: 1
; COMPUTE_PGM_RSRC2:TGID_Y_EN: 0
; COMPUTE_PGM_RSRC2:TGID_Z_EN: 0
; COMPUTE_PGM_RSRC2:TIDIG_COMP_CNT: 0
	.section	.text._ZN2at6native12_GLOBAL__N_125multi_tensor_apply_kernelINS1_18TensorListMetadataILi1EEENS1_14UnaryOpFunctorIN3c107complexIfEELi1ELi1ELi0EEEJNS0_4SqrtIS8_EEEEEvT_T0_DpT1_,"axG",@progbits,_ZN2at6native12_GLOBAL__N_125multi_tensor_apply_kernelINS1_18TensorListMetadataILi1EEENS1_14UnaryOpFunctorIN3c107complexIfEELi1ELi1ELi0EEEJNS0_4SqrtIS8_EEEEEvT_T0_DpT1_,comdat
	.globl	_ZN2at6native12_GLOBAL__N_125multi_tensor_apply_kernelINS1_18TensorListMetadataILi1EEENS1_14UnaryOpFunctorIN3c107complexIfEELi1ELi1ELi0EEEJNS0_4SqrtIS8_EEEEEvT_T0_DpT1_ ; -- Begin function _ZN2at6native12_GLOBAL__N_125multi_tensor_apply_kernelINS1_18TensorListMetadataILi1EEENS1_14UnaryOpFunctorIN3c107complexIfEELi1ELi1ELi0EEEJNS0_4SqrtIS8_EEEEEvT_T0_DpT1_
	.p2align	8
	.type	_ZN2at6native12_GLOBAL__N_125multi_tensor_apply_kernelINS1_18TensorListMetadataILi1EEENS1_14UnaryOpFunctorIN3c107complexIfEELi1ELi1ELi0EEEJNS0_4SqrtIS8_EEEEEvT_T0_DpT1_,@function
_ZN2at6native12_GLOBAL__N_125multi_tensor_apply_kernelINS1_18TensorListMetadataILi1EEENS1_14UnaryOpFunctorIN3c107complexIfEELi1ELi1ELi0EEEJNS0_4SqrtIS8_EEEEEvT_T0_DpT1_: ; @_ZN2at6native12_GLOBAL__N_125multi_tensor_apply_kernelINS1_18TensorListMetadataILi1EEENS1_14UnaryOpFunctorIN3c107complexIfEELi1ELi1ELi0EEEJNS0_4SqrtIS8_EEEEEvT_T0_DpT1_
; %bb.0:
	v_mov_b32_e32 v1, s15
	s_add_u32 s2, s0, s15
	s_mul_hi_u32 s3, s15, 3
	s_mul_i32 s15, s15, 3
	s_addc_u32 s4, s1, 0
	global_load_u8 v1, v1, s[0:1] offset:1760
	s_add_u32 s2, s2, s15
	s_addc_u32 s3, s4, s3
	s_mov_b32 s7, 0
	s_load_b32 s2, s[2:3], 0x820
	s_waitcnt vmcnt(0)
	v_readfirstlane_b32 s5, v1
	s_delay_alu instid0(VALU_DEP_1)
	s_lshl_b32 s3, s5, 3
	s_clause 0x1
	s_load_b64 s[10:11], s[0:1], s3 offset:0x0
	s_load_b64 s[4:5], s[0:1], s3 offset:0x370
	s_waitcnt lgkmcnt(0)
	s_ashr_i32 s3, s2, 31
	s_delay_alu instid0(SALU_CYCLE_1) | instskip(NEXT) | instid1(SALU_CYCLE_1)
	s_lshl_b64 s[12:13], s[2:3], 19
	s_add_u32 s18, s10, s12
	s_addc_u32 s19, s11, s13
	s_lshl_b64 s[2:3], s[2:3], 16
	s_and_b32 s6, s18, 31
	s_sub_u32 s8, s4, s2
	s_subb_u32 s9, s5, s3
	s_and_b32 s2, s4, 3
	s_mov_b32 s3, s7
	s_delay_alu instid0(SALU_CYCLE_1) | instskip(NEXT) | instid1(SALU_CYCLE_1)
	s_or_b64 s[2:3], s[6:7], s[2:3]
	s_cmp_eq_u64 s[2:3], 0
	s_cbranch_scc1 .LBB235_141
; %bb.1:
	v_cmp_lt_i64_e64 s2, s[8:9], 1
	s_delay_alu instid0(VALU_DEP_1)
	s_and_b32 vcc_lo, exec_lo, s2
	s_cbranch_vccnz .LBB235_140
; %bb.2:
	s_load_b32 s2, s[0:1], 0xd3c
	v_cmp_gt_u64_e64 s3, 0x10000, s[8:9]
	v_dual_mov_b32 v2, 0 :: v_dual_lshlrev_b32 v1, 3, v0
	s_mov_b64 s[16:17], 0
	s_waitcnt lgkmcnt(0)
	s_and_b32 s2, s2, 0xffff
	s_delay_alu instid0(VALU_DEP_2)
	s_and_b32 s3, s3, exec_lo
	v_add_co_u32 v17, s5, v0, s2
	v_mad_u64_u32 v[3:4], null, s2, 24, v[1:2]
	s_cselect_b32 s15, s9, 0
	s_cselect_b32 s14, s8, 0x10000
	v_add_co_ci_u32_e64 v18, null, 0, 0, s5
	s_lshl_b32 s5, s2, 4
	s_lshl_b32 s3, s2, 1
	v_add_co_u32 v5, s5, s5, v1
	s_mul_i32 s4, s2, 3
	v_add_co_u32 v23, s3, s3, v0
	v_add_co_u32 v2, s4, s4, v0
	s_delay_alu instid0(VALU_DEP_1)
	v_add_co_ci_u32_e64 v19, null, 0, 0, s4
	v_add_co_ci_u32_e64 v20, null, 0, 0, s5
	v_lshlrev_b32_e32 v21, 3, v17
	v_or_b32_e32 v22, 4, v5
	v_or_b32_e32 v3, 4, v3
	v_add_co_ci_u32_e64 v24, null, 0, 0, s3
	s_lshl_b32 s20, s2, 2
	s_lshl_b32 s21, s2, 5
	s_branch .LBB235_4
.LBB235_3:                              ;   in Loop: Header=BB235_4 Depth=1
	s_or_b32 exec_lo, exec_lo, s2
	s_add_u32 s16, s16, s20
	s_addc_u32 s17, s17, 0
	s_delay_alu instid0(SALU_CYCLE_1) | instskip(SKIP_1) | instid1(VALU_DEP_1)
	v_cmp_ge_i64_e64 s2, s[16:17], s[8:9]
	v_cmp_lt_u64_e64 s3, 0xffff, s[16:17]
	s_or_b32 s2, s2, s3
	s_add_u32 s18, s18, s21
	s_addc_u32 s19, s19, 0
	s_and_b32 vcc_lo, exec_lo, s2
	s_cbranch_vccnz .LBB235_140
.LBB235_4:                              ; =>This Inner Loop Header: Depth=1
	v_add_co_u32 v5, s2, v0, s16
	s_delay_alu instid0(VALU_DEP_1) | instskip(SKIP_1) | instid1(VALU_DEP_2)
	v_add_co_ci_u32_e64 v6, null, 0, s17, s2
	v_dual_mov_b32 v8, 0 :: v_dual_mov_b32 v7, 0
	v_cmp_gt_u64_e64 s2, s[14:15], v[5:6]
	s_delay_alu instid0(VALU_DEP_1)
	s_and_saveexec_b32 s3, s2
	s_cbranch_execz .LBB235_6
; %bb.5:                                ;   in Loop: Header=BB235_4 Depth=1
	v_add_co_u32 v5, s4, s18, v1
	s_delay_alu instid0(VALU_DEP_1)
	v_add_co_ci_u32_e64 v6, null, s19, 0, s4
	global_load_b64 v[7:8], v[5:6], off
.LBB235_6:                              ;   in Loop: Header=BB235_4 Depth=1
	s_or_b32 exec_lo, exec_lo, s3
	v_add_co_u32 v9, vcc_lo, v17, s16
	v_add_co_ci_u32_e32 v10, vcc_lo, s17, v18, vcc_lo
	v_mov_b32_e32 v6, 0
	s_delay_alu instid0(VALU_DEP_2) | instskip(SKIP_1) | instid1(VALU_DEP_2)
	v_cmp_gt_u64_e64 s3, s[14:15], v[9:10]
	v_dual_mov_b32 v9, 0 :: v_dual_mov_b32 v10, 0
	s_and_saveexec_b32 s4, s3
	s_cbranch_execz .LBB235_8
; %bb.7:                                ;   in Loop: Header=BB235_4 Depth=1
	v_add_co_u32 v9, s5, s18, v21
	s_delay_alu instid0(VALU_DEP_1)
	v_add_co_ci_u32_e64 v10, null, s19, 0, s5
	global_load_b64 v[9:10], v[9:10], off
.LBB235_8:                              ;   in Loop: Header=BB235_4 Depth=1
	s_or_b32 exec_lo, exec_lo, s4
	v_add_co_u32 v11, vcc_lo, v23, s16
	v_add_co_ci_u32_e32 v12, vcc_lo, s17, v24, vcc_lo
	v_mov_b32_e32 v5, 0
	s_delay_alu instid0(VALU_DEP_2) | instskip(NEXT) | instid1(VALU_DEP_1)
	v_cmp_gt_u64_e64 s4, s[14:15], v[11:12]
	s_and_saveexec_b32 s5, s4
	s_cbranch_execz .LBB235_10
; %bb.9:                                ;   in Loop: Header=BB235_4 Depth=1
	v_add_co_u32 v5, vcc_lo, s18, v22
	v_add_co_ci_u32_e32 v6, vcc_lo, s19, v20, vcc_lo
	global_load_b64 v[5:6], v[5:6], off offset:-4
.LBB235_10:                             ;   in Loop: Header=BB235_4 Depth=1
	s_or_b32 exec_lo, exec_lo, s5
	v_add_co_u32 v11, vcc_lo, v2, s16
	v_add_co_ci_u32_e32 v12, vcc_lo, s17, v19, vcc_lo
	v_mov_b32_e32 v13, 0
	s_delay_alu instid0(VALU_DEP_2) | instskip(SKIP_1) | instid1(VALU_DEP_2)
	v_cmp_gt_u64_e64 s5, s[14:15], v[11:12]
	v_dual_mov_b32 v12, 0 :: v_dual_mov_b32 v11, 0
	s_and_saveexec_b32 s6, s5
	s_cbranch_execz .LBB235_12
; %bb.11:                               ;   in Loop: Header=BB235_4 Depth=1
	v_add_co_u32 v11, vcc_lo, s18, v3
	v_add_co_ci_u32_e32 v12, vcc_lo, s19, v4, vcc_lo
	global_load_b64 v[11:12], v[11:12], off offset:-4
.LBB235_12:                             ;   in Loop: Header=BB235_4 Depth=1
	s_or_b32 exec_lo, exec_lo, s6
	s_waitcnt vmcnt(0)
	v_cmp_neq_f32_e32 vcc_lo, 0, v7
	v_cmp_neq_f32_e64 s6, 0, v8
	s_delay_alu instid0(VALU_DEP_1) | instskip(NEXT) | instid1(SALU_CYCLE_1)
	s_or_b32 s6, vcc_lo, s6
	s_and_saveexec_b32 s22, s6
	s_cbranch_execz .LBB235_41
; %bb.13:                               ;   in Loop: Header=BB235_4 Depth=1
	v_mov_b32_e32 v13, 0x7f800000
	s_mov_b32 s23, exec_lo
	v_cmpx_neq_f32_e64 0x7f800000, |v8|
	s_cbranch_execz .LBB235_40
; %bb.14:                               ;   in Loop: Header=BB235_4 Depth=1
	s_mov_b32 s6, exec_lo
	v_cmpx_o_f32_e32 v7, v7
	s_xor_b32 s24, exec_lo, s6
	s_cbranch_execz .LBB235_37
; %bb.15:                               ;   in Loop: Header=BB235_4 Depth=1
	s_mov_b32 s7, exec_lo
	v_cmpx_neq_f32_e64 0x7f800000, |v7|
	s_xor_b32 s25, exec_lo, s7
	s_cbranch_execz .LBB235_31
; %bb.16:                               ;   in Loop: Header=BB235_4 Depth=1
	v_max_f32_e64 v13, |v7|, |v7|
	v_max_f32_e64 v14, |v8|, |v8|
                                        ; implicit-def: $sgpr26
	s_delay_alu instid0(VALU_DEP_1) | instskip(NEXT) | instid1(VALU_DEP_1)
	v_max_f32_e32 v13, v14, v13
	v_cmp_nle_f32_e64 s6, 0x7ed413cb, v13
	s_delay_alu instid0(VALU_DEP_1) | instskip(NEXT) | instid1(SALU_CYCLE_1)
	s_and_saveexec_b32 s7, s6
	s_xor_b32 s7, exec_lo, s7
	s_cbranch_execz .LBB235_20
; %bb.17:                               ;   in Loop: Header=BB235_4 Depth=1
	v_cmp_ge_f32_e64 s26, 0x1000000, |v7|
	v_cmp_ge_f32_e64 s27, 0x1000000, |v8|
	s_delay_alu instid0(VALU_DEP_1)
	s_and_b32 s28, s27, s26
	s_mov_b32 s26, 0
	s_and_saveexec_b32 s27, s28
; %bb.18:                               ;   in Loop: Header=BB235_4 Depth=1
	v_dual_mul_f32 v7, 4.0, v7 :: v_dual_mul_f32 v8, 4.0, v8
	s_mov_b32 s26, exec_lo
; %bb.19:                               ;   in Loop: Header=BB235_4 Depth=1
	s_or_b32 exec_lo, exec_lo, s27
	s_delay_alu instid0(SALU_CYCLE_1)
	s_and_b32 s26, s26, exec_lo
.LBB235_20:                             ;   in Loop: Header=BB235_4 Depth=1
	s_and_not1_saveexec_b32 s7, s7
; %bb.21:                               ;   in Loop: Header=BB235_4 Depth=1
	v_dual_mul_f32 v7, 0x3e800000, v7 :: v_dual_mul_f32 v8, 0x3e800000, v8
	s_and_not1_b32 s26, s26, exec_lo
; %bb.22:                               ;   in Loop: Header=BB235_4 Depth=1
	s_or_b32 exec_lo, exec_lo, s7
	s_delay_alu instid0(VALU_DEP_1) | instskip(NEXT) | instid1(VALU_DEP_2)
	v_max_f32_e64 v13, |v8|, |v8|
	v_max_f32_e64 v14, |v7|, |v7|
	s_delay_alu instid0(VALU_DEP_1) | instskip(NEXT) | instid1(VALU_DEP_1)
	v_max_f32_e32 v15, v14, v13
	v_cvt_f64_f32_e32 v[13:14], v15
	s_delay_alu instid0(VALU_DEP_1) | instskip(NEXT) | instid1(VALU_DEP_1)
	v_frexp_exp_i32_f64_e32 v13, v[13:14]
	v_sub_nc_u32_e32 v14, 0, v13
	s_delay_alu instid0(VALU_DEP_1) | instskip(SKIP_1) | instid1(VALU_DEP_2)
	v_ldexp_f32 v16, |v8|, v14
	v_ldexp_f32 v14, |v7|, v14
	v_mul_f32_e32 v16, v16, v16
	v_cmp_neq_f32_e64 s7, 0x7f800000, v15
	s_delay_alu instid0(VALU_DEP_2) | instskip(NEXT) | instid1(VALU_DEP_1)
	v_fmac_f32_e32 v16, v14, v14
	v_sqrt_f32_e32 v14, v16
	s_waitcnt_depctr 0xfff
	v_ldexp_f32 v13, v14, v13
                                        ; implicit-def: $vgpr14
	s_delay_alu instid0(VALU_DEP_1)
	v_cndmask_b32_e64 v15, 0x7f800000, v13, s7
                                        ; implicit-def: $vgpr13
	s_mov_b32 s7, exec_lo
	v_cmpx_le_f32_e32 0, v7
	s_xor_b32 s27, exec_lo, s7
	s_cbranch_execz .LBB235_24
; %bb.23:                               ;   in Loop: Header=BB235_4 Depth=1
	v_add_f32_e32 v7, v7, v15
	s_delay_alu instid0(VALU_DEP_1) | instskip(NEXT) | instid1(VALU_DEP_1)
	v_mul_f32_e32 v7, 0.5, v7
	v_mul_f32_e32 v13, 0x4f800000, v7
	v_cmp_gt_f32_e32 vcc_lo, 0xf800000, v7
	s_delay_alu instid0(VALU_DEP_2) | instskip(NEXT) | instid1(VALU_DEP_1)
	v_cndmask_b32_e32 v7, v7, v13, vcc_lo
	v_sqrt_f32_e32 v13, v7
	s_waitcnt_depctr 0xfff
	v_add_nc_u32_e32 v14, -1, v13
	v_add_nc_u32_e32 v15, 1, v13
	s_delay_alu instid0(VALU_DEP_2) | instskip(NEXT) | instid1(VALU_DEP_2)
	v_fma_f32 v16, -v14, v13, v7
	v_fma_f32 v25, -v15, v13, v7
	s_delay_alu instid0(VALU_DEP_2) | instskip(NEXT) | instid1(VALU_DEP_1)
	v_cmp_ge_f32_e64 s7, 0, v16
	v_cndmask_b32_e64 v13, v13, v14, s7
	s_delay_alu instid0(VALU_DEP_3) | instskip(NEXT) | instid1(VALU_DEP_1)
	v_cmp_lt_f32_e64 s7, 0, v25
	v_cndmask_b32_e64 v13, v13, v15, s7
	s_delay_alu instid0(VALU_DEP_1) | instskip(NEXT) | instid1(VALU_DEP_1)
	v_mul_f32_e32 v14, 0x37800000, v13
	v_cndmask_b32_e32 v13, v13, v14, vcc_lo
	v_cmp_class_f32_e64 vcc_lo, v7, 0x260
	s_delay_alu instid0(VALU_DEP_2) | instskip(NEXT) | instid1(VALU_DEP_1)
	v_cndmask_b32_e32 v13, v13, v7, vcc_lo
	v_add_f32_e32 v7, v13, v13
	s_delay_alu instid0(VALU_DEP_1) | instskip(NEXT) | instid1(VALU_DEP_1)
	v_div_scale_f32 v14, null, v7, v7, v8
	v_rcp_f32_e32 v15, v14
	s_waitcnt_depctr 0xfff
	v_fma_f32 v16, -v14, v15, 1.0
	s_delay_alu instid0(VALU_DEP_1) | instskip(SKIP_1) | instid1(VALU_DEP_1)
	v_fmac_f32_e32 v15, v16, v15
	v_div_scale_f32 v16, vcc_lo, v8, v7, v8
	v_mul_f32_e32 v25, v16, v15
	s_delay_alu instid0(VALU_DEP_1) | instskip(NEXT) | instid1(VALU_DEP_1)
	v_fma_f32 v26, -v14, v25, v16
	v_fmac_f32_e32 v25, v26, v15
	s_delay_alu instid0(VALU_DEP_1) | instskip(NEXT) | instid1(VALU_DEP_1)
	v_fma_f32 v14, -v14, v25, v16
	v_div_fmas_f32 v14, v14, v15, v25
                                        ; implicit-def: $vgpr15
	s_delay_alu instid0(VALU_DEP_1)
	v_div_fixup_f32 v14, v14, v7, v8
                                        ; implicit-def: $vgpr7
	s_and_not1_saveexec_b32 s27, s27
	s_cbranch_execz .LBB235_26
	s_branch .LBB235_25
.LBB235_24:                             ;   in Loop: Header=BB235_4 Depth=1
	s_and_not1_saveexec_b32 s27, s27
	s_cbranch_execz .LBB235_26
.LBB235_25:                             ;   in Loop: Header=BB235_4 Depth=1
	v_sub_f32_e32 v7, v15, v7
	s_delay_alu instid0(VALU_DEP_1) | instskip(NEXT) | instid1(VALU_DEP_1)
	v_mul_f32_e32 v7, 0.5, v7
	v_mul_f32_e32 v13, 0x4f800000, v7
	v_cmp_gt_f32_e32 vcc_lo, 0xf800000, v7
	s_delay_alu instid0(VALU_DEP_2) | instskip(NEXT) | instid1(VALU_DEP_1)
	v_cndmask_b32_e32 v7, v7, v13, vcc_lo
	v_sqrt_f32_e32 v13, v7
	s_waitcnt_depctr 0xfff
	v_add_nc_u32_e32 v14, -1, v13
	v_add_nc_u32_e32 v15, 1, v13
	s_delay_alu instid0(VALU_DEP_2) | instskip(NEXT) | instid1(VALU_DEP_2)
	v_fma_f32 v16, -v14, v13, v7
	v_fma_f32 v25, -v15, v13, v7
	s_delay_alu instid0(VALU_DEP_2) | instskip(NEXT) | instid1(VALU_DEP_1)
	v_cmp_ge_f32_e64 s7, 0, v16
	v_cndmask_b32_e64 v13, v13, v14, s7
	s_delay_alu instid0(VALU_DEP_3) | instskip(NEXT) | instid1(VALU_DEP_1)
	v_cmp_lt_f32_e64 s7, 0, v25
	v_cndmask_b32_e64 v13, v13, v15, s7
	s_delay_alu instid0(VALU_DEP_1) | instskip(NEXT) | instid1(VALU_DEP_1)
	v_mul_f32_e32 v14, 0x37800000, v13
	v_cndmask_b32_e32 v13, v13, v14, vcc_lo
	v_cmp_class_f32_e64 vcc_lo, v7, 0x260
	s_delay_alu instid0(VALU_DEP_2) | instskip(NEXT) | instid1(VALU_DEP_1)
	v_cndmask_b32_e32 v7, v13, v7, vcc_lo
	v_dual_add_f32 v14, v7, v7 :: v_dual_and_b32 v13, 0x7fffffff, v8
	s_delay_alu instid0(VALU_DEP_1) | instskip(SKIP_1) | instid1(VALU_DEP_2)
	v_div_scale_f32 v15, null, v14, v14, v13
	v_div_scale_f32 v13, vcc_lo, v13, v14, v13
	v_rcp_f32_e32 v16, v15
	s_waitcnt_depctr 0xfff
	v_fma_f32 v25, -v15, v16, 1.0
	s_delay_alu instid0(VALU_DEP_1) | instskip(NEXT) | instid1(VALU_DEP_1)
	v_fmac_f32_e32 v16, v25, v16
	v_mul_f32_e32 v25, v13, v16
	s_delay_alu instid0(VALU_DEP_1) | instskip(NEXT) | instid1(VALU_DEP_1)
	v_fma_f32 v26, -v15, v25, v13
	v_fmac_f32_e32 v25, v26, v16
	s_delay_alu instid0(VALU_DEP_1) | instskip(NEXT) | instid1(VALU_DEP_1)
	v_fma_f32 v13, -v15, v25, v13
	v_div_fmas_f32 v13, v13, v16, v25
	s_delay_alu instid0(VALU_DEP_1)
	v_div_fixup_f32 v13, v13, v14, |v8|
	v_bfi_b32 v14, 0x7fffffff, v7, v8
.LBB235_26:                             ;   in Loop: Header=BB235_4 Depth=1
	s_or_b32 exec_lo, exec_lo, s27
                                        ; implicit-def: $vgpr8
	s_and_saveexec_b32 s7, s6
	s_delay_alu instid0(SALU_CYCLE_1)
	s_xor_b32 s6, exec_lo, s7
	s_cbranch_execz .LBB235_28
; %bb.27:                               ;   in Loop: Header=BB235_4 Depth=1
	v_dual_mul_f32 v7, 0.5, v13 :: v_dual_mul_f32 v8, 0.5, v14
	s_delay_alu instid0(VALU_DEP_1) | instskip(NEXT) | instid1(VALU_DEP_2)
	v_cndmask_b32_e64 v7, v13, v7, s26
	v_cndmask_b32_e64 v8, v14, v8, s26
                                        ; implicit-def: $vgpr13
                                        ; implicit-def: $vgpr14
	s_and_not1_saveexec_b32 s6, s6
	s_cbranch_execnz .LBB235_29
	s_branch .LBB235_30
.LBB235_28:                             ;   in Loop: Header=BB235_4 Depth=1
	s_and_not1_saveexec_b32 s6, s6
.LBB235_29:                             ;   in Loop: Header=BB235_4 Depth=1
	v_dual_add_f32 v7, v13, v13 :: v_dual_add_f32 v8, v14, v14
.LBB235_30:                             ;   in Loop: Header=BB235_4 Depth=1
	s_or_b32 exec_lo, exec_lo, s6
.LBB235_31:                             ;   in Loop: Header=BB235_4 Depth=1
	s_and_not1_saveexec_b32 s6, s25
	s_cbranch_execz .LBB235_53
; %bb.32:                               ;   in Loop: Header=BB235_4 Depth=1
	s_delay_alu instid0(VALU_DEP_1)
	v_sub_f32_e32 v13, v8, v8
	s_mov_b32 s7, exec_lo
	v_cmpx_lt_i32_e32 -1, v7
	s_xor_b32 s7, exec_lo, s7
; %bb.33:                               ;   in Loop: Header=BB235_4 Depth=1
	s_delay_alu instid0(VALU_DEP_2)
	v_bfi_b32 v8, 0x7fffffff, v13, v8
                                        ; implicit-def: $vgpr13
; %bb.34:                               ;   in Loop: Header=BB235_4 Depth=1
	s_and_not1_saveexec_b32 s7, s7
; %bb.35:                               ;   in Loop: Header=BB235_4 Depth=1
	v_and_b32_e32 v13, 0x7fffffff, v13
	s_delay_alu instid0(VALU_DEP_2) | instskip(NEXT) | instid1(VALU_DEP_2)
	v_bfi_b32 v8, 0x7fffffff, v7, v8
	v_mov_b32_e32 v7, v13
; %bb.36:                               ;   in Loop: Header=BB235_4 Depth=1
	s_or_b32 exec_lo, exec_lo, s7
	s_delay_alu instid0(SALU_CYCLE_1)
	s_or_b32 exec_lo, exec_lo, s6
.LBB235_37:                             ;   in Loop: Header=BB235_4 Depth=1
	s_and_not1_saveexec_b32 s6, s24
.LBB235_38:                             ;   in Loop: Header=BB235_4 Depth=1
	v_sub_f32_e32 v8, v8, v8
	s_delay_alu instid0(VALU_DEP_1) | instskip(NEXT) | instid1(VALU_DEP_1)
	v_div_scale_f32 v13, vcc_lo, v8, v8, v8
	v_rcp_f32_e32 v14, v13
	s_waitcnt_depctr 0xfff
	v_fma_f32 v15, -v13, v14, 1.0
	s_delay_alu instid0(VALU_DEP_1) | instskip(NEXT) | instid1(VALU_DEP_1)
	v_fmac_f32_e32 v14, v15, v14
	v_mul_f32_e32 v15, v13, v14
	s_delay_alu instid0(VALU_DEP_1) | instskip(NEXT) | instid1(VALU_DEP_1)
	v_fma_f32 v16, -v13, v15, v13
	v_fmac_f32_e32 v15, v16, v14
	s_delay_alu instid0(VALU_DEP_1) | instskip(NEXT) | instid1(VALU_DEP_1)
	v_fma_f32 v13, -v13, v15, v13
	v_div_fmas_f32 v13, v13, v14, v15
	s_delay_alu instid0(VALU_DEP_1)
	v_div_fixup_f32 v8, v13, v8, v8
.LBB235_39:                             ;   in Loop: Header=BB235_4 Depth=1
	s_or_b32 exec_lo, exec_lo, s6
	v_mov_b32_e32 v13, v7
.LBB235_40:                             ;   in Loop: Header=BB235_4 Depth=1
	s_or_b32 exec_lo, exec_lo, s23
.LBB235_41:                             ;   in Loop: Header=BB235_4 Depth=1
	s_delay_alu instid0(SALU_CYCLE_1) | instskip(SKIP_4) | instid1(VALU_DEP_3)
	s_or_b32 exec_lo, exec_lo, s22
	v_cmp_neq_f32_e32 vcc_lo, 0, v9
	v_cmp_neq_f32_e64 s6, 0, v10
	v_mov_b32_e32 v7, 0
	v_mov_b32_e32 v15, 0
	s_or_b32 s6, vcc_lo, s6
	s_delay_alu instid0(SALU_CYCLE_1)
	s_and_saveexec_b32 s22, s6
	s_cbranch_execz .LBB235_72
; %bb.42:                               ;   in Loop: Header=BB235_4 Depth=1
	v_mov_b32_e32 v15, 0x7f800000
	s_mov_b32 s23, exec_lo
	v_cmpx_neq_f32_e64 0x7f800000, |v10|
	s_cbranch_execz .LBB235_71
; %bb.43:                               ;   in Loop: Header=BB235_4 Depth=1
	s_mov_b32 s6, exec_lo
	v_cmpx_o_f32_e32 v9, v9
	s_xor_b32 s24, exec_lo, s6
	s_cbranch_execz .LBB235_68
; %bb.44:                               ;   in Loop: Header=BB235_4 Depth=1
	s_mov_b32 s7, exec_lo
	v_cmpx_neq_f32_e64 0x7f800000, |v9|
	s_xor_b32 s25, exec_lo, s7
	s_cbranch_execz .LBB235_61
; %bb.45:                               ;   in Loop: Header=BB235_4 Depth=1
	v_max_f32_e64 v14, |v9|, |v9|
	v_max_f32_e64 v15, |v10|, |v10|
                                        ; implicit-def: $sgpr26
	s_delay_alu instid0(VALU_DEP_1) | instskip(NEXT) | instid1(VALU_DEP_1)
	v_max_f32_e32 v14, v15, v14
	v_cmp_nle_f32_e64 s6, 0x7ed413cb, v14
	s_delay_alu instid0(VALU_DEP_1) | instskip(NEXT) | instid1(SALU_CYCLE_1)
	s_and_saveexec_b32 s7, s6
	s_xor_b32 s7, exec_lo, s7
	s_cbranch_execz .LBB235_49
; %bb.46:                               ;   in Loop: Header=BB235_4 Depth=1
	v_cmp_ge_f32_e64 s26, 0x1000000, |v9|
	v_cmp_ge_f32_e64 s27, 0x1000000, |v10|
	s_delay_alu instid0(VALU_DEP_1)
	s_and_b32 s28, s27, s26
	s_mov_b32 s26, 0
	s_and_saveexec_b32 s27, s28
; %bb.47:                               ;   in Loop: Header=BB235_4 Depth=1
	v_dual_mul_f32 v9, 4.0, v9 :: v_dual_mul_f32 v10, 4.0, v10
	s_mov_b32 s26, exec_lo
; %bb.48:                               ;   in Loop: Header=BB235_4 Depth=1
	s_or_b32 exec_lo, exec_lo, s27
	s_delay_alu instid0(SALU_CYCLE_1)
	s_and_b32 s26, s26, exec_lo
.LBB235_49:                             ;   in Loop: Header=BB235_4 Depth=1
	s_and_not1_saveexec_b32 s7, s7
; %bb.50:                               ;   in Loop: Header=BB235_4 Depth=1
	v_dual_mul_f32 v9, 0x3e800000, v9 :: v_dual_mul_f32 v10, 0x3e800000, v10
	s_and_not1_b32 s26, s26, exec_lo
; %bb.51:                               ;   in Loop: Header=BB235_4 Depth=1
	s_or_b32 exec_lo, exec_lo, s7
	s_delay_alu instid0(VALU_DEP_1) | instskip(NEXT) | instid1(VALU_DEP_2)
	v_max_f32_e64 v14, |v10|, |v10|
	v_max_f32_e64 v15, |v9|, |v9|
	s_delay_alu instid0(VALU_DEP_1) | instskip(NEXT) | instid1(VALU_DEP_1)
	v_max_f32_e32 v16, v15, v14
	v_cvt_f64_f32_e32 v[14:15], v16
	s_delay_alu instid0(VALU_DEP_1) | instskip(NEXT) | instid1(VALU_DEP_1)
	v_frexp_exp_i32_f64_e32 v14, v[14:15]
	v_sub_nc_u32_e32 v15, 0, v14
	s_delay_alu instid0(VALU_DEP_1) | instskip(SKIP_1) | instid1(VALU_DEP_2)
	v_ldexp_f32 v25, |v10|, v15
	v_ldexp_f32 v15, |v9|, v15
	v_mul_f32_e32 v25, v25, v25
	v_cmp_neq_f32_e64 s7, 0x7f800000, v16
	s_delay_alu instid0(VALU_DEP_2) | instskip(NEXT) | instid1(VALU_DEP_1)
	v_fmac_f32_e32 v25, v15, v15
	v_sqrt_f32_e32 v15, v25
	s_waitcnt_depctr 0xfff
	v_ldexp_f32 v14, v15, v14
                                        ; implicit-def: $vgpr15
	s_delay_alu instid0(VALU_DEP_1)
	v_cndmask_b32_e64 v16, 0x7f800000, v14, s7
                                        ; implicit-def: $vgpr14
	s_mov_b32 s7, exec_lo
	v_cmpx_le_f32_e32 0, v9
	s_xor_b32 s27, exec_lo, s7
	s_cbranch_execz .LBB235_54
; %bb.52:                               ;   in Loop: Header=BB235_4 Depth=1
	v_add_f32_e32 v9, v9, v16
	s_delay_alu instid0(VALU_DEP_1) | instskip(NEXT) | instid1(VALU_DEP_1)
	v_mul_f32_e32 v9, 0.5, v9
	v_mul_f32_e32 v14, 0x4f800000, v9
	v_cmp_gt_f32_e32 vcc_lo, 0xf800000, v9
	s_delay_alu instid0(VALU_DEP_2) | instskip(NEXT) | instid1(VALU_DEP_1)
	v_cndmask_b32_e32 v9, v9, v14, vcc_lo
	v_sqrt_f32_e32 v14, v9
	s_waitcnt_depctr 0xfff
	v_add_nc_u32_e32 v15, -1, v14
	v_add_nc_u32_e32 v16, 1, v14
	s_delay_alu instid0(VALU_DEP_2) | instskip(NEXT) | instid1(VALU_DEP_2)
	v_fma_f32 v25, -v15, v14, v9
	v_fma_f32 v26, -v16, v14, v9
	s_delay_alu instid0(VALU_DEP_2) | instskip(NEXT) | instid1(VALU_DEP_1)
	v_cmp_ge_f32_e64 s7, 0, v25
	v_cndmask_b32_e64 v14, v14, v15, s7
	s_delay_alu instid0(VALU_DEP_3) | instskip(NEXT) | instid1(VALU_DEP_1)
	v_cmp_lt_f32_e64 s7, 0, v26
	v_cndmask_b32_e64 v14, v14, v16, s7
	s_delay_alu instid0(VALU_DEP_1) | instskip(NEXT) | instid1(VALU_DEP_1)
	v_mul_f32_e32 v15, 0x37800000, v14
	v_cndmask_b32_e32 v14, v14, v15, vcc_lo
	v_cmp_class_f32_e64 vcc_lo, v9, 0x260
	s_delay_alu instid0(VALU_DEP_2) | instskip(NEXT) | instid1(VALU_DEP_1)
	v_cndmask_b32_e32 v14, v14, v9, vcc_lo
	v_add_f32_e32 v9, v14, v14
	s_delay_alu instid0(VALU_DEP_1) | instskip(NEXT) | instid1(VALU_DEP_1)
	v_div_scale_f32 v15, null, v9, v9, v10
	v_rcp_f32_e32 v16, v15
	s_waitcnt_depctr 0xfff
	v_fma_f32 v25, -v15, v16, 1.0
	s_delay_alu instid0(VALU_DEP_1) | instskip(SKIP_1) | instid1(VALU_DEP_1)
	v_fmac_f32_e32 v16, v25, v16
	v_div_scale_f32 v25, vcc_lo, v10, v9, v10
	v_mul_f32_e32 v26, v25, v16
	s_delay_alu instid0(VALU_DEP_1) | instskip(NEXT) | instid1(VALU_DEP_1)
	v_fma_f32 v27, -v15, v26, v25
	v_fmac_f32_e32 v26, v27, v16
	s_delay_alu instid0(VALU_DEP_1) | instskip(NEXT) | instid1(VALU_DEP_1)
	v_fma_f32 v15, -v15, v26, v25
	v_div_fmas_f32 v15, v15, v16, v26
                                        ; implicit-def: $vgpr16
	s_delay_alu instid0(VALU_DEP_1)
	v_div_fixup_f32 v15, v15, v9, v10
                                        ; implicit-def: $vgpr9
	s_and_not1_saveexec_b32 s27, s27
	s_cbranch_execz .LBB235_56
	s_branch .LBB235_55
.LBB235_53:                             ;   in Loop: Header=BB235_4 Depth=1
	s_or_b32 exec_lo, exec_lo, s6
	s_and_not1_saveexec_b32 s6, s24
	s_cbranch_execnz .LBB235_38
	s_branch .LBB235_39
.LBB235_54:                             ;   in Loop: Header=BB235_4 Depth=1
	s_and_not1_saveexec_b32 s27, s27
	s_cbranch_execz .LBB235_56
.LBB235_55:                             ;   in Loop: Header=BB235_4 Depth=1
	v_sub_f32_e32 v9, v16, v9
	s_delay_alu instid0(VALU_DEP_1) | instskip(NEXT) | instid1(VALU_DEP_1)
	v_mul_f32_e32 v9, 0.5, v9
	v_mul_f32_e32 v14, 0x4f800000, v9
	v_cmp_gt_f32_e32 vcc_lo, 0xf800000, v9
	s_delay_alu instid0(VALU_DEP_2) | instskip(NEXT) | instid1(VALU_DEP_1)
	v_cndmask_b32_e32 v9, v9, v14, vcc_lo
	v_sqrt_f32_e32 v14, v9
	s_waitcnt_depctr 0xfff
	v_add_nc_u32_e32 v15, -1, v14
	v_add_nc_u32_e32 v16, 1, v14
	s_delay_alu instid0(VALU_DEP_2) | instskip(NEXT) | instid1(VALU_DEP_2)
	v_fma_f32 v25, -v15, v14, v9
	v_fma_f32 v26, -v16, v14, v9
	s_delay_alu instid0(VALU_DEP_2) | instskip(NEXT) | instid1(VALU_DEP_1)
	v_cmp_ge_f32_e64 s7, 0, v25
	v_cndmask_b32_e64 v14, v14, v15, s7
	s_delay_alu instid0(VALU_DEP_3) | instskip(NEXT) | instid1(VALU_DEP_1)
	v_cmp_lt_f32_e64 s7, 0, v26
	v_cndmask_b32_e64 v14, v14, v16, s7
	s_delay_alu instid0(VALU_DEP_1) | instskip(NEXT) | instid1(VALU_DEP_1)
	v_mul_f32_e32 v15, 0x37800000, v14
	v_cndmask_b32_e32 v14, v14, v15, vcc_lo
	v_cmp_class_f32_e64 vcc_lo, v9, 0x260
	s_delay_alu instid0(VALU_DEP_2) | instskip(NEXT) | instid1(VALU_DEP_1)
	v_dual_cndmask_b32 v9, v14, v9 :: v_dual_and_b32 v14, 0x7fffffff, v10
	v_add_f32_e32 v15, v9, v9
	s_delay_alu instid0(VALU_DEP_1) | instskip(SKIP_1) | instid1(VALU_DEP_2)
	v_div_scale_f32 v16, null, v15, v15, v14
	v_div_scale_f32 v14, vcc_lo, v14, v15, v14
	v_rcp_f32_e32 v25, v16
	s_waitcnt_depctr 0xfff
	v_fma_f32 v26, -v16, v25, 1.0
	s_delay_alu instid0(VALU_DEP_1) | instskip(NEXT) | instid1(VALU_DEP_1)
	v_fmac_f32_e32 v25, v26, v25
	v_mul_f32_e32 v26, v14, v25
	s_delay_alu instid0(VALU_DEP_1) | instskip(NEXT) | instid1(VALU_DEP_1)
	v_fma_f32 v27, -v16, v26, v14
	v_fmac_f32_e32 v26, v27, v25
	s_delay_alu instid0(VALU_DEP_1) | instskip(NEXT) | instid1(VALU_DEP_1)
	v_fma_f32 v14, -v16, v26, v14
	v_div_fmas_f32 v14, v14, v25, v26
	s_delay_alu instid0(VALU_DEP_1)
	v_div_fixup_f32 v14, v14, v15, |v10|
	v_bfi_b32 v15, 0x7fffffff, v9, v10
.LBB235_56:                             ;   in Loop: Header=BB235_4 Depth=1
	s_or_b32 exec_lo, exec_lo, s27
                                        ; implicit-def: $vgpr10
	s_and_saveexec_b32 s7, s6
	s_delay_alu instid0(SALU_CYCLE_1)
	s_xor_b32 s6, exec_lo, s7
	s_cbranch_execz .LBB235_58
; %bb.57:                               ;   in Loop: Header=BB235_4 Depth=1
	v_dual_mul_f32 v9, 0.5, v14 :: v_dual_mul_f32 v10, 0.5, v15
	s_delay_alu instid0(VALU_DEP_1) | instskip(NEXT) | instid1(VALU_DEP_2)
	v_cndmask_b32_e64 v9, v14, v9, s26
	v_cndmask_b32_e64 v10, v15, v10, s26
                                        ; implicit-def: $vgpr14
                                        ; implicit-def: $vgpr15
	s_and_not1_saveexec_b32 s6, s6
	s_cbranch_execnz .LBB235_59
	s_branch .LBB235_60
.LBB235_58:                             ;   in Loop: Header=BB235_4 Depth=1
	s_and_not1_saveexec_b32 s6, s6
.LBB235_59:                             ;   in Loop: Header=BB235_4 Depth=1
	v_dual_add_f32 v9, v14, v14 :: v_dual_add_f32 v10, v15, v15
.LBB235_60:                             ;   in Loop: Header=BB235_4 Depth=1
	s_or_b32 exec_lo, exec_lo, s6
.LBB235_61:                             ;   in Loop: Header=BB235_4 Depth=1
	s_and_not1_saveexec_b32 s6, s25
	s_cbranch_execz .LBB235_67
; %bb.62:                               ;   in Loop: Header=BB235_4 Depth=1
	s_delay_alu instid0(VALU_DEP_1)
	v_sub_f32_e32 v14, v10, v10
	s_mov_b32 s7, exec_lo
	v_cmpx_lt_i32_e32 -1, v9
	s_xor_b32 s7, exec_lo, s7
; %bb.63:                               ;   in Loop: Header=BB235_4 Depth=1
	s_delay_alu instid0(VALU_DEP_2)
	v_bfi_b32 v10, 0x7fffffff, v14, v10
                                        ; implicit-def: $vgpr14
; %bb.64:                               ;   in Loop: Header=BB235_4 Depth=1
	s_and_not1_saveexec_b32 s7, s7
; %bb.65:                               ;   in Loop: Header=BB235_4 Depth=1
	v_and_b32_e32 v14, 0x7fffffff, v14
	s_delay_alu instid0(VALU_DEP_2) | instskip(NEXT) | instid1(VALU_DEP_2)
	v_bfi_b32 v10, 0x7fffffff, v9, v10
	v_mov_b32_e32 v9, v14
; %bb.66:                               ;   in Loop: Header=BB235_4 Depth=1
	s_or_b32 exec_lo, exec_lo, s7
.LBB235_67:                             ;   in Loop: Header=BB235_4 Depth=1
	s_delay_alu instid0(SALU_CYCLE_1)
	s_or_b32 exec_lo, exec_lo, s6
.LBB235_68:                             ;   in Loop: Header=BB235_4 Depth=1
	s_and_not1_saveexec_b32 s6, s24
; %bb.69:                               ;   in Loop: Header=BB235_4 Depth=1
	v_sub_f32_e32 v10, v10, v10
	s_delay_alu instid0(VALU_DEP_1) | instskip(NEXT) | instid1(VALU_DEP_1)
	v_div_scale_f32 v14, vcc_lo, v10, v10, v10
	v_rcp_f32_e32 v15, v14
	s_waitcnt_depctr 0xfff
	v_fma_f32 v16, -v14, v15, 1.0
	s_delay_alu instid0(VALU_DEP_1) | instskip(NEXT) | instid1(VALU_DEP_1)
	v_fmac_f32_e32 v15, v16, v15
	v_mul_f32_e32 v16, v14, v15
	s_delay_alu instid0(VALU_DEP_1) | instskip(NEXT) | instid1(VALU_DEP_1)
	v_fma_f32 v25, -v14, v16, v14
	v_fmac_f32_e32 v16, v25, v15
	s_delay_alu instid0(VALU_DEP_1) | instskip(NEXT) | instid1(VALU_DEP_1)
	v_fma_f32 v14, -v14, v16, v14
	v_div_fmas_f32 v14, v14, v15, v16
	s_delay_alu instid0(VALU_DEP_1)
	v_div_fixup_f32 v10, v14, v10, v10
; %bb.70:                               ;   in Loop: Header=BB235_4 Depth=1
	s_or_b32 exec_lo, exec_lo, s6
	v_mov_b32_e32 v15, v9
.LBB235_71:                             ;   in Loop: Header=BB235_4 Depth=1
	s_or_b32 exec_lo, exec_lo, s23
.LBB235_72:                             ;   in Loop: Header=BB235_4 Depth=1
	s_delay_alu instid0(SALU_CYCLE_1) | instskip(SKIP_2) | instid1(VALU_DEP_1)
	s_or_b32 exec_lo, exec_lo, s22
	v_cmp_neq_f32_e32 vcc_lo, 0, v5
	v_cmp_neq_f32_e64 s6, 0, v6
	s_or_b32 s6, vcc_lo, s6
	s_delay_alu instid0(SALU_CYCLE_1)
	s_and_saveexec_b32 s22, s6
	s_cbranch_execz .LBB235_102
; %bb.73:                               ;   in Loop: Header=BB235_4 Depth=1
	v_mov_b32_e32 v7, 0x7f800000
	s_mov_b32 s23, exec_lo
	v_cmpx_neq_f32_e64 0x7f800000, |v6|
	s_cbranch_execz .LBB235_101
; %bb.74:                               ;   in Loop: Header=BB235_4 Depth=1
	s_mov_b32 s6, exec_lo
	v_cmpx_o_f32_e32 v5, v5
	s_xor_b32 s24, exec_lo, s6
	s_cbranch_execz .LBB235_98
; %bb.75:                               ;   in Loop: Header=BB235_4 Depth=1
	s_mov_b32 s7, exec_lo
	v_cmpx_neq_f32_e64 0x7f800000, |v5|
	s_xor_b32 s25, exec_lo, s7
	s_cbranch_execz .LBB235_91
; %bb.76:                               ;   in Loop: Header=BB235_4 Depth=1
	v_max_f32_e64 v7, |v5|, |v5|
	v_max_f32_e64 v9, |v6|, |v6|
                                        ; implicit-def: $sgpr26
	s_delay_alu instid0(VALU_DEP_1) | instskip(NEXT) | instid1(VALU_DEP_1)
	v_max_f32_e32 v7, v9, v7
	v_cmp_nle_f32_e64 s6, 0x7ed413cb, v7
	s_delay_alu instid0(VALU_DEP_1) | instskip(NEXT) | instid1(SALU_CYCLE_1)
	s_and_saveexec_b32 s7, s6
	s_xor_b32 s7, exec_lo, s7
	s_cbranch_execz .LBB235_80
; %bb.77:                               ;   in Loop: Header=BB235_4 Depth=1
	v_cmp_ge_f32_e64 s26, 0x1000000, |v5|
	v_cmp_ge_f32_e64 s27, 0x1000000, |v6|
	s_delay_alu instid0(VALU_DEP_1)
	s_and_b32 s28, s27, s26
	s_mov_b32 s26, 0
	s_and_saveexec_b32 s27, s28
; %bb.78:                               ;   in Loop: Header=BB235_4 Depth=1
	v_dual_mul_f32 v5, 4.0, v5 :: v_dual_mul_f32 v6, 4.0, v6
	s_mov_b32 s26, exec_lo
; %bb.79:                               ;   in Loop: Header=BB235_4 Depth=1
	s_or_b32 exec_lo, exec_lo, s27
	s_delay_alu instid0(SALU_CYCLE_1)
	s_and_b32 s26, s26, exec_lo
.LBB235_80:                             ;   in Loop: Header=BB235_4 Depth=1
	s_and_not1_saveexec_b32 s7, s7
; %bb.81:                               ;   in Loop: Header=BB235_4 Depth=1
	v_dual_mul_f32 v5, 0x3e800000, v5 :: v_dual_mul_f32 v6, 0x3e800000, v6
	s_and_not1_b32 s26, s26, exec_lo
; %bb.82:                               ;   in Loop: Header=BB235_4 Depth=1
	s_or_b32 exec_lo, exec_lo, s7
	s_delay_alu instid0(VALU_DEP_1) | instskip(NEXT) | instid1(VALU_DEP_2)
	v_max_f32_e64 v7, |v6|, |v6|
	v_max_f32_e64 v9, |v5|, |v5|
	s_delay_alu instid0(VALU_DEP_1) | instskip(NEXT) | instid1(VALU_DEP_1)
	v_max_f32_e32 v7, v9, v7
	v_cvt_f64_f32_e32 v[25:26], v7
	s_delay_alu instid0(VALU_DEP_1) | instskip(NEXT) | instid1(VALU_DEP_1)
	v_frexp_exp_i32_f64_e32 v9, v[25:26]
	v_sub_nc_u32_e32 v14, 0, v9
	s_delay_alu instid0(VALU_DEP_1) | instskip(SKIP_1) | instid1(VALU_DEP_2)
	v_ldexp_f32 v16, |v6|, v14
	v_ldexp_f32 v14, |v5|, v14
	v_mul_f32_e32 v16, v16, v16
	v_cmp_neq_f32_e64 s7, 0x7f800000, v7
                                        ; implicit-def: $vgpr7
	s_delay_alu instid0(VALU_DEP_2) | instskip(NEXT) | instid1(VALU_DEP_1)
	v_fmac_f32_e32 v16, v14, v14
	v_sqrt_f32_e32 v14, v16
	s_waitcnt_depctr 0xfff
	v_ldexp_f32 v9, v14, v9
	s_delay_alu instid0(VALU_DEP_1)
	v_cndmask_b32_e64 v14, 0x7f800000, v9, s7
                                        ; implicit-def: $vgpr9
	s_mov_b32 s7, exec_lo
	v_cmpx_le_f32_e32 0, v5
	s_xor_b32 s27, exec_lo, s7
	s_cbranch_execz .LBB235_84
; %bb.83:                               ;   in Loop: Header=BB235_4 Depth=1
	v_add_f32_e32 v5, v5, v14
	s_delay_alu instid0(VALU_DEP_1) | instskip(NEXT) | instid1(VALU_DEP_1)
	v_mul_f32_e32 v5, 0.5, v5
	v_mul_f32_e32 v7, 0x4f800000, v5
	v_cmp_gt_f32_e32 vcc_lo, 0xf800000, v5
	s_delay_alu instid0(VALU_DEP_2) | instskip(NEXT) | instid1(VALU_DEP_1)
	v_cndmask_b32_e32 v5, v5, v7, vcc_lo
	v_sqrt_f32_e32 v7, v5
	s_waitcnt_depctr 0xfff
	v_add_nc_u32_e32 v9, -1, v7
	v_add_nc_u32_e32 v14, 1, v7
	s_delay_alu instid0(VALU_DEP_2) | instskip(NEXT) | instid1(VALU_DEP_2)
	v_fma_f32 v16, -v9, v7, v5
	v_fma_f32 v25, -v14, v7, v5
	s_delay_alu instid0(VALU_DEP_2) | instskip(NEXT) | instid1(VALU_DEP_1)
	v_cmp_ge_f32_e64 s7, 0, v16
	v_cndmask_b32_e64 v7, v7, v9, s7
	s_delay_alu instid0(VALU_DEP_3) | instskip(NEXT) | instid1(VALU_DEP_1)
	v_cmp_lt_f32_e64 s7, 0, v25
	v_cndmask_b32_e64 v7, v7, v14, s7
	s_delay_alu instid0(VALU_DEP_1) | instskip(NEXT) | instid1(VALU_DEP_1)
	v_mul_f32_e32 v9, 0x37800000, v7
	v_cndmask_b32_e32 v7, v7, v9, vcc_lo
	v_cmp_class_f32_e64 vcc_lo, v5, 0x260
	s_delay_alu instid0(VALU_DEP_2) | instskip(NEXT) | instid1(VALU_DEP_1)
	v_cndmask_b32_e32 v7, v7, v5, vcc_lo
	v_add_f32_e32 v5, v7, v7
	s_delay_alu instid0(VALU_DEP_1) | instskip(NEXT) | instid1(VALU_DEP_1)
	v_div_scale_f32 v9, null, v5, v5, v6
	v_rcp_f32_e32 v14, v9
	s_waitcnt_depctr 0xfff
	v_fma_f32 v16, -v9, v14, 1.0
	s_delay_alu instid0(VALU_DEP_1) | instskip(SKIP_1) | instid1(VALU_DEP_1)
	v_fmac_f32_e32 v14, v16, v14
	v_div_scale_f32 v16, vcc_lo, v6, v5, v6
	v_mul_f32_e32 v25, v16, v14
	s_delay_alu instid0(VALU_DEP_1) | instskip(NEXT) | instid1(VALU_DEP_1)
	v_fma_f32 v26, -v9, v25, v16
	v_fmac_f32_e32 v25, v26, v14
	s_delay_alu instid0(VALU_DEP_1) | instskip(NEXT) | instid1(VALU_DEP_1)
	v_fma_f32 v9, -v9, v25, v16
	v_div_fmas_f32 v9, v9, v14, v25
                                        ; implicit-def: $vgpr14
	s_delay_alu instid0(VALU_DEP_1)
	v_div_fixup_f32 v9, v9, v5, v6
                                        ; implicit-def: $vgpr5
	s_and_not1_saveexec_b32 s27, s27
	s_cbranch_execz .LBB235_86
	s_branch .LBB235_85
.LBB235_84:                             ;   in Loop: Header=BB235_4 Depth=1
	s_and_not1_saveexec_b32 s27, s27
	s_cbranch_execz .LBB235_86
.LBB235_85:                             ;   in Loop: Header=BB235_4 Depth=1
	v_sub_f32_e32 v5, v14, v5
	s_delay_alu instid0(VALU_DEP_1) | instskip(NEXT) | instid1(VALU_DEP_1)
	v_mul_f32_e32 v5, 0.5, v5
	v_mul_f32_e32 v7, 0x4f800000, v5
	v_cmp_gt_f32_e32 vcc_lo, 0xf800000, v5
	s_delay_alu instid0(VALU_DEP_2) | instskip(NEXT) | instid1(VALU_DEP_1)
	v_cndmask_b32_e32 v5, v5, v7, vcc_lo
	v_sqrt_f32_e32 v7, v5
	s_waitcnt_depctr 0xfff
	v_add_nc_u32_e32 v9, -1, v7
	v_add_nc_u32_e32 v14, 1, v7
	s_delay_alu instid0(VALU_DEP_2) | instskip(NEXT) | instid1(VALU_DEP_2)
	v_fma_f32 v16, -v9, v7, v5
	v_fma_f32 v25, -v14, v7, v5
	s_delay_alu instid0(VALU_DEP_2) | instskip(NEXT) | instid1(VALU_DEP_1)
	v_cmp_ge_f32_e64 s7, 0, v16
	v_cndmask_b32_e64 v7, v7, v9, s7
	s_delay_alu instid0(VALU_DEP_3) | instskip(NEXT) | instid1(VALU_DEP_1)
	v_cmp_lt_f32_e64 s7, 0, v25
	v_cndmask_b32_e64 v7, v7, v14, s7
	s_delay_alu instid0(VALU_DEP_1) | instskip(NEXT) | instid1(VALU_DEP_1)
	v_mul_f32_e32 v9, 0x37800000, v7
	v_cndmask_b32_e32 v7, v7, v9, vcc_lo
	v_cmp_class_f32_e64 vcc_lo, v5, 0x260
	s_delay_alu instid0(VALU_DEP_2) | instskip(SKIP_1) | instid1(VALU_DEP_2)
	v_cndmask_b32_e32 v5, v7, v5, vcc_lo
	v_and_b32_e32 v7, 0x7fffffff, v6
	v_add_f32_e32 v9, v5, v5
	s_delay_alu instid0(VALU_DEP_1) | instskip(SKIP_1) | instid1(VALU_DEP_2)
	v_div_scale_f32 v14, null, v9, v9, v7
	v_div_scale_f32 v7, vcc_lo, v7, v9, v7
	v_rcp_f32_e32 v16, v14
	s_waitcnt_depctr 0xfff
	v_fma_f32 v25, -v14, v16, 1.0
	s_delay_alu instid0(VALU_DEP_1) | instskip(NEXT) | instid1(VALU_DEP_1)
	v_fmac_f32_e32 v16, v25, v16
	v_mul_f32_e32 v25, v7, v16
	s_delay_alu instid0(VALU_DEP_1) | instskip(NEXT) | instid1(VALU_DEP_1)
	v_fma_f32 v26, -v14, v25, v7
	v_fmac_f32_e32 v25, v26, v16
	s_delay_alu instid0(VALU_DEP_1) | instskip(NEXT) | instid1(VALU_DEP_1)
	v_fma_f32 v7, -v14, v25, v7
	v_div_fmas_f32 v7, v7, v16, v25
	s_delay_alu instid0(VALU_DEP_1)
	v_div_fixup_f32 v7, v7, v9, |v6|
	v_bfi_b32 v9, 0x7fffffff, v5, v6
.LBB235_86:                             ;   in Loop: Header=BB235_4 Depth=1
	s_or_b32 exec_lo, exec_lo, s27
                                        ; implicit-def: $vgpr6
	s_and_saveexec_b32 s7, s6
	s_delay_alu instid0(SALU_CYCLE_1)
	s_xor_b32 s6, exec_lo, s7
	s_cbranch_execz .LBB235_88
; %bb.87:                               ;   in Loop: Header=BB235_4 Depth=1
	v_dual_mul_f32 v5, 0.5, v7 :: v_dual_mul_f32 v6, 0.5, v9
	s_delay_alu instid0(VALU_DEP_1) | instskip(NEXT) | instid1(VALU_DEP_2)
	v_cndmask_b32_e64 v5, v7, v5, s26
	v_cndmask_b32_e64 v6, v9, v6, s26
                                        ; implicit-def: $vgpr7
                                        ; implicit-def: $vgpr9
	s_and_not1_saveexec_b32 s6, s6
	s_cbranch_execnz .LBB235_89
	s_branch .LBB235_90
.LBB235_88:                             ;   in Loop: Header=BB235_4 Depth=1
	s_and_not1_saveexec_b32 s6, s6
.LBB235_89:                             ;   in Loop: Header=BB235_4 Depth=1
	v_dual_add_f32 v5, v7, v7 :: v_dual_add_f32 v6, v9, v9
.LBB235_90:                             ;   in Loop: Header=BB235_4 Depth=1
	s_or_b32 exec_lo, exec_lo, s6
.LBB235_91:                             ;   in Loop: Header=BB235_4 Depth=1
	s_and_not1_saveexec_b32 s6, s25
	s_cbranch_execz .LBB235_97
; %bb.92:                               ;   in Loop: Header=BB235_4 Depth=1
	s_delay_alu instid0(VALU_DEP_1)
	v_sub_f32_e32 v7, v6, v6
	s_mov_b32 s7, exec_lo
	v_cmpx_lt_i32_e32 -1, v5
	s_xor_b32 s7, exec_lo, s7
; %bb.93:                               ;   in Loop: Header=BB235_4 Depth=1
	s_delay_alu instid0(VALU_DEP_2)
	v_bfi_b32 v6, 0x7fffffff, v7, v6
                                        ; implicit-def: $vgpr7
; %bb.94:                               ;   in Loop: Header=BB235_4 Depth=1
	s_and_not1_saveexec_b32 s7, s7
; %bb.95:                               ;   in Loop: Header=BB235_4 Depth=1
	v_and_b32_e32 v7, 0x7fffffff, v7
	s_delay_alu instid0(VALU_DEP_2) | instskip(NEXT) | instid1(VALU_DEP_2)
	v_bfi_b32 v6, 0x7fffffff, v5, v6
	v_mov_b32_e32 v5, v7
; %bb.96:                               ;   in Loop: Header=BB235_4 Depth=1
	s_or_b32 exec_lo, exec_lo, s7
.LBB235_97:                             ;   in Loop: Header=BB235_4 Depth=1
	s_delay_alu instid0(SALU_CYCLE_1)
	s_or_b32 exec_lo, exec_lo, s6
.LBB235_98:                             ;   in Loop: Header=BB235_4 Depth=1
	s_and_not1_saveexec_b32 s6, s24
; %bb.99:                               ;   in Loop: Header=BB235_4 Depth=1
	v_sub_f32_e32 v6, v6, v6
	s_delay_alu instid0(VALU_DEP_1) | instskip(NEXT) | instid1(VALU_DEP_1)
	v_div_scale_f32 v7, vcc_lo, v6, v6, v6
	v_rcp_f32_e32 v9, v7
	s_waitcnt_depctr 0xfff
	v_fma_f32 v14, -v7, v9, 1.0
	s_delay_alu instid0(VALU_DEP_1) | instskip(NEXT) | instid1(VALU_DEP_1)
	v_fmac_f32_e32 v9, v14, v9
	v_mul_f32_e32 v14, v7, v9
	s_delay_alu instid0(VALU_DEP_1) | instskip(NEXT) | instid1(VALU_DEP_1)
	v_fma_f32 v16, -v7, v14, v7
	v_fmac_f32_e32 v14, v16, v9
	s_delay_alu instid0(VALU_DEP_1) | instskip(NEXT) | instid1(VALU_DEP_1)
	v_fma_f32 v7, -v7, v14, v7
	v_div_fmas_f32 v7, v7, v9, v14
	s_delay_alu instid0(VALU_DEP_1)
	v_div_fixup_f32 v6, v7, v6, v6
; %bb.100:                              ;   in Loop: Header=BB235_4 Depth=1
	s_or_b32 exec_lo, exec_lo, s6
	v_mov_b32_e32 v7, v5
.LBB235_101:                            ;   in Loop: Header=BB235_4 Depth=1
	s_or_b32 exec_lo, exec_lo, s23
.LBB235_102:                            ;   in Loop: Header=BB235_4 Depth=1
	s_delay_alu instid0(SALU_CYCLE_1) | instskip(SKIP_3) | instid1(VALU_DEP_2)
	s_or_b32 exec_lo, exec_lo, s22
	v_cmp_neq_f32_e32 vcc_lo, 0, v11
	v_cmp_neq_f32_e64 s6, 0, v12
	v_mov_b32_e32 v5, 0
	s_or_b32 s6, vcc_lo, s6
	s_delay_alu instid0(SALU_CYCLE_1)
	s_and_saveexec_b32 s22, s6
	s_cbranch_execz .LBB235_114
; %bb.103:                              ;   in Loop: Header=BB235_4 Depth=1
	v_mov_b32_e32 v5, 0x7f800000
	s_mov_b32 s23, exec_lo
	v_cmpx_neq_f32_e64 0x7f800000, |v12|
	s_cbranch_execz .LBB235_135
; %bb.104:                              ;   in Loop: Header=BB235_4 Depth=1
	s_mov_b32 s6, exec_lo
	v_cmpx_o_f32_e32 v11, v11
	s_xor_b32 s24, exec_lo, s6
	s_cbranch_execz .LBB235_132
; %bb.105:                              ;   in Loop: Header=BB235_4 Depth=1
	s_mov_b32 s7, exec_lo
	v_cmpx_neq_f32_e64 0x7f800000, |v11|
	s_xor_b32 s25, exec_lo, s7
	s_cbranch_execz .LBB235_125
; %bb.106:                              ;   in Loop: Header=BB235_4 Depth=1
	v_max_f32_e64 v5, |v11|, |v11|
	v_max_f32_e64 v9, |v12|, |v12|
                                        ; implicit-def: $sgpr26
	s_delay_alu instid0(VALU_DEP_1) | instskip(NEXT) | instid1(VALU_DEP_1)
	v_max_f32_e32 v5, v9, v5
	v_cmp_nle_f32_e64 s6, 0x7ed413cb, v5
	s_delay_alu instid0(VALU_DEP_1) | instskip(NEXT) | instid1(SALU_CYCLE_1)
	s_and_saveexec_b32 s7, s6
	s_xor_b32 s7, exec_lo, s7
	s_cbranch_execz .LBB235_110
; %bb.107:                              ;   in Loop: Header=BB235_4 Depth=1
	v_cmp_ge_f32_e64 s26, 0x1000000, |v11|
	v_cmp_ge_f32_e64 s27, 0x1000000, |v12|
	s_delay_alu instid0(VALU_DEP_1)
	s_and_b32 s28, s27, s26
	s_mov_b32 s26, 0
	s_and_saveexec_b32 s27, s28
; %bb.108:                              ;   in Loop: Header=BB235_4 Depth=1
	v_dual_mul_f32 v11, 4.0, v11 :: v_dual_mul_f32 v12, 4.0, v12
	s_mov_b32 s26, exec_lo
; %bb.109:                              ;   in Loop: Header=BB235_4 Depth=1
	s_or_b32 exec_lo, exec_lo, s27
	s_delay_alu instid0(SALU_CYCLE_1)
	s_and_b32 s26, s26, exec_lo
.LBB235_110:                            ;   in Loop: Header=BB235_4 Depth=1
	s_and_not1_saveexec_b32 s7, s7
; %bb.111:                              ;   in Loop: Header=BB235_4 Depth=1
	v_dual_mul_f32 v11, 0x3e800000, v11 :: v_dual_mul_f32 v12, 0x3e800000, v12
	s_and_not1_b32 s26, s26, exec_lo
; %bb.112:                              ;   in Loop: Header=BB235_4 Depth=1
	s_or_b32 exec_lo, exec_lo, s7
	s_delay_alu instid0(VALU_DEP_1) | instskip(NEXT) | instid1(VALU_DEP_2)
	v_max_f32_e64 v5, |v12|, |v12|
	v_max_f32_e64 v9, |v11|, |v11|
	s_delay_alu instid0(VALU_DEP_1) | instskip(NEXT) | instid1(VALU_DEP_1)
	v_max_f32_e32 v5, v9, v5
	v_cvt_f64_f32_e32 v[25:26], v5
	s_delay_alu instid0(VALU_DEP_1) | instskip(NEXT) | instid1(VALU_DEP_1)
	v_frexp_exp_i32_f64_e32 v9, v[25:26]
	v_sub_nc_u32_e32 v14, 0, v9
	s_delay_alu instid0(VALU_DEP_1) | instskip(SKIP_1) | instid1(VALU_DEP_2)
	v_ldexp_f32 v16, |v12|, v14
	v_ldexp_f32 v14, |v11|, v14
	v_mul_f32_e32 v16, v16, v16
	v_cmp_neq_f32_e64 s7, 0x7f800000, v5
                                        ; implicit-def: $vgpr5
	s_delay_alu instid0(VALU_DEP_2) | instskip(NEXT) | instid1(VALU_DEP_1)
	v_fmac_f32_e32 v16, v14, v14
	v_sqrt_f32_e32 v14, v16
	s_waitcnt_depctr 0xfff
	v_ldexp_f32 v9, v14, v9
	s_delay_alu instid0(VALU_DEP_1)
	v_cndmask_b32_e64 v14, 0x7f800000, v9, s7
                                        ; implicit-def: $vgpr9
	s_mov_b32 s7, exec_lo
	v_cmpx_le_f32_e32 0, v11
	s_xor_b32 s27, exec_lo, s7
	s_cbranch_execz .LBB235_118
; %bb.113:                              ;   in Loop: Header=BB235_4 Depth=1
	v_add_f32_e32 v5, v11, v14
	s_delay_alu instid0(VALU_DEP_1) | instskip(NEXT) | instid1(VALU_DEP_1)
	v_mul_f32_e32 v5, 0.5, v5
	v_mul_f32_e32 v9, 0x4f800000, v5
	v_cmp_gt_f32_e32 vcc_lo, 0xf800000, v5
	s_delay_alu instid0(VALU_DEP_2) | instskip(NEXT) | instid1(VALU_DEP_1)
	v_cndmask_b32_e32 v5, v5, v9, vcc_lo
	v_sqrt_f32_e32 v9, v5
	s_waitcnt_depctr 0xfff
	v_add_nc_u32_e32 v11, -1, v9
	v_add_nc_u32_e32 v14, 1, v9
	s_delay_alu instid0(VALU_DEP_2) | instskip(NEXT) | instid1(VALU_DEP_2)
	v_fma_f32 v16, -v11, v9, v5
	v_fma_f32 v25, -v14, v9, v5
	s_delay_alu instid0(VALU_DEP_2) | instskip(NEXT) | instid1(VALU_DEP_1)
	v_cmp_ge_f32_e64 s7, 0, v16
	v_cndmask_b32_e64 v9, v9, v11, s7
	s_delay_alu instid0(VALU_DEP_3) | instskip(NEXT) | instid1(VALU_DEP_1)
	v_cmp_lt_f32_e64 s7, 0, v25
	v_cndmask_b32_e64 v9, v9, v14, s7
	s_delay_alu instid0(VALU_DEP_1) | instskip(NEXT) | instid1(VALU_DEP_1)
	v_mul_f32_e32 v11, 0x37800000, v9
	v_cndmask_b32_e32 v9, v9, v11, vcc_lo
	v_cmp_class_f32_e64 vcc_lo, v5, 0x260
	s_delay_alu instid0(VALU_DEP_2) | instskip(NEXT) | instid1(VALU_DEP_1)
	v_cndmask_b32_e32 v5, v9, v5, vcc_lo
	v_add_f32_e32 v9, v5, v5
	s_delay_alu instid0(VALU_DEP_1) | instskip(NEXT) | instid1(VALU_DEP_1)
	v_div_scale_f32 v11, null, v9, v9, v12
	v_rcp_f32_e32 v14, v11
	s_waitcnt_depctr 0xfff
	v_fma_f32 v16, -v11, v14, 1.0
	s_delay_alu instid0(VALU_DEP_1) | instskip(SKIP_1) | instid1(VALU_DEP_1)
	v_fmac_f32_e32 v14, v16, v14
	v_div_scale_f32 v16, vcc_lo, v12, v9, v12
	v_mul_f32_e32 v25, v16, v14
	s_delay_alu instid0(VALU_DEP_1) | instskip(NEXT) | instid1(VALU_DEP_1)
	v_fma_f32 v26, -v11, v25, v16
	v_fmac_f32_e32 v25, v26, v14
	s_delay_alu instid0(VALU_DEP_1) | instskip(NEXT) | instid1(VALU_DEP_1)
	v_fma_f32 v11, -v11, v25, v16
	v_div_fmas_f32 v11, v11, v14, v25
                                        ; implicit-def: $vgpr14
	s_delay_alu instid0(VALU_DEP_1)
	v_div_fixup_f32 v9, v11, v9, v12
                                        ; implicit-def: $vgpr11
	s_and_not1_saveexec_b32 s27, s27
	s_cbranch_execz .LBB235_120
	s_branch .LBB235_119
.LBB235_114:                            ;   in Loop: Header=BB235_4 Depth=1
	s_or_b32 exec_lo, exec_lo, s22
	s_and_saveexec_b32 s6, s2
	s_delay_alu instid0(SALU_CYCLE_1)
	s_xor_b32 s2, exec_lo, s6
	s_cbranch_execz .LBB235_136
.LBB235_115:                            ;   in Loop: Header=BB235_4 Depth=1
	v_add_co_u32 v25, s6, s18, v1
	s_delay_alu instid0(VALU_DEP_1)
	v_add_co_ci_u32_e64 v26, null, s19, 0, s6
	v_mov_b32_e32 v14, v8
	global_store_b64 v[25:26], v[13:14], off
	s_or_b32 exec_lo, exec_lo, s2
	s_and_saveexec_b32 s2, s3
	s_cbranch_execnz .LBB235_137
.LBB235_116:                            ;   in Loop: Header=BB235_4 Depth=1
	s_or_b32 exec_lo, exec_lo, s2
	s_and_saveexec_b32 s2, s4
	s_cbranch_execz .LBB235_138
.LBB235_117:                            ;   in Loop: Header=BB235_4 Depth=1
	v_add_co_u32 v9, vcc_lo, s18, v22
	v_add_co_ci_u32_e32 v10, vcc_lo, s19, v20, vcc_lo
	v_mov_b32_e32 v8, v6
	global_store_b64 v[9:10], v[7:8], off offset:-4
	s_or_b32 exec_lo, exec_lo, s2
	s_and_saveexec_b32 s2, s5
	s_cbranch_execz .LBB235_3
	s_branch .LBB235_139
.LBB235_118:                            ;   in Loop: Header=BB235_4 Depth=1
	s_and_not1_saveexec_b32 s27, s27
	s_cbranch_execz .LBB235_120
.LBB235_119:                            ;   in Loop: Header=BB235_4 Depth=1
	v_sub_f32_e32 v5, v14, v11
	s_delay_alu instid0(VALU_DEP_1) | instskip(NEXT) | instid1(VALU_DEP_1)
	v_mul_f32_e32 v5, 0.5, v5
	v_mul_f32_e32 v9, 0x4f800000, v5
	v_cmp_gt_f32_e32 vcc_lo, 0xf800000, v5
	s_delay_alu instid0(VALU_DEP_2) | instskip(NEXT) | instid1(VALU_DEP_1)
	v_cndmask_b32_e32 v5, v5, v9, vcc_lo
	v_sqrt_f32_e32 v9, v5
	s_waitcnt_depctr 0xfff
	v_add_nc_u32_e32 v11, -1, v9
	v_add_nc_u32_e32 v14, 1, v9
	s_delay_alu instid0(VALU_DEP_2) | instskip(NEXT) | instid1(VALU_DEP_2)
	v_fma_f32 v16, -v11, v9, v5
	v_fma_f32 v25, -v14, v9, v5
	s_delay_alu instid0(VALU_DEP_2) | instskip(NEXT) | instid1(VALU_DEP_1)
	v_cmp_ge_f32_e64 s7, 0, v16
	v_cndmask_b32_e64 v9, v9, v11, s7
	s_delay_alu instid0(VALU_DEP_3) | instskip(NEXT) | instid1(VALU_DEP_1)
	v_cmp_lt_f32_e64 s7, 0, v25
	v_cndmask_b32_e64 v9, v9, v14, s7
	s_delay_alu instid0(VALU_DEP_1) | instskip(NEXT) | instid1(VALU_DEP_1)
	v_mul_f32_e32 v11, 0x37800000, v9
	v_cndmask_b32_e32 v9, v9, v11, vcc_lo
	v_cmp_class_f32_e64 vcc_lo, v5, 0x260
	s_delay_alu instid0(VALU_DEP_2) | instskip(SKIP_1) | instid1(VALU_DEP_2)
	v_cndmask_b32_e32 v9, v9, v5, vcc_lo
	v_and_b32_e32 v5, 0x7fffffff, v12
	v_add_f32_e32 v11, v9, v9
	v_bfi_b32 v9, 0x7fffffff, v9, v12
	s_delay_alu instid0(VALU_DEP_2) | instskip(SKIP_1) | instid1(VALU_DEP_2)
	v_div_scale_f32 v14, null, v11, v11, v5
	v_div_scale_f32 v5, vcc_lo, v5, v11, v5
	v_rcp_f32_e32 v16, v14
	s_waitcnt_depctr 0xfff
	v_fma_f32 v25, -v14, v16, 1.0
	s_delay_alu instid0(VALU_DEP_1) | instskip(NEXT) | instid1(VALU_DEP_1)
	v_fmac_f32_e32 v16, v25, v16
	v_mul_f32_e32 v25, v5, v16
	s_delay_alu instid0(VALU_DEP_1) | instskip(NEXT) | instid1(VALU_DEP_1)
	v_fma_f32 v26, -v14, v25, v5
	v_fmac_f32_e32 v25, v26, v16
	s_delay_alu instid0(VALU_DEP_1) | instskip(NEXT) | instid1(VALU_DEP_1)
	v_fma_f32 v5, -v14, v25, v5
	v_div_fmas_f32 v5, v5, v16, v25
	s_delay_alu instid0(VALU_DEP_1)
	v_div_fixup_f32 v5, v5, v11, |v12|
.LBB235_120:                            ;   in Loop: Header=BB235_4 Depth=1
	s_or_b32 exec_lo, exec_lo, s27
                                        ; implicit-def: $vgpr12
	s_and_saveexec_b32 s7, s6
	s_delay_alu instid0(SALU_CYCLE_1)
	s_xor_b32 s6, exec_lo, s7
	s_cbranch_execz .LBB235_122
; %bb.121:                              ;   in Loop: Header=BB235_4 Depth=1
	v_mul_f32_e32 v11, 0.5, v5
	v_mul_f32_e32 v12, 0.5, v9
	s_delay_alu instid0(VALU_DEP_2) | instskip(NEXT) | instid1(VALU_DEP_2)
	v_cndmask_b32_e64 v11, v5, v11, s26
	v_cndmask_b32_e64 v12, v9, v12, s26
                                        ; implicit-def: $vgpr5
                                        ; implicit-def: $vgpr9
	s_and_not1_saveexec_b32 s6, s6
	s_cbranch_execnz .LBB235_123
	s_branch .LBB235_124
.LBB235_122:                            ;   in Loop: Header=BB235_4 Depth=1
	s_and_not1_saveexec_b32 s6, s6
.LBB235_123:                            ;   in Loop: Header=BB235_4 Depth=1
	v_add_f32_e32 v11, v5, v5
	v_add_f32_e32 v12, v9, v9
.LBB235_124:                            ;   in Loop: Header=BB235_4 Depth=1
	s_or_b32 exec_lo, exec_lo, s6
.LBB235_125:                            ;   in Loop: Header=BB235_4 Depth=1
	s_and_not1_saveexec_b32 s6, s25
	s_cbranch_execz .LBB235_131
; %bb.126:                              ;   in Loop: Header=BB235_4 Depth=1
	s_delay_alu instid0(VALU_DEP_1)
	v_sub_f32_e32 v5, v12, v12
	s_mov_b32 s7, exec_lo
	v_cmpx_lt_i32_e32 -1, v11
	s_xor_b32 s7, exec_lo, s7
; %bb.127:                              ;   in Loop: Header=BB235_4 Depth=1
	s_delay_alu instid0(VALU_DEP_2)
	v_bfi_b32 v12, 0x7fffffff, v5, v12
                                        ; implicit-def: $vgpr5
; %bb.128:                              ;   in Loop: Header=BB235_4 Depth=1
	s_and_not1_saveexec_b32 s7, s7
; %bb.129:                              ;   in Loop: Header=BB235_4 Depth=1
	v_and_b32_e32 v5, 0x7fffffff, v5
	s_delay_alu instid0(VALU_DEP_2) | instskip(NEXT) | instid1(VALU_DEP_2)
	v_bfi_b32 v12, 0x7fffffff, v11, v12
	v_mov_b32_e32 v11, v5
; %bb.130:                              ;   in Loop: Header=BB235_4 Depth=1
	s_or_b32 exec_lo, exec_lo, s7
.LBB235_131:                            ;   in Loop: Header=BB235_4 Depth=1
	s_delay_alu instid0(SALU_CYCLE_1)
	s_or_b32 exec_lo, exec_lo, s6
.LBB235_132:                            ;   in Loop: Header=BB235_4 Depth=1
	s_and_not1_saveexec_b32 s6, s24
; %bb.133:                              ;   in Loop: Header=BB235_4 Depth=1
	v_sub_f32_e32 v5, v12, v12
	s_delay_alu instid0(VALU_DEP_1) | instskip(NEXT) | instid1(VALU_DEP_1)
	v_div_scale_f32 v9, vcc_lo, v5, v5, v5
	v_rcp_f32_e32 v12, v9
	s_waitcnt_depctr 0xfff
	v_fma_f32 v14, -v9, v12, 1.0
	s_delay_alu instid0(VALU_DEP_1) | instskip(NEXT) | instid1(VALU_DEP_1)
	v_fmac_f32_e32 v12, v14, v12
	v_mul_f32_e32 v14, v9, v12
	s_delay_alu instid0(VALU_DEP_1) | instskip(NEXT) | instid1(VALU_DEP_1)
	v_fma_f32 v16, -v9, v14, v9
	v_fmac_f32_e32 v14, v16, v12
	s_delay_alu instid0(VALU_DEP_1) | instskip(NEXT) | instid1(VALU_DEP_1)
	v_fma_f32 v9, -v9, v14, v9
	v_div_fmas_f32 v9, v9, v12, v14
	s_delay_alu instid0(VALU_DEP_1)
	v_div_fixup_f32 v12, v9, v5, v5
; %bb.134:                              ;   in Loop: Header=BB235_4 Depth=1
	s_or_b32 exec_lo, exec_lo, s6
	v_mov_b32_e32 v5, v11
.LBB235_135:                            ;   in Loop: Header=BB235_4 Depth=1
	s_or_b32 exec_lo, exec_lo, s23
	s_delay_alu instid0(SALU_CYCLE_1) | instskip(SKIP_1) | instid1(SALU_CYCLE_1)
	s_or_b32 exec_lo, exec_lo, s22
	s_and_saveexec_b32 s6, s2
	s_xor_b32 s2, exec_lo, s6
	s_cbranch_execnz .LBB235_115
.LBB235_136:                            ;   in Loop: Header=BB235_4 Depth=1
	s_or_b32 exec_lo, exec_lo, s2
	s_and_saveexec_b32 s2, s3
	s_cbranch_execz .LBB235_116
.LBB235_137:                            ;   in Loop: Header=BB235_4 Depth=1
	v_add_co_u32 v8, s3, s18, v21
	s_delay_alu instid0(VALU_DEP_1)
	v_add_co_ci_u32_e64 v9, null, s19, 0, s3
	v_mov_b32_e32 v16, v10
	global_store_b64 v[8:9], v[15:16], off
	s_or_b32 exec_lo, exec_lo, s2
	s_and_saveexec_b32 s2, s4
	s_cbranch_execnz .LBB235_117
.LBB235_138:                            ;   in Loop: Header=BB235_4 Depth=1
	s_or_b32 exec_lo, exec_lo, s2
	s_and_saveexec_b32 s2, s5
	s_cbranch_execz .LBB235_3
.LBB235_139:                            ;   in Loop: Header=BB235_4 Depth=1
	v_add_co_u32 v7, vcc_lo, s18, v3
	v_add_co_ci_u32_e32 v8, vcc_lo, s19, v4, vcc_lo
	v_mov_b32_e32 v6, v12
	global_store_b64 v[7:8], v[5:6], off offset:-4
	s_branch .LBB235_3
.LBB235_140:
	s_cbranch_execz .LBB235_142
	s_branch .LBB235_265
.LBB235_141:
.LBB235_142:
	v_dual_mov_b32 v12, 0 :: v_dual_lshlrev_b32 v11, 2, v0
	s_mov_b32 s2, 0
	s_mov_b32 s3, exec_lo
	s_delay_alu instid0(VALU_DEP_1)
	v_cmpx_gt_i64_e64 s[8:9], v[11:12]
	s_cbranch_execz .LBB235_265
; %bb.143:
	s_load_b32 s0, s[0:1], 0xd3c
	v_lshlrev_b32_e32 v1, 5, v0
	s_waitcnt lgkmcnt(0)
	s_and_b32 s0, s0, 0xffff
	s_delay_alu instid0(SALU_CYCLE_1)
	s_lshl_b32 s3, s0, 2
	s_add_u32 s1, s10, s12
	s_addc_u32 s4, s11, s13
	v_add_co_u32 v13, s1, s1, v1
	v_add_lshl_u32 v11, v0, s0, 2
	v_add_co_ci_u32_e64 v14, null, s4, 0, s1
	s_lshl_b32 s4, s0, 5
	s_branch .LBB235_147
.LBB235_144:                            ;   in Loop: Header=BB235_147 Depth=1
	s_or_b32 exec_lo, exec_lo, s0
	v_mov_b32_e32 v9, v5
.LBB235_145:                            ;   in Loop: Header=BB235_147 Depth=1
	s_or_b32 exec_lo, exec_lo, s6
.LBB235_146:                            ;   in Loop: Header=BB235_147 Depth=1
	s_delay_alu instid0(SALU_CYCLE_1)
	s_or_b32 exec_lo, exec_lo, s5
	v_cmp_le_i64_e32 vcc_lo, s[8:9], v[11:12]
	v_cmp_lt_u64_e64 s0, 0xffff, v[11:12]
	v_mov_b32_e32 v3, v10
	v_mov_b32_e32 v10, v6
	s_clause 0x1
	global_store_b128 v[13:14], v[0:3], off
	global_store_b128 v[13:14], v[7:10], off offset:16
	s_or_b32 s0, vcc_lo, s0
	v_add_co_u32 v11, vcc_lo, v11, s3
	v_add_co_ci_u32_e32 v12, vcc_lo, 0, v12, vcc_lo
	v_add_co_u32 v13, vcc_lo, v13, s4
	v_add_co_ci_u32_e32 v14, vcc_lo, 0, v14, vcc_lo
	s_and_b32 s0, exec_lo, s0
	s_delay_alu instid0(SALU_CYCLE_1) | instskip(NEXT) | instid1(SALU_CYCLE_1)
	s_or_b32 s2, s0, s2
	s_and_not1_b32 exec_lo, exec_lo, s2
	s_cbranch_execz .LBB235_265
.LBB235_147:                            ; =>This Inner Loop Header: Depth=1
	s_clause 0x1
	global_load_b128 v[7:10], v[13:14], off
	global_load_b128 v[3:6], v[13:14], off offset:16
	v_mov_b32_e32 v2, 0
	s_waitcnt vmcnt(1)
	v_dual_mov_b32 v0, 0 :: v_dual_mov_b32 v1, v8
	v_cmp_neq_f32_e32 vcc_lo, 0, v7
	v_cmp_neq_f32_e64 s0, 0, v8
	s_delay_alu instid0(VALU_DEP_1) | instskip(NEXT) | instid1(SALU_CYCLE_1)
	s_or_b32 s0, vcc_lo, s0
	s_and_saveexec_b32 s5, s0
	s_cbranch_execz .LBB235_176
; %bb.148:                              ;   in Loop: Header=BB235_147 Depth=1
	v_dual_mov_b32 v0, 0x7f800000 :: v_dual_mov_b32 v1, v8
	s_mov_b32 s6, exec_lo
	v_cmpx_neq_f32_e64 0x7f800000, |v8|
	s_cbranch_execz .LBB235_175
; %bb.149:                              ;   in Loop: Header=BB235_147 Depth=1
	s_mov_b32 s0, exec_lo
	v_cmpx_o_f32_e32 v7, v7
	s_xor_b32 s7, exec_lo, s0
	s_cbranch_execz .LBB235_172
; %bb.150:                              ;   in Loop: Header=BB235_147 Depth=1
	s_mov_b32 s1, exec_lo
	v_cmpx_neq_f32_e64 0x7f800000, |v7|
	s_xor_b32 s10, exec_lo, s1
	s_cbranch_execz .LBB235_166
; %bb.151:                              ;   in Loop: Header=BB235_147 Depth=1
	v_max_f32_e64 v0, |v8|, |v8|
	v_max_f32_e64 v1, |v7|, |v7|
                                        ; implicit-def: $sgpr11
	s_delay_alu instid0(VALU_DEP_1) | instskip(NEXT) | instid1(VALU_DEP_1)
	v_max_f32_e32 v0, v1, v0
                                        ; implicit-def: $vgpr1
	v_cmp_nle_f32_e64 s0, 0x7ed413cb, v0
                                        ; implicit-def: $vgpr0
	s_delay_alu instid0(VALU_DEP_1) | instskip(NEXT) | instid1(SALU_CYCLE_1)
	s_and_saveexec_b32 s1, s0
	s_xor_b32 s1, exec_lo, s1
	s_cbranch_execz .LBB235_155
; %bb.152:                              ;   in Loop: Header=BB235_147 Depth=1
	v_cmp_ge_f32_e64 s11, 0x1000000, |v7|
	v_cmp_ge_f32_e64 s12, 0x1000000, |v8|
	v_dual_mov_b32 v1, v7 :: v_dual_mov_b32 v0, v8
	s_delay_alu instid0(VALU_DEP_2)
	s_and_b32 s13, s11, s12
	s_mov_b32 s11, 0
	s_and_saveexec_b32 s12, s13
; %bb.153:                              ;   in Loop: Header=BB235_147 Depth=1
	v_dual_mul_f32 v1, 4.0, v7 :: v_dual_mul_f32 v0, 4.0, v8
	s_mov_b32 s11, exec_lo
; %bb.154:                              ;   in Loop: Header=BB235_147 Depth=1
	s_or_b32 exec_lo, exec_lo, s12
	s_delay_alu instid0(SALU_CYCLE_1)
	s_and_b32 s11, s11, exec_lo
.LBB235_155:                            ;   in Loop: Header=BB235_147 Depth=1
	s_and_not1_saveexec_b32 s1, s1
; %bb.156:                              ;   in Loop: Header=BB235_147 Depth=1
	v_dual_mul_f32 v1, 0x3e800000, v7 :: v_dual_mul_f32 v0, 0x3e800000, v8
	s_and_not1_b32 s11, s11, exec_lo
; %bb.157:                              ;   in Loop: Header=BB235_147 Depth=1
	s_or_b32 exec_lo, exec_lo, s1
	s_delay_alu instid0(VALU_DEP_1) | instskip(NEXT) | instid1(VALU_DEP_2)
	v_max_f32_e64 v15, |v0|, |v0|
	v_max_f32_e64 v16, |v1|, |v1|
	s_delay_alu instid0(VALU_DEP_1) | instskip(NEXT) | instid1(VALU_DEP_1)
	v_max_f32_e32 v17, v16, v15
	v_cvt_f64_f32_e32 v[15:16], v17
	s_delay_alu instid0(VALU_DEP_1) | instskip(NEXT) | instid1(VALU_DEP_1)
	v_frexp_exp_i32_f64_e32 v15, v[15:16]
	v_sub_nc_u32_e32 v16, 0, v15
	s_delay_alu instid0(VALU_DEP_1) | instskip(SKIP_1) | instid1(VALU_DEP_2)
	v_ldexp_f32 v18, |v0|, v16
	v_ldexp_f32 v16, |v1|, v16
	v_mul_f32_e32 v18, v18, v18
	v_cmp_neq_f32_e64 s1, 0x7f800000, v17
	s_delay_alu instid0(VALU_DEP_2) | instskip(NEXT) | instid1(VALU_DEP_1)
	v_fmac_f32_e32 v18, v16, v16
	v_sqrt_f32_e32 v16, v18
	s_waitcnt_depctr 0xfff
	v_ldexp_f32 v15, v16, v15
                                        ; implicit-def: $vgpr16
	s_delay_alu instid0(VALU_DEP_1)
	v_cndmask_b32_e64 v17, 0x7f800000, v15, s1
                                        ; implicit-def: $vgpr15
	s_mov_b32 s1, exec_lo
	v_cmpx_le_f32_e32 0, v1
	s_xor_b32 s12, exec_lo, s1
	s_cbranch_execz .LBB235_161
; %bb.158:                              ;   in Loop: Header=BB235_147 Depth=1
	v_add_f32_e32 v1, v1, v17
	s_delay_alu instid0(VALU_DEP_1) | instskip(NEXT) | instid1(VALU_DEP_1)
	v_mul_f32_e32 v1, 0.5, v1
	v_mul_f32_e32 v15, 0x4f800000, v1
	v_cmp_gt_f32_e32 vcc_lo, 0xf800000, v1
	s_delay_alu instid0(VALU_DEP_2) | instskip(NEXT) | instid1(VALU_DEP_1)
	v_cndmask_b32_e32 v1, v1, v15, vcc_lo
	v_sqrt_f32_e32 v15, v1
	s_waitcnt_depctr 0xfff
	v_add_nc_u32_e32 v16, -1, v15
	v_add_nc_u32_e32 v17, 1, v15
	s_delay_alu instid0(VALU_DEP_2) | instskip(NEXT) | instid1(VALU_DEP_2)
	v_fma_f32 v18, -v16, v15, v1
	v_fma_f32 v19, -v17, v15, v1
	s_delay_alu instid0(VALU_DEP_2) | instskip(NEXT) | instid1(VALU_DEP_1)
	v_cmp_ge_f32_e64 s1, 0, v18
	v_cndmask_b32_e64 v15, v15, v16, s1
	s_delay_alu instid0(VALU_DEP_3) | instskip(NEXT) | instid1(VALU_DEP_1)
	v_cmp_lt_f32_e64 s1, 0, v19
	v_cndmask_b32_e64 v15, v15, v17, s1
	s_delay_alu instid0(VALU_DEP_1) | instskip(NEXT) | instid1(VALU_DEP_1)
	v_mul_f32_e32 v16, 0x37800000, v15
	v_cndmask_b32_e32 v15, v15, v16, vcc_lo
	v_cmp_class_f32_e64 vcc_lo, v1, 0x260
	s_delay_alu instid0(VALU_DEP_2) | instskip(NEXT) | instid1(VALU_DEP_1)
	v_cndmask_b32_e32 v15, v15, v1, vcc_lo
	v_add_f32_e32 v1, v15, v15
	s_delay_alu instid0(VALU_DEP_1) | instskip(NEXT) | instid1(VALU_DEP_1)
	v_div_scale_f32 v16, null, v1, v1, v0
	v_rcp_f32_e32 v17, v16
	s_waitcnt_depctr 0xfff
	v_fma_f32 v18, -v16, v17, 1.0
	s_delay_alu instid0(VALU_DEP_1) | instskip(SKIP_1) | instid1(VALU_DEP_1)
	v_fmac_f32_e32 v17, v18, v17
	v_div_scale_f32 v18, vcc_lo, v0, v1, v0
	v_mul_f32_e32 v19, v18, v17
	s_delay_alu instid0(VALU_DEP_1) | instskip(NEXT) | instid1(VALU_DEP_1)
	v_fma_f32 v20, -v16, v19, v18
	v_fmac_f32_e32 v19, v20, v17
	s_delay_alu instid0(VALU_DEP_1) | instskip(NEXT) | instid1(VALU_DEP_1)
	v_fma_f32 v16, -v16, v19, v18
	v_div_fmas_f32 v16, v16, v17, v19
                                        ; implicit-def: $vgpr17
	s_delay_alu instid0(VALU_DEP_1)
	v_div_fixup_f32 v16, v16, v1, v0
                                        ; implicit-def: $vgpr1
                                        ; implicit-def: $vgpr0
	s_and_not1_saveexec_b32 s12, s12
	s_cbranch_execnz .LBB235_162
.LBB235_159:                            ;   in Loop: Header=BB235_147 Depth=1
	s_or_b32 exec_lo, exec_lo, s12
	s_and_saveexec_b32 s1, s0
	s_delay_alu instid0(SALU_CYCLE_1)
	s_xor_b32 s0, exec_lo, s1
	s_cbranch_execz .LBB235_163
.LBB235_160:                            ;   in Loop: Header=BB235_147 Depth=1
	v_dual_mul_f32 v0, 0.5, v15 :: v_dual_mul_f32 v1, 0.5, v16
	s_delay_alu instid0(VALU_DEP_1) | instskip(NEXT) | instid1(VALU_DEP_2)
	v_cndmask_b32_e64 v0, v15, v0, s11
	v_cndmask_b32_e64 v1, v16, v1, s11
                                        ; implicit-def: $vgpr15
                                        ; implicit-def: $vgpr16
	s_and_not1_saveexec_b32 s0, s0
	s_cbranch_execnz .LBB235_164
	s_branch .LBB235_165
.LBB235_161:                            ;   in Loop: Header=BB235_147 Depth=1
	s_and_not1_saveexec_b32 s12, s12
	s_cbranch_execz .LBB235_159
.LBB235_162:                            ;   in Loop: Header=BB235_147 Depth=1
	v_sub_f32_e32 v1, v17, v1
	s_delay_alu instid0(VALU_DEP_1) | instskip(NEXT) | instid1(VALU_DEP_1)
	v_mul_f32_e32 v1, 0.5, v1
	v_mul_f32_e32 v15, 0x4f800000, v1
	v_cmp_gt_f32_e32 vcc_lo, 0xf800000, v1
	s_delay_alu instid0(VALU_DEP_2) | instskip(NEXT) | instid1(VALU_DEP_1)
	v_cndmask_b32_e32 v1, v1, v15, vcc_lo
	v_sqrt_f32_e32 v15, v1
	s_waitcnt_depctr 0xfff
	v_add_nc_u32_e32 v16, -1, v15
	v_add_nc_u32_e32 v17, 1, v15
	s_delay_alu instid0(VALU_DEP_2) | instskip(NEXT) | instid1(VALU_DEP_2)
	v_fma_f32 v18, -v16, v15, v1
	v_fma_f32 v19, -v17, v15, v1
	s_delay_alu instid0(VALU_DEP_2) | instskip(NEXT) | instid1(VALU_DEP_1)
	v_cmp_ge_f32_e64 s1, 0, v18
	v_cndmask_b32_e64 v15, v15, v16, s1
	s_delay_alu instid0(VALU_DEP_3) | instskip(NEXT) | instid1(VALU_DEP_1)
	v_cmp_lt_f32_e64 s1, 0, v19
	v_cndmask_b32_e64 v15, v15, v17, s1
	s_delay_alu instid0(VALU_DEP_1) | instskip(NEXT) | instid1(VALU_DEP_1)
	v_mul_f32_e32 v16, 0x37800000, v15
	v_cndmask_b32_e32 v15, v15, v16, vcc_lo
	v_cmp_class_f32_e64 vcc_lo, v1, 0x260
	s_delay_alu instid0(VALU_DEP_2) | instskip(NEXT) | instid1(VALU_DEP_1)
	v_cndmask_b32_e32 v1, v15, v1, vcc_lo
	v_dual_add_f32 v16, v1, v1 :: v_dual_and_b32 v15, 0x7fffffff, v0
	s_delay_alu instid0(VALU_DEP_1) | instskip(SKIP_1) | instid1(VALU_DEP_2)
	v_div_scale_f32 v17, null, v16, v16, v15
	v_div_scale_f32 v15, vcc_lo, v15, v16, v15
	v_rcp_f32_e32 v18, v17
	s_waitcnt_depctr 0xfff
	v_fma_f32 v19, -v17, v18, 1.0
	s_delay_alu instid0(VALU_DEP_1) | instskip(NEXT) | instid1(VALU_DEP_1)
	v_fmac_f32_e32 v18, v19, v18
	v_mul_f32_e32 v19, v15, v18
	s_delay_alu instid0(VALU_DEP_1) | instskip(NEXT) | instid1(VALU_DEP_1)
	v_fma_f32 v20, -v17, v19, v15
	v_fmac_f32_e32 v19, v20, v18
	s_delay_alu instid0(VALU_DEP_1) | instskip(NEXT) | instid1(VALU_DEP_1)
	v_fma_f32 v15, -v17, v19, v15
	v_div_fmas_f32 v15, v15, v18, v19
	s_delay_alu instid0(VALU_DEP_1) | instskip(SKIP_3) | instid1(SALU_CYCLE_1)
	v_div_fixup_f32 v15, v15, v16, |v0|
	v_bfi_b32 v16, 0x7fffffff, v1, v0
	s_or_b32 exec_lo, exec_lo, s12
	s_and_saveexec_b32 s1, s0
	s_xor_b32 s0, exec_lo, s1
	s_cbranch_execnz .LBB235_160
.LBB235_163:                            ;   in Loop: Header=BB235_147 Depth=1
	s_and_not1_saveexec_b32 s0, s0
.LBB235_164:                            ;   in Loop: Header=BB235_147 Depth=1
	v_dual_add_f32 v0, v15, v15 :: v_dual_add_f32 v1, v16, v16
.LBB235_165:                            ;   in Loop: Header=BB235_147 Depth=1
	s_or_b32 exec_lo, exec_lo, s0
.LBB235_166:                            ;   in Loop: Header=BB235_147 Depth=1
	s_and_not1_saveexec_b32 s0, s10
	s_cbranch_execz .LBB235_188
; %bb.167:                              ;   in Loop: Header=BB235_147 Depth=1
	v_sub_f32_e32 v15, v8, v8
	s_mov_b32 s1, exec_lo
	v_cmpx_lt_i32_e32 -1, v7
	s_xor_b32 s1, exec_lo, s1
; %bb.168:                              ;   in Loop: Header=BB235_147 Depth=1
	s_delay_alu instid0(VALU_DEP_2)
	v_bfi_b32 v1, 0x7fffffff, v15, v8
                                        ; implicit-def: $vgpr15
; %bb.169:                              ;   in Loop: Header=BB235_147 Depth=1
	s_or_saveexec_b32 s1, s1
	v_mov_b32_e32 v0, v7
	s_xor_b32 exec_lo, exec_lo, s1
; %bb.170:                              ;   in Loop: Header=BB235_147 Depth=1
	v_and_b32_e32 v0, 0x7fffffff, v15
	v_bfi_b32 v1, 0x7fffffff, v7, v8
; %bb.171:                              ;   in Loop: Header=BB235_147 Depth=1
	s_or_b32 exec_lo, exec_lo, s1
	s_delay_alu instid0(SALU_CYCLE_1)
	s_or_b32 exec_lo, exec_lo, s0
.LBB235_172:                            ;   in Loop: Header=BB235_147 Depth=1
	s_and_not1_saveexec_b32 s0, s7
	s_cbranch_execz .LBB235_174
.LBB235_173:                            ;   in Loop: Header=BB235_147 Depth=1
	v_sub_f32_e32 v0, v8, v8
	s_delay_alu instid0(VALU_DEP_1) | instskip(NEXT) | instid1(VALU_DEP_1)
	v_div_scale_f32 v1, vcc_lo, v0, v0, v0
	v_rcp_f32_e32 v8, v1
	s_waitcnt_depctr 0xfff
	v_fma_f32 v15, -v1, v8, 1.0
	s_delay_alu instid0(VALU_DEP_1) | instskip(NEXT) | instid1(VALU_DEP_1)
	v_fmac_f32_e32 v8, v15, v8
	v_mul_f32_e32 v15, v1, v8
	s_delay_alu instid0(VALU_DEP_1) | instskip(NEXT) | instid1(VALU_DEP_1)
	v_fma_f32 v16, -v1, v15, v1
	v_fmac_f32_e32 v15, v16, v8
	s_delay_alu instid0(VALU_DEP_1) | instskip(NEXT) | instid1(VALU_DEP_1)
	v_fma_f32 v1, -v1, v15, v1
	v_div_fmas_f32 v1, v1, v8, v15
	s_delay_alu instid0(VALU_DEP_1)
	v_div_fixup_f32 v1, v1, v0, v0
	v_mov_b32_e32 v0, v7
.LBB235_174:                            ;   in Loop: Header=BB235_147 Depth=1
	s_or_b32 exec_lo, exec_lo, s0
.LBB235_175:                            ;   in Loop: Header=BB235_147 Depth=1
	s_delay_alu instid0(SALU_CYCLE_1)
	s_or_b32 exec_lo, exec_lo, s6
.LBB235_176:                            ;   in Loop: Header=BB235_147 Depth=1
	s_delay_alu instid0(SALU_CYCLE_1) | instskip(SKIP_2) | instid1(VALU_DEP_1)
	s_or_b32 exec_lo, exec_lo, s5
	v_cmp_neq_f32_e32 vcc_lo, 0, v9
	v_cmp_neq_f32_e64 s0, 0, v10
	s_or_b32 s0, vcc_lo, s0
	s_delay_alu instid0(SALU_CYCLE_1)
	s_and_saveexec_b32 s5, s0
	s_cbranch_execz .LBB235_207
; %bb.177:                              ;   in Loop: Header=BB235_147 Depth=1
	v_mov_b32_e32 v2, 0x7f800000
	s_mov_b32 s6, exec_lo
	v_cmpx_neq_f32_e64 0x7f800000, |v10|
	s_cbranch_execz .LBB235_206
; %bb.178:                              ;   in Loop: Header=BB235_147 Depth=1
	s_mov_b32 s0, exec_lo
	v_cmpx_o_f32_e32 v9, v9
	s_xor_b32 s7, exec_lo, s0
	s_cbranch_execz .LBB235_203
; %bb.179:                              ;   in Loop: Header=BB235_147 Depth=1
	s_mov_b32 s1, exec_lo
	v_cmpx_neq_f32_e64 0x7f800000, |v9|
	s_xor_b32 s10, exec_lo, s1
	s_cbranch_execz .LBB235_196
; %bb.180:                              ;   in Loop: Header=BB235_147 Depth=1
	v_max_f32_e64 v2, |v10|, |v10|
	v_max_f32_e64 v7, |v9|, |v9|
                                        ; implicit-def: $sgpr11
	s_delay_alu instid0(VALU_DEP_1) | instskip(NEXT) | instid1(VALU_DEP_1)
	v_max_f32_e32 v2, v7, v2
	v_cmp_nle_f32_e64 s0, 0x7ed413cb, v2
	s_delay_alu instid0(VALU_DEP_1) | instskip(NEXT) | instid1(SALU_CYCLE_1)
	s_and_saveexec_b32 s1, s0
	s_xor_b32 s1, exec_lo, s1
	s_cbranch_execz .LBB235_184
; %bb.181:                              ;   in Loop: Header=BB235_147 Depth=1
	v_cmp_ge_f32_e64 s11, 0x1000000, |v9|
	v_cmp_ge_f32_e64 s12, 0x1000000, |v10|
	s_delay_alu instid0(VALU_DEP_1)
	s_and_b32 s13, s11, s12
	s_mov_b32 s11, 0
	s_and_saveexec_b32 s12, s13
; %bb.182:                              ;   in Loop: Header=BB235_147 Depth=1
	v_dual_mul_f32 v9, 4.0, v9 :: v_dual_mul_f32 v10, 4.0, v10
	s_mov_b32 s11, exec_lo
; %bb.183:                              ;   in Loop: Header=BB235_147 Depth=1
	s_or_b32 exec_lo, exec_lo, s12
	s_delay_alu instid0(SALU_CYCLE_1)
	s_and_b32 s11, s11, exec_lo
.LBB235_184:                            ;   in Loop: Header=BB235_147 Depth=1
	s_and_not1_saveexec_b32 s1, s1
; %bb.185:                              ;   in Loop: Header=BB235_147 Depth=1
	v_dual_mul_f32 v9, 0x3e800000, v9 :: v_dual_mul_f32 v10, 0x3e800000, v10
	s_and_not1_b32 s11, s11, exec_lo
; %bb.186:                              ;   in Loop: Header=BB235_147 Depth=1
	s_or_b32 exec_lo, exec_lo, s1
	s_delay_alu instid0(VALU_DEP_1) | instskip(NEXT) | instid1(VALU_DEP_2)
	v_max_f32_e64 v2, |v10|, |v10|
	v_max_f32_e64 v7, |v9|, |v9|
	s_delay_alu instid0(VALU_DEP_1) | instskip(NEXT) | instid1(VALU_DEP_1)
	v_max_f32_e32 v2, v7, v2
	v_cvt_f64_f32_e32 v[7:8], v2
	s_delay_alu instid0(VALU_DEP_1) | instskip(NEXT) | instid1(VALU_DEP_1)
	v_frexp_exp_i32_f64_e32 v7, v[7:8]
	v_sub_nc_u32_e32 v8, 0, v7
	s_delay_alu instid0(VALU_DEP_1) | instskip(SKIP_1) | instid1(VALU_DEP_2)
	v_ldexp_f32 v15, |v10|, v8
	v_ldexp_f32 v8, |v9|, v8
	v_mul_f32_e32 v15, v15, v15
	s_delay_alu instid0(VALU_DEP_1) | instskip(SKIP_1) | instid1(VALU_DEP_2)
	v_fmac_f32_e32 v15, v8, v8
	v_cmp_neq_f32_e64 s1, 0x7f800000, v2
                                        ; implicit-def: $vgpr2
	v_sqrt_f32_e32 v8, v15
	s_waitcnt_depctr 0xfff
	v_ldexp_f32 v7, v8, v7
	s_delay_alu instid0(VALU_DEP_1)
	v_cndmask_b32_e64 v8, 0x7f800000, v7, s1
                                        ; implicit-def: $vgpr7
	s_mov_b32 s1, exec_lo
	v_cmpx_le_f32_e32 0, v9
	s_xor_b32 s12, exec_lo, s1
	s_cbranch_execz .LBB235_189
; %bb.187:                              ;   in Loop: Header=BB235_147 Depth=1
	v_add_f32_e32 v2, v9, v8
	s_delay_alu instid0(VALU_DEP_1) | instskip(NEXT) | instid1(VALU_DEP_1)
	v_mul_f32_e32 v2, 0.5, v2
	v_mul_f32_e32 v7, 0x4f800000, v2
	v_cmp_gt_f32_e32 vcc_lo, 0xf800000, v2
	s_delay_alu instid0(VALU_DEP_2) | instskip(NEXT) | instid1(VALU_DEP_1)
	v_cndmask_b32_e32 v2, v2, v7, vcc_lo
	v_sqrt_f32_e32 v7, v2
	s_waitcnt_depctr 0xfff
	v_add_nc_u32_e32 v8, -1, v7
	v_add_nc_u32_e32 v9, 1, v7
	s_delay_alu instid0(VALU_DEP_2) | instskip(NEXT) | instid1(VALU_DEP_2)
	v_fma_f32 v15, -v8, v7, v2
	v_fma_f32 v16, -v9, v7, v2
	s_delay_alu instid0(VALU_DEP_2) | instskip(NEXT) | instid1(VALU_DEP_1)
	v_cmp_ge_f32_e64 s1, 0, v15
	v_cndmask_b32_e64 v7, v7, v8, s1
	s_delay_alu instid0(VALU_DEP_3) | instskip(NEXT) | instid1(VALU_DEP_1)
	v_cmp_lt_f32_e64 s1, 0, v16
	v_cndmask_b32_e64 v7, v7, v9, s1
	s_delay_alu instid0(VALU_DEP_1) | instskip(NEXT) | instid1(VALU_DEP_1)
	v_mul_f32_e32 v8, 0x37800000, v7
	v_cndmask_b32_e32 v7, v7, v8, vcc_lo
	v_cmp_class_f32_e64 vcc_lo, v2, 0x260
	s_delay_alu instid0(VALU_DEP_2) | instskip(NEXT) | instid1(VALU_DEP_1)
	v_cndmask_b32_e32 v2, v7, v2, vcc_lo
	v_add_f32_e32 v7, v2, v2
	s_delay_alu instid0(VALU_DEP_1) | instskip(NEXT) | instid1(VALU_DEP_1)
	v_div_scale_f32 v8, null, v7, v7, v10
	v_rcp_f32_e32 v9, v8
	s_waitcnt_depctr 0xfff
	v_fma_f32 v15, -v8, v9, 1.0
	s_delay_alu instid0(VALU_DEP_1) | instskip(SKIP_1) | instid1(VALU_DEP_1)
	v_fmac_f32_e32 v9, v15, v9
	v_div_scale_f32 v15, vcc_lo, v10, v7, v10
	v_mul_f32_e32 v16, v15, v9
	s_delay_alu instid0(VALU_DEP_1) | instskip(NEXT) | instid1(VALU_DEP_1)
	v_fma_f32 v17, -v8, v16, v15
	v_fmac_f32_e32 v16, v17, v9
	s_delay_alu instid0(VALU_DEP_1) | instskip(NEXT) | instid1(VALU_DEP_1)
	v_fma_f32 v8, -v8, v16, v15
	v_div_fmas_f32 v8, v8, v9, v16
                                        ; implicit-def: $vgpr9
	s_delay_alu instid0(VALU_DEP_1)
	v_div_fixup_f32 v7, v8, v7, v10
                                        ; implicit-def: $vgpr8
	s_and_not1_saveexec_b32 s12, s12
	s_cbranch_execz .LBB235_191
	s_branch .LBB235_190
.LBB235_188:                            ;   in Loop: Header=BB235_147 Depth=1
	s_or_b32 exec_lo, exec_lo, s0
	s_and_not1_saveexec_b32 s0, s7
	s_cbranch_execnz .LBB235_173
	s_branch .LBB235_174
.LBB235_189:                            ;   in Loop: Header=BB235_147 Depth=1
	s_and_not1_saveexec_b32 s12, s12
	s_cbranch_execz .LBB235_191
.LBB235_190:                            ;   in Loop: Header=BB235_147 Depth=1
	v_sub_f32_e32 v2, v8, v9
	s_delay_alu instid0(VALU_DEP_1) | instskip(NEXT) | instid1(VALU_DEP_1)
	v_mul_f32_e32 v2, 0.5, v2
	v_mul_f32_e32 v7, 0x4f800000, v2
	v_cmp_gt_f32_e32 vcc_lo, 0xf800000, v2
	s_delay_alu instid0(VALU_DEP_2) | instskip(NEXT) | instid1(VALU_DEP_1)
	v_cndmask_b32_e32 v2, v2, v7, vcc_lo
	v_sqrt_f32_e32 v7, v2
	s_waitcnt_depctr 0xfff
	v_add_nc_u32_e32 v8, -1, v7
	v_add_nc_u32_e32 v9, 1, v7
	s_delay_alu instid0(VALU_DEP_2) | instskip(NEXT) | instid1(VALU_DEP_2)
	v_fma_f32 v15, -v8, v7, v2
	v_fma_f32 v16, -v9, v7, v2
	s_delay_alu instid0(VALU_DEP_2) | instskip(NEXT) | instid1(VALU_DEP_1)
	v_cmp_ge_f32_e64 s1, 0, v15
	v_cndmask_b32_e64 v7, v7, v8, s1
	s_delay_alu instid0(VALU_DEP_3) | instskip(NEXT) | instid1(VALU_DEP_1)
	v_cmp_lt_f32_e64 s1, 0, v16
	v_cndmask_b32_e64 v7, v7, v9, s1
	s_delay_alu instid0(VALU_DEP_1) | instskip(NEXT) | instid1(VALU_DEP_1)
	v_mul_f32_e32 v8, 0x37800000, v7
	v_cndmask_b32_e32 v7, v7, v8, vcc_lo
	v_cmp_class_f32_e64 vcc_lo, v2, 0x260
	s_delay_alu instid0(VALU_DEP_2) | instskip(SKIP_1) | instid1(VALU_DEP_2)
	v_cndmask_b32_e32 v7, v7, v2, vcc_lo
	v_and_b32_e32 v2, 0x7fffffff, v10
	v_add_f32_e32 v8, v7, v7
	v_bfi_b32 v7, 0x7fffffff, v7, v10
	s_delay_alu instid0(VALU_DEP_2) | instskip(NEXT) | instid1(VALU_DEP_1)
	v_div_scale_f32 v9, null, v8, v8, v2
	v_rcp_f32_e32 v15, v9
	s_waitcnt_depctr 0xfff
	v_fma_f32 v16, -v9, v15, 1.0
	s_delay_alu instid0(VALU_DEP_1) | instskip(SKIP_1) | instid1(VALU_DEP_1)
	v_fmac_f32_e32 v15, v16, v15
	v_div_scale_f32 v2, vcc_lo, v2, v8, v2
	v_mul_f32_e32 v16, v2, v15
	s_delay_alu instid0(VALU_DEP_1) | instskip(NEXT) | instid1(VALU_DEP_1)
	v_fma_f32 v17, -v9, v16, v2
	v_fmac_f32_e32 v16, v17, v15
	s_delay_alu instid0(VALU_DEP_1) | instskip(NEXT) | instid1(VALU_DEP_1)
	v_fma_f32 v2, -v9, v16, v2
	v_div_fmas_f32 v2, v2, v15, v16
	s_delay_alu instid0(VALU_DEP_1)
	v_div_fixup_f32 v2, v2, v8, |v10|
.LBB235_191:                            ;   in Loop: Header=BB235_147 Depth=1
	s_or_b32 exec_lo, exec_lo, s12
                                        ; implicit-def: $vgpr10
	s_and_saveexec_b32 s1, s0
	s_delay_alu instid0(SALU_CYCLE_1)
	s_xor_b32 s0, exec_lo, s1
	s_cbranch_execz .LBB235_193
; %bb.192:                              ;   in Loop: Header=BB235_147 Depth=1
	v_mul_f32_e32 v8, 0.5, v2
	v_mul_f32_e32 v10, 0.5, v7
	s_delay_alu instid0(VALU_DEP_2) | instskip(NEXT) | instid1(VALU_DEP_2)
	v_cndmask_b32_e64 v9, v2, v8, s11
	v_cndmask_b32_e64 v10, v7, v10, s11
                                        ; implicit-def: $vgpr2
                                        ; implicit-def: $vgpr7
	s_and_not1_saveexec_b32 s0, s0
	s_cbranch_execnz .LBB235_194
	s_branch .LBB235_195
.LBB235_193:                            ;   in Loop: Header=BB235_147 Depth=1
	s_and_not1_saveexec_b32 s0, s0
.LBB235_194:                            ;   in Loop: Header=BB235_147 Depth=1
	v_dual_add_f32 v9, v2, v2 :: v_dual_add_f32 v10, v7, v7
.LBB235_195:                            ;   in Loop: Header=BB235_147 Depth=1
	s_or_b32 exec_lo, exec_lo, s0
.LBB235_196:                            ;   in Loop: Header=BB235_147 Depth=1
	s_and_not1_saveexec_b32 s0, s10
	s_cbranch_execz .LBB235_202
; %bb.197:                              ;   in Loop: Header=BB235_147 Depth=1
	s_delay_alu instid0(VALU_DEP_1)
	v_sub_f32_e32 v2, v10, v10
	s_mov_b32 s1, exec_lo
	v_cmpx_lt_i32_e32 -1, v9
	s_xor_b32 s1, exec_lo, s1
; %bb.198:                              ;   in Loop: Header=BB235_147 Depth=1
	s_delay_alu instid0(VALU_DEP_2)
	v_bfi_b32 v10, 0x7fffffff, v2, v10
                                        ; implicit-def: $vgpr2
; %bb.199:                              ;   in Loop: Header=BB235_147 Depth=1
	s_and_not1_saveexec_b32 s1, s1
; %bb.200:                              ;   in Loop: Header=BB235_147 Depth=1
	v_and_b32_e32 v2, 0x7fffffff, v2
	s_delay_alu instid0(VALU_DEP_2) | instskip(NEXT) | instid1(VALU_DEP_2)
	v_bfi_b32 v10, 0x7fffffff, v9, v10
	v_mov_b32_e32 v9, v2
; %bb.201:                              ;   in Loop: Header=BB235_147 Depth=1
	s_or_b32 exec_lo, exec_lo, s1
.LBB235_202:                            ;   in Loop: Header=BB235_147 Depth=1
	s_delay_alu instid0(SALU_CYCLE_1)
	s_or_b32 exec_lo, exec_lo, s0
.LBB235_203:                            ;   in Loop: Header=BB235_147 Depth=1
	s_and_not1_saveexec_b32 s0, s7
; %bb.204:                              ;   in Loop: Header=BB235_147 Depth=1
	v_sub_f32_e32 v2, v10, v10
	s_delay_alu instid0(VALU_DEP_1) | instskip(NEXT) | instid1(VALU_DEP_1)
	v_div_scale_f32 v7, vcc_lo, v2, v2, v2
	v_rcp_f32_e32 v8, v7
	s_waitcnt_depctr 0xfff
	v_fma_f32 v10, -v7, v8, 1.0
	s_delay_alu instid0(VALU_DEP_1) | instskip(NEXT) | instid1(VALU_DEP_1)
	v_fmac_f32_e32 v8, v10, v8
	v_mul_f32_e32 v10, v7, v8
	s_delay_alu instid0(VALU_DEP_1) | instskip(NEXT) | instid1(VALU_DEP_1)
	v_fma_f32 v15, -v7, v10, v7
	v_fmac_f32_e32 v10, v15, v8
	s_delay_alu instid0(VALU_DEP_1) | instskip(NEXT) | instid1(VALU_DEP_1)
	v_fma_f32 v7, -v7, v10, v7
	v_div_fmas_f32 v7, v7, v8, v10
	s_delay_alu instid0(VALU_DEP_1)
	v_div_fixup_f32 v10, v7, v2, v2
; %bb.205:                              ;   in Loop: Header=BB235_147 Depth=1
	s_or_b32 exec_lo, exec_lo, s0
	v_mov_b32_e32 v2, v9
.LBB235_206:                            ;   in Loop: Header=BB235_147 Depth=1
	s_or_b32 exec_lo, exec_lo, s6
.LBB235_207:                            ;   in Loop: Header=BB235_147 Depth=1
	s_delay_alu instid0(SALU_CYCLE_1)
	s_or_b32 exec_lo, exec_lo, s5
	s_waitcnt vmcnt(0)
	v_cmp_neq_f32_e32 vcc_lo, 0, v3
	v_cmp_neq_f32_e64 s0, 0, v4
	v_dual_mov_b32 v9, 0 :: v_dual_mov_b32 v8, v4
	v_mov_b32_e32 v7, 0
	s_delay_alu instid0(VALU_DEP_3) | instskip(NEXT) | instid1(SALU_CYCLE_1)
	s_or_b32 s0, vcc_lo, s0
	s_and_saveexec_b32 s5, s0
	s_cbranch_execz .LBB235_237
; %bb.208:                              ;   in Loop: Header=BB235_147 Depth=1
	v_dual_mov_b32 v7, 0x7f800000 :: v_dual_mov_b32 v8, v4
	s_mov_b32 s6, exec_lo
	v_cmpx_neq_f32_e64 0x7f800000, |v4|
	s_cbranch_execz .LBB235_236
; %bb.209:                              ;   in Loop: Header=BB235_147 Depth=1
	s_mov_b32 s0, exec_lo
	v_cmpx_o_f32_e32 v3, v3
	s_xor_b32 s7, exec_lo, s0
	s_cbranch_execz .LBB235_233
; %bb.210:                              ;   in Loop: Header=BB235_147 Depth=1
	s_mov_b32 s1, exec_lo
	v_cmpx_neq_f32_e64 0x7f800000, |v3|
	s_xor_b32 s10, exec_lo, s1
	s_cbranch_execz .LBB235_226
; %bb.211:                              ;   in Loop: Header=BB235_147 Depth=1
	v_max_f32_e64 v7, |v4|, |v4|
	v_max_f32_e64 v8, |v3|, |v3|
                                        ; implicit-def: $sgpr11
	s_delay_alu instid0(VALU_DEP_1) | instskip(NEXT) | instid1(VALU_DEP_1)
	v_max_f32_e32 v7, v8, v7
                                        ; implicit-def: $vgpr8
	v_cmp_nle_f32_e64 s0, 0x7ed413cb, v7
                                        ; implicit-def: $vgpr7
	s_delay_alu instid0(VALU_DEP_1) | instskip(NEXT) | instid1(SALU_CYCLE_1)
	s_and_saveexec_b32 s1, s0
	s_xor_b32 s1, exec_lo, s1
	s_cbranch_execz .LBB235_215
; %bb.212:                              ;   in Loop: Header=BB235_147 Depth=1
	v_cmp_ge_f32_e64 s11, 0x1000000, |v3|
	v_cmp_ge_f32_e64 s12, 0x1000000, |v4|
	v_dual_mov_b32 v8, v3 :: v_dual_mov_b32 v7, v4
	s_delay_alu instid0(VALU_DEP_2)
	s_and_b32 s13, s11, s12
	s_mov_b32 s11, 0
	s_and_saveexec_b32 s12, s13
; %bb.213:                              ;   in Loop: Header=BB235_147 Depth=1
	v_dual_mul_f32 v8, 4.0, v3 :: v_dual_mul_f32 v7, 4.0, v4
	s_mov_b32 s11, exec_lo
; %bb.214:                              ;   in Loop: Header=BB235_147 Depth=1
	s_or_b32 exec_lo, exec_lo, s12
	s_delay_alu instid0(SALU_CYCLE_1)
	s_and_b32 s11, s11, exec_lo
.LBB235_215:                            ;   in Loop: Header=BB235_147 Depth=1
	s_and_not1_saveexec_b32 s1, s1
; %bb.216:                              ;   in Loop: Header=BB235_147 Depth=1
	v_dual_mul_f32 v8, 0x3e800000, v3 :: v_dual_mul_f32 v7, 0x3e800000, v4
	s_and_not1_b32 s11, s11, exec_lo
; %bb.217:                              ;   in Loop: Header=BB235_147 Depth=1
	s_or_b32 exec_lo, exec_lo, s1
	s_delay_alu instid0(VALU_DEP_1) | instskip(NEXT) | instid1(VALU_DEP_2)
	v_max_f32_e64 v15, |v7|, |v7|
	v_max_f32_e64 v16, |v8|, |v8|
	s_delay_alu instid0(VALU_DEP_1) | instskip(NEXT) | instid1(VALU_DEP_1)
	v_max_f32_e32 v17, v16, v15
	v_cvt_f64_f32_e32 v[15:16], v17
	s_delay_alu instid0(VALU_DEP_1) | instskip(NEXT) | instid1(VALU_DEP_1)
	v_frexp_exp_i32_f64_e32 v15, v[15:16]
	v_sub_nc_u32_e32 v16, 0, v15
	s_delay_alu instid0(VALU_DEP_1) | instskip(SKIP_1) | instid1(VALU_DEP_2)
	v_ldexp_f32 v18, |v7|, v16
	v_ldexp_f32 v16, |v8|, v16
	v_mul_f32_e32 v18, v18, v18
	v_cmp_neq_f32_e64 s1, 0x7f800000, v17
	s_delay_alu instid0(VALU_DEP_2) | instskip(NEXT) | instid1(VALU_DEP_1)
	v_fmac_f32_e32 v18, v16, v16
	v_sqrt_f32_e32 v16, v18
	s_waitcnt_depctr 0xfff
	v_ldexp_f32 v15, v16, v15
                                        ; implicit-def: $vgpr16
	s_delay_alu instid0(VALU_DEP_1)
	v_cndmask_b32_e64 v17, 0x7f800000, v15, s1
                                        ; implicit-def: $vgpr15
	s_mov_b32 s1, exec_lo
	v_cmpx_le_f32_e32 0, v8
	s_xor_b32 s12, exec_lo, s1
	s_cbranch_execz .LBB235_221
; %bb.218:                              ;   in Loop: Header=BB235_147 Depth=1
	v_add_f32_e32 v8, v8, v17
	s_delay_alu instid0(VALU_DEP_1) | instskip(NEXT) | instid1(VALU_DEP_1)
	v_mul_f32_e32 v8, 0.5, v8
	v_mul_f32_e32 v15, 0x4f800000, v8
	v_cmp_gt_f32_e32 vcc_lo, 0xf800000, v8
	s_delay_alu instid0(VALU_DEP_2) | instskip(NEXT) | instid1(VALU_DEP_1)
	v_cndmask_b32_e32 v8, v8, v15, vcc_lo
	v_sqrt_f32_e32 v15, v8
	s_waitcnt_depctr 0xfff
	v_add_nc_u32_e32 v16, -1, v15
	v_add_nc_u32_e32 v17, 1, v15
	s_delay_alu instid0(VALU_DEP_2) | instskip(NEXT) | instid1(VALU_DEP_2)
	v_fma_f32 v18, -v16, v15, v8
	v_fma_f32 v19, -v17, v15, v8
	s_delay_alu instid0(VALU_DEP_2) | instskip(NEXT) | instid1(VALU_DEP_1)
	v_cmp_ge_f32_e64 s1, 0, v18
	v_cndmask_b32_e64 v15, v15, v16, s1
	s_delay_alu instid0(VALU_DEP_3) | instskip(NEXT) | instid1(VALU_DEP_1)
	v_cmp_lt_f32_e64 s1, 0, v19
	v_cndmask_b32_e64 v15, v15, v17, s1
	s_delay_alu instid0(VALU_DEP_1) | instskip(NEXT) | instid1(VALU_DEP_1)
	v_mul_f32_e32 v16, 0x37800000, v15
	v_cndmask_b32_e32 v15, v15, v16, vcc_lo
	v_cmp_class_f32_e64 vcc_lo, v8, 0x260
	s_delay_alu instid0(VALU_DEP_2) | instskip(NEXT) | instid1(VALU_DEP_1)
	v_cndmask_b32_e32 v15, v15, v8, vcc_lo
	v_add_f32_e32 v8, v15, v15
	s_delay_alu instid0(VALU_DEP_1) | instskip(NEXT) | instid1(VALU_DEP_1)
	v_div_scale_f32 v16, null, v8, v8, v7
	v_rcp_f32_e32 v17, v16
	s_waitcnt_depctr 0xfff
	v_fma_f32 v18, -v16, v17, 1.0
	s_delay_alu instid0(VALU_DEP_1) | instskip(SKIP_1) | instid1(VALU_DEP_1)
	v_fmac_f32_e32 v17, v18, v17
	v_div_scale_f32 v18, vcc_lo, v7, v8, v7
	v_mul_f32_e32 v19, v18, v17
	s_delay_alu instid0(VALU_DEP_1) | instskip(NEXT) | instid1(VALU_DEP_1)
	v_fma_f32 v20, -v16, v19, v18
	v_fmac_f32_e32 v19, v20, v17
	s_delay_alu instid0(VALU_DEP_1) | instskip(NEXT) | instid1(VALU_DEP_1)
	v_fma_f32 v16, -v16, v19, v18
	v_div_fmas_f32 v16, v16, v17, v19
                                        ; implicit-def: $vgpr17
	s_delay_alu instid0(VALU_DEP_1)
	v_div_fixup_f32 v16, v16, v8, v7
                                        ; implicit-def: $vgpr8
                                        ; implicit-def: $vgpr7
	s_and_not1_saveexec_b32 s12, s12
	s_cbranch_execnz .LBB235_222
.LBB235_219:                            ;   in Loop: Header=BB235_147 Depth=1
	s_or_b32 exec_lo, exec_lo, s12
	s_and_saveexec_b32 s1, s0
	s_delay_alu instid0(SALU_CYCLE_1)
	s_xor_b32 s0, exec_lo, s1
	s_cbranch_execz .LBB235_223
.LBB235_220:                            ;   in Loop: Header=BB235_147 Depth=1
	v_dual_mul_f32 v7, 0.5, v15 :: v_dual_mul_f32 v8, 0.5, v16
	s_delay_alu instid0(VALU_DEP_1) | instskip(NEXT) | instid1(VALU_DEP_2)
	v_cndmask_b32_e64 v7, v15, v7, s11
	v_cndmask_b32_e64 v8, v16, v8, s11
                                        ; implicit-def: $vgpr15
                                        ; implicit-def: $vgpr16
	s_and_not1_saveexec_b32 s0, s0
	s_cbranch_execnz .LBB235_224
	s_branch .LBB235_225
.LBB235_221:                            ;   in Loop: Header=BB235_147 Depth=1
	s_and_not1_saveexec_b32 s12, s12
	s_cbranch_execz .LBB235_219
.LBB235_222:                            ;   in Loop: Header=BB235_147 Depth=1
	v_sub_f32_e32 v8, v17, v8
	s_delay_alu instid0(VALU_DEP_1) | instskip(NEXT) | instid1(VALU_DEP_1)
	v_mul_f32_e32 v8, 0.5, v8
	v_mul_f32_e32 v15, 0x4f800000, v8
	v_cmp_gt_f32_e32 vcc_lo, 0xf800000, v8
	s_delay_alu instid0(VALU_DEP_2) | instskip(NEXT) | instid1(VALU_DEP_1)
	v_cndmask_b32_e32 v8, v8, v15, vcc_lo
	v_sqrt_f32_e32 v15, v8
	s_waitcnt_depctr 0xfff
	v_add_nc_u32_e32 v16, -1, v15
	v_add_nc_u32_e32 v17, 1, v15
	s_delay_alu instid0(VALU_DEP_2) | instskip(NEXT) | instid1(VALU_DEP_2)
	v_fma_f32 v18, -v16, v15, v8
	v_fma_f32 v19, -v17, v15, v8
	s_delay_alu instid0(VALU_DEP_2) | instskip(NEXT) | instid1(VALU_DEP_1)
	v_cmp_ge_f32_e64 s1, 0, v18
	v_cndmask_b32_e64 v15, v15, v16, s1
	s_delay_alu instid0(VALU_DEP_3) | instskip(NEXT) | instid1(VALU_DEP_1)
	v_cmp_lt_f32_e64 s1, 0, v19
	v_cndmask_b32_e64 v15, v15, v17, s1
	s_delay_alu instid0(VALU_DEP_1) | instskip(NEXT) | instid1(VALU_DEP_1)
	v_mul_f32_e32 v16, 0x37800000, v15
	v_cndmask_b32_e32 v15, v15, v16, vcc_lo
	v_cmp_class_f32_e64 vcc_lo, v8, 0x260
	s_delay_alu instid0(VALU_DEP_2) | instskip(NEXT) | instid1(VALU_DEP_1)
	v_dual_cndmask_b32 v8, v15, v8 :: v_dual_and_b32 v15, 0x7fffffff, v7
	v_add_f32_e32 v16, v8, v8
	s_delay_alu instid0(VALU_DEP_1) | instskip(SKIP_1) | instid1(VALU_DEP_2)
	v_div_scale_f32 v17, null, v16, v16, v15
	v_div_scale_f32 v15, vcc_lo, v15, v16, v15
	v_rcp_f32_e32 v18, v17
	s_waitcnt_depctr 0xfff
	v_fma_f32 v19, -v17, v18, 1.0
	s_delay_alu instid0(VALU_DEP_1) | instskip(NEXT) | instid1(VALU_DEP_1)
	v_fmac_f32_e32 v18, v19, v18
	v_mul_f32_e32 v19, v15, v18
	s_delay_alu instid0(VALU_DEP_1) | instskip(NEXT) | instid1(VALU_DEP_1)
	v_fma_f32 v20, -v17, v19, v15
	v_fmac_f32_e32 v19, v20, v18
	s_delay_alu instid0(VALU_DEP_1) | instskip(NEXT) | instid1(VALU_DEP_1)
	v_fma_f32 v15, -v17, v19, v15
	v_div_fmas_f32 v15, v15, v18, v19
	s_delay_alu instid0(VALU_DEP_1) | instskip(SKIP_3) | instid1(SALU_CYCLE_1)
	v_div_fixup_f32 v15, v15, v16, |v7|
	v_bfi_b32 v16, 0x7fffffff, v8, v7
	s_or_b32 exec_lo, exec_lo, s12
	s_and_saveexec_b32 s1, s0
	s_xor_b32 s0, exec_lo, s1
	s_cbranch_execnz .LBB235_220
.LBB235_223:                            ;   in Loop: Header=BB235_147 Depth=1
	s_and_not1_saveexec_b32 s0, s0
.LBB235_224:                            ;   in Loop: Header=BB235_147 Depth=1
	v_dual_add_f32 v7, v15, v15 :: v_dual_add_f32 v8, v16, v16
.LBB235_225:                            ;   in Loop: Header=BB235_147 Depth=1
	s_or_b32 exec_lo, exec_lo, s0
.LBB235_226:                            ;   in Loop: Header=BB235_147 Depth=1
	s_and_not1_saveexec_b32 s0, s10
	s_cbranch_execz .LBB235_232
; %bb.227:                              ;   in Loop: Header=BB235_147 Depth=1
	v_sub_f32_e32 v15, v4, v4
	s_mov_b32 s1, exec_lo
	v_cmpx_lt_i32_e32 -1, v3
	s_xor_b32 s1, exec_lo, s1
; %bb.228:                              ;   in Loop: Header=BB235_147 Depth=1
	s_delay_alu instid0(VALU_DEP_2)
	v_bfi_b32 v8, 0x7fffffff, v15, v4
                                        ; implicit-def: $vgpr15
; %bb.229:                              ;   in Loop: Header=BB235_147 Depth=1
	s_or_saveexec_b32 s1, s1
	v_mov_b32_e32 v7, v3
	s_xor_b32 exec_lo, exec_lo, s1
; %bb.230:                              ;   in Loop: Header=BB235_147 Depth=1
	v_and_b32_e32 v7, 0x7fffffff, v15
	v_bfi_b32 v8, 0x7fffffff, v3, v4
; %bb.231:                              ;   in Loop: Header=BB235_147 Depth=1
	s_or_b32 exec_lo, exec_lo, s1
.LBB235_232:                            ;   in Loop: Header=BB235_147 Depth=1
	s_delay_alu instid0(SALU_CYCLE_1)
	s_or_b32 exec_lo, exec_lo, s0
.LBB235_233:                            ;   in Loop: Header=BB235_147 Depth=1
	s_and_not1_saveexec_b32 s0, s7
	s_cbranch_execz .LBB235_235
; %bb.234:                              ;   in Loop: Header=BB235_147 Depth=1
	v_sub_f32_e32 v4, v4, v4
	s_delay_alu instid0(VALU_DEP_1) | instskip(NEXT) | instid1(VALU_DEP_1)
	v_div_scale_f32 v7, vcc_lo, v4, v4, v4
	v_rcp_f32_e32 v8, v7
	s_waitcnt_depctr 0xfff
	v_fma_f32 v15, -v7, v8, 1.0
	s_delay_alu instid0(VALU_DEP_1) | instskip(NEXT) | instid1(VALU_DEP_1)
	v_fmac_f32_e32 v8, v15, v8
	v_mul_f32_e32 v15, v7, v8
	s_delay_alu instid0(VALU_DEP_1) | instskip(NEXT) | instid1(VALU_DEP_1)
	v_fma_f32 v16, -v7, v15, v7
	v_fmac_f32_e32 v15, v16, v8
	s_delay_alu instid0(VALU_DEP_1) | instskip(NEXT) | instid1(VALU_DEP_1)
	v_fma_f32 v7, -v7, v15, v7
	v_div_fmas_f32 v7, v7, v8, v15
	s_delay_alu instid0(VALU_DEP_1)
	v_div_fixup_f32 v8, v7, v4, v4
	v_mov_b32_e32 v7, v3
.LBB235_235:                            ;   in Loop: Header=BB235_147 Depth=1
	s_or_b32 exec_lo, exec_lo, s0
.LBB235_236:                            ;   in Loop: Header=BB235_147 Depth=1
	s_delay_alu instid0(SALU_CYCLE_1)
	s_or_b32 exec_lo, exec_lo, s6
.LBB235_237:                            ;   in Loop: Header=BB235_147 Depth=1
	s_delay_alu instid0(SALU_CYCLE_1) | instskip(SKIP_2) | instid1(VALU_DEP_1)
	s_or_b32 exec_lo, exec_lo, s5
	v_cmp_neq_f32_e32 vcc_lo, 0, v5
	v_cmp_neq_f32_e64 s0, 0, v6
	s_or_b32 s0, vcc_lo, s0
	s_delay_alu instid0(SALU_CYCLE_1)
	s_and_saveexec_b32 s5, s0
	s_cbranch_execz .LBB235_146
; %bb.238:                              ;   in Loop: Header=BB235_147 Depth=1
	v_mov_b32_e32 v9, 0x7f800000
	s_mov_b32 s6, exec_lo
	v_cmpx_neq_f32_e64 0x7f800000, |v6|
	s_cbranch_execz .LBB235_145
; %bb.239:                              ;   in Loop: Header=BB235_147 Depth=1
	s_mov_b32 s0, exec_lo
	v_cmpx_o_f32_e32 v5, v5
	s_xor_b32 s7, exec_lo, s0
	s_cbranch_execz .LBB235_263
; %bb.240:                              ;   in Loop: Header=BB235_147 Depth=1
	s_mov_b32 s1, exec_lo
	v_cmpx_neq_f32_e64 0x7f800000, |v5|
	s_xor_b32 s10, exec_lo, s1
	s_cbranch_execz .LBB235_256
; %bb.241:                              ;   in Loop: Header=BB235_147 Depth=1
	v_max_f32_e64 v3, |v6|, |v6|
	v_max_f32_e64 v4, |v5|, |v5|
                                        ; implicit-def: $sgpr11
	s_delay_alu instid0(VALU_DEP_1) | instskip(NEXT) | instid1(VALU_DEP_1)
	v_max_f32_e32 v3, v4, v3
	v_cmp_nle_f32_e64 s0, 0x7ed413cb, v3
	s_delay_alu instid0(VALU_DEP_1) | instskip(NEXT) | instid1(SALU_CYCLE_1)
	s_and_saveexec_b32 s1, s0
	s_xor_b32 s1, exec_lo, s1
	s_cbranch_execz .LBB235_245
; %bb.242:                              ;   in Loop: Header=BB235_147 Depth=1
	v_cmp_ge_f32_e64 s11, 0x1000000, |v5|
	v_cmp_ge_f32_e64 s12, 0x1000000, |v6|
	s_delay_alu instid0(VALU_DEP_1)
	s_and_b32 s13, s11, s12
	s_mov_b32 s11, 0
	s_and_saveexec_b32 s12, s13
; %bb.243:                              ;   in Loop: Header=BB235_147 Depth=1
	v_dual_mul_f32 v5, 4.0, v5 :: v_dual_mul_f32 v6, 4.0, v6
	s_mov_b32 s11, exec_lo
; %bb.244:                              ;   in Loop: Header=BB235_147 Depth=1
	s_or_b32 exec_lo, exec_lo, s12
	s_delay_alu instid0(SALU_CYCLE_1)
	s_and_b32 s11, s11, exec_lo
.LBB235_245:                            ;   in Loop: Header=BB235_147 Depth=1
	s_and_not1_saveexec_b32 s1, s1
; %bb.246:                              ;   in Loop: Header=BB235_147 Depth=1
	v_dual_mul_f32 v5, 0x3e800000, v5 :: v_dual_mul_f32 v6, 0x3e800000, v6
	s_and_not1_b32 s11, s11, exec_lo
; %bb.247:                              ;   in Loop: Header=BB235_147 Depth=1
	s_or_b32 exec_lo, exec_lo, s1
	s_delay_alu instid0(VALU_DEP_1) | instskip(NEXT) | instid1(VALU_DEP_2)
	v_max_f32_e64 v3, |v6|, |v6|
	v_max_f32_e64 v4, |v5|, |v5|
	s_delay_alu instid0(VALU_DEP_1) | instskip(NEXT) | instid1(VALU_DEP_1)
	v_max_f32_e32 v9, v4, v3
	v_cvt_f64_f32_e32 v[3:4], v9
	v_cmp_neq_f32_e64 s1, 0x7f800000, v9
	s_delay_alu instid0(VALU_DEP_2) | instskip(NEXT) | instid1(VALU_DEP_1)
	v_frexp_exp_i32_f64_e32 v3, v[3:4]
	v_sub_nc_u32_e32 v4, 0, v3
	s_delay_alu instid0(VALU_DEP_1) | instskip(SKIP_1) | instid1(VALU_DEP_2)
	v_ldexp_f32 v15, |v6|, v4
	v_ldexp_f32 v4, |v5|, v4
	v_mul_f32_e32 v15, v15, v15
	s_delay_alu instid0(VALU_DEP_1) | instskip(NEXT) | instid1(VALU_DEP_1)
	v_fmac_f32_e32 v15, v4, v4
	v_sqrt_f32_e32 v4, v15
	s_waitcnt_depctr 0xfff
	v_ldexp_f32 v3, v4, v3
                                        ; implicit-def: $vgpr4
	s_delay_alu instid0(VALU_DEP_1)
	v_cndmask_b32_e64 v9, 0x7f800000, v3, s1
                                        ; implicit-def: $vgpr3
	s_mov_b32 s1, exec_lo
	v_cmpx_le_f32_e32 0, v5
	s_xor_b32 s12, exec_lo, s1
	s_cbranch_execz .LBB235_249
; %bb.248:                              ;   in Loop: Header=BB235_147 Depth=1
	v_add_f32_e32 v3, v5, v9
	s_delay_alu instid0(VALU_DEP_1) | instskip(NEXT) | instid1(VALU_DEP_1)
	v_mul_f32_e32 v3, 0.5, v3
	v_mul_f32_e32 v4, 0x4f800000, v3
	v_cmp_gt_f32_e32 vcc_lo, 0xf800000, v3
	s_delay_alu instid0(VALU_DEP_2) | instskip(NEXT) | instid1(VALU_DEP_1)
	v_cndmask_b32_e32 v3, v3, v4, vcc_lo
	v_sqrt_f32_e32 v4, v3
	s_waitcnt_depctr 0xfff
	v_add_nc_u32_e32 v5, -1, v4
	v_add_nc_u32_e32 v9, 1, v4
	s_delay_alu instid0(VALU_DEP_2) | instskip(NEXT) | instid1(VALU_DEP_2)
	v_fma_f32 v15, -v5, v4, v3
	v_fma_f32 v16, -v9, v4, v3
	s_delay_alu instid0(VALU_DEP_2) | instskip(NEXT) | instid1(VALU_DEP_1)
	v_cmp_ge_f32_e64 s1, 0, v15
	v_cndmask_b32_e64 v4, v4, v5, s1
	s_delay_alu instid0(VALU_DEP_3) | instskip(NEXT) | instid1(VALU_DEP_1)
	v_cmp_lt_f32_e64 s1, 0, v16
	v_cndmask_b32_e64 v4, v4, v9, s1
	s_delay_alu instid0(VALU_DEP_1) | instskip(NEXT) | instid1(VALU_DEP_1)
	v_mul_f32_e32 v5, 0x37800000, v4
	v_cndmask_b32_e32 v4, v4, v5, vcc_lo
	v_cmp_class_f32_e64 vcc_lo, v3, 0x260
	s_delay_alu instid0(VALU_DEP_2) | instskip(NEXT) | instid1(VALU_DEP_1)
	v_cndmask_b32_e32 v3, v4, v3, vcc_lo
	v_add_f32_e32 v4, v3, v3
	s_delay_alu instid0(VALU_DEP_1) | instskip(NEXT) | instid1(VALU_DEP_1)
	v_div_scale_f32 v5, null, v4, v4, v6
	v_rcp_f32_e32 v9, v5
	s_waitcnt_depctr 0xfff
	v_fma_f32 v15, -v5, v9, 1.0
	s_delay_alu instid0(VALU_DEP_1) | instskip(SKIP_1) | instid1(VALU_DEP_1)
	v_fmac_f32_e32 v9, v15, v9
	v_div_scale_f32 v15, vcc_lo, v6, v4, v6
	v_mul_f32_e32 v16, v15, v9
	s_delay_alu instid0(VALU_DEP_1) | instskip(NEXT) | instid1(VALU_DEP_1)
	v_fma_f32 v17, -v5, v16, v15
	v_fmac_f32_e32 v16, v17, v9
	s_delay_alu instid0(VALU_DEP_1) | instskip(NEXT) | instid1(VALU_DEP_1)
	v_fma_f32 v5, -v5, v16, v15
	v_div_fmas_f32 v5, v5, v9, v16
                                        ; implicit-def: $vgpr9
	s_delay_alu instid0(VALU_DEP_1)
	v_div_fixup_f32 v4, v5, v4, v6
                                        ; implicit-def: $vgpr5
	s_and_not1_saveexec_b32 s12, s12
	s_cbranch_execz .LBB235_251
	s_branch .LBB235_250
.LBB235_249:                            ;   in Loop: Header=BB235_147 Depth=1
	s_and_not1_saveexec_b32 s12, s12
	s_cbranch_execz .LBB235_251
.LBB235_250:                            ;   in Loop: Header=BB235_147 Depth=1
	v_sub_f32_e32 v3, v9, v5
	s_delay_alu instid0(VALU_DEP_1) | instskip(NEXT) | instid1(VALU_DEP_1)
	v_mul_f32_e32 v3, 0.5, v3
	v_mul_f32_e32 v4, 0x4f800000, v3
	v_cmp_gt_f32_e32 vcc_lo, 0xf800000, v3
	s_delay_alu instid0(VALU_DEP_2) | instskip(NEXT) | instid1(VALU_DEP_1)
	v_cndmask_b32_e32 v3, v3, v4, vcc_lo
	v_sqrt_f32_e32 v4, v3
	s_waitcnt_depctr 0xfff
	v_add_nc_u32_e32 v5, -1, v4
	v_add_nc_u32_e32 v9, 1, v4
	s_delay_alu instid0(VALU_DEP_2) | instskip(NEXT) | instid1(VALU_DEP_2)
	v_fma_f32 v15, -v5, v4, v3
	v_fma_f32 v16, -v9, v4, v3
	s_delay_alu instid0(VALU_DEP_2) | instskip(NEXT) | instid1(VALU_DEP_1)
	v_cmp_ge_f32_e64 s1, 0, v15
	v_cndmask_b32_e64 v4, v4, v5, s1
	s_delay_alu instid0(VALU_DEP_3) | instskip(NEXT) | instid1(VALU_DEP_1)
	v_cmp_lt_f32_e64 s1, 0, v16
	v_cndmask_b32_e64 v4, v4, v9, s1
	s_delay_alu instid0(VALU_DEP_1) | instskip(NEXT) | instid1(VALU_DEP_1)
	v_mul_f32_e32 v5, 0x37800000, v4
	v_cndmask_b32_e32 v4, v4, v5, vcc_lo
	v_cmp_class_f32_e64 vcc_lo, v3, 0x260
	s_delay_alu instid0(VALU_DEP_2) | instskip(NEXT) | instid1(VALU_DEP_1)
	v_dual_cndmask_b32 v4, v4, v3 :: v_dual_and_b32 v3, 0x7fffffff, v6
	v_add_f32_e32 v5, v4, v4
	v_bfi_b32 v4, 0x7fffffff, v4, v6
	s_delay_alu instid0(VALU_DEP_2) | instskip(SKIP_1) | instid1(VALU_DEP_2)
	v_div_scale_f32 v9, null, v5, v5, v3
	v_div_scale_f32 v3, vcc_lo, v3, v5, v3
	v_rcp_f32_e32 v15, v9
	s_waitcnt_depctr 0xfff
	v_fma_f32 v16, -v9, v15, 1.0
	s_delay_alu instid0(VALU_DEP_1) | instskip(NEXT) | instid1(VALU_DEP_1)
	v_fmac_f32_e32 v15, v16, v15
	v_mul_f32_e32 v16, v3, v15
	s_delay_alu instid0(VALU_DEP_1) | instskip(NEXT) | instid1(VALU_DEP_1)
	v_fma_f32 v17, -v9, v16, v3
	v_fmac_f32_e32 v16, v17, v15
	s_delay_alu instid0(VALU_DEP_1) | instskip(NEXT) | instid1(VALU_DEP_1)
	v_fma_f32 v3, -v9, v16, v3
	v_div_fmas_f32 v3, v3, v15, v16
	s_delay_alu instid0(VALU_DEP_1)
	v_div_fixup_f32 v3, v3, v5, |v6|
.LBB235_251:                            ;   in Loop: Header=BB235_147 Depth=1
	s_or_b32 exec_lo, exec_lo, s12
                                        ; implicit-def: $vgpr6
	s_and_saveexec_b32 s1, s0
	s_delay_alu instid0(SALU_CYCLE_1)
	s_xor_b32 s0, exec_lo, s1
	s_cbranch_execz .LBB235_253
; %bb.252:                              ;   in Loop: Header=BB235_147 Depth=1
	v_dual_mul_f32 v5, 0.5, v3 :: v_dual_mul_f32 v6, 0.5, v4
	s_delay_alu instid0(VALU_DEP_1) | instskip(NEXT) | instid1(VALU_DEP_2)
	v_cndmask_b32_e64 v5, v3, v5, s11
	v_cndmask_b32_e64 v6, v4, v6, s11
                                        ; implicit-def: $vgpr3
                                        ; implicit-def: $vgpr4
	s_and_not1_saveexec_b32 s0, s0
	s_cbranch_execnz .LBB235_254
	s_branch .LBB235_255
.LBB235_253:                            ;   in Loop: Header=BB235_147 Depth=1
	s_and_not1_saveexec_b32 s0, s0
.LBB235_254:                            ;   in Loop: Header=BB235_147 Depth=1
	v_dual_add_f32 v5, v3, v3 :: v_dual_add_f32 v6, v4, v4
.LBB235_255:                            ;   in Loop: Header=BB235_147 Depth=1
	s_or_b32 exec_lo, exec_lo, s0
.LBB235_256:                            ;   in Loop: Header=BB235_147 Depth=1
	s_and_not1_saveexec_b32 s0, s10
	s_cbranch_execz .LBB235_262
; %bb.257:                              ;   in Loop: Header=BB235_147 Depth=1
	s_delay_alu instid0(VALU_DEP_1)
	v_sub_f32_e32 v3, v6, v6
	s_mov_b32 s1, exec_lo
	v_cmpx_lt_i32_e32 -1, v5
	s_xor_b32 s1, exec_lo, s1
; %bb.258:                              ;   in Loop: Header=BB235_147 Depth=1
	s_delay_alu instid0(VALU_DEP_2)
	v_bfi_b32 v6, 0x7fffffff, v3, v6
                                        ; implicit-def: $vgpr3
; %bb.259:                              ;   in Loop: Header=BB235_147 Depth=1
	s_and_not1_saveexec_b32 s1, s1
; %bb.260:                              ;   in Loop: Header=BB235_147 Depth=1
	v_and_b32_e32 v3, 0x7fffffff, v3
	s_delay_alu instid0(VALU_DEP_2) | instskip(NEXT) | instid1(VALU_DEP_2)
	v_bfi_b32 v6, 0x7fffffff, v5, v6
	v_mov_b32_e32 v5, v3
; %bb.261:                              ;   in Loop: Header=BB235_147 Depth=1
	s_or_b32 exec_lo, exec_lo, s1
.LBB235_262:                            ;   in Loop: Header=BB235_147 Depth=1
	s_delay_alu instid0(SALU_CYCLE_1)
	s_or_b32 exec_lo, exec_lo, s0
.LBB235_263:                            ;   in Loop: Header=BB235_147 Depth=1
	s_and_not1_saveexec_b32 s0, s7
	s_cbranch_execz .LBB235_144
; %bb.264:                              ;   in Loop: Header=BB235_147 Depth=1
	v_sub_f32_e32 v3, v6, v6
	s_delay_alu instid0(VALU_DEP_1) | instskip(NEXT) | instid1(VALU_DEP_1)
	v_div_scale_f32 v4, vcc_lo, v3, v3, v3
	v_rcp_f32_e32 v6, v4
	s_waitcnt_depctr 0xfff
	v_fma_f32 v9, -v4, v6, 1.0
	s_delay_alu instid0(VALU_DEP_1) | instskip(NEXT) | instid1(VALU_DEP_1)
	v_fmac_f32_e32 v6, v9, v6
	v_mul_f32_e32 v9, v4, v6
	s_delay_alu instid0(VALU_DEP_1) | instskip(NEXT) | instid1(VALU_DEP_1)
	v_fma_f32 v15, -v4, v9, v4
	v_fmac_f32_e32 v9, v15, v6
	s_delay_alu instid0(VALU_DEP_1) | instskip(NEXT) | instid1(VALU_DEP_1)
	v_fma_f32 v4, -v4, v9, v4
	v_div_fmas_f32 v4, v4, v6, v9
	s_delay_alu instid0(VALU_DEP_1)
	v_div_fixup_f32 v6, v4, v3, v3
	s_branch .LBB235_144
.LBB235_265:
	s_nop 0
	s_sendmsg sendmsg(MSG_DEALLOC_VGPRS)
	s_endpgm
	.section	.rodata,"a",@progbits
	.p2align	6, 0x0
	.amdhsa_kernel _ZN2at6native12_GLOBAL__N_125multi_tensor_apply_kernelINS1_18TensorListMetadataILi1EEENS1_14UnaryOpFunctorIN3c107complexIfEELi1ELi1ELi0EEEJNS0_4SqrtIS8_EEEEEvT_T0_DpT1_
		.amdhsa_group_segment_fixed_size 0
		.amdhsa_private_segment_fixed_size 0
		.amdhsa_kernarg_size 3632
		.amdhsa_user_sgpr_count 15
		.amdhsa_user_sgpr_dispatch_ptr 0
		.amdhsa_user_sgpr_queue_ptr 0
		.amdhsa_user_sgpr_kernarg_segment_ptr 1
		.amdhsa_user_sgpr_dispatch_id 0
		.amdhsa_user_sgpr_private_segment_size 0
		.amdhsa_wavefront_size32 1
		.amdhsa_uses_dynamic_stack 0
		.amdhsa_enable_private_segment 0
		.amdhsa_system_sgpr_workgroup_id_x 1
		.amdhsa_system_sgpr_workgroup_id_y 0
		.amdhsa_system_sgpr_workgroup_id_z 0
		.amdhsa_system_sgpr_workgroup_info 0
		.amdhsa_system_vgpr_workitem_id 0
		.amdhsa_next_free_vgpr 28
		.amdhsa_next_free_sgpr 29
		.amdhsa_reserve_vcc 1
		.amdhsa_float_round_mode_32 0
		.amdhsa_float_round_mode_16_64 0
		.amdhsa_float_denorm_mode_32 3
		.amdhsa_float_denorm_mode_16_64 3
		.amdhsa_dx10_clamp 1
		.amdhsa_ieee_mode 1
		.amdhsa_fp16_overflow 0
		.amdhsa_workgroup_processor_mode 1
		.amdhsa_memory_ordered 1
		.amdhsa_forward_progress 0
		.amdhsa_shared_vgpr_count 0
		.amdhsa_exception_fp_ieee_invalid_op 0
		.amdhsa_exception_fp_denorm_src 0
		.amdhsa_exception_fp_ieee_div_zero 0
		.amdhsa_exception_fp_ieee_overflow 0
		.amdhsa_exception_fp_ieee_underflow 0
		.amdhsa_exception_fp_ieee_inexact 0
		.amdhsa_exception_int_div_zero 0
	.end_amdhsa_kernel
	.section	.text._ZN2at6native12_GLOBAL__N_125multi_tensor_apply_kernelINS1_18TensorListMetadataILi1EEENS1_14UnaryOpFunctorIN3c107complexIfEELi1ELi1ELi0EEEJNS0_4SqrtIS8_EEEEEvT_T0_DpT1_,"axG",@progbits,_ZN2at6native12_GLOBAL__N_125multi_tensor_apply_kernelINS1_18TensorListMetadataILi1EEENS1_14UnaryOpFunctorIN3c107complexIfEELi1ELi1ELi0EEEJNS0_4SqrtIS8_EEEEEvT_T0_DpT1_,comdat
.Lfunc_end235:
	.size	_ZN2at6native12_GLOBAL__N_125multi_tensor_apply_kernelINS1_18TensorListMetadataILi1EEENS1_14UnaryOpFunctorIN3c107complexIfEELi1ELi1ELi0EEEJNS0_4SqrtIS8_EEEEEvT_T0_DpT1_, .Lfunc_end235-_ZN2at6native12_GLOBAL__N_125multi_tensor_apply_kernelINS1_18TensorListMetadataILi1EEENS1_14UnaryOpFunctorIN3c107complexIfEELi1ELi1ELi0EEEJNS0_4SqrtIS8_EEEEEvT_T0_DpT1_
                                        ; -- End function
	.section	.AMDGPU.csdata,"",@progbits
; Kernel info:
; codeLenInByte = 10792
; NumSgprs: 31
; NumVgprs: 28
; ScratchSize: 0
; MemoryBound: 1
; FloatMode: 240
; IeeeMode: 1
; LDSByteSize: 0 bytes/workgroup (compile time only)
; SGPRBlocks: 3
; VGPRBlocks: 3
; NumSGPRsForWavesPerEU: 31
; NumVGPRsForWavesPerEU: 28
; Occupancy: 16
; WaveLimiterHint : 0
; COMPUTE_PGM_RSRC2:SCRATCH_EN: 0
; COMPUTE_PGM_RSRC2:USER_SGPR: 15
; COMPUTE_PGM_RSRC2:TRAP_HANDLER: 0
; COMPUTE_PGM_RSRC2:TGID_X_EN: 1
; COMPUTE_PGM_RSRC2:TGID_Y_EN: 0
; COMPUTE_PGM_RSRC2:TGID_Z_EN: 0
; COMPUTE_PGM_RSRC2:TIDIG_COMP_CNT: 0
	.section	.text._ZN2at6native12_GLOBAL__N_125multi_tensor_apply_kernelINS1_18TensorListMetadataILi1EEENS1_14UnaryOpFunctorIN3c104HalfELi1ELi1ELi0EEEJNS0_4SqrtIfEEEEEvT_T0_DpT1_,"axG",@progbits,_ZN2at6native12_GLOBAL__N_125multi_tensor_apply_kernelINS1_18TensorListMetadataILi1EEENS1_14UnaryOpFunctorIN3c104HalfELi1ELi1ELi0EEEJNS0_4SqrtIfEEEEEvT_T0_DpT1_,comdat
	.globl	_ZN2at6native12_GLOBAL__N_125multi_tensor_apply_kernelINS1_18TensorListMetadataILi1EEENS1_14UnaryOpFunctorIN3c104HalfELi1ELi1ELi0EEEJNS0_4SqrtIfEEEEEvT_T0_DpT1_ ; -- Begin function _ZN2at6native12_GLOBAL__N_125multi_tensor_apply_kernelINS1_18TensorListMetadataILi1EEENS1_14UnaryOpFunctorIN3c104HalfELi1ELi1ELi0EEEJNS0_4SqrtIfEEEEEvT_T0_DpT1_
	.p2align	8
	.type	_ZN2at6native12_GLOBAL__N_125multi_tensor_apply_kernelINS1_18TensorListMetadataILi1EEENS1_14UnaryOpFunctorIN3c104HalfELi1ELi1ELi0EEEJNS0_4SqrtIfEEEEEvT_T0_DpT1_,@function
_ZN2at6native12_GLOBAL__N_125multi_tensor_apply_kernelINS1_18TensorListMetadataILi1EEENS1_14UnaryOpFunctorIN3c104HalfELi1ELi1ELi0EEEJNS0_4SqrtIfEEEEEvT_T0_DpT1_: ; @_ZN2at6native12_GLOBAL__N_125multi_tensor_apply_kernelINS1_18TensorListMetadataILi1EEENS1_14UnaryOpFunctorIN3c104HalfELi1ELi1ELi0EEEJNS0_4SqrtIfEEEEEvT_T0_DpT1_
; %bb.0:
	v_mov_b32_e32 v1, s15
	s_add_u32 s2, s0, s15
	s_mul_hi_u32 s3, s15, 3
	s_mul_i32 s15, s15, 3
	s_addc_u32 s4, s1, 0
	global_load_u8 v1, v1, s[0:1] offset:1760
	s_add_u32 s2, s2, s15
	s_addc_u32 s3, s4, s3
	s_mov_b32 s13, 0
	s_load_b32 s2, s[2:3], 0x820
	s_waitcnt vmcnt(0)
	v_readfirstlane_b32 s5, v1
	s_delay_alu instid0(VALU_DEP_1)
	s_lshl_b32 s3, s5, 3
	s_clause 0x1
	s_load_b64 s[8:9], s[0:1], s3 offset:0x0
	s_load_b64 s[4:5], s[0:1], s3 offset:0x370
	s_waitcnt lgkmcnt(0)
	s_ashr_i32 s3, s2, 31
	s_delay_alu instid0(SALU_CYCLE_1)
	s_lshl_b64 s[10:11], s[2:3], 17
	s_lshl_b64 s[2:3], s[2:3], 16
	s_and_b32 s12, s8, 7
	s_sub_u32 s6, s4, s2
	s_subb_u32 s7, s5, s3
	s_and_b32 s2, s4, 3
	s_mov_b32 s3, s13
	s_delay_alu instid0(SALU_CYCLE_1) | instskip(NEXT) | instid1(SALU_CYCLE_1)
	s_or_b64 s[2:3], s[12:13], s[2:3]
	s_cmp_eq_u64 s[2:3], 0
	s_cbranch_scc1 .LBB236_21
; %bb.1:
	v_cmp_lt_i64_e64 s2, s[6:7], 1
	s_delay_alu instid0(VALU_DEP_1)
	s_and_b32 vcc_lo, exec_lo, s2
	s_cbranch_vccnz .LBB236_20
; %bb.2:
	s_load_b32 s2, s[0:1], 0xd3c
	v_cmp_gt_u64_e64 s3, 0x10000, s[6:7]
	v_lshlrev_b32_e32 v1, 1, v0
	s_waitcnt lgkmcnt(0)
	s_and_b32 s2, s2, 0xffff
	s_delay_alu instid0(VALU_DEP_2)
	s_and_b32 s3, s3, exec_lo
	v_add_co_u32 v5, s5, v0, s2
	s_cselect_b32 s13, s7, 0
	s_cselect_b32 s12, s6, 0x10000
	s_lshl_b32 s3, s2, 1
	s_lshl_b32 s16, s2, 2
	v_lshlrev_b32_e32 v3, 1, v5
	v_add_co_ci_u32_e64 v6, null, 0, 0, s5
	s_add_u32 s5, s8, s10
	v_add_co_u32 v9, s3, s3, v0
	s_mul_i32 s4, s2, 3
	s_addc_u32 s14, s9, s11
	v_add_co_ci_u32_e64 v10, null, 0, 0, s3
	v_add_co_u32 v1, s3, s5, v1
	v_add_co_u32 v7, s4, s4, v0
	v_add_co_ci_u32_e64 v2, null, s14, 0, s3
	v_add_co_u32 v3, s3, s5, v3
	v_add_co_ci_u32_e64 v8, null, 0, 0, s4
	v_add_co_ci_u32_e64 v4, null, s14, 0, s3
	s_lshl_b32 s17, s2, 3
	s_mul_i32 s18, s2, 6
	s_mov_b64 s[14:15], 0
	s_branch .LBB236_4
.LBB236_3:                              ;   in Loop: Header=BB236_4 Depth=1
	s_or_b32 exec_lo, exec_lo, s2
	s_add_u32 s14, s14, s16
	s_addc_u32 s15, s15, 0
	v_add_co_u32 v1, vcc_lo, v1, s17
	v_cmp_lt_i64_e64 s2, s[14:15], s[6:7]
	v_cmp_gt_u64_e64 s3, 0x10000, s[14:15]
	v_add_co_ci_u32_e32 v2, vcc_lo, 0, v2, vcc_lo
	v_add_co_u32 v3, vcc_lo, v3, s17
	v_add_co_ci_u32_e32 v4, vcc_lo, 0, v4, vcc_lo
	s_delay_alu instid0(VALU_DEP_4) | instskip(NEXT) | instid1(SALU_CYCLE_1)
	s_and_b32 s2, s2, s3
	s_and_b32 vcc_lo, exec_lo, s2
	s_cbranch_vccz .LBB236_20
.LBB236_4:                              ; =>This Inner Loop Header: Depth=1
	s_waitcnt vmcnt(0)
	v_add_co_u32 v11, s2, v0, s14
	s_delay_alu instid0(VALU_DEP_1) | instskip(SKIP_1) | instid1(VALU_DEP_2)
	v_add_co_ci_u32_e64 v12, null, 0, s15, s2
	v_mov_b32_e32 v14, 0
	v_cmp_gt_u64_e64 s4, s[12:13], v[11:12]
	s_delay_alu instid0(VALU_DEP_1)
	s_and_saveexec_b32 s2, s4
	s_cbranch_execz .LBB236_6
; %bb.5:                                ;   in Loop: Header=BB236_4 Depth=1
	global_load_u16 v14, v[1:2], off
.LBB236_6:                              ;   in Loop: Header=BB236_4 Depth=1
	s_or_b32 exec_lo, exec_lo, s2
	v_add_co_u32 v11, vcc_lo, v5, s14
	v_add_co_ci_u32_e32 v12, vcc_lo, s15, v6, vcc_lo
	v_mov_b32_e32 v13, 0
	s_delay_alu instid0(VALU_DEP_2) | instskip(NEXT) | instid1(VALU_DEP_1)
	v_cmp_gt_u64_e64 s3, s[12:13], v[11:12]
	s_and_saveexec_b32 s2, s3
	s_cbranch_execz .LBB236_8
; %bb.7:                                ;   in Loop: Header=BB236_4 Depth=1
	global_load_u16 v13, v[3:4], off
.LBB236_8:                              ;   in Loop: Header=BB236_4 Depth=1
	s_or_b32 exec_lo, exec_lo, s2
	v_add_co_u32 v11, vcc_lo, v9, s14
	v_add_co_ci_u32_e32 v12, vcc_lo, s15, v10, vcc_lo
	s_delay_alu instid0(VALU_DEP_1) | instskip(SKIP_1) | instid1(VALU_DEP_2)
	v_cmp_gt_u64_e64 s2, s[12:13], v[11:12]
	v_dual_mov_b32 v11, 0 :: v_dual_mov_b32 v12, 0
	s_and_saveexec_b32 s5, s2
	s_cbranch_execz .LBB236_10
; %bb.9:                                ;   in Loop: Header=BB236_4 Depth=1
	v_add_co_u32 v15, vcc_lo, v1, s16
	v_add_co_ci_u32_e32 v16, vcc_lo, 0, v2, vcc_lo
	global_load_u16 v12, v[15:16], off
.LBB236_10:                             ;   in Loop: Header=BB236_4 Depth=1
	s_or_b32 exec_lo, exec_lo, s5
	v_add_co_u32 v15, vcc_lo, v7, s14
	v_add_co_ci_u32_e32 v16, vcc_lo, s15, v8, vcc_lo
	s_delay_alu instid0(VALU_DEP_1)
	v_cmp_gt_u64_e32 vcc_lo, s[12:13], v[15:16]
	s_and_saveexec_b32 s19, vcc_lo
	s_cbranch_execnz .LBB236_15
; %bb.11:                               ;   in Loop: Header=BB236_4 Depth=1
	s_or_b32 exec_lo, exec_lo, s19
	s_and_saveexec_b32 s5, s4
	s_cbranch_execnz .LBB236_16
.LBB236_12:                             ;   in Loop: Header=BB236_4 Depth=1
	s_or_b32 exec_lo, exec_lo, s5
	s_and_saveexec_b32 s4, s3
	s_cbranch_execnz .LBB236_17
.LBB236_13:                             ;   in Loop: Header=BB236_4 Depth=1
	s_or_b32 exec_lo, exec_lo, s4
	s_and_saveexec_b32 s3, s2
	s_cbranch_execnz .LBB236_18
.LBB236_14:                             ;   in Loop: Header=BB236_4 Depth=1
	s_or_b32 exec_lo, exec_lo, s3
	s_and_saveexec_b32 s2, vcc_lo
	s_cbranch_execz .LBB236_3
	s_branch .LBB236_19
.LBB236_15:                             ;   in Loop: Header=BB236_4 Depth=1
	v_add_co_u32 v15, s5, v1, s18
	s_delay_alu instid0(VALU_DEP_1)
	v_add_co_ci_u32_e64 v16, s5, 0, v2, s5
	global_load_u16 v11, v[15:16], off
	s_or_b32 exec_lo, exec_lo, s19
	s_and_saveexec_b32 s5, s4
	s_cbranch_execz .LBB236_12
.LBB236_16:                             ;   in Loop: Header=BB236_4 Depth=1
	s_waitcnt vmcnt(0)
	v_cvt_f32_f16_e32 v14, v14
	s_delay_alu instid0(VALU_DEP_1) | instskip(SKIP_1) | instid1(VALU_DEP_1)
	v_mul_f32_e32 v15, 0x4f800000, v14
	v_cmp_gt_f32_e64 s4, 0xf800000, v14
	v_cndmask_b32_e64 v14, v14, v15, s4
	s_delay_alu instid0(VALU_DEP_1) | instskip(SKIP_3) | instid1(VALU_DEP_1)
	v_rsq_f32_e32 v15, v14
	s_waitcnt_depctr 0xfff
	v_mul_f32_e32 v16, v14, v15
	v_mul_f32_e32 v15, 0.5, v15
	v_fma_f32 v17, -v15, v16, 0.5
	s_delay_alu instid0(VALU_DEP_1) | instskip(SKIP_1) | instid1(VALU_DEP_1)
	v_fmac_f32_e32 v15, v15, v17
	v_fmac_f32_e32 v16, v16, v17
	v_fma_f32 v18, -v16, v16, v14
	s_delay_alu instid0(VALU_DEP_1) | instskip(NEXT) | instid1(VALU_DEP_1)
	v_fmac_f32_e32 v16, v18, v15
	v_mul_f32_e32 v15, 0x37800000, v16
	s_delay_alu instid0(VALU_DEP_1) | instskip(SKIP_1) | instid1(VALU_DEP_1)
	v_cndmask_b32_e64 v15, v16, v15, s4
	v_cmp_class_f32_e64 s4, v14, 0x260
	v_cndmask_b32_e64 v14, v15, v14, s4
	s_delay_alu instid0(VALU_DEP_1)
	v_cvt_f16_f32_e32 v14, v14
	global_store_b16 v[1:2], v14, off
	s_or_b32 exec_lo, exec_lo, s5
	s_and_saveexec_b32 s4, s3
	s_cbranch_execz .LBB236_13
.LBB236_17:                             ;   in Loop: Header=BB236_4 Depth=1
	s_waitcnt vmcnt(0)
	v_cvt_f32_f16_e32 v13, v13
	s_delay_alu instid0(VALU_DEP_1) | instskip(SKIP_1) | instid1(VALU_DEP_1)
	v_mul_f32_e32 v14, 0x4f800000, v13
	v_cmp_gt_f32_e64 s3, 0xf800000, v13
	v_cndmask_b32_e64 v13, v13, v14, s3
	s_delay_alu instid0(VALU_DEP_1) | instskip(SKIP_3) | instid1(VALU_DEP_1)
	v_rsq_f32_e32 v14, v13
	s_waitcnt_depctr 0xfff
	v_mul_f32_e32 v15, v13, v14
	v_mul_f32_e32 v14, 0.5, v14
	v_fma_f32 v16, -v14, v15, 0.5
	s_delay_alu instid0(VALU_DEP_1) | instskip(SKIP_1) | instid1(VALU_DEP_1)
	v_fmac_f32_e32 v14, v14, v16
	v_fmac_f32_e32 v15, v15, v16
	v_fma_f32 v17, -v15, v15, v13
	s_delay_alu instid0(VALU_DEP_1) | instskip(NEXT) | instid1(VALU_DEP_1)
	v_fmac_f32_e32 v15, v17, v14
	v_mul_f32_e32 v14, 0x37800000, v15
	s_delay_alu instid0(VALU_DEP_1) | instskip(SKIP_1) | instid1(VALU_DEP_1)
	v_cndmask_b32_e64 v14, v15, v14, s3
	v_cmp_class_f32_e64 s3, v13, 0x260
	v_cndmask_b32_e64 v13, v14, v13, s3
	s_delay_alu instid0(VALU_DEP_1)
	v_cvt_f16_f32_e32 v13, v13
	global_store_b16 v[3:4], v13, off
	s_or_b32 exec_lo, exec_lo, s4
	s_and_saveexec_b32 s3, s2
	s_cbranch_execz .LBB236_14
.LBB236_18:                             ;   in Loop: Header=BB236_4 Depth=1
	s_waitcnt vmcnt(0)
	v_cvt_f32_f16_e32 v12, v12
	s_delay_alu instid0(VALU_DEP_1) | instskip(SKIP_1) | instid1(VALU_DEP_1)
	v_mul_f32_e32 v13, 0x4f800000, v12
	v_cmp_gt_f32_e64 s2, 0xf800000, v12
	v_cndmask_b32_e64 v12, v12, v13, s2
	s_delay_alu instid0(VALU_DEP_1) | instskip(SKIP_3) | instid1(VALU_DEP_1)
	v_rsq_f32_e32 v13, v12
	s_waitcnt_depctr 0xfff
	v_mul_f32_e32 v14, v12, v13
	v_mul_f32_e32 v13, 0.5, v13
	v_fma_f32 v15, -v13, v14, 0.5
	s_delay_alu instid0(VALU_DEP_1) | instskip(SKIP_1) | instid1(VALU_DEP_1)
	v_fmac_f32_e32 v13, v13, v15
	v_fmac_f32_e32 v14, v14, v15
	v_fma_f32 v15, -v14, v14, v12
	s_delay_alu instid0(VALU_DEP_1) | instskip(NEXT) | instid1(VALU_DEP_1)
	v_fmac_f32_e32 v14, v15, v13
	v_mul_f32_e32 v13, 0x37800000, v14
	s_delay_alu instid0(VALU_DEP_1) | instskip(SKIP_1) | instid1(VALU_DEP_1)
	v_cndmask_b32_e64 v13, v14, v13, s2
	v_cmp_class_f32_e64 s2, v12, 0x260
	v_cndmask_b32_e64 v12, v13, v12, s2
	s_delay_alu instid0(VALU_DEP_1) | instskip(SKIP_1) | instid1(VALU_DEP_1)
	v_cvt_f16_f32_e32 v14, v12
	v_add_co_u32 v12, s2, v1, s16
	v_add_co_ci_u32_e64 v13, s2, 0, v2, s2
	global_store_b16 v[12:13], v14, off
	s_or_b32 exec_lo, exec_lo, s3
	s_and_saveexec_b32 s2, vcc_lo
	s_cbranch_execz .LBB236_3
.LBB236_19:                             ;   in Loop: Header=BB236_4 Depth=1
	s_waitcnt vmcnt(0)
	v_cvt_f32_f16_e32 v11, v11
	s_delay_alu instid0(VALU_DEP_1) | instskip(SKIP_1) | instid1(VALU_DEP_2)
	v_mul_f32_e32 v12, 0x4f800000, v11
	v_cmp_gt_f32_e32 vcc_lo, 0xf800000, v11
	v_cndmask_b32_e32 v11, v11, v12, vcc_lo
	s_delay_alu instid0(VALU_DEP_1) | instskip(SKIP_3) | instid1(VALU_DEP_1)
	v_rsq_f32_e32 v12, v11
	s_waitcnt_depctr 0xfff
	v_mul_f32_e32 v13, v11, v12
	v_mul_f32_e32 v12, 0.5, v12
	v_fma_f32 v14, -v12, v13, 0.5
	s_delay_alu instid0(VALU_DEP_1) | instskip(SKIP_1) | instid1(VALU_DEP_1)
	v_fmac_f32_e32 v12, v12, v14
	v_fmac_f32_e32 v13, v13, v14
	v_fma_f32 v14, -v13, v13, v11
	s_delay_alu instid0(VALU_DEP_1) | instskip(NEXT) | instid1(VALU_DEP_1)
	v_fmac_f32_e32 v13, v14, v12
	v_mul_f32_e32 v12, 0x37800000, v13
	s_delay_alu instid0(VALU_DEP_1) | instskip(SKIP_1) | instid1(VALU_DEP_2)
	v_cndmask_b32_e32 v12, v13, v12, vcc_lo
	v_cmp_class_f32_e64 vcc_lo, v11, 0x260
	v_cndmask_b32_e32 v11, v12, v11, vcc_lo
	s_delay_alu instid0(VALU_DEP_1)
	v_cvt_f16_f32_e32 v13, v11
	v_add_co_u32 v11, vcc_lo, v1, s18
	v_add_co_ci_u32_e32 v12, vcc_lo, 0, v2, vcc_lo
	global_store_b16 v[11:12], v13, off
	s_branch .LBB236_3
.LBB236_20:
	s_cbranch_execz .LBB236_22
	s_branch .LBB236_25
.LBB236_21:
.LBB236_22:
	v_dual_mov_b32 v2, 0 :: v_dual_lshlrev_b32 v1, 2, v0
	s_mov_b32 s3, 0
	s_mov_b32 s2, exec_lo
	s_delay_alu instid0(VALU_DEP_1)
	v_cmpx_gt_i64_e64 s[6:7], v[1:2]
	s_cbranch_execz .LBB236_25
; %bb.23:
	s_load_b32 s0, s[0:1], 0xd3c
	v_lshlrev_b32_e32 v1, 3, v0
	s_waitcnt lgkmcnt(0)
	s_and_b32 s0, s0, 0xffff
	s_delay_alu instid0(SALU_CYCLE_1) | instskip(SKIP_3) | instid1(VALU_DEP_1)
	s_lshl_b32 s4, s0, 2
	s_add_u32 s1, s8, s10
	s_addc_u32 s2, s9, s11
	v_add_co_u32 v3, s1, s1, v1
	v_add_co_ci_u32_e64 v4, null, s2, 0, s1
	v_add_lshl_u32 v1, v0, s0, 2
	s_delay_alu instid0(VALU_DEP_3) | instskip(NEXT) | instid1(VALU_DEP_3)
	v_add_co_u32 v3, vcc_lo, v3, 4
	v_add_co_ci_u32_e32 v4, vcc_lo, 0, v4, vcc_lo
	s_lshl_b32 s5, s0, 3
.LBB236_24:                             ; =>This Inner Loop Header: Depth=1
	global_load_b64 v[5:6], v[3:4], off offset:-4
	s_waitcnt vmcnt(0)
	v_cvt_f32_f16_e32 v0, v5
	v_cvt_f32_f16_e32 v7, v6
	v_lshrrev_b32_e32 v6, 16, v6
	v_lshrrev_b32_e32 v5, 16, v5
	s_delay_alu instid0(VALU_DEP_3) | instskip(NEXT) | instid1(VALU_DEP_3)
	v_dual_mul_f32 v8, 0x4f800000, v0 :: v_dual_mul_f32 v9, 0x4f800000, v7
	v_cvt_f32_f16_e32 v6, v6
	v_cmp_gt_f32_e32 vcc_lo, 0xf800000, v0
	v_cmp_gt_f32_e64 s0, 0xf800000, v7
	v_cvt_f32_f16_e32 v5, v5
	s_delay_alu instid0(VALU_DEP_4) | instskip(SKIP_1) | instid1(VALU_DEP_4)
	v_cmp_gt_f32_e64 s2, 0xf800000, v6
	v_cndmask_b32_e32 v0, v0, v8, vcc_lo
	v_cndmask_b32_e64 v7, v7, v9, s0
	v_mul_f32_e32 v9, 0x4f800000, v6
	v_cmp_gt_f32_e64 s1, 0xf800000, v5
	s_delay_alu instid0(VALU_DEP_4) | instskip(NEXT) | instid1(VALU_DEP_2)
	v_rsq_f32_e32 v10, v0
	v_cndmask_b32_e64 v6, v6, v9, s2
	s_delay_alu instid0(VALU_DEP_1)
	v_rsq_f32_e32 v11, v6
	v_mul_f32_e32 v8, 0x4f800000, v5
	s_waitcnt_depctr 0xfff
	v_mul_f32_e32 v16, v6, v11
	v_mul_f32_e32 v11, 0.5, v11
	v_cndmask_b32_e64 v5, v5, v8, s1
	v_rsq_f32_e32 v8, v7
	v_mul_f32_e32 v12, v0, v10
	s_delay_alu instid0(VALU_DEP_2) | instskip(SKIP_4) | instid1(VALU_DEP_3)
	v_rsq_f32_e32 v9, v5
	s_waitcnt_depctr 0xfff
	v_dual_mul_f32 v10, 0.5, v10 :: v_dual_mul_f32 v13, v7, v8
	v_dual_mul_f32 v8, 0.5, v8 :: v_dual_mul_f32 v15, v5, v9
	v_mul_f32_e32 v9, 0.5, v9
	v_fma_f32 v14, -v10, v12, 0.5
	s_delay_alu instid0(VALU_DEP_3) | instskip(NEXT) | instid1(VALU_DEP_1)
	v_fma_f32 v17, -v8, v13, 0.5
	v_dual_fmac_f32 v10, v10, v14 :: v_dual_fmac_f32 v13, v13, v17
	v_fmac_f32_e32 v8, v8, v17
	v_fmac_f32_e32 v12, v12, v14
	v_fma_f32 v14, -v9, v15, 0.5
	v_fma_f32 v18, -v11, v16, 0.5
	s_delay_alu instid0(VALU_DEP_2) | instskip(SKIP_2) | instid1(VALU_DEP_1)
	v_fmac_f32_e32 v15, v15, v14
	v_fmac_f32_e32 v9, v9, v14
	v_fma_f32 v14, -v13, v13, v7
	v_fmac_f32_e32 v13, v14, v8
	v_fma_f32 v17, -v12, v12, v0
	v_fmac_f32_e32 v16, v16, v18
	s_delay_alu instid0(VALU_DEP_2) | instskip(SKIP_1) | instid1(VALU_DEP_2)
	v_fmac_f32_e32 v12, v17, v10
	v_fma_f32 v17, -v15, v15, v5
	v_dual_mul_f32 v8, 0x37800000, v12 :: v_dual_fmac_f32 v11, v11, v18
	s_delay_alu instid0(VALU_DEP_2) | instskip(SKIP_2) | instid1(VALU_DEP_4)
	v_fmac_f32_e32 v15, v17, v9
	v_mul_f32_e32 v9, 0x37800000, v13
	v_fma_f32 v10, -v16, v16, v6
	v_cndmask_b32_e32 v8, v12, v8, vcc_lo
	v_cmp_class_f32_e64 vcc_lo, v0, 0x260
	s_delay_alu instid0(VALU_DEP_4) | instskip(NEXT) | instid1(VALU_DEP_4)
	v_cndmask_b32_e64 v9, v13, v9, s0
	v_fmac_f32_e32 v16, v10, v11
	s_delay_alu instid0(VALU_DEP_4) | instskip(SKIP_2) | instid1(VALU_DEP_4)
	v_dual_mul_f32 v11, 0x37800000, v15 :: v_dual_cndmask_b32 v0, v8, v0
	v_cmp_class_f32_e64 vcc_lo, v7, 0x260
	v_cmp_lt_u64_e64 s0, 0xffff, v[1:2]
	v_dual_mul_f32 v10, 0x37800000, v16 :: v_dual_cndmask_b32 v7, v9, v7
	v_cmp_class_f32_e64 vcc_lo, v6, 0x260
	s_delay_alu instid0(VALU_DEP_2) | instskip(SKIP_1) | instid1(VALU_DEP_4)
	v_cndmask_b32_e64 v8, v16, v10, s2
	v_cndmask_b32_e64 v10, v15, v11, s1
	v_cvt_f16_f32_e32 v7, v7
	s_delay_alu instid0(VALU_DEP_3) | instskip(SKIP_1) | instid1(VALU_DEP_2)
	v_cndmask_b32_e32 v6, v8, v6, vcc_lo
	v_cmp_class_f32_e64 vcc_lo, v5, 0x260
	v_cvt_f16_f32_e32 v6, v6
	v_cndmask_b32_e32 v5, v10, v5, vcc_lo
	v_cvt_f16_f32_e32 v0, v0
	v_cmp_le_i64_e32 vcc_lo, s[6:7], v[1:2]
	v_add_co_u32 v1, s1, v1, s4
	s_delay_alu instid0(VALU_DEP_4) | instskip(SKIP_3) | instid1(VALU_DEP_3)
	v_cvt_f16_f32_e32 v5, v5
	v_pack_b32_f16 v6, v7, v6
	v_add_co_ci_u32_e64 v2, s1, 0, v2, s1
	s_or_b32 s0, vcc_lo, s0
	v_pack_b32_f16 v5, v0, v5
	s_and_b32 s0, exec_lo, s0
	s_delay_alu instid0(SALU_CYCLE_1)
	s_or_b32 s3, s0, s3
	global_store_b64 v[3:4], v[5:6], off offset:-4
	v_add_co_u32 v3, vcc_lo, v3, s5
	v_add_co_ci_u32_e32 v4, vcc_lo, 0, v4, vcc_lo
	s_and_not1_b32 exec_lo, exec_lo, s3
	s_cbranch_execnz .LBB236_24
.LBB236_25:
	s_nop 0
	s_sendmsg sendmsg(MSG_DEALLOC_VGPRS)
	s_endpgm
	.section	.rodata,"a",@progbits
	.p2align	6, 0x0
	.amdhsa_kernel _ZN2at6native12_GLOBAL__N_125multi_tensor_apply_kernelINS1_18TensorListMetadataILi1EEENS1_14UnaryOpFunctorIN3c104HalfELi1ELi1ELi0EEEJNS0_4SqrtIfEEEEEvT_T0_DpT1_
		.amdhsa_group_segment_fixed_size 0
		.amdhsa_private_segment_fixed_size 0
		.amdhsa_kernarg_size 3632
		.amdhsa_user_sgpr_count 15
		.amdhsa_user_sgpr_dispatch_ptr 0
		.amdhsa_user_sgpr_queue_ptr 0
		.amdhsa_user_sgpr_kernarg_segment_ptr 1
		.amdhsa_user_sgpr_dispatch_id 0
		.amdhsa_user_sgpr_private_segment_size 0
		.amdhsa_wavefront_size32 1
		.amdhsa_uses_dynamic_stack 0
		.amdhsa_enable_private_segment 0
		.amdhsa_system_sgpr_workgroup_id_x 1
		.amdhsa_system_sgpr_workgroup_id_y 0
		.amdhsa_system_sgpr_workgroup_id_z 0
		.amdhsa_system_sgpr_workgroup_info 0
		.amdhsa_system_vgpr_workitem_id 0
		.amdhsa_next_free_vgpr 19
		.amdhsa_next_free_sgpr 20
		.amdhsa_reserve_vcc 1
		.amdhsa_float_round_mode_32 0
		.amdhsa_float_round_mode_16_64 0
		.amdhsa_float_denorm_mode_32 3
		.amdhsa_float_denorm_mode_16_64 3
		.amdhsa_dx10_clamp 1
		.amdhsa_ieee_mode 1
		.amdhsa_fp16_overflow 0
		.amdhsa_workgroup_processor_mode 1
		.amdhsa_memory_ordered 1
		.amdhsa_forward_progress 0
		.amdhsa_shared_vgpr_count 0
		.amdhsa_exception_fp_ieee_invalid_op 0
		.amdhsa_exception_fp_denorm_src 0
		.amdhsa_exception_fp_ieee_div_zero 0
		.amdhsa_exception_fp_ieee_overflow 0
		.amdhsa_exception_fp_ieee_underflow 0
		.amdhsa_exception_fp_ieee_inexact 0
		.amdhsa_exception_int_div_zero 0
	.end_amdhsa_kernel
	.section	.text._ZN2at6native12_GLOBAL__N_125multi_tensor_apply_kernelINS1_18TensorListMetadataILi1EEENS1_14UnaryOpFunctorIN3c104HalfELi1ELi1ELi0EEEJNS0_4SqrtIfEEEEEvT_T0_DpT1_,"axG",@progbits,_ZN2at6native12_GLOBAL__N_125multi_tensor_apply_kernelINS1_18TensorListMetadataILi1EEENS1_14UnaryOpFunctorIN3c104HalfELi1ELi1ELi0EEEJNS0_4SqrtIfEEEEEvT_T0_DpT1_,comdat
.Lfunc_end236:
	.size	_ZN2at6native12_GLOBAL__N_125multi_tensor_apply_kernelINS1_18TensorListMetadataILi1EEENS1_14UnaryOpFunctorIN3c104HalfELi1ELi1ELi0EEEJNS0_4SqrtIfEEEEEvT_T0_DpT1_, .Lfunc_end236-_ZN2at6native12_GLOBAL__N_125multi_tensor_apply_kernelINS1_18TensorListMetadataILi1EEENS1_14UnaryOpFunctorIN3c104HalfELi1ELi1ELi0EEEJNS0_4SqrtIfEEEEEvT_T0_DpT1_
                                        ; -- End function
	.section	.AMDGPU.csdata,"",@progbits
; Kernel info:
; codeLenInByte = 2088
; NumSgprs: 22
; NumVgprs: 19
; ScratchSize: 0
; MemoryBound: 0
; FloatMode: 240
; IeeeMode: 1
; LDSByteSize: 0 bytes/workgroup (compile time only)
; SGPRBlocks: 2
; VGPRBlocks: 2
; NumSGPRsForWavesPerEU: 22
; NumVGPRsForWavesPerEU: 19
; Occupancy: 16
; WaveLimiterHint : 0
; COMPUTE_PGM_RSRC2:SCRATCH_EN: 0
; COMPUTE_PGM_RSRC2:USER_SGPR: 15
; COMPUTE_PGM_RSRC2:TRAP_HANDLER: 0
; COMPUTE_PGM_RSRC2:TGID_X_EN: 1
; COMPUTE_PGM_RSRC2:TGID_Y_EN: 0
; COMPUTE_PGM_RSRC2:TGID_Z_EN: 0
; COMPUTE_PGM_RSRC2:TIDIG_COMP_CNT: 0
	.section	.text._ZN2at6native12_GLOBAL__N_125multi_tensor_apply_kernelINS1_18TensorListMetadataILi1EEENS1_14UnaryOpFunctorIN3c108BFloat16ELi1ELi1ELi0EEEJNS0_4SqrtIfEEEEEvT_T0_DpT1_,"axG",@progbits,_ZN2at6native12_GLOBAL__N_125multi_tensor_apply_kernelINS1_18TensorListMetadataILi1EEENS1_14UnaryOpFunctorIN3c108BFloat16ELi1ELi1ELi0EEEJNS0_4SqrtIfEEEEEvT_T0_DpT1_,comdat
	.globl	_ZN2at6native12_GLOBAL__N_125multi_tensor_apply_kernelINS1_18TensorListMetadataILi1EEENS1_14UnaryOpFunctorIN3c108BFloat16ELi1ELi1ELi0EEEJNS0_4SqrtIfEEEEEvT_T0_DpT1_ ; -- Begin function _ZN2at6native12_GLOBAL__N_125multi_tensor_apply_kernelINS1_18TensorListMetadataILi1EEENS1_14UnaryOpFunctorIN3c108BFloat16ELi1ELi1ELi0EEEJNS0_4SqrtIfEEEEEvT_T0_DpT1_
	.p2align	8
	.type	_ZN2at6native12_GLOBAL__N_125multi_tensor_apply_kernelINS1_18TensorListMetadataILi1EEENS1_14UnaryOpFunctorIN3c108BFloat16ELi1ELi1ELi0EEEJNS0_4SqrtIfEEEEEvT_T0_DpT1_,@function
_ZN2at6native12_GLOBAL__N_125multi_tensor_apply_kernelINS1_18TensorListMetadataILi1EEENS1_14UnaryOpFunctorIN3c108BFloat16ELi1ELi1ELi0EEEJNS0_4SqrtIfEEEEEvT_T0_DpT1_: ; @_ZN2at6native12_GLOBAL__N_125multi_tensor_apply_kernelINS1_18TensorListMetadataILi1EEENS1_14UnaryOpFunctorIN3c108BFloat16ELi1ELi1ELi0EEEJNS0_4SqrtIfEEEEEvT_T0_DpT1_
; %bb.0:
	v_mov_b32_e32 v1, s15
	s_add_u32 s2, s0, s15
	s_mul_hi_u32 s3, s15, 3
	s_mul_i32 s15, s15, 3
	s_addc_u32 s4, s1, 0
	global_load_u8 v1, v1, s[0:1] offset:1760
	s_add_u32 s2, s2, s15
	s_addc_u32 s3, s4, s3
	s_mov_b32 s13, 0
	s_load_b32 s2, s[2:3], 0x820
	s_waitcnt vmcnt(0)
	v_readfirstlane_b32 s5, v1
	s_delay_alu instid0(VALU_DEP_1)
	s_lshl_b32 s3, s5, 3
	s_clause 0x1
	s_load_b64 s[8:9], s[0:1], s3 offset:0x0
	s_load_b64 s[4:5], s[0:1], s3 offset:0x370
	s_waitcnt lgkmcnt(0)
	s_ashr_i32 s3, s2, 31
	s_delay_alu instid0(SALU_CYCLE_1)
	s_lshl_b64 s[10:11], s[2:3], 17
	s_lshl_b64 s[2:3], s[2:3], 16
	s_and_b32 s12, s8, 7
	s_sub_u32 s6, s4, s2
	s_subb_u32 s7, s5, s3
	s_and_b32 s2, s4, 3
	s_mov_b32 s3, s13
	s_delay_alu instid0(SALU_CYCLE_1) | instskip(NEXT) | instid1(SALU_CYCLE_1)
	s_or_b64 s[2:3], s[12:13], s[2:3]
	s_cmp_eq_u64 s[2:3], 0
	s_cbranch_scc1 .LBB237_21
; %bb.1:
	v_cmp_lt_i64_e64 s2, s[6:7], 1
	s_delay_alu instid0(VALU_DEP_1)
	s_and_b32 vcc_lo, exec_lo, s2
	s_cbranch_vccnz .LBB237_20
; %bb.2:
	s_load_b32 s2, s[0:1], 0xd3c
	v_cmp_gt_u64_e64 s3, 0x10000, s[6:7]
	v_lshlrev_b32_e32 v1, 1, v0
	s_waitcnt lgkmcnt(0)
	s_and_b32 s2, s2, 0xffff
	s_delay_alu instid0(VALU_DEP_2)
	s_and_b32 s3, s3, exec_lo
	v_add_co_u32 v5, s5, v0, s2
	s_cselect_b32 s13, s7, 0
	s_cselect_b32 s12, s6, 0x10000
	s_lshl_b32 s3, s2, 1
	s_lshl_b32 s16, s2, 2
	v_lshlrev_b32_e32 v3, 1, v5
	v_add_co_ci_u32_e64 v6, null, 0, 0, s5
	s_add_u32 s5, s8, s10
	v_add_co_u32 v9, s3, s3, v0
	s_mul_i32 s4, s2, 3
	s_addc_u32 s14, s9, s11
	v_add_co_ci_u32_e64 v10, null, 0, 0, s3
	v_add_co_u32 v1, s3, s5, v1
	v_add_co_u32 v7, s4, s4, v0
	v_add_co_ci_u32_e64 v2, null, s14, 0, s3
	v_add_co_u32 v3, s3, s5, v3
	v_add_co_ci_u32_e64 v8, null, 0, 0, s4
	v_add_co_ci_u32_e64 v4, null, s14, 0, s3
	s_lshl_b32 s17, s2, 3
	s_mul_i32 s18, s2, 6
	s_mov_b64 s[14:15], 0
	s_branch .LBB237_4
.LBB237_3:                              ;   in Loop: Header=BB237_4 Depth=1
	s_or_b32 exec_lo, exec_lo, s3
	s_add_u32 s14, s14, s16
	s_addc_u32 s15, s15, 0
	v_add_co_u32 v1, vcc_lo, v1, s17
	v_cmp_lt_i64_e64 s2, s[14:15], s[6:7]
	v_cmp_gt_u64_e64 s3, 0x10000, s[14:15]
	v_add_co_ci_u32_e32 v2, vcc_lo, 0, v2, vcc_lo
	v_add_co_u32 v3, vcc_lo, v3, s17
	v_add_co_ci_u32_e32 v4, vcc_lo, 0, v4, vcc_lo
	s_delay_alu instid0(VALU_DEP_4) | instskip(NEXT) | instid1(SALU_CYCLE_1)
	s_and_b32 s2, s2, s3
	s_and_b32 vcc_lo, exec_lo, s2
	s_cbranch_vccz .LBB237_20
.LBB237_4:                              ; =>This Inner Loop Header: Depth=1
	s_waitcnt vmcnt(0)
	v_add_co_u32 v11, s2, v0, s14
	s_delay_alu instid0(VALU_DEP_1) | instskip(SKIP_1) | instid1(VALU_DEP_2)
	v_add_co_ci_u32_e64 v12, null, 0, s15, s2
	v_mov_b32_e32 v14, 0
	v_cmp_gt_u64_e64 s4, s[12:13], v[11:12]
	s_delay_alu instid0(VALU_DEP_1)
	s_and_saveexec_b32 s2, s4
	s_cbranch_execz .LBB237_6
; %bb.5:                                ;   in Loop: Header=BB237_4 Depth=1
	global_load_u16 v14, v[1:2], off
.LBB237_6:                              ;   in Loop: Header=BB237_4 Depth=1
	s_or_b32 exec_lo, exec_lo, s2
	v_add_co_u32 v11, vcc_lo, v5, s14
	v_add_co_ci_u32_e32 v12, vcc_lo, s15, v6, vcc_lo
	v_mov_b32_e32 v13, 0
	s_delay_alu instid0(VALU_DEP_2) | instskip(NEXT) | instid1(VALU_DEP_1)
	v_cmp_gt_u64_e64 s3, s[12:13], v[11:12]
	s_and_saveexec_b32 s2, s3
	s_cbranch_execz .LBB237_8
; %bb.7:                                ;   in Loop: Header=BB237_4 Depth=1
	global_load_u16 v13, v[3:4], off
.LBB237_8:                              ;   in Loop: Header=BB237_4 Depth=1
	s_or_b32 exec_lo, exec_lo, s2
	v_add_co_u32 v11, vcc_lo, v9, s14
	v_add_co_ci_u32_e32 v12, vcc_lo, s15, v10, vcc_lo
	s_delay_alu instid0(VALU_DEP_1) | instskip(SKIP_1) | instid1(VALU_DEP_2)
	v_cmp_gt_u64_e64 s2, s[12:13], v[11:12]
	v_dual_mov_b32 v11, 0 :: v_dual_mov_b32 v12, 0
	s_and_saveexec_b32 s5, s2
	s_cbranch_execz .LBB237_10
; %bb.9:                                ;   in Loop: Header=BB237_4 Depth=1
	v_add_co_u32 v15, vcc_lo, v1, s16
	v_add_co_ci_u32_e32 v16, vcc_lo, 0, v2, vcc_lo
	global_load_u16 v12, v[15:16], off
.LBB237_10:                             ;   in Loop: Header=BB237_4 Depth=1
	s_or_b32 exec_lo, exec_lo, s5
	v_add_co_u32 v15, vcc_lo, v7, s14
	v_add_co_ci_u32_e32 v16, vcc_lo, s15, v8, vcc_lo
	s_delay_alu instid0(VALU_DEP_1)
	v_cmp_gt_u64_e32 vcc_lo, s[12:13], v[15:16]
	s_and_saveexec_b32 s19, vcc_lo
	s_cbranch_execnz .LBB237_15
; %bb.11:                               ;   in Loop: Header=BB237_4 Depth=1
	s_or_b32 exec_lo, exec_lo, s19
	s_and_saveexec_b32 s19, s4
	s_cbranch_execnz .LBB237_16
.LBB237_12:                             ;   in Loop: Header=BB237_4 Depth=1
	s_or_b32 exec_lo, exec_lo, s19
	s_and_saveexec_b32 s5, s3
	s_cbranch_execnz .LBB237_17
.LBB237_13:                             ;   in Loop: Header=BB237_4 Depth=1
	s_or_b32 exec_lo, exec_lo, s5
	s_and_saveexec_b32 s4, s2
	s_cbranch_execnz .LBB237_18
.LBB237_14:                             ;   in Loop: Header=BB237_4 Depth=1
	s_or_b32 exec_lo, exec_lo, s4
	s_and_saveexec_b32 s3, vcc_lo
	s_cbranch_execz .LBB237_3
	s_branch .LBB237_19
.LBB237_15:                             ;   in Loop: Header=BB237_4 Depth=1
	v_add_co_u32 v15, s5, v1, s18
	s_delay_alu instid0(VALU_DEP_1)
	v_add_co_ci_u32_e64 v16, s5, 0, v2, s5
	global_load_u16 v11, v[15:16], off
	s_or_b32 exec_lo, exec_lo, s19
	s_and_saveexec_b32 s19, s4
	s_cbranch_execz .LBB237_12
.LBB237_16:                             ;   in Loop: Header=BB237_4 Depth=1
	s_waitcnt vmcnt(0)
	v_lshlrev_b32_e32 v14, 16, v14
	s_delay_alu instid0(VALU_DEP_1) | instskip(SKIP_1) | instid1(VALU_DEP_1)
	v_mul_f32_e32 v15, 0x4f800000, v14
	v_cmp_gt_f32_e64 s4, 0xf800000, v14
	v_cndmask_b32_e64 v14, v14, v15, s4
	s_delay_alu instid0(VALU_DEP_1) | instskip(SKIP_3) | instid1(VALU_DEP_2)
	v_sqrt_f32_e32 v15, v14
	s_waitcnt_depctr 0xfff
	v_add_nc_u32_e32 v16, -1, v15
	v_add_nc_u32_e32 v17, 1, v15
	v_fma_f32 v18, -v16, v15, v14
	s_delay_alu instid0(VALU_DEP_2) | instskip(NEXT) | instid1(VALU_DEP_2)
	v_fma_f32 v19, -v17, v15, v14
	v_cmp_ge_f32_e64 s5, 0, v18
	s_delay_alu instid0(VALU_DEP_1) | instskip(NEXT) | instid1(VALU_DEP_3)
	v_cndmask_b32_e64 v15, v15, v16, s5
	v_cmp_lt_f32_e64 s5, 0, v19
	s_delay_alu instid0(VALU_DEP_1) | instskip(NEXT) | instid1(VALU_DEP_1)
	v_cndmask_b32_e64 v15, v15, v17, s5
	v_mul_f32_e32 v16, 0x37800000, v15
	s_delay_alu instid0(VALU_DEP_1) | instskip(SKIP_1) | instid1(VALU_DEP_1)
	v_cndmask_b32_e64 v15, v15, v16, s4
	v_cmp_class_f32_e64 s4, v14, 0x260
	v_cndmask_b32_e64 v14, v15, v14, s4
	s_delay_alu instid0(VALU_DEP_1) | instskip(SKIP_1) | instid1(VALU_DEP_2)
	v_bfe_u32 v15, v14, 16, 1
	v_cmp_o_f32_e64 s4, v14, v14
	v_add3_u32 v15, v14, v15, 0x7fff
	s_delay_alu instid0(VALU_DEP_1) | instskip(NEXT) | instid1(VALU_DEP_1)
	v_lshrrev_b32_e32 v15, 16, v15
	v_cndmask_b32_e64 v14, 0x7fc0, v15, s4
	global_store_b16 v[1:2], v14, off
	s_or_b32 exec_lo, exec_lo, s19
	s_and_saveexec_b32 s5, s3
	s_cbranch_execz .LBB237_13
.LBB237_17:                             ;   in Loop: Header=BB237_4 Depth=1
	s_waitcnt vmcnt(0)
	v_lshlrev_b32_e32 v13, 16, v13
	s_delay_alu instid0(VALU_DEP_1) | instskip(SKIP_1) | instid1(VALU_DEP_1)
	v_mul_f32_e32 v14, 0x4f800000, v13
	v_cmp_gt_f32_e64 s3, 0xf800000, v13
	v_cndmask_b32_e64 v13, v13, v14, s3
	s_delay_alu instid0(VALU_DEP_1) | instskip(SKIP_3) | instid1(VALU_DEP_2)
	v_sqrt_f32_e32 v14, v13
	s_waitcnt_depctr 0xfff
	v_add_nc_u32_e32 v15, -1, v14
	v_add_nc_u32_e32 v16, 1, v14
	v_fma_f32 v17, -v15, v14, v13
	s_delay_alu instid0(VALU_DEP_2) | instskip(NEXT) | instid1(VALU_DEP_2)
	v_fma_f32 v18, -v16, v14, v13
	v_cmp_ge_f32_e64 s4, 0, v17
	s_delay_alu instid0(VALU_DEP_1) | instskip(NEXT) | instid1(VALU_DEP_3)
	v_cndmask_b32_e64 v14, v14, v15, s4
	v_cmp_lt_f32_e64 s4, 0, v18
	s_delay_alu instid0(VALU_DEP_1) | instskip(NEXT) | instid1(VALU_DEP_1)
	v_cndmask_b32_e64 v14, v14, v16, s4
	v_mul_f32_e32 v15, 0x37800000, v14
	s_delay_alu instid0(VALU_DEP_1) | instskip(SKIP_1) | instid1(VALU_DEP_1)
	v_cndmask_b32_e64 v14, v14, v15, s3
	v_cmp_class_f32_e64 s3, v13, 0x260
	v_cndmask_b32_e64 v13, v14, v13, s3
	s_delay_alu instid0(VALU_DEP_1) | instskip(SKIP_1) | instid1(VALU_DEP_2)
	v_bfe_u32 v14, v13, 16, 1
	v_cmp_o_f32_e64 s3, v13, v13
	v_add3_u32 v14, v13, v14, 0x7fff
	s_delay_alu instid0(VALU_DEP_1) | instskip(NEXT) | instid1(VALU_DEP_1)
	v_lshrrev_b32_e32 v14, 16, v14
	v_cndmask_b32_e64 v13, 0x7fc0, v14, s3
	global_store_b16 v[3:4], v13, off
	s_or_b32 exec_lo, exec_lo, s5
	s_and_saveexec_b32 s4, s2
	s_cbranch_execz .LBB237_14
.LBB237_18:                             ;   in Loop: Header=BB237_4 Depth=1
	s_waitcnt vmcnt(0)
	v_lshlrev_b32_e32 v12, 16, v12
	s_delay_alu instid0(VALU_DEP_1) | instskip(SKIP_1) | instid1(VALU_DEP_1)
	v_mul_f32_e32 v13, 0x4f800000, v12
	v_cmp_gt_f32_e64 s2, 0xf800000, v12
	v_cndmask_b32_e64 v12, v12, v13, s2
	s_delay_alu instid0(VALU_DEP_1) | instskip(SKIP_3) | instid1(VALU_DEP_2)
	v_sqrt_f32_e32 v13, v12
	s_waitcnt_depctr 0xfff
	v_add_nc_u32_e32 v14, -1, v13
	v_add_nc_u32_e32 v15, 1, v13
	v_fma_f32 v16, -v14, v13, v12
	s_delay_alu instid0(VALU_DEP_2) | instskip(NEXT) | instid1(VALU_DEP_2)
	v_fma_f32 v17, -v15, v13, v12
	v_cmp_ge_f32_e64 s3, 0, v16
	s_delay_alu instid0(VALU_DEP_1) | instskip(NEXT) | instid1(VALU_DEP_3)
	v_cndmask_b32_e64 v13, v13, v14, s3
	v_cmp_lt_f32_e64 s3, 0, v17
	s_delay_alu instid0(VALU_DEP_1) | instskip(NEXT) | instid1(VALU_DEP_1)
	v_cndmask_b32_e64 v13, v13, v15, s3
	v_mul_f32_e32 v14, 0x37800000, v13
	s_delay_alu instid0(VALU_DEP_1) | instskip(SKIP_1) | instid1(VALU_DEP_1)
	v_cndmask_b32_e64 v13, v13, v14, s2
	v_cmp_class_f32_e64 s2, v12, 0x260
	v_cndmask_b32_e64 v12, v13, v12, s2
	s_delay_alu instid0(VALU_DEP_1) | instskip(SKIP_1) | instid1(VALU_DEP_2)
	v_bfe_u32 v13, v12, 16, 1
	v_cmp_o_f32_e64 s2, v12, v12
	v_add3_u32 v13, v12, v13, 0x7fff
	s_delay_alu instid0(VALU_DEP_1) | instskip(NEXT) | instid1(VALU_DEP_1)
	v_lshrrev_b32_e32 v13, 16, v13
	v_cndmask_b32_e64 v14, 0x7fc0, v13, s2
	v_add_co_u32 v12, s2, v1, s16
	s_delay_alu instid0(VALU_DEP_1)
	v_add_co_ci_u32_e64 v13, s2, 0, v2, s2
	global_store_b16 v[12:13], v14, off
	s_or_b32 exec_lo, exec_lo, s4
	s_and_saveexec_b32 s3, vcc_lo
	s_cbranch_execz .LBB237_3
.LBB237_19:                             ;   in Loop: Header=BB237_4 Depth=1
	s_waitcnt vmcnt(0)
	v_lshlrev_b32_e32 v11, 16, v11
	s_delay_alu instid0(VALU_DEP_1) | instskip(SKIP_1) | instid1(VALU_DEP_2)
	v_mul_f32_e32 v12, 0x4f800000, v11
	v_cmp_gt_f32_e32 vcc_lo, 0xf800000, v11
	v_cndmask_b32_e32 v11, v11, v12, vcc_lo
	s_delay_alu instid0(VALU_DEP_1) | instskip(SKIP_3) | instid1(VALU_DEP_2)
	v_sqrt_f32_e32 v12, v11
	s_waitcnt_depctr 0xfff
	v_add_nc_u32_e32 v13, -1, v12
	v_add_nc_u32_e32 v14, 1, v12
	v_fma_f32 v15, -v13, v12, v11
	s_delay_alu instid0(VALU_DEP_2) | instskip(NEXT) | instid1(VALU_DEP_2)
	v_fma_f32 v16, -v14, v12, v11
	v_cmp_ge_f32_e64 s2, 0, v15
	s_delay_alu instid0(VALU_DEP_1) | instskip(NEXT) | instid1(VALU_DEP_3)
	v_cndmask_b32_e64 v12, v12, v13, s2
	v_cmp_lt_f32_e64 s2, 0, v16
	s_delay_alu instid0(VALU_DEP_1) | instskip(NEXT) | instid1(VALU_DEP_1)
	v_cndmask_b32_e64 v12, v12, v14, s2
	v_mul_f32_e32 v13, 0x37800000, v12
	s_delay_alu instid0(VALU_DEP_1) | instskip(SKIP_1) | instid1(VALU_DEP_2)
	v_cndmask_b32_e32 v12, v12, v13, vcc_lo
	v_cmp_class_f32_e64 vcc_lo, v11, 0x260
	v_cndmask_b32_e32 v11, v12, v11, vcc_lo
	s_delay_alu instid0(VALU_DEP_1) | instskip(SKIP_1) | instid1(VALU_DEP_2)
	v_bfe_u32 v12, v11, 16, 1
	v_cmp_o_f32_e32 vcc_lo, v11, v11
	v_add3_u32 v12, v11, v12, 0x7fff
	s_delay_alu instid0(VALU_DEP_1) | instskip(NEXT) | instid1(VALU_DEP_1)
	v_lshrrev_b32_e32 v12, 16, v12
	v_cndmask_b32_e32 v13, 0x7fc0, v12, vcc_lo
	v_add_co_u32 v11, vcc_lo, v1, s18
	v_add_co_ci_u32_e32 v12, vcc_lo, 0, v2, vcc_lo
	global_store_b16 v[11:12], v13, off
	s_branch .LBB237_3
.LBB237_20:
	s_cbranch_execz .LBB237_22
	s_branch .LBB237_25
.LBB237_21:
.LBB237_22:
	v_dual_mov_b32 v2, 0 :: v_dual_lshlrev_b32 v1, 2, v0
	s_mov_b32 s4, 0
	s_mov_b32 s2, exec_lo
	s_delay_alu instid0(VALU_DEP_1)
	v_cmpx_gt_i64_e64 s[6:7], v[1:2]
	s_cbranch_execz .LBB237_25
; %bb.23:
	s_load_b32 s0, s[0:1], 0xd3c
	v_lshlrev_b32_e32 v1, 3, v0
	s_waitcnt lgkmcnt(0)
	s_and_b32 s0, s0, 0xffff
	s_add_u32 s1, s8, s10
	s_addc_u32 s2, s9, s11
	v_add_co_u32 v3, s1, s1, v1
	s_delay_alu instid0(VALU_DEP_1)
	v_add_co_ci_u32_e64 v4, null, s2, 0, s1
	v_add_lshl_u32 v1, v0, s0, 2
	s_lshl_b32 s5, s0, 3
	s_lshl_b32 s8, s0, 2
.LBB237_24:                             ; =>This Inner Loop Header: Depth=1
	global_load_b64 v[5:6], v[3:4], off
	s_waitcnt vmcnt(0)
	v_and_b32_e32 v7, 0xffff0000, v5
	v_lshlrev_b32_e32 v0, 16, v5
	v_alignbit_b32 v5, v6, v5, 16
	s_delay_alu instid0(VALU_DEP_2) | instskip(SKIP_2) | instid1(VALU_DEP_3)
	v_dual_mul_f32 v9, 0x4f800000, v7 :: v_dual_mul_f32 v8, 0x4f800000, v0
	v_cmp_gt_f32_e32 vcc_lo, 0xf800000, v0
	v_and_b32_e32 v6, 0xffff0000, v6
	v_cndmask_b32_e32 v0, v0, v8, vcc_lo
	v_cmp_gt_f32_e64 s0, 0xf800000, v7
	s_delay_alu instid0(VALU_DEP_3) | instskip(SKIP_2) | instid1(VALU_DEP_4)
	v_mul_f32_e32 v10, 0x4f800000, v6
	v_cmp_gt_f32_e64 s1, 0xf800000, v6
	v_and_b32_e32 v5, 0xffff0000, v5
	v_cndmask_b32_e64 v7, v7, v9, s0
	v_sqrt_f32_e32 v9, v0
	s_delay_alu instid0(VALU_DEP_3) | instskip(NEXT) | instid1(VALU_DEP_3)
	v_cndmask_b32_e64 v6, v6, v10, s1
	v_cmp_gt_f32_e64 s2, 0xf800000, v5
	s_delay_alu instid0(VALU_DEP_3)
	v_sqrt_f32_e32 v10, v7
	v_mul_f32_e32 v8, 0x4f800000, v5
	s_waitcnt_depctr 0xfff
	v_add_nc_u32_e32 v12, -1, v9
	v_add_nc_u32_e32 v13, 1, v9
	v_add_nc_u32_e32 v15, 1, v10
	v_cndmask_b32_e64 v5, v5, v8, s2
	v_sqrt_f32_e32 v8, v6
	v_add_nc_u32_e32 v14, -1, v10
	v_fma_f32 v18, -v12, v9, v0
	v_fma_f32 v19, -v13, v9, v0
	v_sqrt_f32_e32 v11, v5
	v_fma_f32 v21, -v15, v10, v7
	v_fma_f32 v20, -v14, v10, v7
	v_cmp_ge_f32_e64 s3, 0, v18
	s_delay_alu instid0(TRANS32_DEP_2) | instskip(SKIP_1) | instid1(VALU_DEP_3)
	v_add_nc_u32_e32 v16, -1, v8
	v_add_nc_u32_e32 v17, 1, v8
	v_cndmask_b32_e64 v9, v9, v12, s3
	v_cmp_ge_f32_e64 s3, 0, v20
	s_delay_alu instid0(TRANS32_DEP_1) | instskip(SKIP_2) | instid1(VALU_DEP_4)
	v_add_nc_u32_e32 v22, -1, v11
	v_fma_f32 v24, -v16, v8, v6
	v_fma_f32 v25, -v17, v8, v6
	v_cndmask_b32_e64 v10, v10, v14, s3
	s_delay_alu instid0(VALU_DEP_4) | instskip(NEXT) | instid1(VALU_DEP_4)
	v_fma_f32 v12, -v22, v11, v5
	v_cmp_ge_f32_e64 s3, 0, v24
	s_delay_alu instid0(VALU_DEP_1) | instskip(SKIP_1) | instid1(VALU_DEP_1)
	v_cndmask_b32_e64 v8, v8, v16, s3
	v_cmp_lt_f32_e64 s3, 0, v19
	v_cndmask_b32_e64 v9, v9, v13, s3
	v_cmp_lt_f32_e64 s3, 0, v21
	v_add_nc_u32_e32 v23, 1, v11
	s_delay_alu instid0(VALU_DEP_2) | instskip(SKIP_2) | instid1(VALU_DEP_4)
	v_cndmask_b32_e64 v10, v10, v15, s3
	v_cmp_ge_f32_e64 s3, 0, v12
	v_mul_f32_e32 v12, 0x37800000, v9
	v_fma_f32 v14, -v23, v11, v5
	s_delay_alu instid0(VALU_DEP_4) | instskip(NEXT) | instid1(VALU_DEP_4)
	v_mul_f32_e32 v13, 0x37800000, v10
	v_cndmask_b32_e64 v11, v11, v22, s3
	v_cmp_lt_f32_e64 s3, 0, v25
	v_cndmask_b32_e32 v9, v9, v12, vcc_lo
	v_cmp_class_f32_e64 vcc_lo, v0, 0x260
	v_cndmask_b32_e64 v10, v10, v13, s0
	v_cmp_lt_u64_e64 s0, 0xffff, v[1:2]
	v_cndmask_b32_e64 v8, v8, v17, s3
	v_cmp_lt_f32_e64 s3, 0, v14
	v_cndmask_b32_e32 v0, v9, v0, vcc_lo
	v_cmp_class_f32_e64 vcc_lo, v7, 0x260
	s_delay_alu instid0(VALU_DEP_4) | instskip(NEXT) | instid1(VALU_DEP_4)
	v_mul_f32_e32 v14, 0x37800000, v8
	v_cndmask_b32_e64 v11, v11, v23, s3
	v_cndmask_b32_e32 v7, v10, v7, vcc_lo
	v_cmp_class_f32_e64 vcc_lo, v6, 0x260
	s_delay_alu instid0(VALU_DEP_4) | instskip(NEXT) | instid1(VALU_DEP_4)
	v_cndmask_b32_e64 v8, v8, v14, s1
	v_mul_f32_e32 v12, 0x37800000, v11
	s_delay_alu instid0(VALU_DEP_2) | instskip(NEXT) | instid1(VALU_DEP_2)
	v_cndmask_b32_e32 v6, v8, v6, vcc_lo
	v_cndmask_b32_e64 v9, v11, v12, s2
	v_cmp_class_f32_e64 vcc_lo, v5, 0x260
	v_bfe_u32 v8, v7, 16, 1
	s_delay_alu instid0(VALU_DEP_4) | instskip(NEXT) | instid1(VALU_DEP_4)
	v_bfe_u32 v10, v6, 16, 1
	v_cndmask_b32_e32 v5, v9, v5, vcc_lo
	v_bfe_u32 v9, v0, 16, 1
	s_delay_alu instid0(VALU_DEP_4)
	v_add3_u32 v8, v7, v8, 0x7fff
	v_cmp_o_f32_e32 vcc_lo, v7, v7
	v_add3_u32 v10, v6, v10, 0x7fff
	v_bfe_u32 v11, v5, 16, 1
	v_add3_u32 v9, v0, v9, 0x7fff
	v_and_b32_e32 v8, 0xffff0000, v8
	s_delay_alu instid0(VALU_DEP_4) | instskip(NEXT) | instid1(VALU_DEP_4)
	v_and_b32_e32 v10, 0xffff0000, v10
	v_add3_u32 v11, v5, v11, 0x7fff
	s_delay_alu instid0(VALU_DEP_4) | instskip(NEXT) | instid1(VALU_DEP_4)
	v_lshrrev_b32_e32 v9, 16, v9
	v_cndmask_b32_e32 v7, 0x7fc00000, v8, vcc_lo
	v_cmp_o_f32_e32 vcc_lo, v0, v0
	s_delay_alu instid0(VALU_DEP_4) | instskip(NEXT) | instid1(VALU_DEP_4)
	v_lshrrev_b32_e32 v11, 16, v11
	v_cndmask_b32_e32 v0, 0x7fc0, v9, vcc_lo
	v_cmp_o_f32_e32 vcc_lo, v6, v6
	s_delay_alu instid0(VALU_DEP_2)
	v_or_b32_e32 v0, v0, v7
	v_cndmask_b32_e32 v6, 0x7fc00000, v10, vcc_lo
	v_cmp_o_f32_e32 vcc_lo, v5, v5
	v_cndmask_b32_e32 v5, 0x7fc0, v11, vcc_lo
	v_cmp_le_i64_e32 vcc_lo, s[6:7], v[1:2]
	v_add_co_u32 v1, s1, v1, s8
	s_delay_alu instid0(VALU_DEP_1) | instskip(NEXT) | instid1(VALU_DEP_4)
	v_add_co_ci_u32_e64 v2, s1, 0, v2, s1
	v_or3_b32 v6, 0, v5, v6
	v_or3_b32 v5, v0, 0, 0
	s_or_b32 s0, vcc_lo, s0
	s_delay_alu instid0(SALU_CYCLE_1) | instskip(SKIP_4) | instid1(SALU_CYCLE_1)
	s_and_b32 s0, exec_lo, s0
	global_store_b64 v[3:4], v[5:6], off
	v_add_co_u32 v3, vcc_lo, v3, s5
	v_add_co_ci_u32_e32 v4, vcc_lo, 0, v4, vcc_lo
	s_or_b32 s4, s0, s4
	s_and_not1_b32 exec_lo, exec_lo, s4
	s_cbranch_execnz .LBB237_24
.LBB237_25:
	s_nop 0
	s_sendmsg sendmsg(MSG_DEALLOC_VGPRS)
	s_endpgm
	.section	.rodata,"a",@progbits
	.p2align	6, 0x0
	.amdhsa_kernel _ZN2at6native12_GLOBAL__N_125multi_tensor_apply_kernelINS1_18TensorListMetadataILi1EEENS1_14UnaryOpFunctorIN3c108BFloat16ELi1ELi1ELi0EEEJNS0_4SqrtIfEEEEEvT_T0_DpT1_
		.amdhsa_group_segment_fixed_size 0
		.amdhsa_private_segment_fixed_size 0
		.amdhsa_kernarg_size 3632
		.amdhsa_user_sgpr_count 15
		.amdhsa_user_sgpr_dispatch_ptr 0
		.amdhsa_user_sgpr_queue_ptr 0
		.amdhsa_user_sgpr_kernarg_segment_ptr 1
		.amdhsa_user_sgpr_dispatch_id 0
		.amdhsa_user_sgpr_private_segment_size 0
		.amdhsa_wavefront_size32 1
		.amdhsa_uses_dynamic_stack 0
		.amdhsa_enable_private_segment 0
		.amdhsa_system_sgpr_workgroup_id_x 1
		.amdhsa_system_sgpr_workgroup_id_y 0
		.amdhsa_system_sgpr_workgroup_id_z 0
		.amdhsa_system_sgpr_workgroup_info 0
		.amdhsa_system_vgpr_workitem_id 0
		.amdhsa_next_free_vgpr 26
		.amdhsa_next_free_sgpr 20
		.amdhsa_reserve_vcc 1
		.amdhsa_float_round_mode_32 0
		.amdhsa_float_round_mode_16_64 0
		.amdhsa_float_denorm_mode_32 3
		.amdhsa_float_denorm_mode_16_64 3
		.amdhsa_dx10_clamp 1
		.amdhsa_ieee_mode 1
		.amdhsa_fp16_overflow 0
		.amdhsa_workgroup_processor_mode 1
		.amdhsa_memory_ordered 1
		.amdhsa_forward_progress 0
		.amdhsa_shared_vgpr_count 0
		.amdhsa_exception_fp_ieee_invalid_op 0
		.amdhsa_exception_fp_denorm_src 0
		.amdhsa_exception_fp_ieee_div_zero 0
		.amdhsa_exception_fp_ieee_overflow 0
		.amdhsa_exception_fp_ieee_underflow 0
		.amdhsa_exception_fp_ieee_inexact 0
		.amdhsa_exception_int_div_zero 0
	.end_amdhsa_kernel
	.section	.text._ZN2at6native12_GLOBAL__N_125multi_tensor_apply_kernelINS1_18TensorListMetadataILi1EEENS1_14UnaryOpFunctorIN3c108BFloat16ELi1ELi1ELi0EEEJNS0_4SqrtIfEEEEEvT_T0_DpT1_,"axG",@progbits,_ZN2at6native12_GLOBAL__N_125multi_tensor_apply_kernelINS1_18TensorListMetadataILi1EEENS1_14UnaryOpFunctorIN3c108BFloat16ELi1ELi1ELi0EEEJNS0_4SqrtIfEEEEEvT_T0_DpT1_,comdat
.Lfunc_end237:
	.size	_ZN2at6native12_GLOBAL__N_125multi_tensor_apply_kernelINS1_18TensorListMetadataILi1EEENS1_14UnaryOpFunctorIN3c108BFloat16ELi1ELi1ELi0EEEJNS0_4SqrtIfEEEEEvT_T0_DpT1_, .Lfunc_end237-_ZN2at6native12_GLOBAL__N_125multi_tensor_apply_kernelINS1_18TensorListMetadataILi1EEENS1_14UnaryOpFunctorIN3c108BFloat16ELi1ELi1ELi0EEEJNS0_4SqrtIfEEEEEvT_T0_DpT1_
                                        ; -- End function
	.section	.AMDGPU.csdata,"",@progbits
; Kernel info:
; codeLenInByte = 2592
; NumSgprs: 22
; NumVgprs: 26
; ScratchSize: 0
; MemoryBound: 0
; FloatMode: 240
; IeeeMode: 1
; LDSByteSize: 0 bytes/workgroup (compile time only)
; SGPRBlocks: 2
; VGPRBlocks: 3
; NumSGPRsForWavesPerEU: 22
; NumVGPRsForWavesPerEU: 26
; Occupancy: 16
; WaveLimiterHint : 0
; COMPUTE_PGM_RSRC2:SCRATCH_EN: 0
; COMPUTE_PGM_RSRC2:USER_SGPR: 15
; COMPUTE_PGM_RSRC2:TRAP_HANDLER: 0
; COMPUTE_PGM_RSRC2:TGID_X_EN: 1
; COMPUTE_PGM_RSRC2:TGID_Y_EN: 0
; COMPUTE_PGM_RSRC2:TGID_Z_EN: 0
; COMPUTE_PGM_RSRC2:TIDIG_COMP_CNT: 0
	.section	.text._ZN2at6native12_GLOBAL__N_125multi_tensor_apply_kernelINS1_18TensorListMetadataILi2EEENS1_14UnaryOpFunctorIdLi2ELi1ELi1EEEJNS0_3ErfIdEEEEEvT_T0_DpT1_,"axG",@progbits,_ZN2at6native12_GLOBAL__N_125multi_tensor_apply_kernelINS1_18TensorListMetadataILi2EEENS1_14UnaryOpFunctorIdLi2ELi1ELi1EEEJNS0_3ErfIdEEEEEvT_T0_DpT1_,comdat
	.globl	_ZN2at6native12_GLOBAL__N_125multi_tensor_apply_kernelINS1_18TensorListMetadataILi2EEENS1_14UnaryOpFunctorIdLi2ELi1ELi1EEEJNS0_3ErfIdEEEEEvT_T0_DpT1_ ; -- Begin function _ZN2at6native12_GLOBAL__N_125multi_tensor_apply_kernelINS1_18TensorListMetadataILi2EEENS1_14UnaryOpFunctorIdLi2ELi1ELi1EEEJNS0_3ErfIdEEEEEvT_T0_DpT1_
	.p2align	8
	.type	_ZN2at6native12_GLOBAL__N_125multi_tensor_apply_kernelINS1_18TensorListMetadataILi2EEENS1_14UnaryOpFunctorIdLi2ELi1ELi1EEEJNS0_3ErfIdEEEEEvT_T0_DpT1_,@function
_ZN2at6native12_GLOBAL__N_125multi_tensor_apply_kernelINS1_18TensorListMetadataILi2EEENS1_14UnaryOpFunctorIdLi2ELi1ELi1EEEJNS0_3ErfIdEEEEEvT_T0_DpT1_: ; @_ZN2at6native12_GLOBAL__N_125multi_tensor_apply_kernelINS1_18TensorListMetadataILi2EEENS1_14UnaryOpFunctorIdLi2ELi1ELi1EEEJNS0_3ErfIdEEEEEvT_T0_DpT1_
; %bb.0:
	v_mov_b32_e32 v1, s15
	s_add_u32 s3, s0, s15
	s_mul_hi_u32 s5, s15, 3
	s_mul_i32 s15, s15, 3
	s_addc_u32 s2, s1, 0
	global_load_u8 v1, v1, s[0:1] offset:1536
	s_add_u32 s4, s3, s15
	s_addc_u32 s5, s2, s5
                                        ; implicit-def: $vgpr45 : SGPR spill to VGPR lane
	s_mov_b32 s9, 0
	s_load_b32 s16, s[4:5], 0x740
	s_mov_b32 s11, s9
	s_waitcnt lgkmcnt(0)
	s_ashr_i32 s17, s16, 31
	s_delay_alu instid0(SALU_CYCLE_1) | instskip(SKIP_2) | instid1(VALU_DEP_1)
	s_lshl_b64 s[6:7], s[16:17], 19
	s_waitcnt vmcnt(0)
	v_readfirstlane_b32 s3, v1
	s_lshl_b32 s2, s3, 3
	s_clause 0x2
	s_load_b64 s[12:13], s[0:1], s2 offset:0x0
	s_load_b64 s[14:15], s[0:1], s2 offset:0x200
	;; [unrolled: 1-line block ×3, first 2 shown]
	s_mov_b32 s2, -1
	s_waitcnt lgkmcnt(0)
	s_add_u32 s3, s12, s6
	v_writelane_b32 v45, s12, 0
	s_addc_u32 s33, s13, s7
	s_and_b32 s8, s3, 31
	s_add_u32 s104, s14, s6
	v_writelane_b32 v45, s13, 1
	s_mov_b32 s13, s9
	v_writelane_b32 v45, s14, 2
	s_addc_u32 vcc_hi, s15, s7
	s_and_b32 s10, s4, 3
	s_and_b32 s12, s104, 31
	s_or_b64 s[8:9], s[8:9], s[10:11]
	v_writelane_b32 v45, s15, 3
	s_lshl_b64 s[14:15], s[16:17], 16
	s_or_b64 s[10:11], s[12:13], s[8:9]
	s_sub_u32 s8, s4, s14
	s_subb_u32 s9, s5, s15
	s_cmp_eq_u64 s[10:11], 0
	s_cbranch_scc0 .LBB238_21
; %bb.1:
	v_dual_mov_b32 v18, 0 :: v_dual_lshlrev_b32 v17, 2, v0
	v_writelane_b32 v45, s0, 4
	s_delay_alu instid0(VALU_DEP_2) | instskip(SKIP_2) | instid1(SALU_CYCLE_1)
	v_cmp_gt_i64_e32 vcc_lo, s[8:9], v[17:18]
	v_writelane_b32 v45, s1, 5
	s_mov_b32 s0, exec_lo
	v_writelane_b32 v45, s0, 6
	s_and_b32 s0, s0, vcc_lo
	s_delay_alu instid0(SALU_CYCLE_1)
	s_mov_b32 exec_lo, s0
	s_cbranch_execz .LBB238_20
; %bb.2:
	s_delay_alu instid0(VALU_DEP_1)
	v_readlane_b32 s0, v45, 4
	v_readlane_b32 s1, v45, 5
	v_lshlrev_b32_e32 v19, 5, v0
	s_mov_b32 s20, 0x7074b644
	s_mov_b32 s22, 0xa78ce240
	;; [unrolled: 1-line block ×3, first 2 shown]
	s_load_b32 s0, s[0:1], 0xc5c
	s_mov_b32 s26, 0x8c94b617
	s_mov_b32 s28, 0x312306d0
	;; [unrolled: 1-line block ×19, first 2 shown]
	s_waitcnt lgkmcnt(0)
	s_and_b32 s1, s0, 0xffff
	s_mov_b32 s66, 0xfca7ab0c
	v_add_lshl_u32 v17, v0, s1, 2
	s_mov_b32 s68, 0x6a5dcb37
	s_mov_b32 s70, 0x623fde64
	;; [unrolled: 1-line block ×61, first 2 shown]
	s_lshl_b32 s0, s1, 2
	s_lshl_b32 s1, s1, 5
	s_mov_b32 s14, 0
	s_mov_b32 s103, 0xbf9b82ce
	;; [unrolled: 1-line block ×5, first 2 shown]
	s_branch .LBB238_4
.LBB238_3:                              ;   in Loop: Header=BB238_4 Depth=1
	s_or_b32 exec_lo, exec_lo, s2
	v_cmp_le_i64_e32 vcc_lo, s[8:9], v[17:18]
	v_cmp_lt_u64_e64 s2, 0xffff, v[17:18]
	v_add_co_u32 v1, s15, s104, v19
	v_bfi_b32 v12, 0x7fffffff, v12, v8
	v_bfi_b32 v10, 0x7fffffff, v10, v6
	;; [unrolled: 1-line block ×3, first 2 shown]
	s_or_b32 s2, vcc_lo, s2
	s_add_u32 s3, s3, s1
	v_add_co_u32 v17, vcc_lo, v17, s0
	s_addc_u32 s33, s33, 0
	s_add_u32 s104, s104, s1
	v_add_co_ci_u32_e64 v2, null, vcc_hi, 0, s15
	v_add_co_ci_u32_e32 v18, vcc_lo, 0, v18, vcc_lo
	s_addc_u32 vcc_hi, vcc_hi, 0
	v_bfi_b32 v16, 0x7fffffff, v16, v4
	s_and_b32 s2, exec_lo, s2
	s_clause 0x1
	global_store_b128 v[1:2], v[9:12], off
	global_store_b128 v[1:2], v[13:16], off offset:16
	s_or_b32 s14, s2, s14
	s_delay_alu instid0(SALU_CYCLE_1)
	s_and_not1_b32 exec_lo, exec_lo, s14
	s_cbranch_execz .LBB238_20
.LBB238_4:                              ; =>This Inner Loop Header: Depth=1
	v_add_co_u32 v1, s2, s3, v19
	s_delay_alu instid0(VALU_DEP_1)
	v_add_co_ci_u32_e64 v2, null, s33, 0, s2
	s_mov_b32 s15, exec_lo
                                        ; implicit-def: $vgpr9_vgpr10
	s_clause 0x1
	global_load_b128 v[5:8], v[1:2], off
	global_load_b128 v[1:4], v[1:2], off offset:16
	s_waitcnt vmcnt(1)
	v_cmpx_nlt_f64_e64 |v[5:6]|, 1.0
	s_xor_b32 s15, exec_lo, s15
	s_cbranch_execz .LBB238_6
; %bb.5:                                ;   in Loop: Header=BB238_4 Depth=1
	s_mov_b32 s16, 0x502a41cd
	s_mov_b32 s18, 0xc14b24be
	;; [unrolled: 1-line block ×4, first 2 shown]
	s_delay_alu instid0(SALU_CYCLE_1)
	v_fma_f64 v[9:10], |v[5:6]|, s[18:19], s[16:17]
	s_mov_b32 s16, 0xd735f9ec
	s_mov_b32 s17, 0x3d162dee
	s_delay_alu instid0(VALU_DEP_1) | instid1(SALU_CYCLE_1)
	v_fma_f64 v[9:10], |v[5:6]|, v[9:10], s[16:17]
	s_mov_b32 s16, 0x5552ca22
	s_mov_b32 s17, 0xbd61ffe5
	s_delay_alu instid0(VALU_DEP_1) | instid1(SALU_CYCLE_1)
	v_fma_f64 v[9:10], |v[5:6]|, v[9:10], s[16:17]
	s_delay_alu instid0(VALU_DEP_1) | instskip(NEXT) | instid1(VALU_DEP_1)
	v_fma_f64 v[9:10], |v[5:6]|, v[9:10], s[20:21]
	v_fma_f64 v[9:10], |v[5:6]|, v[9:10], s[22:23]
	s_delay_alu instid0(VALU_DEP_1) | instskip(NEXT) | instid1(VALU_DEP_1)
	v_fma_f64 v[9:10], |v[5:6]|, v[9:10], s[24:25]
	;; [unrolled: 3-line block ×10, first 2 shown]
	v_fma_f64 v[9:10], |v[5:6]|, v[9:10], |v[5:6]|
	s_delay_alu instid0(VALU_DEP_1) | instskip(SKIP_2) | instid1(VALU_DEP_3)
	v_mul_f64 v[11:12], v[9:10], s[60:61]
	v_cmp_ngt_f64_e32 vcc_lo, 0xc0900000, v[9:10]
	v_cmp_nlt_f64_e64 s2, 0x4090cc00, v[9:10]
	v_rndne_f64_e32 v[11:12], v[11:12]
	s_delay_alu instid0(VALU_DEP_1) | instskip(SKIP_1) | instid1(VALU_DEP_2)
	v_fma_f64 v[13:14], v[11:12], s[62:63], -v[9:10]
	v_cvt_i32_f64_e32 v20, v[11:12]
	v_fma_f64 v[13:14], v[11:12], s[64:65], v[13:14]
	s_delay_alu instid0(VALU_DEP_1) | instskip(NEXT) | instid1(VALU_DEP_1)
	v_fma_f64 v[15:16], v[13:14], s[68:69], s[66:67]
	v_fma_f64 v[15:16], v[13:14], v[15:16], s[70:71]
	s_delay_alu instid0(VALU_DEP_1) | instskip(NEXT) | instid1(VALU_DEP_1)
	v_fma_f64 v[15:16], v[13:14], v[15:16], s[72:73]
	;; [unrolled: 3-line block ×5, first 2 shown]
	v_fma_f64 v[15:16], v[13:14], v[15:16], 1.0
	s_delay_alu instid0(VALU_DEP_1) | instskip(NEXT) | instid1(VALU_DEP_1)
	v_fma_f64 v[11:12], v[13:14], v[15:16], 1.0
	v_ldexp_f64 v[11:12], v[11:12], v20
	s_delay_alu instid0(VALU_DEP_1) | instskip(NEXT) | instid1(VALU_DEP_1)
	v_add_f64 v[11:12], -v[11:12], 1.0
	v_cndmask_b32_e32 v9, 0xfff00000, v12, vcc_lo
	s_and_b32 vcc_lo, s2, vcc_lo
	s_delay_alu instid0(VALU_DEP_1) | instskip(NEXT) | instid1(VALU_DEP_3)
	v_cndmask_b32_e64 v10, 0x3ff00000, v9, s2
	v_cndmask_b32_e32 v9, 0, v11, vcc_lo
.LBB238_6:                              ;   in Loop: Header=BB238_4 Depth=1
	s_and_not1_saveexec_b32 s2, s15
	s_cbranch_execz .LBB238_8
; %bb.7:                                ;   in Loop: Header=BB238_4 Depth=1
	v_mul_f64 v[9:10], v[5:6], v[5:6]
	s_delay_alu instid0(VALU_DEP_1) | instskip(NEXT) | instid1(VALU_DEP_1)
	v_fma_f64 v[11:12], v[9:10], s[88:89], s[86:87]
	v_fma_f64 v[11:12], v[9:10], v[11:12], s[90:91]
	s_delay_alu instid0(VALU_DEP_1) | instskip(NEXT) | instid1(VALU_DEP_1)
	v_fma_f64 v[11:12], v[9:10], v[11:12], s[92:93]
	v_fma_f64 v[11:12], v[9:10], v[11:12], s[94:95]
	;; [unrolled: 3-line block ×5, first 2 shown]
	s_delay_alu instid0(VALU_DEP_1) | instskip(NEXT) | instid1(VALU_DEP_1)
	v_fma_f64 v[9:10], v[9:10], v[11:12], s[10:11]
	v_fma_f64 v[9:10], |v[5:6]|, v[9:10], |v[5:6]|
.LBB238_8:                              ;   in Loop: Header=BB238_4 Depth=1
	s_or_b32 exec_lo, exec_lo, s2
	s_delay_alu instid0(SALU_CYCLE_1)
	s_mov_b32 s15, exec_lo
	v_cmpx_nlt_f64_e64 |v[7:8]|, 1.0
	s_xor_b32 s15, exec_lo, s15
	s_cbranch_execz .LBB238_10
; %bb.9:                                ;   in Loop: Header=BB238_4 Depth=1
	s_mov_b32 s16, 0x502a41cd
	s_mov_b32 s18, 0xc14b24be
	;; [unrolled: 1-line block ×4, first 2 shown]
	s_delay_alu instid0(SALU_CYCLE_1)
	v_fma_f64 v[11:12], |v[7:8]|, s[18:19], s[16:17]
	s_mov_b32 s16, 0xd735f9ec
	s_mov_b32 s17, 0x3d162dee
	s_delay_alu instid0(VALU_DEP_1) | instid1(SALU_CYCLE_1)
	v_fma_f64 v[11:12], |v[7:8]|, v[11:12], s[16:17]
	s_mov_b32 s16, 0x5552ca22
	s_mov_b32 s17, 0xbd61ffe5
	s_delay_alu instid0(VALU_DEP_1) | instid1(SALU_CYCLE_1)
	v_fma_f64 v[11:12], |v[7:8]|, v[11:12], s[16:17]
	s_delay_alu instid0(VALU_DEP_1) | instskip(NEXT) | instid1(VALU_DEP_1)
	v_fma_f64 v[11:12], |v[7:8]|, v[11:12], s[20:21]
	v_fma_f64 v[11:12], |v[7:8]|, v[11:12], s[22:23]
	s_delay_alu instid0(VALU_DEP_1) | instskip(NEXT) | instid1(VALU_DEP_1)
	v_fma_f64 v[11:12], |v[7:8]|, v[11:12], s[24:25]
	;; [unrolled: 3-line block ×10, first 2 shown]
	v_fma_f64 v[11:12], |v[7:8]|, v[11:12], |v[7:8]|
	s_delay_alu instid0(VALU_DEP_1) | instskip(SKIP_2) | instid1(VALU_DEP_3)
	v_mul_f64 v[13:14], v[11:12], s[60:61]
	v_cmp_ngt_f64_e32 vcc_lo, 0xc0900000, v[11:12]
	v_cmp_nlt_f64_e64 s2, 0x4090cc00, v[11:12]
	v_rndne_f64_e32 v[13:14], v[13:14]
	s_delay_alu instid0(VALU_DEP_1) | instskip(SKIP_1) | instid1(VALU_DEP_2)
	v_fma_f64 v[15:16], v[13:14], s[62:63], -v[11:12]
	v_cvt_i32_f64_e32 v5, v[13:14]
	v_fma_f64 v[15:16], v[13:14], s[64:65], v[15:16]
	s_delay_alu instid0(VALU_DEP_1) | instskip(NEXT) | instid1(VALU_DEP_1)
	v_fma_f64 v[20:21], v[15:16], s[68:69], s[66:67]
	v_fma_f64 v[20:21], v[15:16], v[20:21], s[70:71]
	s_delay_alu instid0(VALU_DEP_1) | instskip(NEXT) | instid1(VALU_DEP_1)
	v_fma_f64 v[20:21], v[15:16], v[20:21], s[72:73]
	;; [unrolled: 3-line block ×5, first 2 shown]
	v_fma_f64 v[20:21], v[15:16], v[20:21], 1.0
	s_delay_alu instid0(VALU_DEP_1) | instskip(NEXT) | instid1(VALU_DEP_1)
	v_fma_f64 v[13:14], v[15:16], v[20:21], 1.0
	v_ldexp_f64 v[13:14], v[13:14], v5
	s_delay_alu instid0(VALU_DEP_1) | instskip(NEXT) | instid1(VALU_DEP_1)
	v_add_f64 v[13:14], -v[13:14], 1.0
	v_cndmask_b32_e32 v5, 0xfff00000, v14, vcc_lo
	s_and_b32 vcc_lo, s2, vcc_lo
	s_delay_alu instid0(VALU_DEP_2) | instskip(NEXT) | instid1(VALU_DEP_2)
	v_cndmask_b32_e32 v11, 0, v13, vcc_lo
	v_cndmask_b32_e64 v12, 0x3ff00000, v5, s2
.LBB238_10:                             ;   in Loop: Header=BB238_4 Depth=1
	s_and_not1_saveexec_b32 s2, s15
	s_cbranch_execz .LBB238_12
; %bb.11:                               ;   in Loop: Header=BB238_4 Depth=1
	v_mul_f64 v[11:12], v[7:8], v[7:8]
	s_delay_alu instid0(VALU_DEP_1) | instskip(NEXT) | instid1(VALU_DEP_1)
	v_fma_f64 v[13:14], v[11:12], s[88:89], s[86:87]
	v_fma_f64 v[13:14], v[11:12], v[13:14], s[90:91]
	s_delay_alu instid0(VALU_DEP_1) | instskip(NEXT) | instid1(VALU_DEP_1)
	v_fma_f64 v[13:14], v[11:12], v[13:14], s[92:93]
	v_fma_f64 v[13:14], v[11:12], v[13:14], s[94:95]
	;; [unrolled: 3-line block ×5, first 2 shown]
	s_delay_alu instid0(VALU_DEP_1) | instskip(NEXT) | instid1(VALU_DEP_1)
	v_fma_f64 v[11:12], v[11:12], v[13:14], s[10:11]
	v_fma_f64 v[11:12], |v[7:8]|, v[11:12], |v[7:8]|
.LBB238_12:                             ;   in Loop: Header=BB238_4 Depth=1
	s_or_b32 exec_lo, exec_lo, s2
	s_delay_alu instid0(SALU_CYCLE_1)
	s_mov_b32 s15, exec_lo
                                        ; implicit-def: $vgpr13_vgpr14
	s_waitcnt vmcnt(0)
	v_cmpx_nlt_f64_e64 |v[1:2]|, 1.0
	s_xor_b32 s15, exec_lo, s15
	s_cbranch_execz .LBB238_14
; %bb.13:                               ;   in Loop: Header=BB238_4 Depth=1
	s_mov_b32 s16, 0x502a41cd
	s_mov_b32 s18, 0xc14b24be
	;; [unrolled: 1-line block ×4, first 2 shown]
	s_delay_alu instid0(SALU_CYCLE_1)
	v_fma_f64 v[13:14], |v[1:2]|, s[18:19], s[16:17]
	s_mov_b32 s16, 0xd735f9ec
	s_mov_b32 s17, 0x3d162dee
	s_delay_alu instid0(VALU_DEP_1) | instid1(SALU_CYCLE_1)
	v_fma_f64 v[13:14], |v[1:2]|, v[13:14], s[16:17]
	s_mov_b32 s16, 0x5552ca22
	s_mov_b32 s17, 0xbd61ffe5
	s_delay_alu instid0(VALU_DEP_1) | instid1(SALU_CYCLE_1)
	v_fma_f64 v[13:14], |v[1:2]|, v[13:14], s[16:17]
	s_delay_alu instid0(VALU_DEP_1) | instskip(NEXT) | instid1(VALU_DEP_1)
	v_fma_f64 v[13:14], |v[1:2]|, v[13:14], s[20:21]
	v_fma_f64 v[13:14], |v[1:2]|, v[13:14], s[22:23]
	s_delay_alu instid0(VALU_DEP_1) | instskip(NEXT) | instid1(VALU_DEP_1)
	v_fma_f64 v[13:14], |v[1:2]|, v[13:14], s[24:25]
	;; [unrolled: 3-line block ×10, first 2 shown]
	v_fma_f64 v[13:14], |v[1:2]|, v[13:14], |v[1:2]|
	s_delay_alu instid0(VALU_DEP_1) | instskip(SKIP_2) | instid1(VALU_DEP_3)
	v_mul_f64 v[15:16], v[13:14], s[60:61]
	v_cmp_ngt_f64_e32 vcc_lo, 0xc0900000, v[13:14]
	v_cmp_nlt_f64_e64 s2, 0x4090cc00, v[13:14]
	v_rndne_f64_e32 v[15:16], v[15:16]
	s_delay_alu instid0(VALU_DEP_1) | instskip(SKIP_1) | instid1(VALU_DEP_2)
	v_fma_f64 v[20:21], v[15:16], s[62:63], -v[13:14]
	v_cvt_i32_f64_e32 v5, v[15:16]
	v_fma_f64 v[20:21], v[15:16], s[64:65], v[20:21]
	s_delay_alu instid0(VALU_DEP_1) | instskip(NEXT) | instid1(VALU_DEP_1)
	v_fma_f64 v[22:23], v[20:21], s[68:69], s[66:67]
	v_fma_f64 v[22:23], v[20:21], v[22:23], s[70:71]
	s_delay_alu instid0(VALU_DEP_1) | instskip(NEXT) | instid1(VALU_DEP_1)
	v_fma_f64 v[22:23], v[20:21], v[22:23], s[72:73]
	;; [unrolled: 3-line block ×5, first 2 shown]
	v_fma_f64 v[22:23], v[20:21], v[22:23], 1.0
	s_delay_alu instid0(VALU_DEP_1) | instskip(NEXT) | instid1(VALU_DEP_1)
	v_fma_f64 v[15:16], v[20:21], v[22:23], 1.0
	v_ldexp_f64 v[15:16], v[15:16], v5
	s_delay_alu instid0(VALU_DEP_1) | instskip(NEXT) | instid1(VALU_DEP_1)
	v_add_f64 v[15:16], -v[15:16], 1.0
	v_cndmask_b32_e32 v5, 0xfff00000, v16, vcc_lo
	s_and_b32 vcc_lo, s2, vcc_lo
	s_delay_alu instid0(VALU_DEP_2) | instskip(NEXT) | instid1(VALU_DEP_2)
	v_cndmask_b32_e32 v13, 0, v15, vcc_lo
	v_cndmask_b32_e64 v14, 0x3ff00000, v5, s2
.LBB238_14:                             ;   in Loop: Header=BB238_4 Depth=1
	s_and_not1_saveexec_b32 s2, s15
	s_cbranch_execz .LBB238_16
; %bb.15:                               ;   in Loop: Header=BB238_4 Depth=1
	v_mul_f64 v[13:14], v[1:2], v[1:2]
	s_delay_alu instid0(VALU_DEP_1) | instskip(NEXT) | instid1(VALU_DEP_1)
	v_fma_f64 v[15:16], v[13:14], s[88:89], s[86:87]
	v_fma_f64 v[15:16], v[13:14], v[15:16], s[90:91]
	s_delay_alu instid0(VALU_DEP_1) | instskip(NEXT) | instid1(VALU_DEP_1)
	v_fma_f64 v[15:16], v[13:14], v[15:16], s[92:93]
	v_fma_f64 v[15:16], v[13:14], v[15:16], s[94:95]
	;; [unrolled: 3-line block ×5, first 2 shown]
	s_delay_alu instid0(VALU_DEP_1) | instskip(NEXT) | instid1(VALU_DEP_1)
	v_fma_f64 v[13:14], v[13:14], v[15:16], s[10:11]
	v_fma_f64 v[13:14], |v[1:2]|, v[13:14], |v[1:2]|
.LBB238_16:                             ;   in Loop: Header=BB238_4 Depth=1
	s_or_b32 exec_lo, exec_lo, s2
	s_delay_alu instid0(SALU_CYCLE_1)
	s_mov_b32 s15, exec_lo
	v_cmpx_nlt_f64_e64 |v[3:4]|, 1.0
	s_xor_b32 s15, exec_lo, s15
	s_cbranch_execz .LBB238_18
; %bb.17:                               ;   in Loop: Header=BB238_4 Depth=1
	s_mov_b32 s16, 0x502a41cd
	s_mov_b32 s18, 0xc14b24be
	;; [unrolled: 1-line block ×4, first 2 shown]
	s_delay_alu instid0(SALU_CYCLE_1)
	v_fma_f64 v[15:16], |v[3:4]|, s[18:19], s[16:17]
	s_mov_b32 s16, 0xd735f9ec
	s_mov_b32 s17, 0x3d162dee
	s_delay_alu instid0(VALU_DEP_1) | instid1(SALU_CYCLE_1)
	v_fma_f64 v[15:16], |v[3:4]|, v[15:16], s[16:17]
	s_mov_b32 s16, 0x5552ca22
	s_mov_b32 s17, 0xbd61ffe5
	s_delay_alu instid0(VALU_DEP_1) | instid1(SALU_CYCLE_1)
	v_fma_f64 v[15:16], |v[3:4]|, v[15:16], s[16:17]
	s_delay_alu instid0(VALU_DEP_1) | instskip(NEXT) | instid1(VALU_DEP_1)
	v_fma_f64 v[15:16], |v[3:4]|, v[15:16], s[20:21]
	v_fma_f64 v[15:16], |v[3:4]|, v[15:16], s[22:23]
	s_delay_alu instid0(VALU_DEP_1) | instskip(NEXT) | instid1(VALU_DEP_1)
	v_fma_f64 v[15:16], |v[3:4]|, v[15:16], s[24:25]
	;; [unrolled: 3-line block ×10, first 2 shown]
	v_fma_f64 v[15:16], |v[3:4]|, v[15:16], |v[3:4]|
	s_delay_alu instid0(VALU_DEP_1) | instskip(SKIP_2) | instid1(VALU_DEP_3)
	v_mul_f64 v[20:21], v[15:16], s[60:61]
	v_cmp_ngt_f64_e32 vcc_lo, 0xc0900000, v[15:16]
	v_cmp_nlt_f64_e64 s2, 0x4090cc00, v[15:16]
	v_rndne_f64_e32 v[20:21], v[20:21]
	s_delay_alu instid0(VALU_DEP_1) | instskip(SKIP_1) | instid1(VALU_DEP_2)
	v_fma_f64 v[22:23], v[20:21], s[62:63], -v[15:16]
	v_cvt_i32_f64_e32 v1, v[20:21]
	v_fma_f64 v[22:23], v[20:21], s[64:65], v[22:23]
	s_delay_alu instid0(VALU_DEP_1) | instskip(NEXT) | instid1(VALU_DEP_1)
	v_fma_f64 v[24:25], v[22:23], s[68:69], s[66:67]
	v_fma_f64 v[24:25], v[22:23], v[24:25], s[70:71]
	s_delay_alu instid0(VALU_DEP_1) | instskip(NEXT) | instid1(VALU_DEP_1)
	v_fma_f64 v[24:25], v[22:23], v[24:25], s[72:73]
	;; [unrolled: 3-line block ×5, first 2 shown]
	v_fma_f64 v[24:25], v[22:23], v[24:25], 1.0
	s_delay_alu instid0(VALU_DEP_1) | instskip(NEXT) | instid1(VALU_DEP_1)
	v_fma_f64 v[20:21], v[22:23], v[24:25], 1.0
	v_ldexp_f64 v[20:21], v[20:21], v1
	s_delay_alu instid0(VALU_DEP_1) | instskip(NEXT) | instid1(VALU_DEP_1)
	v_add_f64 v[20:21], -v[20:21], 1.0
	v_cndmask_b32_e32 v1, 0xfff00000, v21, vcc_lo
	s_and_b32 vcc_lo, s2, vcc_lo
	s_delay_alu instid0(VALU_DEP_2) | instskip(NEXT) | instid1(VALU_DEP_2)
	v_cndmask_b32_e32 v15, 0, v20, vcc_lo
	v_cndmask_b32_e64 v16, 0x3ff00000, v1, s2
.LBB238_18:                             ;   in Loop: Header=BB238_4 Depth=1
	s_and_not1_saveexec_b32 s2, s15
	s_cbranch_execz .LBB238_3
; %bb.19:                               ;   in Loop: Header=BB238_4 Depth=1
	v_mul_f64 v[15:16], v[3:4], v[3:4]
	s_delay_alu instid0(VALU_DEP_1) | instskip(NEXT) | instid1(VALU_DEP_1)
	v_fma_f64 v[20:21], v[15:16], s[88:89], s[86:87]
	v_fma_f64 v[20:21], v[15:16], v[20:21], s[90:91]
	s_delay_alu instid0(VALU_DEP_1) | instskip(NEXT) | instid1(VALU_DEP_1)
	v_fma_f64 v[20:21], v[15:16], v[20:21], s[92:93]
	v_fma_f64 v[20:21], v[15:16], v[20:21], s[94:95]
	;; [unrolled: 3-line block ×5, first 2 shown]
	s_delay_alu instid0(VALU_DEP_1) | instskip(NEXT) | instid1(VALU_DEP_1)
	v_fma_f64 v[15:16], v[15:16], v[20:21], s[10:11]
	v_fma_f64 v[15:16], |v[3:4]|, v[15:16], |v[3:4]|
	s_branch .LBB238_3
.LBB238_20:
	s_delay_alu instid0(VALU_DEP_1) | instskip(NEXT) | instid1(VALU_DEP_1)
	v_readlane_b32 s0, v45, 6
	s_or_b32 exec_lo, exec_lo, s0
	v_readlane_b32 s0, v45, 4
	s_mov_b32 s2, 0
	v_readlane_b32 s1, v45, 5
.LBB238_21:
	s_and_not1_b32 vcc_lo, exec_lo, s2
	s_cbranch_vccnz .LBB238_57
; %bb.22:
	v_cmp_lt_i64_e64 s2, s[8:9], 1
	s_delay_alu instid0(VALU_DEP_1)
	s_and_b32 vcc_lo, exec_lo, s2
	s_cbranch_vccnz .LBB238_57
; %bb.23:
	s_load_b32 s0, s[0:1], 0xc5c
	v_dual_mov_b32 v2, 0 :: v_dual_lshlrev_b32 v1, 3, v0
	v_cmp_gt_u64_e64 s1, 0x10000, s[8:9]
	v_readlane_b32 s12, v45, 0
	v_readlane_b32 s13, v45, 1
	;; [unrolled: 1-line block ×4, first 2 shown]
	s_mov_b32 s22, 0xa78ce240
	v_add_co_u32 v17, s2, s12, v1
	s_delay_alu instid0(VALU_DEP_1) | instskip(SKIP_1) | instid1(VALU_DEP_1)
	v_add_co_ci_u32_e64 v18, null, s13, 0, s2
	v_add_co_u32 v19, s2, s14, v1
	v_add_co_ci_u32_e64 v20, null, s15, 0, s2
	s_mov_b32 s24, 0xcefddd8
	s_mov_b32 s26, 0x8c94b617
	;; [unrolled: 1-line block ×3, first 2 shown]
	s_waitcnt lgkmcnt(0)
	s_and_b32 s0, s0, 0xffff
	s_and_b32 s1, s1, exec_lo
	v_mad_u64_u32 v[3:4], null, s0, 24, v[1:2]
	s_cselect_b32 s11, s9, 0
	s_cselect_b32 s10, s8, 0x10000
	s_lshl_b32 s3, s0, 4
	s_lshl_b32 s1, s0, 1
	v_add_co_u32 v1, s3, s3, v1
	s_delay_alu instid0(VALU_DEP_2) | instskip(NEXT) | instid1(VALU_DEP_3)
	v_add_co_u32 v21, vcc_lo, s12, v3
	v_add_co_ci_u32_e32 v22, vcc_lo, s13, v4, vcc_lo
	v_add_co_u32 v23, vcc_lo, s14, v3
	v_add_co_ci_u32_e64 v2, null, 0, 0, s3
	s_mul_i32 s2, s0, 3
	s_lshl_b32 vcc_hi, s0, 2
	s_lshl_b32 s33, s0, 5
	v_add_co_u32 v29, s0, v0, s0
	v_add_co_ci_u32_e32 v24, vcc_lo, s15, v4, vcc_lo
	v_add_co_u32 v27, vcc_lo, s12, v1
	v_add_co_ci_u32_e32 v28, vcc_lo, s13, v2, vcc_lo
	v_add_co_u32 v30, vcc_lo, s14, v1
	v_lshlrev_b32_e32 v1, 3, v29
	v_add_co_ci_u32_e64 v32, null, 0, 0, s0
	v_add_co_u32 v33, s0, s1, v0
	s_delay_alu instid0(VALU_DEP_1) | instskip(NEXT) | instid1(VALU_DEP_4)
	v_add_co_ci_u32_e64 v34, null, 0, 0, s0
	v_add_co_u32 v35, s0, s12, v1
	v_add_co_u32 v25, s2, s2, v0
	v_add_co_ci_u32_e64 v36, null, s13, 0, s0
	v_add_co_u32 v37, s0, s14, v1
	v_add_co_ci_u32_e64 v26, null, 0, 0, s2
	v_add_co_ci_u32_e32 v31, vcc_lo, s15, v2, vcc_lo
	v_add_co_ci_u32_e64 v38, null, s15, 0, s0
	s_mov_b32 s30, 0x6f4c5a9b
	s_mov_b32 s34, 0x7cfd79ae
	;; [unrolled: 1-line block ×82, first 2 shown]
	s_mov_b64 s[18:19], 0
	s_branch .LBB238_25
.LBB238_24:                             ;   in Loop: Header=BB238_25 Depth=1
	s_or_b32 exec_lo, exec_lo, s0
	v_add_co_u32 v17, vcc_lo, v17, s33
	v_add_co_ci_u32_e32 v18, vcc_lo, 0, v18, vcc_lo
	v_add_co_u32 v19, vcc_lo, v19, s33
	v_add_co_ci_u32_e32 v20, vcc_lo, 0, v20, vcc_lo
	v_add_co_u32 v21, vcc_lo, v21, s33
	v_add_co_ci_u32_e32 v22, vcc_lo, 0, v22, vcc_lo
	v_add_co_u32 v23, vcc_lo, v23, s33
	v_add_co_ci_u32_e32 v24, vcc_lo, 0, v24, vcc_lo
	v_add_co_u32 v27, vcc_lo, v27, s33
	v_add_co_ci_u32_e32 v28, vcc_lo, 0, v28, vcc_lo
	s_add_u32 s18, s18, vcc_hi
	v_add_co_u32 v30, vcc_lo, v30, s33
	s_addc_u32 s19, s19, 0
	v_add_co_ci_u32_e32 v31, vcc_lo, 0, v31, vcc_lo
	v_cmp_ge_i64_e64 s0, s[18:19], s[8:9]
	v_cmp_lt_u64_e64 s1, 0xffff, s[18:19]
	v_add_co_u32 v35, vcc_lo, v35, s33
	v_add_co_ci_u32_e32 v36, vcc_lo, 0, v36, vcc_lo
	v_add_co_u32 v37, vcc_lo, v37, s33
	v_add_co_ci_u32_e32 v38, vcc_lo, 0, v38, vcc_lo
	s_or_b32 s0, s0, s1
	s_delay_alu instid0(SALU_CYCLE_1)
	s_and_b32 vcc_lo, exec_lo, s0
	s_cbranch_vccnz .LBB238_57
.LBB238_25:                             ; =>This Inner Loop Header: Depth=1
	v_add_co_u32 v3, s0, v0, s18
	s_delay_alu instid0(VALU_DEP_1) | instskip(SKIP_2) | instid1(VALU_DEP_3)
	v_add_co_ci_u32_e64 v4, null, 0, s19, s0
	v_mov_b32_e32 v1, 0
	v_mov_b32_e32 v2, 0
	v_cmp_gt_u64_e32 vcc_lo, s[10:11], v[3:4]
	s_delay_alu instid0(VALU_DEP_2)
	v_dual_mov_b32 v6, v2 :: v_dual_mov_b32 v5, v1
	s_and_saveexec_b32 s1, vcc_lo
	s_cbranch_execz .LBB238_27
; %bb.26:                               ;   in Loop: Header=BB238_25 Depth=1
	v_add_co_u32 v3, s0, v17, s6
	s_delay_alu instid0(VALU_DEP_1)
	v_add_co_ci_u32_e64 v4, s0, s7, v18, s0
	global_load_b64 v[5:6], v[3:4], off
.LBB238_27:                             ;   in Loop: Header=BB238_25 Depth=1
	s_or_b32 exec_lo, exec_lo, s1
	v_add_co_u32 v3, s0, v29, s18
	s_delay_alu instid0(VALU_DEP_1) | instskip(NEXT) | instid1(VALU_DEP_1)
	v_add_co_ci_u32_e64 v4, s0, s19, v32, s0
	v_cmp_gt_u64_e64 s0, s[10:11], v[3:4]
	s_delay_alu instid0(VALU_DEP_1)
	s_and_saveexec_b32 s2, s0
	s_cbranch_execz .LBB238_29
; %bb.28:                               ;   in Loop: Header=BB238_25 Depth=1
	v_add_co_u32 v1, s1, v35, s6
	s_delay_alu instid0(VALU_DEP_1)
	v_add_co_ci_u32_e64 v2, s1, s7, v36, s1
	global_load_b64 v[1:2], v[1:2], off
.LBB238_29:                             ;   in Loop: Header=BB238_25 Depth=1
	s_or_b32 exec_lo, exec_lo, s2
	v_add_co_u32 v7, s1, v33, s18
	s_delay_alu instid0(VALU_DEP_1) | instskip(SKIP_2) | instid1(VALU_DEP_3)
	v_add_co_ci_u32_e64 v8, s1, s19, v34, s1
	v_mov_b32_e32 v3, 0
	v_mov_b32_e32 v4, 0
	v_cmp_gt_u64_e64 s1, s[10:11], v[7:8]
	s_delay_alu instid0(VALU_DEP_2) | instskip(NEXT) | instid1(VALU_DEP_2)
	v_dual_mov_b32 v8, v4 :: v_dual_mov_b32 v7, v3
	s_and_saveexec_b32 s3, s1
	s_cbranch_execz .LBB238_31
; %bb.30:                               ;   in Loop: Header=BB238_25 Depth=1
	v_add_co_u32 v7, s2, v27, s6
	s_delay_alu instid0(VALU_DEP_1)
	v_add_co_ci_u32_e64 v8, s2, s7, v28, s2
	global_load_b64 v[7:8], v[7:8], off
.LBB238_31:                             ;   in Loop: Header=BB238_25 Depth=1
	s_or_b32 exec_lo, exec_lo, s3
	v_add_co_u32 v9, s2, v25, s18
	s_delay_alu instid0(VALU_DEP_1) | instskip(NEXT) | instid1(VALU_DEP_1)
	v_add_co_ci_u32_e64 v10, s2, s19, v26, s2
	v_cmp_gt_u64_e64 s2, s[10:11], v[9:10]
	s_delay_alu instid0(VALU_DEP_1)
	s_and_saveexec_b32 s4, s2
	s_cbranch_execz .LBB238_33
; %bb.32:                               ;   in Loop: Header=BB238_25 Depth=1
	v_add_co_u32 v3, s3, v21, s6
	s_delay_alu instid0(VALU_DEP_1)
	v_add_co_ci_u32_e64 v4, s3, s7, v22, s3
	global_load_b64 v[3:4], v[3:4], off
.LBB238_33:                             ;   in Loop: Header=BB238_25 Depth=1
	s_or_b32 exec_lo, exec_lo, s4
                                        ; implicit-def: $vgpr9_vgpr10
	s_delay_alu instid0(SALU_CYCLE_1)
	s_mov_b32 s4, exec_lo
	s_waitcnt vmcnt(0)
	v_cmpx_nlt_f64_e64 |v[5:6]|, 1.0
	s_xor_b32 s104, exec_lo, s4
	s_cbranch_execz .LBB238_35
; %bb.34:                               ;   in Loop: Header=BB238_25 Depth=1
	s_mov_b32 s4, 0x502a41cd
	s_mov_b32 s20, 0xc14b24be
	;; [unrolled: 1-line block ×4, first 2 shown]
	s_delay_alu instid0(SALU_CYCLE_1)
	v_fma_f64 v[9:10], |v[5:6]|, s[20:21], s[4:5]
	s_mov_b32 s4, 0xd735f9ec
	s_mov_b32 s5, 0x3d162dee
	s_delay_alu instid0(VALU_DEP_1) | instid1(SALU_CYCLE_1)
	v_fma_f64 v[9:10], |v[5:6]|, v[9:10], s[4:5]
	s_mov_b32 s4, 0x5552ca22
	s_mov_b32 s5, 0xbd61ffe5
	s_delay_alu instid0(VALU_DEP_1) | instid1(SALU_CYCLE_1)
	;; [unrolled: 4-line block ×3, first 2 shown]
	v_fma_f64 v[9:10], |v[5:6]|, v[9:10], s[4:5]
	s_delay_alu instid0(VALU_DEP_1) | instskip(NEXT) | instid1(VALU_DEP_1)
	v_fma_f64 v[9:10], |v[5:6]|, v[9:10], s[22:23]
	v_fma_f64 v[9:10], |v[5:6]|, v[9:10], s[24:25]
	s_delay_alu instid0(VALU_DEP_1) | instskip(NEXT) | instid1(VALU_DEP_1)
	v_fma_f64 v[9:10], |v[5:6]|, v[9:10], s[26:27]
	;; [unrolled: 3-line block ×9, first 2 shown]
	v_fma_f64 v[9:10], |v[5:6]|, v[9:10], s[58:59]
	s_delay_alu instid0(VALU_DEP_1) | instskip(NEXT) | instid1(VALU_DEP_1)
	v_fma_f64 v[9:10], |v[5:6]|, v[9:10], |v[5:6]|
	v_mul_f64 v[11:12], v[9:10], s[60:61]
	v_cmp_ngt_f64_e64 s3, 0xc0900000, v[9:10]
	v_cmp_nlt_f64_e64 s4, 0x4090cc00, v[9:10]
	s_delay_alu instid0(VALU_DEP_3) | instskip(NEXT) | instid1(VALU_DEP_1)
	v_rndne_f64_e32 v[11:12], v[11:12]
	v_fma_f64 v[13:14], v[11:12], s[62:63], -v[9:10]
	v_cvt_i32_f64_e32 v39, v[11:12]
	s_delay_alu instid0(VALU_DEP_2) | instskip(NEXT) | instid1(VALU_DEP_1)
	v_fma_f64 v[13:14], v[11:12], s[64:65], v[13:14]
	v_fma_f64 v[15:16], v[13:14], s[68:69], s[66:67]
	s_delay_alu instid0(VALU_DEP_1) | instskip(NEXT) | instid1(VALU_DEP_1)
	v_fma_f64 v[15:16], v[13:14], v[15:16], s[70:71]
	v_fma_f64 v[15:16], v[13:14], v[15:16], s[72:73]
	s_delay_alu instid0(VALU_DEP_1) | instskip(NEXT) | instid1(VALU_DEP_1)
	;; [unrolled: 3-line block ×5, first 2 shown]
	v_fma_f64 v[15:16], v[13:14], v[15:16], 1.0
	v_fma_f64 v[11:12], v[13:14], v[15:16], 1.0
	s_delay_alu instid0(VALU_DEP_1) | instskip(NEXT) | instid1(VALU_DEP_1)
	v_ldexp_f64 v[11:12], v[11:12], v39
	v_add_f64 v[11:12], -v[11:12], 1.0
	s_delay_alu instid0(VALU_DEP_1) | instskip(SKIP_1) | instid1(VALU_DEP_1)
	v_cndmask_b32_e64 v9, 0xfff00000, v12, s3
	s_and_b32 s3, s4, s3
	v_cndmask_b32_e64 v10, 0x3ff00000, v9, s4
	s_delay_alu instid0(VALU_DEP_3)
	v_cndmask_b32_e64 v9, 0, v11, s3
.LBB238_35:                             ;   in Loop: Header=BB238_25 Depth=1
	s_and_not1_saveexec_b32 s3, s104
	s_cbranch_execz .LBB238_37
; %bb.36:                               ;   in Loop: Header=BB238_25 Depth=1
	v_mul_f64 v[9:10], v[5:6], v[5:6]
	s_delay_alu instid0(VALU_DEP_1) | instskip(NEXT) | instid1(VALU_DEP_1)
	v_fma_f64 v[11:12], v[9:10], s[88:89], s[86:87]
	v_fma_f64 v[11:12], v[9:10], v[11:12], s[90:91]
	s_delay_alu instid0(VALU_DEP_1) | instskip(NEXT) | instid1(VALU_DEP_1)
	v_fma_f64 v[11:12], v[9:10], v[11:12], s[92:93]
	v_fma_f64 v[11:12], v[9:10], v[11:12], s[94:95]
	;; [unrolled: 3-line block ×5, first 2 shown]
	s_delay_alu instid0(VALU_DEP_1) | instskip(NEXT) | instid1(VALU_DEP_1)
	v_fma_f64 v[9:10], v[9:10], v[11:12], s[16:17]
	v_fma_f64 v[9:10], |v[5:6]|, v[9:10], |v[5:6]|
.LBB238_37:                             ;   in Loop: Header=BB238_25 Depth=1
	s_or_b32 exec_lo, exec_lo, s3
                                        ; implicit-def: $vgpr11_vgpr12
	s_delay_alu instid0(SALU_CYCLE_1)
	s_mov_b32 s4, exec_lo
	v_cmpx_nlt_f64_e64 |v[1:2]|, 1.0
	s_xor_b32 s104, exec_lo, s4
	s_cbranch_execz .LBB238_39
; %bb.38:                               ;   in Loop: Header=BB238_25 Depth=1
	s_mov_b32 s4, 0x502a41cd
	s_mov_b32 s20, 0xc14b24be
	;; [unrolled: 1-line block ×4, first 2 shown]
	s_delay_alu instid0(SALU_CYCLE_1)
	v_fma_f64 v[11:12], |v[1:2]|, s[20:21], s[4:5]
	s_mov_b32 s4, 0xd735f9ec
	s_mov_b32 s5, 0x3d162dee
	s_delay_alu instid0(VALU_DEP_1) | instid1(SALU_CYCLE_1)
	v_fma_f64 v[11:12], |v[1:2]|, v[11:12], s[4:5]
	s_mov_b32 s4, 0x5552ca22
	s_mov_b32 s5, 0xbd61ffe5
	s_delay_alu instid0(VALU_DEP_1) | instid1(SALU_CYCLE_1)
	v_fma_f64 v[11:12], |v[1:2]|, v[11:12], s[4:5]
	s_mov_b32 s4, 0x7074b644
	s_mov_b32 s5, 0x3da4b9ba
	s_delay_alu instid0(VALU_DEP_1) | instid1(SALU_CYCLE_1)
	v_fma_f64 v[11:12], |v[1:2]|, v[11:12], s[4:5]
	s_delay_alu instid0(VALU_DEP_1) | instskip(NEXT) | instid1(VALU_DEP_1)
	v_fma_f64 v[11:12], |v[1:2]|, v[11:12], s[22:23]
	v_fma_f64 v[11:12], |v[1:2]|, v[11:12], s[24:25]
	s_delay_alu instid0(VALU_DEP_1) | instskip(NEXT) | instid1(VALU_DEP_1)
	v_fma_f64 v[11:12], |v[1:2]|, v[11:12], s[26:27]
	;; [unrolled: 3-line block ×9, first 2 shown]
	v_fma_f64 v[11:12], |v[1:2]|, v[11:12], s[58:59]
	s_delay_alu instid0(VALU_DEP_1) | instskip(NEXT) | instid1(VALU_DEP_1)
	v_fma_f64 v[11:12], |v[1:2]|, v[11:12], |v[1:2]|
	v_mul_f64 v[13:14], v[11:12], s[60:61]
	v_cmp_ngt_f64_e64 s3, 0xc0900000, v[11:12]
	v_cmp_nlt_f64_e64 s4, 0x4090cc00, v[11:12]
	s_delay_alu instid0(VALU_DEP_3) | instskip(NEXT) | instid1(VALU_DEP_1)
	v_rndne_f64_e32 v[13:14], v[13:14]
	v_fma_f64 v[15:16], v[13:14], s[62:63], -v[11:12]
	v_cvt_i32_f64_e32 v5, v[13:14]
	s_delay_alu instid0(VALU_DEP_2) | instskip(NEXT) | instid1(VALU_DEP_1)
	v_fma_f64 v[15:16], v[13:14], s[64:65], v[15:16]
	v_fma_f64 v[39:40], v[15:16], s[68:69], s[66:67]
	s_delay_alu instid0(VALU_DEP_1) | instskip(NEXT) | instid1(VALU_DEP_1)
	v_fma_f64 v[39:40], v[15:16], v[39:40], s[70:71]
	v_fma_f64 v[39:40], v[15:16], v[39:40], s[72:73]
	s_delay_alu instid0(VALU_DEP_1) | instskip(NEXT) | instid1(VALU_DEP_1)
	;; [unrolled: 3-line block ×5, first 2 shown]
	v_fma_f64 v[39:40], v[15:16], v[39:40], 1.0
	v_fma_f64 v[13:14], v[15:16], v[39:40], 1.0
	s_delay_alu instid0(VALU_DEP_1) | instskip(NEXT) | instid1(VALU_DEP_1)
	v_ldexp_f64 v[13:14], v[13:14], v5
	v_add_f64 v[13:14], -v[13:14], 1.0
	s_delay_alu instid0(VALU_DEP_1)
	v_cndmask_b32_e64 v5, 0xfff00000, v14, s3
	s_and_b32 s3, s4, s3
	s_delay_alu instid0(VALU_DEP_2) | instid1(SALU_CYCLE_1)
	v_cndmask_b32_e64 v11, 0, v13, s3
	s_delay_alu instid0(VALU_DEP_2)
	v_cndmask_b32_e64 v12, 0x3ff00000, v5, s4
.LBB238_39:                             ;   in Loop: Header=BB238_25 Depth=1
	s_and_not1_saveexec_b32 s3, s104
	s_cbranch_execz .LBB238_41
; %bb.40:                               ;   in Loop: Header=BB238_25 Depth=1
	v_mul_f64 v[11:12], v[1:2], v[1:2]
	s_delay_alu instid0(VALU_DEP_1) | instskip(NEXT) | instid1(VALU_DEP_1)
	v_fma_f64 v[13:14], v[11:12], s[88:89], s[86:87]
	v_fma_f64 v[13:14], v[11:12], v[13:14], s[90:91]
	s_delay_alu instid0(VALU_DEP_1) | instskip(NEXT) | instid1(VALU_DEP_1)
	v_fma_f64 v[13:14], v[11:12], v[13:14], s[92:93]
	v_fma_f64 v[13:14], v[11:12], v[13:14], s[94:95]
	;; [unrolled: 3-line block ×5, first 2 shown]
	s_delay_alu instid0(VALU_DEP_1) | instskip(NEXT) | instid1(VALU_DEP_1)
	v_fma_f64 v[11:12], v[11:12], v[13:14], s[16:17]
	v_fma_f64 v[11:12], |v[1:2]|, v[11:12], |v[1:2]|
.LBB238_41:                             ;   in Loop: Header=BB238_25 Depth=1
	s_or_b32 exec_lo, exec_lo, s3
                                        ; implicit-def: $vgpr13_vgpr14
	s_delay_alu instid0(SALU_CYCLE_1)
	s_mov_b32 s4, exec_lo
	v_cmpx_nlt_f64_e64 |v[7:8]|, 1.0
	s_xor_b32 s104, exec_lo, s4
	s_cbranch_execz .LBB238_43
; %bb.42:                               ;   in Loop: Header=BB238_25 Depth=1
	s_mov_b32 s4, 0x502a41cd
	s_mov_b32 s20, 0xc14b24be
	;; [unrolled: 1-line block ×4, first 2 shown]
	s_delay_alu instid0(SALU_CYCLE_1)
	v_fma_f64 v[13:14], |v[7:8]|, s[20:21], s[4:5]
	s_mov_b32 s4, 0xd735f9ec
	s_mov_b32 s5, 0x3d162dee
	s_delay_alu instid0(VALU_DEP_1) | instid1(SALU_CYCLE_1)
	v_fma_f64 v[13:14], |v[7:8]|, v[13:14], s[4:5]
	s_mov_b32 s4, 0x5552ca22
	s_mov_b32 s5, 0xbd61ffe5
	s_delay_alu instid0(VALU_DEP_1) | instid1(SALU_CYCLE_1)
	;; [unrolled: 4-line block ×3, first 2 shown]
	v_fma_f64 v[13:14], |v[7:8]|, v[13:14], s[4:5]
	s_delay_alu instid0(VALU_DEP_1) | instskip(NEXT) | instid1(VALU_DEP_1)
	v_fma_f64 v[13:14], |v[7:8]|, v[13:14], s[22:23]
	v_fma_f64 v[13:14], |v[7:8]|, v[13:14], s[24:25]
	s_delay_alu instid0(VALU_DEP_1) | instskip(NEXT) | instid1(VALU_DEP_1)
	v_fma_f64 v[13:14], |v[7:8]|, v[13:14], s[26:27]
	;; [unrolled: 3-line block ×9, first 2 shown]
	v_fma_f64 v[13:14], |v[7:8]|, v[13:14], s[58:59]
	s_delay_alu instid0(VALU_DEP_1) | instskip(NEXT) | instid1(VALU_DEP_1)
	v_fma_f64 v[13:14], |v[7:8]|, v[13:14], |v[7:8]|
	v_mul_f64 v[15:16], v[13:14], s[60:61]
	v_cmp_ngt_f64_e64 s3, 0xc0900000, v[13:14]
	v_cmp_nlt_f64_e64 s4, 0x4090cc00, v[13:14]
	s_delay_alu instid0(VALU_DEP_3) | instskip(NEXT) | instid1(VALU_DEP_1)
	v_rndne_f64_e32 v[15:16], v[15:16]
	v_fma_f64 v[39:40], v[15:16], s[62:63], -v[13:14]
	v_cvt_i32_f64_e32 v1, v[15:16]
	s_delay_alu instid0(VALU_DEP_2) | instskip(NEXT) | instid1(VALU_DEP_1)
	v_fma_f64 v[39:40], v[15:16], s[64:65], v[39:40]
	v_fma_f64 v[41:42], v[39:40], s[68:69], s[66:67]
	s_delay_alu instid0(VALU_DEP_1) | instskip(NEXT) | instid1(VALU_DEP_1)
	v_fma_f64 v[41:42], v[39:40], v[41:42], s[70:71]
	v_fma_f64 v[41:42], v[39:40], v[41:42], s[72:73]
	s_delay_alu instid0(VALU_DEP_1) | instskip(NEXT) | instid1(VALU_DEP_1)
	;; [unrolled: 3-line block ×5, first 2 shown]
	v_fma_f64 v[41:42], v[39:40], v[41:42], 1.0
	v_fma_f64 v[15:16], v[39:40], v[41:42], 1.0
	s_delay_alu instid0(VALU_DEP_1) | instskip(NEXT) | instid1(VALU_DEP_1)
	v_ldexp_f64 v[15:16], v[15:16], v1
	v_add_f64 v[15:16], -v[15:16], 1.0
	s_delay_alu instid0(VALU_DEP_1)
	v_cndmask_b32_e64 v1, 0xfff00000, v16, s3
	s_and_b32 s3, s4, s3
	s_delay_alu instid0(VALU_DEP_2) | instid1(SALU_CYCLE_1)
	v_cndmask_b32_e64 v13, 0, v15, s3
	s_delay_alu instid0(VALU_DEP_2)
	v_cndmask_b32_e64 v14, 0x3ff00000, v1, s4
.LBB238_43:                             ;   in Loop: Header=BB238_25 Depth=1
	s_and_not1_saveexec_b32 s3, s104
	s_cbranch_execz .LBB238_45
; %bb.44:                               ;   in Loop: Header=BB238_25 Depth=1
	v_mul_f64 v[13:14], v[7:8], v[7:8]
	s_delay_alu instid0(VALU_DEP_1) | instskip(NEXT) | instid1(VALU_DEP_1)
	v_fma_f64 v[15:16], v[13:14], s[88:89], s[86:87]
	v_fma_f64 v[15:16], v[13:14], v[15:16], s[90:91]
	s_delay_alu instid0(VALU_DEP_1) | instskip(NEXT) | instid1(VALU_DEP_1)
	v_fma_f64 v[15:16], v[13:14], v[15:16], s[92:93]
	v_fma_f64 v[15:16], v[13:14], v[15:16], s[94:95]
	;; [unrolled: 3-line block ×5, first 2 shown]
	s_delay_alu instid0(VALU_DEP_1) | instskip(NEXT) | instid1(VALU_DEP_1)
	v_fma_f64 v[13:14], v[13:14], v[15:16], s[16:17]
	v_fma_f64 v[13:14], |v[7:8]|, v[13:14], |v[7:8]|
.LBB238_45:                             ;   in Loop: Header=BB238_25 Depth=1
	s_or_b32 exec_lo, exec_lo, s3
                                        ; implicit-def: $vgpr15_vgpr16
	s_delay_alu instid0(SALU_CYCLE_1)
	s_mov_b32 s4, exec_lo
	v_cmpx_nlt_f64_e64 |v[3:4]|, 1.0
	s_xor_b32 s104, exec_lo, s4
	s_cbranch_execnz .LBB238_51
; %bb.46:                               ;   in Loop: Header=BB238_25 Depth=1
	s_and_not1_saveexec_b32 s3, s104
	s_cbranch_execnz .LBB238_52
.LBB238_47:                             ;   in Loop: Header=BB238_25 Depth=1
	s_or_b32 exec_lo, exec_lo, s3
	s_and_saveexec_b32 s3, vcc_lo
	s_delay_alu instid0(SALU_CYCLE_1)
	s_xor_b32 s3, exec_lo, s3
	s_cbranch_execnz .LBB238_53
.LBB238_48:                             ;   in Loop: Header=BB238_25 Depth=1
	s_or_b32 exec_lo, exec_lo, s3
	s_and_saveexec_b32 s3, s0
	s_cbranch_execnz .LBB238_54
.LBB238_49:                             ;   in Loop: Header=BB238_25 Depth=1
	s_or_b32 exec_lo, exec_lo, s3
	s_and_saveexec_b32 s0, s1
	s_cbranch_execnz .LBB238_55
.LBB238_50:                             ;   in Loop: Header=BB238_25 Depth=1
	s_or_b32 exec_lo, exec_lo, s0
	s_and_saveexec_b32 s0, s2
	s_cbranch_execz .LBB238_24
	s_branch .LBB238_56
.LBB238_51:                             ;   in Loop: Header=BB238_25 Depth=1
	s_mov_b32 s4, 0x502a41cd
	s_mov_b32 s20, 0xc14b24be
	;; [unrolled: 1-line block ×4, first 2 shown]
	s_delay_alu instid0(SALU_CYCLE_1)
	v_fma_f64 v[15:16], |v[3:4]|, s[20:21], s[4:5]
	s_mov_b32 s4, 0xd735f9ec
	s_mov_b32 s5, 0x3d162dee
	s_delay_alu instid0(VALU_DEP_1) | instid1(SALU_CYCLE_1)
	v_fma_f64 v[15:16], |v[3:4]|, v[15:16], s[4:5]
	s_mov_b32 s4, 0x5552ca22
	s_mov_b32 s5, 0xbd61ffe5
	s_delay_alu instid0(VALU_DEP_1) | instid1(SALU_CYCLE_1)
	;; [unrolled: 4-line block ×3, first 2 shown]
	v_fma_f64 v[15:16], |v[3:4]|, v[15:16], s[4:5]
	s_delay_alu instid0(VALU_DEP_1) | instskip(NEXT) | instid1(VALU_DEP_1)
	v_fma_f64 v[15:16], |v[3:4]|, v[15:16], s[22:23]
	v_fma_f64 v[15:16], |v[3:4]|, v[15:16], s[24:25]
	s_delay_alu instid0(VALU_DEP_1) | instskip(NEXT) | instid1(VALU_DEP_1)
	v_fma_f64 v[15:16], |v[3:4]|, v[15:16], s[26:27]
	;; [unrolled: 3-line block ×9, first 2 shown]
	v_fma_f64 v[15:16], |v[3:4]|, v[15:16], s[58:59]
	s_delay_alu instid0(VALU_DEP_1) | instskip(NEXT) | instid1(VALU_DEP_1)
	v_fma_f64 v[15:16], |v[3:4]|, v[15:16], |v[3:4]|
	v_mul_f64 v[39:40], v[15:16], s[60:61]
	v_cmp_ngt_f64_e64 s3, 0xc0900000, v[15:16]
	v_cmp_nlt_f64_e64 s4, 0x4090cc00, v[15:16]
	s_delay_alu instid0(VALU_DEP_3) | instskip(NEXT) | instid1(VALU_DEP_1)
	v_rndne_f64_e32 v[39:40], v[39:40]
	v_fma_f64 v[41:42], v[39:40], s[62:63], -v[15:16]
	v_cvt_i32_f64_e32 v1, v[39:40]
	s_delay_alu instid0(VALU_DEP_2) | instskip(NEXT) | instid1(VALU_DEP_1)
	v_fma_f64 v[41:42], v[39:40], s[64:65], v[41:42]
	v_fma_f64 v[43:44], v[41:42], s[68:69], s[66:67]
	s_delay_alu instid0(VALU_DEP_1) | instskip(NEXT) | instid1(VALU_DEP_1)
	v_fma_f64 v[43:44], v[41:42], v[43:44], s[70:71]
	v_fma_f64 v[43:44], v[41:42], v[43:44], s[72:73]
	s_delay_alu instid0(VALU_DEP_1) | instskip(NEXT) | instid1(VALU_DEP_1)
	v_fma_f64 v[43:44], v[41:42], v[43:44], s[74:75]
	v_fma_f64 v[43:44], v[41:42], v[43:44], s[76:77]
	s_delay_alu instid0(VALU_DEP_1) | instskip(NEXT) | instid1(VALU_DEP_1)
	v_fma_f64 v[43:44], v[41:42], v[43:44], s[78:79]
	v_fma_f64 v[43:44], v[41:42], v[43:44], s[80:81]
	s_delay_alu instid0(VALU_DEP_1) | instskip(NEXT) | instid1(VALU_DEP_1)
	v_fma_f64 v[43:44], v[41:42], v[43:44], s[82:83]
	v_fma_f64 v[43:44], v[41:42], v[43:44], s[84:85]
	s_delay_alu instid0(VALU_DEP_1) | instskip(NEXT) | instid1(VALU_DEP_1)
	v_fma_f64 v[43:44], v[41:42], v[43:44], 1.0
	v_fma_f64 v[39:40], v[41:42], v[43:44], 1.0
	s_delay_alu instid0(VALU_DEP_1) | instskip(NEXT) | instid1(VALU_DEP_1)
	v_ldexp_f64 v[39:40], v[39:40], v1
	v_add_f64 v[39:40], -v[39:40], 1.0
	s_delay_alu instid0(VALU_DEP_1)
	v_cndmask_b32_e64 v1, 0xfff00000, v40, s3
	s_and_b32 s3, s4, s3
	s_delay_alu instid0(VALU_DEP_2) | instid1(SALU_CYCLE_1)
	v_cndmask_b32_e64 v15, 0, v39, s3
	s_delay_alu instid0(VALU_DEP_2)
	v_cndmask_b32_e64 v16, 0x3ff00000, v1, s4
	s_and_not1_saveexec_b32 s3, s104
	s_cbranch_execz .LBB238_47
.LBB238_52:                             ;   in Loop: Header=BB238_25 Depth=1
	v_mul_f64 v[15:16], v[3:4], v[3:4]
	s_delay_alu instid0(VALU_DEP_1) | instskip(NEXT) | instid1(VALU_DEP_1)
	v_fma_f64 v[39:40], v[15:16], s[88:89], s[86:87]
	v_fma_f64 v[39:40], v[15:16], v[39:40], s[90:91]
	s_delay_alu instid0(VALU_DEP_1) | instskip(NEXT) | instid1(VALU_DEP_1)
	v_fma_f64 v[39:40], v[15:16], v[39:40], s[92:93]
	v_fma_f64 v[39:40], v[15:16], v[39:40], s[94:95]
	;; [unrolled: 3-line block ×5, first 2 shown]
	s_delay_alu instid0(VALU_DEP_1) | instskip(NEXT) | instid1(VALU_DEP_1)
	v_fma_f64 v[15:16], v[15:16], v[39:40], s[16:17]
	v_fma_f64 v[15:16], |v[3:4]|, v[15:16], |v[3:4]|
	s_or_b32 exec_lo, exec_lo, s3
	s_and_saveexec_b32 s3, vcc_lo
	s_delay_alu instid0(SALU_CYCLE_1)
	s_xor_b32 s3, exec_lo, s3
	s_cbranch_execz .LBB238_48
.LBB238_53:                             ;   in Loop: Header=BB238_25 Depth=1
	v_add_co_u32 v5, vcc_lo, v19, s6
	v_bfi_b32 v10, 0x7fffffff, v10, v6
	v_add_co_ci_u32_e32 v6, vcc_lo, s7, v20, vcc_lo
	global_store_b64 v[5:6], v[9:10], off
	s_or_b32 exec_lo, exec_lo, s3
	s_and_saveexec_b32 s3, s0
	s_cbranch_execz .LBB238_49
.LBB238_54:                             ;   in Loop: Header=BB238_25 Depth=1
	v_add_co_u32 v1, vcc_lo, v37, s6
	s_delay_alu instid0(VALU_DEP_4)
	v_bfi_b32 v12, 0x7fffffff, v12, v2
	v_add_co_ci_u32_e32 v2, vcc_lo, s7, v38, vcc_lo
	global_store_b64 v[1:2], v[11:12], off
	s_or_b32 exec_lo, exec_lo, s3
	s_and_saveexec_b32 s0, s1
	s_cbranch_execz .LBB238_50
.LBB238_55:                             ;   in Loop: Header=BB238_25 Depth=1
	v_add_co_u32 v1, vcc_lo, v30, s6
	s_delay_alu instid0(VALU_DEP_3)
	v_bfi_b32 v14, 0x7fffffff, v14, v8
	v_add_co_ci_u32_e32 v2, vcc_lo, s7, v31, vcc_lo
	global_store_b64 v[1:2], v[13:14], off
	s_or_b32 exec_lo, exec_lo, s0
	s_and_saveexec_b32 s0, s2
	s_cbranch_execz .LBB238_24
.LBB238_56:                             ;   in Loop: Header=BB238_25 Depth=1
	v_add_co_u32 v1, vcc_lo, v23, s6
	s_delay_alu instid0(VALU_DEP_2)
	v_bfi_b32 v16, 0x7fffffff, v16, v4
	v_add_co_ci_u32_e32 v2, vcc_lo, s7, v24, vcc_lo
	global_store_b64 v[1:2], v[15:16], off
	s_branch .LBB238_24
.LBB238_57:
	s_nop 0
	s_sendmsg sendmsg(MSG_DEALLOC_VGPRS)
	s_endpgm
	.section	.rodata,"a",@progbits
	.p2align	6, 0x0
	.amdhsa_kernel _ZN2at6native12_GLOBAL__N_125multi_tensor_apply_kernelINS1_18TensorListMetadataILi2EEENS1_14UnaryOpFunctorIdLi2ELi1ELi1EEEJNS0_3ErfIdEEEEEvT_T0_DpT1_
		.amdhsa_group_segment_fixed_size 0
		.amdhsa_private_segment_fixed_size 0
		.amdhsa_kernarg_size 3408
		.amdhsa_user_sgpr_count 15
		.amdhsa_user_sgpr_dispatch_ptr 0
		.amdhsa_user_sgpr_queue_ptr 0
		.amdhsa_user_sgpr_kernarg_segment_ptr 1
		.amdhsa_user_sgpr_dispatch_id 0
		.amdhsa_user_sgpr_private_segment_size 0
		.amdhsa_wavefront_size32 1
		.amdhsa_uses_dynamic_stack 0
		.amdhsa_enable_private_segment 0
		.amdhsa_system_sgpr_workgroup_id_x 1
		.amdhsa_system_sgpr_workgroup_id_y 0
		.amdhsa_system_sgpr_workgroup_id_z 0
		.amdhsa_system_sgpr_workgroup_info 0
		.amdhsa_system_vgpr_workitem_id 0
		.amdhsa_next_free_vgpr 46
		.amdhsa_next_free_sgpr 105
		.amdhsa_reserve_vcc 1
		.amdhsa_float_round_mode_32 0
		.amdhsa_float_round_mode_16_64 0
		.amdhsa_float_denorm_mode_32 3
		.amdhsa_float_denorm_mode_16_64 3
		.amdhsa_dx10_clamp 1
		.amdhsa_ieee_mode 1
		.amdhsa_fp16_overflow 0
		.amdhsa_workgroup_processor_mode 1
		.amdhsa_memory_ordered 1
		.amdhsa_forward_progress 0
		.amdhsa_shared_vgpr_count 0
		.amdhsa_exception_fp_ieee_invalid_op 0
		.amdhsa_exception_fp_denorm_src 0
		.amdhsa_exception_fp_ieee_div_zero 0
		.amdhsa_exception_fp_ieee_overflow 0
		.amdhsa_exception_fp_ieee_underflow 0
		.amdhsa_exception_fp_ieee_inexact 0
		.amdhsa_exception_int_div_zero 0
	.end_amdhsa_kernel
	.section	.text._ZN2at6native12_GLOBAL__N_125multi_tensor_apply_kernelINS1_18TensorListMetadataILi2EEENS1_14UnaryOpFunctorIdLi2ELi1ELi1EEEJNS0_3ErfIdEEEEEvT_T0_DpT1_,"axG",@progbits,_ZN2at6native12_GLOBAL__N_125multi_tensor_apply_kernelINS1_18TensorListMetadataILi2EEENS1_14UnaryOpFunctorIdLi2ELi1ELi1EEEJNS0_3ErfIdEEEEEvT_T0_DpT1_,comdat
.Lfunc_end238:
	.size	_ZN2at6native12_GLOBAL__N_125multi_tensor_apply_kernelINS1_18TensorListMetadataILi2EEENS1_14UnaryOpFunctorIdLi2ELi1ELi1EEEJNS0_3ErfIdEEEEEvT_T0_DpT1_, .Lfunc_end238-_ZN2at6native12_GLOBAL__N_125multi_tensor_apply_kernelINS1_18TensorListMetadataILi2EEENS1_14UnaryOpFunctorIdLi2ELi1ELi1EEEJNS0_3ErfIdEEEEEvT_T0_DpT1_
                                        ; -- End function
	.section	.AMDGPU.csdata,"",@progbits
; Kernel info:
; codeLenInByte = 8684
; NumSgprs: 107
; NumVgprs: 46
; ScratchSize: 0
; MemoryBound: 1
; FloatMode: 240
; IeeeMode: 1
; LDSByteSize: 0 bytes/workgroup (compile time only)
; SGPRBlocks: 13
; VGPRBlocks: 5
; NumSGPRsForWavesPerEU: 107
; NumVGPRsForWavesPerEU: 46
; Occupancy: 16
; WaveLimiterHint : 0
; COMPUTE_PGM_RSRC2:SCRATCH_EN: 0
; COMPUTE_PGM_RSRC2:USER_SGPR: 15
; COMPUTE_PGM_RSRC2:TRAP_HANDLER: 0
; COMPUTE_PGM_RSRC2:TGID_X_EN: 1
; COMPUTE_PGM_RSRC2:TGID_Y_EN: 0
; COMPUTE_PGM_RSRC2:TGID_Z_EN: 0
; COMPUTE_PGM_RSRC2:TIDIG_COMP_CNT: 0
	.section	.text._ZN2at6native12_GLOBAL__N_125multi_tensor_apply_kernelINS1_18TensorListMetadataILi2EEENS1_14UnaryOpFunctorIfLi2ELi1ELi1EEEJNS0_3ErfIfEEEEEvT_T0_DpT1_,"axG",@progbits,_ZN2at6native12_GLOBAL__N_125multi_tensor_apply_kernelINS1_18TensorListMetadataILi2EEENS1_14UnaryOpFunctorIfLi2ELi1ELi1EEEJNS0_3ErfIfEEEEEvT_T0_DpT1_,comdat
	.globl	_ZN2at6native12_GLOBAL__N_125multi_tensor_apply_kernelINS1_18TensorListMetadataILi2EEENS1_14UnaryOpFunctorIfLi2ELi1ELi1EEEJNS0_3ErfIfEEEEEvT_T0_DpT1_ ; -- Begin function _ZN2at6native12_GLOBAL__N_125multi_tensor_apply_kernelINS1_18TensorListMetadataILi2EEENS1_14UnaryOpFunctorIfLi2ELi1ELi1EEEJNS0_3ErfIfEEEEEvT_T0_DpT1_
	.p2align	8
	.type	_ZN2at6native12_GLOBAL__N_125multi_tensor_apply_kernelINS1_18TensorListMetadataILi2EEENS1_14UnaryOpFunctorIfLi2ELi1ELi1EEEJNS0_3ErfIfEEEEEvT_T0_DpT1_,@function
_ZN2at6native12_GLOBAL__N_125multi_tensor_apply_kernelINS1_18TensorListMetadataILi2EEENS1_14UnaryOpFunctorIfLi2ELi1ELi1EEEJNS0_3ErfIfEEEEEvT_T0_DpT1_: ; @_ZN2at6native12_GLOBAL__N_125multi_tensor_apply_kernelINS1_18TensorListMetadataILi2EEENS1_14UnaryOpFunctorIfLi2ELi1ELi1EEEJNS0_3ErfIfEEEEEvT_T0_DpT1_
; %bb.0:
	v_mov_b32_e32 v1, s15
	s_add_u32 s2, s0, s15
	s_mul_hi_u32 s3, s15, 3
	s_mul_i32 s15, s15, 3
	s_addc_u32 s4, s1, 0
	global_load_u8 v1, v1, s[0:1] offset:1536
	s_add_u32 s2, s2, s15
	s_addc_u32 s3, s4, s3
	s_mov_b32 s19, 0
	s_load_b32 s6, s[2:3], 0x740
	s_mov_b32 s21, s19
	s_mov_b32 s23, s19
	s_waitcnt lgkmcnt(0)
	s_ashr_i32 s7, s6, 31
	s_waitcnt vmcnt(0)
	v_readfirstlane_b32 s5, v1
	s_delay_alu instid0(VALU_DEP_1)
	s_lshl_b32 s2, s5, 3
	s_lshl_b64 s[4:5], s[6:7], 18
	s_clause 0x2
	s_load_b64 s[10:11], s[0:1], s2 offset:0x0
	s_load_b64 s[12:13], s[0:1], s2 offset:0x200
	;; [unrolled: 1-line block ×3, first 2 shown]
	s_mov_b32 s2, -1
	s_waitcnt lgkmcnt(0)
	s_add_u32 s3, s10, s4
	s_addc_u32 s8, s11, s5
	s_and_b32 s18, s3, 15
	s_add_u32 s9, s12, s4
	s_addc_u32 s14, s13, s5
	s_and_b32 s20, s16, 3
	s_and_b32 s22, s9, 15
	s_or_b64 s[18:19], s[18:19], s[20:21]
	s_lshl_b64 s[6:7], s[6:7], 16
	s_or_b64 s[18:19], s[22:23], s[18:19]
	s_sub_u32 s6, s16, s6
	s_subb_u32 s7, s17, s7
	s_cmp_eq_u64 s[18:19], 0
	s_cbranch_scc0 .LBB239_21
; %bb.1:
	v_dual_mov_b32 v6, 0 :: v_dual_lshlrev_b32 v5, 2, v0
	s_mov_b32 s15, exec_lo
	s_delay_alu instid0(VALU_DEP_1)
	v_cmpx_gt_i64_e64 s[6:7], v[5:6]
	s_cbranch_execz .LBB239_20
; %bb.2:
	s_load_b32 s2, s[0:1], 0xc5c
	v_lshlrev_b32_e32 v7, 4, v0
	s_mov_b32 s16, 0
	s_mov_b32 s19, 0x378e98ab
	;; [unrolled: 1-line block ×3, first 2 shown]
	s_waitcnt lgkmcnt(0)
	s_and_b32 s2, s2, 0xffff
	s_delay_alu instid0(SALU_CYCLE_1)
	v_add_lshl_u32 v5, v0, s2, 2
	s_lshl_b32 s17, s2, 2
	s_lshl_b32 s18, s2, 4
	s_branch .LBB239_4
.LBB239_3:                              ;   in Loop: Header=BB239_4 Depth=1
	s_or_b32 exec_lo, exec_lo, s2
	v_cmp_le_i64_e32 vcc_lo, s[6:7], v[5:6]
	v_cmp_lt_u64_e64 s2, 0xffff, v[5:6]
	v_bfi_b32 v1, 0x7fffffff, v8, v1
	v_add_co_u32 v8, s21, s9, v7
	v_bfi_b32 v3, 0x7fffffff, v10, v3
	v_bfi_b32 v2, 0x7fffffff, v9, v2
	s_or_b32 s2, vcc_lo, s2
	s_add_u32 s3, s3, s18
	v_add_co_u32 v5, vcc_lo, v5, s17
	s_addc_u32 s8, s8, 0
	s_add_u32 s9, s9, s18
	v_bfi_b32 v4, 0x7fffffff, v11, v4
	v_add_co_ci_u32_e64 v9, null, s14, 0, s21
	v_add_co_ci_u32_e32 v6, vcc_lo, 0, v6, vcc_lo
	s_addc_u32 s14, s14, 0
	s_and_b32 s2, exec_lo, s2
	global_store_b128 v[8:9], v[1:4], off
	s_or_b32 s16, s2, s16
	s_delay_alu instid0(SALU_CYCLE_1)
	s_and_not1_b32 exec_lo, exec_lo, s16
	s_cbranch_execz .LBB239_20
.LBB239_4:                              ; =>This Inner Loop Header: Depth=1
	v_add_co_u32 v1, s2, s3, v7
	s_delay_alu instid0(VALU_DEP_1) | instskip(SKIP_3) | instid1(VALU_DEP_1)
	v_add_co_ci_u32_e64 v2, null, s8, 0, s2
                                        ; implicit-def: $vgpr8
	global_load_b128 v[1:4], v[1:2], off
	s_waitcnt vmcnt(0)
	v_cmp_nlt_f32_e64 s2, |v1|, 1.0
	s_and_saveexec_b32 s21, s2
	s_delay_alu instid0(SALU_CYCLE_1)
	s_xor_b32 s2, exec_lo, s21
	s_cbranch_execz .LBB239_6
; %bb.5:                                ;   in Loop: Header=BB239_4 Depth=1
	v_fma_f32 v8, |v1|, s19, 0xb9c68948
	s_delay_alu instid0(VALU_DEP_1) | instskip(NEXT) | instid1(VALU_DEP_1)
	v_fma_f32 v8, |v1|, v8, 0x3b7cd369
	v_fma_f32 v8, |v1|, v8, 0xbcc618b2
	s_delay_alu instid0(VALU_DEP_1) | instskip(NEXT) | instid1(VALU_DEP_1)
	v_fma_f32 v8, |v1|, v8, 0x3dda74e4
	;; [unrolled: 3-line block ×3, first 2 shown]
	v_fma_f32 v8, |v1|, v8, |v1|
	s_delay_alu instid0(VALU_DEP_1) | instskip(SKIP_1) | instid1(VALU_DEP_2)
	v_mul_f32_e32 v9, 0xbfb8aa3b, v8
	v_cmp_nlt_f32_e32 vcc_lo, 0x42ce8ed0, v8
	v_fma_f32 v10, 0xbfb8aa3b, v8, -v9
	v_rndne_f32_e32 v11, v9
	s_delay_alu instid0(VALU_DEP_1) | instskip(NEXT) | instid1(VALU_DEP_1)
	v_dual_fmac_f32 v10, 0xb2a5705f, v8 :: v_dual_sub_f32 v9, v9, v11
	v_add_f32_e32 v9, v9, v10
	v_cvt_i32_f32_e32 v10, v11
	s_delay_alu instid0(VALU_DEP_2) | instskip(SKIP_2) | instid1(VALU_DEP_1)
	v_exp_f32_e32 v9, v9
	s_waitcnt_depctr 0xfff
	v_ldexp_f32 v9, v9, v10
	v_cndmask_b32_e32 v9, 0, v9, vcc_lo
	v_cmp_ngt_f32_e32 vcc_lo, 0xc2b17218, v8
	s_delay_alu instid0(VALU_DEP_2) | instskip(NEXT) | instid1(VALU_DEP_1)
	v_cndmask_b32_e32 v8, 0x7f800000, v9, vcc_lo
	v_sub_f32_e32 v8, 1.0, v8
.LBB239_6:                              ;   in Loop: Header=BB239_4 Depth=1
	s_and_not1_saveexec_b32 s2, s2
; %bb.7:                                ;   in Loop: Header=BB239_4 Depth=1
	v_mul_f32_e32 v8, v1, v1
	s_delay_alu instid0(VALU_DEP_1) | instskip(NEXT) | instid1(VALU_DEP_1)
	v_fmaak_f32 v9, s20, v8, 0x3ba10414
	v_fmaak_f32 v9, v8, v9, 0xbcdac9b8
	s_delay_alu instid0(VALU_DEP_1) | instskip(NEXT) | instid1(VALU_DEP_1)
	v_fmaak_f32 v9, v8, v9, 0x3de703be
	v_fmaak_f32 v9, v8, v9, 0xbec09330
	s_delay_alu instid0(VALU_DEP_1) | instskip(NEXT) | instid1(VALU_DEP_1)
	v_fmaak_f32 v8, v8, v9, 0x3e0375d0
	v_fma_f32 v8, |v1|, v8, |v1|
; %bb.8:                                ;   in Loop: Header=BB239_4 Depth=1
	s_or_b32 exec_lo, exec_lo, s2
	v_cmp_nlt_f32_e64 s2, |v2|, 1.0
                                        ; implicit-def: $vgpr9
	s_delay_alu instid0(VALU_DEP_1) | instskip(NEXT) | instid1(SALU_CYCLE_1)
	s_and_saveexec_b32 s21, s2
	s_xor_b32 s2, exec_lo, s21
	s_cbranch_execz .LBB239_10
; %bb.9:                                ;   in Loop: Header=BB239_4 Depth=1
	v_fma_f32 v9, |v2|, s19, 0xb9c68948
	s_delay_alu instid0(VALU_DEP_1) | instskip(NEXT) | instid1(VALU_DEP_1)
	v_fma_f32 v9, |v2|, v9, 0x3b7cd369
	v_fma_f32 v9, |v2|, v9, 0xbcc618b2
	s_delay_alu instid0(VALU_DEP_1) | instskip(NEXT) | instid1(VALU_DEP_1)
	v_fma_f32 v9, |v2|, v9, 0x3dda74e4
	;; [unrolled: 3-line block ×3, first 2 shown]
	v_fma_f32 v9, |v2|, v9, |v2|
	s_delay_alu instid0(VALU_DEP_1) | instskip(SKIP_1) | instid1(VALU_DEP_2)
	v_mul_f32_e32 v10, 0xbfb8aa3b, v9
	v_cmp_nlt_f32_e32 vcc_lo, 0x42ce8ed0, v9
	v_fma_f32 v11, 0xbfb8aa3b, v9, -v10
	v_rndne_f32_e32 v12, v10
	s_delay_alu instid0(VALU_DEP_1) | instskip(NEXT) | instid1(VALU_DEP_1)
	v_dual_fmac_f32 v11, 0xb2a5705f, v9 :: v_dual_sub_f32 v10, v10, v12
	v_add_f32_e32 v10, v10, v11
	v_cvt_i32_f32_e32 v11, v12
	s_delay_alu instid0(VALU_DEP_2) | instskip(SKIP_2) | instid1(VALU_DEP_1)
	v_exp_f32_e32 v10, v10
	s_waitcnt_depctr 0xfff
	v_ldexp_f32 v10, v10, v11
	v_cndmask_b32_e32 v10, 0, v10, vcc_lo
	v_cmp_ngt_f32_e32 vcc_lo, 0xc2b17218, v9
	s_delay_alu instid0(VALU_DEP_2) | instskip(NEXT) | instid1(VALU_DEP_1)
	v_cndmask_b32_e32 v9, 0x7f800000, v10, vcc_lo
	v_sub_f32_e32 v9, 1.0, v9
.LBB239_10:                             ;   in Loop: Header=BB239_4 Depth=1
	s_and_not1_saveexec_b32 s2, s2
; %bb.11:                               ;   in Loop: Header=BB239_4 Depth=1
	v_mul_f32_e32 v9, v2, v2
	s_delay_alu instid0(VALU_DEP_1) | instskip(NEXT) | instid1(VALU_DEP_1)
	v_fmaak_f32 v10, s20, v9, 0x3ba10414
	v_fmaak_f32 v10, v9, v10, 0xbcdac9b8
	s_delay_alu instid0(VALU_DEP_1) | instskip(NEXT) | instid1(VALU_DEP_1)
	v_fmaak_f32 v10, v9, v10, 0x3de703be
	v_fmaak_f32 v10, v9, v10, 0xbec09330
	s_delay_alu instid0(VALU_DEP_1) | instskip(NEXT) | instid1(VALU_DEP_1)
	v_fmaak_f32 v9, v9, v10, 0x3e0375d0
	v_fma_f32 v9, |v2|, v9, |v2|
; %bb.12:                               ;   in Loop: Header=BB239_4 Depth=1
	s_or_b32 exec_lo, exec_lo, s2
	v_cmp_nlt_f32_e64 s2, |v3|, 1.0
                                        ; implicit-def: $vgpr10
	s_delay_alu instid0(VALU_DEP_1) | instskip(NEXT) | instid1(SALU_CYCLE_1)
	s_and_saveexec_b32 s21, s2
	s_xor_b32 s2, exec_lo, s21
	s_cbranch_execz .LBB239_14
; %bb.13:                               ;   in Loop: Header=BB239_4 Depth=1
	v_fma_f32 v10, |v3|, s19, 0xb9c68948
	s_delay_alu instid0(VALU_DEP_1) | instskip(NEXT) | instid1(VALU_DEP_1)
	v_fma_f32 v10, |v3|, v10, 0x3b7cd369
	v_fma_f32 v10, |v3|, v10, 0xbcc618b2
	s_delay_alu instid0(VALU_DEP_1) | instskip(NEXT) | instid1(VALU_DEP_1)
	v_fma_f32 v10, |v3|, v10, 0x3dda74e4
	;; [unrolled: 3-line block ×3, first 2 shown]
	v_fma_f32 v10, |v3|, v10, |v3|
	s_delay_alu instid0(VALU_DEP_1) | instskip(SKIP_1) | instid1(VALU_DEP_2)
	v_mul_f32_e32 v11, 0xbfb8aa3b, v10
	v_cmp_nlt_f32_e32 vcc_lo, 0x42ce8ed0, v10
	v_fma_f32 v12, 0xbfb8aa3b, v10, -v11
	v_rndne_f32_e32 v13, v11
	s_delay_alu instid0(VALU_DEP_1) | instskip(NEXT) | instid1(VALU_DEP_1)
	v_dual_fmac_f32 v12, 0xb2a5705f, v10 :: v_dual_sub_f32 v11, v11, v13
	v_add_f32_e32 v11, v11, v12
	v_cvt_i32_f32_e32 v12, v13
	s_delay_alu instid0(VALU_DEP_2) | instskip(SKIP_2) | instid1(VALU_DEP_1)
	v_exp_f32_e32 v11, v11
	s_waitcnt_depctr 0xfff
	v_ldexp_f32 v11, v11, v12
	v_cndmask_b32_e32 v11, 0, v11, vcc_lo
	v_cmp_ngt_f32_e32 vcc_lo, 0xc2b17218, v10
	s_delay_alu instid0(VALU_DEP_2) | instskip(NEXT) | instid1(VALU_DEP_1)
	v_cndmask_b32_e32 v10, 0x7f800000, v11, vcc_lo
	v_sub_f32_e32 v10, 1.0, v10
.LBB239_14:                             ;   in Loop: Header=BB239_4 Depth=1
	s_and_not1_saveexec_b32 s2, s2
; %bb.15:                               ;   in Loop: Header=BB239_4 Depth=1
	v_mul_f32_e32 v10, v3, v3
	s_delay_alu instid0(VALU_DEP_1) | instskip(NEXT) | instid1(VALU_DEP_1)
	v_fmaak_f32 v11, s20, v10, 0x3ba10414
	v_fmaak_f32 v11, v10, v11, 0xbcdac9b8
	s_delay_alu instid0(VALU_DEP_1) | instskip(NEXT) | instid1(VALU_DEP_1)
	v_fmaak_f32 v11, v10, v11, 0x3de703be
	v_fmaak_f32 v11, v10, v11, 0xbec09330
	s_delay_alu instid0(VALU_DEP_1) | instskip(NEXT) | instid1(VALU_DEP_1)
	v_fmaak_f32 v10, v10, v11, 0x3e0375d0
	v_fma_f32 v10, |v3|, v10, |v3|
; %bb.16:                               ;   in Loop: Header=BB239_4 Depth=1
	s_or_b32 exec_lo, exec_lo, s2
	v_cmp_nlt_f32_e64 s2, |v4|, 1.0
                                        ; implicit-def: $vgpr11
	s_delay_alu instid0(VALU_DEP_1) | instskip(NEXT) | instid1(SALU_CYCLE_1)
	s_and_saveexec_b32 s21, s2
	s_xor_b32 s2, exec_lo, s21
	s_cbranch_execz .LBB239_18
; %bb.17:                               ;   in Loop: Header=BB239_4 Depth=1
	v_fma_f32 v11, |v4|, s19, 0xb9c68948
	s_delay_alu instid0(VALU_DEP_1) | instskip(NEXT) | instid1(VALU_DEP_1)
	v_fma_f32 v11, |v4|, v11, 0x3b7cd369
	v_fma_f32 v11, |v4|, v11, 0xbcc618b2
	s_delay_alu instid0(VALU_DEP_1) | instskip(NEXT) | instid1(VALU_DEP_1)
	v_fma_f32 v11, |v4|, v11, 0x3dda74e4
	;; [unrolled: 3-line block ×3, first 2 shown]
	v_fma_f32 v11, |v4|, v11, |v4|
	s_delay_alu instid0(VALU_DEP_1) | instskip(SKIP_1) | instid1(VALU_DEP_2)
	v_mul_f32_e32 v12, 0xbfb8aa3b, v11
	v_cmp_nlt_f32_e32 vcc_lo, 0x42ce8ed0, v11
	v_fma_f32 v13, 0xbfb8aa3b, v11, -v12
	v_rndne_f32_e32 v14, v12
	s_delay_alu instid0(VALU_DEP_1) | instskip(NEXT) | instid1(VALU_DEP_1)
	v_dual_fmac_f32 v13, 0xb2a5705f, v11 :: v_dual_sub_f32 v12, v12, v14
	v_add_f32_e32 v12, v12, v13
	v_cvt_i32_f32_e32 v13, v14
	s_delay_alu instid0(VALU_DEP_2) | instskip(SKIP_2) | instid1(VALU_DEP_1)
	v_exp_f32_e32 v12, v12
	s_waitcnt_depctr 0xfff
	v_ldexp_f32 v12, v12, v13
	v_cndmask_b32_e32 v12, 0, v12, vcc_lo
	v_cmp_ngt_f32_e32 vcc_lo, 0xc2b17218, v11
	s_delay_alu instid0(VALU_DEP_2) | instskip(NEXT) | instid1(VALU_DEP_1)
	v_cndmask_b32_e32 v11, 0x7f800000, v12, vcc_lo
	v_sub_f32_e32 v11, 1.0, v11
.LBB239_18:                             ;   in Loop: Header=BB239_4 Depth=1
	s_and_not1_saveexec_b32 s2, s2
	s_cbranch_execz .LBB239_3
; %bb.19:                               ;   in Loop: Header=BB239_4 Depth=1
	v_mul_f32_e32 v11, v4, v4
	s_delay_alu instid0(VALU_DEP_1) | instskip(NEXT) | instid1(VALU_DEP_1)
	v_fmaak_f32 v12, s20, v11, 0x3ba10414
	v_fmaak_f32 v12, v11, v12, 0xbcdac9b8
	s_delay_alu instid0(VALU_DEP_1) | instskip(NEXT) | instid1(VALU_DEP_1)
	v_fmaak_f32 v12, v11, v12, 0x3de703be
	v_fmaak_f32 v12, v11, v12, 0xbec09330
	s_delay_alu instid0(VALU_DEP_1) | instskip(NEXT) | instid1(VALU_DEP_1)
	v_fmaak_f32 v11, v11, v12, 0x3e0375d0
	v_fma_f32 v11, |v4|, v11, |v4|
	s_branch .LBB239_3
.LBB239_20:
	s_or_b32 exec_lo, exec_lo, s15
	s_mov_b32 s2, 0
.LBB239_21:
	s_delay_alu instid0(SALU_CYCLE_1)
	s_and_not1_b32 vcc_lo, exec_lo, s2
	s_cbranch_vccnz .LBB239_57
; %bb.22:
	v_cmp_lt_i64_e64 s2, s[6:7], 1
	s_delay_alu instid0(VALU_DEP_1)
	s_and_b32 vcc_lo, exec_lo, s2
	s_cbranch_vccnz .LBB239_57
; %bb.23:
	s_load_b32 s0, s[0:1], 0xc5c
	v_dual_mov_b32 v10, 0 :: v_dual_lshlrev_b32 v9, 2, v0
	v_cmp_gt_u64_e64 s1, 0x10000, s[6:7]
	s_delay_alu instid0(VALU_DEP_2) | instskip(NEXT) | instid1(VALU_DEP_1)
	v_add_co_u32 v1, s2, s10, v9
	v_add_co_ci_u32_e64 v2, null, s11, 0, s2
	v_add_co_u32 v3, s2, s12, v9
	s_delay_alu instid0(VALU_DEP_1)
	v_add_co_ci_u32_e64 v4, null, s13, 0, s2
	s_waitcnt lgkmcnt(0)
	s_and_b32 s0, s0, 0xffff
	s_and_b32 s1, s1, exec_lo
	v_mad_u64_u32 v[7:8], null, s0, 12, v[9:10]
	s_cselect_b32 s9, s7, 0
	s_cselect_b32 s8, s6, 0x10000
	s_lshl_b32 s1, s0, 1
	s_mul_i32 s2, s0, 3
	s_lshl_b32 s14, s0, 2
	s_lshl_b32 s15, s0, 4
	;; [unrolled: 1-line block ×3, first 2 shown]
	v_add_co_u32 v13, s0, v0, s0
	v_add_co_u32 v5, vcc_lo, s10, v7
	v_add_co_u32 v14, s3, s3, v9
	v_add_co_ci_u32_e32 v6, vcc_lo, s11, v8, vcc_lo
	s_delay_alu instid0(VALU_DEP_4)
	v_lshlrev_b32_e32 v21, 2, v13
	v_add_co_u32 v7, vcc_lo, s12, v7
	v_add_co_ci_u32_e64 v15, null, 0, 0, s3
	v_add_co_ci_u32_e32 v8, vcc_lo, s13, v8, vcc_lo
	v_add_co_ci_u32_e64 v16, null, 0, 0, s0
	v_add_co_u32 v17, s0, s1, v0
	v_add_co_u32 v11, vcc_lo, s10, v14
	v_add_co_ci_u32_e64 v18, null, 0, 0, s0
	v_add_co_u32 v19, s0, s10, v21
	v_add_co_ci_u32_e32 v12, vcc_lo, s11, v15, vcc_lo
	v_add_co_u32 v9, s2, s2, v0
	v_add_co_u32 v14, vcc_lo, s12, v14
	v_add_co_ci_u32_e64 v20, null, s11, 0, s0
	v_add_co_u32 v21, s0, s12, v21
	v_add_co_ci_u32_e64 v10, null, 0, 0, s2
	v_add_co_ci_u32_e32 v15, vcc_lo, s13, v15, vcc_lo
	v_add_co_ci_u32_e64 v22, null, s13, 0, s0
	s_mov_b64 s[10:11], 0
	s_mov_b32 s12, 0x378e98ab
	s_mov_b32 s13, 0xba1345e1
	s_branch .LBB239_25
.LBB239_24:                             ;   in Loop: Header=BB239_25 Depth=1
	s_or_b32 exec_lo, exec_lo, s0
	v_add_co_u32 v1, vcc_lo, v1, s15
	v_add_co_ci_u32_e32 v2, vcc_lo, 0, v2, vcc_lo
	v_add_co_u32 v3, vcc_lo, v3, s15
	v_add_co_ci_u32_e32 v4, vcc_lo, 0, v4, vcc_lo
	v_add_co_u32 v5, vcc_lo, v5, s15
	v_add_co_ci_u32_e32 v6, vcc_lo, 0, v6, vcc_lo
	v_add_co_u32 v7, vcc_lo, v7, s15
	v_add_co_ci_u32_e32 v8, vcc_lo, 0, v8, vcc_lo
	v_add_co_u32 v11, vcc_lo, v11, s15
	v_add_co_ci_u32_e32 v12, vcc_lo, 0, v12, vcc_lo
	s_add_u32 s10, s10, s14
	v_add_co_u32 v14, vcc_lo, v14, s15
	s_addc_u32 s11, s11, 0
	v_add_co_ci_u32_e32 v15, vcc_lo, 0, v15, vcc_lo
	v_cmp_ge_i64_e64 s0, s[10:11], s[6:7]
	v_cmp_lt_u64_e64 s1, 0xffff, s[10:11]
	v_add_co_u32 v19, vcc_lo, v19, s15
	v_add_co_ci_u32_e32 v20, vcc_lo, 0, v20, vcc_lo
	v_add_co_u32 v21, vcc_lo, v21, s15
	v_add_co_ci_u32_e32 v22, vcc_lo, 0, v22, vcc_lo
	s_or_b32 s0, s0, s1
	s_delay_alu instid0(SALU_CYCLE_1)
	s_and_b32 vcc_lo, exec_lo, s0
	s_cbranch_vccnz .LBB239_57
.LBB239_25:                             ; =>This Inner Loop Header: Depth=1
	v_add_co_u32 v23, s0, v0, s10
	s_delay_alu instid0(VALU_DEP_1) | instskip(NEXT) | instid1(VALU_DEP_1)
	v_add_co_ci_u32_e64 v24, null, 0, s11, s0
	v_cmp_gt_u64_e32 vcc_lo, s[8:9], v[23:24]
	v_mov_b32_e32 v23, 0
	s_and_saveexec_b32 s1, vcc_lo
	s_cbranch_execz .LBB239_27
; %bb.26:                               ;   in Loop: Header=BB239_25 Depth=1
	v_add_co_u32 v23, s0, v1, s4
	s_delay_alu instid0(VALU_DEP_1)
	v_add_co_ci_u32_e64 v24, s0, s5, v2, s0
	global_load_b32 v23, v[23:24], off
.LBB239_27:                             ;   in Loop: Header=BB239_25 Depth=1
	s_or_b32 exec_lo, exec_lo, s1
	v_add_co_u32 v24, s0, v13, s10
	s_delay_alu instid0(VALU_DEP_1) | instskip(NEXT) | instid1(VALU_DEP_1)
	v_add_co_ci_u32_e64 v25, s0, s11, v16, s0
	v_cmp_gt_u64_e64 s0, s[8:9], v[24:25]
	v_mov_b32_e32 v25, 0
	s_delay_alu instid0(VALU_DEP_2)
	s_and_saveexec_b32 s2, s0
	s_cbranch_execz .LBB239_29
; %bb.28:                               ;   in Loop: Header=BB239_25 Depth=1
	v_add_co_u32 v24, s1, v19, s4
	s_delay_alu instid0(VALU_DEP_1)
	v_add_co_ci_u32_e64 v25, s1, s5, v20, s1
	global_load_b32 v25, v[24:25], off
.LBB239_29:                             ;   in Loop: Header=BB239_25 Depth=1
	s_or_b32 exec_lo, exec_lo, s2
	v_add_co_u32 v26, s1, v17, s10
	s_delay_alu instid0(VALU_DEP_1) | instskip(SKIP_1) | instid1(VALU_DEP_2)
	v_add_co_ci_u32_e64 v27, s1, s11, v18, s1
	v_mov_b32_e32 v24, 0
	v_cmp_gt_u64_e64 s1, s[8:9], v[26:27]
	v_mov_b32_e32 v26, 0
	s_delay_alu instid0(VALU_DEP_2)
	s_and_saveexec_b32 s3, s1
	s_cbranch_execz .LBB239_31
; %bb.30:                               ;   in Loop: Header=BB239_25 Depth=1
	v_add_co_u32 v26, s2, v11, s4
	s_delay_alu instid0(VALU_DEP_1)
	v_add_co_ci_u32_e64 v27, s2, s5, v12, s2
	global_load_b32 v26, v[26:27], off
.LBB239_31:                             ;   in Loop: Header=BB239_25 Depth=1
	s_or_b32 exec_lo, exec_lo, s3
	v_add_co_u32 v27, s2, v9, s10
	s_delay_alu instid0(VALU_DEP_1) | instskip(NEXT) | instid1(VALU_DEP_1)
	v_add_co_ci_u32_e64 v28, s2, s11, v10, s2
	v_cmp_gt_u64_e64 s2, s[8:9], v[27:28]
	s_delay_alu instid0(VALU_DEP_1)
	s_and_saveexec_b32 s16, s2
	s_cbranch_execz .LBB239_33
; %bb.32:                               ;   in Loop: Header=BB239_25 Depth=1
	v_add_co_u32 v27, s3, v5, s4
	s_delay_alu instid0(VALU_DEP_1)
	v_add_co_ci_u32_e64 v28, s3, s5, v6, s3
	global_load_b32 v24, v[27:28], off
.LBB239_33:                             ;   in Loop: Header=BB239_25 Depth=1
	s_or_b32 exec_lo, exec_lo, s16
	s_delay_alu instid0(SALU_CYCLE_1)
	s_mov_b32 s16, exec_lo
                                        ; implicit-def: $vgpr27
	s_waitcnt vmcnt(0)
	v_cmpx_nlt_f32_e64 |v23|, 1.0
	s_xor_b32 s16, exec_lo, s16
	s_cbranch_execz .LBB239_35
; %bb.34:                               ;   in Loop: Header=BB239_25 Depth=1
	v_fma_f32 v27, |v23|, s12, 0xb9c68948
	s_delay_alu instid0(VALU_DEP_1) | instskip(NEXT) | instid1(VALU_DEP_1)
	v_fma_f32 v27, |v23|, v27, 0x3b7cd369
	v_fma_f32 v27, |v23|, v27, 0xbcc618b2
	s_delay_alu instid0(VALU_DEP_1) | instskip(NEXT) | instid1(VALU_DEP_1)
	v_fma_f32 v27, |v23|, v27, 0x3dda74e4
	;; [unrolled: 3-line block ×3, first 2 shown]
	v_fma_f32 v27, |v23|, v27, |v23|
	s_delay_alu instid0(VALU_DEP_1) | instskip(SKIP_1) | instid1(VALU_DEP_2)
	v_mul_f32_e32 v28, 0xbfb8aa3b, v27
	v_cmp_nlt_f32_e64 s3, 0x42ce8ed0, v27
	v_fma_f32 v29, 0xbfb8aa3b, v27, -v28
	v_rndne_f32_e32 v30, v28
	s_delay_alu instid0(VALU_DEP_1) | instskip(NEXT) | instid1(VALU_DEP_1)
	v_dual_fmac_f32 v29, 0xb2a5705f, v27 :: v_dual_sub_f32 v28, v28, v30
	v_add_f32_e32 v28, v28, v29
	v_cvt_i32_f32_e32 v29, v30
	s_delay_alu instid0(VALU_DEP_2) | instskip(SKIP_2) | instid1(VALU_DEP_1)
	v_exp_f32_e32 v28, v28
	s_waitcnt_depctr 0xfff
	v_ldexp_f32 v28, v28, v29
	v_cndmask_b32_e64 v28, 0, v28, s3
	v_cmp_ngt_f32_e64 s3, 0xc2b17218, v27
	s_delay_alu instid0(VALU_DEP_1) | instskip(NEXT) | instid1(VALU_DEP_1)
	v_cndmask_b32_e64 v27, 0x7f800000, v28, s3
	v_sub_f32_e32 v27, 1.0, v27
.LBB239_35:                             ;   in Loop: Header=BB239_25 Depth=1
	s_and_not1_saveexec_b32 s3, s16
; %bb.36:                               ;   in Loop: Header=BB239_25 Depth=1
	v_mul_f32_e32 v27, v23, v23
	s_delay_alu instid0(VALU_DEP_1) | instskip(NEXT) | instid1(VALU_DEP_1)
	v_fmaak_f32 v28, s13, v27, 0x3ba10414
	v_fmaak_f32 v28, v27, v28, 0xbcdac9b8
	s_delay_alu instid0(VALU_DEP_1) | instskip(NEXT) | instid1(VALU_DEP_1)
	v_fmaak_f32 v28, v27, v28, 0x3de703be
	v_fmaak_f32 v28, v27, v28, 0xbec09330
	s_delay_alu instid0(VALU_DEP_1) | instskip(NEXT) | instid1(VALU_DEP_1)
	v_fmaak_f32 v27, v27, v28, 0x3e0375d0
	v_fma_f32 v27, |v23|, v27, |v23|
; %bb.37:                               ;   in Loop: Header=BB239_25 Depth=1
	s_or_b32 exec_lo, exec_lo, s3
	s_delay_alu instid0(SALU_CYCLE_1)
	s_mov_b32 s16, exec_lo
                                        ; implicit-def: $vgpr28
	v_cmpx_nlt_f32_e64 |v25|, 1.0
	s_xor_b32 s16, exec_lo, s16
	s_cbranch_execz .LBB239_39
; %bb.38:                               ;   in Loop: Header=BB239_25 Depth=1
	v_fma_f32 v28, |v25|, s12, 0xb9c68948
	s_delay_alu instid0(VALU_DEP_1) | instskip(NEXT) | instid1(VALU_DEP_1)
	v_fma_f32 v28, |v25|, v28, 0x3b7cd369
	v_fma_f32 v28, |v25|, v28, 0xbcc618b2
	s_delay_alu instid0(VALU_DEP_1) | instskip(NEXT) | instid1(VALU_DEP_1)
	v_fma_f32 v28, |v25|, v28, 0x3dda74e4
	;; [unrolled: 3-line block ×3, first 2 shown]
	v_fma_f32 v28, |v25|, v28, |v25|
	s_delay_alu instid0(VALU_DEP_1) | instskip(SKIP_1) | instid1(VALU_DEP_2)
	v_mul_f32_e32 v29, 0xbfb8aa3b, v28
	v_cmp_nlt_f32_e64 s3, 0x42ce8ed0, v28
	v_fma_f32 v30, 0xbfb8aa3b, v28, -v29
	v_rndne_f32_e32 v31, v29
	s_delay_alu instid0(VALU_DEP_1) | instskip(NEXT) | instid1(VALU_DEP_1)
	v_dual_fmac_f32 v30, 0xb2a5705f, v28 :: v_dual_sub_f32 v29, v29, v31
	v_add_f32_e32 v29, v29, v30
	v_cvt_i32_f32_e32 v30, v31
	s_delay_alu instid0(VALU_DEP_2) | instskip(SKIP_2) | instid1(VALU_DEP_1)
	v_exp_f32_e32 v29, v29
	s_waitcnt_depctr 0xfff
	v_ldexp_f32 v29, v29, v30
	v_cndmask_b32_e64 v29, 0, v29, s3
	v_cmp_ngt_f32_e64 s3, 0xc2b17218, v28
	s_delay_alu instid0(VALU_DEP_1) | instskip(NEXT) | instid1(VALU_DEP_1)
	v_cndmask_b32_e64 v28, 0x7f800000, v29, s3
	v_sub_f32_e32 v28, 1.0, v28
.LBB239_39:                             ;   in Loop: Header=BB239_25 Depth=1
	s_and_not1_saveexec_b32 s3, s16
; %bb.40:                               ;   in Loop: Header=BB239_25 Depth=1
	v_mul_f32_e32 v28, v25, v25
	s_delay_alu instid0(VALU_DEP_1) | instskip(NEXT) | instid1(VALU_DEP_1)
	v_fmaak_f32 v29, s13, v28, 0x3ba10414
	v_fmaak_f32 v29, v28, v29, 0xbcdac9b8
	s_delay_alu instid0(VALU_DEP_1) | instskip(NEXT) | instid1(VALU_DEP_1)
	v_fmaak_f32 v29, v28, v29, 0x3de703be
	v_fmaak_f32 v29, v28, v29, 0xbec09330
	s_delay_alu instid0(VALU_DEP_1) | instskip(NEXT) | instid1(VALU_DEP_1)
	v_fmaak_f32 v28, v28, v29, 0x3e0375d0
	v_fma_f32 v28, |v25|, v28, |v25|
; %bb.41:                               ;   in Loop: Header=BB239_25 Depth=1
	s_or_b32 exec_lo, exec_lo, s3
	s_delay_alu instid0(SALU_CYCLE_1)
	s_mov_b32 s16, exec_lo
                                        ; implicit-def: $vgpr29
	v_cmpx_nlt_f32_e64 |v26|, 1.0
	s_xor_b32 s16, exec_lo, s16
	s_cbranch_execz .LBB239_43
; %bb.42:                               ;   in Loop: Header=BB239_25 Depth=1
	v_fma_f32 v29, |v26|, s12, 0xb9c68948
	s_delay_alu instid0(VALU_DEP_1) | instskip(NEXT) | instid1(VALU_DEP_1)
	v_fma_f32 v29, |v26|, v29, 0x3b7cd369
	v_fma_f32 v29, |v26|, v29, 0xbcc618b2
	s_delay_alu instid0(VALU_DEP_1) | instskip(NEXT) | instid1(VALU_DEP_1)
	v_fma_f32 v29, |v26|, v29, 0x3dda74e4
	;; [unrolled: 3-line block ×3, first 2 shown]
	v_fma_f32 v29, |v26|, v29, |v26|
	s_delay_alu instid0(VALU_DEP_1) | instskip(SKIP_1) | instid1(VALU_DEP_2)
	v_mul_f32_e32 v30, 0xbfb8aa3b, v29
	v_cmp_nlt_f32_e64 s3, 0x42ce8ed0, v29
	v_fma_f32 v31, 0xbfb8aa3b, v29, -v30
	v_rndne_f32_e32 v32, v30
	s_delay_alu instid0(VALU_DEP_1) | instskip(NEXT) | instid1(VALU_DEP_1)
	v_dual_fmac_f32 v31, 0xb2a5705f, v29 :: v_dual_sub_f32 v30, v30, v32
	v_add_f32_e32 v30, v30, v31
	v_cvt_i32_f32_e32 v31, v32
	s_delay_alu instid0(VALU_DEP_2) | instskip(SKIP_2) | instid1(VALU_DEP_1)
	v_exp_f32_e32 v30, v30
	s_waitcnt_depctr 0xfff
	v_ldexp_f32 v30, v30, v31
	v_cndmask_b32_e64 v30, 0, v30, s3
	v_cmp_ngt_f32_e64 s3, 0xc2b17218, v29
	s_delay_alu instid0(VALU_DEP_1) | instskip(NEXT) | instid1(VALU_DEP_1)
	v_cndmask_b32_e64 v29, 0x7f800000, v30, s3
	v_sub_f32_e32 v29, 1.0, v29
.LBB239_43:                             ;   in Loop: Header=BB239_25 Depth=1
	s_and_not1_saveexec_b32 s3, s16
; %bb.44:                               ;   in Loop: Header=BB239_25 Depth=1
	v_mul_f32_e32 v29, v26, v26
	s_delay_alu instid0(VALU_DEP_1) | instskip(NEXT) | instid1(VALU_DEP_1)
	v_fmaak_f32 v30, s13, v29, 0x3ba10414
	v_fmaak_f32 v30, v29, v30, 0xbcdac9b8
	s_delay_alu instid0(VALU_DEP_1) | instskip(NEXT) | instid1(VALU_DEP_1)
	v_fmaak_f32 v30, v29, v30, 0x3de703be
	v_fmaak_f32 v30, v29, v30, 0xbec09330
	s_delay_alu instid0(VALU_DEP_1) | instskip(NEXT) | instid1(VALU_DEP_1)
	v_fmaak_f32 v29, v29, v30, 0x3e0375d0
	v_fma_f32 v29, |v26|, v29, |v26|
; %bb.45:                               ;   in Loop: Header=BB239_25 Depth=1
	s_or_b32 exec_lo, exec_lo, s3
	s_delay_alu instid0(SALU_CYCLE_1)
	s_mov_b32 s16, exec_lo
                                        ; implicit-def: $vgpr30
	v_cmpx_nlt_f32_e64 |v24|, 1.0
	s_xor_b32 s16, exec_lo, s16
	s_cbranch_execnz .LBB239_51
; %bb.46:                               ;   in Loop: Header=BB239_25 Depth=1
	s_and_not1_saveexec_b32 s3, s16
	s_cbranch_execnz .LBB239_52
.LBB239_47:                             ;   in Loop: Header=BB239_25 Depth=1
	s_or_b32 exec_lo, exec_lo, s3
	s_and_saveexec_b32 s3, vcc_lo
	s_delay_alu instid0(SALU_CYCLE_1)
	s_xor_b32 s3, exec_lo, s3
	s_cbranch_execnz .LBB239_53
.LBB239_48:                             ;   in Loop: Header=BB239_25 Depth=1
	s_or_b32 exec_lo, exec_lo, s3
	s_and_saveexec_b32 s3, s0
	s_cbranch_execnz .LBB239_54
.LBB239_49:                             ;   in Loop: Header=BB239_25 Depth=1
	s_or_b32 exec_lo, exec_lo, s3
	s_and_saveexec_b32 s0, s1
	s_cbranch_execnz .LBB239_55
.LBB239_50:                             ;   in Loop: Header=BB239_25 Depth=1
	s_or_b32 exec_lo, exec_lo, s0
	s_and_saveexec_b32 s0, s2
	s_cbranch_execz .LBB239_24
	s_branch .LBB239_56
.LBB239_51:                             ;   in Loop: Header=BB239_25 Depth=1
	v_fma_f32 v30, |v24|, s12, 0xb9c68948
	s_delay_alu instid0(VALU_DEP_1) | instskip(NEXT) | instid1(VALU_DEP_1)
	v_fma_f32 v30, |v24|, v30, 0x3b7cd369
	v_fma_f32 v30, |v24|, v30, 0xbcc618b2
	s_delay_alu instid0(VALU_DEP_1) | instskip(NEXT) | instid1(VALU_DEP_1)
	v_fma_f32 v30, |v24|, v30, 0x3dda74e4
	;; [unrolled: 3-line block ×3, first 2 shown]
	v_fma_f32 v30, |v24|, v30, |v24|
	s_delay_alu instid0(VALU_DEP_1) | instskip(SKIP_1) | instid1(VALU_DEP_2)
	v_mul_f32_e32 v31, 0xbfb8aa3b, v30
	v_cmp_nlt_f32_e64 s3, 0x42ce8ed0, v30
	v_fma_f32 v32, 0xbfb8aa3b, v30, -v31
	v_rndne_f32_e32 v33, v31
	s_delay_alu instid0(VALU_DEP_1) | instskip(NEXT) | instid1(VALU_DEP_1)
	v_dual_fmac_f32 v32, 0xb2a5705f, v30 :: v_dual_sub_f32 v31, v31, v33
	v_add_f32_e32 v31, v31, v32
	v_cvt_i32_f32_e32 v32, v33
	s_delay_alu instid0(VALU_DEP_2) | instskip(SKIP_2) | instid1(VALU_DEP_1)
	v_exp_f32_e32 v31, v31
	s_waitcnt_depctr 0xfff
	v_ldexp_f32 v31, v31, v32
	v_cndmask_b32_e64 v31, 0, v31, s3
	v_cmp_ngt_f32_e64 s3, 0xc2b17218, v30
	s_delay_alu instid0(VALU_DEP_1) | instskip(NEXT) | instid1(VALU_DEP_1)
	v_cndmask_b32_e64 v30, 0x7f800000, v31, s3
	v_sub_f32_e32 v30, 1.0, v30
	s_and_not1_saveexec_b32 s3, s16
	s_cbranch_execz .LBB239_47
.LBB239_52:                             ;   in Loop: Header=BB239_25 Depth=1
	v_mul_f32_e32 v30, v24, v24
	s_delay_alu instid0(VALU_DEP_1) | instskip(NEXT) | instid1(VALU_DEP_1)
	v_fmaak_f32 v31, s13, v30, 0x3ba10414
	v_fmaak_f32 v31, v30, v31, 0xbcdac9b8
	s_delay_alu instid0(VALU_DEP_1) | instskip(NEXT) | instid1(VALU_DEP_1)
	v_fmaak_f32 v31, v30, v31, 0x3de703be
	v_fmaak_f32 v31, v30, v31, 0xbec09330
	s_delay_alu instid0(VALU_DEP_1) | instskip(NEXT) | instid1(VALU_DEP_1)
	v_fmaak_f32 v30, v30, v31, 0x3e0375d0
	v_fma_f32 v30, |v24|, v30, |v24|
	s_or_b32 exec_lo, exec_lo, s3
	s_and_saveexec_b32 s3, vcc_lo
	s_delay_alu instid0(SALU_CYCLE_1)
	s_xor_b32 s3, exec_lo, s3
	s_cbranch_execz .LBB239_48
.LBB239_53:                             ;   in Loop: Header=BB239_25 Depth=1
	v_add_co_u32 v31, vcc_lo, v3, s4
	v_bfi_b32 v23, 0x7fffffff, v27, v23
	v_add_co_ci_u32_e32 v32, vcc_lo, s5, v4, vcc_lo
	global_store_b32 v[31:32], v23, off
	s_or_b32 exec_lo, exec_lo, s3
	s_and_saveexec_b32 s3, s0
	s_cbranch_execz .LBB239_49
.LBB239_54:                             ;   in Loop: Header=BB239_25 Depth=1
	v_add_co_u32 v27, vcc_lo, v21, s4
	v_bfi_b32 v23, 0x7fffffff, v28, v25
	v_add_co_ci_u32_e32 v28, vcc_lo, s5, v22, vcc_lo
	global_store_b32 v[27:28], v23, off
	s_or_b32 exec_lo, exec_lo, s3
	s_and_saveexec_b32 s0, s1
	s_cbranch_execz .LBB239_50
.LBB239_55:                             ;   in Loop: Header=BB239_25 Depth=1
	v_add_co_u32 v25, vcc_lo, v14, s4
	v_bfi_b32 v23, 0x7fffffff, v29, v26
	v_add_co_ci_u32_e32 v26, vcc_lo, s5, v15, vcc_lo
	global_store_b32 v[25:26], v23, off
	s_or_b32 exec_lo, exec_lo, s0
	s_and_saveexec_b32 s0, s2
	s_cbranch_execz .LBB239_24
.LBB239_56:                             ;   in Loop: Header=BB239_25 Depth=1
	v_add_co_u32 v23, vcc_lo, v7, s4
	v_bfi_b32 v25, 0x7fffffff, v30, v24
	v_add_co_ci_u32_e32 v24, vcc_lo, s5, v8, vcc_lo
	global_store_b32 v[23:24], v25, off
	s_branch .LBB239_24
.LBB239_57:
	s_nop 0
	s_sendmsg sendmsg(MSG_DEALLOC_VGPRS)
	s_endpgm
	.section	.rodata,"a",@progbits
	.p2align	6, 0x0
	.amdhsa_kernel _ZN2at6native12_GLOBAL__N_125multi_tensor_apply_kernelINS1_18TensorListMetadataILi2EEENS1_14UnaryOpFunctorIfLi2ELi1ELi1EEEJNS0_3ErfIfEEEEEvT_T0_DpT1_
		.amdhsa_group_segment_fixed_size 0
		.amdhsa_private_segment_fixed_size 0
		.amdhsa_kernarg_size 3408
		.amdhsa_user_sgpr_count 15
		.amdhsa_user_sgpr_dispatch_ptr 0
		.amdhsa_user_sgpr_queue_ptr 0
		.amdhsa_user_sgpr_kernarg_segment_ptr 1
		.amdhsa_user_sgpr_dispatch_id 0
		.amdhsa_user_sgpr_private_segment_size 0
		.amdhsa_wavefront_size32 1
		.amdhsa_uses_dynamic_stack 0
		.amdhsa_enable_private_segment 0
		.amdhsa_system_sgpr_workgroup_id_x 1
		.amdhsa_system_sgpr_workgroup_id_y 0
		.amdhsa_system_sgpr_workgroup_id_z 0
		.amdhsa_system_sgpr_workgroup_info 0
		.amdhsa_system_vgpr_workitem_id 0
		.amdhsa_next_free_vgpr 34
		.amdhsa_next_free_sgpr 24
		.amdhsa_reserve_vcc 1
		.amdhsa_float_round_mode_32 0
		.amdhsa_float_round_mode_16_64 0
		.amdhsa_float_denorm_mode_32 3
		.amdhsa_float_denorm_mode_16_64 3
		.amdhsa_dx10_clamp 1
		.amdhsa_ieee_mode 1
		.amdhsa_fp16_overflow 0
		.amdhsa_workgroup_processor_mode 1
		.amdhsa_memory_ordered 1
		.amdhsa_forward_progress 0
		.amdhsa_shared_vgpr_count 0
		.amdhsa_exception_fp_ieee_invalid_op 0
		.amdhsa_exception_fp_denorm_src 0
		.amdhsa_exception_fp_ieee_div_zero 0
		.amdhsa_exception_fp_ieee_overflow 0
		.amdhsa_exception_fp_ieee_underflow 0
		.amdhsa_exception_fp_ieee_inexact 0
		.amdhsa_exception_int_div_zero 0
	.end_amdhsa_kernel
	.section	.text._ZN2at6native12_GLOBAL__N_125multi_tensor_apply_kernelINS1_18TensorListMetadataILi2EEENS1_14UnaryOpFunctorIfLi2ELi1ELi1EEEJNS0_3ErfIfEEEEEvT_T0_DpT1_,"axG",@progbits,_ZN2at6native12_GLOBAL__N_125multi_tensor_apply_kernelINS1_18TensorListMetadataILi2EEENS1_14UnaryOpFunctorIfLi2ELi1ELi1EEEJNS0_3ErfIfEEEEEvT_T0_DpT1_,comdat
.Lfunc_end239:
	.size	_ZN2at6native12_GLOBAL__N_125multi_tensor_apply_kernelINS1_18TensorListMetadataILi2EEENS1_14UnaryOpFunctorIfLi2ELi1ELi1EEEJNS0_3ErfIfEEEEEvT_T0_DpT1_, .Lfunc_end239-_ZN2at6native12_GLOBAL__N_125multi_tensor_apply_kernelINS1_18TensorListMetadataILi2EEENS1_14UnaryOpFunctorIfLi2ELi1ELi1EEEJNS0_3ErfIfEEEEEvT_T0_DpT1_
                                        ; -- End function
	.section	.AMDGPU.csdata,"",@progbits
; Kernel info:
; codeLenInByte = 3936
; NumSgprs: 26
; NumVgprs: 34
; ScratchSize: 0
; MemoryBound: 0
; FloatMode: 240
; IeeeMode: 1
; LDSByteSize: 0 bytes/workgroup (compile time only)
; SGPRBlocks: 3
; VGPRBlocks: 4
; NumSGPRsForWavesPerEU: 26
; NumVGPRsForWavesPerEU: 34
; Occupancy: 16
; WaveLimiterHint : 0
; COMPUTE_PGM_RSRC2:SCRATCH_EN: 0
; COMPUTE_PGM_RSRC2:USER_SGPR: 15
; COMPUTE_PGM_RSRC2:TRAP_HANDLER: 0
; COMPUTE_PGM_RSRC2:TGID_X_EN: 1
; COMPUTE_PGM_RSRC2:TGID_Y_EN: 0
; COMPUTE_PGM_RSRC2:TGID_Z_EN: 0
; COMPUTE_PGM_RSRC2:TIDIG_COMP_CNT: 0
	.section	.text._ZN2at6native12_GLOBAL__N_125multi_tensor_apply_kernelINS1_18TensorListMetadataILi2EEENS1_14UnaryOpFunctorIN3c104HalfELi2ELi1ELi1EEEJNS0_3ErfIfEEEEEvT_T0_DpT1_,"axG",@progbits,_ZN2at6native12_GLOBAL__N_125multi_tensor_apply_kernelINS1_18TensorListMetadataILi2EEENS1_14UnaryOpFunctorIN3c104HalfELi2ELi1ELi1EEEJNS0_3ErfIfEEEEEvT_T0_DpT1_,comdat
	.globl	_ZN2at6native12_GLOBAL__N_125multi_tensor_apply_kernelINS1_18TensorListMetadataILi2EEENS1_14UnaryOpFunctorIN3c104HalfELi2ELi1ELi1EEEJNS0_3ErfIfEEEEEvT_T0_DpT1_ ; -- Begin function _ZN2at6native12_GLOBAL__N_125multi_tensor_apply_kernelINS1_18TensorListMetadataILi2EEENS1_14UnaryOpFunctorIN3c104HalfELi2ELi1ELi1EEEJNS0_3ErfIfEEEEEvT_T0_DpT1_
	.p2align	8
	.type	_ZN2at6native12_GLOBAL__N_125multi_tensor_apply_kernelINS1_18TensorListMetadataILi2EEENS1_14UnaryOpFunctorIN3c104HalfELi2ELi1ELi1EEEJNS0_3ErfIfEEEEEvT_T0_DpT1_,@function
_ZN2at6native12_GLOBAL__N_125multi_tensor_apply_kernelINS1_18TensorListMetadataILi2EEENS1_14UnaryOpFunctorIN3c104HalfELi2ELi1ELi1EEEJNS0_3ErfIfEEEEEvT_T0_DpT1_: ; @_ZN2at6native12_GLOBAL__N_125multi_tensor_apply_kernelINS1_18TensorListMetadataILi2EEENS1_14UnaryOpFunctorIN3c104HalfELi2ELi1ELi1EEEJNS0_3ErfIfEEEEEvT_T0_DpT1_
; %bb.0:
	v_mov_b32_e32 v1, s15
	s_add_u32 s2, s0, s15
	s_mul_hi_u32 s3, s15, 3
	s_mul_i32 s15, s15, 3
	s_addc_u32 s4, s1, 0
	global_load_u8 v1, v1, s[0:1] offset:1536
	s_add_u32 s2, s2, s15
	s_addc_u32 s3, s4, s3
	s_mov_b32 s19, 0
	s_load_b32 s6, s[2:3], 0x740
	s_mov_b32 s21, s19
	s_mov_b32 s23, s19
	s_waitcnt lgkmcnt(0)
	s_ashr_i32 s7, s6, 31
	s_waitcnt vmcnt(0)
	v_readfirstlane_b32 s5, v1
	s_delay_alu instid0(VALU_DEP_1)
	s_lshl_b32 s2, s5, 3
	s_lshl_b64 s[4:5], s[6:7], 17
	s_clause 0x2
	s_load_b64 s[10:11], s[0:1], s2 offset:0x0
	s_load_b64 s[12:13], s[0:1], s2 offset:0x200
	;; [unrolled: 1-line block ×3, first 2 shown]
	s_mov_b32 s2, -1
	s_waitcnt lgkmcnt(0)
	s_add_u32 s3, s10, s4
	s_addc_u32 s8, s11, s5
	s_and_b32 s18, s3, 7
	s_add_u32 s9, s12, s4
	s_addc_u32 s14, s13, s5
	s_and_b32 s20, s16, 3
	s_and_b32 s22, s9, 7
	s_or_b64 s[18:19], s[18:19], s[20:21]
	s_lshl_b64 s[6:7], s[6:7], 16
	s_or_b64 s[18:19], s[22:23], s[18:19]
	s_sub_u32 s6, s16, s6
	s_subb_u32 s7, s17, s7
	s_cmp_eq_u64 s[18:19], 0
	s_cbranch_scc0 .LBB240_21
; %bb.1:
	v_dual_mov_b32 v2, 0 :: v_dual_lshlrev_b32 v1, 2, v0
	s_mov_b32 s15, exec_lo
	s_delay_alu instid0(VALU_DEP_1)
	v_cmpx_gt_i64_e64 s[6:7], v[1:2]
	s_cbranch_execz .LBB240_20
; %bb.2:
	s_load_b32 s2, s[0:1], 0xc5c
	v_lshlrev_b32_e32 v5, 3, v0
	s_mov_b32 s16, 0
	s_mov_b32 s19, 0x378e98ab
	;; [unrolled: 1-line block ×3, first 2 shown]
	s_waitcnt lgkmcnt(0)
	s_and_b32 s2, s2, 0xffff
	s_delay_alu instid0(SALU_CYCLE_1)
	v_add_lshl_u32 v1, v0, s2, 2
	s_lshl_b32 s17, s2, 2
	s_lshl_b32 s18, s2, 3
	s_branch .LBB240_4
.LBB240_3:                              ;   in Loop: Header=BB240_4 Depth=1
	s_or_b32 exec_lo, exec_lo, s2
	v_cvt_f16_f32_e32 v10, v10
	v_lshrrev_b32_e32 v9, 16, v9
	v_cvt_f16_f32_e32 v8, v8
	v_lshrrev_b32_e32 v3, 16, v3
	v_cvt_f16_f32_e32 v7, v7
	v_lshrrev_b32_e32 v6, 16, v6
	v_cvt_f16_f32_e32 v11, v11
	v_lshrrev_b32_e32 v4, 16, v4
	v_cmp_le_i64_e32 vcc_lo, s[6:7], v[1:2]
	v_cmp_lt_u64_e64 s2, 0xffff, v[1:2]
	v_bfi_b32 v9, 0x7fff, v10, v9
	v_bfi_b32 v8, 0x7fff, v8, v3
	;; [unrolled: 1-line block ×4, first 2 shown]
	v_add_co_u32 v3, s21, s9, v5
	s_or_b32 s2, vcc_lo, s2
	s_add_u32 s3, s3, s18
	v_add_co_u32 v1, vcc_lo, v1, s17
	s_addc_u32 s8, s8, 0
	s_add_u32 s9, s9, s18
	v_add_co_ci_u32_e64 v4, null, s14, 0, s21
	v_pack_b32_f16 v7, v9, v7
	v_pack_b32_f16 v6, v6, v8
	v_add_co_ci_u32_e32 v2, vcc_lo, 0, v2, vcc_lo
	s_addc_u32 s14, s14, 0
	s_and_b32 s2, exec_lo, s2
	global_store_b64 v[3:4], v[6:7], off
	s_or_b32 s16, s2, s16
	s_delay_alu instid0(SALU_CYCLE_1)
	s_and_not1_b32 exec_lo, exec_lo, s16
	s_cbranch_execz .LBB240_20
.LBB240_4:                              ; =>This Inner Loop Header: Depth=1
	v_add_co_u32 v3, s2, s3, v5
	s_delay_alu instid0(VALU_DEP_1) | instskip(SKIP_3) | instid1(VALU_DEP_1)
	v_add_co_ci_u32_e64 v4, null, s8, 0, s2
                                        ; implicit-def: $vgpr7
	global_load_b64 v[3:4], v[3:4], off
	s_waitcnt vmcnt(0)
	v_cvt_f32_f16_e32 v6, v3
	v_cmp_nlt_f32_e64 s2, |v6|, 1.0
	s_delay_alu instid0(VALU_DEP_1) | instskip(NEXT) | instid1(SALU_CYCLE_1)
	s_and_saveexec_b32 s21, s2
	s_xor_b32 s2, exec_lo, s21
	s_cbranch_execz .LBB240_6
; %bb.5:                                ;   in Loop: Header=BB240_4 Depth=1
	v_fma_f32 v7, |v6|, s19, 0xb9c68948
	s_delay_alu instid0(VALU_DEP_1) | instskip(NEXT) | instid1(VALU_DEP_1)
	v_fma_f32 v7, |v6|, v7, 0x3b7cd369
	v_fma_f32 v7, |v6|, v7, 0xbcc618b2
	s_delay_alu instid0(VALU_DEP_1) | instskip(NEXT) | instid1(VALU_DEP_1)
	v_fma_f32 v7, |v6|, v7, 0x3dda74e4
	;; [unrolled: 3-line block ×3, first 2 shown]
	v_fma_f32 v7, |v6|, v7, |v6|
	s_delay_alu instid0(VALU_DEP_1) | instskip(SKIP_1) | instid1(VALU_DEP_2)
	v_mul_f32_e32 v8, 0xbfb8aa3b, v7
	v_cmp_nlt_f32_e32 vcc_lo, 0x42ce8ed0, v7
	v_fma_f32 v9, 0xbfb8aa3b, v7, -v8
	v_rndne_f32_e32 v10, v8
	s_delay_alu instid0(VALU_DEP_1) | instskip(NEXT) | instid1(VALU_DEP_1)
	v_dual_fmac_f32 v9, 0xb2a5705f, v7 :: v_dual_sub_f32 v8, v8, v10
	v_add_f32_e32 v8, v8, v9
	v_cvt_i32_f32_e32 v9, v10
	s_delay_alu instid0(VALU_DEP_2) | instskip(SKIP_2) | instid1(VALU_DEP_1)
	v_exp_f32_e32 v8, v8
	s_waitcnt_depctr 0xfff
	v_ldexp_f32 v8, v8, v9
	v_cndmask_b32_e32 v8, 0, v8, vcc_lo
	v_cmp_ngt_f32_e32 vcc_lo, 0xc2b17218, v7
	s_delay_alu instid0(VALU_DEP_2) | instskip(NEXT) | instid1(VALU_DEP_1)
	v_cndmask_b32_e32 v7, 0x7f800000, v8, vcc_lo
	v_sub_f32_e32 v7, 1.0, v7
.LBB240_6:                              ;   in Loop: Header=BB240_4 Depth=1
	s_and_not1_saveexec_b32 s2, s2
; %bb.7:                                ;   in Loop: Header=BB240_4 Depth=1
	v_mul_f32_e32 v7, v6, v6
	s_delay_alu instid0(VALU_DEP_1) | instskip(NEXT) | instid1(VALU_DEP_1)
	v_fmaak_f32 v8, s20, v7, 0x3ba10414
	v_fmaak_f32 v8, v7, v8, 0xbcdac9b8
	s_delay_alu instid0(VALU_DEP_1) | instskip(NEXT) | instid1(VALU_DEP_1)
	v_fmaak_f32 v8, v7, v8, 0x3de703be
	v_fmaak_f32 v8, v7, v8, 0xbec09330
	s_delay_alu instid0(VALU_DEP_1) | instskip(NEXT) | instid1(VALU_DEP_1)
	v_fmaak_f32 v7, v7, v8, 0x3e0375d0
	v_fma_f32 v7, |v6|, v7, |v6|
; %bb.8:                                ;   in Loop: Header=BB240_4 Depth=1
	s_or_b32 exec_lo, exec_lo, s2
	v_lshrrev_b32_e32 v3, 16, v3
                                        ; implicit-def: $vgpr8
	s_delay_alu instid0(VALU_DEP_1) | instskip(NEXT) | instid1(VALU_DEP_1)
	v_cvt_f32_f16_e32 v3, v3
	v_cmp_nlt_f32_e64 s2, |v3|, 1.0
	s_delay_alu instid0(VALU_DEP_1) | instskip(NEXT) | instid1(SALU_CYCLE_1)
	s_and_saveexec_b32 s21, s2
	s_xor_b32 s2, exec_lo, s21
	s_cbranch_execz .LBB240_10
; %bb.9:                                ;   in Loop: Header=BB240_4 Depth=1
	v_fma_f32 v8, |v3|, s19, 0xb9c68948
	s_delay_alu instid0(VALU_DEP_1) | instskip(NEXT) | instid1(VALU_DEP_1)
	v_fma_f32 v8, |v3|, v8, 0x3b7cd369
	v_fma_f32 v8, |v3|, v8, 0xbcc618b2
	s_delay_alu instid0(VALU_DEP_1) | instskip(NEXT) | instid1(VALU_DEP_1)
	v_fma_f32 v8, |v3|, v8, 0x3dda74e4
	;; [unrolled: 3-line block ×3, first 2 shown]
	v_fma_f32 v8, |v3|, v8, |v3|
	s_delay_alu instid0(VALU_DEP_1) | instskip(SKIP_1) | instid1(VALU_DEP_2)
	v_mul_f32_e32 v9, 0xbfb8aa3b, v8
	v_cmp_nlt_f32_e32 vcc_lo, 0x42ce8ed0, v8
	v_fma_f32 v10, 0xbfb8aa3b, v8, -v9
	v_rndne_f32_e32 v11, v9
	s_delay_alu instid0(VALU_DEP_1) | instskip(NEXT) | instid1(VALU_DEP_1)
	v_dual_fmac_f32 v10, 0xb2a5705f, v8 :: v_dual_sub_f32 v9, v9, v11
	v_add_f32_e32 v9, v9, v10
	v_cvt_i32_f32_e32 v10, v11
	s_delay_alu instid0(VALU_DEP_2) | instskip(SKIP_2) | instid1(VALU_DEP_1)
	v_exp_f32_e32 v9, v9
	s_waitcnt_depctr 0xfff
	v_ldexp_f32 v9, v9, v10
	v_cndmask_b32_e32 v9, 0, v9, vcc_lo
	v_cmp_ngt_f32_e32 vcc_lo, 0xc2b17218, v8
	s_delay_alu instid0(VALU_DEP_2) | instskip(NEXT) | instid1(VALU_DEP_1)
	v_cndmask_b32_e32 v8, 0x7f800000, v9, vcc_lo
	v_sub_f32_e32 v8, 1.0, v8
.LBB240_10:                             ;   in Loop: Header=BB240_4 Depth=1
	s_and_not1_saveexec_b32 s2, s2
; %bb.11:                               ;   in Loop: Header=BB240_4 Depth=1
	v_mul_f32_e32 v8, v3, v3
	s_delay_alu instid0(VALU_DEP_1) | instskip(NEXT) | instid1(VALU_DEP_1)
	v_fmaak_f32 v9, s20, v8, 0x3ba10414
	v_fmaak_f32 v9, v8, v9, 0xbcdac9b8
	s_delay_alu instid0(VALU_DEP_1) | instskip(NEXT) | instid1(VALU_DEP_1)
	v_fmaak_f32 v9, v8, v9, 0x3de703be
	v_fmaak_f32 v9, v8, v9, 0xbec09330
	s_delay_alu instid0(VALU_DEP_1) | instskip(NEXT) | instid1(VALU_DEP_1)
	v_fmaak_f32 v8, v8, v9, 0x3e0375d0
	v_fma_f32 v8, |v3|, v8, |v3|
; %bb.12:                               ;   in Loop: Header=BB240_4 Depth=1
	s_or_b32 exec_lo, exec_lo, s2
	v_cvt_f32_f16_e32 v9, v4
                                        ; implicit-def: $vgpr10
	s_delay_alu instid0(VALU_DEP_1) | instskip(NEXT) | instid1(VALU_DEP_1)
	v_cmp_nlt_f32_e64 s2, |v9|, 1.0
	s_and_saveexec_b32 s21, s2
	s_delay_alu instid0(SALU_CYCLE_1)
	s_xor_b32 s2, exec_lo, s21
	s_cbranch_execz .LBB240_14
; %bb.13:                               ;   in Loop: Header=BB240_4 Depth=1
	v_fma_f32 v10, |v9|, s19, 0xb9c68948
	s_delay_alu instid0(VALU_DEP_1) | instskip(NEXT) | instid1(VALU_DEP_1)
	v_fma_f32 v10, |v9|, v10, 0x3b7cd369
	v_fma_f32 v10, |v9|, v10, 0xbcc618b2
	s_delay_alu instid0(VALU_DEP_1) | instskip(NEXT) | instid1(VALU_DEP_1)
	v_fma_f32 v10, |v9|, v10, 0x3dda74e4
	;; [unrolled: 3-line block ×3, first 2 shown]
	v_fma_f32 v10, |v9|, v10, |v9|
	s_delay_alu instid0(VALU_DEP_1) | instskip(SKIP_1) | instid1(VALU_DEP_2)
	v_mul_f32_e32 v11, 0xbfb8aa3b, v10
	v_cmp_nlt_f32_e32 vcc_lo, 0x42ce8ed0, v10
	v_fma_f32 v12, 0xbfb8aa3b, v10, -v11
	v_rndne_f32_e32 v13, v11
	s_delay_alu instid0(VALU_DEP_1) | instskip(NEXT) | instid1(VALU_DEP_1)
	v_dual_fmac_f32 v12, 0xb2a5705f, v10 :: v_dual_sub_f32 v11, v11, v13
	v_add_f32_e32 v11, v11, v12
	v_cvt_i32_f32_e32 v12, v13
	s_delay_alu instid0(VALU_DEP_2) | instskip(SKIP_2) | instid1(VALU_DEP_1)
	v_exp_f32_e32 v11, v11
	s_waitcnt_depctr 0xfff
	v_ldexp_f32 v11, v11, v12
	v_cndmask_b32_e32 v11, 0, v11, vcc_lo
	v_cmp_ngt_f32_e32 vcc_lo, 0xc2b17218, v10
	s_delay_alu instid0(VALU_DEP_2) | instskip(NEXT) | instid1(VALU_DEP_1)
	v_cndmask_b32_e32 v10, 0x7f800000, v11, vcc_lo
	v_sub_f32_e32 v10, 1.0, v10
.LBB240_14:                             ;   in Loop: Header=BB240_4 Depth=1
	s_and_not1_saveexec_b32 s2, s2
; %bb.15:                               ;   in Loop: Header=BB240_4 Depth=1
	v_mul_f32_e32 v10, v9, v9
	s_delay_alu instid0(VALU_DEP_1) | instskip(NEXT) | instid1(VALU_DEP_1)
	v_fmaak_f32 v11, s20, v10, 0x3ba10414
	v_fmaak_f32 v11, v10, v11, 0xbcdac9b8
	s_delay_alu instid0(VALU_DEP_1) | instskip(NEXT) | instid1(VALU_DEP_1)
	v_fmaak_f32 v11, v10, v11, 0x3de703be
	v_fmaak_f32 v11, v10, v11, 0xbec09330
	s_delay_alu instid0(VALU_DEP_1) | instskip(NEXT) | instid1(VALU_DEP_1)
	v_fmaak_f32 v10, v10, v11, 0x3e0375d0
	v_fma_f32 v10, |v9|, v10, |v9|
; %bb.16:                               ;   in Loop: Header=BB240_4 Depth=1
	s_or_b32 exec_lo, exec_lo, s2
	v_lshrrev_b32_e32 v4, 16, v4
                                        ; implicit-def: $vgpr11
	s_delay_alu instid0(VALU_DEP_1) | instskip(NEXT) | instid1(VALU_DEP_1)
	v_cvt_f32_f16_e32 v4, v4
	v_cmp_nlt_f32_e64 s2, |v4|, 1.0
	s_delay_alu instid0(VALU_DEP_1) | instskip(NEXT) | instid1(SALU_CYCLE_1)
	s_and_saveexec_b32 s21, s2
	s_xor_b32 s2, exec_lo, s21
	s_cbranch_execz .LBB240_18
; %bb.17:                               ;   in Loop: Header=BB240_4 Depth=1
	v_fma_f32 v11, |v4|, s19, 0xb9c68948
	s_delay_alu instid0(VALU_DEP_1) | instskip(NEXT) | instid1(VALU_DEP_1)
	v_fma_f32 v11, |v4|, v11, 0x3b7cd369
	v_fma_f32 v11, |v4|, v11, 0xbcc618b2
	s_delay_alu instid0(VALU_DEP_1) | instskip(NEXT) | instid1(VALU_DEP_1)
	v_fma_f32 v11, |v4|, v11, 0x3dda74e4
	;; [unrolled: 3-line block ×3, first 2 shown]
	v_fma_f32 v11, |v4|, v11, |v4|
	s_delay_alu instid0(VALU_DEP_1) | instskip(SKIP_1) | instid1(VALU_DEP_2)
	v_mul_f32_e32 v12, 0xbfb8aa3b, v11
	v_cmp_nlt_f32_e32 vcc_lo, 0x42ce8ed0, v11
	v_fma_f32 v13, 0xbfb8aa3b, v11, -v12
	v_rndne_f32_e32 v14, v12
	s_delay_alu instid0(VALU_DEP_1) | instskip(NEXT) | instid1(VALU_DEP_1)
	v_dual_fmac_f32 v13, 0xb2a5705f, v11 :: v_dual_sub_f32 v12, v12, v14
	v_add_f32_e32 v12, v12, v13
	v_cvt_i32_f32_e32 v13, v14
	s_delay_alu instid0(VALU_DEP_2) | instskip(SKIP_2) | instid1(VALU_DEP_1)
	v_exp_f32_e32 v12, v12
	s_waitcnt_depctr 0xfff
	v_ldexp_f32 v12, v12, v13
	v_cndmask_b32_e32 v12, 0, v12, vcc_lo
	v_cmp_ngt_f32_e32 vcc_lo, 0xc2b17218, v11
	s_delay_alu instid0(VALU_DEP_2) | instskip(NEXT) | instid1(VALU_DEP_1)
	v_cndmask_b32_e32 v11, 0x7f800000, v12, vcc_lo
	v_sub_f32_e32 v11, 1.0, v11
.LBB240_18:                             ;   in Loop: Header=BB240_4 Depth=1
	s_and_not1_saveexec_b32 s2, s2
	s_cbranch_execz .LBB240_3
; %bb.19:                               ;   in Loop: Header=BB240_4 Depth=1
	v_mul_f32_e32 v11, v4, v4
	s_delay_alu instid0(VALU_DEP_1) | instskip(NEXT) | instid1(VALU_DEP_1)
	v_fmaak_f32 v12, s20, v11, 0x3ba10414
	v_fmaak_f32 v12, v11, v12, 0xbcdac9b8
	s_delay_alu instid0(VALU_DEP_1) | instskip(NEXT) | instid1(VALU_DEP_1)
	v_fmaak_f32 v12, v11, v12, 0x3de703be
	v_fmaak_f32 v12, v11, v12, 0xbec09330
	s_delay_alu instid0(VALU_DEP_1) | instskip(NEXT) | instid1(VALU_DEP_1)
	v_fmaak_f32 v11, v11, v12, 0x3e0375d0
	v_fma_f32 v11, |v4|, v11, |v4|
	s_branch .LBB240_3
.LBB240_20:
	s_or_b32 exec_lo, exec_lo, s15
	s_mov_b32 s2, 0
.LBB240_21:
	s_delay_alu instid0(SALU_CYCLE_1)
	s_and_not1_b32 vcc_lo, exec_lo, s2
	s_cbranch_vccnz .LBB240_57
; %bb.22:
	v_cmp_lt_i64_e64 s2, s[6:7], 1
	s_delay_alu instid0(VALU_DEP_1)
	s_and_b32 vcc_lo, exec_lo, s2
	s_cbranch_vccnz .LBB240_57
; %bb.23:
	s_load_b32 s0, s[0:1], 0xc5c
	v_dual_mov_b32 v10, 0 :: v_dual_lshlrev_b32 v9, 1, v0
	v_cmp_gt_u64_e64 s1, 0x10000, s[6:7]
	s_delay_alu instid0(VALU_DEP_2) | instskip(NEXT) | instid1(VALU_DEP_1)
	v_add_co_u32 v1, s2, s10, v9
	v_add_co_ci_u32_e64 v2, null, s11, 0, s2
	v_add_co_u32 v3, s2, s12, v9
	s_delay_alu instid0(VALU_DEP_1)
	v_add_co_ci_u32_e64 v4, null, s13, 0, s2
	s_waitcnt lgkmcnt(0)
	s_and_b32 s0, s0, 0xffff
	s_and_b32 s1, s1, exec_lo
	v_mad_u64_u32 v[7:8], null, s0, 6, v[9:10]
	s_cselect_b32 s9, s7, 0
	s_cselect_b32 s8, s6, 0x10000
	s_lshl_b32 s1, s0, 1
	s_mul_i32 s2, s0, 3
	s_lshl_b32 s14, s0, 2
	s_lshl_b32 s15, s0, 3
	v_add_co_u32 v13, s0, v0, s0
	v_add_co_u32 v5, vcc_lo, s10, v7
	v_add_co_u32 v14, s3, s14, v9
	v_add_co_ci_u32_e32 v6, vcc_lo, s11, v8, vcc_lo
	s_delay_alu instid0(VALU_DEP_4)
	v_lshlrev_b32_e32 v21, 1, v13
	v_add_co_u32 v7, vcc_lo, s12, v7
	v_add_co_ci_u32_e64 v15, null, 0, 0, s3
	v_add_co_ci_u32_e32 v8, vcc_lo, s13, v8, vcc_lo
	v_add_co_ci_u32_e64 v16, null, 0, 0, s0
	v_add_co_u32 v17, s0, s1, v0
	v_add_co_u32 v11, vcc_lo, s10, v14
	v_add_co_ci_u32_e64 v18, null, 0, 0, s0
	v_add_co_u32 v19, s0, s10, v21
	v_add_co_ci_u32_e32 v12, vcc_lo, s11, v15, vcc_lo
	v_add_co_u32 v9, s2, s2, v0
	v_add_co_u32 v14, vcc_lo, s12, v14
	v_add_co_ci_u32_e64 v20, null, s11, 0, s0
	v_add_co_u32 v21, s0, s12, v21
	v_add_co_ci_u32_e64 v10, null, 0, 0, s2
	v_add_co_ci_u32_e32 v15, vcc_lo, s13, v15, vcc_lo
	v_add_co_ci_u32_e64 v22, null, s13, 0, s0
	s_mov_b64 s[10:11], 0
	s_mov_b32 s12, 0x378e98ab
	s_mov_b32 s13, 0xba1345e1
	s_branch .LBB240_25
.LBB240_24:                             ;   in Loop: Header=BB240_25 Depth=1
	s_or_b32 exec_lo, exec_lo, s0
	v_add_co_u32 v1, vcc_lo, v1, s15
	v_add_co_ci_u32_e32 v2, vcc_lo, 0, v2, vcc_lo
	v_add_co_u32 v3, vcc_lo, v3, s15
	v_add_co_ci_u32_e32 v4, vcc_lo, 0, v4, vcc_lo
	;; [unrolled: 2-line block ×5, first 2 shown]
	s_add_u32 s10, s10, s14
	v_add_co_u32 v14, vcc_lo, v14, s15
	s_addc_u32 s11, s11, 0
	v_add_co_ci_u32_e32 v15, vcc_lo, 0, v15, vcc_lo
	v_cmp_ge_i64_e64 s0, s[10:11], s[6:7]
	v_cmp_lt_u64_e64 s1, 0xffff, s[10:11]
	v_add_co_u32 v19, vcc_lo, v19, s15
	v_add_co_ci_u32_e32 v20, vcc_lo, 0, v20, vcc_lo
	v_add_co_u32 v21, vcc_lo, v21, s15
	v_add_co_ci_u32_e32 v22, vcc_lo, 0, v22, vcc_lo
	s_or_b32 s0, s0, s1
	s_delay_alu instid0(SALU_CYCLE_1)
	s_and_b32 vcc_lo, exec_lo, s0
	s_cbranch_vccnz .LBB240_57
.LBB240_25:                             ; =>This Inner Loop Header: Depth=1
	v_add_co_u32 v23, s0, v0, s10
	s_delay_alu instid0(VALU_DEP_1) | instskip(NEXT) | instid1(VALU_DEP_1)
	v_add_co_ci_u32_e64 v24, null, 0, s11, s0
	v_cmp_gt_u64_e32 vcc_lo, s[8:9], v[23:24]
	v_mov_b32_e32 v23, 0
	s_and_saveexec_b32 s1, vcc_lo
	s_cbranch_execz .LBB240_27
; %bb.26:                               ;   in Loop: Header=BB240_25 Depth=1
	v_add_co_u32 v23, s0, v1, s4
	s_delay_alu instid0(VALU_DEP_1)
	v_add_co_ci_u32_e64 v24, s0, s5, v2, s0
	global_load_u16 v23, v[23:24], off
.LBB240_27:                             ;   in Loop: Header=BB240_25 Depth=1
	s_or_b32 exec_lo, exec_lo, s1
	v_add_co_u32 v24, s0, v13, s10
	s_delay_alu instid0(VALU_DEP_1) | instskip(SKIP_1) | instid1(VALU_DEP_2)
	v_add_co_ci_u32_e64 v25, s0, s11, v16, s0
	v_mov_b32_e32 v26, 0
	v_cmp_gt_u64_e64 s0, s[8:9], v[24:25]
	s_delay_alu instid0(VALU_DEP_1)
	s_and_saveexec_b32 s2, s0
	s_cbranch_execz .LBB240_29
; %bb.28:                               ;   in Loop: Header=BB240_25 Depth=1
	v_add_co_u32 v24, s1, v19, s4
	s_delay_alu instid0(VALU_DEP_1)
	v_add_co_ci_u32_e64 v25, s1, s5, v20, s1
	global_load_u16 v26, v[24:25], off
.LBB240_29:                             ;   in Loop: Header=BB240_25 Depth=1
	s_or_b32 exec_lo, exec_lo, s2
	v_add_co_u32 v24, s1, v17, s10
	s_delay_alu instid0(VALU_DEP_1) | instskip(SKIP_1) | instid1(VALU_DEP_2)
	v_add_co_ci_u32_e64 v25, s1, s11, v18, s1
	v_mov_b32_e32 v28, 0
	v_cmp_gt_u64_e64 s1, s[8:9], v[24:25]
	v_mov_b32_e32 v24, 0
	s_delay_alu instid0(VALU_DEP_2)
	s_and_saveexec_b32 s3, s1
	s_cbranch_execz .LBB240_31
; %bb.30:                               ;   in Loop: Header=BB240_25 Depth=1
	v_add_co_u32 v27, s2, v11, s4
	s_delay_alu instid0(VALU_DEP_1)
	v_add_co_ci_u32_e64 v28, s2, s5, v12, s2
	global_load_u16 v28, v[27:28], off
.LBB240_31:                             ;   in Loop: Header=BB240_25 Depth=1
	s_or_b32 exec_lo, exec_lo, s3
	v_add_co_u32 v29, s2, v9, s10
	s_delay_alu instid0(VALU_DEP_1) | instskip(NEXT) | instid1(VALU_DEP_1)
	v_add_co_ci_u32_e64 v30, s2, s11, v10, s2
	v_cmp_gt_u64_e64 s2, s[8:9], v[29:30]
	s_delay_alu instid0(VALU_DEP_1)
	s_and_saveexec_b32 s16, s2
	s_cbranch_execz .LBB240_33
; %bb.32:                               ;   in Loop: Header=BB240_25 Depth=1
	v_add_co_u32 v24, s3, v5, s4
	s_delay_alu instid0(VALU_DEP_1)
	v_add_co_ci_u32_e64 v25, s3, s5, v6, s3
	global_load_u16 v24, v[24:25], off
.LBB240_33:                             ;   in Loop: Header=BB240_25 Depth=1
	s_or_b32 exec_lo, exec_lo, s16
	s_waitcnt vmcnt(0)
	v_cvt_f32_f16_e32 v23, v23
	s_mov_b32 s16, exec_lo
                                        ; implicit-def: $vgpr25
	s_delay_alu instid0(VALU_DEP_1)
	v_cmpx_nlt_f32_e64 |v23|, 1.0
	s_xor_b32 s16, exec_lo, s16
	s_cbranch_execz .LBB240_35
; %bb.34:                               ;   in Loop: Header=BB240_25 Depth=1
	v_fma_f32 v25, |v23|, s12, 0xb9c68948
	s_delay_alu instid0(VALU_DEP_1) | instskip(NEXT) | instid1(VALU_DEP_1)
	v_fma_f32 v25, |v23|, v25, 0x3b7cd369
	v_fma_f32 v25, |v23|, v25, 0xbcc618b2
	s_delay_alu instid0(VALU_DEP_1) | instskip(NEXT) | instid1(VALU_DEP_1)
	v_fma_f32 v25, |v23|, v25, 0x3dda74e4
	;; [unrolled: 3-line block ×3, first 2 shown]
	v_fma_f32 v25, |v23|, v25, |v23|
	s_delay_alu instid0(VALU_DEP_1) | instskip(SKIP_1) | instid1(VALU_DEP_2)
	v_mul_f32_e32 v27, 0xbfb8aa3b, v25
	v_cmp_nlt_f32_e64 s3, 0x42ce8ed0, v25
	v_fma_f32 v29, 0xbfb8aa3b, v25, -v27
	v_rndne_f32_e32 v30, v27
	s_delay_alu instid0(VALU_DEP_2) | instskip(NEXT) | instid1(VALU_DEP_2)
	v_fmac_f32_e32 v29, 0xb2a5705f, v25
	v_sub_f32_e32 v27, v27, v30
	s_delay_alu instid0(VALU_DEP_1) | instskip(SKIP_1) | instid1(VALU_DEP_2)
	v_add_f32_e32 v27, v27, v29
	v_cvt_i32_f32_e32 v29, v30
	v_exp_f32_e32 v27, v27
	s_waitcnt_depctr 0xfff
	v_ldexp_f32 v27, v27, v29
	s_delay_alu instid0(VALU_DEP_1) | instskip(SKIP_1) | instid1(VALU_DEP_1)
	v_cndmask_b32_e64 v27, 0, v27, s3
	v_cmp_ngt_f32_e64 s3, 0xc2b17218, v25
	v_cndmask_b32_e64 v25, 0x7f800000, v27, s3
	s_delay_alu instid0(VALU_DEP_1)
	v_sub_f32_e32 v25, 1.0, v25
.LBB240_35:                             ;   in Loop: Header=BB240_25 Depth=1
	s_and_not1_saveexec_b32 s3, s16
; %bb.36:                               ;   in Loop: Header=BB240_25 Depth=1
	v_mul_f32_e32 v25, v23, v23
	s_delay_alu instid0(VALU_DEP_1) | instskip(NEXT) | instid1(VALU_DEP_1)
	v_fmaak_f32 v27, s13, v25, 0x3ba10414
	v_fmaak_f32 v27, v25, v27, 0xbcdac9b8
	s_delay_alu instid0(VALU_DEP_1) | instskip(NEXT) | instid1(VALU_DEP_1)
	v_fmaak_f32 v27, v25, v27, 0x3de703be
	v_fmaak_f32 v27, v25, v27, 0xbec09330
	s_delay_alu instid0(VALU_DEP_1) | instskip(NEXT) | instid1(VALU_DEP_1)
	v_fmaak_f32 v25, v25, v27, 0x3e0375d0
	v_fma_f32 v25, |v23|, v25, |v23|
; %bb.37:                               ;   in Loop: Header=BB240_25 Depth=1
	s_or_b32 exec_lo, exec_lo, s3
	v_cvt_f32_f16_e32 v26, v26
	s_mov_b32 s16, exec_lo
                                        ; implicit-def: $vgpr27
	s_delay_alu instid0(VALU_DEP_1)
	v_cmpx_nlt_f32_e64 |v26|, 1.0
	s_xor_b32 s16, exec_lo, s16
	s_cbranch_execz .LBB240_39
; %bb.38:                               ;   in Loop: Header=BB240_25 Depth=1
	v_fma_f32 v27, |v26|, s12, 0xb9c68948
	s_delay_alu instid0(VALU_DEP_1) | instskip(NEXT) | instid1(VALU_DEP_1)
	v_fma_f32 v27, |v26|, v27, 0x3b7cd369
	v_fma_f32 v27, |v26|, v27, 0xbcc618b2
	s_delay_alu instid0(VALU_DEP_1) | instskip(NEXT) | instid1(VALU_DEP_1)
	v_fma_f32 v27, |v26|, v27, 0x3dda74e4
	;; [unrolled: 3-line block ×3, first 2 shown]
	v_fma_f32 v27, |v26|, v27, |v26|
	s_delay_alu instid0(VALU_DEP_1) | instskip(SKIP_1) | instid1(VALU_DEP_2)
	v_mul_f32_e32 v29, 0xbfb8aa3b, v27
	v_cmp_nlt_f32_e64 s3, 0x42ce8ed0, v27
	v_fma_f32 v30, 0xbfb8aa3b, v27, -v29
	v_rndne_f32_e32 v31, v29
	s_delay_alu instid0(VALU_DEP_2) | instskip(NEXT) | instid1(VALU_DEP_2)
	v_fmac_f32_e32 v30, 0xb2a5705f, v27
	v_sub_f32_e32 v29, v29, v31
	s_delay_alu instid0(VALU_DEP_1) | instskip(SKIP_1) | instid1(VALU_DEP_2)
	v_add_f32_e32 v29, v29, v30
	v_cvt_i32_f32_e32 v30, v31
	v_exp_f32_e32 v29, v29
	s_waitcnt_depctr 0xfff
	v_ldexp_f32 v29, v29, v30
	s_delay_alu instid0(VALU_DEP_1) | instskip(SKIP_1) | instid1(VALU_DEP_1)
	v_cndmask_b32_e64 v29, 0, v29, s3
	v_cmp_ngt_f32_e64 s3, 0xc2b17218, v27
	v_cndmask_b32_e64 v27, 0x7f800000, v29, s3
	s_delay_alu instid0(VALU_DEP_1)
	v_sub_f32_e32 v27, 1.0, v27
.LBB240_39:                             ;   in Loop: Header=BB240_25 Depth=1
	s_and_not1_saveexec_b32 s3, s16
; %bb.40:                               ;   in Loop: Header=BB240_25 Depth=1
	v_mul_f32_e32 v27, v26, v26
	s_delay_alu instid0(VALU_DEP_1) | instskip(NEXT) | instid1(VALU_DEP_1)
	v_fmaak_f32 v29, s13, v27, 0x3ba10414
	v_fmaak_f32 v29, v27, v29, 0xbcdac9b8
	s_delay_alu instid0(VALU_DEP_1) | instskip(NEXT) | instid1(VALU_DEP_1)
	v_fmaak_f32 v29, v27, v29, 0x3de703be
	v_fmaak_f32 v29, v27, v29, 0xbec09330
	s_delay_alu instid0(VALU_DEP_1) | instskip(NEXT) | instid1(VALU_DEP_1)
	v_fmaak_f32 v27, v27, v29, 0x3e0375d0
	v_fma_f32 v27, |v26|, v27, |v26|
; %bb.41:                               ;   in Loop: Header=BB240_25 Depth=1
	s_or_b32 exec_lo, exec_lo, s3
	v_cvt_f32_f16_e32 v28, v28
	s_mov_b32 s16, exec_lo
                                        ; implicit-def: $vgpr29
	s_delay_alu instid0(VALU_DEP_1)
	v_cmpx_nlt_f32_e64 |v28|, 1.0
	s_xor_b32 s16, exec_lo, s16
	s_cbranch_execz .LBB240_43
; %bb.42:                               ;   in Loop: Header=BB240_25 Depth=1
	v_fma_f32 v29, |v28|, s12, 0xb9c68948
	s_delay_alu instid0(VALU_DEP_1) | instskip(NEXT) | instid1(VALU_DEP_1)
	v_fma_f32 v29, |v28|, v29, 0x3b7cd369
	v_fma_f32 v29, |v28|, v29, 0xbcc618b2
	s_delay_alu instid0(VALU_DEP_1) | instskip(NEXT) | instid1(VALU_DEP_1)
	v_fma_f32 v29, |v28|, v29, 0x3dda74e4
	;; [unrolled: 3-line block ×3, first 2 shown]
	v_fma_f32 v29, |v28|, v29, |v28|
	s_delay_alu instid0(VALU_DEP_1) | instskip(SKIP_1) | instid1(VALU_DEP_2)
	v_mul_f32_e32 v30, 0xbfb8aa3b, v29
	v_cmp_nlt_f32_e64 s3, 0x42ce8ed0, v29
	v_fma_f32 v31, 0xbfb8aa3b, v29, -v30
	v_rndne_f32_e32 v32, v30
	s_delay_alu instid0(VALU_DEP_1) | instskip(NEXT) | instid1(VALU_DEP_1)
	v_dual_fmac_f32 v31, 0xb2a5705f, v29 :: v_dual_sub_f32 v30, v30, v32
	v_add_f32_e32 v30, v30, v31
	v_cvt_i32_f32_e32 v31, v32
	s_delay_alu instid0(VALU_DEP_2) | instskip(SKIP_2) | instid1(VALU_DEP_1)
	v_exp_f32_e32 v30, v30
	s_waitcnt_depctr 0xfff
	v_ldexp_f32 v30, v30, v31
	v_cndmask_b32_e64 v30, 0, v30, s3
	v_cmp_ngt_f32_e64 s3, 0xc2b17218, v29
	s_delay_alu instid0(VALU_DEP_1) | instskip(NEXT) | instid1(VALU_DEP_1)
	v_cndmask_b32_e64 v29, 0x7f800000, v30, s3
	v_sub_f32_e32 v29, 1.0, v29
.LBB240_43:                             ;   in Loop: Header=BB240_25 Depth=1
	s_and_not1_saveexec_b32 s3, s16
; %bb.44:                               ;   in Loop: Header=BB240_25 Depth=1
	v_mul_f32_e32 v29, v28, v28
	s_delay_alu instid0(VALU_DEP_1) | instskip(NEXT) | instid1(VALU_DEP_1)
	v_fmaak_f32 v30, s13, v29, 0x3ba10414
	v_fmaak_f32 v30, v29, v30, 0xbcdac9b8
	s_delay_alu instid0(VALU_DEP_1) | instskip(NEXT) | instid1(VALU_DEP_1)
	v_fmaak_f32 v30, v29, v30, 0x3de703be
	v_fmaak_f32 v30, v29, v30, 0xbec09330
	s_delay_alu instid0(VALU_DEP_1) | instskip(NEXT) | instid1(VALU_DEP_1)
	v_fmaak_f32 v29, v29, v30, 0x3e0375d0
	v_fma_f32 v29, |v28|, v29, |v28|
; %bb.45:                               ;   in Loop: Header=BB240_25 Depth=1
	s_or_b32 exec_lo, exec_lo, s3
	v_cvt_f32_f16_e32 v24, v24
	s_mov_b32 s16, exec_lo
                                        ; implicit-def: $vgpr30
	s_delay_alu instid0(VALU_DEP_1)
	v_cmpx_nlt_f32_e64 |v24|, 1.0
	s_xor_b32 s16, exec_lo, s16
	s_cbranch_execnz .LBB240_51
; %bb.46:                               ;   in Loop: Header=BB240_25 Depth=1
	s_and_not1_saveexec_b32 s3, s16
	s_cbranch_execnz .LBB240_52
.LBB240_47:                             ;   in Loop: Header=BB240_25 Depth=1
	s_or_b32 exec_lo, exec_lo, s3
	s_and_saveexec_b32 s3, vcc_lo
	s_delay_alu instid0(SALU_CYCLE_1)
	s_xor_b32 s3, exec_lo, s3
	s_cbranch_execnz .LBB240_53
.LBB240_48:                             ;   in Loop: Header=BB240_25 Depth=1
	s_or_b32 exec_lo, exec_lo, s3
	s_and_saveexec_b32 s3, s0
	s_cbranch_execnz .LBB240_54
.LBB240_49:                             ;   in Loop: Header=BB240_25 Depth=1
	s_or_b32 exec_lo, exec_lo, s3
	s_and_saveexec_b32 s0, s1
	s_cbranch_execnz .LBB240_55
.LBB240_50:                             ;   in Loop: Header=BB240_25 Depth=1
	s_or_b32 exec_lo, exec_lo, s0
	s_and_saveexec_b32 s0, s2
	s_cbranch_execz .LBB240_24
	s_branch .LBB240_56
.LBB240_51:                             ;   in Loop: Header=BB240_25 Depth=1
	v_fma_f32 v30, |v24|, s12, 0xb9c68948
	s_delay_alu instid0(VALU_DEP_1) | instskip(NEXT) | instid1(VALU_DEP_1)
	v_fma_f32 v30, |v24|, v30, 0x3b7cd369
	v_fma_f32 v30, |v24|, v30, 0xbcc618b2
	s_delay_alu instid0(VALU_DEP_1) | instskip(NEXT) | instid1(VALU_DEP_1)
	v_fma_f32 v30, |v24|, v30, 0x3dda74e4
	;; [unrolled: 3-line block ×3, first 2 shown]
	v_fma_f32 v30, |v24|, v30, |v24|
	s_delay_alu instid0(VALU_DEP_1) | instskip(SKIP_1) | instid1(VALU_DEP_2)
	v_mul_f32_e32 v31, 0xbfb8aa3b, v30
	v_cmp_nlt_f32_e64 s3, 0x42ce8ed0, v30
	v_fma_f32 v32, 0xbfb8aa3b, v30, -v31
	v_rndne_f32_e32 v33, v31
	s_delay_alu instid0(VALU_DEP_1) | instskip(NEXT) | instid1(VALU_DEP_1)
	v_dual_fmac_f32 v32, 0xb2a5705f, v30 :: v_dual_sub_f32 v31, v31, v33
	v_add_f32_e32 v31, v31, v32
	v_cvt_i32_f32_e32 v32, v33
	s_delay_alu instid0(VALU_DEP_2) | instskip(SKIP_2) | instid1(VALU_DEP_1)
	v_exp_f32_e32 v31, v31
	s_waitcnt_depctr 0xfff
	v_ldexp_f32 v31, v31, v32
	v_cndmask_b32_e64 v31, 0, v31, s3
	v_cmp_ngt_f32_e64 s3, 0xc2b17218, v30
	s_delay_alu instid0(VALU_DEP_1) | instskip(NEXT) | instid1(VALU_DEP_1)
	v_cndmask_b32_e64 v30, 0x7f800000, v31, s3
	v_sub_f32_e32 v30, 1.0, v30
	s_and_not1_saveexec_b32 s3, s16
	s_cbranch_execz .LBB240_47
.LBB240_52:                             ;   in Loop: Header=BB240_25 Depth=1
	v_mul_f32_e32 v30, v24, v24
	s_delay_alu instid0(VALU_DEP_1) | instskip(NEXT) | instid1(VALU_DEP_1)
	v_fmaak_f32 v31, s13, v30, 0x3ba10414
	v_fmaak_f32 v31, v30, v31, 0xbcdac9b8
	s_delay_alu instid0(VALU_DEP_1) | instskip(NEXT) | instid1(VALU_DEP_1)
	v_fmaak_f32 v31, v30, v31, 0x3de703be
	v_fmaak_f32 v31, v30, v31, 0xbec09330
	s_delay_alu instid0(VALU_DEP_1) | instskip(NEXT) | instid1(VALU_DEP_1)
	v_fmaak_f32 v30, v30, v31, 0x3e0375d0
	v_fma_f32 v30, |v24|, v30, |v24|
	s_or_b32 exec_lo, exec_lo, s3
	s_and_saveexec_b32 s3, vcc_lo
	s_delay_alu instid0(SALU_CYCLE_1)
	s_xor_b32 s3, exec_lo, s3
	s_cbranch_execz .LBB240_48
.LBB240_53:                             ;   in Loop: Header=BB240_25 Depth=1
	v_cvt_f16_f32_e32 v25, v25
	v_lshrrev_b32_e32 v23, 16, v23
	v_add_co_u32 v31, vcc_lo, v3, s4
	v_add_co_ci_u32_e32 v32, vcc_lo, s5, v4, vcc_lo
	s_delay_alu instid0(VALU_DEP_3)
	v_bfi_b32 v23, 0x7fff, v25, v23
	global_store_b16 v[31:32], v23, off
	s_or_b32 exec_lo, exec_lo, s3
	s_and_saveexec_b32 s3, s0
	s_cbranch_execz .LBB240_49
.LBB240_54:                             ;   in Loop: Header=BB240_25 Depth=1
	v_cvt_f16_f32_e32 v23, v27
	v_lshrrev_b32_e32 v25, 16, v26
	s_delay_alu instid0(VALU_DEP_1)
	v_bfi_b32 v23, 0x7fff, v23, v25
	v_add_co_u32 v25, vcc_lo, v21, s4
	v_add_co_ci_u32_e32 v26, vcc_lo, s5, v22, vcc_lo
	global_store_b16 v[25:26], v23, off
	s_or_b32 exec_lo, exec_lo, s3
	s_and_saveexec_b32 s0, s1
	s_cbranch_execz .LBB240_50
.LBB240_55:                             ;   in Loop: Header=BB240_25 Depth=1
	v_cvt_f16_f32_e32 v23, v29
	v_lshrrev_b32_e32 v25, 16, v28
	s_delay_alu instid0(VALU_DEP_1)
	v_bfi_b32 v23, 0x7fff, v23, v25
	v_add_co_u32 v25, vcc_lo, v14, s4
	v_add_co_ci_u32_e32 v26, vcc_lo, s5, v15, vcc_lo
	global_store_b16 v[25:26], v23, off
	s_or_b32 exec_lo, exec_lo, s0
	s_and_saveexec_b32 s0, s2
	s_cbranch_execz .LBB240_24
.LBB240_56:                             ;   in Loop: Header=BB240_25 Depth=1
	v_cvt_f16_f32_e32 v23, v30
	v_lshrrev_b32_e32 v24, 16, v24
	s_delay_alu instid0(VALU_DEP_1)
	v_bfi_b32 v25, 0x7fff, v23, v24
	v_add_co_u32 v23, vcc_lo, v7, s4
	v_add_co_ci_u32_e32 v24, vcc_lo, s5, v8, vcc_lo
	global_store_b16 v[23:24], v25, off
	s_branch .LBB240_24
.LBB240_57:
	s_nop 0
	s_sendmsg sendmsg(MSG_DEALLOC_VGPRS)
	s_endpgm
	.section	.rodata,"a",@progbits
	.p2align	6, 0x0
	.amdhsa_kernel _ZN2at6native12_GLOBAL__N_125multi_tensor_apply_kernelINS1_18TensorListMetadataILi2EEENS1_14UnaryOpFunctorIN3c104HalfELi2ELi1ELi1EEEJNS0_3ErfIfEEEEEvT_T0_DpT1_
		.amdhsa_group_segment_fixed_size 0
		.amdhsa_private_segment_fixed_size 0
		.amdhsa_kernarg_size 3408
		.amdhsa_user_sgpr_count 15
		.amdhsa_user_sgpr_dispatch_ptr 0
		.amdhsa_user_sgpr_queue_ptr 0
		.amdhsa_user_sgpr_kernarg_segment_ptr 1
		.amdhsa_user_sgpr_dispatch_id 0
		.amdhsa_user_sgpr_private_segment_size 0
		.amdhsa_wavefront_size32 1
		.amdhsa_uses_dynamic_stack 0
		.amdhsa_enable_private_segment 0
		.amdhsa_system_sgpr_workgroup_id_x 1
		.amdhsa_system_sgpr_workgroup_id_y 0
		.amdhsa_system_sgpr_workgroup_id_z 0
		.amdhsa_system_sgpr_workgroup_info 0
		.amdhsa_system_vgpr_workitem_id 0
		.amdhsa_next_free_vgpr 34
		.amdhsa_next_free_sgpr 24
		.amdhsa_reserve_vcc 1
		.amdhsa_float_round_mode_32 0
		.amdhsa_float_round_mode_16_64 0
		.amdhsa_float_denorm_mode_32 3
		.amdhsa_float_denorm_mode_16_64 3
		.amdhsa_dx10_clamp 1
		.amdhsa_ieee_mode 1
		.amdhsa_fp16_overflow 0
		.amdhsa_workgroup_processor_mode 1
		.amdhsa_memory_ordered 1
		.amdhsa_forward_progress 0
		.amdhsa_shared_vgpr_count 0
		.amdhsa_exception_fp_ieee_invalid_op 0
		.amdhsa_exception_fp_denorm_src 0
		.amdhsa_exception_fp_ieee_div_zero 0
		.amdhsa_exception_fp_ieee_overflow 0
		.amdhsa_exception_fp_ieee_underflow 0
		.amdhsa_exception_fp_ieee_inexact 0
		.amdhsa_exception_int_div_zero 0
	.end_amdhsa_kernel
	.section	.text._ZN2at6native12_GLOBAL__N_125multi_tensor_apply_kernelINS1_18TensorListMetadataILi2EEENS1_14UnaryOpFunctorIN3c104HalfELi2ELi1ELi1EEEJNS0_3ErfIfEEEEEvT_T0_DpT1_,"axG",@progbits,_ZN2at6native12_GLOBAL__N_125multi_tensor_apply_kernelINS1_18TensorListMetadataILi2EEENS1_14UnaryOpFunctorIN3c104HalfELi2ELi1ELi1EEEJNS0_3ErfIfEEEEEvT_T0_DpT1_,comdat
.Lfunc_end240:
	.size	_ZN2at6native12_GLOBAL__N_125multi_tensor_apply_kernelINS1_18TensorListMetadataILi2EEENS1_14UnaryOpFunctorIN3c104HalfELi2ELi1ELi1EEEJNS0_3ErfIfEEEEEvT_T0_DpT1_, .Lfunc_end240-_ZN2at6native12_GLOBAL__N_125multi_tensor_apply_kernelINS1_18TensorListMetadataILi2EEENS1_14UnaryOpFunctorIN3c104HalfELi2ELi1ELi1EEEJNS0_3ErfIfEEEEEvT_T0_DpT1_
                                        ; -- End function
	.section	.AMDGPU.csdata,"",@progbits
; Kernel info:
; codeLenInByte = 4088
; NumSgprs: 26
; NumVgprs: 34
; ScratchSize: 0
; MemoryBound: 0
; FloatMode: 240
; IeeeMode: 1
; LDSByteSize: 0 bytes/workgroup (compile time only)
; SGPRBlocks: 3
; VGPRBlocks: 4
; NumSGPRsForWavesPerEU: 26
; NumVGPRsForWavesPerEU: 34
; Occupancy: 16
; WaveLimiterHint : 0
; COMPUTE_PGM_RSRC2:SCRATCH_EN: 0
; COMPUTE_PGM_RSRC2:USER_SGPR: 15
; COMPUTE_PGM_RSRC2:TRAP_HANDLER: 0
; COMPUTE_PGM_RSRC2:TGID_X_EN: 1
; COMPUTE_PGM_RSRC2:TGID_Y_EN: 0
; COMPUTE_PGM_RSRC2:TGID_Z_EN: 0
; COMPUTE_PGM_RSRC2:TIDIG_COMP_CNT: 0
	.section	.text._ZN2at6native12_GLOBAL__N_125multi_tensor_apply_kernelINS1_18TensorListMetadataILi2EEENS1_14UnaryOpFunctorIN3c108BFloat16ELi2ELi1ELi1EEEJNS0_3ErfIfEEEEEvT_T0_DpT1_,"axG",@progbits,_ZN2at6native12_GLOBAL__N_125multi_tensor_apply_kernelINS1_18TensorListMetadataILi2EEENS1_14UnaryOpFunctorIN3c108BFloat16ELi2ELi1ELi1EEEJNS0_3ErfIfEEEEEvT_T0_DpT1_,comdat
	.globl	_ZN2at6native12_GLOBAL__N_125multi_tensor_apply_kernelINS1_18TensorListMetadataILi2EEENS1_14UnaryOpFunctorIN3c108BFloat16ELi2ELi1ELi1EEEJNS0_3ErfIfEEEEEvT_T0_DpT1_ ; -- Begin function _ZN2at6native12_GLOBAL__N_125multi_tensor_apply_kernelINS1_18TensorListMetadataILi2EEENS1_14UnaryOpFunctorIN3c108BFloat16ELi2ELi1ELi1EEEJNS0_3ErfIfEEEEEvT_T0_DpT1_
	.p2align	8
	.type	_ZN2at6native12_GLOBAL__N_125multi_tensor_apply_kernelINS1_18TensorListMetadataILi2EEENS1_14UnaryOpFunctorIN3c108BFloat16ELi2ELi1ELi1EEEJNS0_3ErfIfEEEEEvT_T0_DpT1_,@function
_ZN2at6native12_GLOBAL__N_125multi_tensor_apply_kernelINS1_18TensorListMetadataILi2EEENS1_14UnaryOpFunctorIN3c108BFloat16ELi2ELi1ELi1EEEJNS0_3ErfIfEEEEEvT_T0_DpT1_: ; @_ZN2at6native12_GLOBAL__N_125multi_tensor_apply_kernelINS1_18TensorListMetadataILi2EEENS1_14UnaryOpFunctorIN3c108BFloat16ELi2ELi1ELi1EEEJNS0_3ErfIfEEEEEvT_T0_DpT1_
; %bb.0:
	v_mov_b32_e32 v1, s15
	s_add_u32 s2, s0, s15
	s_mul_hi_u32 s3, s15, 3
	s_mul_i32 s15, s15, 3
	s_addc_u32 s4, s1, 0
	global_load_u8 v1, v1, s[0:1] offset:1536
	s_add_u32 s2, s2, s15
	s_addc_u32 s3, s4, s3
	s_mov_b32 s9, 0
	s_load_b32 s2, s[2:3], 0x740
	s_mov_b32 s17, s9
	s_mov_b32 s15, s9
	s_waitcnt vmcnt(0)
	v_readfirstlane_b32 s5, v1
	s_delay_alu instid0(VALU_DEP_1)
	s_lshl_b32 s3, s5, 3
	s_clause 0x2
	s_load_b64 s[10:11], s[0:1], s3 offset:0x0
	s_load_b64 s[12:13], s[0:1], s3 offset:0x200
	;; [unrolled: 1-line block ×3, first 2 shown]
	s_waitcnt lgkmcnt(0)
	s_ashr_i32 s3, s2, 31
	s_delay_alu instid0(SALU_CYCLE_1) | instskip(SKIP_4) | instid1(SALU_CYCLE_1)
	s_lshl_b64 s[4:5], s[2:3], 17
	s_lshl_b64 s[2:3], s[2:3], 16
	s_and_b32 s8, s10, 7
	s_and_b32 s14, s12, 7
	;; [unrolled: 1-line block ×3, first 2 shown]
	s_or_b64 s[8:9], s[8:9], s[16:17]
	s_delay_alu instid0(SALU_CYCLE_1)
	s_or_b64 s[8:9], s[14:15], s[8:9]
	s_sub_u32 s6, s6, s2
	s_subb_u32 s7, s7, s3
	s_cmp_eq_u64 s[8:9], 0
	s_mov_b32 s2, -1
	s_cbranch_scc0 .LBB241_21
; %bb.1:
	v_dual_mov_b32 v2, 0 :: v_dual_lshlrev_b32 v1, 2, v0
	s_mov_b32 s8, exec_lo
	s_delay_alu instid0(VALU_DEP_1)
	v_cmpx_gt_i64_e64 s[6:7], v[1:2]
	s_cbranch_execz .LBB241_20
; %bb.2:
	s_load_b32 s2, s[0:1], 0xc5c
	v_lshlrev_b32_e32 v1, 3, v0
	s_mov_b32 s9, 0
	s_mov_b32 s16, 0x378e98ab
	;; [unrolled: 1-line block ×3, first 2 shown]
	s_delay_alu instid0(VALU_DEP_1) | instskip(NEXT) | instid1(VALU_DEP_1)
	v_add_co_u32 v5, s3, s4, v1
	v_add_co_ci_u32_e64 v6, null, s5, 0, s3
	s_waitcnt lgkmcnt(0)
	s_and_b32 s2, s2, 0xffff
	s_delay_alu instid0(SALU_CYCLE_1)
	v_add_lshl_u32 v1, v0, s2, 2
	s_lshl_b32 s14, s2, 3
	s_lshl_b32 s15, s2, 2
	s_branch .LBB241_4
.LBB241_3:                              ;   in Loop: Header=BB241_4 Depth=1
	s_or_b32 exec_lo, exec_lo, s2
	v_bfi_b32 v9, 0x7fffffff, v10, v9
	v_bfi_b32 v7, 0x7fffffff, v8, v7
	;; [unrolled: 1-line block ×4, first 2 shown]
	v_cmp_le_i64_e32 vcc_lo, s[6:7], v[1:2]
	v_bfe_u32 v8, v9, 16, 1
	v_bfe_u32 v11, v7, 16, 1
	v_cmp_o_f32_e64 s2, v9, v9
	v_bfe_u32 v12, v4, 16, 1
	v_bfe_u32 v10, v3, 16, 1
	v_add3_u32 v8, v9, v8, 0x7fff
	v_add3_u32 v11, v7, v11, 0x7fff
	s_delay_alu instid0(VALU_DEP_4) | instskip(NEXT) | instid1(VALU_DEP_4)
	v_add3_u32 v12, v4, v12, 0x7fff
	v_add3_u32 v10, v3, v10, 0x7fff
	s_delay_alu instid0(VALU_DEP_4) | instskip(NEXT) | instid1(VALU_DEP_4)
	v_and_b32_e32 v8, 0xffff0000, v8
	v_lshrrev_b32_e32 v11, 16, v11
	s_delay_alu instid0(VALU_DEP_4) | instskip(NEXT) | instid1(VALU_DEP_4)
	v_and_b32_e32 v12, 0xffff0000, v12
	v_lshrrev_b32_e32 v10, 16, v10
	s_delay_alu instid0(VALU_DEP_4) | instskip(SKIP_1) | instid1(VALU_DEP_1)
	v_cndmask_b32_e64 v8, 0x7fc00000, v8, s2
	v_cmp_o_f32_e64 s2, v7, v7
	v_cndmask_b32_e64 v7, 0x7fc0, v11, s2
	v_cmp_o_f32_e64 s2, v4, v4
	s_delay_alu instid0(VALU_DEP_2) | instskip(NEXT) | instid1(VALU_DEP_2)
	v_or_b32_e32 v7, v8, v7
	v_cndmask_b32_e64 v9, 0x7fc00000, v12, s2
	v_cmp_o_f32_e64 s2, v3, v3
	v_add_co_u32 v3, s3, s12, v5
	s_delay_alu instid0(VALU_DEP_1) | instskip(NEXT) | instid1(VALU_DEP_3)
	v_add_co_ci_u32_e64 v4, s3, s13, v6, s3
	v_cndmask_b32_e64 v10, 0x7fc0, v10, s2
	v_cmp_lt_u64_e64 s2, 0xffff, v[1:2]
	v_or3_b32 v7, v7, 0, 0
	s_delay_alu instid0(VALU_DEP_3) | instskip(NEXT) | instid1(VALU_DEP_3)
	v_or3_b32 v8, 0, v10, v9
	s_or_b32 s2, vcc_lo, s2
	v_add_co_u32 v5, vcc_lo, v5, s14
	v_add_co_ci_u32_e32 v6, vcc_lo, 0, v6, vcc_lo
	v_add_co_u32 v1, vcc_lo, v1, s15
	v_add_co_ci_u32_e32 v2, vcc_lo, 0, v2, vcc_lo
	s_and_b32 s2, exec_lo, s2
	global_store_b64 v[3:4], v[7:8], off
	s_or_b32 s9, s2, s9
	s_delay_alu instid0(SALU_CYCLE_1)
	s_and_not1_b32 exec_lo, exec_lo, s9
	s_cbranch_execz .LBB241_20
.LBB241_4:                              ; =>This Inner Loop Header: Depth=1
	v_add_co_u32 v3, vcc_lo, s10, v5
	v_add_co_ci_u32_e32 v4, vcc_lo, s11, v6, vcc_lo
                                        ; implicit-def: $vgpr8
	global_load_b64 v[3:4], v[3:4], off
	s_waitcnt vmcnt(0)
	v_lshlrev_b32_e32 v7, 16, v3
	s_delay_alu instid0(VALU_DEP_1) | instskip(NEXT) | instid1(VALU_DEP_1)
	v_cmp_nlt_f32_e64 s2, |v7|, 1.0
	s_and_saveexec_b32 s3, s2
	s_delay_alu instid0(SALU_CYCLE_1)
	s_xor_b32 s2, exec_lo, s3
	s_cbranch_execz .LBB241_6
; %bb.5:                                ;   in Loop: Header=BB241_4 Depth=1
	v_fma_f32 v8, |v7|, s16, 0xb9c68948
	s_delay_alu instid0(VALU_DEP_1) | instskip(NEXT) | instid1(VALU_DEP_1)
	v_fma_f32 v8, |v7|, v8, 0x3b7cd369
	v_fma_f32 v8, |v7|, v8, 0xbcc618b2
	s_delay_alu instid0(VALU_DEP_1) | instskip(NEXT) | instid1(VALU_DEP_1)
	v_fma_f32 v8, |v7|, v8, 0x3dda74e4
	;; [unrolled: 3-line block ×3, first 2 shown]
	v_fma_f32 v8, |v7|, v8, |v7|
	s_delay_alu instid0(VALU_DEP_1) | instskip(SKIP_1) | instid1(VALU_DEP_2)
	v_mul_f32_e32 v9, 0xbfb8aa3b, v8
	v_cmp_nlt_f32_e32 vcc_lo, 0x42ce8ed0, v8
	v_fma_f32 v10, 0xbfb8aa3b, v8, -v9
	v_rndne_f32_e32 v11, v9
	s_delay_alu instid0(VALU_DEP_1) | instskip(NEXT) | instid1(VALU_DEP_1)
	v_dual_fmac_f32 v10, 0xb2a5705f, v8 :: v_dual_sub_f32 v9, v9, v11
	v_add_f32_e32 v9, v9, v10
	v_cvt_i32_f32_e32 v10, v11
	s_delay_alu instid0(VALU_DEP_2) | instskip(SKIP_2) | instid1(VALU_DEP_1)
	v_exp_f32_e32 v9, v9
	s_waitcnt_depctr 0xfff
	v_ldexp_f32 v9, v9, v10
	v_cndmask_b32_e32 v9, 0, v9, vcc_lo
	v_cmp_ngt_f32_e32 vcc_lo, 0xc2b17218, v8
	s_delay_alu instid0(VALU_DEP_2) | instskip(NEXT) | instid1(VALU_DEP_1)
	v_cndmask_b32_e32 v8, 0x7f800000, v9, vcc_lo
	v_sub_f32_e32 v8, 1.0, v8
.LBB241_6:                              ;   in Loop: Header=BB241_4 Depth=1
	s_and_not1_saveexec_b32 s2, s2
; %bb.7:                                ;   in Loop: Header=BB241_4 Depth=1
	v_mul_f32_e32 v8, v7, v7
	s_delay_alu instid0(VALU_DEP_1) | instskip(NEXT) | instid1(VALU_DEP_1)
	v_fmaak_f32 v9, s17, v8, 0x3ba10414
	v_fmaak_f32 v9, v8, v9, 0xbcdac9b8
	s_delay_alu instid0(VALU_DEP_1) | instskip(NEXT) | instid1(VALU_DEP_1)
	v_fmaak_f32 v9, v8, v9, 0x3de703be
	v_fmaak_f32 v9, v8, v9, 0xbec09330
	s_delay_alu instid0(VALU_DEP_1) | instskip(NEXT) | instid1(VALU_DEP_1)
	v_fmaak_f32 v8, v8, v9, 0x3e0375d0
	v_fma_f32 v8, |v7|, v8, |v7|
; %bb.8:                                ;   in Loop: Header=BB241_4 Depth=1
	s_or_b32 exec_lo, exec_lo, s2
	v_and_b32_e32 v9, 0xffff0000, v3
                                        ; implicit-def: $vgpr10
	s_delay_alu instid0(VALU_DEP_1) | instskip(NEXT) | instid1(VALU_DEP_1)
	v_cmp_nlt_f32_e64 s2, |v9|, 1.0
	s_and_saveexec_b32 s3, s2
	s_delay_alu instid0(SALU_CYCLE_1)
	s_xor_b32 s2, exec_lo, s3
	s_cbranch_execz .LBB241_10
; %bb.9:                                ;   in Loop: Header=BB241_4 Depth=1
	v_fma_f32 v10, |v9|, s16, 0xb9c68948
	s_delay_alu instid0(VALU_DEP_1) | instskip(NEXT) | instid1(VALU_DEP_1)
	v_fma_f32 v10, |v9|, v10, 0x3b7cd369
	v_fma_f32 v10, |v9|, v10, 0xbcc618b2
	s_delay_alu instid0(VALU_DEP_1) | instskip(NEXT) | instid1(VALU_DEP_1)
	v_fma_f32 v10, |v9|, v10, 0x3dda74e4
	;; [unrolled: 3-line block ×3, first 2 shown]
	v_fma_f32 v10, |v9|, v10, |v9|
	s_delay_alu instid0(VALU_DEP_1) | instskip(SKIP_1) | instid1(VALU_DEP_2)
	v_mul_f32_e32 v11, 0xbfb8aa3b, v10
	v_cmp_nlt_f32_e32 vcc_lo, 0x42ce8ed0, v10
	v_fma_f32 v12, 0xbfb8aa3b, v10, -v11
	v_rndne_f32_e32 v13, v11
	s_delay_alu instid0(VALU_DEP_1) | instskip(NEXT) | instid1(VALU_DEP_1)
	v_dual_fmac_f32 v12, 0xb2a5705f, v10 :: v_dual_sub_f32 v11, v11, v13
	v_add_f32_e32 v11, v11, v12
	v_cvt_i32_f32_e32 v12, v13
	s_delay_alu instid0(VALU_DEP_2) | instskip(SKIP_2) | instid1(VALU_DEP_1)
	v_exp_f32_e32 v11, v11
	s_waitcnt_depctr 0xfff
	v_ldexp_f32 v11, v11, v12
	v_cndmask_b32_e32 v11, 0, v11, vcc_lo
	v_cmp_ngt_f32_e32 vcc_lo, 0xc2b17218, v10
	s_delay_alu instid0(VALU_DEP_2) | instskip(NEXT) | instid1(VALU_DEP_1)
	v_cndmask_b32_e32 v10, 0x7f800000, v11, vcc_lo
	v_sub_f32_e32 v10, 1.0, v10
.LBB241_10:                             ;   in Loop: Header=BB241_4 Depth=1
	s_and_not1_saveexec_b32 s2, s2
; %bb.11:                               ;   in Loop: Header=BB241_4 Depth=1
	v_mul_f32_e32 v10, v9, v9
	s_delay_alu instid0(VALU_DEP_1) | instskip(NEXT) | instid1(VALU_DEP_1)
	v_fmaak_f32 v11, s17, v10, 0x3ba10414
	v_fmaak_f32 v11, v10, v11, 0xbcdac9b8
	s_delay_alu instid0(VALU_DEP_1) | instskip(NEXT) | instid1(VALU_DEP_1)
	v_fmaak_f32 v11, v10, v11, 0x3de703be
	v_fmaak_f32 v11, v10, v11, 0xbec09330
	s_delay_alu instid0(VALU_DEP_1) | instskip(NEXT) | instid1(VALU_DEP_1)
	v_fmaak_f32 v10, v10, v11, 0x3e0375d0
	v_fma_f32 v10, |v9|, v10, |v9|
; %bb.12:                               ;   in Loop: Header=BB241_4 Depth=1
	s_or_b32 exec_lo, exec_lo, s2
	v_alignbit_b32 v3, v4, v3, 16
                                        ; implicit-def: $vgpr11
	s_delay_alu instid0(VALU_DEP_1) | instskip(NEXT) | instid1(VALU_DEP_1)
	v_and_b32_e32 v3, 0xffff0000, v3
	v_cmp_nlt_f32_e64 s2, |v3|, 1.0
	s_delay_alu instid0(VALU_DEP_1) | instskip(NEXT) | instid1(SALU_CYCLE_1)
	s_and_saveexec_b32 s3, s2
	s_xor_b32 s2, exec_lo, s3
	s_cbranch_execz .LBB241_14
; %bb.13:                               ;   in Loop: Header=BB241_4 Depth=1
	v_fma_f32 v11, |v3|, s16, 0xb9c68948
	s_delay_alu instid0(VALU_DEP_1) | instskip(NEXT) | instid1(VALU_DEP_1)
	v_fma_f32 v11, |v3|, v11, 0x3b7cd369
	v_fma_f32 v11, |v3|, v11, 0xbcc618b2
	s_delay_alu instid0(VALU_DEP_1) | instskip(NEXT) | instid1(VALU_DEP_1)
	v_fma_f32 v11, |v3|, v11, 0x3dda74e4
	;; [unrolled: 3-line block ×3, first 2 shown]
	v_fma_f32 v11, |v3|, v11, |v3|
	s_delay_alu instid0(VALU_DEP_1) | instskip(SKIP_1) | instid1(VALU_DEP_2)
	v_mul_f32_e32 v12, 0xbfb8aa3b, v11
	v_cmp_nlt_f32_e32 vcc_lo, 0x42ce8ed0, v11
	v_fma_f32 v13, 0xbfb8aa3b, v11, -v12
	v_rndne_f32_e32 v14, v12
	s_delay_alu instid0(VALU_DEP_1) | instskip(NEXT) | instid1(VALU_DEP_1)
	v_dual_fmac_f32 v13, 0xb2a5705f, v11 :: v_dual_sub_f32 v12, v12, v14
	v_add_f32_e32 v12, v12, v13
	v_cvt_i32_f32_e32 v13, v14
	s_delay_alu instid0(VALU_DEP_2) | instskip(SKIP_2) | instid1(VALU_DEP_1)
	v_exp_f32_e32 v12, v12
	s_waitcnt_depctr 0xfff
	v_ldexp_f32 v12, v12, v13
	v_cndmask_b32_e32 v12, 0, v12, vcc_lo
	v_cmp_ngt_f32_e32 vcc_lo, 0xc2b17218, v11
	s_delay_alu instid0(VALU_DEP_2) | instskip(NEXT) | instid1(VALU_DEP_1)
	v_cndmask_b32_e32 v11, 0x7f800000, v12, vcc_lo
	v_sub_f32_e32 v11, 1.0, v11
.LBB241_14:                             ;   in Loop: Header=BB241_4 Depth=1
	s_and_not1_saveexec_b32 s2, s2
; %bb.15:                               ;   in Loop: Header=BB241_4 Depth=1
	v_mul_f32_e32 v11, v3, v3
	s_delay_alu instid0(VALU_DEP_1) | instskip(NEXT) | instid1(VALU_DEP_1)
	v_fmaak_f32 v12, s17, v11, 0x3ba10414
	v_fmaak_f32 v12, v11, v12, 0xbcdac9b8
	s_delay_alu instid0(VALU_DEP_1) | instskip(NEXT) | instid1(VALU_DEP_1)
	v_fmaak_f32 v12, v11, v12, 0x3de703be
	v_fmaak_f32 v12, v11, v12, 0xbec09330
	s_delay_alu instid0(VALU_DEP_1) | instskip(NEXT) | instid1(VALU_DEP_1)
	v_fmaak_f32 v11, v11, v12, 0x3e0375d0
	v_fma_f32 v11, |v3|, v11, |v3|
; %bb.16:                               ;   in Loop: Header=BB241_4 Depth=1
	s_or_b32 exec_lo, exec_lo, s2
	v_and_b32_e32 v4, 0xffff0000, v4
                                        ; implicit-def: $vgpr12
	s_delay_alu instid0(VALU_DEP_1) | instskip(NEXT) | instid1(VALU_DEP_1)
	v_cmp_nlt_f32_e64 s2, |v4|, 1.0
	s_and_saveexec_b32 s3, s2
	s_delay_alu instid0(SALU_CYCLE_1)
	s_xor_b32 s2, exec_lo, s3
	s_cbranch_execz .LBB241_18
; %bb.17:                               ;   in Loop: Header=BB241_4 Depth=1
	v_fma_f32 v12, |v4|, s16, 0xb9c68948
	s_delay_alu instid0(VALU_DEP_1) | instskip(NEXT) | instid1(VALU_DEP_1)
	v_fma_f32 v12, |v4|, v12, 0x3b7cd369
	v_fma_f32 v12, |v4|, v12, 0xbcc618b2
	s_delay_alu instid0(VALU_DEP_1) | instskip(NEXT) | instid1(VALU_DEP_1)
	v_fma_f32 v12, |v4|, v12, 0x3dda74e4
	;; [unrolled: 3-line block ×3, first 2 shown]
	v_fma_f32 v12, |v4|, v12, |v4|
	s_delay_alu instid0(VALU_DEP_1) | instskip(SKIP_1) | instid1(VALU_DEP_2)
	v_mul_f32_e32 v13, 0xbfb8aa3b, v12
	v_cmp_nlt_f32_e32 vcc_lo, 0x42ce8ed0, v12
	v_fma_f32 v14, 0xbfb8aa3b, v12, -v13
	v_rndne_f32_e32 v15, v13
	s_delay_alu instid0(VALU_DEP_1) | instskip(NEXT) | instid1(VALU_DEP_1)
	v_dual_fmac_f32 v14, 0xb2a5705f, v12 :: v_dual_sub_f32 v13, v13, v15
	v_add_f32_e32 v13, v13, v14
	v_cvt_i32_f32_e32 v14, v15
	s_delay_alu instid0(VALU_DEP_2) | instskip(SKIP_2) | instid1(VALU_DEP_1)
	v_exp_f32_e32 v13, v13
	s_waitcnt_depctr 0xfff
	v_ldexp_f32 v13, v13, v14
	v_cndmask_b32_e32 v13, 0, v13, vcc_lo
	v_cmp_ngt_f32_e32 vcc_lo, 0xc2b17218, v12
	s_delay_alu instid0(VALU_DEP_2) | instskip(NEXT) | instid1(VALU_DEP_1)
	v_cndmask_b32_e32 v12, 0x7f800000, v13, vcc_lo
	v_sub_f32_e32 v12, 1.0, v12
.LBB241_18:                             ;   in Loop: Header=BB241_4 Depth=1
	s_and_not1_saveexec_b32 s2, s2
	s_cbranch_execz .LBB241_3
; %bb.19:                               ;   in Loop: Header=BB241_4 Depth=1
	v_mul_f32_e32 v12, v4, v4
	s_delay_alu instid0(VALU_DEP_1) | instskip(NEXT) | instid1(VALU_DEP_1)
	v_fmaak_f32 v13, s17, v12, 0x3ba10414
	v_fmaak_f32 v13, v12, v13, 0xbcdac9b8
	s_delay_alu instid0(VALU_DEP_1) | instskip(NEXT) | instid1(VALU_DEP_1)
	v_fmaak_f32 v13, v12, v13, 0x3de703be
	v_fmaak_f32 v13, v12, v13, 0xbec09330
	s_delay_alu instid0(VALU_DEP_1) | instskip(NEXT) | instid1(VALU_DEP_1)
	v_fmaak_f32 v12, v12, v13, 0x3e0375d0
	v_fma_f32 v12, |v4|, v12, |v4|
	s_branch .LBB241_3
.LBB241_20:
	s_or_b32 exec_lo, exec_lo, s8
	s_mov_b32 s2, 0
.LBB241_21:
	s_delay_alu instid0(SALU_CYCLE_1)
	s_and_not1_b32 vcc_lo, exec_lo, s2
	s_cbranch_vccnz .LBB241_57
; %bb.22:
	v_cmp_lt_i64_e64 s2, s[6:7], 1
	s_delay_alu instid0(VALU_DEP_1)
	s_and_b32 vcc_lo, exec_lo, s2
	s_cbranch_vccnz .LBB241_57
; %bb.23:
	s_load_b32 s0, s[0:1], 0xc5c
	v_dual_mov_b32 v10, 0 :: v_dual_lshlrev_b32 v9, 1, v0
	v_cmp_gt_u64_e64 s1, 0x10000, s[6:7]
	s_delay_alu instid0(VALU_DEP_2) | instskip(NEXT) | instid1(VALU_DEP_1)
	v_add_co_u32 v1, s2, s10, v9
	v_add_co_ci_u32_e64 v2, null, s11, 0, s2
	v_add_co_u32 v3, s2, s12, v9
	s_delay_alu instid0(VALU_DEP_1)
	v_add_co_ci_u32_e64 v4, null, s13, 0, s2
	s_waitcnt lgkmcnt(0)
	s_and_b32 s0, s0, 0xffff
	s_and_b32 s1, s1, exec_lo
	v_mad_u64_u32 v[7:8], null, s0, 6, v[9:10]
	s_cselect_b32 s9, s7, 0
	s_cselect_b32 s8, s6, 0x10000
	s_lshl_b32 s1, s0, 1
	s_mul_i32 s2, s0, 3
	s_lshl_b32 s14, s0, 2
	s_lshl_b32 s15, s0, 3
	v_add_co_u32 v13, s0, v0, s0
	v_add_co_u32 v5, vcc_lo, s10, v7
	v_add_co_u32 v14, s3, s14, v9
	v_add_co_ci_u32_e32 v6, vcc_lo, s11, v8, vcc_lo
	s_delay_alu instid0(VALU_DEP_4)
	v_lshlrev_b32_e32 v21, 1, v13
	v_add_co_u32 v7, vcc_lo, s12, v7
	v_add_co_ci_u32_e64 v15, null, 0, 0, s3
	v_add_co_ci_u32_e32 v8, vcc_lo, s13, v8, vcc_lo
	v_add_co_ci_u32_e64 v16, null, 0, 0, s0
	v_add_co_u32 v17, s0, s1, v0
	v_add_co_u32 v11, vcc_lo, s10, v14
	v_add_co_ci_u32_e64 v18, null, 0, 0, s0
	v_add_co_u32 v19, s0, s10, v21
	v_add_co_ci_u32_e32 v12, vcc_lo, s11, v15, vcc_lo
	v_add_co_u32 v9, s2, s2, v0
	v_add_co_u32 v14, vcc_lo, s12, v14
	v_add_co_ci_u32_e64 v20, null, s11, 0, s0
	v_add_co_u32 v21, s0, s12, v21
	v_add_co_ci_u32_e64 v10, null, 0, 0, s2
	v_add_co_ci_u32_e32 v15, vcc_lo, s13, v15, vcc_lo
	v_add_co_ci_u32_e64 v22, null, s13, 0, s0
	s_mov_b64 s[10:11], 0
	s_mov_b32 s12, 0x378e98ab
	s_mov_b32 s13, 0xba1345e1
	s_branch .LBB241_25
.LBB241_24:                             ;   in Loop: Header=BB241_25 Depth=1
	s_or_b32 exec_lo, exec_lo, s0
	v_add_co_u32 v1, vcc_lo, v1, s15
	v_add_co_ci_u32_e32 v2, vcc_lo, 0, v2, vcc_lo
	v_add_co_u32 v3, vcc_lo, v3, s15
	v_add_co_ci_u32_e32 v4, vcc_lo, 0, v4, vcc_lo
	;; [unrolled: 2-line block ×5, first 2 shown]
	s_add_u32 s10, s10, s14
	v_add_co_u32 v14, vcc_lo, v14, s15
	s_addc_u32 s11, s11, 0
	v_add_co_ci_u32_e32 v15, vcc_lo, 0, v15, vcc_lo
	v_cmp_ge_i64_e64 s0, s[10:11], s[6:7]
	v_cmp_lt_u64_e64 s1, 0xffff, s[10:11]
	v_add_co_u32 v19, vcc_lo, v19, s15
	v_add_co_ci_u32_e32 v20, vcc_lo, 0, v20, vcc_lo
	v_add_co_u32 v21, vcc_lo, v21, s15
	v_add_co_ci_u32_e32 v22, vcc_lo, 0, v22, vcc_lo
	s_or_b32 s0, s0, s1
	s_delay_alu instid0(SALU_CYCLE_1)
	s_and_b32 vcc_lo, exec_lo, s0
	s_cbranch_vccnz .LBB241_57
.LBB241_25:                             ; =>This Inner Loop Header: Depth=1
	v_add_co_u32 v23, s0, v0, s10
	s_delay_alu instid0(VALU_DEP_1) | instskip(NEXT) | instid1(VALU_DEP_1)
	v_add_co_ci_u32_e64 v24, null, 0, s11, s0
	v_cmp_gt_u64_e32 vcc_lo, s[8:9], v[23:24]
	v_mov_b32_e32 v23, 0
	s_and_saveexec_b32 s1, vcc_lo
	s_cbranch_execz .LBB241_27
; %bb.26:                               ;   in Loop: Header=BB241_25 Depth=1
	v_add_co_u32 v23, s0, v1, s4
	s_delay_alu instid0(VALU_DEP_1)
	v_add_co_ci_u32_e64 v24, s0, s5, v2, s0
	global_load_u16 v23, v[23:24], off
.LBB241_27:                             ;   in Loop: Header=BB241_25 Depth=1
	s_or_b32 exec_lo, exec_lo, s1
	v_add_co_u32 v24, s0, v13, s10
	s_delay_alu instid0(VALU_DEP_1) | instskip(SKIP_1) | instid1(VALU_DEP_2)
	v_add_co_ci_u32_e64 v25, s0, s11, v16, s0
	v_mov_b32_e32 v26, 0
	v_cmp_gt_u64_e64 s0, s[8:9], v[24:25]
	s_delay_alu instid0(VALU_DEP_1)
	s_and_saveexec_b32 s2, s0
	s_cbranch_execz .LBB241_29
; %bb.28:                               ;   in Loop: Header=BB241_25 Depth=1
	v_add_co_u32 v24, s1, v19, s4
	s_delay_alu instid0(VALU_DEP_1)
	v_add_co_ci_u32_e64 v25, s1, s5, v20, s1
	global_load_u16 v26, v[24:25], off
.LBB241_29:                             ;   in Loop: Header=BB241_25 Depth=1
	s_or_b32 exec_lo, exec_lo, s2
	v_add_co_u32 v24, s1, v17, s10
	s_delay_alu instid0(VALU_DEP_1) | instskip(SKIP_1) | instid1(VALU_DEP_2)
	v_add_co_ci_u32_e64 v25, s1, s11, v18, s1
	v_mov_b32_e32 v28, 0
	v_cmp_gt_u64_e64 s1, s[8:9], v[24:25]
	v_mov_b32_e32 v24, 0
	s_delay_alu instid0(VALU_DEP_2)
	s_and_saveexec_b32 s3, s1
	s_cbranch_execz .LBB241_31
; %bb.30:                               ;   in Loop: Header=BB241_25 Depth=1
	v_add_co_u32 v27, s2, v11, s4
	s_delay_alu instid0(VALU_DEP_1)
	v_add_co_ci_u32_e64 v28, s2, s5, v12, s2
	global_load_u16 v28, v[27:28], off
.LBB241_31:                             ;   in Loop: Header=BB241_25 Depth=1
	s_or_b32 exec_lo, exec_lo, s3
	v_add_co_u32 v29, s2, v9, s10
	s_delay_alu instid0(VALU_DEP_1) | instskip(NEXT) | instid1(VALU_DEP_1)
	v_add_co_ci_u32_e64 v30, s2, s11, v10, s2
	v_cmp_gt_u64_e64 s2, s[8:9], v[29:30]
	s_delay_alu instid0(VALU_DEP_1)
	s_and_saveexec_b32 s16, s2
	s_cbranch_execz .LBB241_33
; %bb.32:                               ;   in Loop: Header=BB241_25 Depth=1
	v_add_co_u32 v24, s3, v5, s4
	s_delay_alu instid0(VALU_DEP_1)
	v_add_co_ci_u32_e64 v25, s3, s5, v6, s3
	global_load_u16 v24, v[24:25], off
.LBB241_33:                             ;   in Loop: Header=BB241_25 Depth=1
	s_or_b32 exec_lo, exec_lo, s16
	s_waitcnt vmcnt(0)
	v_lshlrev_b32_e32 v23, 16, v23
	s_mov_b32 s16, exec_lo
                                        ; implicit-def: $vgpr25
	s_delay_alu instid0(VALU_DEP_1)
	v_cmpx_nlt_f32_e64 |v23|, 1.0
	s_xor_b32 s16, exec_lo, s16
	s_cbranch_execz .LBB241_35
; %bb.34:                               ;   in Loop: Header=BB241_25 Depth=1
	v_fma_f32 v25, |v23|, s12, 0xb9c68948
	s_delay_alu instid0(VALU_DEP_1) | instskip(NEXT) | instid1(VALU_DEP_1)
	v_fma_f32 v25, |v23|, v25, 0x3b7cd369
	v_fma_f32 v25, |v23|, v25, 0xbcc618b2
	s_delay_alu instid0(VALU_DEP_1) | instskip(NEXT) | instid1(VALU_DEP_1)
	v_fma_f32 v25, |v23|, v25, 0x3dda74e4
	;; [unrolled: 3-line block ×3, first 2 shown]
	v_fma_f32 v25, |v23|, v25, |v23|
	s_delay_alu instid0(VALU_DEP_1) | instskip(SKIP_1) | instid1(VALU_DEP_2)
	v_mul_f32_e32 v27, 0xbfb8aa3b, v25
	v_cmp_nlt_f32_e64 s3, 0x42ce8ed0, v25
	v_fma_f32 v29, 0xbfb8aa3b, v25, -v27
	v_rndne_f32_e32 v30, v27
	s_delay_alu instid0(VALU_DEP_2) | instskip(NEXT) | instid1(VALU_DEP_2)
	v_fmac_f32_e32 v29, 0xb2a5705f, v25
	v_sub_f32_e32 v27, v27, v30
	s_delay_alu instid0(VALU_DEP_1) | instskip(SKIP_1) | instid1(VALU_DEP_2)
	v_add_f32_e32 v27, v27, v29
	v_cvt_i32_f32_e32 v29, v30
	v_exp_f32_e32 v27, v27
	s_waitcnt_depctr 0xfff
	v_ldexp_f32 v27, v27, v29
	s_delay_alu instid0(VALU_DEP_1) | instskip(SKIP_1) | instid1(VALU_DEP_1)
	v_cndmask_b32_e64 v27, 0, v27, s3
	v_cmp_ngt_f32_e64 s3, 0xc2b17218, v25
	v_cndmask_b32_e64 v25, 0x7f800000, v27, s3
	s_delay_alu instid0(VALU_DEP_1)
	v_sub_f32_e32 v25, 1.0, v25
.LBB241_35:                             ;   in Loop: Header=BB241_25 Depth=1
	s_and_not1_saveexec_b32 s3, s16
; %bb.36:                               ;   in Loop: Header=BB241_25 Depth=1
	v_mul_f32_e32 v25, v23, v23
	s_delay_alu instid0(VALU_DEP_1) | instskip(NEXT) | instid1(VALU_DEP_1)
	v_fmaak_f32 v27, s13, v25, 0x3ba10414
	v_fmaak_f32 v27, v25, v27, 0xbcdac9b8
	s_delay_alu instid0(VALU_DEP_1) | instskip(NEXT) | instid1(VALU_DEP_1)
	v_fmaak_f32 v27, v25, v27, 0x3de703be
	v_fmaak_f32 v27, v25, v27, 0xbec09330
	s_delay_alu instid0(VALU_DEP_1) | instskip(NEXT) | instid1(VALU_DEP_1)
	v_fmaak_f32 v25, v25, v27, 0x3e0375d0
	v_fma_f32 v25, |v23|, v25, |v23|
; %bb.37:                               ;   in Loop: Header=BB241_25 Depth=1
	s_or_b32 exec_lo, exec_lo, s3
	v_lshlrev_b32_e32 v26, 16, v26
	s_mov_b32 s16, exec_lo
                                        ; implicit-def: $vgpr27
	s_delay_alu instid0(VALU_DEP_1)
	v_cmpx_nlt_f32_e64 |v26|, 1.0
	s_xor_b32 s16, exec_lo, s16
	s_cbranch_execz .LBB241_39
; %bb.38:                               ;   in Loop: Header=BB241_25 Depth=1
	v_fma_f32 v27, |v26|, s12, 0xb9c68948
	s_delay_alu instid0(VALU_DEP_1) | instskip(NEXT) | instid1(VALU_DEP_1)
	v_fma_f32 v27, |v26|, v27, 0x3b7cd369
	v_fma_f32 v27, |v26|, v27, 0xbcc618b2
	s_delay_alu instid0(VALU_DEP_1) | instskip(NEXT) | instid1(VALU_DEP_1)
	v_fma_f32 v27, |v26|, v27, 0x3dda74e4
	;; [unrolled: 3-line block ×3, first 2 shown]
	v_fma_f32 v27, |v26|, v27, |v26|
	s_delay_alu instid0(VALU_DEP_1) | instskip(SKIP_1) | instid1(VALU_DEP_2)
	v_mul_f32_e32 v29, 0xbfb8aa3b, v27
	v_cmp_nlt_f32_e64 s3, 0x42ce8ed0, v27
	v_fma_f32 v30, 0xbfb8aa3b, v27, -v29
	v_rndne_f32_e32 v31, v29
	s_delay_alu instid0(VALU_DEP_2) | instskip(NEXT) | instid1(VALU_DEP_2)
	v_fmac_f32_e32 v30, 0xb2a5705f, v27
	v_sub_f32_e32 v29, v29, v31
	s_delay_alu instid0(VALU_DEP_1) | instskip(SKIP_1) | instid1(VALU_DEP_2)
	v_add_f32_e32 v29, v29, v30
	v_cvt_i32_f32_e32 v30, v31
	v_exp_f32_e32 v29, v29
	s_waitcnt_depctr 0xfff
	v_ldexp_f32 v29, v29, v30
	s_delay_alu instid0(VALU_DEP_1) | instskip(SKIP_1) | instid1(VALU_DEP_1)
	v_cndmask_b32_e64 v29, 0, v29, s3
	v_cmp_ngt_f32_e64 s3, 0xc2b17218, v27
	v_cndmask_b32_e64 v27, 0x7f800000, v29, s3
	s_delay_alu instid0(VALU_DEP_1)
	v_sub_f32_e32 v27, 1.0, v27
.LBB241_39:                             ;   in Loop: Header=BB241_25 Depth=1
	s_and_not1_saveexec_b32 s3, s16
; %bb.40:                               ;   in Loop: Header=BB241_25 Depth=1
	v_mul_f32_e32 v27, v26, v26
	s_delay_alu instid0(VALU_DEP_1) | instskip(NEXT) | instid1(VALU_DEP_1)
	v_fmaak_f32 v29, s13, v27, 0x3ba10414
	v_fmaak_f32 v29, v27, v29, 0xbcdac9b8
	s_delay_alu instid0(VALU_DEP_1) | instskip(NEXT) | instid1(VALU_DEP_1)
	v_fmaak_f32 v29, v27, v29, 0x3de703be
	v_fmaak_f32 v29, v27, v29, 0xbec09330
	s_delay_alu instid0(VALU_DEP_1) | instskip(NEXT) | instid1(VALU_DEP_1)
	v_fmaak_f32 v27, v27, v29, 0x3e0375d0
	v_fma_f32 v27, |v26|, v27, |v26|
; %bb.41:                               ;   in Loop: Header=BB241_25 Depth=1
	s_or_b32 exec_lo, exec_lo, s3
	v_lshlrev_b32_e32 v28, 16, v28
	s_mov_b32 s16, exec_lo
                                        ; implicit-def: $vgpr29
	s_delay_alu instid0(VALU_DEP_1)
	v_cmpx_nlt_f32_e64 |v28|, 1.0
	s_xor_b32 s16, exec_lo, s16
	s_cbranch_execz .LBB241_43
; %bb.42:                               ;   in Loop: Header=BB241_25 Depth=1
	v_fma_f32 v29, |v28|, s12, 0xb9c68948
	s_delay_alu instid0(VALU_DEP_1) | instskip(NEXT) | instid1(VALU_DEP_1)
	v_fma_f32 v29, |v28|, v29, 0x3b7cd369
	v_fma_f32 v29, |v28|, v29, 0xbcc618b2
	s_delay_alu instid0(VALU_DEP_1) | instskip(NEXT) | instid1(VALU_DEP_1)
	v_fma_f32 v29, |v28|, v29, 0x3dda74e4
	;; [unrolled: 3-line block ×3, first 2 shown]
	v_fma_f32 v29, |v28|, v29, |v28|
	s_delay_alu instid0(VALU_DEP_1) | instskip(SKIP_1) | instid1(VALU_DEP_2)
	v_mul_f32_e32 v30, 0xbfb8aa3b, v29
	v_cmp_nlt_f32_e64 s3, 0x42ce8ed0, v29
	v_fma_f32 v31, 0xbfb8aa3b, v29, -v30
	v_rndne_f32_e32 v32, v30
	s_delay_alu instid0(VALU_DEP_1) | instskip(NEXT) | instid1(VALU_DEP_1)
	v_dual_fmac_f32 v31, 0xb2a5705f, v29 :: v_dual_sub_f32 v30, v30, v32
	v_add_f32_e32 v30, v30, v31
	v_cvt_i32_f32_e32 v31, v32
	s_delay_alu instid0(VALU_DEP_2) | instskip(SKIP_2) | instid1(VALU_DEP_1)
	v_exp_f32_e32 v30, v30
	s_waitcnt_depctr 0xfff
	v_ldexp_f32 v30, v30, v31
	v_cndmask_b32_e64 v30, 0, v30, s3
	v_cmp_ngt_f32_e64 s3, 0xc2b17218, v29
	s_delay_alu instid0(VALU_DEP_1) | instskip(NEXT) | instid1(VALU_DEP_1)
	v_cndmask_b32_e64 v29, 0x7f800000, v30, s3
	v_sub_f32_e32 v29, 1.0, v29
.LBB241_43:                             ;   in Loop: Header=BB241_25 Depth=1
	s_and_not1_saveexec_b32 s3, s16
; %bb.44:                               ;   in Loop: Header=BB241_25 Depth=1
	v_mul_f32_e32 v29, v28, v28
	s_delay_alu instid0(VALU_DEP_1) | instskip(NEXT) | instid1(VALU_DEP_1)
	v_fmaak_f32 v30, s13, v29, 0x3ba10414
	v_fmaak_f32 v30, v29, v30, 0xbcdac9b8
	s_delay_alu instid0(VALU_DEP_1) | instskip(NEXT) | instid1(VALU_DEP_1)
	v_fmaak_f32 v30, v29, v30, 0x3de703be
	v_fmaak_f32 v30, v29, v30, 0xbec09330
	s_delay_alu instid0(VALU_DEP_1) | instskip(NEXT) | instid1(VALU_DEP_1)
	v_fmaak_f32 v29, v29, v30, 0x3e0375d0
	v_fma_f32 v29, |v28|, v29, |v28|
; %bb.45:                               ;   in Loop: Header=BB241_25 Depth=1
	s_or_b32 exec_lo, exec_lo, s3
	v_lshlrev_b32_e32 v24, 16, v24
	s_mov_b32 s16, exec_lo
                                        ; implicit-def: $vgpr30
	s_delay_alu instid0(VALU_DEP_1)
	v_cmpx_nlt_f32_e64 |v24|, 1.0
	s_xor_b32 s16, exec_lo, s16
	s_cbranch_execnz .LBB241_51
; %bb.46:                               ;   in Loop: Header=BB241_25 Depth=1
	s_and_not1_saveexec_b32 s3, s16
	s_cbranch_execnz .LBB241_52
.LBB241_47:                             ;   in Loop: Header=BB241_25 Depth=1
	s_or_b32 exec_lo, exec_lo, s3
	s_and_saveexec_b32 s3, vcc_lo
	s_delay_alu instid0(SALU_CYCLE_1)
	s_xor_b32 s3, exec_lo, s3
	s_cbranch_execnz .LBB241_53
.LBB241_48:                             ;   in Loop: Header=BB241_25 Depth=1
	s_or_b32 exec_lo, exec_lo, s3
	s_and_saveexec_b32 s3, s0
	s_cbranch_execnz .LBB241_54
.LBB241_49:                             ;   in Loop: Header=BB241_25 Depth=1
	s_or_b32 exec_lo, exec_lo, s3
	s_and_saveexec_b32 s0, s1
	s_cbranch_execnz .LBB241_55
.LBB241_50:                             ;   in Loop: Header=BB241_25 Depth=1
	s_or_b32 exec_lo, exec_lo, s0
	s_and_saveexec_b32 s0, s2
	s_cbranch_execz .LBB241_24
	s_branch .LBB241_56
.LBB241_51:                             ;   in Loop: Header=BB241_25 Depth=1
	v_fma_f32 v30, |v24|, s12, 0xb9c68948
	s_delay_alu instid0(VALU_DEP_1) | instskip(NEXT) | instid1(VALU_DEP_1)
	v_fma_f32 v30, |v24|, v30, 0x3b7cd369
	v_fma_f32 v30, |v24|, v30, 0xbcc618b2
	s_delay_alu instid0(VALU_DEP_1) | instskip(NEXT) | instid1(VALU_DEP_1)
	v_fma_f32 v30, |v24|, v30, 0x3dda74e4
	;; [unrolled: 3-line block ×3, first 2 shown]
	v_fma_f32 v30, |v24|, v30, |v24|
	s_delay_alu instid0(VALU_DEP_1) | instskip(SKIP_1) | instid1(VALU_DEP_2)
	v_mul_f32_e32 v31, 0xbfb8aa3b, v30
	v_cmp_nlt_f32_e64 s3, 0x42ce8ed0, v30
	v_fma_f32 v32, 0xbfb8aa3b, v30, -v31
	v_rndne_f32_e32 v33, v31
	s_delay_alu instid0(VALU_DEP_1) | instskip(NEXT) | instid1(VALU_DEP_1)
	v_dual_fmac_f32 v32, 0xb2a5705f, v30 :: v_dual_sub_f32 v31, v31, v33
	v_add_f32_e32 v31, v31, v32
	v_cvt_i32_f32_e32 v32, v33
	s_delay_alu instid0(VALU_DEP_2) | instskip(SKIP_2) | instid1(VALU_DEP_1)
	v_exp_f32_e32 v31, v31
	s_waitcnt_depctr 0xfff
	v_ldexp_f32 v31, v31, v32
	v_cndmask_b32_e64 v31, 0, v31, s3
	v_cmp_ngt_f32_e64 s3, 0xc2b17218, v30
	s_delay_alu instid0(VALU_DEP_1) | instskip(NEXT) | instid1(VALU_DEP_1)
	v_cndmask_b32_e64 v30, 0x7f800000, v31, s3
	v_sub_f32_e32 v30, 1.0, v30
	s_and_not1_saveexec_b32 s3, s16
	s_cbranch_execz .LBB241_47
.LBB241_52:                             ;   in Loop: Header=BB241_25 Depth=1
	v_mul_f32_e32 v30, v24, v24
	s_delay_alu instid0(VALU_DEP_1) | instskip(NEXT) | instid1(VALU_DEP_1)
	v_fmaak_f32 v31, s13, v30, 0x3ba10414
	v_fmaak_f32 v31, v30, v31, 0xbcdac9b8
	s_delay_alu instid0(VALU_DEP_1) | instskip(NEXT) | instid1(VALU_DEP_1)
	v_fmaak_f32 v31, v30, v31, 0x3de703be
	v_fmaak_f32 v31, v30, v31, 0xbec09330
	s_delay_alu instid0(VALU_DEP_1) | instskip(NEXT) | instid1(VALU_DEP_1)
	v_fmaak_f32 v30, v30, v31, 0x3e0375d0
	v_fma_f32 v30, |v24|, v30, |v24|
	s_or_b32 exec_lo, exec_lo, s3
	s_and_saveexec_b32 s3, vcc_lo
	s_delay_alu instid0(SALU_CYCLE_1)
	s_xor_b32 s3, exec_lo, s3
	s_cbranch_execz .LBB241_48
.LBB241_53:                             ;   in Loop: Header=BB241_25 Depth=1
	v_bfi_b32 v23, 0x7fffffff, v25, v23
	s_delay_alu instid0(VALU_DEP_1) | instskip(SKIP_1) | instid1(VALU_DEP_2)
	v_bfe_u32 v25, v23, 16, 1
	v_cmp_o_f32_e32 vcc_lo, v23, v23
	v_add3_u32 v25, v23, v25, 0x7fff
	s_delay_alu instid0(VALU_DEP_1) | instskip(NEXT) | instid1(VALU_DEP_1)
	v_lshrrev_b32_e32 v25, 16, v25
	v_cndmask_b32_e32 v23, 0x7fc0, v25, vcc_lo
	v_add_co_u32 v31, vcc_lo, v3, s4
	v_add_co_ci_u32_e32 v32, vcc_lo, s5, v4, vcc_lo
	global_store_b16 v[31:32], v23, off
	s_or_b32 exec_lo, exec_lo, s3
	s_and_saveexec_b32 s3, s0
	s_cbranch_execz .LBB241_49
.LBB241_54:                             ;   in Loop: Header=BB241_25 Depth=1
	v_bfi_b32 v23, 0x7fffffff, v27, v26
	s_delay_alu instid0(VALU_DEP_1) | instskip(SKIP_1) | instid1(VALU_DEP_2)
	v_bfe_u32 v25, v23, 16, 1
	v_cmp_o_f32_e32 vcc_lo, v23, v23
	v_add3_u32 v25, v23, v25, 0x7fff
	s_delay_alu instid0(VALU_DEP_1) | instskip(NEXT) | instid1(VALU_DEP_1)
	v_lshrrev_b32_e32 v25, 16, v25
	v_cndmask_b32_e32 v23, 0x7fc0, v25, vcc_lo
	v_add_co_u32 v25, vcc_lo, v21, s4
	v_add_co_ci_u32_e32 v26, vcc_lo, s5, v22, vcc_lo
	global_store_b16 v[25:26], v23, off
	s_or_b32 exec_lo, exec_lo, s3
	s_and_saveexec_b32 s0, s1
	s_cbranch_execz .LBB241_50
.LBB241_55:                             ;   in Loop: Header=BB241_25 Depth=1
	v_bfi_b32 v23, 0x7fffffff, v29, v28
	s_delay_alu instid0(VALU_DEP_1) | instskip(SKIP_1) | instid1(VALU_DEP_2)
	v_bfe_u32 v25, v23, 16, 1
	v_cmp_o_f32_e32 vcc_lo, v23, v23
	v_add3_u32 v25, v23, v25, 0x7fff
	s_delay_alu instid0(VALU_DEP_1) | instskip(NEXT) | instid1(VALU_DEP_1)
	v_lshrrev_b32_e32 v25, 16, v25
	v_cndmask_b32_e32 v23, 0x7fc0, v25, vcc_lo
	v_add_co_u32 v25, vcc_lo, v14, s4
	v_add_co_ci_u32_e32 v26, vcc_lo, s5, v15, vcc_lo
	global_store_b16 v[25:26], v23, off
	s_or_b32 exec_lo, exec_lo, s0
	s_and_saveexec_b32 s0, s2
	s_cbranch_execz .LBB241_24
.LBB241_56:                             ;   in Loop: Header=BB241_25 Depth=1
	v_bfi_b32 v23, 0x7fffffff, v30, v24
	s_delay_alu instid0(VALU_DEP_1) | instskip(SKIP_1) | instid1(VALU_DEP_2)
	v_bfe_u32 v24, v23, 16, 1
	v_cmp_o_f32_e32 vcc_lo, v23, v23
	v_add3_u32 v24, v23, v24, 0x7fff
	s_delay_alu instid0(VALU_DEP_1) | instskip(NEXT) | instid1(VALU_DEP_1)
	v_lshrrev_b32_e32 v24, 16, v24
	v_cndmask_b32_e32 v25, 0x7fc0, v24, vcc_lo
	v_add_co_u32 v23, vcc_lo, v7, s4
	v_add_co_ci_u32_e32 v24, vcc_lo, s5, v8, vcc_lo
	global_store_b16 v[23:24], v25, off
	s_branch .LBB241_24
.LBB241_57:
	s_nop 0
	s_sendmsg sendmsg(MSG_DEALLOC_VGPRS)
	s_endpgm
	.section	.rodata,"a",@progbits
	.p2align	6, 0x0
	.amdhsa_kernel _ZN2at6native12_GLOBAL__N_125multi_tensor_apply_kernelINS1_18TensorListMetadataILi2EEENS1_14UnaryOpFunctorIN3c108BFloat16ELi2ELi1ELi1EEEJNS0_3ErfIfEEEEEvT_T0_DpT1_
		.amdhsa_group_segment_fixed_size 0
		.amdhsa_private_segment_fixed_size 0
		.amdhsa_kernarg_size 3408
		.amdhsa_user_sgpr_count 15
		.amdhsa_user_sgpr_dispatch_ptr 0
		.amdhsa_user_sgpr_queue_ptr 0
		.amdhsa_user_sgpr_kernarg_segment_ptr 1
		.amdhsa_user_sgpr_dispatch_id 0
		.amdhsa_user_sgpr_private_segment_size 0
		.amdhsa_wavefront_size32 1
		.amdhsa_uses_dynamic_stack 0
		.amdhsa_enable_private_segment 0
		.amdhsa_system_sgpr_workgroup_id_x 1
		.amdhsa_system_sgpr_workgroup_id_y 0
		.amdhsa_system_sgpr_workgroup_id_z 0
		.amdhsa_system_sgpr_workgroup_info 0
		.amdhsa_system_vgpr_workitem_id 0
		.amdhsa_next_free_vgpr 34
		.amdhsa_next_free_sgpr 18
		.amdhsa_reserve_vcc 1
		.amdhsa_float_round_mode_32 0
		.amdhsa_float_round_mode_16_64 0
		.amdhsa_float_denorm_mode_32 3
		.amdhsa_float_denorm_mode_16_64 3
		.amdhsa_dx10_clamp 1
		.amdhsa_ieee_mode 1
		.amdhsa_fp16_overflow 0
		.amdhsa_workgroup_processor_mode 1
		.amdhsa_memory_ordered 1
		.amdhsa_forward_progress 0
		.amdhsa_shared_vgpr_count 0
		.amdhsa_exception_fp_ieee_invalid_op 0
		.amdhsa_exception_fp_denorm_src 0
		.amdhsa_exception_fp_ieee_div_zero 0
		.amdhsa_exception_fp_ieee_overflow 0
		.amdhsa_exception_fp_ieee_underflow 0
		.amdhsa_exception_fp_ieee_inexact 0
		.amdhsa_exception_int_div_zero 0
	.end_amdhsa_kernel
	.section	.text._ZN2at6native12_GLOBAL__N_125multi_tensor_apply_kernelINS1_18TensorListMetadataILi2EEENS1_14UnaryOpFunctorIN3c108BFloat16ELi2ELi1ELi1EEEJNS0_3ErfIfEEEEEvT_T0_DpT1_,"axG",@progbits,_ZN2at6native12_GLOBAL__N_125multi_tensor_apply_kernelINS1_18TensorListMetadataILi2EEENS1_14UnaryOpFunctorIN3c108BFloat16ELi2ELi1ELi1EEEJNS0_3ErfIfEEEEEvT_T0_DpT1_,comdat
.Lfunc_end241:
	.size	_ZN2at6native12_GLOBAL__N_125multi_tensor_apply_kernelINS1_18TensorListMetadataILi2EEENS1_14UnaryOpFunctorIN3c108BFloat16ELi2ELi1ELi1EEEJNS0_3ErfIfEEEEEvT_T0_DpT1_, .Lfunc_end241-_ZN2at6native12_GLOBAL__N_125multi_tensor_apply_kernelINS1_18TensorListMetadataILi2EEENS1_14UnaryOpFunctorIN3c108BFloat16ELi2ELi1ELi1EEEJNS0_3ErfIfEEEEEvT_T0_DpT1_
                                        ; -- End function
	.section	.AMDGPU.csdata,"",@progbits
; Kernel info:
; codeLenInByte = 4412
; NumSgprs: 20
; NumVgprs: 34
; ScratchSize: 0
; MemoryBound: 0
; FloatMode: 240
; IeeeMode: 1
; LDSByteSize: 0 bytes/workgroup (compile time only)
; SGPRBlocks: 2
; VGPRBlocks: 4
; NumSGPRsForWavesPerEU: 20
; NumVGPRsForWavesPerEU: 34
; Occupancy: 16
; WaveLimiterHint : 0
; COMPUTE_PGM_RSRC2:SCRATCH_EN: 0
; COMPUTE_PGM_RSRC2:USER_SGPR: 15
; COMPUTE_PGM_RSRC2:TRAP_HANDLER: 0
; COMPUTE_PGM_RSRC2:TGID_X_EN: 1
; COMPUTE_PGM_RSRC2:TGID_Y_EN: 0
; COMPUTE_PGM_RSRC2:TGID_Z_EN: 0
; COMPUTE_PGM_RSRC2:TIDIG_COMP_CNT: 0
	.section	.text._ZN2at6native12_GLOBAL__N_125multi_tensor_apply_kernelINS1_18TensorListMetadataILi1EEENS1_14UnaryOpFunctorIdLi1ELi1ELi0EEEJNS0_3ErfIdEEEEEvT_T0_DpT1_,"axG",@progbits,_ZN2at6native12_GLOBAL__N_125multi_tensor_apply_kernelINS1_18TensorListMetadataILi1EEENS1_14UnaryOpFunctorIdLi1ELi1ELi0EEEJNS0_3ErfIdEEEEEvT_T0_DpT1_,comdat
	.globl	_ZN2at6native12_GLOBAL__N_125multi_tensor_apply_kernelINS1_18TensorListMetadataILi1EEENS1_14UnaryOpFunctorIdLi1ELi1ELi0EEEJNS0_3ErfIdEEEEEvT_T0_DpT1_ ; -- Begin function _ZN2at6native12_GLOBAL__N_125multi_tensor_apply_kernelINS1_18TensorListMetadataILi1EEENS1_14UnaryOpFunctorIdLi1ELi1ELi0EEEJNS0_3ErfIdEEEEEvT_T0_DpT1_
	.p2align	8
	.type	_ZN2at6native12_GLOBAL__N_125multi_tensor_apply_kernelINS1_18TensorListMetadataILi1EEENS1_14UnaryOpFunctorIdLi1ELi1ELi0EEEJNS0_3ErfIdEEEEEvT_T0_DpT1_,@function
_ZN2at6native12_GLOBAL__N_125multi_tensor_apply_kernelINS1_18TensorListMetadataILi1EEENS1_14UnaryOpFunctorIdLi1ELi1ELi0EEEJNS0_3ErfIdEEEEEvT_T0_DpT1_: ; @_ZN2at6native12_GLOBAL__N_125multi_tensor_apply_kernelINS1_18TensorListMetadataILi1EEENS1_14UnaryOpFunctorIdLi1ELi1ELi0EEEJNS0_3ErfIdEEEEEvT_T0_DpT1_
; %bb.0:
	v_mov_b32_e32 v1, s15
	s_add_u32 s3, s0, s15
	s_mul_hi_u32 s5, s15, 3
	s_mul_i32 s15, s15, 3
	s_addc_u32 s2, s1, 0
	global_load_u8 v1, v1, s[0:1] offset:1760
	s_add_u32 s4, s3, s15
	s_addc_u32 s5, s2, s5
                                        ; implicit-def: $vgpr33 : SGPR spill to VGPR lane
	s_load_b32 s10, s[4:5], 0x820
	s_mov_b32 s5, 0
	s_waitcnt lgkmcnt(0)
	s_ashr_i32 s11, s10, 31
	s_delay_alu instid0(SALU_CYCLE_1) | instskip(SKIP_2) | instid1(VALU_DEP_1)
	s_lshl_b64 s[8:9], s[10:11], 19
	s_waitcnt vmcnt(0)
	v_readfirstlane_b32 s3, v1
	s_lshl_b32 s2, s3, 3
	s_load_b64 s[6:7], s[0:1], s2 offset:0x0
	v_writelane_b32 v33, s0, 0
	s_load_b64 s[2:3], s[0:1], s2 offset:0x370
	v_writelane_b32 v33, s1, 1
	s_lshl_b64 s[0:1], s[10:11], 16
	v_writelane_b32 v33, s8, 2
	v_writelane_b32 v33, s9, 3
	s_waitcnt lgkmcnt(0)
	v_writelane_b32 v33, s6, 4
	s_and_b32 s4, s6, 31
	s_sub_u32 s8, s2, s0
	s_subb_u32 s9, s3, s1
	s_and_b32 s0, s2, 3
	s_mov_b32 s1, s5
	v_writelane_b32 v33, s7, 5
	s_or_b64 s[0:1], s[4:5], s[0:1]
	s_delay_alu instid0(SALU_CYCLE_1)
	s_cmp_eq_u64 s[0:1], 0
	s_cbranch_scc1 .LBB242_37
; %bb.1:
	v_cmp_lt_i64_e64 s0, s[8:9], 1
	s_delay_alu instid0(VALU_DEP_1)
	s_and_b32 vcc_lo, exec_lo, s0
	s_cbranch_vccnz .LBB242_36
; %bb.2:
	v_readlane_b32 s0, v33, 0
	v_readlane_b32 s1, v33, 1
	v_lshlrev_b32_e32 v1, 3, v0
	s_mov_b32 s24, 0x7074b644
	s_mov_b32 s26, 0xa78ce240
	;; [unrolled: 1-line block ×3, first 2 shown]
	s_load_b32 s0, s[0:1], 0xd3c
	v_cmp_gt_u64_e64 s1, 0x10000, s[8:9]
	s_mov_b32 s30, 0x8c94b617
	s_mov_b32 s34, 0x312306d0
	;; [unrolled: 1-line block ×18, first 2 shown]
	s_waitcnt lgkmcnt(0)
	s_and_b32 s0, s0, 0xffff
	s_and_b32 s1, s1, exec_lo
	s_cselect_b32 s15, s9, 0
	s_cselect_b32 s14, s8, 0x10000
	s_lshl_b32 s3, s0, 2
	s_lshl_b32 s1, s0, 1
	v_writelane_b32 v33, s3, 6
	s_mul_i32 s3, s0, 24
	s_mul_i32 s2, s0, 3
	s_mov_b32 s68, 0x3b39803f
	v_add_co_u32 v23, s2, s2, v0
	v_writelane_b32 v33, s3, 7
	v_add_co_u32 v21, s3, v0, s0
	s_delay_alu instid0(VALU_DEP_1) | instskip(NEXT) | instid1(VALU_DEP_3)
	v_add_co_ci_u32_e64 v22, null, 0, 0, s3
	v_readlane_b32 s4, v33, 4
	v_readlane_b32 s10, v33, 2
	;; [unrolled: 1-line block ×4, first 2 shown]
	v_lshlrev_b32_e32 v3, 3, v21
	v_add_co_ci_u32_e64 v24, null, 0, 0, s2
	s_add_u32 s4, s4, s10
	s_delay_alu instid0(VALU_DEP_3) | instskip(SKIP_3) | instid1(VALU_DEP_1)
	s_addc_u32 s3, s5, s11
	s_lshl_b32 s104, s0, 5
	s_lshl_b32 vcc_hi, s0, 4
	v_add_co_u32 v1, s0, s4, v1
	v_add_co_ci_u32_e64 v2, null, s3, 0, s0
	v_add_co_u32 v25, s0, s1, v0
	s_delay_alu instid0(VALU_DEP_1) | instskip(SKIP_1) | instid1(VALU_DEP_1)
	v_add_co_ci_u32_e64 v26, null, 0, 0, s0
	v_add_co_u32 v3, s0, s4, v3
	v_add_co_ci_u32_e64 v4, null, s3, 0, s0
	s_mov_b32 s70, 0xfca7ab0c
	s_mov_b32 s72, 0x6a5dcb37
	;; [unrolled: 1-line block ×66, first 2 shown]
	s_mov_b64 s[20:21], 0
	s_branch .LBB242_4
.LBB242_3:                              ;   in Loop: Header=BB242_4 Depth=1
	s_or_b32 exec_lo, exec_lo, s2
	v_readlane_b32 s2, v33, 6
	v_add_co_u32 v1, vcc_lo, v1, s104
	v_add_co_ci_u32_e32 v2, vcc_lo, 0, v2, vcc_lo
	s_delay_alu instid0(VALU_DEP_3)
	s_add_u32 s20, s20, s2
	s_addc_u32 s21, s21, 0
	v_add_co_u32 v3, vcc_lo, v3, s104
	v_cmp_ge_i64_e64 s2, s[20:21], s[8:9]
	v_cmp_lt_u64_e64 s3, 0xffff, s[20:21]
	v_add_co_ci_u32_e32 v4, vcc_lo, 0, v4, vcc_lo
	s_delay_alu instid0(VALU_DEP_2) | instskip(NEXT) | instid1(SALU_CYCLE_1)
	s_or_b32 s2, s2, s3
	s_and_b32 vcc_lo, exec_lo, s2
	s_cbranch_vccnz .LBB242_36
.LBB242_4:                              ; =>This Inner Loop Header: Depth=1
	v_add_co_u32 v7, s2, v0, s20
	s_delay_alu instid0(VALU_DEP_1) | instskip(SKIP_2) | instid1(VALU_DEP_3)
	v_add_co_ci_u32_e64 v8, null, 0, s21, s2
	v_mov_b32_e32 v5, 0
	v_mov_b32_e32 v6, 0
	v_cmp_gt_u64_e32 vcc_lo, s[14:15], v[7:8]
	s_delay_alu instid0(VALU_DEP_2)
	v_dual_mov_b32 v10, v6 :: v_dual_mov_b32 v9, v5
	s_and_saveexec_b32 s2, vcc_lo
	s_cbranch_execz .LBB242_6
; %bb.5:                                ;   in Loop: Header=BB242_4 Depth=1
	global_load_b64 v[9:10], v[1:2], off
.LBB242_6:                              ;   in Loop: Header=BB242_4 Depth=1
	s_or_b32 exec_lo, exec_lo, s2
	v_add_co_u32 v7, s2, v21, s20
	s_delay_alu instid0(VALU_DEP_1) | instskip(NEXT) | instid1(VALU_DEP_1)
	v_add_co_ci_u32_e64 v8, s2, s21, v22, s2
	v_cmp_gt_u64_e64 s2, s[14:15], v[7:8]
	s_delay_alu instid0(VALU_DEP_1)
	s_and_saveexec_b32 s3, s2
	s_cbranch_execz .LBB242_8
; %bb.7:                                ;   in Loop: Header=BB242_4 Depth=1
	global_load_b64 v[5:6], v[3:4], off
.LBB242_8:                              ;   in Loop: Header=BB242_4 Depth=1
	s_or_b32 exec_lo, exec_lo, s3
	v_add_co_u32 v11, s3, v25, s20
	s_delay_alu instid0(VALU_DEP_1) | instskip(SKIP_2) | instid1(VALU_DEP_3)
	v_add_co_ci_u32_e64 v12, s3, s21, v26, s3
	v_mov_b32_e32 v7, 0
	v_mov_b32_e32 v8, 0
	v_cmp_gt_u64_e64 s3, s[14:15], v[11:12]
	s_delay_alu instid0(VALU_DEP_2) | instskip(NEXT) | instid1(VALU_DEP_2)
	v_dual_mov_b32 v12, v8 :: v_dual_mov_b32 v11, v7
	s_and_saveexec_b32 s5, s3
	s_cbranch_execz .LBB242_10
; %bb.9:                                ;   in Loop: Header=BB242_4 Depth=1
	v_add_co_u32 v11, s4, v1, vcc_hi
	s_delay_alu instid0(VALU_DEP_1)
	v_add_co_ci_u32_e64 v12, s4, 0, v2, s4
	global_load_b64 v[11:12], v[11:12], off
.LBB242_10:                             ;   in Loop: Header=BB242_4 Depth=1
	s_or_b32 exec_lo, exec_lo, s5
	v_add_co_u32 v13, s4, v23, s20
	s_delay_alu instid0(VALU_DEP_1) | instskip(NEXT) | instid1(VALU_DEP_1)
	v_add_co_ci_u32_e64 v14, s4, s21, v24, s4
	v_cmp_gt_u64_e64 s4, s[14:15], v[13:14]
	s_delay_alu instid0(VALU_DEP_1)
	s_and_saveexec_b32 s6, s4
	s_cbranch_execz .LBB242_12
; %bb.11:                               ;   in Loop: Header=BB242_4 Depth=1
	v_readlane_b32 s5, v33, 7
	s_delay_alu instid0(VALU_DEP_1) | instskip(NEXT) | instid1(VALU_DEP_1)
	v_add_co_u32 v7, s5, v1, s5
	v_add_co_ci_u32_e64 v8, s5, 0, v2, s5
	global_load_b64 v[7:8], v[7:8], off
.LBB242_12:                             ;   in Loop: Header=BB242_4 Depth=1
	s_or_b32 exec_lo, exec_lo, s6
                                        ; implicit-def: $vgpr13_vgpr14
	s_delay_alu instid0(SALU_CYCLE_1)
	s_mov_b32 s6, exec_lo
	s_waitcnt vmcnt(0)
	v_cmpx_nlt_f64_e64 |v[9:10]|, 1.0
	s_xor_b32 s33, exec_lo, s6
	s_cbranch_execz .LBB242_14
; %bb.13:                               ;   in Loop: Header=BB242_4 Depth=1
	s_mov_b32 s6, 0x502a41cd
	s_mov_b32 s22, 0xc14b24be
	s_mov_b32 s7, 0xbcc145a3
	s_mov_b32 s23, 0x3c598d37
	s_delay_alu instid0(SALU_CYCLE_1)
	v_fma_f64 v[13:14], |v[9:10]|, s[22:23], s[6:7]
	s_mov_b32 s6, 0xd735f9ec
	s_mov_b32 s7, 0x3d162dee
	s_delay_alu instid0(VALU_DEP_1) | instid1(SALU_CYCLE_1)
	v_fma_f64 v[13:14], |v[9:10]|, v[13:14], s[6:7]
	s_mov_b32 s6, 0x5552ca22
	s_mov_b32 s7, 0xbd61ffe5
	s_delay_alu instid0(VALU_DEP_1) | instid1(SALU_CYCLE_1)
	v_fma_f64 v[13:14], |v[9:10]|, v[13:14], s[6:7]
	s_delay_alu instid0(VALU_DEP_1) | instskip(NEXT) | instid1(VALU_DEP_1)
	v_fma_f64 v[13:14], |v[9:10]|, v[13:14], s[24:25]
	v_fma_f64 v[13:14], |v[9:10]|, v[13:14], s[26:27]
	s_delay_alu instid0(VALU_DEP_1) | instskip(NEXT) | instid1(VALU_DEP_1)
	v_fma_f64 v[13:14], |v[9:10]|, v[13:14], s[28:29]
	;; [unrolled: 3-line block ×10, first 2 shown]
	v_fma_f64 v[13:14], |v[9:10]|, v[13:14], |v[9:10]|
	s_delay_alu instid0(VALU_DEP_1) | instskip(SKIP_2) | instid1(VALU_DEP_3)
	v_mul_f64 v[15:16], v[13:14], s[64:65]
	v_cmp_ngt_f64_e64 s5, 0xc0900000, v[13:14]
	v_cmp_nlt_f64_e64 s6, 0x4090cc00, v[13:14]
	v_rndne_f64_e32 v[15:16], v[15:16]
	s_delay_alu instid0(VALU_DEP_1) | instskip(SKIP_1) | instid1(VALU_DEP_2)
	v_fma_f64 v[17:18], v[15:16], s[66:67], -v[13:14]
	v_cvt_i32_f64_e32 v27, v[15:16]
	v_fma_f64 v[17:18], v[15:16], s[68:69], v[17:18]
	s_delay_alu instid0(VALU_DEP_1) | instskip(NEXT) | instid1(VALU_DEP_1)
	v_fma_f64 v[19:20], v[17:18], s[72:73], s[70:71]
	v_fma_f64 v[19:20], v[17:18], v[19:20], s[74:75]
	s_delay_alu instid0(VALU_DEP_1) | instskip(NEXT) | instid1(VALU_DEP_1)
	v_fma_f64 v[19:20], v[17:18], v[19:20], s[76:77]
	;; [unrolled: 3-line block ×5, first 2 shown]
	v_fma_f64 v[19:20], v[17:18], v[19:20], 1.0
	s_delay_alu instid0(VALU_DEP_1) | instskip(NEXT) | instid1(VALU_DEP_1)
	v_fma_f64 v[15:16], v[17:18], v[19:20], 1.0
	v_ldexp_f64 v[15:16], v[15:16], v27
	s_delay_alu instid0(VALU_DEP_1) | instskip(NEXT) | instid1(VALU_DEP_1)
	v_add_f64 v[15:16], -v[15:16], 1.0
	v_cndmask_b32_e64 v13, 0xfff00000, v16, s5
	s_and_b32 s5, s6, s5
	s_delay_alu instid0(VALU_DEP_1) | instskip(NEXT) | instid1(VALU_DEP_3)
	v_cndmask_b32_e64 v14, 0x3ff00000, v13, s6
	v_cndmask_b32_e64 v13, 0, v15, s5
.LBB242_14:                             ;   in Loop: Header=BB242_4 Depth=1
	s_and_not1_saveexec_b32 s5, s33
	s_cbranch_execz .LBB242_16
; %bb.15:                               ;   in Loop: Header=BB242_4 Depth=1
	v_mul_f64 v[13:14], v[9:10], v[9:10]
	s_delay_alu instid0(VALU_DEP_1) | instskip(NEXT) | instid1(VALU_DEP_1)
	v_fma_f64 v[15:16], v[13:14], s[92:93], s[90:91]
	v_fma_f64 v[15:16], v[13:14], v[15:16], s[94:95]
	s_delay_alu instid0(VALU_DEP_1) | instskip(NEXT) | instid1(VALU_DEP_1)
	v_fma_f64 v[15:16], v[13:14], v[15:16], s[96:97]
	v_fma_f64 v[15:16], v[13:14], v[15:16], s[98:99]
	s_delay_alu instid0(VALU_DEP_1) | instskip(NEXT) | instid1(VALU_DEP_1)
	v_fma_f64 v[15:16], v[13:14], v[15:16], s[100:101]
	v_fma_f64 v[15:16], v[13:14], v[15:16], s[102:103]
	s_delay_alu instid0(VALU_DEP_1) | instskip(NEXT) | instid1(VALU_DEP_1)
	v_fma_f64 v[15:16], v[13:14], v[15:16], s[10:11]
	v_fma_f64 v[15:16], v[13:14], v[15:16], s[12:13]
	s_delay_alu instid0(VALU_DEP_1) | instskip(NEXT) | instid1(VALU_DEP_1)
	v_fma_f64 v[15:16], v[13:14], v[15:16], s[16:17]
	v_fma_f64 v[15:16], v[13:14], v[15:16], s[0:1]
	s_delay_alu instid0(VALU_DEP_1) | instskip(NEXT) | instid1(VALU_DEP_1)
	v_fma_f64 v[13:14], v[13:14], v[15:16], s[18:19]
	v_fma_f64 v[13:14], |v[9:10]|, v[13:14], |v[9:10]|
.LBB242_16:                             ;   in Loop: Header=BB242_4 Depth=1
	s_or_b32 exec_lo, exec_lo, s5
                                        ; implicit-def: $vgpr15_vgpr16
	s_delay_alu instid0(SALU_CYCLE_1)
	s_mov_b32 s6, exec_lo
	v_cmpx_nlt_f64_e64 |v[5:6]|, 1.0
	s_xor_b32 s33, exec_lo, s6
	s_cbranch_execz .LBB242_18
; %bb.17:                               ;   in Loop: Header=BB242_4 Depth=1
	s_mov_b32 s6, 0x502a41cd
	s_mov_b32 s22, 0xc14b24be
	;; [unrolled: 1-line block ×4, first 2 shown]
	s_delay_alu instid0(SALU_CYCLE_1)
	v_fma_f64 v[15:16], |v[5:6]|, s[22:23], s[6:7]
	s_mov_b32 s6, 0xd735f9ec
	s_mov_b32 s7, 0x3d162dee
	s_delay_alu instid0(VALU_DEP_1) | instid1(SALU_CYCLE_1)
	v_fma_f64 v[15:16], |v[5:6]|, v[15:16], s[6:7]
	s_mov_b32 s6, 0x5552ca22
	s_mov_b32 s7, 0xbd61ffe5
	s_delay_alu instid0(VALU_DEP_1) | instid1(SALU_CYCLE_1)
	v_fma_f64 v[15:16], |v[5:6]|, v[15:16], s[6:7]
	s_delay_alu instid0(VALU_DEP_1) | instskip(NEXT) | instid1(VALU_DEP_1)
	v_fma_f64 v[15:16], |v[5:6]|, v[15:16], s[24:25]
	v_fma_f64 v[15:16], |v[5:6]|, v[15:16], s[26:27]
	s_delay_alu instid0(VALU_DEP_1) | instskip(NEXT) | instid1(VALU_DEP_1)
	v_fma_f64 v[15:16], |v[5:6]|, v[15:16], s[28:29]
	;; [unrolled: 3-line block ×10, first 2 shown]
	v_fma_f64 v[15:16], |v[5:6]|, v[15:16], |v[5:6]|
	s_delay_alu instid0(VALU_DEP_1) | instskip(SKIP_2) | instid1(VALU_DEP_3)
	v_mul_f64 v[17:18], v[15:16], s[64:65]
	v_cmp_ngt_f64_e64 s5, 0xc0900000, v[15:16]
	v_cmp_nlt_f64_e64 s6, 0x4090cc00, v[15:16]
	v_rndne_f64_e32 v[17:18], v[17:18]
	s_delay_alu instid0(VALU_DEP_1) | instskip(SKIP_1) | instid1(VALU_DEP_2)
	v_fma_f64 v[19:20], v[17:18], s[66:67], -v[15:16]
	v_cvt_i32_f64_e32 v9, v[17:18]
	v_fma_f64 v[19:20], v[17:18], s[68:69], v[19:20]
	s_delay_alu instid0(VALU_DEP_1) | instskip(NEXT) | instid1(VALU_DEP_1)
	v_fma_f64 v[27:28], v[19:20], s[72:73], s[70:71]
	v_fma_f64 v[27:28], v[19:20], v[27:28], s[74:75]
	s_delay_alu instid0(VALU_DEP_1) | instskip(NEXT) | instid1(VALU_DEP_1)
	v_fma_f64 v[27:28], v[19:20], v[27:28], s[76:77]
	;; [unrolled: 3-line block ×5, first 2 shown]
	v_fma_f64 v[27:28], v[19:20], v[27:28], 1.0
	s_delay_alu instid0(VALU_DEP_1) | instskip(NEXT) | instid1(VALU_DEP_1)
	v_fma_f64 v[17:18], v[19:20], v[27:28], 1.0
	v_ldexp_f64 v[17:18], v[17:18], v9
	s_delay_alu instid0(VALU_DEP_1) | instskip(NEXT) | instid1(VALU_DEP_1)
	v_add_f64 v[17:18], -v[17:18], 1.0
	v_cndmask_b32_e64 v9, 0xfff00000, v18, s5
	s_and_b32 s5, s6, s5
	s_delay_alu instid0(VALU_DEP_2) | instid1(SALU_CYCLE_1)
	v_cndmask_b32_e64 v15, 0, v17, s5
	s_delay_alu instid0(VALU_DEP_2)
	v_cndmask_b32_e64 v16, 0x3ff00000, v9, s6
.LBB242_18:                             ;   in Loop: Header=BB242_4 Depth=1
	s_and_not1_saveexec_b32 s5, s33
	s_cbranch_execz .LBB242_20
; %bb.19:                               ;   in Loop: Header=BB242_4 Depth=1
	v_mul_f64 v[15:16], v[5:6], v[5:6]
	s_delay_alu instid0(VALU_DEP_1) | instskip(NEXT) | instid1(VALU_DEP_1)
	v_fma_f64 v[17:18], v[15:16], s[92:93], s[90:91]
	v_fma_f64 v[17:18], v[15:16], v[17:18], s[94:95]
	s_delay_alu instid0(VALU_DEP_1) | instskip(NEXT) | instid1(VALU_DEP_1)
	v_fma_f64 v[17:18], v[15:16], v[17:18], s[96:97]
	v_fma_f64 v[17:18], v[15:16], v[17:18], s[98:99]
	;; [unrolled: 3-line block ×5, first 2 shown]
	s_delay_alu instid0(VALU_DEP_1) | instskip(NEXT) | instid1(VALU_DEP_1)
	v_fma_f64 v[15:16], v[15:16], v[17:18], s[18:19]
	v_fma_f64 v[15:16], |v[5:6]|, v[15:16], |v[5:6]|
.LBB242_20:                             ;   in Loop: Header=BB242_4 Depth=1
	s_or_b32 exec_lo, exec_lo, s5
                                        ; implicit-def: $vgpr17_vgpr18
	s_delay_alu instid0(SALU_CYCLE_1)
	s_mov_b32 s6, exec_lo
	v_cmpx_nlt_f64_e64 |v[11:12]|, 1.0
	s_xor_b32 s33, exec_lo, s6
	s_cbranch_execz .LBB242_22
; %bb.21:                               ;   in Loop: Header=BB242_4 Depth=1
	s_mov_b32 s6, 0x502a41cd
	s_mov_b32 s22, 0xc14b24be
	s_mov_b32 s7, 0xbcc145a3
	s_mov_b32 s23, 0x3c598d37
	s_delay_alu instid0(SALU_CYCLE_1)
	v_fma_f64 v[17:18], |v[11:12]|, s[22:23], s[6:7]
	s_mov_b32 s6, 0xd735f9ec
	s_mov_b32 s7, 0x3d162dee
	s_delay_alu instid0(VALU_DEP_1) | instid1(SALU_CYCLE_1)
	v_fma_f64 v[17:18], |v[11:12]|, v[17:18], s[6:7]
	s_mov_b32 s6, 0x5552ca22
	s_mov_b32 s7, 0xbd61ffe5
	s_delay_alu instid0(VALU_DEP_1) | instid1(SALU_CYCLE_1)
	v_fma_f64 v[17:18], |v[11:12]|, v[17:18], s[6:7]
	s_delay_alu instid0(VALU_DEP_1) | instskip(NEXT) | instid1(VALU_DEP_1)
	v_fma_f64 v[17:18], |v[11:12]|, v[17:18], s[24:25]
	v_fma_f64 v[17:18], |v[11:12]|, v[17:18], s[26:27]
	s_delay_alu instid0(VALU_DEP_1) | instskip(NEXT) | instid1(VALU_DEP_1)
	v_fma_f64 v[17:18], |v[11:12]|, v[17:18], s[28:29]
	;; [unrolled: 3-line block ×10, first 2 shown]
	v_fma_f64 v[17:18], |v[11:12]|, v[17:18], |v[11:12]|
	s_delay_alu instid0(VALU_DEP_1) | instskip(SKIP_2) | instid1(VALU_DEP_3)
	v_mul_f64 v[19:20], v[17:18], s[64:65]
	v_cmp_ngt_f64_e64 s5, 0xc0900000, v[17:18]
	v_cmp_nlt_f64_e64 s6, 0x4090cc00, v[17:18]
	v_rndne_f64_e32 v[19:20], v[19:20]
	s_delay_alu instid0(VALU_DEP_1) | instskip(SKIP_1) | instid1(VALU_DEP_2)
	v_fma_f64 v[27:28], v[19:20], s[66:67], -v[17:18]
	v_cvt_i32_f64_e32 v5, v[19:20]
	v_fma_f64 v[27:28], v[19:20], s[68:69], v[27:28]
	s_delay_alu instid0(VALU_DEP_1) | instskip(NEXT) | instid1(VALU_DEP_1)
	v_fma_f64 v[29:30], v[27:28], s[72:73], s[70:71]
	v_fma_f64 v[29:30], v[27:28], v[29:30], s[74:75]
	s_delay_alu instid0(VALU_DEP_1) | instskip(NEXT) | instid1(VALU_DEP_1)
	v_fma_f64 v[29:30], v[27:28], v[29:30], s[76:77]
	;; [unrolled: 3-line block ×5, first 2 shown]
	v_fma_f64 v[29:30], v[27:28], v[29:30], 1.0
	s_delay_alu instid0(VALU_DEP_1) | instskip(NEXT) | instid1(VALU_DEP_1)
	v_fma_f64 v[19:20], v[27:28], v[29:30], 1.0
	v_ldexp_f64 v[19:20], v[19:20], v5
	s_delay_alu instid0(VALU_DEP_1) | instskip(NEXT) | instid1(VALU_DEP_1)
	v_add_f64 v[19:20], -v[19:20], 1.0
	v_cndmask_b32_e64 v5, 0xfff00000, v20, s5
	s_and_b32 s5, s6, s5
	s_delay_alu instid0(VALU_DEP_2) | instid1(SALU_CYCLE_1)
	v_cndmask_b32_e64 v17, 0, v19, s5
	s_delay_alu instid0(VALU_DEP_2)
	v_cndmask_b32_e64 v18, 0x3ff00000, v5, s6
.LBB242_22:                             ;   in Loop: Header=BB242_4 Depth=1
	s_and_not1_saveexec_b32 s5, s33
	s_cbranch_execz .LBB242_24
; %bb.23:                               ;   in Loop: Header=BB242_4 Depth=1
	v_mul_f64 v[17:18], v[11:12], v[11:12]
	s_delay_alu instid0(VALU_DEP_1) | instskip(NEXT) | instid1(VALU_DEP_1)
	v_fma_f64 v[19:20], v[17:18], s[92:93], s[90:91]
	v_fma_f64 v[19:20], v[17:18], v[19:20], s[94:95]
	s_delay_alu instid0(VALU_DEP_1) | instskip(NEXT) | instid1(VALU_DEP_1)
	v_fma_f64 v[19:20], v[17:18], v[19:20], s[96:97]
	v_fma_f64 v[19:20], v[17:18], v[19:20], s[98:99]
	;; [unrolled: 3-line block ×5, first 2 shown]
	s_delay_alu instid0(VALU_DEP_1) | instskip(NEXT) | instid1(VALU_DEP_1)
	v_fma_f64 v[17:18], v[17:18], v[19:20], s[18:19]
	v_fma_f64 v[17:18], |v[11:12]|, v[17:18], |v[11:12]|
.LBB242_24:                             ;   in Loop: Header=BB242_4 Depth=1
	s_or_b32 exec_lo, exec_lo, s5
                                        ; implicit-def: $vgpr19_vgpr20
	s_delay_alu instid0(SALU_CYCLE_1)
	s_mov_b32 s6, exec_lo
	v_cmpx_nlt_f64_e64 |v[7:8]|, 1.0
	s_xor_b32 s33, exec_lo, s6
	s_cbranch_execnz .LBB242_30
; %bb.25:                               ;   in Loop: Header=BB242_4 Depth=1
	s_and_not1_saveexec_b32 s5, s33
	s_cbranch_execnz .LBB242_31
.LBB242_26:                             ;   in Loop: Header=BB242_4 Depth=1
	s_or_b32 exec_lo, exec_lo, s5
	s_and_saveexec_b32 s5, vcc_lo
	s_delay_alu instid0(SALU_CYCLE_1)
	s_xor_b32 s5, exec_lo, s5
	s_cbranch_execnz .LBB242_32
.LBB242_27:                             ;   in Loop: Header=BB242_4 Depth=1
	s_or_b32 exec_lo, exec_lo, s5
	s_and_saveexec_b32 s5, s2
	s_cbranch_execnz .LBB242_33
.LBB242_28:                             ;   in Loop: Header=BB242_4 Depth=1
	s_or_b32 exec_lo, exec_lo, s5
	s_and_saveexec_b32 s2, s3
	s_cbranch_execnz .LBB242_34
.LBB242_29:                             ;   in Loop: Header=BB242_4 Depth=1
	s_or_b32 exec_lo, exec_lo, s2
	s_and_saveexec_b32 s2, s4
	s_cbranch_execz .LBB242_3
	s_branch .LBB242_35
.LBB242_30:                             ;   in Loop: Header=BB242_4 Depth=1
	s_mov_b32 s6, 0x502a41cd
	s_mov_b32 s22, 0xc14b24be
	;; [unrolled: 1-line block ×4, first 2 shown]
	s_delay_alu instid0(SALU_CYCLE_1)
	v_fma_f64 v[19:20], |v[7:8]|, s[22:23], s[6:7]
	s_mov_b32 s6, 0xd735f9ec
	s_mov_b32 s7, 0x3d162dee
	s_delay_alu instid0(VALU_DEP_1) | instid1(SALU_CYCLE_1)
	v_fma_f64 v[19:20], |v[7:8]|, v[19:20], s[6:7]
	s_mov_b32 s6, 0x5552ca22
	s_mov_b32 s7, 0xbd61ffe5
	s_delay_alu instid0(VALU_DEP_1) | instid1(SALU_CYCLE_1)
	v_fma_f64 v[19:20], |v[7:8]|, v[19:20], s[6:7]
	s_delay_alu instid0(VALU_DEP_1) | instskip(NEXT) | instid1(VALU_DEP_1)
	v_fma_f64 v[19:20], |v[7:8]|, v[19:20], s[24:25]
	v_fma_f64 v[19:20], |v[7:8]|, v[19:20], s[26:27]
	s_delay_alu instid0(VALU_DEP_1) | instskip(NEXT) | instid1(VALU_DEP_1)
	v_fma_f64 v[19:20], |v[7:8]|, v[19:20], s[28:29]
	;; [unrolled: 3-line block ×10, first 2 shown]
	v_fma_f64 v[19:20], |v[7:8]|, v[19:20], |v[7:8]|
	s_delay_alu instid0(VALU_DEP_1) | instskip(SKIP_2) | instid1(VALU_DEP_3)
	v_mul_f64 v[27:28], v[19:20], s[64:65]
	v_cmp_ngt_f64_e64 s5, 0xc0900000, v[19:20]
	v_cmp_nlt_f64_e64 s6, 0x4090cc00, v[19:20]
	v_rndne_f64_e32 v[27:28], v[27:28]
	s_delay_alu instid0(VALU_DEP_1) | instskip(SKIP_1) | instid1(VALU_DEP_2)
	v_fma_f64 v[29:30], v[27:28], s[66:67], -v[19:20]
	v_cvt_i32_f64_e32 v5, v[27:28]
	v_fma_f64 v[29:30], v[27:28], s[68:69], v[29:30]
	s_delay_alu instid0(VALU_DEP_1) | instskip(NEXT) | instid1(VALU_DEP_1)
	v_fma_f64 v[31:32], v[29:30], s[72:73], s[70:71]
	v_fma_f64 v[31:32], v[29:30], v[31:32], s[74:75]
	s_delay_alu instid0(VALU_DEP_1) | instskip(NEXT) | instid1(VALU_DEP_1)
	v_fma_f64 v[31:32], v[29:30], v[31:32], s[76:77]
	;; [unrolled: 3-line block ×5, first 2 shown]
	v_fma_f64 v[31:32], v[29:30], v[31:32], 1.0
	s_delay_alu instid0(VALU_DEP_1) | instskip(NEXT) | instid1(VALU_DEP_1)
	v_fma_f64 v[27:28], v[29:30], v[31:32], 1.0
	v_ldexp_f64 v[27:28], v[27:28], v5
	s_delay_alu instid0(VALU_DEP_1) | instskip(NEXT) | instid1(VALU_DEP_1)
	v_add_f64 v[27:28], -v[27:28], 1.0
	v_cndmask_b32_e64 v5, 0xfff00000, v28, s5
	s_and_b32 s5, s6, s5
	s_delay_alu instid0(VALU_DEP_2) | instid1(SALU_CYCLE_1)
	v_cndmask_b32_e64 v19, 0, v27, s5
	s_delay_alu instid0(VALU_DEP_2)
	v_cndmask_b32_e64 v20, 0x3ff00000, v5, s6
	s_and_not1_saveexec_b32 s5, s33
	s_cbranch_execz .LBB242_26
.LBB242_31:                             ;   in Loop: Header=BB242_4 Depth=1
	v_mul_f64 v[19:20], v[7:8], v[7:8]
	s_delay_alu instid0(VALU_DEP_1) | instskip(NEXT) | instid1(VALU_DEP_1)
	v_fma_f64 v[27:28], v[19:20], s[92:93], s[90:91]
	v_fma_f64 v[27:28], v[19:20], v[27:28], s[94:95]
	s_delay_alu instid0(VALU_DEP_1) | instskip(NEXT) | instid1(VALU_DEP_1)
	v_fma_f64 v[27:28], v[19:20], v[27:28], s[96:97]
	v_fma_f64 v[27:28], v[19:20], v[27:28], s[98:99]
	;; [unrolled: 3-line block ×5, first 2 shown]
	s_delay_alu instid0(VALU_DEP_1) | instskip(NEXT) | instid1(VALU_DEP_1)
	v_fma_f64 v[19:20], v[19:20], v[27:28], s[18:19]
	v_fma_f64 v[19:20], |v[7:8]|, v[19:20], |v[7:8]|
	s_or_b32 exec_lo, exec_lo, s5
	s_and_saveexec_b32 s5, vcc_lo
	s_delay_alu instid0(SALU_CYCLE_1)
	s_xor_b32 s5, exec_lo, s5
	s_cbranch_execz .LBB242_27
.LBB242_32:                             ;   in Loop: Header=BB242_4 Depth=1
	s_delay_alu instid0(VALU_DEP_4)
	v_bfi_b32 v14, 0x7fffffff, v14, v10
	global_store_b64 v[1:2], v[13:14], off
	s_or_b32 exec_lo, exec_lo, s5
	s_and_saveexec_b32 s5, s2
	s_cbranch_execz .LBB242_28
.LBB242_33:                             ;   in Loop: Header=BB242_4 Depth=1
	s_delay_alu instid0(VALU_DEP_3)
	v_bfi_b32 v16, 0x7fffffff, v16, v6
	global_store_b64 v[3:4], v[15:16], off
	s_or_b32 exec_lo, exec_lo, s5
	s_and_saveexec_b32 s2, s3
	s_cbranch_execz .LBB242_29
.LBB242_34:                             ;   in Loop: Header=BB242_4 Depth=1
	v_add_co_u32 v5, vcc_lo, v1, vcc_hi
	s_delay_alu instid0(VALU_DEP_3)
	v_bfi_b32 v18, 0x7fffffff, v18, v12
	v_add_co_ci_u32_e32 v6, vcc_lo, 0, v2, vcc_lo
	global_store_b64 v[5:6], v[17:18], off
	s_or_b32 exec_lo, exec_lo, s2
	s_and_saveexec_b32 s2, s4
	s_cbranch_execz .LBB242_3
.LBB242_35:                             ;   in Loop: Header=BB242_4 Depth=1
	v_readlane_b32 s3, v33, 7
	s_delay_alu instid0(VALU_DEP_2) | instskip(NEXT) | instid1(VALU_DEP_2)
	v_bfi_b32 v20, 0x7fffffff, v20, v8
	v_add_co_u32 v5, vcc_lo, v1, s3
	v_add_co_ci_u32_e32 v6, vcc_lo, 0, v2, vcc_lo
	global_store_b64 v[5:6], v[19:20], off
	s_branch .LBB242_3
.LBB242_36:
	s_cbranch_execz .LBB242_38
	s_branch .LBB242_57
.LBB242_37:
.LBB242_38:
	v_dual_mov_b32 v17, 0 :: v_dual_lshlrev_b32 v16, 2, v0
	s_mov_b32 s1, 0
	s_mov_b32 s0, exec_lo
	s_delay_alu instid0(VALU_DEP_1)
	v_cmpx_gt_i64_e64 s[8:9], v[16:17]
	s_cbranch_execz .LBB242_57
; %bb.39:
	v_readlane_b32 s2, v33, 0
	v_readlane_b32 s3, v33, 1
	;; [unrolled: 1-line block ×4, first 2 shown]
	v_lshlrev_b32_e32 v1, 5, v0
	v_readlane_b32 s21, v33, 5
	s_load_b32 s0, s[2:3], 0xd3c
	v_readlane_b32 s23, v33, 3
	s_mov_b32 s2, 0x502a41cd
	s_mov_b32 s4, 0xc14b24be
	;; [unrolled: 1-line block ×18, first 2 shown]
	s_waitcnt lgkmcnt(0)
	s_and_b32 s0, s0, 0xffff
	s_mov_b32 s46, 0x28146b69
	s_lshl_b32 s33, s0, 2
	s_add_u32 s20, s20, s22
	v_add_lshl_u32 v16, v0, s0, 2
	s_addc_u32 s21, s21, s23
	v_add_co_u32 v0, s20, s20, v1
	s_delay_alu instid0(VALU_DEP_1) | instskip(SKIP_1) | instid1(VALU_DEP_2)
	v_add_co_ci_u32_e64 v1, null, s21, 0, s20
	s_mov_b32 s20, 0x312306d0
	v_add_co_u32 v18, vcc_lo, v0, 16
	s_delay_alu instid0(VALU_DEP_2)
	v_add_co_ci_u32_e32 v19, vcc_lo, 0, v1, vcc_lo
	s_mov_b32 s22, 0x6f4c5a9b
	s_mov_b32 s48, 0xa69750c4
	;; [unrolled: 1-line block ×76, first 2 shown]
	s_lshl_b32 s102, s0, 5
	s_branch .LBB242_41
.LBB242_40:                             ;   in Loop: Header=BB242_41 Depth=1
	s_or_b32 exec_lo, exec_lo, s0
	v_cmp_le_i64_e32 vcc_lo, s[8:9], v[16:17]
	v_cmp_lt_u64_e64 s0, 0xffff, v[16:17]
	v_bfi_b32 v11, 0x7fffffff, v11, v7
	v_bfi_b32 v9, 0x7fffffff, v9, v5
	;; [unrolled: 1-line block ×4, first 2 shown]
	s_clause 0x1
	global_store_b128 v[18:19], v[8:11], off offset:-16
	global_store_b128 v[18:19], v[12:15], off
	s_or_b32 s0, vcc_lo, s0
	v_add_co_u32 v16, vcc_lo, v16, s33
	v_add_co_ci_u32_e32 v17, vcc_lo, 0, v17, vcc_lo
	v_add_co_u32 v18, vcc_lo, v18, s102
	v_add_co_ci_u32_e32 v19, vcc_lo, 0, v19, vcc_lo
	s_and_b32 s0, exec_lo, s0
	s_delay_alu instid0(SALU_CYCLE_1) | instskip(NEXT) | instid1(SALU_CYCLE_1)
	s_or_b32 s1, s0, s1
	s_and_not1_b32 exec_lo, exec_lo, s1
	s_cbranch_execz .LBB242_57
.LBB242_41:                             ; =>This Inner Loop Header: Depth=1
	s_clause 0x1
	global_load_b128 v[4:7], v[18:19], off offset:-16
	global_load_b128 v[0:3], v[18:19], off
	s_mov_b32 s103, exec_lo
                                        ; implicit-def: $vgpr8_vgpr9
	s_waitcnt vmcnt(1)
	v_cmpx_nlt_f64_e64 |v[4:5]|, 1.0
	s_xor_b32 s103, exec_lo, s103
	s_cbranch_execz .LBB242_43
; %bb.42:                               ;   in Loop: Header=BB242_41 Depth=1
	v_fma_f64 v[8:9], |v[4:5]|, s[4:5], s[2:3]
	s_delay_alu instid0(VALU_DEP_1) | instskip(NEXT) | instid1(VALU_DEP_1)
	v_fma_f64 v[8:9], |v[4:5]|, v[8:9], s[6:7]
	v_fma_f64 v[8:9], |v[4:5]|, v[8:9], s[10:11]
	s_delay_alu instid0(VALU_DEP_1) | instskip(NEXT) | instid1(VALU_DEP_1)
	v_fma_f64 v[8:9], |v[4:5]|, v[8:9], s[12:13]
	;; [unrolled: 3-line block ×11, first 2 shown]
	v_fma_f64 v[8:9], |v[4:5]|, v[8:9], |v[4:5]|
	s_delay_alu instid0(VALU_DEP_1) | instskip(SKIP_2) | instid1(VALU_DEP_3)
	v_mul_f64 v[10:11], v[8:9], s[52:53]
	v_cmp_ngt_f64_e32 vcc_lo, 0xc0900000, v[8:9]
	v_cmp_nlt_f64_e64 s0, 0x4090cc00, v[8:9]
	v_rndne_f64_e32 v[10:11], v[10:11]
	s_delay_alu instid0(VALU_DEP_1) | instskip(SKIP_1) | instid1(VALU_DEP_2)
	v_fma_f64 v[12:13], v[10:11], s[54:55], -v[8:9]
	v_cvt_i32_f64_e32 v20, v[10:11]
	v_fma_f64 v[12:13], v[10:11], s[56:57], v[12:13]
	s_delay_alu instid0(VALU_DEP_1) | instskip(NEXT) | instid1(VALU_DEP_1)
	v_fma_f64 v[14:15], v[12:13], s[60:61], s[58:59]
	v_fma_f64 v[14:15], v[12:13], v[14:15], s[62:63]
	s_delay_alu instid0(VALU_DEP_1) | instskip(NEXT) | instid1(VALU_DEP_1)
	v_fma_f64 v[14:15], v[12:13], v[14:15], s[64:65]
	;; [unrolled: 3-line block ×5, first 2 shown]
	v_fma_f64 v[14:15], v[12:13], v[14:15], 1.0
	s_delay_alu instid0(VALU_DEP_1) | instskip(NEXT) | instid1(VALU_DEP_1)
	v_fma_f64 v[10:11], v[12:13], v[14:15], 1.0
	v_ldexp_f64 v[10:11], v[10:11], v20
	s_delay_alu instid0(VALU_DEP_1) | instskip(NEXT) | instid1(VALU_DEP_1)
	v_add_f64 v[10:11], -v[10:11], 1.0
	v_cndmask_b32_e32 v11, 0xfff00000, v11, vcc_lo
	s_and_b32 vcc_lo, s0, vcc_lo
	s_delay_alu instid0(VALU_DEP_2) | instskip(NEXT) | instid1(VALU_DEP_2)
	v_cndmask_b32_e32 v8, 0, v10, vcc_lo
	v_cndmask_b32_e64 v9, 0x3ff00000, v11, s0
.LBB242_43:                             ;   in Loop: Header=BB242_41 Depth=1
	s_and_not1_saveexec_b32 s0, s103
	s_cbranch_execz .LBB242_45
; %bb.44:                               ;   in Loop: Header=BB242_41 Depth=1
	v_mul_f64 v[8:9], v[4:5], v[4:5]
	s_delay_alu instid0(VALU_DEP_1) | instskip(NEXT) | instid1(VALU_DEP_1)
	v_fma_f64 v[10:11], v[8:9], s[80:81], s[78:79]
	v_fma_f64 v[10:11], v[8:9], v[10:11], s[82:83]
	s_delay_alu instid0(VALU_DEP_1) | instskip(NEXT) | instid1(VALU_DEP_1)
	v_fma_f64 v[10:11], v[8:9], v[10:11], s[84:85]
	v_fma_f64 v[10:11], v[8:9], v[10:11], s[86:87]
	s_delay_alu instid0(VALU_DEP_1) | instskip(NEXT) | instid1(VALU_DEP_1)
	v_fma_f64 v[10:11], v[8:9], v[10:11], s[88:89]
	v_fma_f64 v[10:11], v[8:9], v[10:11], s[90:91]
	s_delay_alu instid0(VALU_DEP_1) | instskip(NEXT) | instid1(VALU_DEP_1)
	v_fma_f64 v[10:11], v[8:9], v[10:11], s[92:93]
	v_fma_f64 v[10:11], v[8:9], v[10:11], s[94:95]
	s_delay_alu instid0(VALU_DEP_1) | instskip(NEXT) | instid1(VALU_DEP_1)
	v_fma_f64 v[10:11], v[8:9], v[10:11], s[96:97]
	v_fma_f64 v[10:11], v[8:9], v[10:11], s[98:99]
	s_delay_alu instid0(VALU_DEP_1) | instskip(NEXT) | instid1(VALU_DEP_1)
	v_fma_f64 v[8:9], v[8:9], v[10:11], s[100:101]
	v_fma_f64 v[8:9], |v[4:5]|, v[8:9], |v[4:5]|
.LBB242_45:                             ;   in Loop: Header=BB242_41 Depth=1
	s_or_b32 exec_lo, exec_lo, s0
	s_delay_alu instid0(SALU_CYCLE_1)
	s_mov_b32 s103, exec_lo
	v_cmpx_nlt_f64_e64 |v[6:7]|, 1.0
	s_xor_b32 s103, exec_lo, s103
	s_cbranch_execz .LBB242_47
; %bb.46:                               ;   in Loop: Header=BB242_41 Depth=1
	v_fma_f64 v[10:11], |v[6:7]|, s[4:5], s[2:3]
	s_delay_alu instid0(VALU_DEP_1) | instskip(NEXT) | instid1(VALU_DEP_1)
	v_fma_f64 v[10:11], |v[6:7]|, v[10:11], s[6:7]
	v_fma_f64 v[10:11], |v[6:7]|, v[10:11], s[10:11]
	s_delay_alu instid0(VALU_DEP_1) | instskip(NEXT) | instid1(VALU_DEP_1)
	v_fma_f64 v[10:11], |v[6:7]|, v[10:11], s[12:13]
	;; [unrolled: 3-line block ×11, first 2 shown]
	v_fma_f64 v[10:11], |v[6:7]|, v[10:11], |v[6:7]|
	s_delay_alu instid0(VALU_DEP_1) | instskip(SKIP_2) | instid1(VALU_DEP_3)
	v_mul_f64 v[12:13], v[10:11], s[52:53]
	v_cmp_ngt_f64_e32 vcc_lo, 0xc0900000, v[10:11]
	v_cmp_nlt_f64_e64 s0, 0x4090cc00, v[10:11]
	v_rndne_f64_e32 v[12:13], v[12:13]
	s_delay_alu instid0(VALU_DEP_1) | instskip(SKIP_1) | instid1(VALU_DEP_2)
	v_fma_f64 v[14:15], v[12:13], s[54:55], -v[10:11]
	v_cvt_i32_f64_e32 v4, v[12:13]
	v_fma_f64 v[14:15], v[12:13], s[56:57], v[14:15]
	s_delay_alu instid0(VALU_DEP_1) | instskip(NEXT) | instid1(VALU_DEP_1)
	v_fma_f64 v[20:21], v[14:15], s[60:61], s[58:59]
	v_fma_f64 v[20:21], v[14:15], v[20:21], s[62:63]
	s_delay_alu instid0(VALU_DEP_1) | instskip(NEXT) | instid1(VALU_DEP_1)
	v_fma_f64 v[20:21], v[14:15], v[20:21], s[64:65]
	;; [unrolled: 3-line block ×5, first 2 shown]
	v_fma_f64 v[20:21], v[14:15], v[20:21], 1.0
	s_delay_alu instid0(VALU_DEP_1) | instskip(NEXT) | instid1(VALU_DEP_1)
	v_fma_f64 v[12:13], v[14:15], v[20:21], 1.0
	v_ldexp_f64 v[12:13], v[12:13], v4
	s_delay_alu instid0(VALU_DEP_1) | instskip(NEXT) | instid1(VALU_DEP_1)
	v_add_f64 v[12:13], -v[12:13], 1.0
	v_cndmask_b32_e32 v4, 0xfff00000, v13, vcc_lo
	s_and_b32 vcc_lo, s0, vcc_lo
	s_delay_alu instid0(VALU_DEP_2) | instskip(NEXT) | instid1(VALU_DEP_2)
	v_cndmask_b32_e32 v10, 0, v12, vcc_lo
	v_cndmask_b32_e64 v11, 0x3ff00000, v4, s0
.LBB242_47:                             ;   in Loop: Header=BB242_41 Depth=1
	s_and_not1_saveexec_b32 s0, s103
	s_cbranch_execz .LBB242_49
; %bb.48:                               ;   in Loop: Header=BB242_41 Depth=1
	v_mul_f64 v[10:11], v[6:7], v[6:7]
	s_delay_alu instid0(VALU_DEP_1) | instskip(NEXT) | instid1(VALU_DEP_1)
	v_fma_f64 v[12:13], v[10:11], s[80:81], s[78:79]
	v_fma_f64 v[12:13], v[10:11], v[12:13], s[82:83]
	s_delay_alu instid0(VALU_DEP_1) | instskip(NEXT) | instid1(VALU_DEP_1)
	v_fma_f64 v[12:13], v[10:11], v[12:13], s[84:85]
	v_fma_f64 v[12:13], v[10:11], v[12:13], s[86:87]
	;; [unrolled: 3-line block ×5, first 2 shown]
	s_delay_alu instid0(VALU_DEP_1) | instskip(NEXT) | instid1(VALU_DEP_1)
	v_fma_f64 v[10:11], v[10:11], v[12:13], s[100:101]
	v_fma_f64 v[10:11], |v[6:7]|, v[10:11], |v[6:7]|
.LBB242_49:                             ;   in Loop: Header=BB242_41 Depth=1
	s_or_b32 exec_lo, exec_lo, s0
	s_delay_alu instid0(SALU_CYCLE_1)
	s_mov_b32 s103, exec_lo
                                        ; implicit-def: $vgpr12_vgpr13
	s_waitcnt vmcnt(0)
	v_cmpx_nlt_f64_e64 |v[0:1]|, 1.0
	s_xor_b32 s103, exec_lo, s103
	s_cbranch_execz .LBB242_51
; %bb.50:                               ;   in Loop: Header=BB242_41 Depth=1
	v_fma_f64 v[12:13], |v[0:1]|, s[4:5], s[2:3]
	s_delay_alu instid0(VALU_DEP_1) | instskip(NEXT) | instid1(VALU_DEP_1)
	v_fma_f64 v[12:13], |v[0:1]|, v[12:13], s[6:7]
	v_fma_f64 v[12:13], |v[0:1]|, v[12:13], s[10:11]
	s_delay_alu instid0(VALU_DEP_1) | instskip(NEXT) | instid1(VALU_DEP_1)
	v_fma_f64 v[12:13], |v[0:1]|, v[12:13], s[12:13]
	;; [unrolled: 3-line block ×11, first 2 shown]
	v_fma_f64 v[12:13], |v[0:1]|, v[12:13], |v[0:1]|
	s_delay_alu instid0(VALU_DEP_1) | instskip(SKIP_2) | instid1(VALU_DEP_3)
	v_mul_f64 v[14:15], v[12:13], s[52:53]
	v_cmp_ngt_f64_e32 vcc_lo, 0xc0900000, v[12:13]
	v_cmp_nlt_f64_e64 s0, 0x4090cc00, v[12:13]
	v_rndne_f64_e32 v[14:15], v[14:15]
	s_delay_alu instid0(VALU_DEP_1) | instskip(SKIP_1) | instid1(VALU_DEP_2)
	v_fma_f64 v[20:21], v[14:15], s[54:55], -v[12:13]
	v_cvt_i32_f64_e32 v4, v[14:15]
	v_fma_f64 v[20:21], v[14:15], s[56:57], v[20:21]
	s_delay_alu instid0(VALU_DEP_1) | instskip(NEXT) | instid1(VALU_DEP_1)
	v_fma_f64 v[22:23], v[20:21], s[60:61], s[58:59]
	v_fma_f64 v[22:23], v[20:21], v[22:23], s[62:63]
	s_delay_alu instid0(VALU_DEP_1) | instskip(NEXT) | instid1(VALU_DEP_1)
	v_fma_f64 v[22:23], v[20:21], v[22:23], s[64:65]
	;; [unrolled: 3-line block ×5, first 2 shown]
	v_fma_f64 v[22:23], v[20:21], v[22:23], 1.0
	s_delay_alu instid0(VALU_DEP_1) | instskip(NEXT) | instid1(VALU_DEP_1)
	v_fma_f64 v[14:15], v[20:21], v[22:23], 1.0
	v_ldexp_f64 v[14:15], v[14:15], v4
	s_delay_alu instid0(VALU_DEP_1) | instskip(NEXT) | instid1(VALU_DEP_1)
	v_add_f64 v[14:15], -v[14:15], 1.0
	v_cndmask_b32_e32 v4, 0xfff00000, v15, vcc_lo
	s_and_b32 vcc_lo, s0, vcc_lo
	s_delay_alu instid0(VALU_DEP_2) | instskip(NEXT) | instid1(VALU_DEP_2)
	v_cndmask_b32_e32 v12, 0, v14, vcc_lo
	v_cndmask_b32_e64 v13, 0x3ff00000, v4, s0
.LBB242_51:                             ;   in Loop: Header=BB242_41 Depth=1
	s_and_not1_saveexec_b32 s0, s103
	s_cbranch_execz .LBB242_53
; %bb.52:                               ;   in Loop: Header=BB242_41 Depth=1
	v_mul_f64 v[12:13], v[0:1], v[0:1]
	s_delay_alu instid0(VALU_DEP_1) | instskip(NEXT) | instid1(VALU_DEP_1)
	v_fma_f64 v[14:15], v[12:13], s[80:81], s[78:79]
	v_fma_f64 v[14:15], v[12:13], v[14:15], s[82:83]
	s_delay_alu instid0(VALU_DEP_1) | instskip(NEXT) | instid1(VALU_DEP_1)
	v_fma_f64 v[14:15], v[12:13], v[14:15], s[84:85]
	v_fma_f64 v[14:15], v[12:13], v[14:15], s[86:87]
	;; [unrolled: 3-line block ×5, first 2 shown]
	s_delay_alu instid0(VALU_DEP_1) | instskip(NEXT) | instid1(VALU_DEP_1)
	v_fma_f64 v[12:13], v[12:13], v[14:15], s[100:101]
	v_fma_f64 v[12:13], |v[0:1]|, v[12:13], |v[0:1]|
.LBB242_53:                             ;   in Loop: Header=BB242_41 Depth=1
	s_or_b32 exec_lo, exec_lo, s0
	s_delay_alu instid0(SALU_CYCLE_1)
	s_mov_b32 s103, exec_lo
	v_cmpx_nlt_f64_e64 |v[2:3]|, 1.0
	s_xor_b32 s103, exec_lo, s103
	s_cbranch_execz .LBB242_55
; %bb.54:                               ;   in Loop: Header=BB242_41 Depth=1
	v_fma_f64 v[14:15], |v[2:3]|, s[4:5], s[2:3]
	s_delay_alu instid0(VALU_DEP_1) | instskip(NEXT) | instid1(VALU_DEP_1)
	v_fma_f64 v[14:15], |v[2:3]|, v[14:15], s[6:7]
	v_fma_f64 v[14:15], |v[2:3]|, v[14:15], s[10:11]
	s_delay_alu instid0(VALU_DEP_1) | instskip(NEXT) | instid1(VALU_DEP_1)
	v_fma_f64 v[14:15], |v[2:3]|, v[14:15], s[12:13]
	;; [unrolled: 3-line block ×11, first 2 shown]
	v_fma_f64 v[14:15], |v[2:3]|, v[14:15], |v[2:3]|
	s_delay_alu instid0(VALU_DEP_1) | instskip(SKIP_2) | instid1(VALU_DEP_3)
	v_mul_f64 v[20:21], v[14:15], s[52:53]
	v_cmp_ngt_f64_e32 vcc_lo, 0xc0900000, v[14:15]
	v_cmp_nlt_f64_e64 s0, 0x4090cc00, v[14:15]
	v_rndne_f64_e32 v[20:21], v[20:21]
	s_delay_alu instid0(VALU_DEP_1) | instskip(SKIP_1) | instid1(VALU_DEP_2)
	v_fma_f64 v[22:23], v[20:21], s[54:55], -v[14:15]
	v_cvt_i32_f64_e32 v0, v[20:21]
	v_fma_f64 v[22:23], v[20:21], s[56:57], v[22:23]
	s_delay_alu instid0(VALU_DEP_1) | instskip(NEXT) | instid1(VALU_DEP_1)
	v_fma_f64 v[24:25], v[22:23], s[60:61], s[58:59]
	v_fma_f64 v[24:25], v[22:23], v[24:25], s[62:63]
	s_delay_alu instid0(VALU_DEP_1) | instskip(NEXT) | instid1(VALU_DEP_1)
	v_fma_f64 v[24:25], v[22:23], v[24:25], s[64:65]
	;; [unrolled: 3-line block ×5, first 2 shown]
	v_fma_f64 v[24:25], v[22:23], v[24:25], 1.0
	s_delay_alu instid0(VALU_DEP_1) | instskip(NEXT) | instid1(VALU_DEP_1)
	v_fma_f64 v[20:21], v[22:23], v[24:25], 1.0
	v_ldexp_f64 v[20:21], v[20:21], v0
	s_delay_alu instid0(VALU_DEP_1) | instskip(NEXT) | instid1(VALU_DEP_1)
	v_add_f64 v[20:21], -v[20:21], 1.0
	v_cndmask_b32_e32 v0, 0xfff00000, v21, vcc_lo
	s_and_b32 vcc_lo, s0, vcc_lo
	s_delay_alu instid0(VALU_DEP_2) | instskip(NEXT) | instid1(VALU_DEP_2)
	v_cndmask_b32_e32 v14, 0, v20, vcc_lo
	v_cndmask_b32_e64 v15, 0x3ff00000, v0, s0
.LBB242_55:                             ;   in Loop: Header=BB242_41 Depth=1
	s_and_not1_saveexec_b32 s0, s103
	s_cbranch_execz .LBB242_40
; %bb.56:                               ;   in Loop: Header=BB242_41 Depth=1
	v_mul_f64 v[14:15], v[2:3], v[2:3]
	s_delay_alu instid0(VALU_DEP_1) | instskip(NEXT) | instid1(VALU_DEP_1)
	v_fma_f64 v[20:21], v[14:15], s[80:81], s[78:79]
	v_fma_f64 v[20:21], v[14:15], v[20:21], s[82:83]
	s_delay_alu instid0(VALU_DEP_1) | instskip(NEXT) | instid1(VALU_DEP_1)
	v_fma_f64 v[20:21], v[14:15], v[20:21], s[84:85]
	v_fma_f64 v[20:21], v[14:15], v[20:21], s[86:87]
	;; [unrolled: 3-line block ×5, first 2 shown]
	s_delay_alu instid0(VALU_DEP_1) | instskip(NEXT) | instid1(VALU_DEP_1)
	v_fma_f64 v[14:15], v[14:15], v[20:21], s[100:101]
	v_fma_f64 v[14:15], |v[2:3]|, v[14:15], |v[2:3]|
	s_branch .LBB242_40
.LBB242_57:
	s_nop 0
	s_sendmsg sendmsg(MSG_DEALLOC_VGPRS)
	s_endpgm
	.section	.rodata,"a",@progbits
	.p2align	6, 0x0
	.amdhsa_kernel _ZN2at6native12_GLOBAL__N_125multi_tensor_apply_kernelINS1_18TensorListMetadataILi1EEENS1_14UnaryOpFunctorIdLi1ELi1ELi0EEEJNS0_3ErfIdEEEEEvT_T0_DpT1_
		.amdhsa_group_segment_fixed_size 0
		.amdhsa_private_segment_fixed_size 0
		.amdhsa_kernarg_size 3632
		.amdhsa_user_sgpr_count 15
		.amdhsa_user_sgpr_dispatch_ptr 0
		.amdhsa_user_sgpr_queue_ptr 0
		.amdhsa_user_sgpr_kernarg_segment_ptr 1
		.amdhsa_user_sgpr_dispatch_id 0
		.amdhsa_user_sgpr_private_segment_size 0
		.amdhsa_wavefront_size32 1
		.amdhsa_uses_dynamic_stack 0
		.amdhsa_enable_private_segment 0
		.amdhsa_system_sgpr_workgroup_id_x 1
		.amdhsa_system_sgpr_workgroup_id_y 0
		.amdhsa_system_sgpr_workgroup_id_z 0
		.amdhsa_system_sgpr_workgroup_info 0
		.amdhsa_system_vgpr_workitem_id 0
		.amdhsa_next_free_vgpr 34
		.amdhsa_next_free_sgpr 105
		.amdhsa_reserve_vcc 1
		.amdhsa_float_round_mode_32 0
		.amdhsa_float_round_mode_16_64 0
		.amdhsa_float_denorm_mode_32 3
		.amdhsa_float_denorm_mode_16_64 3
		.amdhsa_dx10_clamp 1
		.amdhsa_ieee_mode 1
		.amdhsa_fp16_overflow 0
		.amdhsa_workgroup_processor_mode 1
		.amdhsa_memory_ordered 1
		.amdhsa_forward_progress 0
		.amdhsa_shared_vgpr_count 0
		.amdhsa_exception_fp_ieee_invalid_op 0
		.amdhsa_exception_fp_denorm_src 0
		.amdhsa_exception_fp_ieee_div_zero 0
		.amdhsa_exception_fp_ieee_overflow 0
		.amdhsa_exception_fp_ieee_underflow 0
		.amdhsa_exception_fp_ieee_inexact 0
		.amdhsa_exception_int_div_zero 0
	.end_amdhsa_kernel
	.section	.text._ZN2at6native12_GLOBAL__N_125multi_tensor_apply_kernelINS1_18TensorListMetadataILi1EEENS1_14UnaryOpFunctorIdLi1ELi1ELi0EEEJNS0_3ErfIdEEEEEvT_T0_DpT1_,"axG",@progbits,_ZN2at6native12_GLOBAL__N_125multi_tensor_apply_kernelINS1_18TensorListMetadataILi1EEENS1_14UnaryOpFunctorIdLi1ELi1ELi0EEEJNS0_3ErfIdEEEEEvT_T0_DpT1_,comdat
.Lfunc_end242:
	.size	_ZN2at6native12_GLOBAL__N_125multi_tensor_apply_kernelINS1_18TensorListMetadataILi1EEENS1_14UnaryOpFunctorIdLi1ELi1ELi0EEEJNS0_3ErfIdEEEEEvT_T0_DpT1_, .Lfunc_end242-_ZN2at6native12_GLOBAL__N_125multi_tensor_apply_kernelINS1_18TensorListMetadataILi1EEENS1_14UnaryOpFunctorIdLi1ELi1ELi0EEEJNS0_3ErfIdEEEEEvT_T0_DpT1_
                                        ; -- End function
	.section	.AMDGPU.csdata,"",@progbits
; Kernel info:
; codeLenInByte = 8168
; NumSgprs: 107
; NumVgprs: 34
; ScratchSize: 0
; MemoryBound: 1
; FloatMode: 240
; IeeeMode: 1
; LDSByteSize: 0 bytes/workgroup (compile time only)
; SGPRBlocks: 13
; VGPRBlocks: 4
; NumSGPRsForWavesPerEU: 107
; NumVGPRsForWavesPerEU: 34
; Occupancy: 16
; WaveLimiterHint : 0
; COMPUTE_PGM_RSRC2:SCRATCH_EN: 0
; COMPUTE_PGM_RSRC2:USER_SGPR: 15
; COMPUTE_PGM_RSRC2:TRAP_HANDLER: 0
; COMPUTE_PGM_RSRC2:TGID_X_EN: 1
; COMPUTE_PGM_RSRC2:TGID_Y_EN: 0
; COMPUTE_PGM_RSRC2:TGID_Z_EN: 0
; COMPUTE_PGM_RSRC2:TIDIG_COMP_CNT: 0
	.section	.text._ZN2at6native12_GLOBAL__N_125multi_tensor_apply_kernelINS1_18TensorListMetadataILi1EEENS1_14UnaryOpFunctorIfLi1ELi1ELi0EEEJNS0_3ErfIfEEEEEvT_T0_DpT1_,"axG",@progbits,_ZN2at6native12_GLOBAL__N_125multi_tensor_apply_kernelINS1_18TensorListMetadataILi1EEENS1_14UnaryOpFunctorIfLi1ELi1ELi0EEEJNS0_3ErfIfEEEEEvT_T0_DpT1_,comdat
	.globl	_ZN2at6native12_GLOBAL__N_125multi_tensor_apply_kernelINS1_18TensorListMetadataILi1EEENS1_14UnaryOpFunctorIfLi1ELi1ELi0EEEJNS0_3ErfIfEEEEEvT_T0_DpT1_ ; -- Begin function _ZN2at6native12_GLOBAL__N_125multi_tensor_apply_kernelINS1_18TensorListMetadataILi1EEENS1_14UnaryOpFunctorIfLi1ELi1ELi0EEEJNS0_3ErfIfEEEEEvT_T0_DpT1_
	.p2align	8
	.type	_ZN2at6native12_GLOBAL__N_125multi_tensor_apply_kernelINS1_18TensorListMetadataILi1EEENS1_14UnaryOpFunctorIfLi1ELi1ELi0EEEJNS0_3ErfIfEEEEEvT_T0_DpT1_,@function
_ZN2at6native12_GLOBAL__N_125multi_tensor_apply_kernelINS1_18TensorListMetadataILi1EEENS1_14UnaryOpFunctorIfLi1ELi1ELi0EEEJNS0_3ErfIfEEEEEvT_T0_DpT1_: ; @_ZN2at6native12_GLOBAL__N_125multi_tensor_apply_kernelINS1_18TensorListMetadataILi1EEENS1_14UnaryOpFunctorIfLi1ELi1ELi0EEEJNS0_3ErfIfEEEEEvT_T0_DpT1_
; %bb.0:
	v_mov_b32_e32 v1, s15
	s_add_u32 s2, s0, s15
	s_mul_hi_u32 s3, s15, 3
	s_mul_i32 s15, s15, 3
	s_addc_u32 s4, s1, 0
	global_load_u8 v1, v1, s[0:1] offset:1760
	s_add_u32 s2, s2, s15
	s_addc_u32 s3, s4, s3
	s_mov_b32 s13, 0
	s_load_b32 s2, s[2:3], 0x820
	s_waitcnt vmcnt(0)
	v_readfirstlane_b32 s5, v1
	s_delay_alu instid0(VALU_DEP_1)
	s_lshl_b32 s3, s5, 3
	s_clause 0x1
	s_load_b64 s[8:9], s[0:1], s3 offset:0x0
	s_load_b64 s[4:5], s[0:1], s3 offset:0x370
	s_waitcnt lgkmcnt(0)
	s_ashr_i32 s3, s2, 31
	s_delay_alu instid0(SALU_CYCLE_1)
	s_lshl_b64 s[10:11], s[2:3], 18
	s_lshl_b64 s[2:3], s[2:3], 16
	s_and_b32 s12, s8, 15
	s_sub_u32 s6, s4, s2
	s_subb_u32 s7, s5, s3
	s_and_b32 s2, s4, 3
	s_mov_b32 s3, s13
	s_delay_alu instid0(SALU_CYCLE_1) | instskip(NEXT) | instid1(SALU_CYCLE_1)
	s_or_b64 s[2:3], s[12:13], s[2:3]
	s_cmp_eq_u64 s[2:3], 0
	s_cbranch_scc1 .LBB243_37
; %bb.1:
	v_cmp_lt_i64_e64 s2, s[6:7], 1
	s_delay_alu instid0(VALU_DEP_1)
	s_and_b32 vcc_lo, exec_lo, s2
	s_cbranch_vccnz .LBB243_36
; %bb.2:
	s_load_b32 s2, s[0:1], 0xd3c
	v_cmp_gt_u64_e64 s3, 0x10000, s[6:7]
	v_lshlrev_b32_e32 v1, 2, v0
	s_mov_b32 s20, 0x378e98ab
	s_mov_b32 s21, 0xba1345e1
	s_waitcnt lgkmcnt(0)
	s_and_b32 s2, s2, 0xffff
	s_and_b32 s3, s3, exec_lo
	v_add_co_u32 v5, s5, v0, s2
	s_cselect_b32 s13, s7, 0
	s_cselect_b32 s12, s6, 0x10000
	s_lshl_b32 s3, s2, 1
	s_lshl_b32 s16, s2, 2
	v_add_co_ci_u32_e64 v6, null, 0, 0, s5
	s_add_u32 s5, s8, s10
	v_lshlrev_b32_e32 v3, 2, v5
	s_mul_i32 s4, s2, 3
	s_mul_i32 s17, s2, 12
	s_addc_u32 s14, s9, s11
	s_lshl_b32 s18, s2, 4
	s_lshl_b32 s19, s2, 3
	v_add_co_u32 v1, s2, s5, v1
	s_delay_alu instid0(VALU_DEP_1)
	v_add_co_ci_u32_e64 v2, null, s14, 0, s2
	v_add_co_u32 v9, s2, s3, v0
	v_add_co_u32 v7, s4, s4, v0
	v_add_co_ci_u32_e64 v10, null, 0, 0, s2
	v_add_co_u32 v3, s2, s5, v3
	v_add_co_ci_u32_e64 v8, null, 0, 0, s4
	v_add_co_ci_u32_e64 v4, null, s14, 0, s2
	s_mov_b64 s[14:15], 0
	s_branch .LBB243_4
.LBB243_3:                              ;   in Loop: Header=BB243_4 Depth=1
	s_or_b32 exec_lo, exec_lo, s2
	s_add_u32 s14, s14, s16
	s_addc_u32 s15, s15, 0
	v_add_co_u32 v1, vcc_lo, v1, s18
	v_cmp_ge_i64_e64 s2, s[14:15], s[6:7]
	v_cmp_lt_u64_e64 s3, 0xffff, s[14:15]
	v_add_co_ci_u32_e32 v2, vcc_lo, 0, v2, vcc_lo
	v_add_co_u32 v3, vcc_lo, v3, s18
	v_add_co_ci_u32_e32 v4, vcc_lo, 0, v4, vcc_lo
	s_delay_alu instid0(VALU_DEP_4) | instskip(NEXT) | instid1(SALU_CYCLE_1)
	s_or_b32 s2, s2, s3
	s_and_b32 vcc_lo, exec_lo, s2
	s_cbranch_vccnz .LBB243_36
.LBB243_4:                              ; =>This Inner Loop Header: Depth=1
	v_add_co_u32 v11, s2, v0, s14
	s_delay_alu instid0(VALU_DEP_1) | instskip(NEXT) | instid1(VALU_DEP_1)
	v_add_co_ci_u32_e64 v12, null, 0, s15, s2
	v_cmp_gt_u64_e32 vcc_lo, s[12:13], v[11:12]
	v_mov_b32_e32 v11, 0
	s_and_saveexec_b32 s2, vcc_lo
	s_cbranch_execz .LBB243_6
; %bb.5:                                ;   in Loop: Header=BB243_4 Depth=1
	global_load_b32 v11, v[1:2], off
.LBB243_6:                              ;   in Loop: Header=BB243_4 Depth=1
	s_or_b32 exec_lo, exec_lo, s2
	v_add_co_u32 v12, s2, v5, s14
	s_delay_alu instid0(VALU_DEP_1) | instskip(NEXT) | instid1(VALU_DEP_1)
	v_add_co_ci_u32_e64 v13, s2, s15, v6, s2
	v_cmp_gt_u64_e64 s2, s[12:13], v[12:13]
	v_mov_b32_e32 v13, 0
	s_delay_alu instid0(VALU_DEP_2)
	s_and_saveexec_b32 s3, s2
	s_cbranch_execz .LBB243_8
; %bb.7:                                ;   in Loop: Header=BB243_4 Depth=1
	global_load_b32 v13, v[3:4], off
.LBB243_8:                              ;   in Loop: Header=BB243_4 Depth=1
	s_or_b32 exec_lo, exec_lo, s3
	v_add_co_u32 v14, s3, v9, s14
	s_delay_alu instid0(VALU_DEP_1) | instskip(SKIP_1) | instid1(VALU_DEP_2)
	v_add_co_ci_u32_e64 v15, s3, s15, v10, s3
	v_mov_b32_e32 v12, 0
	v_cmp_gt_u64_e64 s3, s[12:13], v[14:15]
	v_mov_b32_e32 v14, 0
	s_delay_alu instid0(VALU_DEP_2)
	s_and_saveexec_b32 s5, s3
	s_cbranch_execz .LBB243_10
; %bb.9:                                ;   in Loop: Header=BB243_4 Depth=1
	v_add_co_u32 v14, s4, v1, s19
	s_delay_alu instid0(VALU_DEP_1)
	v_add_co_ci_u32_e64 v15, s4, 0, v2, s4
	global_load_b32 v14, v[14:15], off
.LBB243_10:                             ;   in Loop: Header=BB243_4 Depth=1
	s_or_b32 exec_lo, exec_lo, s5
	v_add_co_u32 v15, s4, v7, s14
	s_delay_alu instid0(VALU_DEP_1) | instskip(NEXT) | instid1(VALU_DEP_1)
	v_add_co_ci_u32_e64 v16, s4, s15, v8, s4
	v_cmp_gt_u64_e64 s4, s[12:13], v[15:16]
	s_delay_alu instid0(VALU_DEP_1)
	s_and_saveexec_b32 s22, s4
	s_cbranch_execz .LBB243_12
; %bb.11:                               ;   in Loop: Header=BB243_4 Depth=1
	v_add_co_u32 v15, s5, v1, s17
	s_delay_alu instid0(VALU_DEP_1)
	v_add_co_ci_u32_e64 v16, s5, 0, v2, s5
	global_load_b32 v12, v[15:16], off
.LBB243_12:                             ;   in Loop: Header=BB243_4 Depth=1
	s_or_b32 exec_lo, exec_lo, s22
	s_delay_alu instid0(SALU_CYCLE_1)
	s_mov_b32 s22, exec_lo
                                        ; implicit-def: $vgpr15
	s_waitcnt vmcnt(0)
	v_cmpx_nlt_f32_e64 |v11|, 1.0
	s_xor_b32 s22, exec_lo, s22
	s_cbranch_execz .LBB243_14
; %bb.13:                               ;   in Loop: Header=BB243_4 Depth=1
	v_fma_f32 v15, |v11|, s20, 0xb9c68948
	s_delay_alu instid0(VALU_DEP_1) | instskip(NEXT) | instid1(VALU_DEP_1)
	v_fma_f32 v15, |v11|, v15, 0x3b7cd369
	v_fma_f32 v15, |v11|, v15, 0xbcc618b2
	s_delay_alu instid0(VALU_DEP_1) | instskip(NEXT) | instid1(VALU_DEP_1)
	v_fma_f32 v15, |v11|, v15, 0x3dda74e4
	;; [unrolled: 3-line block ×3, first 2 shown]
	v_fma_f32 v15, |v11|, v15, |v11|
	s_delay_alu instid0(VALU_DEP_1) | instskip(SKIP_1) | instid1(VALU_DEP_2)
	v_mul_f32_e32 v16, 0xbfb8aa3b, v15
	v_cmp_nlt_f32_e64 s5, 0x42ce8ed0, v15
	v_fma_f32 v17, 0xbfb8aa3b, v15, -v16
	v_rndne_f32_e32 v18, v16
	s_delay_alu instid0(VALU_DEP_1) | instskip(NEXT) | instid1(VALU_DEP_1)
	v_dual_fmac_f32 v17, 0xb2a5705f, v15 :: v_dual_sub_f32 v16, v16, v18
	v_add_f32_e32 v16, v16, v17
	v_cvt_i32_f32_e32 v17, v18
	s_delay_alu instid0(VALU_DEP_2) | instskip(SKIP_2) | instid1(VALU_DEP_1)
	v_exp_f32_e32 v16, v16
	s_waitcnt_depctr 0xfff
	v_ldexp_f32 v16, v16, v17
	v_cndmask_b32_e64 v16, 0, v16, s5
	v_cmp_ngt_f32_e64 s5, 0xc2b17218, v15
	s_delay_alu instid0(VALU_DEP_1) | instskip(NEXT) | instid1(VALU_DEP_1)
	v_cndmask_b32_e64 v15, 0x7f800000, v16, s5
	v_sub_f32_e32 v15, 1.0, v15
.LBB243_14:                             ;   in Loop: Header=BB243_4 Depth=1
	s_and_not1_saveexec_b32 s5, s22
; %bb.15:                               ;   in Loop: Header=BB243_4 Depth=1
	v_mul_f32_e32 v15, v11, v11
	s_delay_alu instid0(VALU_DEP_1) | instskip(NEXT) | instid1(VALU_DEP_1)
	v_fmaak_f32 v16, s21, v15, 0x3ba10414
	v_fmaak_f32 v16, v15, v16, 0xbcdac9b8
	s_delay_alu instid0(VALU_DEP_1) | instskip(NEXT) | instid1(VALU_DEP_1)
	v_fmaak_f32 v16, v15, v16, 0x3de703be
	v_fmaak_f32 v16, v15, v16, 0xbec09330
	s_delay_alu instid0(VALU_DEP_1) | instskip(NEXT) | instid1(VALU_DEP_1)
	v_fmaak_f32 v15, v15, v16, 0x3e0375d0
	v_fma_f32 v15, |v11|, v15, |v11|
; %bb.16:                               ;   in Loop: Header=BB243_4 Depth=1
	s_or_b32 exec_lo, exec_lo, s5
	s_delay_alu instid0(SALU_CYCLE_1)
	s_mov_b32 s22, exec_lo
                                        ; implicit-def: $vgpr16
	v_cmpx_nlt_f32_e64 |v13|, 1.0
	s_xor_b32 s22, exec_lo, s22
	s_cbranch_execz .LBB243_18
; %bb.17:                               ;   in Loop: Header=BB243_4 Depth=1
	v_fma_f32 v16, |v13|, s20, 0xb9c68948
	s_delay_alu instid0(VALU_DEP_1) | instskip(NEXT) | instid1(VALU_DEP_1)
	v_fma_f32 v16, |v13|, v16, 0x3b7cd369
	v_fma_f32 v16, |v13|, v16, 0xbcc618b2
	s_delay_alu instid0(VALU_DEP_1) | instskip(NEXT) | instid1(VALU_DEP_1)
	v_fma_f32 v16, |v13|, v16, 0x3dda74e4
	;; [unrolled: 3-line block ×3, first 2 shown]
	v_fma_f32 v16, |v13|, v16, |v13|
	s_delay_alu instid0(VALU_DEP_1) | instskip(SKIP_1) | instid1(VALU_DEP_2)
	v_mul_f32_e32 v17, 0xbfb8aa3b, v16
	v_cmp_nlt_f32_e64 s5, 0x42ce8ed0, v16
	v_fma_f32 v18, 0xbfb8aa3b, v16, -v17
	v_rndne_f32_e32 v19, v17
	s_delay_alu instid0(VALU_DEP_1) | instskip(NEXT) | instid1(VALU_DEP_1)
	v_dual_fmac_f32 v18, 0xb2a5705f, v16 :: v_dual_sub_f32 v17, v17, v19
	v_add_f32_e32 v17, v17, v18
	v_cvt_i32_f32_e32 v18, v19
	s_delay_alu instid0(VALU_DEP_2) | instskip(SKIP_2) | instid1(VALU_DEP_1)
	v_exp_f32_e32 v17, v17
	s_waitcnt_depctr 0xfff
	v_ldexp_f32 v17, v17, v18
	v_cndmask_b32_e64 v17, 0, v17, s5
	v_cmp_ngt_f32_e64 s5, 0xc2b17218, v16
	s_delay_alu instid0(VALU_DEP_1) | instskip(NEXT) | instid1(VALU_DEP_1)
	v_cndmask_b32_e64 v16, 0x7f800000, v17, s5
	v_sub_f32_e32 v16, 1.0, v16
.LBB243_18:                             ;   in Loop: Header=BB243_4 Depth=1
	s_and_not1_saveexec_b32 s5, s22
; %bb.19:                               ;   in Loop: Header=BB243_4 Depth=1
	v_mul_f32_e32 v16, v13, v13
	s_delay_alu instid0(VALU_DEP_1) | instskip(NEXT) | instid1(VALU_DEP_1)
	v_fmaak_f32 v17, s21, v16, 0x3ba10414
	v_fmaak_f32 v17, v16, v17, 0xbcdac9b8
	s_delay_alu instid0(VALU_DEP_1) | instskip(NEXT) | instid1(VALU_DEP_1)
	v_fmaak_f32 v17, v16, v17, 0x3de703be
	v_fmaak_f32 v17, v16, v17, 0xbec09330
	s_delay_alu instid0(VALU_DEP_1) | instskip(NEXT) | instid1(VALU_DEP_1)
	v_fmaak_f32 v16, v16, v17, 0x3e0375d0
	v_fma_f32 v16, |v13|, v16, |v13|
; %bb.20:                               ;   in Loop: Header=BB243_4 Depth=1
	s_or_b32 exec_lo, exec_lo, s5
	s_delay_alu instid0(SALU_CYCLE_1)
	s_mov_b32 s22, exec_lo
                                        ; implicit-def: $vgpr17
	v_cmpx_nlt_f32_e64 |v14|, 1.0
	s_xor_b32 s22, exec_lo, s22
	s_cbranch_execz .LBB243_22
; %bb.21:                               ;   in Loop: Header=BB243_4 Depth=1
	v_fma_f32 v17, |v14|, s20, 0xb9c68948
	s_delay_alu instid0(VALU_DEP_1) | instskip(NEXT) | instid1(VALU_DEP_1)
	v_fma_f32 v17, |v14|, v17, 0x3b7cd369
	v_fma_f32 v17, |v14|, v17, 0xbcc618b2
	s_delay_alu instid0(VALU_DEP_1) | instskip(NEXT) | instid1(VALU_DEP_1)
	v_fma_f32 v17, |v14|, v17, 0x3dda74e4
	;; [unrolled: 3-line block ×3, first 2 shown]
	v_fma_f32 v17, |v14|, v17, |v14|
	s_delay_alu instid0(VALU_DEP_1) | instskip(SKIP_1) | instid1(VALU_DEP_2)
	v_mul_f32_e32 v18, 0xbfb8aa3b, v17
	v_cmp_nlt_f32_e64 s5, 0x42ce8ed0, v17
	v_fma_f32 v19, 0xbfb8aa3b, v17, -v18
	v_rndne_f32_e32 v20, v18
	s_delay_alu instid0(VALU_DEP_1) | instskip(NEXT) | instid1(VALU_DEP_1)
	v_dual_fmac_f32 v19, 0xb2a5705f, v17 :: v_dual_sub_f32 v18, v18, v20
	v_add_f32_e32 v18, v18, v19
	v_cvt_i32_f32_e32 v19, v20
	s_delay_alu instid0(VALU_DEP_2) | instskip(SKIP_2) | instid1(VALU_DEP_1)
	v_exp_f32_e32 v18, v18
	s_waitcnt_depctr 0xfff
	v_ldexp_f32 v18, v18, v19
	v_cndmask_b32_e64 v18, 0, v18, s5
	v_cmp_ngt_f32_e64 s5, 0xc2b17218, v17
	s_delay_alu instid0(VALU_DEP_1) | instskip(NEXT) | instid1(VALU_DEP_1)
	v_cndmask_b32_e64 v17, 0x7f800000, v18, s5
	v_sub_f32_e32 v17, 1.0, v17
.LBB243_22:                             ;   in Loop: Header=BB243_4 Depth=1
	s_and_not1_saveexec_b32 s5, s22
; %bb.23:                               ;   in Loop: Header=BB243_4 Depth=1
	v_mul_f32_e32 v17, v14, v14
	s_delay_alu instid0(VALU_DEP_1) | instskip(NEXT) | instid1(VALU_DEP_1)
	v_fmaak_f32 v18, s21, v17, 0x3ba10414
	v_fmaak_f32 v18, v17, v18, 0xbcdac9b8
	s_delay_alu instid0(VALU_DEP_1) | instskip(NEXT) | instid1(VALU_DEP_1)
	v_fmaak_f32 v18, v17, v18, 0x3de703be
	v_fmaak_f32 v18, v17, v18, 0xbec09330
	s_delay_alu instid0(VALU_DEP_1) | instskip(NEXT) | instid1(VALU_DEP_1)
	v_fmaak_f32 v17, v17, v18, 0x3e0375d0
	v_fma_f32 v17, |v14|, v17, |v14|
; %bb.24:                               ;   in Loop: Header=BB243_4 Depth=1
	s_or_b32 exec_lo, exec_lo, s5
	s_delay_alu instid0(SALU_CYCLE_1)
	s_mov_b32 s22, exec_lo
                                        ; implicit-def: $vgpr18
	v_cmpx_nlt_f32_e64 |v12|, 1.0
	s_xor_b32 s22, exec_lo, s22
	s_cbranch_execnz .LBB243_30
; %bb.25:                               ;   in Loop: Header=BB243_4 Depth=1
	s_and_not1_saveexec_b32 s5, s22
	s_cbranch_execnz .LBB243_31
.LBB243_26:                             ;   in Loop: Header=BB243_4 Depth=1
	s_or_b32 exec_lo, exec_lo, s5
	s_and_saveexec_b32 s5, vcc_lo
	s_delay_alu instid0(SALU_CYCLE_1)
	s_xor_b32 s5, exec_lo, s5
	s_cbranch_execnz .LBB243_32
.LBB243_27:                             ;   in Loop: Header=BB243_4 Depth=1
	s_or_b32 exec_lo, exec_lo, s5
	s_and_saveexec_b32 s5, s2
	s_cbranch_execnz .LBB243_33
.LBB243_28:                             ;   in Loop: Header=BB243_4 Depth=1
	s_or_b32 exec_lo, exec_lo, s5
	s_and_saveexec_b32 s2, s3
	s_cbranch_execnz .LBB243_34
.LBB243_29:                             ;   in Loop: Header=BB243_4 Depth=1
	s_or_b32 exec_lo, exec_lo, s2
	s_and_saveexec_b32 s2, s4
	s_cbranch_execz .LBB243_3
	s_branch .LBB243_35
.LBB243_30:                             ;   in Loop: Header=BB243_4 Depth=1
	v_fma_f32 v18, |v12|, s20, 0xb9c68948
	s_delay_alu instid0(VALU_DEP_1) | instskip(NEXT) | instid1(VALU_DEP_1)
	v_fma_f32 v18, |v12|, v18, 0x3b7cd369
	v_fma_f32 v18, |v12|, v18, 0xbcc618b2
	s_delay_alu instid0(VALU_DEP_1) | instskip(NEXT) | instid1(VALU_DEP_1)
	v_fma_f32 v18, |v12|, v18, 0x3dda74e4
	;; [unrolled: 3-line block ×3, first 2 shown]
	v_fma_f32 v18, |v12|, v18, |v12|
	s_delay_alu instid0(VALU_DEP_1) | instskip(SKIP_1) | instid1(VALU_DEP_2)
	v_mul_f32_e32 v19, 0xbfb8aa3b, v18
	v_cmp_nlt_f32_e64 s5, 0x42ce8ed0, v18
	v_fma_f32 v20, 0xbfb8aa3b, v18, -v19
	v_rndne_f32_e32 v21, v19
	s_delay_alu instid0(VALU_DEP_1) | instskip(NEXT) | instid1(VALU_DEP_1)
	v_dual_fmac_f32 v20, 0xb2a5705f, v18 :: v_dual_sub_f32 v19, v19, v21
	v_add_f32_e32 v19, v19, v20
	v_cvt_i32_f32_e32 v20, v21
	s_delay_alu instid0(VALU_DEP_2) | instskip(SKIP_2) | instid1(VALU_DEP_1)
	v_exp_f32_e32 v19, v19
	s_waitcnt_depctr 0xfff
	v_ldexp_f32 v19, v19, v20
	v_cndmask_b32_e64 v19, 0, v19, s5
	v_cmp_ngt_f32_e64 s5, 0xc2b17218, v18
	s_delay_alu instid0(VALU_DEP_1) | instskip(NEXT) | instid1(VALU_DEP_1)
	v_cndmask_b32_e64 v18, 0x7f800000, v19, s5
	v_sub_f32_e32 v18, 1.0, v18
	s_and_not1_saveexec_b32 s5, s22
	s_cbranch_execz .LBB243_26
.LBB243_31:                             ;   in Loop: Header=BB243_4 Depth=1
	v_mul_f32_e32 v18, v12, v12
	s_delay_alu instid0(VALU_DEP_1) | instskip(NEXT) | instid1(VALU_DEP_1)
	v_fmaak_f32 v19, s21, v18, 0x3ba10414
	v_fmaak_f32 v19, v18, v19, 0xbcdac9b8
	s_delay_alu instid0(VALU_DEP_1) | instskip(NEXT) | instid1(VALU_DEP_1)
	v_fmaak_f32 v19, v18, v19, 0x3de703be
	v_fmaak_f32 v19, v18, v19, 0xbec09330
	s_delay_alu instid0(VALU_DEP_1) | instskip(NEXT) | instid1(VALU_DEP_1)
	v_fmaak_f32 v18, v18, v19, 0x3e0375d0
	v_fma_f32 v18, |v12|, v18, |v12|
	s_or_b32 exec_lo, exec_lo, s5
	s_and_saveexec_b32 s5, vcc_lo
	s_delay_alu instid0(SALU_CYCLE_1)
	s_xor_b32 s5, exec_lo, s5
	s_cbranch_execz .LBB243_27
.LBB243_32:                             ;   in Loop: Header=BB243_4 Depth=1
	v_bfi_b32 v11, 0x7fffffff, v15, v11
	global_store_b32 v[1:2], v11, off
	s_or_b32 exec_lo, exec_lo, s5
	s_and_saveexec_b32 s5, s2
	s_cbranch_execz .LBB243_28
.LBB243_33:                             ;   in Loop: Header=BB243_4 Depth=1
	v_bfi_b32 v11, 0x7fffffff, v16, v13
	global_store_b32 v[3:4], v11, off
	s_or_b32 exec_lo, exec_lo, s5
	s_and_saveexec_b32 s2, s3
	s_cbranch_execz .LBB243_29
.LBB243_34:                             ;   in Loop: Header=BB243_4 Depth=1
	v_add_co_u32 v13, vcc_lo, v1, s19
	v_bfi_b32 v11, 0x7fffffff, v17, v14
	v_add_co_ci_u32_e32 v14, vcc_lo, 0, v2, vcc_lo
	global_store_b32 v[13:14], v11, off
	s_or_b32 exec_lo, exec_lo, s2
	s_and_saveexec_b32 s2, s4
	s_cbranch_execz .LBB243_3
.LBB243_35:                             ;   in Loop: Header=BB243_4 Depth=1
	v_add_co_u32 v11, vcc_lo, v1, s17
	v_bfi_b32 v13, 0x7fffffff, v18, v12
	v_add_co_ci_u32_e32 v12, vcc_lo, 0, v2, vcc_lo
	global_store_b32 v[11:12], v13, off
	s_branch .LBB243_3
.LBB243_36:
	s_cbranch_execz .LBB243_38
	s_branch .LBB243_57
.LBB243_37:
.LBB243_38:
	v_dual_mov_b32 v5, 0 :: v_dual_lshlrev_b32 v4, 2, v0
	s_mov_b32 s2, 0
	s_mov_b32 s3, exec_lo
	s_delay_alu instid0(VALU_DEP_1)
	v_cmpx_gt_i64_e64 s[6:7], v[4:5]
	s_cbranch_execz .LBB243_57
; %bb.39:
	s_load_b32 s0, s[0:1], 0xd3c
	v_lshlrev_b32_e32 v1, 4, v0
	s_mov_b32 s5, 0xba1345e1
	s_waitcnt lgkmcnt(0)
	s_and_b32 s0, s0, 0xffff
	s_delay_alu instid0(SALU_CYCLE_1) | instskip(SKIP_3) | instid1(VALU_DEP_1)
	s_lshl_b32 s1, s0, 2
	s_add_u32 s3, s8, s10
	s_addc_u32 s4, s9, s11
	v_add_co_u32 v1, s3, s3, v1
	v_add_co_ci_u32_e64 v2, null, s4, 0, s3
	v_add_lshl_u32 v4, v0, s0, 2
	s_delay_alu instid0(VALU_DEP_3) | instskip(NEXT) | instid1(VALU_DEP_3)
	v_add_co_u32 v6, vcc_lo, v1, 8
	v_add_co_ci_u32_e32 v7, vcc_lo, 0, v2, vcc_lo
	s_lshl_b32 s3, s0, 4
	s_mov_b32 s4, 0x378e98ab
	s_branch .LBB243_41
.LBB243_40:                             ;   in Loop: Header=BB243_41 Depth=1
	s_or_b32 exec_lo, exec_lo, s0
	v_cmp_le_i64_e32 vcc_lo, s[6:7], v[4:5]
	v_cmp_lt_u64_e64 s0, 0xffff, v[4:5]
	v_bfi_b32 v2, 0x7fffffff, v10, v2
	v_bfi_b32 v1, 0x7fffffff, v9, v1
	;; [unrolled: 1-line block ×4, first 2 shown]
	s_or_b32 s0, vcc_lo, s0
	v_add_co_u32 v4, vcc_lo, v4, s1
	v_add_co_ci_u32_e32 v5, vcc_lo, 0, v5, vcc_lo
	global_store_b128 v[6:7], v[0:3], off offset:-8
	v_add_co_u32 v6, vcc_lo, v6, s3
	v_add_co_ci_u32_e32 v7, vcc_lo, 0, v7, vcc_lo
	s_and_b32 s0, exec_lo, s0
	s_delay_alu instid0(SALU_CYCLE_1) | instskip(NEXT) | instid1(SALU_CYCLE_1)
	s_or_b32 s2, s0, s2
	s_and_not1_b32 exec_lo, exec_lo, s2
	s_cbranch_execz .LBB243_57
.LBB243_41:                             ; =>This Inner Loop Header: Depth=1
	global_load_b128 v[0:3], v[6:7], off offset:-8
                                        ; implicit-def: $vgpr8
	s_waitcnt vmcnt(0)
	v_cmp_nlt_f32_e64 s0, |v0|, 1.0
	s_delay_alu instid0(VALU_DEP_1) | instskip(NEXT) | instid1(SALU_CYCLE_1)
	s_and_saveexec_b32 s8, s0
	s_xor_b32 s0, exec_lo, s8
	s_cbranch_execz .LBB243_43
; %bb.42:                               ;   in Loop: Header=BB243_41 Depth=1
	v_fma_f32 v8, |v0|, s4, 0xb9c68948
	s_delay_alu instid0(VALU_DEP_1) | instskip(NEXT) | instid1(VALU_DEP_1)
	v_fma_f32 v8, |v0|, v8, 0x3b7cd369
	v_fma_f32 v8, |v0|, v8, 0xbcc618b2
	s_delay_alu instid0(VALU_DEP_1) | instskip(NEXT) | instid1(VALU_DEP_1)
	v_fma_f32 v8, |v0|, v8, 0x3dda74e4
	;; [unrolled: 3-line block ×3, first 2 shown]
	v_fma_f32 v8, |v0|, v8, |v0|
	s_delay_alu instid0(VALU_DEP_1) | instskip(SKIP_1) | instid1(VALU_DEP_2)
	v_mul_f32_e32 v9, 0xbfb8aa3b, v8
	v_cmp_nlt_f32_e32 vcc_lo, 0x42ce8ed0, v8
	v_fma_f32 v10, 0xbfb8aa3b, v8, -v9
	v_rndne_f32_e32 v11, v9
	s_delay_alu instid0(VALU_DEP_1) | instskip(NEXT) | instid1(VALU_DEP_1)
	v_dual_fmac_f32 v10, 0xb2a5705f, v8 :: v_dual_sub_f32 v9, v9, v11
	v_add_f32_e32 v9, v9, v10
	v_cvt_i32_f32_e32 v10, v11
	s_delay_alu instid0(VALU_DEP_2) | instskip(SKIP_2) | instid1(VALU_DEP_1)
	v_exp_f32_e32 v9, v9
	s_waitcnt_depctr 0xfff
	v_ldexp_f32 v9, v9, v10
	v_cndmask_b32_e32 v9, 0, v9, vcc_lo
	v_cmp_ngt_f32_e32 vcc_lo, 0xc2b17218, v8
	s_delay_alu instid0(VALU_DEP_2) | instskip(NEXT) | instid1(VALU_DEP_1)
	v_cndmask_b32_e32 v8, 0x7f800000, v9, vcc_lo
	v_sub_f32_e32 v8, 1.0, v8
.LBB243_43:                             ;   in Loop: Header=BB243_41 Depth=1
	s_and_not1_saveexec_b32 s0, s0
; %bb.44:                               ;   in Loop: Header=BB243_41 Depth=1
	v_mul_f32_e32 v8, v0, v0
	s_delay_alu instid0(VALU_DEP_1) | instskip(NEXT) | instid1(VALU_DEP_1)
	v_fmaak_f32 v9, s5, v8, 0x3ba10414
	v_fmaak_f32 v9, v8, v9, 0xbcdac9b8
	s_delay_alu instid0(VALU_DEP_1) | instskip(NEXT) | instid1(VALU_DEP_1)
	v_fmaak_f32 v9, v8, v9, 0x3de703be
	v_fmaak_f32 v9, v8, v9, 0xbec09330
	s_delay_alu instid0(VALU_DEP_1) | instskip(NEXT) | instid1(VALU_DEP_1)
	v_fmaak_f32 v8, v8, v9, 0x3e0375d0
	v_fma_f32 v8, |v0|, v8, |v0|
; %bb.45:                               ;   in Loop: Header=BB243_41 Depth=1
	s_or_b32 exec_lo, exec_lo, s0
	v_cmp_nlt_f32_e64 s0, |v1|, 1.0
                                        ; implicit-def: $vgpr9
	s_delay_alu instid0(VALU_DEP_1) | instskip(NEXT) | instid1(SALU_CYCLE_1)
	s_and_saveexec_b32 s8, s0
	s_xor_b32 s0, exec_lo, s8
	s_cbranch_execz .LBB243_47
; %bb.46:                               ;   in Loop: Header=BB243_41 Depth=1
	v_fma_f32 v9, |v1|, s4, 0xb9c68948
	s_delay_alu instid0(VALU_DEP_1) | instskip(NEXT) | instid1(VALU_DEP_1)
	v_fma_f32 v9, |v1|, v9, 0x3b7cd369
	v_fma_f32 v9, |v1|, v9, 0xbcc618b2
	s_delay_alu instid0(VALU_DEP_1) | instskip(NEXT) | instid1(VALU_DEP_1)
	v_fma_f32 v9, |v1|, v9, 0x3dda74e4
	;; [unrolled: 3-line block ×3, first 2 shown]
	v_fma_f32 v9, |v1|, v9, |v1|
	s_delay_alu instid0(VALU_DEP_1) | instskip(SKIP_1) | instid1(VALU_DEP_2)
	v_mul_f32_e32 v10, 0xbfb8aa3b, v9
	v_cmp_nlt_f32_e32 vcc_lo, 0x42ce8ed0, v9
	v_fma_f32 v11, 0xbfb8aa3b, v9, -v10
	v_rndne_f32_e32 v12, v10
	s_delay_alu instid0(VALU_DEP_1) | instskip(NEXT) | instid1(VALU_DEP_1)
	v_dual_fmac_f32 v11, 0xb2a5705f, v9 :: v_dual_sub_f32 v10, v10, v12
	v_add_f32_e32 v10, v10, v11
	v_cvt_i32_f32_e32 v11, v12
	s_delay_alu instid0(VALU_DEP_2) | instskip(SKIP_2) | instid1(VALU_DEP_1)
	v_exp_f32_e32 v10, v10
	s_waitcnt_depctr 0xfff
	v_ldexp_f32 v10, v10, v11
	v_cndmask_b32_e32 v10, 0, v10, vcc_lo
	v_cmp_ngt_f32_e32 vcc_lo, 0xc2b17218, v9
	s_delay_alu instid0(VALU_DEP_2) | instskip(NEXT) | instid1(VALU_DEP_1)
	v_cndmask_b32_e32 v9, 0x7f800000, v10, vcc_lo
	v_sub_f32_e32 v9, 1.0, v9
.LBB243_47:                             ;   in Loop: Header=BB243_41 Depth=1
	s_and_not1_saveexec_b32 s0, s0
; %bb.48:                               ;   in Loop: Header=BB243_41 Depth=1
	v_mul_f32_e32 v9, v1, v1
	s_delay_alu instid0(VALU_DEP_1) | instskip(NEXT) | instid1(VALU_DEP_1)
	v_fmaak_f32 v10, s5, v9, 0x3ba10414
	v_fmaak_f32 v10, v9, v10, 0xbcdac9b8
	s_delay_alu instid0(VALU_DEP_1) | instskip(NEXT) | instid1(VALU_DEP_1)
	v_fmaak_f32 v10, v9, v10, 0x3de703be
	v_fmaak_f32 v10, v9, v10, 0xbec09330
	s_delay_alu instid0(VALU_DEP_1) | instskip(NEXT) | instid1(VALU_DEP_1)
	v_fmaak_f32 v9, v9, v10, 0x3e0375d0
	v_fma_f32 v9, |v1|, v9, |v1|
; %bb.49:                               ;   in Loop: Header=BB243_41 Depth=1
	s_or_b32 exec_lo, exec_lo, s0
	v_cmp_nlt_f32_e64 s0, |v2|, 1.0
                                        ; implicit-def: $vgpr10
	s_delay_alu instid0(VALU_DEP_1) | instskip(NEXT) | instid1(SALU_CYCLE_1)
	s_and_saveexec_b32 s8, s0
	s_xor_b32 s0, exec_lo, s8
	s_cbranch_execz .LBB243_51
; %bb.50:                               ;   in Loop: Header=BB243_41 Depth=1
	v_fma_f32 v10, |v2|, s4, 0xb9c68948
	s_delay_alu instid0(VALU_DEP_1) | instskip(NEXT) | instid1(VALU_DEP_1)
	v_fma_f32 v10, |v2|, v10, 0x3b7cd369
	v_fma_f32 v10, |v2|, v10, 0xbcc618b2
	s_delay_alu instid0(VALU_DEP_1) | instskip(NEXT) | instid1(VALU_DEP_1)
	v_fma_f32 v10, |v2|, v10, 0x3dda74e4
	;; [unrolled: 3-line block ×3, first 2 shown]
	v_fma_f32 v10, |v2|, v10, |v2|
	s_delay_alu instid0(VALU_DEP_1) | instskip(SKIP_1) | instid1(VALU_DEP_2)
	v_mul_f32_e32 v11, 0xbfb8aa3b, v10
	v_cmp_nlt_f32_e32 vcc_lo, 0x42ce8ed0, v10
	v_fma_f32 v12, 0xbfb8aa3b, v10, -v11
	v_rndne_f32_e32 v13, v11
	s_delay_alu instid0(VALU_DEP_1) | instskip(NEXT) | instid1(VALU_DEP_1)
	v_dual_fmac_f32 v12, 0xb2a5705f, v10 :: v_dual_sub_f32 v11, v11, v13
	v_add_f32_e32 v11, v11, v12
	v_cvt_i32_f32_e32 v12, v13
	s_delay_alu instid0(VALU_DEP_2) | instskip(SKIP_2) | instid1(VALU_DEP_1)
	v_exp_f32_e32 v11, v11
	s_waitcnt_depctr 0xfff
	v_ldexp_f32 v11, v11, v12
	v_cndmask_b32_e32 v11, 0, v11, vcc_lo
	v_cmp_ngt_f32_e32 vcc_lo, 0xc2b17218, v10
	s_delay_alu instid0(VALU_DEP_2) | instskip(NEXT) | instid1(VALU_DEP_1)
	v_cndmask_b32_e32 v10, 0x7f800000, v11, vcc_lo
	v_sub_f32_e32 v10, 1.0, v10
.LBB243_51:                             ;   in Loop: Header=BB243_41 Depth=1
	s_and_not1_saveexec_b32 s0, s0
; %bb.52:                               ;   in Loop: Header=BB243_41 Depth=1
	v_mul_f32_e32 v10, v2, v2
	s_delay_alu instid0(VALU_DEP_1) | instskip(NEXT) | instid1(VALU_DEP_1)
	v_fmaak_f32 v11, s5, v10, 0x3ba10414
	v_fmaak_f32 v11, v10, v11, 0xbcdac9b8
	s_delay_alu instid0(VALU_DEP_1) | instskip(NEXT) | instid1(VALU_DEP_1)
	v_fmaak_f32 v11, v10, v11, 0x3de703be
	v_fmaak_f32 v11, v10, v11, 0xbec09330
	s_delay_alu instid0(VALU_DEP_1) | instskip(NEXT) | instid1(VALU_DEP_1)
	v_fmaak_f32 v10, v10, v11, 0x3e0375d0
	v_fma_f32 v10, |v2|, v10, |v2|
; %bb.53:                               ;   in Loop: Header=BB243_41 Depth=1
	s_or_b32 exec_lo, exec_lo, s0
	v_cmp_nlt_f32_e64 s0, |v3|, 1.0
                                        ; implicit-def: $vgpr11
	s_delay_alu instid0(VALU_DEP_1) | instskip(NEXT) | instid1(SALU_CYCLE_1)
	s_and_saveexec_b32 s8, s0
	s_xor_b32 s0, exec_lo, s8
	s_cbranch_execz .LBB243_55
; %bb.54:                               ;   in Loop: Header=BB243_41 Depth=1
	v_fma_f32 v11, |v3|, s4, 0xb9c68948
	s_delay_alu instid0(VALU_DEP_1) | instskip(NEXT) | instid1(VALU_DEP_1)
	v_fma_f32 v11, |v3|, v11, 0x3b7cd369
	v_fma_f32 v11, |v3|, v11, 0xbcc618b2
	s_delay_alu instid0(VALU_DEP_1) | instskip(NEXT) | instid1(VALU_DEP_1)
	v_fma_f32 v11, |v3|, v11, 0x3dda74e4
	;; [unrolled: 3-line block ×3, first 2 shown]
	v_fma_f32 v11, |v3|, v11, |v3|
	s_delay_alu instid0(VALU_DEP_1) | instskip(SKIP_1) | instid1(VALU_DEP_2)
	v_mul_f32_e32 v12, 0xbfb8aa3b, v11
	v_cmp_nlt_f32_e32 vcc_lo, 0x42ce8ed0, v11
	v_fma_f32 v13, 0xbfb8aa3b, v11, -v12
	v_rndne_f32_e32 v14, v12
	s_delay_alu instid0(VALU_DEP_1) | instskip(NEXT) | instid1(VALU_DEP_1)
	v_dual_fmac_f32 v13, 0xb2a5705f, v11 :: v_dual_sub_f32 v12, v12, v14
	v_add_f32_e32 v12, v12, v13
	v_cvt_i32_f32_e32 v13, v14
	s_delay_alu instid0(VALU_DEP_2) | instskip(SKIP_2) | instid1(VALU_DEP_1)
	v_exp_f32_e32 v12, v12
	s_waitcnt_depctr 0xfff
	v_ldexp_f32 v12, v12, v13
	v_cndmask_b32_e32 v12, 0, v12, vcc_lo
	v_cmp_ngt_f32_e32 vcc_lo, 0xc2b17218, v11
	s_delay_alu instid0(VALU_DEP_2) | instskip(NEXT) | instid1(VALU_DEP_1)
	v_cndmask_b32_e32 v11, 0x7f800000, v12, vcc_lo
	v_sub_f32_e32 v11, 1.0, v11
.LBB243_55:                             ;   in Loop: Header=BB243_41 Depth=1
	s_and_not1_saveexec_b32 s0, s0
	s_cbranch_execz .LBB243_40
; %bb.56:                               ;   in Loop: Header=BB243_41 Depth=1
	v_mul_f32_e32 v11, v3, v3
	s_delay_alu instid0(VALU_DEP_1) | instskip(NEXT) | instid1(VALU_DEP_1)
	v_fmaak_f32 v12, s5, v11, 0x3ba10414
	v_fmaak_f32 v12, v11, v12, 0xbcdac9b8
	s_delay_alu instid0(VALU_DEP_1) | instskip(NEXT) | instid1(VALU_DEP_1)
	v_fmaak_f32 v12, v11, v12, 0x3de703be
	v_fmaak_f32 v12, v11, v12, 0xbec09330
	s_delay_alu instid0(VALU_DEP_1) | instskip(NEXT) | instid1(VALU_DEP_1)
	v_fmaak_f32 v11, v11, v12, 0x3e0375d0
	v_fma_f32 v11, |v3|, v11, |v3|
	s_branch .LBB243_40
.LBB243_57:
	s_nop 0
	s_sendmsg sendmsg(MSG_DEALLOC_VGPRS)
	s_endpgm
	.section	.rodata,"a",@progbits
	.p2align	6, 0x0
	.amdhsa_kernel _ZN2at6native12_GLOBAL__N_125multi_tensor_apply_kernelINS1_18TensorListMetadataILi1EEENS1_14UnaryOpFunctorIfLi1ELi1ELi0EEEJNS0_3ErfIfEEEEEvT_T0_DpT1_
		.amdhsa_group_segment_fixed_size 0
		.amdhsa_private_segment_fixed_size 0
		.amdhsa_kernarg_size 3632
		.amdhsa_user_sgpr_count 15
		.amdhsa_user_sgpr_dispatch_ptr 0
		.amdhsa_user_sgpr_queue_ptr 0
		.amdhsa_user_sgpr_kernarg_segment_ptr 1
		.amdhsa_user_sgpr_dispatch_id 0
		.amdhsa_user_sgpr_private_segment_size 0
		.amdhsa_wavefront_size32 1
		.amdhsa_uses_dynamic_stack 0
		.amdhsa_enable_private_segment 0
		.amdhsa_system_sgpr_workgroup_id_x 1
		.amdhsa_system_sgpr_workgroup_id_y 0
		.amdhsa_system_sgpr_workgroup_id_z 0
		.amdhsa_system_sgpr_workgroup_info 0
		.amdhsa_system_vgpr_workitem_id 0
		.amdhsa_next_free_vgpr 22
		.amdhsa_next_free_sgpr 23
		.amdhsa_reserve_vcc 1
		.amdhsa_float_round_mode_32 0
		.amdhsa_float_round_mode_16_64 0
		.amdhsa_float_denorm_mode_32 3
		.amdhsa_float_denorm_mode_16_64 3
		.amdhsa_dx10_clamp 1
		.amdhsa_ieee_mode 1
		.amdhsa_fp16_overflow 0
		.amdhsa_workgroup_processor_mode 1
		.amdhsa_memory_ordered 1
		.amdhsa_forward_progress 0
		.amdhsa_shared_vgpr_count 0
		.amdhsa_exception_fp_ieee_invalid_op 0
		.amdhsa_exception_fp_denorm_src 0
		.amdhsa_exception_fp_ieee_div_zero 0
		.amdhsa_exception_fp_ieee_overflow 0
		.amdhsa_exception_fp_ieee_underflow 0
		.amdhsa_exception_fp_ieee_inexact 0
		.amdhsa_exception_int_div_zero 0
	.end_amdhsa_kernel
	.section	.text._ZN2at6native12_GLOBAL__N_125multi_tensor_apply_kernelINS1_18TensorListMetadataILi1EEENS1_14UnaryOpFunctorIfLi1ELi1ELi0EEEJNS0_3ErfIfEEEEEvT_T0_DpT1_,"axG",@progbits,_ZN2at6native12_GLOBAL__N_125multi_tensor_apply_kernelINS1_18TensorListMetadataILi1EEENS1_14UnaryOpFunctorIfLi1ELi1ELi0EEEJNS0_3ErfIfEEEEEvT_T0_DpT1_,comdat
.Lfunc_end243:
	.size	_ZN2at6native12_GLOBAL__N_125multi_tensor_apply_kernelINS1_18TensorListMetadataILi1EEENS1_14UnaryOpFunctorIfLi1ELi1ELi0EEEJNS0_3ErfIfEEEEEvT_T0_DpT1_, .Lfunc_end243-_ZN2at6native12_GLOBAL__N_125multi_tensor_apply_kernelINS1_18TensorListMetadataILi1EEENS1_14UnaryOpFunctorIfLi1ELi1ELi0EEEJNS0_3ErfIfEEEEEvT_T0_DpT1_
                                        ; -- End function
	.section	.AMDGPU.csdata,"",@progbits
; Kernel info:
; codeLenInByte = 3648
; NumSgprs: 25
; NumVgprs: 22
; ScratchSize: 0
; MemoryBound: 0
; FloatMode: 240
; IeeeMode: 1
; LDSByteSize: 0 bytes/workgroup (compile time only)
; SGPRBlocks: 3
; VGPRBlocks: 2
; NumSGPRsForWavesPerEU: 25
; NumVGPRsForWavesPerEU: 22
; Occupancy: 16
; WaveLimiterHint : 0
; COMPUTE_PGM_RSRC2:SCRATCH_EN: 0
; COMPUTE_PGM_RSRC2:USER_SGPR: 15
; COMPUTE_PGM_RSRC2:TRAP_HANDLER: 0
; COMPUTE_PGM_RSRC2:TGID_X_EN: 1
; COMPUTE_PGM_RSRC2:TGID_Y_EN: 0
; COMPUTE_PGM_RSRC2:TGID_Z_EN: 0
; COMPUTE_PGM_RSRC2:TIDIG_COMP_CNT: 0
	.section	.text._ZN2at6native12_GLOBAL__N_125multi_tensor_apply_kernelINS1_18TensorListMetadataILi1EEENS1_14UnaryOpFunctorIN3c104HalfELi1ELi1ELi0EEEJNS0_3ErfIfEEEEEvT_T0_DpT1_,"axG",@progbits,_ZN2at6native12_GLOBAL__N_125multi_tensor_apply_kernelINS1_18TensorListMetadataILi1EEENS1_14UnaryOpFunctorIN3c104HalfELi1ELi1ELi0EEEJNS0_3ErfIfEEEEEvT_T0_DpT1_,comdat
	.globl	_ZN2at6native12_GLOBAL__N_125multi_tensor_apply_kernelINS1_18TensorListMetadataILi1EEENS1_14UnaryOpFunctorIN3c104HalfELi1ELi1ELi0EEEJNS0_3ErfIfEEEEEvT_T0_DpT1_ ; -- Begin function _ZN2at6native12_GLOBAL__N_125multi_tensor_apply_kernelINS1_18TensorListMetadataILi1EEENS1_14UnaryOpFunctorIN3c104HalfELi1ELi1ELi0EEEJNS0_3ErfIfEEEEEvT_T0_DpT1_
	.p2align	8
	.type	_ZN2at6native12_GLOBAL__N_125multi_tensor_apply_kernelINS1_18TensorListMetadataILi1EEENS1_14UnaryOpFunctorIN3c104HalfELi1ELi1ELi0EEEJNS0_3ErfIfEEEEEvT_T0_DpT1_,@function
_ZN2at6native12_GLOBAL__N_125multi_tensor_apply_kernelINS1_18TensorListMetadataILi1EEENS1_14UnaryOpFunctorIN3c104HalfELi1ELi1ELi0EEEJNS0_3ErfIfEEEEEvT_T0_DpT1_: ; @_ZN2at6native12_GLOBAL__N_125multi_tensor_apply_kernelINS1_18TensorListMetadataILi1EEENS1_14UnaryOpFunctorIN3c104HalfELi1ELi1ELi0EEEJNS0_3ErfIfEEEEEvT_T0_DpT1_
; %bb.0:
	v_mov_b32_e32 v1, s15
	s_add_u32 s2, s0, s15
	s_mul_hi_u32 s3, s15, 3
	s_mul_i32 s15, s15, 3
	s_addc_u32 s4, s1, 0
	global_load_u8 v1, v1, s[0:1] offset:1760
	s_add_u32 s2, s2, s15
	s_addc_u32 s3, s4, s3
	s_mov_b32 s13, 0
	s_load_b32 s2, s[2:3], 0x820
	s_waitcnt vmcnt(0)
	v_readfirstlane_b32 s5, v1
	s_delay_alu instid0(VALU_DEP_1)
	s_lshl_b32 s3, s5, 3
	s_clause 0x1
	s_load_b64 s[8:9], s[0:1], s3 offset:0x0
	s_load_b64 s[4:5], s[0:1], s3 offset:0x370
	s_waitcnt lgkmcnt(0)
	s_ashr_i32 s3, s2, 31
	s_delay_alu instid0(SALU_CYCLE_1)
	s_lshl_b64 s[10:11], s[2:3], 17
	s_lshl_b64 s[2:3], s[2:3], 16
	s_and_b32 s12, s8, 7
	s_sub_u32 s6, s4, s2
	s_subb_u32 s7, s5, s3
	s_and_b32 s2, s4, 3
	s_mov_b32 s3, s13
	s_delay_alu instid0(SALU_CYCLE_1) | instskip(NEXT) | instid1(SALU_CYCLE_1)
	s_or_b64 s[2:3], s[12:13], s[2:3]
	s_cmp_eq_u64 s[2:3], 0
	s_cbranch_scc1 .LBB244_37
; %bb.1:
	v_cmp_lt_i64_e64 s2, s[6:7], 1
	s_delay_alu instid0(VALU_DEP_1)
	s_and_b32 vcc_lo, exec_lo, s2
	s_cbranch_vccnz .LBB244_36
; %bb.2:
	s_load_b32 s2, s[0:1], 0xd3c
	v_cmp_gt_u64_e64 s3, 0x10000, s[6:7]
	v_lshlrev_b32_e32 v1, 1, v0
	s_mov_b32 s19, 0x378e98ab
	s_mov_b32 s20, 0xba1345e1
	s_waitcnt lgkmcnt(0)
	s_and_b32 s2, s2, 0xffff
	s_and_b32 s3, s3, exec_lo
	v_add_co_u32 v5, s5, v0, s2
	s_cselect_b32 s13, s7, 0
	s_cselect_b32 s12, s6, 0x10000
	s_lshl_b32 s3, s2, 1
	s_mul_i32 s4, s2, 3
	s_lshl_b32 s16, s2, 2
	v_add_co_ci_u32_e64 v6, null, 0, 0, s5
	s_add_u32 s5, s8, s10
	s_mul_i32 s17, s2, 6
	s_addc_u32 s14, s9, s11
	s_lshl_b32 s18, s2, 3
	v_add_co_u32 v7, s2, s4, v0
	v_lshlrev_b32_e32 v3, 1, v5
	v_add_co_ci_u32_e64 v8, null, 0, 0, s2
	v_add_co_u32 v9, s2, s3, v0
	s_delay_alu instid0(VALU_DEP_1) | instskip(SKIP_1) | instid1(VALU_DEP_1)
	v_add_co_ci_u32_e64 v10, null, 0, 0, s2
	v_add_co_u32 v1, s2, s5, v1
	v_add_co_ci_u32_e64 v2, null, s14, 0, s2
	v_add_co_u32 v3, s2, s5, v3
	s_delay_alu instid0(VALU_DEP_1)
	v_add_co_ci_u32_e64 v4, null, s14, 0, s2
	s_mov_b64 s[14:15], 0
	s_branch .LBB244_4
.LBB244_3:                              ;   in Loop: Header=BB244_4 Depth=1
	s_or_b32 exec_lo, exec_lo, s2
	s_add_u32 s14, s14, s16
	s_addc_u32 s15, s15, 0
	v_add_co_u32 v1, vcc_lo, v1, s18
	v_cmp_ge_i64_e64 s2, s[14:15], s[6:7]
	v_cmp_lt_u64_e64 s3, 0xffff, s[14:15]
	v_add_co_ci_u32_e32 v2, vcc_lo, 0, v2, vcc_lo
	v_add_co_u32 v3, vcc_lo, v3, s18
	v_add_co_ci_u32_e32 v4, vcc_lo, 0, v4, vcc_lo
	s_delay_alu instid0(VALU_DEP_4) | instskip(NEXT) | instid1(SALU_CYCLE_1)
	s_or_b32 s2, s2, s3
	s_and_b32 vcc_lo, exec_lo, s2
	s_cbranch_vccnz .LBB244_36
.LBB244_4:                              ; =>This Inner Loop Header: Depth=1
	v_add_co_u32 v11, s2, v0, s14
	s_delay_alu instid0(VALU_DEP_1) | instskip(NEXT) | instid1(VALU_DEP_1)
	v_add_co_ci_u32_e64 v12, null, 0, s15, s2
	v_cmp_gt_u64_e32 vcc_lo, s[12:13], v[11:12]
	v_mov_b32_e32 v11, 0
	s_and_saveexec_b32 s2, vcc_lo
	s_cbranch_execz .LBB244_6
; %bb.5:                                ;   in Loop: Header=BB244_4 Depth=1
	global_load_u16 v11, v[1:2], off
.LBB244_6:                              ;   in Loop: Header=BB244_4 Depth=1
	s_or_b32 exec_lo, exec_lo, s2
	v_add_co_u32 v12, s2, v5, s14
	s_delay_alu instid0(VALU_DEP_1) | instskip(SKIP_1) | instid1(VALU_DEP_2)
	v_add_co_ci_u32_e64 v13, s2, s15, v6, s2
	v_mov_b32_e32 v14, 0
	v_cmp_gt_u64_e64 s2, s[12:13], v[12:13]
	s_delay_alu instid0(VALU_DEP_1)
	s_and_saveexec_b32 s3, s2
	s_cbranch_execz .LBB244_8
; %bb.7:                                ;   in Loop: Header=BB244_4 Depth=1
	global_load_u16 v14, v[3:4], off
.LBB244_8:                              ;   in Loop: Header=BB244_4 Depth=1
	s_or_b32 exec_lo, exec_lo, s3
	v_add_co_u32 v12, s3, v9, s14
	s_delay_alu instid0(VALU_DEP_1) | instskip(SKIP_1) | instid1(VALU_DEP_2)
	v_add_co_ci_u32_e64 v13, s3, s15, v10, s3
	v_mov_b32_e32 v16, 0
	v_cmp_gt_u64_e64 s3, s[12:13], v[12:13]
	v_mov_b32_e32 v12, 0
	s_delay_alu instid0(VALU_DEP_2)
	s_and_saveexec_b32 s5, s3
	s_cbranch_execz .LBB244_10
; %bb.9:                                ;   in Loop: Header=BB244_4 Depth=1
	v_add_co_u32 v15, s4, v1, s16
	s_delay_alu instid0(VALU_DEP_1)
	v_add_co_ci_u32_e64 v16, s4, 0, v2, s4
	global_load_u16 v16, v[15:16], off
.LBB244_10:                             ;   in Loop: Header=BB244_4 Depth=1
	s_or_b32 exec_lo, exec_lo, s5
	v_add_co_u32 v17, s4, v7, s14
	s_delay_alu instid0(VALU_DEP_1) | instskip(NEXT) | instid1(VALU_DEP_1)
	v_add_co_ci_u32_e64 v18, s4, s15, v8, s4
	v_cmp_gt_u64_e64 s4, s[12:13], v[17:18]
	s_delay_alu instid0(VALU_DEP_1)
	s_and_saveexec_b32 s21, s4
	s_cbranch_execz .LBB244_12
; %bb.11:                               ;   in Loop: Header=BB244_4 Depth=1
	v_add_co_u32 v12, s5, v1, s17
	s_delay_alu instid0(VALU_DEP_1)
	v_add_co_ci_u32_e64 v13, s5, 0, v2, s5
	global_load_u16 v12, v[12:13], off
.LBB244_12:                             ;   in Loop: Header=BB244_4 Depth=1
	s_or_b32 exec_lo, exec_lo, s21
	s_waitcnt vmcnt(0)
	v_cvt_f32_f16_e32 v11, v11
	s_mov_b32 s21, exec_lo
                                        ; implicit-def: $vgpr13
	s_delay_alu instid0(VALU_DEP_1)
	v_cmpx_nlt_f32_e64 |v11|, 1.0
	s_xor_b32 s21, exec_lo, s21
	s_cbranch_execz .LBB244_14
; %bb.13:                               ;   in Loop: Header=BB244_4 Depth=1
	v_fma_f32 v13, |v11|, s19, 0xb9c68948
	s_delay_alu instid0(VALU_DEP_1) | instskip(NEXT) | instid1(VALU_DEP_1)
	v_fma_f32 v13, |v11|, v13, 0x3b7cd369
	v_fma_f32 v13, |v11|, v13, 0xbcc618b2
	s_delay_alu instid0(VALU_DEP_1) | instskip(NEXT) | instid1(VALU_DEP_1)
	v_fma_f32 v13, |v11|, v13, 0x3dda74e4
	;; [unrolled: 3-line block ×3, first 2 shown]
	v_fma_f32 v13, |v11|, v13, |v11|
	s_delay_alu instid0(VALU_DEP_1) | instskip(SKIP_1) | instid1(VALU_DEP_2)
	v_mul_f32_e32 v15, 0xbfb8aa3b, v13
	v_cmp_nlt_f32_e64 s5, 0x42ce8ed0, v13
	v_fma_f32 v17, 0xbfb8aa3b, v13, -v15
	v_rndne_f32_e32 v18, v15
	s_delay_alu instid0(VALU_DEP_2) | instskip(NEXT) | instid1(VALU_DEP_2)
	v_fmac_f32_e32 v17, 0xb2a5705f, v13
	v_sub_f32_e32 v15, v15, v18
	s_delay_alu instid0(VALU_DEP_1) | instskip(SKIP_1) | instid1(VALU_DEP_2)
	v_add_f32_e32 v15, v15, v17
	v_cvt_i32_f32_e32 v17, v18
	v_exp_f32_e32 v15, v15
	s_waitcnt_depctr 0xfff
	v_ldexp_f32 v15, v15, v17
	s_delay_alu instid0(VALU_DEP_1) | instskip(SKIP_1) | instid1(VALU_DEP_1)
	v_cndmask_b32_e64 v15, 0, v15, s5
	v_cmp_ngt_f32_e64 s5, 0xc2b17218, v13
	v_cndmask_b32_e64 v13, 0x7f800000, v15, s5
	s_delay_alu instid0(VALU_DEP_1)
	v_sub_f32_e32 v13, 1.0, v13
.LBB244_14:                             ;   in Loop: Header=BB244_4 Depth=1
	s_and_not1_saveexec_b32 s5, s21
; %bb.15:                               ;   in Loop: Header=BB244_4 Depth=1
	v_mul_f32_e32 v13, v11, v11
	s_delay_alu instid0(VALU_DEP_1) | instskip(NEXT) | instid1(VALU_DEP_1)
	v_fmaak_f32 v15, s20, v13, 0x3ba10414
	v_fmaak_f32 v15, v13, v15, 0xbcdac9b8
	s_delay_alu instid0(VALU_DEP_1) | instskip(NEXT) | instid1(VALU_DEP_1)
	v_fmaak_f32 v15, v13, v15, 0x3de703be
	v_fmaak_f32 v15, v13, v15, 0xbec09330
	s_delay_alu instid0(VALU_DEP_1) | instskip(NEXT) | instid1(VALU_DEP_1)
	v_fmaak_f32 v13, v13, v15, 0x3e0375d0
	v_fma_f32 v13, |v11|, v13, |v11|
; %bb.16:                               ;   in Loop: Header=BB244_4 Depth=1
	s_or_b32 exec_lo, exec_lo, s5
	v_cvt_f32_f16_e32 v14, v14
	s_mov_b32 s21, exec_lo
                                        ; implicit-def: $vgpr15
	s_delay_alu instid0(VALU_DEP_1)
	v_cmpx_nlt_f32_e64 |v14|, 1.0
	s_xor_b32 s21, exec_lo, s21
	s_cbranch_execz .LBB244_18
; %bb.17:                               ;   in Loop: Header=BB244_4 Depth=1
	v_fma_f32 v15, |v14|, s19, 0xb9c68948
	s_delay_alu instid0(VALU_DEP_1) | instskip(NEXT) | instid1(VALU_DEP_1)
	v_fma_f32 v15, |v14|, v15, 0x3b7cd369
	v_fma_f32 v15, |v14|, v15, 0xbcc618b2
	s_delay_alu instid0(VALU_DEP_1) | instskip(NEXT) | instid1(VALU_DEP_1)
	v_fma_f32 v15, |v14|, v15, 0x3dda74e4
	v_fma_f32 v15, |v14|, v15, 0x3f228afd
	s_delay_alu instid0(VALU_DEP_1) | instskip(NEXT) | instid1(VALU_DEP_1)
	v_fma_f32 v15, |v14|, v15, 0x3e03c728
	v_fma_f32 v15, |v14|, v15, |v14|
	s_delay_alu instid0(VALU_DEP_1) | instskip(SKIP_1) | instid1(VALU_DEP_2)
	v_mul_f32_e32 v17, 0xbfb8aa3b, v15
	v_cmp_nlt_f32_e64 s5, 0x42ce8ed0, v15
	v_fma_f32 v18, 0xbfb8aa3b, v15, -v17
	v_rndne_f32_e32 v19, v17
	s_delay_alu instid0(VALU_DEP_2) | instskip(NEXT) | instid1(VALU_DEP_2)
	v_fmac_f32_e32 v18, 0xb2a5705f, v15
	v_sub_f32_e32 v17, v17, v19
	s_delay_alu instid0(VALU_DEP_1) | instskip(SKIP_1) | instid1(VALU_DEP_2)
	v_add_f32_e32 v17, v17, v18
	v_cvt_i32_f32_e32 v18, v19
	v_exp_f32_e32 v17, v17
	s_waitcnt_depctr 0xfff
	v_ldexp_f32 v17, v17, v18
	s_delay_alu instid0(VALU_DEP_1) | instskip(SKIP_1) | instid1(VALU_DEP_1)
	v_cndmask_b32_e64 v17, 0, v17, s5
	v_cmp_ngt_f32_e64 s5, 0xc2b17218, v15
	v_cndmask_b32_e64 v15, 0x7f800000, v17, s5
	s_delay_alu instid0(VALU_DEP_1)
	v_sub_f32_e32 v15, 1.0, v15
.LBB244_18:                             ;   in Loop: Header=BB244_4 Depth=1
	s_and_not1_saveexec_b32 s5, s21
; %bb.19:                               ;   in Loop: Header=BB244_4 Depth=1
	v_mul_f32_e32 v15, v14, v14
	s_delay_alu instid0(VALU_DEP_1) | instskip(NEXT) | instid1(VALU_DEP_1)
	v_fmaak_f32 v17, s20, v15, 0x3ba10414
	v_fmaak_f32 v17, v15, v17, 0xbcdac9b8
	s_delay_alu instid0(VALU_DEP_1) | instskip(NEXT) | instid1(VALU_DEP_1)
	v_fmaak_f32 v17, v15, v17, 0x3de703be
	v_fmaak_f32 v17, v15, v17, 0xbec09330
	s_delay_alu instid0(VALU_DEP_1) | instskip(NEXT) | instid1(VALU_DEP_1)
	v_fmaak_f32 v15, v15, v17, 0x3e0375d0
	v_fma_f32 v15, |v14|, v15, |v14|
; %bb.20:                               ;   in Loop: Header=BB244_4 Depth=1
	s_or_b32 exec_lo, exec_lo, s5
	v_cvt_f32_f16_e32 v16, v16
	s_mov_b32 s21, exec_lo
                                        ; implicit-def: $vgpr17
	s_delay_alu instid0(VALU_DEP_1)
	v_cmpx_nlt_f32_e64 |v16|, 1.0
	s_xor_b32 s21, exec_lo, s21
	s_cbranch_execz .LBB244_22
; %bb.21:                               ;   in Loop: Header=BB244_4 Depth=1
	v_fma_f32 v17, |v16|, s19, 0xb9c68948
	s_delay_alu instid0(VALU_DEP_1) | instskip(NEXT) | instid1(VALU_DEP_1)
	v_fma_f32 v17, |v16|, v17, 0x3b7cd369
	v_fma_f32 v17, |v16|, v17, 0xbcc618b2
	s_delay_alu instid0(VALU_DEP_1) | instskip(NEXT) | instid1(VALU_DEP_1)
	v_fma_f32 v17, |v16|, v17, 0x3dda74e4
	;; [unrolled: 3-line block ×3, first 2 shown]
	v_fma_f32 v17, |v16|, v17, |v16|
	s_delay_alu instid0(VALU_DEP_1) | instskip(SKIP_1) | instid1(VALU_DEP_2)
	v_mul_f32_e32 v18, 0xbfb8aa3b, v17
	v_cmp_nlt_f32_e64 s5, 0x42ce8ed0, v17
	v_fma_f32 v19, 0xbfb8aa3b, v17, -v18
	v_rndne_f32_e32 v20, v18
	s_delay_alu instid0(VALU_DEP_1) | instskip(NEXT) | instid1(VALU_DEP_1)
	v_dual_fmac_f32 v19, 0xb2a5705f, v17 :: v_dual_sub_f32 v18, v18, v20
	v_add_f32_e32 v18, v18, v19
	v_cvt_i32_f32_e32 v19, v20
	s_delay_alu instid0(VALU_DEP_2) | instskip(SKIP_2) | instid1(VALU_DEP_1)
	v_exp_f32_e32 v18, v18
	s_waitcnt_depctr 0xfff
	v_ldexp_f32 v18, v18, v19
	v_cndmask_b32_e64 v18, 0, v18, s5
	v_cmp_ngt_f32_e64 s5, 0xc2b17218, v17
	s_delay_alu instid0(VALU_DEP_1) | instskip(NEXT) | instid1(VALU_DEP_1)
	v_cndmask_b32_e64 v17, 0x7f800000, v18, s5
	v_sub_f32_e32 v17, 1.0, v17
.LBB244_22:                             ;   in Loop: Header=BB244_4 Depth=1
	s_and_not1_saveexec_b32 s5, s21
; %bb.23:                               ;   in Loop: Header=BB244_4 Depth=1
	v_mul_f32_e32 v17, v16, v16
	s_delay_alu instid0(VALU_DEP_1) | instskip(NEXT) | instid1(VALU_DEP_1)
	v_fmaak_f32 v18, s20, v17, 0x3ba10414
	v_fmaak_f32 v18, v17, v18, 0xbcdac9b8
	s_delay_alu instid0(VALU_DEP_1) | instskip(NEXT) | instid1(VALU_DEP_1)
	v_fmaak_f32 v18, v17, v18, 0x3de703be
	v_fmaak_f32 v18, v17, v18, 0xbec09330
	s_delay_alu instid0(VALU_DEP_1) | instskip(NEXT) | instid1(VALU_DEP_1)
	v_fmaak_f32 v17, v17, v18, 0x3e0375d0
	v_fma_f32 v17, |v16|, v17, |v16|
; %bb.24:                               ;   in Loop: Header=BB244_4 Depth=1
	s_or_b32 exec_lo, exec_lo, s5
	v_cvt_f32_f16_e32 v12, v12
	s_mov_b32 s21, exec_lo
                                        ; implicit-def: $vgpr18
	s_delay_alu instid0(VALU_DEP_1)
	v_cmpx_nlt_f32_e64 |v12|, 1.0
	s_xor_b32 s21, exec_lo, s21
	s_cbranch_execnz .LBB244_30
; %bb.25:                               ;   in Loop: Header=BB244_4 Depth=1
	s_and_not1_saveexec_b32 s5, s21
	s_cbranch_execnz .LBB244_31
.LBB244_26:                             ;   in Loop: Header=BB244_4 Depth=1
	s_or_b32 exec_lo, exec_lo, s5
	s_and_saveexec_b32 s5, vcc_lo
	s_delay_alu instid0(SALU_CYCLE_1)
	s_xor_b32 s5, exec_lo, s5
	s_cbranch_execnz .LBB244_32
.LBB244_27:                             ;   in Loop: Header=BB244_4 Depth=1
	s_or_b32 exec_lo, exec_lo, s5
	s_and_saveexec_b32 s5, s2
	s_cbranch_execnz .LBB244_33
.LBB244_28:                             ;   in Loop: Header=BB244_4 Depth=1
	s_or_b32 exec_lo, exec_lo, s5
	s_and_saveexec_b32 s2, s3
	s_cbranch_execnz .LBB244_34
.LBB244_29:                             ;   in Loop: Header=BB244_4 Depth=1
	s_or_b32 exec_lo, exec_lo, s2
	s_and_saveexec_b32 s2, s4
	s_cbranch_execz .LBB244_3
	s_branch .LBB244_35
.LBB244_30:                             ;   in Loop: Header=BB244_4 Depth=1
	v_fma_f32 v18, |v12|, s19, 0xb9c68948
	s_delay_alu instid0(VALU_DEP_1) | instskip(NEXT) | instid1(VALU_DEP_1)
	v_fma_f32 v18, |v12|, v18, 0x3b7cd369
	v_fma_f32 v18, |v12|, v18, 0xbcc618b2
	s_delay_alu instid0(VALU_DEP_1) | instskip(NEXT) | instid1(VALU_DEP_1)
	v_fma_f32 v18, |v12|, v18, 0x3dda74e4
	;; [unrolled: 3-line block ×3, first 2 shown]
	v_fma_f32 v18, |v12|, v18, |v12|
	s_delay_alu instid0(VALU_DEP_1) | instskip(SKIP_1) | instid1(VALU_DEP_2)
	v_mul_f32_e32 v19, 0xbfb8aa3b, v18
	v_cmp_nlt_f32_e64 s5, 0x42ce8ed0, v18
	v_fma_f32 v20, 0xbfb8aa3b, v18, -v19
	v_rndne_f32_e32 v21, v19
	s_delay_alu instid0(VALU_DEP_1) | instskip(NEXT) | instid1(VALU_DEP_1)
	v_dual_fmac_f32 v20, 0xb2a5705f, v18 :: v_dual_sub_f32 v19, v19, v21
	v_add_f32_e32 v19, v19, v20
	v_cvt_i32_f32_e32 v20, v21
	s_delay_alu instid0(VALU_DEP_2) | instskip(SKIP_2) | instid1(VALU_DEP_1)
	v_exp_f32_e32 v19, v19
	s_waitcnt_depctr 0xfff
	v_ldexp_f32 v19, v19, v20
	v_cndmask_b32_e64 v19, 0, v19, s5
	v_cmp_ngt_f32_e64 s5, 0xc2b17218, v18
	s_delay_alu instid0(VALU_DEP_1) | instskip(NEXT) | instid1(VALU_DEP_1)
	v_cndmask_b32_e64 v18, 0x7f800000, v19, s5
	v_sub_f32_e32 v18, 1.0, v18
	s_and_not1_saveexec_b32 s5, s21
	s_cbranch_execz .LBB244_26
.LBB244_31:                             ;   in Loop: Header=BB244_4 Depth=1
	v_mul_f32_e32 v18, v12, v12
	s_delay_alu instid0(VALU_DEP_1) | instskip(NEXT) | instid1(VALU_DEP_1)
	v_fmaak_f32 v19, s20, v18, 0x3ba10414
	v_fmaak_f32 v19, v18, v19, 0xbcdac9b8
	s_delay_alu instid0(VALU_DEP_1) | instskip(NEXT) | instid1(VALU_DEP_1)
	v_fmaak_f32 v19, v18, v19, 0x3de703be
	v_fmaak_f32 v19, v18, v19, 0xbec09330
	s_delay_alu instid0(VALU_DEP_1) | instskip(NEXT) | instid1(VALU_DEP_1)
	v_fmaak_f32 v18, v18, v19, 0x3e0375d0
	v_fma_f32 v18, |v12|, v18, |v12|
	s_or_b32 exec_lo, exec_lo, s5
	s_and_saveexec_b32 s5, vcc_lo
	s_delay_alu instid0(SALU_CYCLE_1)
	s_xor_b32 s5, exec_lo, s5
	s_cbranch_execz .LBB244_27
.LBB244_32:                             ;   in Loop: Header=BB244_4 Depth=1
	v_cvt_f16_f32_e32 v13, v13
	v_lshrrev_b32_e32 v11, 16, v11
	s_delay_alu instid0(VALU_DEP_1)
	v_bfi_b32 v11, 0x7fff, v13, v11
	global_store_b16 v[1:2], v11, off
	s_or_b32 exec_lo, exec_lo, s5
	s_and_saveexec_b32 s5, s2
	s_cbranch_execz .LBB244_28
.LBB244_33:                             ;   in Loop: Header=BB244_4 Depth=1
	v_cvt_f16_f32_e32 v11, v15
	v_lshrrev_b32_e32 v13, 16, v14
	s_delay_alu instid0(VALU_DEP_1)
	v_bfi_b32 v11, 0x7fff, v11, v13
	global_store_b16 v[3:4], v11, off
	s_or_b32 exec_lo, exec_lo, s5
	s_and_saveexec_b32 s2, s3
	s_cbranch_execz .LBB244_29
.LBB244_34:                             ;   in Loop: Header=BB244_4 Depth=1
	v_cvt_f16_f32_e32 v11, v17
	v_lshrrev_b32_e32 v13, 16, v16
	s_delay_alu instid0(VALU_DEP_1)
	v_bfi_b32 v11, 0x7fff, v11, v13
	v_add_co_u32 v13, vcc_lo, v1, s16
	v_add_co_ci_u32_e32 v14, vcc_lo, 0, v2, vcc_lo
	global_store_b16 v[13:14], v11, off
	s_or_b32 exec_lo, exec_lo, s2
	s_and_saveexec_b32 s2, s4
	s_cbranch_execz .LBB244_3
.LBB244_35:                             ;   in Loop: Header=BB244_4 Depth=1
	v_cvt_f16_f32_e32 v11, v18
	v_lshrrev_b32_e32 v12, 16, v12
	s_delay_alu instid0(VALU_DEP_1)
	v_bfi_b32 v13, 0x7fff, v11, v12
	v_add_co_u32 v11, vcc_lo, v1, s17
	v_add_co_ci_u32_e32 v12, vcc_lo, 0, v2, vcc_lo
	global_store_b16 v[11:12], v13, off
	s_branch .LBB244_3
.LBB244_36:
	s_cbranch_execz .LBB244_38
	s_branch .LBB244_57
.LBB244_37:
.LBB244_38:
	v_dual_mov_b32 v2, 0 :: v_dual_lshlrev_b32 v1, 2, v0
	s_mov_b32 s2, 0
	s_mov_b32 s3, exec_lo
	s_delay_alu instid0(VALU_DEP_1)
	v_cmpx_gt_i64_e64 s[6:7], v[1:2]
	s_cbranch_execz .LBB244_57
; %bb.39:
	s_load_b32 s0, s[0:1], 0xd3c
	v_lshlrev_b32_e32 v1, 3, v0
	s_mov_b32 s5, 0xba1345e1
	s_waitcnt lgkmcnt(0)
	s_and_b32 s0, s0, 0xffff
	s_delay_alu instid0(SALU_CYCLE_1) | instskip(SKIP_3) | instid1(VALU_DEP_1)
	s_lshl_b32 s1, s0, 2
	s_add_u32 s3, s8, s10
	s_addc_u32 s4, s9, s11
	v_add_co_u32 v3, s3, s3, v1
	v_add_co_ci_u32_e64 v4, null, s4, 0, s3
	v_add_lshl_u32 v1, v0, s0, 2
	s_delay_alu instid0(VALU_DEP_3) | instskip(NEXT) | instid1(VALU_DEP_3)
	v_add_co_u32 v3, vcc_lo, v3, 4
	v_add_co_ci_u32_e32 v4, vcc_lo, 0, v4, vcc_lo
	s_lshl_b32 s3, s0, 3
	s_mov_b32 s4, 0x378e98ab
	s_branch .LBB244_41
.LBB244_40:                             ;   in Loop: Header=BB244_41 Depth=1
	s_or_b32 exec_lo, exec_lo, s0
	v_cvt_f16_f32_e32 v10, v10
	v_lshrrev_b32_e32 v9, 16, v9
	v_cvt_f16_f32_e32 v8, v8
	v_lshrrev_b32_e32 v5, 16, v5
	v_cvt_f16_f32_e32 v7, v7
	v_cvt_f16_f32_e32 v11, v11
	v_lshrrev_b32_e32 v6, 16, v6
	v_lshrrev_b32_e32 v0, 16, v0
	v_bfi_b32 v9, 0x7fff, v10, v9
	v_bfi_b32 v5, 0x7fff, v8, v5
	v_cmp_le_i64_e32 vcc_lo, s[6:7], v[1:2]
	v_bfi_b32 v6, 0x7fff, v11, v6
	v_bfi_b32 v0, 0x7fff, v7, v0
	v_cmp_lt_u64_e64 s0, 0xffff, v[1:2]
	s_delay_alu instid0(VALU_DEP_3) | instskip(NEXT) | instid1(VALU_DEP_3)
	v_pack_b32_f16 v6, v9, v6
	v_pack_b32_f16 v5, v0, v5
	s_delay_alu instid0(VALU_DEP_3)
	s_or_b32 s0, vcc_lo, s0
	v_add_co_u32 v1, vcc_lo, v1, s1
	v_add_co_ci_u32_e32 v2, vcc_lo, 0, v2, vcc_lo
	global_store_b64 v[3:4], v[5:6], off offset:-4
	v_add_co_u32 v3, vcc_lo, v3, s3
	v_add_co_ci_u32_e32 v4, vcc_lo, 0, v4, vcc_lo
	s_and_b32 s0, exec_lo, s0
	s_delay_alu instid0(SALU_CYCLE_1) | instskip(NEXT) | instid1(SALU_CYCLE_1)
	s_or_b32 s2, s0, s2
	s_and_not1_b32 exec_lo, exec_lo, s2
	s_cbranch_execz .LBB244_57
.LBB244_41:                             ; =>This Inner Loop Header: Depth=1
	global_load_b64 v[5:6], v[3:4], off offset:-4
                                        ; implicit-def: $vgpr7
	s_waitcnt vmcnt(0)
	v_cvt_f32_f16_e32 v0, v5
	s_delay_alu instid0(VALU_DEP_1) | instskip(NEXT) | instid1(VALU_DEP_1)
	v_cmp_nlt_f32_e64 s0, |v0|, 1.0
	s_and_saveexec_b32 s8, s0
	s_delay_alu instid0(SALU_CYCLE_1)
	s_xor_b32 s0, exec_lo, s8
	s_cbranch_execz .LBB244_43
; %bb.42:                               ;   in Loop: Header=BB244_41 Depth=1
	v_fma_f32 v7, |v0|, s4, 0xb9c68948
	s_delay_alu instid0(VALU_DEP_1) | instskip(NEXT) | instid1(VALU_DEP_1)
	v_fma_f32 v7, |v0|, v7, 0x3b7cd369
	v_fma_f32 v7, |v0|, v7, 0xbcc618b2
	s_delay_alu instid0(VALU_DEP_1) | instskip(NEXT) | instid1(VALU_DEP_1)
	v_fma_f32 v7, |v0|, v7, 0x3dda74e4
	;; [unrolled: 3-line block ×3, first 2 shown]
	v_fma_f32 v7, |v0|, v7, |v0|
	s_delay_alu instid0(VALU_DEP_1) | instskip(SKIP_1) | instid1(VALU_DEP_2)
	v_mul_f32_e32 v8, 0xbfb8aa3b, v7
	v_cmp_nlt_f32_e32 vcc_lo, 0x42ce8ed0, v7
	v_fma_f32 v9, 0xbfb8aa3b, v7, -v8
	v_rndne_f32_e32 v10, v8
	s_delay_alu instid0(VALU_DEP_1) | instskip(NEXT) | instid1(VALU_DEP_1)
	v_dual_fmac_f32 v9, 0xb2a5705f, v7 :: v_dual_sub_f32 v8, v8, v10
	v_add_f32_e32 v8, v8, v9
	v_cvt_i32_f32_e32 v9, v10
	s_delay_alu instid0(VALU_DEP_2) | instskip(SKIP_2) | instid1(VALU_DEP_1)
	v_exp_f32_e32 v8, v8
	s_waitcnt_depctr 0xfff
	v_ldexp_f32 v8, v8, v9
	v_cndmask_b32_e32 v8, 0, v8, vcc_lo
	v_cmp_ngt_f32_e32 vcc_lo, 0xc2b17218, v7
	s_delay_alu instid0(VALU_DEP_2) | instskip(NEXT) | instid1(VALU_DEP_1)
	v_cndmask_b32_e32 v7, 0x7f800000, v8, vcc_lo
	v_sub_f32_e32 v7, 1.0, v7
.LBB244_43:                             ;   in Loop: Header=BB244_41 Depth=1
	s_and_not1_saveexec_b32 s0, s0
; %bb.44:                               ;   in Loop: Header=BB244_41 Depth=1
	v_mul_f32_e32 v7, v0, v0
	s_delay_alu instid0(VALU_DEP_1) | instskip(NEXT) | instid1(VALU_DEP_1)
	v_fmaak_f32 v8, s5, v7, 0x3ba10414
	v_fmaak_f32 v8, v7, v8, 0xbcdac9b8
	s_delay_alu instid0(VALU_DEP_1) | instskip(NEXT) | instid1(VALU_DEP_1)
	v_fmaak_f32 v8, v7, v8, 0x3de703be
	v_fmaak_f32 v8, v7, v8, 0xbec09330
	s_delay_alu instid0(VALU_DEP_1) | instskip(NEXT) | instid1(VALU_DEP_1)
	v_fmaak_f32 v7, v7, v8, 0x3e0375d0
	v_fma_f32 v7, |v0|, v7, |v0|
; %bb.45:                               ;   in Loop: Header=BB244_41 Depth=1
	s_or_b32 exec_lo, exec_lo, s0
	v_lshrrev_b32_e32 v5, 16, v5
                                        ; implicit-def: $vgpr8
	s_delay_alu instid0(VALU_DEP_1) | instskip(NEXT) | instid1(VALU_DEP_1)
	v_cvt_f32_f16_e32 v5, v5
	v_cmp_nlt_f32_e64 s0, |v5|, 1.0
	s_delay_alu instid0(VALU_DEP_1) | instskip(NEXT) | instid1(SALU_CYCLE_1)
	s_and_saveexec_b32 s8, s0
	s_xor_b32 s0, exec_lo, s8
	s_cbranch_execz .LBB244_47
; %bb.46:                               ;   in Loop: Header=BB244_41 Depth=1
	v_fma_f32 v8, |v5|, s4, 0xb9c68948
	s_delay_alu instid0(VALU_DEP_1) | instskip(NEXT) | instid1(VALU_DEP_1)
	v_fma_f32 v8, |v5|, v8, 0x3b7cd369
	v_fma_f32 v8, |v5|, v8, 0xbcc618b2
	s_delay_alu instid0(VALU_DEP_1) | instskip(NEXT) | instid1(VALU_DEP_1)
	v_fma_f32 v8, |v5|, v8, 0x3dda74e4
	;; [unrolled: 3-line block ×3, first 2 shown]
	v_fma_f32 v8, |v5|, v8, |v5|
	s_delay_alu instid0(VALU_DEP_1) | instskip(SKIP_1) | instid1(VALU_DEP_2)
	v_mul_f32_e32 v9, 0xbfb8aa3b, v8
	v_cmp_nlt_f32_e32 vcc_lo, 0x42ce8ed0, v8
	v_fma_f32 v10, 0xbfb8aa3b, v8, -v9
	v_rndne_f32_e32 v11, v9
	s_delay_alu instid0(VALU_DEP_1) | instskip(NEXT) | instid1(VALU_DEP_1)
	v_dual_fmac_f32 v10, 0xb2a5705f, v8 :: v_dual_sub_f32 v9, v9, v11
	v_add_f32_e32 v9, v9, v10
	v_cvt_i32_f32_e32 v10, v11
	s_delay_alu instid0(VALU_DEP_2) | instskip(SKIP_2) | instid1(VALU_DEP_1)
	v_exp_f32_e32 v9, v9
	s_waitcnt_depctr 0xfff
	v_ldexp_f32 v9, v9, v10
	v_cndmask_b32_e32 v9, 0, v9, vcc_lo
	v_cmp_ngt_f32_e32 vcc_lo, 0xc2b17218, v8
	s_delay_alu instid0(VALU_DEP_2) | instskip(NEXT) | instid1(VALU_DEP_1)
	v_cndmask_b32_e32 v8, 0x7f800000, v9, vcc_lo
	v_sub_f32_e32 v8, 1.0, v8
.LBB244_47:                             ;   in Loop: Header=BB244_41 Depth=1
	s_and_not1_saveexec_b32 s0, s0
; %bb.48:                               ;   in Loop: Header=BB244_41 Depth=1
	v_mul_f32_e32 v8, v5, v5
	s_delay_alu instid0(VALU_DEP_1) | instskip(NEXT) | instid1(VALU_DEP_1)
	v_fmaak_f32 v9, s5, v8, 0x3ba10414
	v_fmaak_f32 v9, v8, v9, 0xbcdac9b8
	s_delay_alu instid0(VALU_DEP_1) | instskip(NEXT) | instid1(VALU_DEP_1)
	v_fmaak_f32 v9, v8, v9, 0x3de703be
	v_fmaak_f32 v9, v8, v9, 0xbec09330
	s_delay_alu instid0(VALU_DEP_1) | instskip(NEXT) | instid1(VALU_DEP_1)
	v_fmaak_f32 v8, v8, v9, 0x3e0375d0
	v_fma_f32 v8, |v5|, v8, |v5|
; %bb.49:                               ;   in Loop: Header=BB244_41 Depth=1
	s_or_b32 exec_lo, exec_lo, s0
	v_cvt_f32_f16_e32 v9, v6
                                        ; implicit-def: $vgpr10
	s_delay_alu instid0(VALU_DEP_1) | instskip(NEXT) | instid1(VALU_DEP_1)
	v_cmp_nlt_f32_e64 s0, |v9|, 1.0
	s_and_saveexec_b32 s8, s0
	s_delay_alu instid0(SALU_CYCLE_1)
	s_xor_b32 s0, exec_lo, s8
	s_cbranch_execz .LBB244_51
; %bb.50:                               ;   in Loop: Header=BB244_41 Depth=1
	v_fma_f32 v10, |v9|, s4, 0xb9c68948
	s_delay_alu instid0(VALU_DEP_1) | instskip(NEXT) | instid1(VALU_DEP_1)
	v_fma_f32 v10, |v9|, v10, 0x3b7cd369
	v_fma_f32 v10, |v9|, v10, 0xbcc618b2
	s_delay_alu instid0(VALU_DEP_1) | instskip(NEXT) | instid1(VALU_DEP_1)
	v_fma_f32 v10, |v9|, v10, 0x3dda74e4
	;; [unrolled: 3-line block ×3, first 2 shown]
	v_fma_f32 v10, |v9|, v10, |v9|
	s_delay_alu instid0(VALU_DEP_1) | instskip(SKIP_1) | instid1(VALU_DEP_2)
	v_mul_f32_e32 v11, 0xbfb8aa3b, v10
	v_cmp_nlt_f32_e32 vcc_lo, 0x42ce8ed0, v10
	v_fma_f32 v12, 0xbfb8aa3b, v10, -v11
	v_rndne_f32_e32 v13, v11
	s_delay_alu instid0(VALU_DEP_1) | instskip(NEXT) | instid1(VALU_DEP_1)
	v_dual_fmac_f32 v12, 0xb2a5705f, v10 :: v_dual_sub_f32 v11, v11, v13
	v_add_f32_e32 v11, v11, v12
	v_cvt_i32_f32_e32 v12, v13
	s_delay_alu instid0(VALU_DEP_2) | instskip(SKIP_2) | instid1(VALU_DEP_1)
	v_exp_f32_e32 v11, v11
	s_waitcnt_depctr 0xfff
	v_ldexp_f32 v11, v11, v12
	v_cndmask_b32_e32 v11, 0, v11, vcc_lo
	v_cmp_ngt_f32_e32 vcc_lo, 0xc2b17218, v10
	s_delay_alu instid0(VALU_DEP_2) | instskip(NEXT) | instid1(VALU_DEP_1)
	v_cndmask_b32_e32 v10, 0x7f800000, v11, vcc_lo
	v_sub_f32_e32 v10, 1.0, v10
.LBB244_51:                             ;   in Loop: Header=BB244_41 Depth=1
	s_and_not1_saveexec_b32 s0, s0
; %bb.52:                               ;   in Loop: Header=BB244_41 Depth=1
	v_mul_f32_e32 v10, v9, v9
	s_delay_alu instid0(VALU_DEP_1) | instskip(NEXT) | instid1(VALU_DEP_1)
	v_fmaak_f32 v11, s5, v10, 0x3ba10414
	v_fmaak_f32 v11, v10, v11, 0xbcdac9b8
	s_delay_alu instid0(VALU_DEP_1) | instskip(NEXT) | instid1(VALU_DEP_1)
	v_fmaak_f32 v11, v10, v11, 0x3de703be
	v_fmaak_f32 v11, v10, v11, 0xbec09330
	s_delay_alu instid0(VALU_DEP_1) | instskip(NEXT) | instid1(VALU_DEP_1)
	v_fmaak_f32 v10, v10, v11, 0x3e0375d0
	v_fma_f32 v10, |v9|, v10, |v9|
; %bb.53:                               ;   in Loop: Header=BB244_41 Depth=1
	s_or_b32 exec_lo, exec_lo, s0
	v_lshrrev_b32_e32 v6, 16, v6
                                        ; implicit-def: $vgpr11
	s_delay_alu instid0(VALU_DEP_1) | instskip(NEXT) | instid1(VALU_DEP_1)
	v_cvt_f32_f16_e32 v6, v6
	v_cmp_nlt_f32_e64 s0, |v6|, 1.0
	s_delay_alu instid0(VALU_DEP_1) | instskip(NEXT) | instid1(SALU_CYCLE_1)
	s_and_saveexec_b32 s8, s0
	s_xor_b32 s0, exec_lo, s8
	s_cbranch_execz .LBB244_55
; %bb.54:                               ;   in Loop: Header=BB244_41 Depth=1
	v_fma_f32 v11, |v6|, s4, 0xb9c68948
	s_delay_alu instid0(VALU_DEP_1) | instskip(NEXT) | instid1(VALU_DEP_1)
	v_fma_f32 v11, |v6|, v11, 0x3b7cd369
	v_fma_f32 v11, |v6|, v11, 0xbcc618b2
	s_delay_alu instid0(VALU_DEP_1) | instskip(NEXT) | instid1(VALU_DEP_1)
	v_fma_f32 v11, |v6|, v11, 0x3dda74e4
	;; [unrolled: 3-line block ×3, first 2 shown]
	v_fma_f32 v11, |v6|, v11, |v6|
	s_delay_alu instid0(VALU_DEP_1) | instskip(SKIP_1) | instid1(VALU_DEP_2)
	v_mul_f32_e32 v12, 0xbfb8aa3b, v11
	v_cmp_nlt_f32_e32 vcc_lo, 0x42ce8ed0, v11
	v_fma_f32 v13, 0xbfb8aa3b, v11, -v12
	v_rndne_f32_e32 v14, v12
	s_delay_alu instid0(VALU_DEP_1) | instskip(NEXT) | instid1(VALU_DEP_1)
	v_dual_fmac_f32 v13, 0xb2a5705f, v11 :: v_dual_sub_f32 v12, v12, v14
	v_add_f32_e32 v12, v12, v13
	v_cvt_i32_f32_e32 v13, v14
	s_delay_alu instid0(VALU_DEP_2) | instskip(SKIP_2) | instid1(VALU_DEP_1)
	v_exp_f32_e32 v12, v12
	s_waitcnt_depctr 0xfff
	v_ldexp_f32 v12, v12, v13
	v_cndmask_b32_e32 v12, 0, v12, vcc_lo
	v_cmp_ngt_f32_e32 vcc_lo, 0xc2b17218, v11
	s_delay_alu instid0(VALU_DEP_2) | instskip(NEXT) | instid1(VALU_DEP_1)
	v_cndmask_b32_e32 v11, 0x7f800000, v12, vcc_lo
	v_sub_f32_e32 v11, 1.0, v11
.LBB244_55:                             ;   in Loop: Header=BB244_41 Depth=1
	s_and_not1_saveexec_b32 s0, s0
	s_cbranch_execz .LBB244_40
; %bb.56:                               ;   in Loop: Header=BB244_41 Depth=1
	v_mul_f32_e32 v11, v6, v6
	s_delay_alu instid0(VALU_DEP_1) | instskip(NEXT) | instid1(VALU_DEP_1)
	v_fmaak_f32 v12, s5, v11, 0x3ba10414
	v_fmaak_f32 v12, v11, v12, 0xbcdac9b8
	s_delay_alu instid0(VALU_DEP_1) | instskip(NEXT) | instid1(VALU_DEP_1)
	v_fmaak_f32 v12, v11, v12, 0x3de703be
	v_fmaak_f32 v12, v11, v12, 0xbec09330
	s_delay_alu instid0(VALU_DEP_1) | instskip(NEXT) | instid1(VALU_DEP_1)
	v_fmaak_f32 v11, v11, v12, 0x3e0375d0
	v_fma_f32 v11, |v6|, v11, |v6|
	s_branch .LBB244_40
.LBB244_57:
	s_nop 0
	s_sendmsg sendmsg(MSG_DEALLOC_VGPRS)
	s_endpgm
	.section	.rodata,"a",@progbits
	.p2align	6, 0x0
	.amdhsa_kernel _ZN2at6native12_GLOBAL__N_125multi_tensor_apply_kernelINS1_18TensorListMetadataILi1EEENS1_14UnaryOpFunctorIN3c104HalfELi1ELi1ELi0EEEJNS0_3ErfIfEEEEEvT_T0_DpT1_
		.amdhsa_group_segment_fixed_size 0
		.amdhsa_private_segment_fixed_size 0
		.amdhsa_kernarg_size 3632
		.amdhsa_user_sgpr_count 15
		.amdhsa_user_sgpr_dispatch_ptr 0
		.amdhsa_user_sgpr_queue_ptr 0
		.amdhsa_user_sgpr_kernarg_segment_ptr 1
		.amdhsa_user_sgpr_dispatch_id 0
		.amdhsa_user_sgpr_private_segment_size 0
		.amdhsa_wavefront_size32 1
		.amdhsa_uses_dynamic_stack 0
		.amdhsa_enable_private_segment 0
		.amdhsa_system_sgpr_workgroup_id_x 1
		.amdhsa_system_sgpr_workgroup_id_y 0
		.amdhsa_system_sgpr_workgroup_id_z 0
		.amdhsa_system_sgpr_workgroup_info 0
		.amdhsa_system_vgpr_workitem_id 0
		.amdhsa_next_free_vgpr 22
		.amdhsa_next_free_sgpr 22
		.amdhsa_reserve_vcc 1
		.amdhsa_float_round_mode_32 0
		.amdhsa_float_round_mode_16_64 0
		.amdhsa_float_denorm_mode_32 3
		.amdhsa_float_denorm_mode_16_64 3
		.amdhsa_dx10_clamp 1
		.amdhsa_ieee_mode 1
		.amdhsa_fp16_overflow 0
		.amdhsa_workgroup_processor_mode 1
		.amdhsa_memory_ordered 1
		.amdhsa_forward_progress 0
		.amdhsa_shared_vgpr_count 0
		.amdhsa_exception_fp_ieee_invalid_op 0
		.amdhsa_exception_fp_denorm_src 0
		.amdhsa_exception_fp_ieee_div_zero 0
		.amdhsa_exception_fp_ieee_overflow 0
		.amdhsa_exception_fp_ieee_underflow 0
		.amdhsa_exception_fp_ieee_inexact 0
		.amdhsa_exception_int_div_zero 0
	.end_amdhsa_kernel
	.section	.text._ZN2at6native12_GLOBAL__N_125multi_tensor_apply_kernelINS1_18TensorListMetadataILi1EEENS1_14UnaryOpFunctorIN3c104HalfELi1ELi1ELi0EEEJNS0_3ErfIfEEEEEvT_T0_DpT1_,"axG",@progbits,_ZN2at6native12_GLOBAL__N_125multi_tensor_apply_kernelINS1_18TensorListMetadataILi1EEENS1_14UnaryOpFunctorIN3c104HalfELi1ELi1ELi0EEEJNS0_3ErfIfEEEEEvT_T0_DpT1_,comdat
.Lfunc_end244:
	.size	_ZN2at6native12_GLOBAL__N_125multi_tensor_apply_kernelINS1_18TensorListMetadataILi1EEENS1_14UnaryOpFunctorIN3c104HalfELi1ELi1ELi0EEEJNS0_3ErfIfEEEEEvT_T0_DpT1_, .Lfunc_end244-_ZN2at6native12_GLOBAL__N_125multi_tensor_apply_kernelINS1_18TensorListMetadataILi1EEENS1_14UnaryOpFunctorIN3c104HalfELi1ELi1ELi0EEEJNS0_3ErfIfEEEEEvT_T0_DpT1_
                                        ; -- End function
	.section	.AMDGPU.csdata,"",@progbits
; Kernel info:
; codeLenInByte = 3816
; NumSgprs: 24
; NumVgprs: 22
; ScratchSize: 0
; MemoryBound: 0
; FloatMode: 240
; IeeeMode: 1
; LDSByteSize: 0 bytes/workgroup (compile time only)
; SGPRBlocks: 2
; VGPRBlocks: 2
; NumSGPRsForWavesPerEU: 24
; NumVGPRsForWavesPerEU: 22
; Occupancy: 16
; WaveLimiterHint : 0
; COMPUTE_PGM_RSRC2:SCRATCH_EN: 0
; COMPUTE_PGM_RSRC2:USER_SGPR: 15
; COMPUTE_PGM_RSRC2:TRAP_HANDLER: 0
; COMPUTE_PGM_RSRC2:TGID_X_EN: 1
; COMPUTE_PGM_RSRC2:TGID_Y_EN: 0
; COMPUTE_PGM_RSRC2:TGID_Z_EN: 0
; COMPUTE_PGM_RSRC2:TIDIG_COMP_CNT: 0
	.section	.text._ZN2at6native12_GLOBAL__N_125multi_tensor_apply_kernelINS1_18TensorListMetadataILi1EEENS1_14UnaryOpFunctorIN3c108BFloat16ELi1ELi1ELi0EEEJNS0_3ErfIfEEEEEvT_T0_DpT1_,"axG",@progbits,_ZN2at6native12_GLOBAL__N_125multi_tensor_apply_kernelINS1_18TensorListMetadataILi1EEENS1_14UnaryOpFunctorIN3c108BFloat16ELi1ELi1ELi0EEEJNS0_3ErfIfEEEEEvT_T0_DpT1_,comdat
	.globl	_ZN2at6native12_GLOBAL__N_125multi_tensor_apply_kernelINS1_18TensorListMetadataILi1EEENS1_14UnaryOpFunctorIN3c108BFloat16ELi1ELi1ELi0EEEJNS0_3ErfIfEEEEEvT_T0_DpT1_ ; -- Begin function _ZN2at6native12_GLOBAL__N_125multi_tensor_apply_kernelINS1_18TensorListMetadataILi1EEENS1_14UnaryOpFunctorIN3c108BFloat16ELi1ELi1ELi0EEEJNS0_3ErfIfEEEEEvT_T0_DpT1_
	.p2align	8
	.type	_ZN2at6native12_GLOBAL__N_125multi_tensor_apply_kernelINS1_18TensorListMetadataILi1EEENS1_14UnaryOpFunctorIN3c108BFloat16ELi1ELi1ELi0EEEJNS0_3ErfIfEEEEEvT_T0_DpT1_,@function
_ZN2at6native12_GLOBAL__N_125multi_tensor_apply_kernelINS1_18TensorListMetadataILi1EEENS1_14UnaryOpFunctorIN3c108BFloat16ELi1ELi1ELi0EEEJNS0_3ErfIfEEEEEvT_T0_DpT1_: ; @_ZN2at6native12_GLOBAL__N_125multi_tensor_apply_kernelINS1_18TensorListMetadataILi1EEENS1_14UnaryOpFunctorIN3c108BFloat16ELi1ELi1ELi0EEEJNS0_3ErfIfEEEEEvT_T0_DpT1_
; %bb.0:
	v_mov_b32_e32 v1, s15
	s_add_u32 s2, s0, s15
	s_mul_hi_u32 s3, s15, 3
	s_mul_i32 s15, s15, 3
	s_addc_u32 s4, s1, 0
	global_load_u8 v1, v1, s[0:1] offset:1760
	s_add_u32 s2, s2, s15
	s_addc_u32 s3, s4, s3
	s_mov_b32 s13, 0
	s_load_b32 s2, s[2:3], 0x820
	s_waitcnt vmcnt(0)
	v_readfirstlane_b32 s5, v1
	s_delay_alu instid0(VALU_DEP_1)
	s_lshl_b32 s3, s5, 3
	s_clause 0x1
	s_load_b64 s[8:9], s[0:1], s3 offset:0x0
	s_load_b64 s[4:5], s[0:1], s3 offset:0x370
	s_waitcnt lgkmcnt(0)
	s_ashr_i32 s3, s2, 31
	s_delay_alu instid0(SALU_CYCLE_1)
	s_lshl_b64 s[10:11], s[2:3], 17
	s_lshl_b64 s[2:3], s[2:3], 16
	s_and_b32 s12, s8, 7
	s_sub_u32 s6, s4, s2
	s_subb_u32 s7, s5, s3
	s_and_b32 s2, s4, 3
	s_mov_b32 s3, s13
	s_delay_alu instid0(SALU_CYCLE_1) | instskip(NEXT) | instid1(SALU_CYCLE_1)
	s_or_b64 s[2:3], s[12:13], s[2:3]
	s_cmp_eq_u64 s[2:3], 0
	s_cbranch_scc1 .LBB245_37
; %bb.1:
	v_cmp_lt_i64_e64 s2, s[6:7], 1
	s_delay_alu instid0(VALU_DEP_1)
	s_and_b32 vcc_lo, exec_lo, s2
	s_cbranch_vccnz .LBB245_36
; %bb.2:
	s_load_b32 s2, s[0:1], 0xd3c
	v_cmp_gt_u64_e64 s3, 0x10000, s[6:7]
	v_lshlrev_b32_e32 v1, 1, v0
	s_mov_b32 s19, 0x378e98ab
	s_mov_b32 s20, 0xba1345e1
	s_waitcnt lgkmcnt(0)
	s_and_b32 s2, s2, 0xffff
	s_and_b32 s3, s3, exec_lo
	v_add_co_u32 v5, s5, v0, s2
	s_cselect_b32 s13, s7, 0
	s_cselect_b32 s12, s6, 0x10000
	s_lshl_b32 s3, s2, 1
	s_mul_i32 s4, s2, 3
	s_lshl_b32 s16, s2, 2
	v_add_co_ci_u32_e64 v6, null, 0, 0, s5
	s_add_u32 s5, s8, s10
	s_mul_i32 s17, s2, 6
	s_addc_u32 s14, s9, s11
	s_lshl_b32 s18, s2, 3
	v_add_co_u32 v7, s2, s4, v0
	v_lshlrev_b32_e32 v3, 1, v5
	v_add_co_ci_u32_e64 v8, null, 0, 0, s2
	v_add_co_u32 v9, s2, s3, v0
	s_delay_alu instid0(VALU_DEP_1) | instskip(SKIP_1) | instid1(VALU_DEP_1)
	v_add_co_ci_u32_e64 v10, null, 0, 0, s2
	v_add_co_u32 v1, s2, s5, v1
	v_add_co_ci_u32_e64 v2, null, s14, 0, s2
	v_add_co_u32 v3, s2, s5, v3
	s_delay_alu instid0(VALU_DEP_1)
	v_add_co_ci_u32_e64 v4, null, s14, 0, s2
	s_mov_b64 s[14:15], 0
	s_branch .LBB245_4
.LBB245_3:                              ;   in Loop: Header=BB245_4 Depth=1
	s_or_b32 exec_lo, exec_lo, s2
	s_add_u32 s14, s14, s16
	s_addc_u32 s15, s15, 0
	v_add_co_u32 v1, vcc_lo, v1, s18
	v_cmp_ge_i64_e64 s2, s[14:15], s[6:7]
	v_cmp_lt_u64_e64 s3, 0xffff, s[14:15]
	v_add_co_ci_u32_e32 v2, vcc_lo, 0, v2, vcc_lo
	v_add_co_u32 v3, vcc_lo, v3, s18
	v_add_co_ci_u32_e32 v4, vcc_lo, 0, v4, vcc_lo
	s_delay_alu instid0(VALU_DEP_4) | instskip(NEXT) | instid1(SALU_CYCLE_1)
	s_or_b32 s2, s2, s3
	s_and_b32 vcc_lo, exec_lo, s2
	s_cbranch_vccnz .LBB245_36
.LBB245_4:                              ; =>This Inner Loop Header: Depth=1
	v_add_co_u32 v11, s2, v0, s14
	s_delay_alu instid0(VALU_DEP_1) | instskip(NEXT) | instid1(VALU_DEP_1)
	v_add_co_ci_u32_e64 v12, null, 0, s15, s2
	v_cmp_gt_u64_e32 vcc_lo, s[12:13], v[11:12]
	v_mov_b32_e32 v11, 0
	s_and_saveexec_b32 s2, vcc_lo
	s_cbranch_execz .LBB245_6
; %bb.5:                                ;   in Loop: Header=BB245_4 Depth=1
	global_load_u16 v11, v[1:2], off
.LBB245_6:                              ;   in Loop: Header=BB245_4 Depth=1
	s_or_b32 exec_lo, exec_lo, s2
	v_add_co_u32 v12, s2, v5, s14
	s_delay_alu instid0(VALU_DEP_1) | instskip(SKIP_1) | instid1(VALU_DEP_2)
	v_add_co_ci_u32_e64 v13, s2, s15, v6, s2
	v_mov_b32_e32 v14, 0
	v_cmp_gt_u64_e64 s2, s[12:13], v[12:13]
	s_delay_alu instid0(VALU_DEP_1)
	s_and_saveexec_b32 s3, s2
	s_cbranch_execz .LBB245_8
; %bb.7:                                ;   in Loop: Header=BB245_4 Depth=1
	global_load_u16 v14, v[3:4], off
.LBB245_8:                              ;   in Loop: Header=BB245_4 Depth=1
	s_or_b32 exec_lo, exec_lo, s3
	v_add_co_u32 v12, s3, v9, s14
	s_delay_alu instid0(VALU_DEP_1) | instskip(SKIP_1) | instid1(VALU_DEP_2)
	v_add_co_ci_u32_e64 v13, s3, s15, v10, s3
	v_mov_b32_e32 v16, 0
	v_cmp_gt_u64_e64 s3, s[12:13], v[12:13]
	v_mov_b32_e32 v12, 0
	s_delay_alu instid0(VALU_DEP_2)
	s_and_saveexec_b32 s5, s3
	s_cbranch_execz .LBB245_10
; %bb.9:                                ;   in Loop: Header=BB245_4 Depth=1
	v_add_co_u32 v15, s4, v1, s16
	s_delay_alu instid0(VALU_DEP_1)
	v_add_co_ci_u32_e64 v16, s4, 0, v2, s4
	global_load_u16 v16, v[15:16], off
.LBB245_10:                             ;   in Loop: Header=BB245_4 Depth=1
	s_or_b32 exec_lo, exec_lo, s5
	v_add_co_u32 v17, s4, v7, s14
	s_delay_alu instid0(VALU_DEP_1) | instskip(NEXT) | instid1(VALU_DEP_1)
	v_add_co_ci_u32_e64 v18, s4, s15, v8, s4
	v_cmp_gt_u64_e64 s4, s[12:13], v[17:18]
	s_delay_alu instid0(VALU_DEP_1)
	s_and_saveexec_b32 s21, s4
	s_cbranch_execz .LBB245_12
; %bb.11:                               ;   in Loop: Header=BB245_4 Depth=1
	v_add_co_u32 v12, s5, v1, s17
	s_delay_alu instid0(VALU_DEP_1)
	v_add_co_ci_u32_e64 v13, s5, 0, v2, s5
	global_load_u16 v12, v[12:13], off
.LBB245_12:                             ;   in Loop: Header=BB245_4 Depth=1
	s_or_b32 exec_lo, exec_lo, s21
	s_waitcnt vmcnt(0)
	v_lshlrev_b32_e32 v11, 16, v11
	s_mov_b32 s21, exec_lo
                                        ; implicit-def: $vgpr13
	s_delay_alu instid0(VALU_DEP_1)
	v_cmpx_nlt_f32_e64 |v11|, 1.0
	s_xor_b32 s21, exec_lo, s21
	s_cbranch_execz .LBB245_14
; %bb.13:                               ;   in Loop: Header=BB245_4 Depth=1
	v_fma_f32 v13, |v11|, s19, 0xb9c68948
	s_delay_alu instid0(VALU_DEP_1) | instskip(NEXT) | instid1(VALU_DEP_1)
	v_fma_f32 v13, |v11|, v13, 0x3b7cd369
	v_fma_f32 v13, |v11|, v13, 0xbcc618b2
	s_delay_alu instid0(VALU_DEP_1) | instskip(NEXT) | instid1(VALU_DEP_1)
	v_fma_f32 v13, |v11|, v13, 0x3dda74e4
	v_fma_f32 v13, |v11|, v13, 0x3f228afd
	s_delay_alu instid0(VALU_DEP_1) | instskip(NEXT) | instid1(VALU_DEP_1)
	v_fma_f32 v13, |v11|, v13, 0x3e03c728
	v_fma_f32 v13, |v11|, v13, |v11|
	s_delay_alu instid0(VALU_DEP_1) | instskip(SKIP_1) | instid1(VALU_DEP_2)
	v_mul_f32_e32 v15, 0xbfb8aa3b, v13
	v_cmp_nlt_f32_e64 s5, 0x42ce8ed0, v13
	v_fma_f32 v17, 0xbfb8aa3b, v13, -v15
	v_rndne_f32_e32 v18, v15
	s_delay_alu instid0(VALU_DEP_2) | instskip(NEXT) | instid1(VALU_DEP_2)
	v_fmac_f32_e32 v17, 0xb2a5705f, v13
	v_sub_f32_e32 v15, v15, v18
	s_delay_alu instid0(VALU_DEP_1) | instskip(SKIP_1) | instid1(VALU_DEP_2)
	v_add_f32_e32 v15, v15, v17
	v_cvt_i32_f32_e32 v17, v18
	v_exp_f32_e32 v15, v15
	s_waitcnt_depctr 0xfff
	v_ldexp_f32 v15, v15, v17
	s_delay_alu instid0(VALU_DEP_1) | instskip(SKIP_1) | instid1(VALU_DEP_1)
	v_cndmask_b32_e64 v15, 0, v15, s5
	v_cmp_ngt_f32_e64 s5, 0xc2b17218, v13
	v_cndmask_b32_e64 v13, 0x7f800000, v15, s5
	s_delay_alu instid0(VALU_DEP_1)
	v_sub_f32_e32 v13, 1.0, v13
.LBB245_14:                             ;   in Loop: Header=BB245_4 Depth=1
	s_and_not1_saveexec_b32 s5, s21
; %bb.15:                               ;   in Loop: Header=BB245_4 Depth=1
	v_mul_f32_e32 v13, v11, v11
	s_delay_alu instid0(VALU_DEP_1) | instskip(NEXT) | instid1(VALU_DEP_1)
	v_fmaak_f32 v15, s20, v13, 0x3ba10414
	v_fmaak_f32 v15, v13, v15, 0xbcdac9b8
	s_delay_alu instid0(VALU_DEP_1) | instskip(NEXT) | instid1(VALU_DEP_1)
	v_fmaak_f32 v15, v13, v15, 0x3de703be
	v_fmaak_f32 v15, v13, v15, 0xbec09330
	s_delay_alu instid0(VALU_DEP_1) | instskip(NEXT) | instid1(VALU_DEP_1)
	v_fmaak_f32 v13, v13, v15, 0x3e0375d0
	v_fma_f32 v13, |v11|, v13, |v11|
; %bb.16:                               ;   in Loop: Header=BB245_4 Depth=1
	s_or_b32 exec_lo, exec_lo, s5
	v_lshlrev_b32_e32 v14, 16, v14
	s_mov_b32 s21, exec_lo
                                        ; implicit-def: $vgpr15
	s_delay_alu instid0(VALU_DEP_1)
	v_cmpx_nlt_f32_e64 |v14|, 1.0
	s_xor_b32 s21, exec_lo, s21
	s_cbranch_execz .LBB245_18
; %bb.17:                               ;   in Loop: Header=BB245_4 Depth=1
	v_fma_f32 v15, |v14|, s19, 0xb9c68948
	s_delay_alu instid0(VALU_DEP_1) | instskip(NEXT) | instid1(VALU_DEP_1)
	v_fma_f32 v15, |v14|, v15, 0x3b7cd369
	v_fma_f32 v15, |v14|, v15, 0xbcc618b2
	s_delay_alu instid0(VALU_DEP_1) | instskip(NEXT) | instid1(VALU_DEP_1)
	v_fma_f32 v15, |v14|, v15, 0x3dda74e4
	;; [unrolled: 3-line block ×3, first 2 shown]
	v_fma_f32 v15, |v14|, v15, |v14|
	s_delay_alu instid0(VALU_DEP_1) | instskip(SKIP_1) | instid1(VALU_DEP_2)
	v_mul_f32_e32 v17, 0xbfb8aa3b, v15
	v_cmp_nlt_f32_e64 s5, 0x42ce8ed0, v15
	v_fma_f32 v18, 0xbfb8aa3b, v15, -v17
	v_rndne_f32_e32 v19, v17
	s_delay_alu instid0(VALU_DEP_2) | instskip(NEXT) | instid1(VALU_DEP_2)
	v_fmac_f32_e32 v18, 0xb2a5705f, v15
	v_sub_f32_e32 v17, v17, v19
	s_delay_alu instid0(VALU_DEP_1) | instskip(SKIP_1) | instid1(VALU_DEP_2)
	v_add_f32_e32 v17, v17, v18
	v_cvt_i32_f32_e32 v18, v19
	v_exp_f32_e32 v17, v17
	s_waitcnt_depctr 0xfff
	v_ldexp_f32 v17, v17, v18
	s_delay_alu instid0(VALU_DEP_1) | instskip(SKIP_1) | instid1(VALU_DEP_1)
	v_cndmask_b32_e64 v17, 0, v17, s5
	v_cmp_ngt_f32_e64 s5, 0xc2b17218, v15
	v_cndmask_b32_e64 v15, 0x7f800000, v17, s5
	s_delay_alu instid0(VALU_DEP_1)
	v_sub_f32_e32 v15, 1.0, v15
.LBB245_18:                             ;   in Loop: Header=BB245_4 Depth=1
	s_and_not1_saveexec_b32 s5, s21
; %bb.19:                               ;   in Loop: Header=BB245_4 Depth=1
	v_mul_f32_e32 v15, v14, v14
	s_delay_alu instid0(VALU_DEP_1) | instskip(NEXT) | instid1(VALU_DEP_1)
	v_fmaak_f32 v17, s20, v15, 0x3ba10414
	v_fmaak_f32 v17, v15, v17, 0xbcdac9b8
	s_delay_alu instid0(VALU_DEP_1) | instskip(NEXT) | instid1(VALU_DEP_1)
	v_fmaak_f32 v17, v15, v17, 0x3de703be
	v_fmaak_f32 v17, v15, v17, 0xbec09330
	s_delay_alu instid0(VALU_DEP_1) | instskip(NEXT) | instid1(VALU_DEP_1)
	v_fmaak_f32 v15, v15, v17, 0x3e0375d0
	v_fma_f32 v15, |v14|, v15, |v14|
; %bb.20:                               ;   in Loop: Header=BB245_4 Depth=1
	s_or_b32 exec_lo, exec_lo, s5
	v_lshlrev_b32_e32 v16, 16, v16
	s_mov_b32 s21, exec_lo
                                        ; implicit-def: $vgpr17
	s_delay_alu instid0(VALU_DEP_1)
	v_cmpx_nlt_f32_e64 |v16|, 1.0
	s_xor_b32 s21, exec_lo, s21
	s_cbranch_execz .LBB245_22
; %bb.21:                               ;   in Loop: Header=BB245_4 Depth=1
	v_fma_f32 v17, |v16|, s19, 0xb9c68948
	s_delay_alu instid0(VALU_DEP_1) | instskip(NEXT) | instid1(VALU_DEP_1)
	v_fma_f32 v17, |v16|, v17, 0x3b7cd369
	v_fma_f32 v17, |v16|, v17, 0xbcc618b2
	s_delay_alu instid0(VALU_DEP_1) | instskip(NEXT) | instid1(VALU_DEP_1)
	v_fma_f32 v17, |v16|, v17, 0x3dda74e4
	;; [unrolled: 3-line block ×3, first 2 shown]
	v_fma_f32 v17, |v16|, v17, |v16|
	s_delay_alu instid0(VALU_DEP_1) | instskip(SKIP_1) | instid1(VALU_DEP_2)
	v_mul_f32_e32 v18, 0xbfb8aa3b, v17
	v_cmp_nlt_f32_e64 s5, 0x42ce8ed0, v17
	v_fma_f32 v19, 0xbfb8aa3b, v17, -v18
	v_rndne_f32_e32 v20, v18
	s_delay_alu instid0(VALU_DEP_1) | instskip(NEXT) | instid1(VALU_DEP_1)
	v_dual_fmac_f32 v19, 0xb2a5705f, v17 :: v_dual_sub_f32 v18, v18, v20
	v_add_f32_e32 v18, v18, v19
	v_cvt_i32_f32_e32 v19, v20
	s_delay_alu instid0(VALU_DEP_2) | instskip(SKIP_2) | instid1(VALU_DEP_1)
	v_exp_f32_e32 v18, v18
	s_waitcnt_depctr 0xfff
	v_ldexp_f32 v18, v18, v19
	v_cndmask_b32_e64 v18, 0, v18, s5
	v_cmp_ngt_f32_e64 s5, 0xc2b17218, v17
	s_delay_alu instid0(VALU_DEP_1) | instskip(NEXT) | instid1(VALU_DEP_1)
	v_cndmask_b32_e64 v17, 0x7f800000, v18, s5
	v_sub_f32_e32 v17, 1.0, v17
.LBB245_22:                             ;   in Loop: Header=BB245_4 Depth=1
	s_and_not1_saveexec_b32 s5, s21
; %bb.23:                               ;   in Loop: Header=BB245_4 Depth=1
	v_mul_f32_e32 v17, v16, v16
	s_delay_alu instid0(VALU_DEP_1) | instskip(NEXT) | instid1(VALU_DEP_1)
	v_fmaak_f32 v18, s20, v17, 0x3ba10414
	v_fmaak_f32 v18, v17, v18, 0xbcdac9b8
	s_delay_alu instid0(VALU_DEP_1) | instskip(NEXT) | instid1(VALU_DEP_1)
	v_fmaak_f32 v18, v17, v18, 0x3de703be
	v_fmaak_f32 v18, v17, v18, 0xbec09330
	s_delay_alu instid0(VALU_DEP_1) | instskip(NEXT) | instid1(VALU_DEP_1)
	v_fmaak_f32 v17, v17, v18, 0x3e0375d0
	v_fma_f32 v17, |v16|, v17, |v16|
; %bb.24:                               ;   in Loop: Header=BB245_4 Depth=1
	s_or_b32 exec_lo, exec_lo, s5
	v_lshlrev_b32_e32 v12, 16, v12
	s_mov_b32 s21, exec_lo
                                        ; implicit-def: $vgpr18
	s_delay_alu instid0(VALU_DEP_1)
	v_cmpx_nlt_f32_e64 |v12|, 1.0
	s_xor_b32 s21, exec_lo, s21
	s_cbranch_execnz .LBB245_30
; %bb.25:                               ;   in Loop: Header=BB245_4 Depth=1
	s_and_not1_saveexec_b32 s5, s21
	s_cbranch_execnz .LBB245_31
.LBB245_26:                             ;   in Loop: Header=BB245_4 Depth=1
	s_or_b32 exec_lo, exec_lo, s5
	s_and_saveexec_b32 s5, vcc_lo
	s_delay_alu instid0(SALU_CYCLE_1)
	s_xor_b32 s5, exec_lo, s5
	s_cbranch_execnz .LBB245_32
.LBB245_27:                             ;   in Loop: Header=BB245_4 Depth=1
	s_or_b32 exec_lo, exec_lo, s5
	s_and_saveexec_b32 s5, s2
	s_cbranch_execnz .LBB245_33
.LBB245_28:                             ;   in Loop: Header=BB245_4 Depth=1
	s_or_b32 exec_lo, exec_lo, s5
	s_and_saveexec_b32 s2, s3
	s_cbranch_execnz .LBB245_34
.LBB245_29:                             ;   in Loop: Header=BB245_4 Depth=1
	s_or_b32 exec_lo, exec_lo, s2
	s_and_saveexec_b32 s2, s4
	s_cbranch_execz .LBB245_3
	s_branch .LBB245_35
.LBB245_30:                             ;   in Loop: Header=BB245_4 Depth=1
	v_fma_f32 v18, |v12|, s19, 0xb9c68948
	s_delay_alu instid0(VALU_DEP_1) | instskip(NEXT) | instid1(VALU_DEP_1)
	v_fma_f32 v18, |v12|, v18, 0x3b7cd369
	v_fma_f32 v18, |v12|, v18, 0xbcc618b2
	s_delay_alu instid0(VALU_DEP_1) | instskip(NEXT) | instid1(VALU_DEP_1)
	v_fma_f32 v18, |v12|, v18, 0x3dda74e4
	;; [unrolled: 3-line block ×3, first 2 shown]
	v_fma_f32 v18, |v12|, v18, |v12|
	s_delay_alu instid0(VALU_DEP_1) | instskip(SKIP_1) | instid1(VALU_DEP_2)
	v_mul_f32_e32 v19, 0xbfb8aa3b, v18
	v_cmp_nlt_f32_e64 s5, 0x42ce8ed0, v18
	v_fma_f32 v20, 0xbfb8aa3b, v18, -v19
	v_rndne_f32_e32 v21, v19
	s_delay_alu instid0(VALU_DEP_1) | instskip(NEXT) | instid1(VALU_DEP_1)
	v_dual_fmac_f32 v20, 0xb2a5705f, v18 :: v_dual_sub_f32 v19, v19, v21
	v_add_f32_e32 v19, v19, v20
	v_cvt_i32_f32_e32 v20, v21
	s_delay_alu instid0(VALU_DEP_2) | instskip(SKIP_2) | instid1(VALU_DEP_1)
	v_exp_f32_e32 v19, v19
	s_waitcnt_depctr 0xfff
	v_ldexp_f32 v19, v19, v20
	v_cndmask_b32_e64 v19, 0, v19, s5
	v_cmp_ngt_f32_e64 s5, 0xc2b17218, v18
	s_delay_alu instid0(VALU_DEP_1) | instskip(NEXT) | instid1(VALU_DEP_1)
	v_cndmask_b32_e64 v18, 0x7f800000, v19, s5
	v_sub_f32_e32 v18, 1.0, v18
	s_and_not1_saveexec_b32 s5, s21
	s_cbranch_execz .LBB245_26
.LBB245_31:                             ;   in Loop: Header=BB245_4 Depth=1
	v_mul_f32_e32 v18, v12, v12
	s_delay_alu instid0(VALU_DEP_1) | instskip(NEXT) | instid1(VALU_DEP_1)
	v_fmaak_f32 v19, s20, v18, 0x3ba10414
	v_fmaak_f32 v19, v18, v19, 0xbcdac9b8
	s_delay_alu instid0(VALU_DEP_1) | instskip(NEXT) | instid1(VALU_DEP_1)
	v_fmaak_f32 v19, v18, v19, 0x3de703be
	v_fmaak_f32 v19, v18, v19, 0xbec09330
	s_delay_alu instid0(VALU_DEP_1) | instskip(NEXT) | instid1(VALU_DEP_1)
	v_fmaak_f32 v18, v18, v19, 0x3e0375d0
	v_fma_f32 v18, |v12|, v18, |v12|
	s_or_b32 exec_lo, exec_lo, s5
	s_and_saveexec_b32 s5, vcc_lo
	s_delay_alu instid0(SALU_CYCLE_1)
	s_xor_b32 s5, exec_lo, s5
	s_cbranch_execz .LBB245_27
.LBB245_32:                             ;   in Loop: Header=BB245_4 Depth=1
	v_bfi_b32 v11, 0x7fffffff, v13, v11
	s_delay_alu instid0(VALU_DEP_1) | instskip(SKIP_1) | instid1(VALU_DEP_2)
	v_bfe_u32 v13, v11, 16, 1
	v_cmp_o_f32_e32 vcc_lo, v11, v11
	v_add3_u32 v13, v11, v13, 0x7fff
	s_delay_alu instid0(VALU_DEP_1) | instskip(NEXT) | instid1(VALU_DEP_1)
	v_lshrrev_b32_e32 v13, 16, v13
	v_cndmask_b32_e32 v11, 0x7fc0, v13, vcc_lo
	global_store_b16 v[1:2], v11, off
	s_or_b32 exec_lo, exec_lo, s5
	s_and_saveexec_b32 s5, s2
	s_cbranch_execz .LBB245_28
.LBB245_33:                             ;   in Loop: Header=BB245_4 Depth=1
	v_bfi_b32 v11, 0x7fffffff, v15, v14
	s_delay_alu instid0(VALU_DEP_1) | instskip(SKIP_1) | instid1(VALU_DEP_2)
	v_bfe_u32 v13, v11, 16, 1
	v_cmp_o_f32_e32 vcc_lo, v11, v11
	v_add3_u32 v13, v11, v13, 0x7fff
	s_delay_alu instid0(VALU_DEP_1) | instskip(NEXT) | instid1(VALU_DEP_1)
	v_lshrrev_b32_e32 v13, 16, v13
	v_cndmask_b32_e32 v11, 0x7fc0, v13, vcc_lo
	global_store_b16 v[3:4], v11, off
	s_or_b32 exec_lo, exec_lo, s5
	s_and_saveexec_b32 s2, s3
	s_cbranch_execz .LBB245_29
.LBB245_34:                             ;   in Loop: Header=BB245_4 Depth=1
	v_bfi_b32 v11, 0x7fffffff, v17, v16
	s_delay_alu instid0(VALU_DEP_1) | instskip(SKIP_1) | instid1(VALU_DEP_2)
	v_bfe_u32 v13, v11, 16, 1
	v_cmp_o_f32_e32 vcc_lo, v11, v11
	v_add3_u32 v13, v11, v13, 0x7fff
	s_delay_alu instid0(VALU_DEP_1) | instskip(NEXT) | instid1(VALU_DEP_1)
	v_lshrrev_b32_e32 v13, 16, v13
	v_cndmask_b32_e32 v11, 0x7fc0, v13, vcc_lo
	v_add_co_u32 v13, vcc_lo, v1, s16
	v_add_co_ci_u32_e32 v14, vcc_lo, 0, v2, vcc_lo
	global_store_b16 v[13:14], v11, off
	s_or_b32 exec_lo, exec_lo, s2
	s_and_saveexec_b32 s2, s4
	s_cbranch_execz .LBB245_3
.LBB245_35:                             ;   in Loop: Header=BB245_4 Depth=1
	v_bfi_b32 v11, 0x7fffffff, v18, v12
	s_delay_alu instid0(VALU_DEP_1) | instskip(SKIP_1) | instid1(VALU_DEP_2)
	v_bfe_u32 v12, v11, 16, 1
	v_cmp_o_f32_e32 vcc_lo, v11, v11
	v_add3_u32 v12, v11, v12, 0x7fff
	s_delay_alu instid0(VALU_DEP_1) | instskip(NEXT) | instid1(VALU_DEP_1)
	v_lshrrev_b32_e32 v12, 16, v12
	v_cndmask_b32_e32 v13, 0x7fc0, v12, vcc_lo
	v_add_co_u32 v11, vcc_lo, v1, s17
	v_add_co_ci_u32_e32 v12, vcc_lo, 0, v2, vcc_lo
	global_store_b16 v[11:12], v13, off
	s_branch .LBB245_3
.LBB245_36:
	s_cbranch_execz .LBB245_38
	s_branch .LBB245_57
.LBB245_37:
.LBB245_38:
	v_dual_mov_b32 v2, 0 :: v_dual_lshlrev_b32 v1, 2, v0
	s_mov_b32 s2, 0
	s_mov_b32 s3, exec_lo
	s_delay_alu instid0(VALU_DEP_1)
	v_cmpx_gt_i64_e64 s[6:7], v[1:2]
	s_cbranch_execz .LBB245_57
; %bb.39:
	s_load_b32 s0, s[0:1], 0xd3c
	v_lshlrev_b32_e32 v1, 3, v0
	s_mov_b32 s5, 0xba1345e1
	s_waitcnt lgkmcnt(0)
	s_and_b32 s0, s0, 0xffff
	s_add_u32 s3, s8, s10
	s_addc_u32 s4, s9, s11
	v_add_co_u32 v3, s3, s3, v1
	s_delay_alu instid0(VALU_DEP_1)
	v_add_co_ci_u32_e64 v4, null, s4, 0, s3
	v_add_lshl_u32 v1, v0, s0, 2
	s_lshl_b32 s1, s0, 3
	s_lshl_b32 s3, s0, 2
	s_mov_b32 s4, 0x378e98ab
	s_branch .LBB245_41
.LBB245_40:                             ;   in Loop: Header=BB245_41 Depth=1
	s_or_b32 exec_lo, exec_lo, s0
	v_bfi_b32 v8, 0x7fffffff, v9, v8
	v_bfi_b32 v0, 0x7fffffff, v7, v0
	v_bfi_b32 v5, 0x7fffffff, v10, v5
	v_bfi_b32 v6, 0x7fffffff, v11, v6
	v_cmp_lt_u64_e64 s0, 0xffff, v[1:2]
	v_bfe_u32 v7, v8, 16, 1
	v_bfe_u32 v10, v0, 16, 1
	v_cmp_o_f32_e32 vcc_lo, v8, v8
	v_bfe_u32 v11, v6, 16, 1
	v_bfe_u32 v9, v5, 16, 1
	v_add3_u32 v7, v8, v7, 0x7fff
	v_add3_u32 v10, v0, v10, 0x7fff
	s_delay_alu instid0(VALU_DEP_4) | instskip(NEXT) | instid1(VALU_DEP_4)
	v_add3_u32 v11, v6, v11, 0x7fff
	v_add3_u32 v9, v5, v9, 0x7fff
	s_delay_alu instid0(VALU_DEP_4) | instskip(NEXT) | instid1(VALU_DEP_4)
	v_and_b32_e32 v7, 0xffff0000, v7
	v_lshrrev_b32_e32 v10, 16, v10
	s_delay_alu instid0(VALU_DEP_4) | instskip(NEXT) | instid1(VALU_DEP_4)
	v_and_b32_e32 v11, 0xffff0000, v11
	v_lshrrev_b32_e32 v9, 16, v9
	s_delay_alu instid0(VALU_DEP_4) | instskip(SKIP_3) | instid1(VALU_DEP_2)
	v_cndmask_b32_e32 v7, 0x7fc00000, v7, vcc_lo
	v_cmp_o_f32_e32 vcc_lo, v0, v0
	v_cndmask_b32_e32 v0, 0x7fc0, v10, vcc_lo
	v_cmp_o_f32_e32 vcc_lo, v6, v6
	v_or_b32_e32 v0, v7, v0
	v_cndmask_b32_e32 v6, 0x7fc00000, v11, vcc_lo
	v_cmp_o_f32_e32 vcc_lo, v5, v5
	v_cndmask_b32_e32 v5, 0x7fc0, v9, vcc_lo
	v_cmp_le_i64_e32 vcc_lo, s[6:7], v[1:2]
	s_delay_alu instid0(VALU_DEP_2) | instskip(SKIP_2) | instid1(SALU_CYCLE_1)
	v_or3_b32 v6, 0, v5, v6
	v_or3_b32 v5, v0, 0, 0
	s_or_b32 s0, vcc_lo, s0
	s_and_b32 s0, exec_lo, s0
	global_store_b64 v[3:4], v[5:6], off
	v_add_co_u32 v3, vcc_lo, v3, s1
	v_add_co_ci_u32_e32 v4, vcc_lo, 0, v4, vcc_lo
	v_add_co_u32 v1, vcc_lo, v1, s3
	v_add_co_ci_u32_e32 v2, vcc_lo, 0, v2, vcc_lo
	s_or_b32 s2, s0, s2
	s_delay_alu instid0(SALU_CYCLE_1)
	s_and_not1_b32 exec_lo, exec_lo, s2
	s_cbranch_execz .LBB245_57
.LBB245_41:                             ; =>This Inner Loop Header: Depth=1
	global_load_b64 v[5:6], v[3:4], off
                                        ; implicit-def: $vgpr7
	s_waitcnt vmcnt(0)
	v_lshlrev_b32_e32 v0, 16, v5
	s_delay_alu instid0(VALU_DEP_1) | instskip(NEXT) | instid1(VALU_DEP_1)
	v_cmp_nlt_f32_e64 s0, |v0|, 1.0
	s_and_saveexec_b32 s8, s0
	s_delay_alu instid0(SALU_CYCLE_1)
	s_xor_b32 s0, exec_lo, s8
	s_cbranch_execz .LBB245_43
; %bb.42:                               ;   in Loop: Header=BB245_41 Depth=1
	v_fma_f32 v7, |v0|, s4, 0xb9c68948
	s_delay_alu instid0(VALU_DEP_1) | instskip(NEXT) | instid1(VALU_DEP_1)
	v_fma_f32 v7, |v0|, v7, 0x3b7cd369
	v_fma_f32 v7, |v0|, v7, 0xbcc618b2
	s_delay_alu instid0(VALU_DEP_1) | instskip(NEXT) | instid1(VALU_DEP_1)
	v_fma_f32 v7, |v0|, v7, 0x3dda74e4
	;; [unrolled: 3-line block ×3, first 2 shown]
	v_fma_f32 v7, |v0|, v7, |v0|
	s_delay_alu instid0(VALU_DEP_1) | instskip(SKIP_1) | instid1(VALU_DEP_2)
	v_mul_f32_e32 v8, 0xbfb8aa3b, v7
	v_cmp_nlt_f32_e32 vcc_lo, 0x42ce8ed0, v7
	v_fma_f32 v9, 0xbfb8aa3b, v7, -v8
	v_rndne_f32_e32 v10, v8
	s_delay_alu instid0(VALU_DEP_1) | instskip(NEXT) | instid1(VALU_DEP_1)
	v_dual_fmac_f32 v9, 0xb2a5705f, v7 :: v_dual_sub_f32 v8, v8, v10
	v_add_f32_e32 v8, v8, v9
	v_cvt_i32_f32_e32 v9, v10
	s_delay_alu instid0(VALU_DEP_2) | instskip(SKIP_2) | instid1(VALU_DEP_1)
	v_exp_f32_e32 v8, v8
	s_waitcnt_depctr 0xfff
	v_ldexp_f32 v8, v8, v9
	v_cndmask_b32_e32 v8, 0, v8, vcc_lo
	v_cmp_ngt_f32_e32 vcc_lo, 0xc2b17218, v7
	s_delay_alu instid0(VALU_DEP_2) | instskip(NEXT) | instid1(VALU_DEP_1)
	v_cndmask_b32_e32 v7, 0x7f800000, v8, vcc_lo
	v_sub_f32_e32 v7, 1.0, v7
.LBB245_43:                             ;   in Loop: Header=BB245_41 Depth=1
	s_and_not1_saveexec_b32 s0, s0
; %bb.44:                               ;   in Loop: Header=BB245_41 Depth=1
	v_mul_f32_e32 v7, v0, v0
	s_delay_alu instid0(VALU_DEP_1) | instskip(NEXT) | instid1(VALU_DEP_1)
	v_fmaak_f32 v8, s5, v7, 0x3ba10414
	v_fmaak_f32 v8, v7, v8, 0xbcdac9b8
	s_delay_alu instid0(VALU_DEP_1) | instskip(NEXT) | instid1(VALU_DEP_1)
	v_fmaak_f32 v8, v7, v8, 0x3de703be
	v_fmaak_f32 v8, v7, v8, 0xbec09330
	s_delay_alu instid0(VALU_DEP_1) | instskip(NEXT) | instid1(VALU_DEP_1)
	v_fmaak_f32 v7, v7, v8, 0x3e0375d0
	v_fma_f32 v7, |v0|, v7, |v0|
; %bb.45:                               ;   in Loop: Header=BB245_41 Depth=1
	s_or_b32 exec_lo, exec_lo, s0
	v_and_b32_e32 v8, 0xffff0000, v5
                                        ; implicit-def: $vgpr9
	s_delay_alu instid0(VALU_DEP_1) | instskip(NEXT) | instid1(VALU_DEP_1)
	v_cmp_nlt_f32_e64 s0, |v8|, 1.0
	s_and_saveexec_b32 s8, s0
	s_delay_alu instid0(SALU_CYCLE_1)
	s_xor_b32 s0, exec_lo, s8
	s_cbranch_execz .LBB245_47
; %bb.46:                               ;   in Loop: Header=BB245_41 Depth=1
	v_fma_f32 v9, |v8|, s4, 0xb9c68948
	s_delay_alu instid0(VALU_DEP_1) | instskip(NEXT) | instid1(VALU_DEP_1)
	v_fma_f32 v9, |v8|, v9, 0x3b7cd369
	v_fma_f32 v9, |v8|, v9, 0xbcc618b2
	s_delay_alu instid0(VALU_DEP_1) | instskip(NEXT) | instid1(VALU_DEP_1)
	v_fma_f32 v9, |v8|, v9, 0x3dda74e4
	;; [unrolled: 3-line block ×3, first 2 shown]
	v_fma_f32 v9, |v8|, v9, |v8|
	s_delay_alu instid0(VALU_DEP_1) | instskip(SKIP_1) | instid1(VALU_DEP_2)
	v_mul_f32_e32 v10, 0xbfb8aa3b, v9
	v_cmp_nlt_f32_e32 vcc_lo, 0x42ce8ed0, v9
	v_fma_f32 v11, 0xbfb8aa3b, v9, -v10
	v_rndne_f32_e32 v12, v10
	s_delay_alu instid0(VALU_DEP_1) | instskip(NEXT) | instid1(VALU_DEP_1)
	v_dual_fmac_f32 v11, 0xb2a5705f, v9 :: v_dual_sub_f32 v10, v10, v12
	v_add_f32_e32 v10, v10, v11
	v_cvt_i32_f32_e32 v11, v12
	s_delay_alu instid0(VALU_DEP_2) | instskip(SKIP_2) | instid1(VALU_DEP_1)
	v_exp_f32_e32 v10, v10
	s_waitcnt_depctr 0xfff
	v_ldexp_f32 v10, v10, v11
	v_cndmask_b32_e32 v10, 0, v10, vcc_lo
	v_cmp_ngt_f32_e32 vcc_lo, 0xc2b17218, v9
	s_delay_alu instid0(VALU_DEP_2) | instskip(NEXT) | instid1(VALU_DEP_1)
	v_cndmask_b32_e32 v9, 0x7f800000, v10, vcc_lo
	v_sub_f32_e32 v9, 1.0, v9
.LBB245_47:                             ;   in Loop: Header=BB245_41 Depth=1
	s_and_not1_saveexec_b32 s0, s0
; %bb.48:                               ;   in Loop: Header=BB245_41 Depth=1
	v_mul_f32_e32 v9, v8, v8
	s_delay_alu instid0(VALU_DEP_1) | instskip(NEXT) | instid1(VALU_DEP_1)
	v_fmaak_f32 v10, s5, v9, 0x3ba10414
	v_fmaak_f32 v10, v9, v10, 0xbcdac9b8
	s_delay_alu instid0(VALU_DEP_1) | instskip(NEXT) | instid1(VALU_DEP_1)
	v_fmaak_f32 v10, v9, v10, 0x3de703be
	v_fmaak_f32 v10, v9, v10, 0xbec09330
	s_delay_alu instid0(VALU_DEP_1) | instskip(NEXT) | instid1(VALU_DEP_1)
	v_fmaak_f32 v9, v9, v10, 0x3e0375d0
	v_fma_f32 v9, |v8|, v9, |v8|
; %bb.49:                               ;   in Loop: Header=BB245_41 Depth=1
	s_or_b32 exec_lo, exec_lo, s0
	v_alignbit_b32 v5, v6, v5, 16
                                        ; implicit-def: $vgpr10
	s_delay_alu instid0(VALU_DEP_1) | instskip(NEXT) | instid1(VALU_DEP_1)
	v_and_b32_e32 v5, 0xffff0000, v5
	v_cmp_nlt_f32_e64 s0, |v5|, 1.0
	s_delay_alu instid0(VALU_DEP_1) | instskip(NEXT) | instid1(SALU_CYCLE_1)
	s_and_saveexec_b32 s8, s0
	s_xor_b32 s0, exec_lo, s8
	s_cbranch_execz .LBB245_51
; %bb.50:                               ;   in Loop: Header=BB245_41 Depth=1
	v_fma_f32 v10, |v5|, s4, 0xb9c68948
	s_delay_alu instid0(VALU_DEP_1) | instskip(NEXT) | instid1(VALU_DEP_1)
	v_fma_f32 v10, |v5|, v10, 0x3b7cd369
	v_fma_f32 v10, |v5|, v10, 0xbcc618b2
	s_delay_alu instid0(VALU_DEP_1) | instskip(NEXT) | instid1(VALU_DEP_1)
	v_fma_f32 v10, |v5|, v10, 0x3dda74e4
	;; [unrolled: 3-line block ×3, first 2 shown]
	v_fma_f32 v10, |v5|, v10, |v5|
	s_delay_alu instid0(VALU_DEP_1) | instskip(SKIP_1) | instid1(VALU_DEP_2)
	v_mul_f32_e32 v11, 0xbfb8aa3b, v10
	v_cmp_nlt_f32_e32 vcc_lo, 0x42ce8ed0, v10
	v_fma_f32 v12, 0xbfb8aa3b, v10, -v11
	v_rndne_f32_e32 v13, v11
	s_delay_alu instid0(VALU_DEP_1) | instskip(NEXT) | instid1(VALU_DEP_1)
	v_dual_fmac_f32 v12, 0xb2a5705f, v10 :: v_dual_sub_f32 v11, v11, v13
	v_add_f32_e32 v11, v11, v12
	v_cvt_i32_f32_e32 v12, v13
	s_delay_alu instid0(VALU_DEP_2) | instskip(SKIP_2) | instid1(VALU_DEP_1)
	v_exp_f32_e32 v11, v11
	s_waitcnt_depctr 0xfff
	v_ldexp_f32 v11, v11, v12
	v_cndmask_b32_e32 v11, 0, v11, vcc_lo
	v_cmp_ngt_f32_e32 vcc_lo, 0xc2b17218, v10
	s_delay_alu instid0(VALU_DEP_2) | instskip(NEXT) | instid1(VALU_DEP_1)
	v_cndmask_b32_e32 v10, 0x7f800000, v11, vcc_lo
	v_sub_f32_e32 v10, 1.0, v10
.LBB245_51:                             ;   in Loop: Header=BB245_41 Depth=1
	s_and_not1_saveexec_b32 s0, s0
; %bb.52:                               ;   in Loop: Header=BB245_41 Depth=1
	v_mul_f32_e32 v10, v5, v5
	s_delay_alu instid0(VALU_DEP_1) | instskip(NEXT) | instid1(VALU_DEP_1)
	v_fmaak_f32 v11, s5, v10, 0x3ba10414
	v_fmaak_f32 v11, v10, v11, 0xbcdac9b8
	s_delay_alu instid0(VALU_DEP_1) | instskip(NEXT) | instid1(VALU_DEP_1)
	v_fmaak_f32 v11, v10, v11, 0x3de703be
	v_fmaak_f32 v11, v10, v11, 0xbec09330
	s_delay_alu instid0(VALU_DEP_1) | instskip(NEXT) | instid1(VALU_DEP_1)
	v_fmaak_f32 v10, v10, v11, 0x3e0375d0
	v_fma_f32 v10, |v5|, v10, |v5|
; %bb.53:                               ;   in Loop: Header=BB245_41 Depth=1
	s_or_b32 exec_lo, exec_lo, s0
	v_and_b32_e32 v6, 0xffff0000, v6
                                        ; implicit-def: $vgpr11
	s_delay_alu instid0(VALU_DEP_1) | instskip(NEXT) | instid1(VALU_DEP_1)
	v_cmp_nlt_f32_e64 s0, |v6|, 1.0
	s_and_saveexec_b32 s8, s0
	s_delay_alu instid0(SALU_CYCLE_1)
	s_xor_b32 s0, exec_lo, s8
	s_cbranch_execz .LBB245_55
; %bb.54:                               ;   in Loop: Header=BB245_41 Depth=1
	v_fma_f32 v11, |v6|, s4, 0xb9c68948
	s_delay_alu instid0(VALU_DEP_1) | instskip(NEXT) | instid1(VALU_DEP_1)
	v_fma_f32 v11, |v6|, v11, 0x3b7cd369
	v_fma_f32 v11, |v6|, v11, 0xbcc618b2
	s_delay_alu instid0(VALU_DEP_1) | instskip(NEXT) | instid1(VALU_DEP_1)
	v_fma_f32 v11, |v6|, v11, 0x3dda74e4
	;; [unrolled: 3-line block ×3, first 2 shown]
	v_fma_f32 v11, |v6|, v11, |v6|
	s_delay_alu instid0(VALU_DEP_1) | instskip(SKIP_1) | instid1(VALU_DEP_2)
	v_mul_f32_e32 v12, 0xbfb8aa3b, v11
	v_cmp_nlt_f32_e32 vcc_lo, 0x42ce8ed0, v11
	v_fma_f32 v13, 0xbfb8aa3b, v11, -v12
	v_rndne_f32_e32 v14, v12
	s_delay_alu instid0(VALU_DEP_1) | instskip(NEXT) | instid1(VALU_DEP_1)
	v_dual_fmac_f32 v13, 0xb2a5705f, v11 :: v_dual_sub_f32 v12, v12, v14
	v_add_f32_e32 v12, v12, v13
	v_cvt_i32_f32_e32 v13, v14
	s_delay_alu instid0(VALU_DEP_2) | instskip(SKIP_2) | instid1(VALU_DEP_1)
	v_exp_f32_e32 v12, v12
	s_waitcnt_depctr 0xfff
	v_ldexp_f32 v12, v12, v13
	v_cndmask_b32_e32 v12, 0, v12, vcc_lo
	v_cmp_ngt_f32_e32 vcc_lo, 0xc2b17218, v11
	s_delay_alu instid0(VALU_DEP_2) | instskip(NEXT) | instid1(VALU_DEP_1)
	v_cndmask_b32_e32 v11, 0x7f800000, v12, vcc_lo
	v_sub_f32_e32 v11, 1.0, v11
.LBB245_55:                             ;   in Loop: Header=BB245_41 Depth=1
	s_and_not1_saveexec_b32 s0, s0
	s_cbranch_execz .LBB245_40
; %bb.56:                               ;   in Loop: Header=BB245_41 Depth=1
	v_mul_f32_e32 v11, v6, v6
	s_delay_alu instid0(VALU_DEP_1) | instskip(NEXT) | instid1(VALU_DEP_1)
	v_fmaak_f32 v12, s5, v11, 0x3ba10414
	v_fmaak_f32 v12, v11, v12, 0xbcdac9b8
	s_delay_alu instid0(VALU_DEP_1) | instskip(NEXT) | instid1(VALU_DEP_1)
	v_fmaak_f32 v12, v11, v12, 0x3de703be
	v_fmaak_f32 v12, v11, v12, 0xbec09330
	s_delay_alu instid0(VALU_DEP_1) | instskip(NEXT) | instid1(VALU_DEP_1)
	v_fmaak_f32 v11, v11, v12, 0x3e0375d0
	v_fma_f32 v11, |v6|, v11, |v6|
	s_branch .LBB245_40
.LBB245_57:
	s_nop 0
	s_sendmsg sendmsg(MSG_DEALLOC_VGPRS)
	s_endpgm
	.section	.rodata,"a",@progbits
	.p2align	6, 0x0
	.amdhsa_kernel _ZN2at6native12_GLOBAL__N_125multi_tensor_apply_kernelINS1_18TensorListMetadataILi1EEENS1_14UnaryOpFunctorIN3c108BFloat16ELi1ELi1ELi0EEEJNS0_3ErfIfEEEEEvT_T0_DpT1_
		.amdhsa_group_segment_fixed_size 0
		.amdhsa_private_segment_fixed_size 0
		.amdhsa_kernarg_size 3632
		.amdhsa_user_sgpr_count 15
		.amdhsa_user_sgpr_dispatch_ptr 0
		.amdhsa_user_sgpr_queue_ptr 0
		.amdhsa_user_sgpr_kernarg_segment_ptr 1
		.amdhsa_user_sgpr_dispatch_id 0
		.amdhsa_user_sgpr_private_segment_size 0
		.amdhsa_wavefront_size32 1
		.amdhsa_uses_dynamic_stack 0
		.amdhsa_enable_private_segment 0
		.amdhsa_system_sgpr_workgroup_id_x 1
		.amdhsa_system_sgpr_workgroup_id_y 0
		.amdhsa_system_sgpr_workgroup_id_z 0
		.amdhsa_system_sgpr_workgroup_info 0
		.amdhsa_system_vgpr_workitem_id 0
		.amdhsa_next_free_vgpr 22
		.amdhsa_next_free_sgpr 22
		.amdhsa_reserve_vcc 1
		.amdhsa_float_round_mode_32 0
		.amdhsa_float_round_mode_16_64 0
		.amdhsa_float_denorm_mode_32 3
		.amdhsa_float_denorm_mode_16_64 3
		.amdhsa_dx10_clamp 1
		.amdhsa_ieee_mode 1
		.amdhsa_fp16_overflow 0
		.amdhsa_workgroup_processor_mode 1
		.amdhsa_memory_ordered 1
		.amdhsa_forward_progress 0
		.amdhsa_shared_vgpr_count 0
		.amdhsa_exception_fp_ieee_invalid_op 0
		.amdhsa_exception_fp_denorm_src 0
		.amdhsa_exception_fp_ieee_div_zero 0
		.amdhsa_exception_fp_ieee_overflow 0
		.amdhsa_exception_fp_ieee_underflow 0
		.amdhsa_exception_fp_ieee_inexact 0
		.amdhsa_exception_int_div_zero 0
	.end_amdhsa_kernel
	.section	.text._ZN2at6native12_GLOBAL__N_125multi_tensor_apply_kernelINS1_18TensorListMetadataILi1EEENS1_14UnaryOpFunctorIN3c108BFloat16ELi1ELi1ELi0EEEJNS0_3ErfIfEEEEEvT_T0_DpT1_,"axG",@progbits,_ZN2at6native12_GLOBAL__N_125multi_tensor_apply_kernelINS1_18TensorListMetadataILi1EEENS1_14UnaryOpFunctorIN3c108BFloat16ELi1ELi1ELi0EEEJNS0_3ErfIfEEEEEvT_T0_DpT1_,comdat
.Lfunc_end245:
	.size	_ZN2at6native12_GLOBAL__N_125multi_tensor_apply_kernelINS1_18TensorListMetadataILi1EEENS1_14UnaryOpFunctorIN3c108BFloat16ELi1ELi1ELi0EEEJNS0_3ErfIfEEEEEvT_T0_DpT1_, .Lfunc_end245-_ZN2at6native12_GLOBAL__N_125multi_tensor_apply_kernelINS1_18TensorListMetadataILi1EEENS1_14UnaryOpFunctorIN3c108BFloat16ELi1ELi1ELi0EEEJNS0_3ErfIfEEEEEvT_T0_DpT1_
                                        ; -- End function
	.section	.AMDGPU.csdata,"",@progbits
; Kernel info:
; codeLenInByte = 4076
; NumSgprs: 24
; NumVgprs: 22
; ScratchSize: 0
; MemoryBound: 0
; FloatMode: 240
; IeeeMode: 1
; LDSByteSize: 0 bytes/workgroup (compile time only)
; SGPRBlocks: 2
; VGPRBlocks: 2
; NumSGPRsForWavesPerEU: 24
; NumVGPRsForWavesPerEU: 22
; Occupancy: 16
; WaveLimiterHint : 0
; COMPUTE_PGM_RSRC2:SCRATCH_EN: 0
; COMPUTE_PGM_RSRC2:USER_SGPR: 15
; COMPUTE_PGM_RSRC2:TRAP_HANDLER: 0
; COMPUTE_PGM_RSRC2:TGID_X_EN: 1
; COMPUTE_PGM_RSRC2:TGID_Y_EN: 0
; COMPUTE_PGM_RSRC2:TGID_Z_EN: 0
; COMPUTE_PGM_RSRC2:TIDIG_COMP_CNT: 0
	.section	.text._ZN2at6native12_GLOBAL__N_125multi_tensor_apply_kernelINS1_18TensorListMetadataILi2EEENS1_14UnaryOpFunctorIdLi2ELi1ELi1EEEJNS0_7SigmoidIdEEEEEvT_T0_DpT1_,"axG",@progbits,_ZN2at6native12_GLOBAL__N_125multi_tensor_apply_kernelINS1_18TensorListMetadataILi2EEENS1_14UnaryOpFunctorIdLi2ELi1ELi1EEEJNS0_7SigmoidIdEEEEEvT_T0_DpT1_,comdat
	.globl	_ZN2at6native12_GLOBAL__N_125multi_tensor_apply_kernelINS1_18TensorListMetadataILi2EEENS1_14UnaryOpFunctorIdLi2ELi1ELi1EEEJNS0_7SigmoidIdEEEEEvT_T0_DpT1_ ; -- Begin function _ZN2at6native12_GLOBAL__N_125multi_tensor_apply_kernelINS1_18TensorListMetadataILi2EEENS1_14UnaryOpFunctorIdLi2ELi1ELi1EEEJNS0_7SigmoidIdEEEEEvT_T0_DpT1_
	.p2align	8
	.type	_ZN2at6native12_GLOBAL__N_125multi_tensor_apply_kernelINS1_18TensorListMetadataILi2EEENS1_14UnaryOpFunctorIdLi2ELi1ELi1EEEJNS0_7SigmoidIdEEEEEvT_T0_DpT1_,@function
_ZN2at6native12_GLOBAL__N_125multi_tensor_apply_kernelINS1_18TensorListMetadataILi2EEENS1_14UnaryOpFunctorIdLi2ELi1ELi1EEEJNS0_7SigmoidIdEEEEEvT_T0_DpT1_: ; @_ZN2at6native12_GLOBAL__N_125multi_tensor_apply_kernelINS1_18TensorListMetadataILi2EEENS1_14UnaryOpFunctorIdLi2ELi1ELi1EEEJNS0_7SigmoidIdEEEEEvT_T0_DpT1_
; %bb.0:
	v_mov_b32_e32 v1, s15
	s_add_u32 s2, s0, s15
	s_mul_hi_u32 s3, s15, 3
	s_mul_i32 s15, s15, 3
	s_addc_u32 s4, s1, 0
	global_load_u8 v1, v1, s[0:1] offset:1536
	s_add_u32 s2, s2, s15
	s_addc_u32 s3, s4, s3
	s_mov_b32 s7, 0
	s_load_b32 s2, s[2:3], 0x740
	s_mov_b32 s15, s7
	s_mov_b32 s21, s7
	s_waitcnt vmcnt(0)
	v_readfirstlane_b32 s3, v1
	s_delay_alu instid0(VALU_DEP_1)
	s_lshl_b32 s3, s3, 3
	s_clause 0x3
	s_load_b64 s[18:19], s[0:1], s3 offset:0x0
	s_load_b64 s[16:17], s[0:1], s3 offset:0x200
	;; [unrolled: 1-line block ×3, first 2 shown]
	s_load_b64 s[10:11], s[0:1], 0xc50
	s_waitcnt lgkmcnt(0)
	s_ashr_i32 s3, s2, 31
	s_delay_alu instid0(SALU_CYCLE_1) | instskip(NEXT) | instid1(SALU_CYCLE_1)
	s_lshl_b64 s[12:13], s[2:3], 19
	s_add_u32 s9, s18, s12
	s_addc_u32 s33, s19, s13
	s_and_b32 s6, s9, 31
	s_add_u32 s48, s16, s12
	s_addc_u32 s49, s17, s13
	s_and_b32 s14, s4, 3
	s_and_b32 s20, s48, 31
	s_or_b64 s[6:7], s[6:7], s[14:15]
	s_lshl_b64 s[2:3], s[2:3], 16
	s_or_b64 s[6:7], s[20:21], s[6:7]
	s_sub_u32 s14, s4, s2
	s_subb_u32 s15, s5, s3
	s_cmp_eq_u64 s[6:7], 0
	s_mov_b32 s2, -1
	s_cbranch_scc0 .LBB246_5
; %bb.1:
	v_dual_mov_b32 v2, 0 :: v_dual_lshlrev_b32 v1, 2, v0
	s_mov_b32 s50, exec_lo
	s_delay_alu instid0(VALU_DEP_1)
	v_cmpx_gt_i64_e64 s[14:15], v[1:2]
	s_cbranch_execz .LBB246_4
; %bb.2:
	s_load_b32 s2, s[0:1], 0xc64
	v_lshlrev_b32_e32 v3, 5, v0
	s_mov_b32 s20, 0x652b82fe
	s_mov_b32 s22, 0xfefa39ef
	;; [unrolled: 1-line block ×18, first 2 shown]
	s_waitcnt lgkmcnt(0)
	s_and_b32 s2, s2, 0xffff
	s_mov_b32 s31, 0x3ec71dee
	v_add_lshl_u32 v1, v0, s2, 2
	s_mov_b32 s35, 0x3efa0199
	s_mov_b32 s37, 0x3f2a01a0
	s_mov_b32 s39, 0x3f56c16c
	s_mov_b32 s41, 0x3f811111
	s_mov_b32 s43, 0x3fa55555
	s_mov_b32 s45, 0x3fc55555
	s_mov_b32 s47, 0x3fe00000
	s_mov_b32 s51, 0
	s_lshl_b32 s52, s2, 2
	s_lshl_b32 s53, s2, 5
.LBB246_3:                              ; =>This Inner Loop Header: Depth=1
	v_add_co_u32 v8, s2, s9, v3
	s_delay_alu instid0(VALU_DEP_1)
	v_add_co_ci_u32_e64 v9, null, s33, 0, s2
	s_clause 0x1
	global_load_b128 v[4:7], v[8:9], off
	global_load_b128 v[8:11], v[8:9], off offset:16
	s_waitcnt vmcnt(1)
	v_mul_f64 v[12:13], v[4:5], s[20:21]
	v_mul_f64 v[14:15], v[6:7], s[20:21]
	s_waitcnt vmcnt(0)
	v_mul_f64 v[16:17], v[8:9], s[20:21]
	v_mul_f64 v[18:19], v[10:11], s[20:21]
	v_cmp_ngt_f64_e32 vcc_lo, 0xc0900000, v[6:7]
	v_cmp_ngt_f64_e64 s4, 0xc0900000, v[4:5]
	v_cmp_ngt_f64_e64 s2, 0xc0900000, v[8:9]
	v_cmp_nlt_f64_e64 s5, 0x4090cc00, v[4:5]
	v_cmp_ngt_f64_e64 s3, 0xc0900000, v[10:11]
	v_cmp_nlt_f64_e64 s6, 0x4090cc00, v[6:7]
	v_cmp_nlt_f64_e64 s7, 0x4090cc00, v[8:9]
	;; [unrolled: 1-line block ×3, first 2 shown]
	v_rndne_f64_e32 v[12:13], v[12:13]
	v_rndne_f64_e32 v[14:15], v[14:15]
	;; [unrolled: 1-line block ×4, first 2 shown]
	s_delay_alu instid0(VALU_DEP_4) | instskip(NEXT) | instid1(VALU_DEP_4)
	v_fma_f64 v[20:21], v[12:13], s[22:23], -v[4:5]
	v_fma_f64 v[22:23], v[14:15], s[22:23], -v[6:7]
	s_delay_alu instid0(VALU_DEP_4) | instskip(NEXT) | instid1(VALU_DEP_4)
	v_fma_f64 v[24:25], v[16:17], s[22:23], -v[8:9]
	v_fma_f64 v[26:27], v[18:19], s[22:23], -v[10:11]
	v_cvt_i32_f64_e32 v36, v[12:13]
	v_cvt_i32_f64_e32 v37, v[14:15]
	;; [unrolled: 1-line block ×4, first 2 shown]
	v_fma_f64 v[20:21], v[12:13], s[24:25], v[20:21]
	v_fma_f64 v[22:23], v[14:15], s[24:25], v[22:23]
	;; [unrolled: 1-line block ×4, first 2 shown]
	s_delay_alu instid0(VALU_DEP_4) | instskip(NEXT) | instid1(VALU_DEP_4)
	v_fma_f64 v[28:29], v[20:21], s[28:29], s[26:27]
	v_fma_f64 v[30:31], v[22:23], s[28:29], s[26:27]
	s_delay_alu instid0(VALU_DEP_4) | instskip(NEXT) | instid1(VALU_DEP_4)
	v_fma_f64 v[32:33], v[24:25], s[28:29], s[26:27]
	v_fma_f64 v[34:35], v[26:27], s[28:29], s[26:27]
	s_delay_alu instid0(VALU_DEP_4) | instskip(NEXT) | instid1(VALU_DEP_4)
	v_fma_f64 v[28:29], v[20:21], v[28:29], s[30:31]
	v_fma_f64 v[30:31], v[22:23], v[30:31], s[30:31]
	s_delay_alu instid0(VALU_DEP_4) | instskip(NEXT) | instid1(VALU_DEP_4)
	v_fma_f64 v[32:33], v[24:25], v[32:33], s[30:31]
	v_fma_f64 v[34:35], v[26:27], v[34:35], s[30:31]
	s_delay_alu instid0(VALU_DEP_4) | instskip(NEXT) | instid1(VALU_DEP_4)
	v_fma_f64 v[28:29], v[20:21], v[28:29], s[34:35]
	v_fma_f64 v[30:31], v[22:23], v[30:31], s[34:35]
	s_delay_alu instid0(VALU_DEP_4) | instskip(NEXT) | instid1(VALU_DEP_4)
	v_fma_f64 v[32:33], v[24:25], v[32:33], s[34:35]
	v_fma_f64 v[34:35], v[26:27], v[34:35], s[34:35]
	s_delay_alu instid0(VALU_DEP_4) | instskip(NEXT) | instid1(VALU_DEP_4)
	v_fma_f64 v[28:29], v[20:21], v[28:29], s[36:37]
	v_fma_f64 v[30:31], v[22:23], v[30:31], s[36:37]
	s_delay_alu instid0(VALU_DEP_4) | instskip(NEXT) | instid1(VALU_DEP_4)
	v_fma_f64 v[32:33], v[24:25], v[32:33], s[36:37]
	v_fma_f64 v[34:35], v[26:27], v[34:35], s[36:37]
	s_delay_alu instid0(VALU_DEP_4) | instskip(NEXT) | instid1(VALU_DEP_4)
	v_fma_f64 v[28:29], v[20:21], v[28:29], s[38:39]
	v_fma_f64 v[30:31], v[22:23], v[30:31], s[38:39]
	s_delay_alu instid0(VALU_DEP_4) | instskip(NEXT) | instid1(VALU_DEP_4)
	v_fma_f64 v[32:33], v[24:25], v[32:33], s[38:39]
	v_fma_f64 v[34:35], v[26:27], v[34:35], s[38:39]
	s_delay_alu instid0(VALU_DEP_4) | instskip(NEXT) | instid1(VALU_DEP_4)
	v_fma_f64 v[28:29], v[20:21], v[28:29], s[40:41]
	v_fma_f64 v[30:31], v[22:23], v[30:31], s[40:41]
	s_delay_alu instid0(VALU_DEP_4) | instskip(NEXT) | instid1(VALU_DEP_4)
	v_fma_f64 v[32:33], v[24:25], v[32:33], s[40:41]
	v_fma_f64 v[34:35], v[26:27], v[34:35], s[40:41]
	s_delay_alu instid0(VALU_DEP_4) | instskip(NEXT) | instid1(VALU_DEP_4)
	v_fma_f64 v[28:29], v[20:21], v[28:29], s[42:43]
	v_fma_f64 v[30:31], v[22:23], v[30:31], s[42:43]
	s_delay_alu instid0(VALU_DEP_4) | instskip(NEXT) | instid1(VALU_DEP_4)
	v_fma_f64 v[32:33], v[24:25], v[32:33], s[42:43]
	v_fma_f64 v[34:35], v[26:27], v[34:35], s[42:43]
	s_delay_alu instid0(VALU_DEP_4) | instskip(NEXT) | instid1(VALU_DEP_4)
	v_fma_f64 v[28:29], v[20:21], v[28:29], s[44:45]
	v_fma_f64 v[30:31], v[22:23], v[30:31], s[44:45]
	s_delay_alu instid0(VALU_DEP_4) | instskip(NEXT) | instid1(VALU_DEP_4)
	v_fma_f64 v[32:33], v[24:25], v[32:33], s[44:45]
	v_fma_f64 v[34:35], v[26:27], v[34:35], s[44:45]
	s_delay_alu instid0(VALU_DEP_4) | instskip(NEXT) | instid1(VALU_DEP_4)
	v_fma_f64 v[28:29], v[20:21], v[28:29], s[46:47]
	v_fma_f64 v[30:31], v[22:23], v[30:31], s[46:47]
	s_delay_alu instid0(VALU_DEP_4) | instskip(NEXT) | instid1(VALU_DEP_4)
	v_fma_f64 v[32:33], v[24:25], v[32:33], s[46:47]
	v_fma_f64 v[34:35], v[26:27], v[34:35], s[46:47]
	s_delay_alu instid0(VALU_DEP_4) | instskip(NEXT) | instid1(VALU_DEP_4)
	v_fma_f64 v[28:29], v[20:21], v[28:29], 1.0
	v_fma_f64 v[30:31], v[22:23], v[30:31], 1.0
	s_delay_alu instid0(VALU_DEP_4) | instskip(NEXT) | instid1(VALU_DEP_4)
	v_fma_f64 v[32:33], v[24:25], v[32:33], 1.0
	v_fma_f64 v[34:35], v[26:27], v[34:35], 1.0
	;; [unrolled: 3-line block ×4, first 2 shown]
	s_delay_alu instid0(VALU_DEP_4) | instskip(NEXT) | instid1(VALU_DEP_4)
	v_ldexp_f64 v[12:13], v[12:13], v36
	v_ldexp_f64 v[14:15], v[14:15], v37
	s_delay_alu instid0(VALU_DEP_4) | instskip(NEXT) | instid1(VALU_DEP_4)
	v_ldexp_f64 v[16:17], v[16:17], v38
	v_ldexp_f64 v[18:19], v[18:19], v39
	s_delay_alu instid0(VALU_DEP_4) | instskip(NEXT) | instid1(VALU_DEP_4)
	v_cndmask_b32_e64 v13, 0x7ff00000, v13, s4
	v_cndmask_b32_e32 v4, 0x7ff00000, v15, vcc_lo
	s_delay_alu instid0(VALU_DEP_4) | instskip(SKIP_1) | instid1(VALU_DEP_4)
	v_cndmask_b32_e64 v6, 0x7ff00000, v17, s2
	s_and_b32 s4, s5, s4
	v_cndmask_b32_e64 v8, 0x7ff00000, v19, s3
	v_cndmask_b32_e64 v5, 0, v13, s5
	;; [unrolled: 1-line block ×4, first 2 shown]
	s_and_b32 vcc_lo, s6, vcc_lo
	v_cndmask_b32_e64 v9, 0, v6, s7
	v_cndmask_b32_e32 v6, 0, v14, vcc_lo
	s_and_b32 vcc_lo, s7, s2
	v_cndmask_b32_e64 v11, 0, v8, s8
	v_cndmask_b32_e32 v8, 0, v16, vcc_lo
	s_and_b32 vcc_lo, s8, s3
	v_add_f64 v[4:5], v[4:5], s[10:11]
	v_cndmask_b32_e32 v10, 0, v18, vcc_lo
	v_add_f64 v[6:7], v[6:7], s[10:11]
	v_add_f64 v[8:9], v[8:9], s[10:11]
	s_delay_alu instid0(VALU_DEP_3) | instskip(SKIP_1) | instid1(VALU_DEP_4)
	v_add_f64 v[10:11], v[10:11], s[10:11]
	v_div_scale_f64 v[12:13], null, v[4:5], v[4:5], s[10:11]
	v_div_scale_f64 v[14:15], null, v[6:7], v[6:7], s[10:11]
	s_delay_alu instid0(VALU_DEP_4) | instskip(NEXT) | instid1(VALU_DEP_4)
	v_div_scale_f64 v[16:17], null, v[8:9], v[8:9], s[10:11]
	v_div_scale_f64 v[18:19], null, v[10:11], v[10:11], s[10:11]
	v_div_scale_f64 v[36:37], vcc_lo, s[10:11], v[4:5], s[10:11]
	v_div_scale_f64 v[38:39], s2, s[10:11], v[6:7], s[10:11]
	v_div_scale_f64 v[40:41], s3, s[10:11], v[8:9], s[10:11]
	v_rcp_f64_e32 v[20:21], v[12:13]
	v_rcp_f64_e32 v[22:23], v[14:15]
	;; [unrolled: 1-line block ×3, first 2 shown]
	s_delay_alu instid0(VALU_DEP_4) | instskip(SKIP_1) | instid1(TRANS32_DEP_3)
	v_rcp_f64_e32 v[26:27], v[18:19]
	v_fma_f64 v[28:29], -v[12:13], v[20:21], 1.0
	v_fma_f64 v[30:31], -v[14:15], v[22:23], 1.0
	s_waitcnt_depctr 0xfff
	v_fma_f64 v[32:33], -v[16:17], v[24:25], 1.0
	v_fma_f64 v[34:35], -v[18:19], v[26:27], 1.0
	v_fma_f64 v[20:21], v[20:21], v[28:29], v[20:21]
	v_fma_f64 v[22:23], v[22:23], v[30:31], v[22:23]
	s_delay_alu instid0(VALU_DEP_4) | instskip(NEXT) | instid1(VALU_DEP_4)
	v_fma_f64 v[24:25], v[24:25], v[32:33], v[24:25]
	v_fma_f64 v[26:27], v[26:27], v[34:35], v[26:27]
	s_delay_alu instid0(VALU_DEP_4) | instskip(NEXT) | instid1(VALU_DEP_4)
	v_fma_f64 v[28:29], -v[12:13], v[20:21], 1.0
	v_fma_f64 v[30:31], -v[14:15], v[22:23], 1.0
	s_delay_alu instid0(VALU_DEP_4) | instskip(NEXT) | instid1(VALU_DEP_4)
	v_fma_f64 v[32:33], -v[16:17], v[24:25], 1.0
	v_fma_f64 v[34:35], -v[18:19], v[26:27], 1.0
	s_delay_alu instid0(VALU_DEP_4)
	v_fma_f64 v[20:21], v[20:21], v[28:29], v[20:21]
	v_div_scale_f64 v[28:29], s4, s[10:11], v[10:11], s[10:11]
	v_fma_f64 v[22:23], v[22:23], v[30:31], v[22:23]
	v_fma_f64 v[24:25], v[24:25], v[32:33], v[24:25]
	v_fma_f64 v[26:27], v[26:27], v[34:35], v[26:27]
	v_mul_f64 v[30:31], v[36:37], v[20:21]
	s_delay_alu instid0(VALU_DEP_4) | instskip(NEXT) | instid1(VALU_DEP_4)
	v_mul_f64 v[32:33], v[38:39], v[22:23]
	v_mul_f64 v[34:35], v[40:41], v[24:25]
	s_delay_alu instid0(VALU_DEP_4) | instskip(NEXT) | instid1(VALU_DEP_4)
	v_mul_f64 v[42:43], v[28:29], v[26:27]
	v_fma_f64 v[12:13], -v[12:13], v[30:31], v[36:37]
	s_delay_alu instid0(VALU_DEP_4) | instskip(NEXT) | instid1(VALU_DEP_4)
	v_fma_f64 v[14:15], -v[14:15], v[32:33], v[38:39]
	v_fma_f64 v[16:17], -v[16:17], v[34:35], v[40:41]
	s_delay_alu instid0(VALU_DEP_4) | instskip(NEXT) | instid1(VALU_DEP_4)
	v_fma_f64 v[18:19], -v[18:19], v[42:43], v[28:29]
	v_div_fmas_f64 v[12:13], v[12:13], v[20:21], v[30:31]
	s_mov_b32 vcc_lo, s2
	v_cmp_lt_u64_e64 s2, 0xffff, v[1:2]
	v_div_fmas_f64 v[14:15], v[14:15], v[22:23], v[32:33]
	s_mov_b32 vcc_lo, s3
	v_div_fmas_f64 v[16:17], v[16:17], v[24:25], v[34:35]
	s_mov_b32 vcc_lo, s4
	v_div_fmas_f64 v[18:19], v[18:19], v[26:27], v[42:43]
	v_cmp_le_i64_e32 vcc_lo, s[14:15], v[1:2]
	s_or_b32 s2, vcc_lo, s2
	s_add_u32 s9, s9, s53
	s_addc_u32 s33, s33, 0
	v_div_fixup_f64 v[4:5], v[12:13], v[4:5], s[10:11]
	v_add_co_u32 v12, s3, s48, v3
	v_div_fixup_f64 v[6:7], v[14:15], v[6:7], s[10:11]
	v_add_co_ci_u32_e64 v13, null, s49, 0, s3
	v_div_fixup_f64 v[8:9], v[16:17], v[8:9], s[10:11]
	v_add_co_u32 v1, s3, v1, s52
	v_div_fixup_f64 v[10:11], v[18:19], v[10:11], s[10:11]
	s_add_u32 s48, s48, s53
	v_add_co_ci_u32_e64 v2, s3, 0, v2, s3
	s_addc_u32 s49, s49, 0
	s_and_b32 s2, exec_lo, s2
	s_clause 0x1
	global_store_b128 v[12:13], v[4:7], off
	global_store_b128 v[12:13], v[8:11], off offset:16
	s_or_b32 s51, s2, s51
	s_delay_alu instid0(SALU_CYCLE_1)
	s_and_not1_b32 exec_lo, exec_lo, s51
	s_cbranch_execnz .LBB246_3
.LBB246_4:
	s_or_b32 exec_lo, exec_lo, s50
	s_mov_b32 s2, 0
.LBB246_5:
	s_delay_alu instid0(SALU_CYCLE_1)
	s_and_not1_b32 vcc_lo, exec_lo, s2
	s_cbranch_vccnz .LBB246_25
; %bb.6:
	v_cmp_lt_i64_e64 s2, s[14:15], 1
	s_delay_alu instid0(VALU_DEP_1)
	s_and_b32 vcc_lo, exec_lo, s2
	s_cbranch_vccnz .LBB246_25
; %bb.7:
	s_load_b32 s0, s[0:1], 0xc64
	v_dual_mov_b32 v2, 0 :: v_dual_lshlrev_b32 v1, 3, v0
	v_cmp_gt_u64_e64 s1, 0x10000, s[14:15]
	s_mov_b32 s6, 0x652b82fe
	s_mov_b32 s8, 0xfefa39ef
	s_delay_alu instid0(VALU_DEP_2) | instskip(NEXT) | instid1(VALU_DEP_1)
	v_add_co_u32 v9, s2, s18, v1
	v_add_co_ci_u32_e64 v10, null, s19, 0, s2
	v_add_co_u32 v11, s2, s16, v1
	s_delay_alu instid0(VALU_DEP_1)
	v_add_co_ci_u32_e64 v12, null, s17, 0, s2
	s_mov_b32 s20, 0xfca7ab0c
	s_mov_b32 s22, 0x6a5dcb37
	;; [unrolled: 1-line block ×6, first 2 shown]
	s_waitcnt lgkmcnt(0)
	s_and_b32 s0, s0, 0xffff
	s_and_b32 s1, s1, exec_lo
	v_mad_u64_u32 v[3:4], null, s0, 24, v[1:2]
	s_cselect_b32 s5, s15, 0
	s_cselect_b32 s4, s14, 0x10000
	s_lshl_b32 s3, s0, 4
	s_mul_i32 s2, s0, 3
	v_add_co_u32 v1, s3, s3, v1
	s_delay_alu instid0(VALU_DEP_2) | instskip(NEXT) | instid1(VALU_DEP_3)
	v_add_co_u32 v13, vcc_lo, s18, v3
	v_add_co_ci_u32_e32 v14, vcc_lo, s19, v4, vcc_lo
	v_add_co_u32 v17, s2, s2, v0
	v_add_co_u32 v15, vcc_lo, s16, v3
	v_add_co_ci_u32_e64 v2, null, 0, 0, s3
	v_add_co_ci_u32_e64 v18, null, 0, 0, s2
	v_add_co_u32 v21, s2, v0, s0
	v_add_co_ci_u32_e32 v16, vcc_lo, s17, v4, vcc_lo
	v_add_co_u32 v19, vcc_lo, s18, v1
	v_add_co_ci_u32_e32 v20, vcc_lo, s19, v2, vcc_lo
	v_add_co_u32 v22, vcc_lo, s16, v1
	v_lshlrev_b32_e32 v1, 3, v21
	s_lshl_b32 s1, s0, 1
	v_add_co_ci_u32_e32 v23, vcc_lo, s17, v2, vcc_lo
	v_add_co_u32 v25, s1, s1, v0
	s_delay_alu instid0(VALU_DEP_1) | instskip(SKIP_1) | instid1(VALU_DEP_1)
	v_add_co_ci_u32_e64 v26, null, 0, 0, s1
	v_add_co_u32 v27, s1, s18, v1
	v_add_co_ci_u32_e64 v28, null, s19, 0, s1
	v_add_co_u32 v29, s1, s16, v1
	v_add_co_ci_u32_e64 v24, null, 0, 0, s2
	v_add_co_ci_u32_e64 v30, null, s17, 0, s1
	s_mov_b32 s18, 0x3b39803f
	s_mov_b32 s34, 0x11122322
	;; [unrolled: 1-line block ×18, first 2 shown]
	s_lshl_b32 s33, s0, 2
	s_lshl_b32 s42, s0, 5
	s_mov_b64 s[16:17], 0
	s_branch .LBB246_9
.LBB246_8:                              ;   in Loop: Header=BB246_9 Depth=1
	s_or_b32 exec_lo, exec_lo, s1
	v_add_co_u32 v9, vcc_lo, v9, s42
	v_add_co_ci_u32_e32 v10, vcc_lo, 0, v10, vcc_lo
	v_add_co_u32 v11, vcc_lo, v11, s42
	v_add_co_ci_u32_e32 v12, vcc_lo, 0, v12, vcc_lo
	;; [unrolled: 2-line block ×5, first 2 shown]
	s_add_u32 s16, s16, s33
	v_add_co_u32 v22, vcc_lo, v22, s42
	s_addc_u32 s17, s17, 0
	v_add_co_ci_u32_e32 v23, vcc_lo, 0, v23, vcc_lo
	v_cmp_ge_i64_e64 s0, s[16:17], s[14:15]
	v_cmp_lt_u64_e64 s1, 0xffff, s[16:17]
	v_add_co_u32 v27, vcc_lo, v27, s42
	v_add_co_ci_u32_e32 v28, vcc_lo, 0, v28, vcc_lo
	v_add_co_u32 v29, vcc_lo, v29, s42
	v_add_co_ci_u32_e32 v30, vcc_lo, 0, v30, vcc_lo
	s_or_b32 s0, s0, s1
	s_delay_alu instid0(SALU_CYCLE_1)
	s_and_b32 vcc_lo, exec_lo, s0
	s_cbranch_vccnz .LBB246_25
.LBB246_9:                              ; =>This Inner Loop Header: Depth=1
	s_waitcnt vmcnt(0)
	v_add_co_u32 v1, s0, v0, s16
	s_delay_alu instid0(VALU_DEP_1) | instskip(SKIP_2) | instid1(VALU_DEP_3)
	v_add_co_ci_u32_e64 v2, null, 0, s17, s0
	v_mov_b32_e32 v5, 0
	v_mov_b32_e32 v6, 0
	v_cmp_gt_u64_e32 vcc_lo, s[4:5], v[1:2]
	s_delay_alu instid0(VALU_DEP_2)
	v_dual_mov_b32 v8, v6 :: v_dual_mov_b32 v7, v5
	s_and_saveexec_b32 s1, vcc_lo
	s_cbranch_execz .LBB246_11
; %bb.10:                               ;   in Loop: Header=BB246_9 Depth=1
	v_add_co_u32 v1, s0, v9, s12
	s_delay_alu instid0(VALU_DEP_1)
	v_add_co_ci_u32_e64 v2, s0, s13, v10, s0
	global_load_b64 v[7:8], v[1:2], off
.LBB246_11:                             ;   in Loop: Header=BB246_9 Depth=1
	s_or_b32 exec_lo, exec_lo, s1
	v_add_co_u32 v1, s0, v21, s16
	s_delay_alu instid0(VALU_DEP_1) | instskip(NEXT) | instid1(VALU_DEP_1)
	v_add_co_ci_u32_e64 v2, s0, s17, v24, s0
	v_cmp_gt_u64_e64 s2, s[4:5], v[1:2]
	s_delay_alu instid0(VALU_DEP_1)
	s_and_saveexec_b32 s1, s2
	s_cbranch_execz .LBB246_13
; %bb.12:                               ;   in Loop: Header=BB246_9 Depth=1
	v_add_co_u32 v1, s0, v27, s12
	s_delay_alu instid0(VALU_DEP_1)
	v_add_co_ci_u32_e64 v2, s0, s13, v28, s0
	global_load_b64 v[5:6], v[1:2], off
.LBB246_13:                             ;   in Loop: Header=BB246_9 Depth=1
	s_or_b32 exec_lo, exec_lo, s1
	v_add_co_u32 v3, s0, v25, s16
	s_delay_alu instid0(VALU_DEP_1) | instskip(SKIP_2) | instid1(VALU_DEP_3)
	v_add_co_ci_u32_e64 v4, s0, s17, v26, s0
	v_mov_b32_e32 v1, 0
	v_mov_b32_e32 v2, 0
	v_cmp_gt_u64_e64 s1, s[4:5], v[3:4]
	s_delay_alu instid0(VALU_DEP_2) | instskip(NEXT) | instid1(VALU_DEP_2)
	v_dual_mov_b32 v4, v2 :: v_dual_mov_b32 v3, v1
	s_and_saveexec_b32 s3, s1
	s_cbranch_execz .LBB246_15
; %bb.14:                               ;   in Loop: Header=BB246_9 Depth=1
	v_add_co_u32 v3, s0, v19, s12
	s_delay_alu instid0(VALU_DEP_1)
	v_add_co_ci_u32_e64 v4, s0, s13, v20, s0
	global_load_b64 v[3:4], v[3:4], off
.LBB246_15:                             ;   in Loop: Header=BB246_9 Depth=1
	s_or_b32 exec_lo, exec_lo, s3
	v_add_co_u32 v31, s0, v17, s16
	s_delay_alu instid0(VALU_DEP_1) | instskip(NEXT) | instid1(VALU_DEP_1)
	v_add_co_ci_u32_e64 v32, s0, s17, v18, s0
	v_cmp_gt_u64_e64 s0, s[4:5], v[31:32]
	s_delay_alu instid0(VALU_DEP_1)
	s_and_saveexec_b32 s43, s0
	s_cbranch_execnz .LBB246_20
; %bb.16:                               ;   in Loop: Header=BB246_9 Depth=1
	s_or_b32 exec_lo, exec_lo, s43
	s_and_saveexec_b32 s43, vcc_lo
	s_cbranch_execnz .LBB246_21
.LBB246_17:                             ;   in Loop: Header=BB246_9 Depth=1
	s_or_b32 exec_lo, exec_lo, s43
	s_and_saveexec_b32 s3, s2
	s_cbranch_execnz .LBB246_22
.LBB246_18:                             ;   in Loop: Header=BB246_9 Depth=1
	s_or_b32 exec_lo, exec_lo, s3
	s_and_saveexec_b32 s2, s1
	s_cbranch_execnz .LBB246_23
.LBB246_19:                             ;   in Loop: Header=BB246_9 Depth=1
	s_or_b32 exec_lo, exec_lo, s2
	s_and_saveexec_b32 s1, s0
	s_cbranch_execz .LBB246_8
	s_branch .LBB246_24
.LBB246_20:                             ;   in Loop: Header=BB246_9 Depth=1
	v_add_co_u32 v1, s3, v13, s12
	s_delay_alu instid0(VALU_DEP_1)
	v_add_co_ci_u32_e64 v2, s3, s13, v14, s3
	global_load_b64 v[1:2], v[1:2], off
	s_or_b32 exec_lo, exec_lo, s43
	s_and_saveexec_b32 s43, vcc_lo
	s_cbranch_execz .LBB246_17
.LBB246_21:                             ;   in Loop: Header=BB246_9 Depth=1
	s_waitcnt vmcnt(0)
	v_mul_f64 v[31:32], v[7:8], s[6:7]
	v_cmp_ngt_f64_e32 vcc_lo, 0xc0900000, v[7:8]
	v_cmp_nlt_f64_e64 s3, 0x4090cc00, v[7:8]
	s_delay_alu instid0(VALU_DEP_3) | instskip(NEXT) | instid1(VALU_DEP_1)
	v_rndne_f64_e32 v[31:32], v[31:32]
	v_fma_f64 v[33:34], v[31:32], s[8:9], -v[7:8]
	v_cvt_i32_f64_e32 v37, v[31:32]
	s_delay_alu instid0(VALU_DEP_2) | instskip(NEXT) | instid1(VALU_DEP_1)
	v_fma_f64 v[33:34], v[31:32], s[18:19], v[33:34]
	v_fma_f64 v[35:36], v[33:34], s[22:23], s[20:21]
	s_delay_alu instid0(VALU_DEP_1) | instskip(NEXT) | instid1(VALU_DEP_1)
	v_fma_f64 v[35:36], v[33:34], v[35:36], s[24:25]
	v_fma_f64 v[35:36], v[33:34], v[35:36], s[26:27]
	s_delay_alu instid0(VALU_DEP_1) | instskip(NEXT) | instid1(VALU_DEP_1)
	;; [unrolled: 3-line block ×5, first 2 shown]
	v_fma_f64 v[35:36], v[33:34], v[35:36], 1.0
	v_fma_f64 v[31:32], v[33:34], v[35:36], 1.0
	s_delay_alu instid0(VALU_DEP_1) | instskip(NEXT) | instid1(VALU_DEP_1)
	v_ldexp_f64 v[31:32], v[31:32], v37
	v_cndmask_b32_e32 v32, 0x7ff00000, v32, vcc_lo
	s_and_b32 vcc_lo, s3, vcc_lo
	s_delay_alu instid0(VALU_DEP_2) | instskip(NEXT) | instid1(VALU_DEP_2)
	v_cndmask_b32_e32 v7, 0, v31, vcc_lo
	v_cndmask_b32_e64 v8, 0, v32, s3
	s_delay_alu instid0(VALU_DEP_1) | instskip(NEXT) | instid1(VALU_DEP_1)
	v_add_f64 v[7:8], v[7:8], s[10:11]
	v_div_scale_f64 v[31:32], null, v[7:8], v[7:8], s[10:11]
	s_delay_alu instid0(VALU_DEP_1) | instskip(SKIP_2) | instid1(VALU_DEP_1)
	v_rcp_f64_e32 v[33:34], v[31:32]
	s_waitcnt_depctr 0xfff
	v_fma_f64 v[35:36], -v[31:32], v[33:34], 1.0
	v_fma_f64 v[33:34], v[33:34], v[35:36], v[33:34]
	s_delay_alu instid0(VALU_DEP_1) | instskip(NEXT) | instid1(VALU_DEP_1)
	v_fma_f64 v[35:36], -v[31:32], v[33:34], 1.0
	v_fma_f64 v[33:34], v[33:34], v[35:36], v[33:34]
	v_div_scale_f64 v[35:36], vcc_lo, s[10:11], v[7:8], s[10:11]
	s_delay_alu instid0(VALU_DEP_1) | instskip(NEXT) | instid1(VALU_DEP_1)
	v_mul_f64 v[37:38], v[35:36], v[33:34]
	v_fma_f64 v[31:32], -v[31:32], v[37:38], v[35:36]
	s_delay_alu instid0(VALU_DEP_1) | instskip(NEXT) | instid1(VALU_DEP_1)
	v_div_fmas_f64 v[31:32], v[31:32], v[33:34], v[37:38]
	v_div_fixup_f64 v[7:8], v[31:32], v[7:8], s[10:11]
	v_add_co_u32 v31, vcc_lo, v11, s12
	v_add_co_ci_u32_e32 v32, vcc_lo, s13, v12, vcc_lo
	global_store_b64 v[31:32], v[7:8], off
	s_or_b32 exec_lo, exec_lo, s43
	s_and_saveexec_b32 s3, s2
	s_cbranch_execz .LBB246_18
.LBB246_22:                             ;   in Loop: Header=BB246_9 Depth=1
	s_waitcnt vmcnt(0)
	v_mul_f64 v[7:8], v[5:6], s[6:7]
	v_cmp_ngt_f64_e32 vcc_lo, 0xc0900000, v[5:6]
	v_cmp_nlt_f64_e64 s2, 0x4090cc00, v[5:6]
	s_delay_alu instid0(VALU_DEP_3) | instskip(NEXT) | instid1(VALU_DEP_1)
	v_rndne_f64_e32 v[7:8], v[7:8]
	v_fma_f64 v[31:32], v[7:8], s[8:9], -v[5:6]
	v_cvt_i32_f64_e32 v35, v[7:8]
	s_delay_alu instid0(VALU_DEP_2) | instskip(NEXT) | instid1(VALU_DEP_1)
	v_fma_f64 v[31:32], v[7:8], s[18:19], v[31:32]
	v_fma_f64 v[33:34], v[31:32], s[22:23], s[20:21]
	s_delay_alu instid0(VALU_DEP_1) | instskip(NEXT) | instid1(VALU_DEP_1)
	v_fma_f64 v[33:34], v[31:32], v[33:34], s[24:25]
	v_fma_f64 v[33:34], v[31:32], v[33:34], s[26:27]
	s_delay_alu instid0(VALU_DEP_1) | instskip(NEXT) | instid1(VALU_DEP_1)
	;; [unrolled: 3-line block ×5, first 2 shown]
	v_fma_f64 v[33:34], v[31:32], v[33:34], 1.0
	v_fma_f64 v[7:8], v[31:32], v[33:34], 1.0
	s_delay_alu instid0(VALU_DEP_1) | instskip(NEXT) | instid1(VALU_DEP_1)
	v_ldexp_f64 v[7:8], v[7:8], v35
	v_cndmask_b32_e32 v8, 0x7ff00000, v8, vcc_lo
	s_and_b32 vcc_lo, s2, vcc_lo
	s_delay_alu instid0(VALU_DEP_2) | instskip(NEXT) | instid1(VALU_DEP_2)
	v_cndmask_b32_e32 v5, 0, v7, vcc_lo
	v_cndmask_b32_e64 v6, 0, v8, s2
	s_delay_alu instid0(VALU_DEP_1) | instskip(NEXT) | instid1(VALU_DEP_1)
	v_add_f64 v[5:6], v[5:6], s[10:11]
	v_div_scale_f64 v[7:8], null, v[5:6], v[5:6], s[10:11]
	s_delay_alu instid0(VALU_DEP_1) | instskip(SKIP_2) | instid1(VALU_DEP_1)
	v_rcp_f64_e32 v[31:32], v[7:8]
	s_waitcnt_depctr 0xfff
	v_fma_f64 v[33:34], -v[7:8], v[31:32], 1.0
	v_fma_f64 v[31:32], v[31:32], v[33:34], v[31:32]
	s_delay_alu instid0(VALU_DEP_1) | instskip(NEXT) | instid1(VALU_DEP_1)
	v_fma_f64 v[33:34], -v[7:8], v[31:32], 1.0
	v_fma_f64 v[31:32], v[31:32], v[33:34], v[31:32]
	v_div_scale_f64 v[33:34], vcc_lo, s[10:11], v[5:6], s[10:11]
	s_delay_alu instid0(VALU_DEP_1) | instskip(NEXT) | instid1(VALU_DEP_1)
	v_mul_f64 v[35:36], v[33:34], v[31:32]
	v_fma_f64 v[7:8], -v[7:8], v[35:36], v[33:34]
	s_delay_alu instid0(VALU_DEP_1) | instskip(NEXT) | instid1(VALU_DEP_1)
	v_div_fmas_f64 v[7:8], v[7:8], v[31:32], v[35:36]
	v_div_fixup_f64 v[5:6], v[7:8], v[5:6], s[10:11]
	v_add_co_u32 v7, vcc_lo, v29, s12
	v_add_co_ci_u32_e32 v8, vcc_lo, s13, v30, vcc_lo
	global_store_b64 v[7:8], v[5:6], off
	s_or_b32 exec_lo, exec_lo, s3
	s_and_saveexec_b32 s2, s1
	s_cbranch_execz .LBB246_19
.LBB246_23:                             ;   in Loop: Header=BB246_9 Depth=1
	s_waitcnt vmcnt(0)
	v_mul_f64 v[5:6], v[3:4], s[6:7]
	v_cmp_ngt_f64_e32 vcc_lo, 0xc0900000, v[3:4]
	v_cmp_nlt_f64_e64 s1, 0x4090cc00, v[3:4]
	s_delay_alu instid0(VALU_DEP_3) | instskip(NEXT) | instid1(VALU_DEP_1)
	v_rndne_f64_e32 v[5:6], v[5:6]
	v_fma_f64 v[7:8], v[5:6], s[8:9], -v[3:4]
	v_cvt_i32_f64_e32 v33, v[5:6]
	s_delay_alu instid0(VALU_DEP_2) | instskip(NEXT) | instid1(VALU_DEP_1)
	v_fma_f64 v[7:8], v[5:6], s[18:19], v[7:8]
	v_fma_f64 v[31:32], v[7:8], s[22:23], s[20:21]
	s_delay_alu instid0(VALU_DEP_1) | instskip(NEXT) | instid1(VALU_DEP_1)
	v_fma_f64 v[31:32], v[7:8], v[31:32], s[24:25]
	v_fma_f64 v[31:32], v[7:8], v[31:32], s[26:27]
	s_delay_alu instid0(VALU_DEP_1) | instskip(NEXT) | instid1(VALU_DEP_1)
	;; [unrolled: 3-line block ×5, first 2 shown]
	v_fma_f64 v[31:32], v[7:8], v[31:32], 1.0
	v_fma_f64 v[5:6], v[7:8], v[31:32], 1.0
	s_delay_alu instid0(VALU_DEP_1) | instskip(NEXT) | instid1(VALU_DEP_1)
	v_ldexp_f64 v[5:6], v[5:6], v33
	v_cndmask_b32_e32 v6, 0x7ff00000, v6, vcc_lo
	s_and_b32 vcc_lo, s1, vcc_lo
	s_delay_alu instid0(VALU_DEP_2) | instskip(NEXT) | instid1(VALU_DEP_2)
	v_cndmask_b32_e32 v3, 0, v5, vcc_lo
	v_cndmask_b32_e64 v4, 0, v6, s1
	s_delay_alu instid0(VALU_DEP_1) | instskip(NEXT) | instid1(VALU_DEP_1)
	v_add_f64 v[3:4], v[3:4], s[10:11]
	v_div_scale_f64 v[5:6], null, v[3:4], v[3:4], s[10:11]
	s_delay_alu instid0(VALU_DEP_1) | instskip(SKIP_2) | instid1(VALU_DEP_1)
	v_rcp_f64_e32 v[7:8], v[5:6]
	s_waitcnt_depctr 0xfff
	v_fma_f64 v[31:32], -v[5:6], v[7:8], 1.0
	v_fma_f64 v[7:8], v[7:8], v[31:32], v[7:8]
	s_delay_alu instid0(VALU_DEP_1) | instskip(NEXT) | instid1(VALU_DEP_1)
	v_fma_f64 v[31:32], -v[5:6], v[7:8], 1.0
	v_fma_f64 v[7:8], v[7:8], v[31:32], v[7:8]
	v_div_scale_f64 v[31:32], vcc_lo, s[10:11], v[3:4], s[10:11]
	s_delay_alu instid0(VALU_DEP_1) | instskip(NEXT) | instid1(VALU_DEP_1)
	v_mul_f64 v[33:34], v[31:32], v[7:8]
	v_fma_f64 v[5:6], -v[5:6], v[33:34], v[31:32]
	s_delay_alu instid0(VALU_DEP_1) | instskip(NEXT) | instid1(VALU_DEP_1)
	v_div_fmas_f64 v[5:6], v[5:6], v[7:8], v[33:34]
	v_div_fixup_f64 v[3:4], v[5:6], v[3:4], s[10:11]
	v_add_co_u32 v5, vcc_lo, v22, s12
	v_add_co_ci_u32_e32 v6, vcc_lo, s13, v23, vcc_lo
	global_store_b64 v[5:6], v[3:4], off
	s_or_b32 exec_lo, exec_lo, s2
	s_and_saveexec_b32 s1, s0
	s_cbranch_execz .LBB246_8
.LBB246_24:                             ;   in Loop: Header=BB246_9 Depth=1
	s_waitcnt vmcnt(0)
	v_mul_f64 v[3:4], v[1:2], s[6:7]
	v_cmp_ngt_f64_e32 vcc_lo, 0xc0900000, v[1:2]
	v_cmp_nlt_f64_e64 s0, 0x4090cc00, v[1:2]
	s_delay_alu instid0(VALU_DEP_3) | instskip(NEXT) | instid1(VALU_DEP_1)
	v_rndne_f64_e32 v[3:4], v[3:4]
	v_fma_f64 v[5:6], v[3:4], s[8:9], -v[1:2]
	v_cvt_i32_f64_e32 v31, v[3:4]
	s_delay_alu instid0(VALU_DEP_2) | instskip(NEXT) | instid1(VALU_DEP_1)
	v_fma_f64 v[5:6], v[3:4], s[18:19], v[5:6]
	v_fma_f64 v[7:8], v[5:6], s[22:23], s[20:21]
	s_delay_alu instid0(VALU_DEP_1) | instskip(NEXT) | instid1(VALU_DEP_1)
	v_fma_f64 v[7:8], v[5:6], v[7:8], s[24:25]
	v_fma_f64 v[7:8], v[5:6], v[7:8], s[26:27]
	s_delay_alu instid0(VALU_DEP_1) | instskip(NEXT) | instid1(VALU_DEP_1)
	v_fma_f64 v[7:8], v[5:6], v[7:8], s[28:29]
	v_fma_f64 v[7:8], v[5:6], v[7:8], s[30:31]
	s_delay_alu instid0(VALU_DEP_1) | instskip(NEXT) | instid1(VALU_DEP_1)
	v_fma_f64 v[7:8], v[5:6], v[7:8], s[34:35]
	v_fma_f64 v[7:8], v[5:6], v[7:8], s[36:37]
	s_delay_alu instid0(VALU_DEP_1) | instskip(NEXT) | instid1(VALU_DEP_1)
	v_fma_f64 v[7:8], v[5:6], v[7:8], s[38:39]
	v_fma_f64 v[7:8], v[5:6], v[7:8], s[40:41]
	s_delay_alu instid0(VALU_DEP_1) | instskip(NEXT) | instid1(VALU_DEP_1)
	v_fma_f64 v[7:8], v[5:6], v[7:8], 1.0
	v_fma_f64 v[3:4], v[5:6], v[7:8], 1.0
	s_delay_alu instid0(VALU_DEP_1) | instskip(NEXT) | instid1(VALU_DEP_1)
	v_ldexp_f64 v[3:4], v[3:4], v31
	v_cndmask_b32_e32 v4, 0x7ff00000, v4, vcc_lo
	s_and_b32 vcc_lo, s0, vcc_lo
	s_delay_alu instid0(VALU_DEP_2) | instskip(NEXT) | instid1(VALU_DEP_2)
	v_cndmask_b32_e32 v1, 0, v3, vcc_lo
	v_cndmask_b32_e64 v2, 0, v4, s0
	s_delay_alu instid0(VALU_DEP_1) | instskip(NEXT) | instid1(VALU_DEP_1)
	v_add_f64 v[1:2], v[1:2], s[10:11]
	v_div_scale_f64 v[3:4], null, v[1:2], v[1:2], s[10:11]
	s_delay_alu instid0(VALU_DEP_1) | instskip(SKIP_2) | instid1(VALU_DEP_1)
	v_rcp_f64_e32 v[5:6], v[3:4]
	s_waitcnt_depctr 0xfff
	v_fma_f64 v[7:8], -v[3:4], v[5:6], 1.0
	v_fma_f64 v[5:6], v[5:6], v[7:8], v[5:6]
	s_delay_alu instid0(VALU_DEP_1) | instskip(NEXT) | instid1(VALU_DEP_1)
	v_fma_f64 v[7:8], -v[3:4], v[5:6], 1.0
	v_fma_f64 v[5:6], v[5:6], v[7:8], v[5:6]
	v_div_scale_f64 v[7:8], vcc_lo, s[10:11], v[1:2], s[10:11]
	s_delay_alu instid0(VALU_DEP_1) | instskip(NEXT) | instid1(VALU_DEP_1)
	v_mul_f64 v[31:32], v[7:8], v[5:6]
	v_fma_f64 v[3:4], -v[3:4], v[31:32], v[7:8]
	s_delay_alu instid0(VALU_DEP_1) | instskip(NEXT) | instid1(VALU_DEP_1)
	v_div_fmas_f64 v[3:4], v[3:4], v[5:6], v[31:32]
	v_div_fixup_f64 v[1:2], v[3:4], v[1:2], s[10:11]
	v_add_co_u32 v3, vcc_lo, v15, s12
	v_add_co_ci_u32_e32 v4, vcc_lo, s13, v16, vcc_lo
	global_store_b64 v[3:4], v[1:2], off
	s_branch .LBB246_8
.LBB246_25:
	s_nop 0
	s_sendmsg sendmsg(MSG_DEALLOC_VGPRS)
	s_endpgm
	.section	.rodata,"a",@progbits
	.p2align	6, 0x0
	.amdhsa_kernel _ZN2at6native12_GLOBAL__N_125multi_tensor_apply_kernelINS1_18TensorListMetadataILi2EEENS1_14UnaryOpFunctorIdLi2ELi1ELi1EEEJNS0_7SigmoidIdEEEEEvT_T0_DpT1_
		.amdhsa_group_segment_fixed_size 0
		.amdhsa_private_segment_fixed_size 0
		.amdhsa_kernarg_size 3416
		.amdhsa_user_sgpr_count 15
		.amdhsa_user_sgpr_dispatch_ptr 0
		.amdhsa_user_sgpr_queue_ptr 0
		.amdhsa_user_sgpr_kernarg_segment_ptr 1
		.amdhsa_user_sgpr_dispatch_id 0
		.amdhsa_user_sgpr_private_segment_size 0
		.amdhsa_wavefront_size32 1
		.amdhsa_uses_dynamic_stack 0
		.amdhsa_enable_private_segment 0
		.amdhsa_system_sgpr_workgroup_id_x 1
		.amdhsa_system_sgpr_workgroup_id_y 0
		.amdhsa_system_sgpr_workgroup_id_z 0
		.amdhsa_system_sgpr_workgroup_info 0
		.amdhsa_system_vgpr_workitem_id 0
		.amdhsa_next_free_vgpr 44
		.amdhsa_next_free_sgpr 54
		.amdhsa_reserve_vcc 1
		.amdhsa_float_round_mode_32 0
		.amdhsa_float_round_mode_16_64 0
		.amdhsa_float_denorm_mode_32 3
		.amdhsa_float_denorm_mode_16_64 3
		.amdhsa_dx10_clamp 1
		.amdhsa_ieee_mode 1
		.amdhsa_fp16_overflow 0
		.amdhsa_workgroup_processor_mode 1
		.amdhsa_memory_ordered 1
		.amdhsa_forward_progress 0
		.amdhsa_shared_vgpr_count 0
		.amdhsa_exception_fp_ieee_invalid_op 0
		.amdhsa_exception_fp_denorm_src 0
		.amdhsa_exception_fp_ieee_div_zero 0
		.amdhsa_exception_fp_ieee_overflow 0
		.amdhsa_exception_fp_ieee_underflow 0
		.amdhsa_exception_fp_ieee_inexact 0
		.amdhsa_exception_int_div_zero 0
	.end_amdhsa_kernel
	.section	.text._ZN2at6native12_GLOBAL__N_125multi_tensor_apply_kernelINS1_18TensorListMetadataILi2EEENS1_14UnaryOpFunctorIdLi2ELi1ELi1EEEJNS0_7SigmoidIdEEEEEvT_T0_DpT1_,"axG",@progbits,_ZN2at6native12_GLOBAL__N_125multi_tensor_apply_kernelINS1_18TensorListMetadataILi2EEENS1_14UnaryOpFunctorIdLi2ELi1ELi1EEEJNS0_7SigmoidIdEEEEEvT_T0_DpT1_,comdat
.Lfunc_end246:
	.size	_ZN2at6native12_GLOBAL__N_125multi_tensor_apply_kernelINS1_18TensorListMetadataILi2EEENS1_14UnaryOpFunctorIdLi2ELi1ELi1EEEJNS0_7SigmoidIdEEEEEvT_T0_DpT1_, .Lfunc_end246-_ZN2at6native12_GLOBAL__N_125multi_tensor_apply_kernelINS1_18TensorListMetadataILi2EEENS1_14UnaryOpFunctorIdLi2ELi1ELi1EEEJNS0_7SigmoidIdEEEEEvT_T0_DpT1_
                                        ; -- End function
	.section	.AMDGPU.csdata,"",@progbits
; Kernel info:
; codeLenInByte = 4372
; NumSgprs: 56
; NumVgprs: 44
; ScratchSize: 0
; MemoryBound: 0
; FloatMode: 240
; IeeeMode: 1
; LDSByteSize: 0 bytes/workgroup (compile time only)
; SGPRBlocks: 6
; VGPRBlocks: 5
; NumSGPRsForWavesPerEU: 56
; NumVGPRsForWavesPerEU: 44
; Occupancy: 16
; WaveLimiterHint : 0
; COMPUTE_PGM_RSRC2:SCRATCH_EN: 0
; COMPUTE_PGM_RSRC2:USER_SGPR: 15
; COMPUTE_PGM_RSRC2:TRAP_HANDLER: 0
; COMPUTE_PGM_RSRC2:TGID_X_EN: 1
; COMPUTE_PGM_RSRC2:TGID_Y_EN: 0
; COMPUTE_PGM_RSRC2:TGID_Z_EN: 0
; COMPUTE_PGM_RSRC2:TIDIG_COMP_CNT: 0
	.section	.text._ZN2at6native12_GLOBAL__N_125multi_tensor_apply_kernelINS1_18TensorListMetadataILi2EEENS1_14UnaryOpFunctorIfLi2ELi1ELi1EEEJNS0_7SigmoidIfEEEEEvT_T0_DpT1_,"axG",@progbits,_ZN2at6native12_GLOBAL__N_125multi_tensor_apply_kernelINS1_18TensorListMetadataILi2EEENS1_14UnaryOpFunctorIfLi2ELi1ELi1EEEJNS0_7SigmoidIfEEEEEvT_T0_DpT1_,comdat
	.globl	_ZN2at6native12_GLOBAL__N_125multi_tensor_apply_kernelINS1_18TensorListMetadataILi2EEENS1_14UnaryOpFunctorIfLi2ELi1ELi1EEEJNS0_7SigmoidIfEEEEEvT_T0_DpT1_ ; -- Begin function _ZN2at6native12_GLOBAL__N_125multi_tensor_apply_kernelINS1_18TensorListMetadataILi2EEENS1_14UnaryOpFunctorIfLi2ELi1ELi1EEEJNS0_7SigmoidIfEEEEEvT_T0_DpT1_
	.p2align	8
	.type	_ZN2at6native12_GLOBAL__N_125multi_tensor_apply_kernelINS1_18TensorListMetadataILi2EEENS1_14UnaryOpFunctorIfLi2ELi1ELi1EEEJNS0_7SigmoidIfEEEEEvT_T0_DpT1_,@function
_ZN2at6native12_GLOBAL__N_125multi_tensor_apply_kernelINS1_18TensorListMetadataILi2EEENS1_14UnaryOpFunctorIfLi2ELi1ELi1EEEJNS0_7SigmoidIfEEEEEvT_T0_DpT1_: ; @_ZN2at6native12_GLOBAL__N_125multi_tensor_apply_kernelINS1_18TensorListMetadataILi2EEENS1_14UnaryOpFunctorIfLi2ELi1ELi1EEEJNS0_7SigmoidIfEEEEEvT_T0_DpT1_
; %bb.0:
	v_mov_b32_e32 v1, s15
	s_add_u32 s2, s0, s15
	s_mul_hi_u32 s3, s15, 3
	s_mul_i32 s15, s15, 3
	s_addc_u32 s4, s1, 0
	global_load_u8 v1, v1, s[0:1] offset:1536
	s_add_u32 s2, s2, s15
	s_addc_u32 s3, s4, s3
	s_mov_b32 s19, 0
	s_load_b32 s2, s[2:3], 0x740
	s_mov_b32 s21, s19
	s_mov_b32 s23, s19
	s_waitcnt vmcnt(0)
	v_readfirstlane_b32 s3, v1
	s_delay_alu instid0(VALU_DEP_1)
	s_lshl_b32 s3, s3, 3
	s_clause 0x3
	s_load_b64 s[10:11], s[0:1], s3 offset:0x0
	s_load_b64 s[12:13], s[0:1], s3 offset:0x200
	;; [unrolled: 1-line block ×3, first 2 shown]
	s_load_b32 s14, s[0:1], 0xc4c
	s_waitcnt lgkmcnt(0)
	s_ashr_i32 s3, s2, 31
	s_delay_alu instid0(SALU_CYCLE_1) | instskip(NEXT) | instid1(SALU_CYCLE_1)
	s_lshl_b64 s[6:7], s[2:3], 18
	s_add_u32 s5, s10, s6
	s_addc_u32 s15, s11, s7
	s_and_b32 s18, s5, 15
	s_add_u32 s16, s12, s6
	s_addc_u32 s17, s13, s7
	s_and_b32 s20, s8, 3
	s_and_b32 s22, s16, 15
	s_or_b64 s[18:19], s[18:19], s[20:21]
	s_lshl_b64 s[2:3], s[2:3], 16
	s_or_b64 s[18:19], s[22:23], s[18:19]
	s_sub_u32 s8, s8, s2
	s_subb_u32 s9, s9, s3
	s_cmp_eq_u64 s[18:19], 0
	s_mov_b32 s2, -1
	s_cbranch_scc0 .LBB247_5
; %bb.1:
	v_dual_mov_b32 v2, 0 :: v_dual_lshlrev_b32 v1, 2, v0
	s_mov_b32 s18, exec_lo
	s_delay_alu instid0(VALU_DEP_1)
	v_cmpx_gt_i64_e64 s[8:9], v[1:2]
	s_cbranch_execz .LBB247_4
; %bb.2:
	s_load_b32 s2, s[0:1], 0xc5c
	v_lshlrev_b32_e32 v3, 4, v0
	s_mov_b32 s19, 0
	s_waitcnt lgkmcnt(0)
	s_and_b32 s2, s2, 0xffff
	s_delay_alu instid0(SALU_CYCLE_1)
	v_add_lshl_u32 v1, v0, s2, 2
	s_lshl_b32 s20, s2, 2
	s_lshl_b32 s21, s2, 4
.LBB247_3:                              ; =>This Inner Loop Header: Depth=1
	v_add_co_u32 v4, s2, s5, v3
	s_delay_alu instid0(VALU_DEP_1)
	v_add_co_ci_u32_e64 v5, null, s15, 0, s2
	v_cmp_le_i64_e32 vcc_lo, s[8:9], v[1:2]
	v_cmp_lt_u64_e64 s2, 0xffff, v[1:2]
	v_add_co_u32 v8, s3, s16, v3
	global_load_b128 v[4:7], v[4:5], off
	v_add_co_ci_u32_e64 v9, null, s17, 0, s3
	s_or_b32 s22, vcc_lo, s2
	v_add_co_u32 v1, s3, v1, s20
	s_delay_alu instid0(VALU_DEP_1)
	v_add_co_ci_u32_e64 v2, s3, 0, v2, s3
	s_add_u32 s5, s5, s21
	s_addc_u32 s15, s15, 0
	s_add_u32 s16, s16, s21
	s_addc_u32 s17, s17, 0
	s_waitcnt vmcnt(0)
	v_dual_mul_f32 v10, 0xbfb8aa3b, v4 :: v_dual_mul_f32 v11, 0xbfb8aa3b, v5
	v_dual_mul_f32 v12, 0xbfb8aa3b, v6 :: v_dual_mul_f32 v13, 0xbfb8aa3b, v7
	v_cmp_nlt_f32_e32 vcc_lo, 0x42ce8ed0, v5
	s_delay_alu instid0(VALU_DEP_3)
	v_fma_f32 v14, 0xbfb8aa3b, v4, -v10
	v_rndne_f32_e32 v15, v10
	v_fma_f32 v16, 0xbfb8aa3b, v5, -v11
	v_rndne_f32_e32 v17, v11
	;; [unrolled: 2-line block ×3, first 2 shown]
	v_fma_f32 v18, 0xbfb8aa3b, v6, -v12
	s_delay_alu instid0(VALU_DEP_4) | instskip(NEXT) | instid1(VALU_DEP_3)
	v_dual_fmac_f32 v14, 0xb2a5705f, v4 :: v_dual_sub_f32 v11, v11, v17
	v_dual_sub_f32 v10, v10, v15 :: v_dual_sub_f32 v13, v13, v21
	v_fmac_f32_e32 v20, 0xb2a5705f, v7
	v_fmac_f32_e32 v16, 0xb2a5705f, v5
	v_rndne_f32_e32 v19, v12
	v_cvt_i32_f32_e32 v17, v17
	v_cvt_i32_f32_e32 v15, v15
	v_dual_add_f32 v13, v13, v20 :: v_dual_fmac_f32 v18, 0xb2a5705f, v6
	s_delay_alu instid0(VALU_DEP_4) | instskip(SKIP_1) | instid1(VALU_DEP_3)
	v_dual_add_f32 v11, v11, v16 :: v_dual_sub_f32 v12, v12, v19
	v_cvt_i32_f32_e32 v19, v19
	v_exp_f32_e32 v13, v13
	v_cvt_i32_f32_e32 v21, v21
	s_delay_alu instid0(VALU_DEP_3)
	v_exp_f32_e32 v11, v11
	v_cmp_nlt_f32_e64 s4, 0x42ce8ed0, v4
	v_cmp_nlt_f32_e64 s2, 0x42ce8ed0, v6
	;; [unrolled: 1-line block ×3, first 2 shown]
	s_waitcnt_depctr 0xfff
	v_ldexp_f32 v13, v13, v21
	v_ldexp_f32 v11, v11, v17
	s_delay_alu instid0(VALU_DEP_1) | instskip(NEXT) | instid1(VALU_DEP_1)
	v_dual_add_f32 v10, v10, v14 :: v_dual_cndmask_b32 v11, 0, v11
	v_exp_f32_e32 v10, v10
	v_cmp_ngt_f32_e32 vcc_lo, 0xc2b17218, v5
	v_add_f32_e32 v12, v12, v18
	s_delay_alu instid0(VALU_DEP_1) | instskip(SKIP_2) | instid1(VALU_DEP_1)
	v_exp_f32_e32 v12, v12
	s_waitcnt_depctr 0xfff
	v_ldexp_f32 v10, v10, v15
	v_cndmask_b32_e64 v10, 0, v10, s4
	v_cmp_ngt_f32_e64 s4, 0xc2b17218, v4
	v_ldexp_f32 v12, v12, v19
	s_delay_alu instid0(VALU_DEP_2) | instskip(NEXT) | instid1(VALU_DEP_2)
	v_cndmask_b32_e64 v4, 0x7f800000, v10, s4
	v_cndmask_b32_e64 v5, 0, v12, s2
	v_cmp_ngt_f32_e64 s2, 0xc2b17218, v6
	v_cndmask_b32_e64 v6, 0, v13, s3
	v_cmp_ngt_f32_e64 s3, 0xc2b17218, v7
	v_cndmask_b32_e32 v7, 0x7f800000, v11, vcc_lo
	v_add_f32_e32 v4, s14, v4
	v_cndmask_b32_e64 v5, 0x7f800000, v5, s2
	s_delay_alu instid0(VALU_DEP_4) | instskip(NEXT) | instid1(VALU_DEP_4)
	v_cndmask_b32_e64 v6, 0x7f800000, v6, s3
	v_add_f32_e32 v7, s14, v7
	s_delay_alu instid0(VALU_DEP_2) | instskip(NEXT) | instid1(VALU_DEP_2)
	v_add_f32_e32 v11, s14, v6
	v_div_scale_f32 v12, null, v7, v7, s14
	v_div_scale_f32 v13, s2, s14, v7, s14
	s_delay_alu instid0(VALU_DEP_3) | instskip(NEXT) | instid1(VALU_DEP_3)
	v_div_scale_f32 v16, null, v11, v11, s14
	v_rcp_f32_e32 v19, v12
	v_div_scale_f32 v17, s4, s14, v11, s14
	s_delay_alu instid0(VALU_DEP_2)
	v_rcp_f32_e32 v21, v16
	v_div_scale_f32 v6, vcc_lo, s14, v4, s14
	s_waitcnt_depctr 0xfff
	v_fma_f32 v23, -v12, v19, 1.0
	v_add_f32_e32 v10, s14, v5
	v_div_scale_f32 v5, null, v4, v4, s14
	v_fma_f32 v25, -v16, v21, 1.0
	s_delay_alu instid0(VALU_DEP_4) | instskip(NEXT) | instid1(VALU_DEP_4)
	v_fmac_f32_e32 v19, v23, v19
	v_div_scale_f32 v14, null, v10, v10, s14
	s_delay_alu instid0(VALU_DEP_4) | instskip(NEXT) | instid1(VALU_DEP_3)
	v_rcp_f32_e32 v18, v5
	v_fmac_f32_e32 v21, v25, v21
	s_delay_alu instid0(VALU_DEP_3) | instskip(NEXT) | instid1(VALU_DEP_3)
	v_mul_f32_e32 v23, v13, v19
	v_rcp_f32_e32 v20, v14
	v_div_scale_f32 v15, s3, s14, v10, s14
	s_delay_alu instid0(VALU_DEP_3) | instskip(NEXT) | instid1(VALU_DEP_3)
	v_mul_f32_e32 v25, v17, v21
	v_fma_f32 v27, -v12, v23, v13
	s_delay_alu instid0(TRANS32_DEP_2) | instskip(NEXT) | instid1(VALU_DEP_3)
	v_fma_f32 v22, -v5, v18, 1.0
	v_fma_f32 v29, -v16, v25, v17
	s_delay_alu instid0(VALU_DEP_3) | instskip(NEXT) | instid1(TRANS32_DEP_1)
	v_fmac_f32_e32 v23, v27, v19
	v_fma_f32 v24, -v14, v20, 1.0
	s_delay_alu instid0(VALU_DEP_3) | instskip(NEXT) | instid1(VALU_DEP_2)
	v_dual_fmac_f32 v18, v22, v18 :: v_dual_fmac_f32 v25, v29, v21
	v_fmac_f32_e32 v20, v24, v20
	s_delay_alu instid0(VALU_DEP_2) | instskip(NEXT) | instid1(VALU_DEP_2)
	v_mul_f32_e32 v22, v6, v18
	v_mul_f32_e32 v24, v15, v20
	s_delay_alu instid0(VALU_DEP_2) | instskip(NEXT) | instid1(VALU_DEP_2)
	v_fma_f32 v26, -v5, v22, v6
	v_fma_f32 v28, -v14, v24, v15
	s_delay_alu instid0(VALU_DEP_2) | instskip(NEXT) | instid1(VALU_DEP_2)
	v_fmac_f32_e32 v22, v26, v18
	v_fmac_f32_e32 v24, v28, v20
	s_delay_alu instid0(VALU_DEP_2) | instskip(SKIP_2) | instid1(VALU_DEP_4)
	v_fma_f32 v5, -v5, v22, v6
	v_fma_f32 v6, -v12, v23, v13
	;; [unrolled: 1-line block ×4, first 2 shown]
	s_delay_alu instid0(VALU_DEP_4)
	v_div_fmas_f32 v5, v5, v18, v22
	s_mov_b32 vcc_lo, s2
	s_and_b32 s2, exec_lo, s22
	v_div_fmas_f32 v6, v6, v19, v23
	s_mov_b32 vcc_lo, s3
	v_div_fixup_f32 v4, v5, v4, s14
	v_div_fmas_f32 v12, v12, v20, v24
	s_mov_b32 vcc_lo, s4
	v_div_fixup_f32 v5, v6, v7, s14
	v_div_fmas_f32 v13, v13, v21, v25
	s_or_b32 s19, s2, s19
	v_div_fixup_f32 v6, v12, v10, s14
	s_delay_alu instid0(VALU_DEP_2)
	v_div_fixup_f32 v7, v13, v11, s14
	global_store_b128 v[8:9], v[4:7], off
	s_and_not1_b32 exec_lo, exec_lo, s19
	s_cbranch_execnz .LBB247_3
.LBB247_4:
	s_or_b32 exec_lo, exec_lo, s18
	s_mov_b32 s2, 0
.LBB247_5:
	s_delay_alu instid0(SALU_CYCLE_1)
	s_and_not1_b32 vcc_lo, exec_lo, s2
	s_cbranch_vccnz .LBB247_25
; %bb.6:
	v_cmp_lt_i64_e64 s2, s[8:9], 1
	s_delay_alu instid0(VALU_DEP_1)
	s_and_b32 vcc_lo, exec_lo, s2
	s_cbranch_vccnz .LBB247_25
; %bb.7:
	s_load_b32 s0, s[0:1], 0xc5c
	v_dual_mov_b32 v10, 0 :: v_dual_lshlrev_b32 v9, 2, v0
	v_cmp_gt_u64_e64 s1, 0x10000, s[8:9]
	s_delay_alu instid0(VALU_DEP_2) | instskip(NEXT) | instid1(VALU_DEP_1)
	v_add_co_u32 v1, s2, s10, v9
	v_add_co_ci_u32_e64 v2, null, s11, 0, s2
	v_add_co_u32 v3, s2, s12, v9
	s_delay_alu instid0(VALU_DEP_1)
	v_add_co_ci_u32_e64 v4, null, s13, 0, s2
	s_waitcnt lgkmcnt(0)
	s_and_b32 s0, s0, 0xffff
	s_and_b32 s1, s1, exec_lo
	v_mad_u64_u32 v[7:8], null, s0, 12, v[9:10]
	s_cselect_b32 s5, s9, 0
	s_cselect_b32 s4, s8, 0x10000
	s_mul_i32 s2, s0, 3
	s_lshl_b32 s3, s0, 3
	s_lshl_b32 s1, s0, 1
	v_add_co_u32 v14, s3, s3, v9
	v_add_co_u32 v9, s2, s2, v0
	s_delay_alu instid0(VALU_DEP_1) | instskip(SKIP_3) | instid1(VALU_DEP_3)
	v_add_co_ci_u32_e64 v10, null, 0, 0, s2
	v_add_co_u32 v13, s2, v0, s0
	v_add_co_u32 v5, vcc_lo, s10, v7
	v_add_co_ci_u32_e32 v6, vcc_lo, s11, v8, vcc_lo
	v_lshlrev_b32_e32 v21, 2, v13
	v_add_co_u32 v7, vcc_lo, s12, v7
	v_add_co_ci_u32_e64 v15, null, 0, 0, s3
	v_add_co_ci_u32_e32 v8, vcc_lo, s13, v8, vcc_lo
	v_add_co_u32 v17, s1, s1, v0
	v_add_co_u32 v11, vcc_lo, s10, v14
	v_add_co_ci_u32_e64 v18, null, 0, 0, s1
	v_add_co_u32 v19, s1, s10, v21
	v_add_co_ci_u32_e32 v12, vcc_lo, s11, v15, vcc_lo
	v_add_co_u32 v14, vcc_lo, s12, v14
	v_add_co_ci_u32_e64 v20, null, s11, 0, s1
	v_add_co_u32 v21, s1, s12, v21
	v_add_co_ci_u32_e32 v15, vcc_lo, s13, v15, vcc_lo
	v_add_co_ci_u32_e64 v16, null, 0, 0, s2
	v_add_co_ci_u32_e64 v22, null, s13, 0, s1
	s_lshl_b32 s12, s0, 2
	s_lshl_b32 s13, s0, 4
	s_mov_b64 s[10:11], 0
	s_branch .LBB247_9
.LBB247_8:                              ;   in Loop: Header=BB247_9 Depth=1
	s_or_b32 exec_lo, exec_lo, s1
	v_add_co_u32 v1, vcc_lo, v1, s13
	v_add_co_ci_u32_e32 v2, vcc_lo, 0, v2, vcc_lo
	v_add_co_u32 v3, vcc_lo, v3, s13
	v_add_co_ci_u32_e32 v4, vcc_lo, 0, v4, vcc_lo
	;; [unrolled: 2-line block ×5, first 2 shown]
	s_add_u32 s10, s10, s12
	v_add_co_u32 v14, vcc_lo, v14, s13
	s_addc_u32 s11, s11, 0
	v_add_co_ci_u32_e32 v15, vcc_lo, 0, v15, vcc_lo
	v_cmp_ge_i64_e64 s0, s[10:11], s[8:9]
	v_cmp_lt_u64_e64 s1, 0xffff, s[10:11]
	v_add_co_u32 v19, vcc_lo, v19, s13
	v_add_co_ci_u32_e32 v20, vcc_lo, 0, v20, vcc_lo
	v_add_co_u32 v21, vcc_lo, v21, s13
	v_add_co_ci_u32_e32 v22, vcc_lo, 0, v22, vcc_lo
	s_or_b32 s0, s0, s1
	s_delay_alu instid0(SALU_CYCLE_1)
	s_and_b32 vcc_lo, exec_lo, s0
	s_cbranch_vccnz .LBB247_25
.LBB247_9:                              ; =>This Inner Loop Header: Depth=1
	s_waitcnt vmcnt(0)
	v_add_co_u32 v23, s0, v0, s10
	s_delay_alu instid0(VALU_DEP_1) | instskip(SKIP_1) | instid1(VALU_DEP_2)
	v_add_co_ci_u32_e64 v24, null, 0, s11, s0
	v_mov_b32_e32 v26, 0
	v_cmp_gt_u64_e32 vcc_lo, s[4:5], v[23:24]
	s_and_saveexec_b32 s1, vcc_lo
	s_cbranch_execz .LBB247_11
; %bb.10:                               ;   in Loop: Header=BB247_9 Depth=1
	v_add_co_u32 v23, s0, v1, s6
	s_delay_alu instid0(VALU_DEP_1)
	v_add_co_ci_u32_e64 v24, s0, s7, v2, s0
	global_load_b32 v26, v[23:24], off
.LBB247_11:                             ;   in Loop: Header=BB247_9 Depth=1
	s_or_b32 exec_lo, exec_lo, s1
	v_add_co_u32 v23, s0, v13, s10
	s_delay_alu instid0(VALU_DEP_1) | instskip(SKIP_1) | instid1(VALU_DEP_2)
	v_add_co_ci_u32_e64 v24, s0, s11, v16, s0
	v_mov_b32_e32 v25, 0
	v_cmp_gt_u64_e64 s2, s[4:5], v[23:24]
	s_delay_alu instid0(VALU_DEP_1)
	s_and_saveexec_b32 s1, s2
	s_cbranch_execz .LBB247_13
; %bb.12:                               ;   in Loop: Header=BB247_9 Depth=1
	v_add_co_u32 v23, s0, v19, s6
	s_delay_alu instid0(VALU_DEP_1)
	v_add_co_ci_u32_e64 v24, s0, s7, v20, s0
	global_load_b32 v25, v[23:24], off
.LBB247_13:                             ;   in Loop: Header=BB247_9 Depth=1
	s_or_b32 exec_lo, exec_lo, s1
	v_add_co_u32 v23, s0, v17, s10
	s_delay_alu instid0(VALU_DEP_1) | instskip(NEXT) | instid1(VALU_DEP_1)
	v_add_co_ci_u32_e64 v24, s0, s11, v18, s0
	v_cmp_gt_u64_e64 s1, s[4:5], v[23:24]
	v_dual_mov_b32 v23, 0 :: v_dual_mov_b32 v24, 0
	s_delay_alu instid0(VALU_DEP_2)
	s_and_saveexec_b32 s3, s1
	s_cbranch_execz .LBB247_15
; %bb.14:                               ;   in Loop: Header=BB247_9 Depth=1
	v_add_co_u32 v27, s0, v11, s6
	s_delay_alu instid0(VALU_DEP_1)
	v_add_co_ci_u32_e64 v28, s0, s7, v12, s0
	global_load_b32 v24, v[27:28], off
.LBB247_15:                             ;   in Loop: Header=BB247_9 Depth=1
	s_or_b32 exec_lo, exec_lo, s3
	v_add_co_u32 v27, s0, v9, s10
	s_delay_alu instid0(VALU_DEP_1) | instskip(NEXT) | instid1(VALU_DEP_1)
	v_add_co_ci_u32_e64 v28, s0, s11, v10, s0
	v_cmp_gt_u64_e64 s0, s[4:5], v[27:28]
	s_delay_alu instid0(VALU_DEP_1)
	s_and_saveexec_b32 s15, s0
	s_cbranch_execnz .LBB247_20
; %bb.16:                               ;   in Loop: Header=BB247_9 Depth=1
	s_or_b32 exec_lo, exec_lo, s15
	s_and_saveexec_b32 s3, vcc_lo
	s_cbranch_execnz .LBB247_21
.LBB247_17:                             ;   in Loop: Header=BB247_9 Depth=1
	s_or_b32 exec_lo, exec_lo, s3
	s_and_saveexec_b32 s3, s2
	s_cbranch_execnz .LBB247_22
.LBB247_18:                             ;   in Loop: Header=BB247_9 Depth=1
	s_or_b32 exec_lo, exec_lo, s3
	s_and_saveexec_b32 s2, s1
	s_cbranch_execnz .LBB247_23
.LBB247_19:                             ;   in Loop: Header=BB247_9 Depth=1
	s_or_b32 exec_lo, exec_lo, s2
	s_and_saveexec_b32 s1, s0
	s_cbranch_execz .LBB247_8
	s_branch .LBB247_24
.LBB247_20:                             ;   in Loop: Header=BB247_9 Depth=1
	v_add_co_u32 v27, s3, v5, s6
	s_delay_alu instid0(VALU_DEP_1)
	v_add_co_ci_u32_e64 v28, s3, s7, v6, s3
	global_load_b32 v23, v[27:28], off
	s_or_b32 exec_lo, exec_lo, s15
	s_and_saveexec_b32 s3, vcc_lo
	s_cbranch_execz .LBB247_17
.LBB247_21:                             ;   in Loop: Header=BB247_9 Depth=1
	s_waitcnt vmcnt(0)
	v_mul_f32_e32 v27, 0xbfb8aa3b, v26
	v_cmp_nlt_f32_e32 vcc_lo, 0x42ce8ed0, v26
	s_delay_alu instid0(VALU_DEP_2) | instskip(SKIP_1) | instid1(VALU_DEP_2)
	v_rndne_f32_e32 v28, v27
	v_fma_f32 v29, 0xbfb8aa3b, v26, -v27
	v_sub_f32_e32 v27, v27, v28
	s_delay_alu instid0(VALU_DEP_2) | instskip(SKIP_1) | instid1(VALU_DEP_2)
	v_fmac_f32_e32 v29, 0xb2a5705f, v26
	v_cvt_i32_f32_e32 v28, v28
	v_add_f32_e32 v27, v27, v29
	s_delay_alu instid0(VALU_DEP_1) | instskip(SKIP_2) | instid1(VALU_DEP_1)
	v_exp_f32_e32 v27, v27
	s_waitcnt_depctr 0xfff
	v_ldexp_f32 v27, v27, v28
	v_cndmask_b32_e32 v27, 0, v27, vcc_lo
	v_cmp_ngt_f32_e32 vcc_lo, 0xc2b17218, v26
	s_delay_alu instid0(VALU_DEP_2) | instskip(NEXT) | instid1(VALU_DEP_1)
	v_cndmask_b32_e32 v26, 0x7f800000, v27, vcc_lo
	v_add_f32_e32 v26, s14, v26
	s_delay_alu instid0(VALU_DEP_1) | instskip(SKIP_1) | instid1(VALU_DEP_2)
	v_div_scale_f32 v27, null, v26, v26, s14
	v_div_scale_f32 v30, vcc_lo, s14, v26, s14
	v_rcp_f32_e32 v28, v27
	s_waitcnt_depctr 0xfff
	v_fma_f32 v29, -v27, v28, 1.0
	s_delay_alu instid0(VALU_DEP_1) | instskip(NEXT) | instid1(VALU_DEP_1)
	v_fmac_f32_e32 v28, v29, v28
	v_mul_f32_e32 v29, v30, v28
	s_delay_alu instid0(VALU_DEP_1) | instskip(NEXT) | instid1(VALU_DEP_1)
	v_fma_f32 v31, -v27, v29, v30
	v_fmac_f32_e32 v29, v31, v28
	s_delay_alu instid0(VALU_DEP_1) | instskip(NEXT) | instid1(VALU_DEP_1)
	v_fma_f32 v27, -v27, v29, v30
	v_div_fmas_f32 v27, v27, v28, v29
	s_delay_alu instid0(VALU_DEP_1)
	v_div_fixup_f32 v28, v27, v26, s14
	v_add_co_u32 v26, vcc_lo, v3, s6
	v_add_co_ci_u32_e32 v27, vcc_lo, s7, v4, vcc_lo
	global_store_b32 v[26:27], v28, off
	s_or_b32 exec_lo, exec_lo, s3
	s_and_saveexec_b32 s3, s2
	s_cbranch_execz .LBB247_18
.LBB247_22:                             ;   in Loop: Header=BB247_9 Depth=1
	s_waitcnt vmcnt(0)
	v_mul_f32_e32 v26, 0xbfb8aa3b, v25
	v_cmp_nlt_f32_e32 vcc_lo, 0x42ce8ed0, v25
	s_delay_alu instid0(VALU_DEP_2) | instskip(SKIP_1) | instid1(VALU_DEP_2)
	v_rndne_f32_e32 v27, v26
	v_fma_f32 v28, 0xbfb8aa3b, v25, -v26
	v_sub_f32_e32 v26, v26, v27
	s_delay_alu instid0(VALU_DEP_2) | instskip(SKIP_1) | instid1(VALU_DEP_2)
	v_fmac_f32_e32 v28, 0xb2a5705f, v25
	v_cvt_i32_f32_e32 v27, v27
	v_add_f32_e32 v26, v26, v28
	s_delay_alu instid0(VALU_DEP_1) | instskip(SKIP_2) | instid1(VALU_DEP_1)
	v_exp_f32_e32 v26, v26
	s_waitcnt_depctr 0xfff
	v_ldexp_f32 v26, v26, v27
	v_cndmask_b32_e32 v26, 0, v26, vcc_lo
	v_cmp_ngt_f32_e32 vcc_lo, 0xc2b17218, v25
	s_delay_alu instid0(VALU_DEP_2) | instskip(NEXT) | instid1(VALU_DEP_1)
	v_cndmask_b32_e32 v25, 0x7f800000, v26, vcc_lo
	v_add_f32_e32 v25, s14, v25
	s_delay_alu instid0(VALU_DEP_1) | instskip(SKIP_1) | instid1(VALU_DEP_2)
	v_div_scale_f32 v26, null, v25, v25, s14
	v_div_scale_f32 v29, vcc_lo, s14, v25, s14
	v_rcp_f32_e32 v27, v26
	s_waitcnt_depctr 0xfff
	v_fma_f32 v28, -v26, v27, 1.0
	s_delay_alu instid0(VALU_DEP_1) | instskip(NEXT) | instid1(VALU_DEP_1)
	v_fmac_f32_e32 v27, v28, v27
	v_mul_f32_e32 v28, v29, v27
	s_delay_alu instid0(VALU_DEP_1) | instskip(NEXT) | instid1(VALU_DEP_1)
	v_fma_f32 v30, -v26, v28, v29
	v_fmac_f32_e32 v28, v30, v27
	s_delay_alu instid0(VALU_DEP_1) | instskip(NEXT) | instid1(VALU_DEP_1)
	v_fma_f32 v26, -v26, v28, v29
	v_div_fmas_f32 v26, v26, v27, v28
	s_delay_alu instid0(VALU_DEP_1)
	v_div_fixup_f32 v27, v26, v25, s14
	v_add_co_u32 v25, vcc_lo, v21, s6
	v_add_co_ci_u32_e32 v26, vcc_lo, s7, v22, vcc_lo
	global_store_b32 v[25:26], v27, off
	s_or_b32 exec_lo, exec_lo, s3
	s_and_saveexec_b32 s2, s1
	s_cbranch_execz .LBB247_19
.LBB247_23:                             ;   in Loop: Header=BB247_9 Depth=1
	s_waitcnt vmcnt(0)
	v_mul_f32_e32 v25, 0xbfb8aa3b, v24
	v_cmp_nlt_f32_e32 vcc_lo, 0x42ce8ed0, v24
	s_delay_alu instid0(VALU_DEP_2) | instskip(SKIP_1) | instid1(VALU_DEP_2)
	v_rndne_f32_e32 v26, v25
	v_fma_f32 v27, 0xbfb8aa3b, v24, -v25
	v_sub_f32_e32 v25, v25, v26
	s_delay_alu instid0(VALU_DEP_2) | instskip(SKIP_1) | instid1(VALU_DEP_2)
	v_fmac_f32_e32 v27, 0xb2a5705f, v24
	v_cvt_i32_f32_e32 v26, v26
	v_add_f32_e32 v25, v25, v27
	s_delay_alu instid0(VALU_DEP_1) | instskip(SKIP_2) | instid1(VALU_DEP_1)
	v_exp_f32_e32 v25, v25
	s_waitcnt_depctr 0xfff
	v_ldexp_f32 v25, v25, v26
	v_cndmask_b32_e32 v25, 0, v25, vcc_lo
	v_cmp_ngt_f32_e32 vcc_lo, 0xc2b17218, v24
	s_delay_alu instid0(VALU_DEP_2) | instskip(NEXT) | instid1(VALU_DEP_1)
	v_cndmask_b32_e32 v24, 0x7f800000, v25, vcc_lo
	v_add_f32_e32 v24, s14, v24
	s_delay_alu instid0(VALU_DEP_1) | instskip(SKIP_1) | instid1(VALU_DEP_2)
	v_div_scale_f32 v25, null, v24, v24, s14
	v_div_scale_f32 v28, vcc_lo, s14, v24, s14
	v_rcp_f32_e32 v26, v25
	s_waitcnt_depctr 0xfff
	v_fma_f32 v27, -v25, v26, 1.0
	s_delay_alu instid0(VALU_DEP_1) | instskip(NEXT) | instid1(VALU_DEP_1)
	v_fmac_f32_e32 v26, v27, v26
	v_mul_f32_e32 v27, v28, v26
	s_delay_alu instid0(VALU_DEP_1) | instskip(NEXT) | instid1(VALU_DEP_1)
	v_fma_f32 v29, -v25, v27, v28
	v_fmac_f32_e32 v27, v29, v26
	s_delay_alu instid0(VALU_DEP_1) | instskip(NEXT) | instid1(VALU_DEP_1)
	v_fma_f32 v25, -v25, v27, v28
	v_div_fmas_f32 v25, v25, v26, v27
	s_delay_alu instid0(VALU_DEP_1)
	v_div_fixup_f32 v26, v25, v24, s14
	v_add_co_u32 v24, vcc_lo, v14, s6
	v_add_co_ci_u32_e32 v25, vcc_lo, s7, v15, vcc_lo
	global_store_b32 v[24:25], v26, off
	s_or_b32 exec_lo, exec_lo, s2
	s_and_saveexec_b32 s1, s0
	s_cbranch_execz .LBB247_8
.LBB247_24:                             ;   in Loop: Header=BB247_9 Depth=1
	s_waitcnt vmcnt(0)
	v_mul_f32_e32 v24, 0xbfb8aa3b, v23
	v_cmp_nlt_f32_e32 vcc_lo, 0x42ce8ed0, v23
	s_delay_alu instid0(VALU_DEP_2) | instskip(SKIP_1) | instid1(VALU_DEP_2)
	v_rndne_f32_e32 v25, v24
	v_fma_f32 v26, 0xbfb8aa3b, v23, -v24
	v_sub_f32_e32 v24, v24, v25
	s_delay_alu instid0(VALU_DEP_2) | instskip(SKIP_1) | instid1(VALU_DEP_2)
	v_fmac_f32_e32 v26, 0xb2a5705f, v23
	v_cvt_i32_f32_e32 v25, v25
	v_add_f32_e32 v24, v24, v26
	s_delay_alu instid0(VALU_DEP_1) | instskip(SKIP_2) | instid1(VALU_DEP_1)
	v_exp_f32_e32 v24, v24
	s_waitcnt_depctr 0xfff
	v_ldexp_f32 v24, v24, v25
	v_cndmask_b32_e32 v24, 0, v24, vcc_lo
	v_cmp_ngt_f32_e32 vcc_lo, 0xc2b17218, v23
	s_delay_alu instid0(VALU_DEP_2) | instskip(NEXT) | instid1(VALU_DEP_1)
	v_cndmask_b32_e32 v23, 0x7f800000, v24, vcc_lo
	v_add_f32_e32 v23, s14, v23
	s_delay_alu instid0(VALU_DEP_1) | instskip(SKIP_1) | instid1(VALU_DEP_2)
	v_div_scale_f32 v24, null, v23, v23, s14
	v_div_scale_f32 v27, vcc_lo, s14, v23, s14
	v_rcp_f32_e32 v25, v24
	s_waitcnt_depctr 0xfff
	v_fma_f32 v26, -v24, v25, 1.0
	s_delay_alu instid0(VALU_DEP_1) | instskip(NEXT) | instid1(VALU_DEP_1)
	v_fmac_f32_e32 v25, v26, v25
	v_mul_f32_e32 v26, v27, v25
	s_delay_alu instid0(VALU_DEP_1) | instskip(NEXT) | instid1(VALU_DEP_1)
	v_fma_f32 v28, -v24, v26, v27
	v_fmac_f32_e32 v26, v28, v25
	s_delay_alu instid0(VALU_DEP_1) | instskip(NEXT) | instid1(VALU_DEP_1)
	v_fma_f32 v24, -v24, v26, v27
	v_div_fmas_f32 v24, v24, v25, v26
	s_delay_alu instid0(VALU_DEP_1)
	v_div_fixup_f32 v25, v24, v23, s14
	v_add_co_u32 v23, vcc_lo, v7, s6
	v_add_co_ci_u32_e32 v24, vcc_lo, s7, v8, vcc_lo
	global_store_b32 v[23:24], v25, off
	s_branch .LBB247_8
.LBB247_25:
	s_nop 0
	s_sendmsg sendmsg(MSG_DEALLOC_VGPRS)
	s_endpgm
	.section	.rodata,"a",@progbits
	.p2align	6, 0x0
	.amdhsa_kernel _ZN2at6native12_GLOBAL__N_125multi_tensor_apply_kernelINS1_18TensorListMetadataILi2EEENS1_14UnaryOpFunctorIfLi2ELi1ELi1EEEJNS0_7SigmoidIfEEEEEvT_T0_DpT1_
		.amdhsa_group_segment_fixed_size 0
		.amdhsa_private_segment_fixed_size 0
		.amdhsa_kernarg_size 3408
		.amdhsa_user_sgpr_count 15
		.amdhsa_user_sgpr_dispatch_ptr 0
		.amdhsa_user_sgpr_queue_ptr 0
		.amdhsa_user_sgpr_kernarg_segment_ptr 1
		.amdhsa_user_sgpr_dispatch_id 0
		.amdhsa_user_sgpr_private_segment_size 0
		.amdhsa_wavefront_size32 1
		.amdhsa_uses_dynamic_stack 0
		.amdhsa_enable_private_segment 0
		.amdhsa_system_sgpr_workgroup_id_x 1
		.amdhsa_system_sgpr_workgroup_id_y 0
		.amdhsa_system_sgpr_workgroup_id_z 0
		.amdhsa_system_sgpr_workgroup_info 0
		.amdhsa_system_vgpr_workitem_id 0
		.amdhsa_next_free_vgpr 32
		.amdhsa_next_free_sgpr 24
		.amdhsa_reserve_vcc 1
		.amdhsa_float_round_mode_32 0
		.amdhsa_float_round_mode_16_64 0
		.amdhsa_float_denorm_mode_32 3
		.amdhsa_float_denorm_mode_16_64 3
		.amdhsa_dx10_clamp 1
		.amdhsa_ieee_mode 1
		.amdhsa_fp16_overflow 0
		.amdhsa_workgroup_processor_mode 1
		.amdhsa_memory_ordered 1
		.amdhsa_forward_progress 0
		.amdhsa_shared_vgpr_count 0
		.amdhsa_exception_fp_ieee_invalid_op 0
		.amdhsa_exception_fp_denorm_src 0
		.amdhsa_exception_fp_ieee_div_zero 0
		.amdhsa_exception_fp_ieee_overflow 0
		.amdhsa_exception_fp_ieee_underflow 0
		.amdhsa_exception_fp_ieee_inexact 0
		.amdhsa_exception_int_div_zero 0
	.end_amdhsa_kernel
	.section	.text._ZN2at6native12_GLOBAL__N_125multi_tensor_apply_kernelINS1_18TensorListMetadataILi2EEENS1_14UnaryOpFunctorIfLi2ELi1ELi1EEEJNS0_7SigmoidIfEEEEEvT_T0_DpT1_,"axG",@progbits,_ZN2at6native12_GLOBAL__N_125multi_tensor_apply_kernelINS1_18TensorListMetadataILi2EEENS1_14UnaryOpFunctorIfLi2ELi1ELi1EEEJNS0_7SigmoidIfEEEEEvT_T0_DpT1_,comdat
.Lfunc_end247:
	.size	_ZN2at6native12_GLOBAL__N_125multi_tensor_apply_kernelINS1_18TensorListMetadataILi2EEENS1_14UnaryOpFunctorIfLi2ELi1ELi1EEEJNS0_7SigmoidIfEEEEEvT_T0_DpT1_, .Lfunc_end247-_ZN2at6native12_GLOBAL__N_125multi_tensor_apply_kernelINS1_18TensorListMetadataILi2EEENS1_14UnaryOpFunctorIfLi2ELi1ELi1EEEJNS0_7SigmoidIfEEEEEvT_T0_DpT1_
                                        ; -- End function
	.section	.AMDGPU.csdata,"",@progbits
; Kernel info:
; codeLenInByte = 2980
; NumSgprs: 26
; NumVgprs: 32
; ScratchSize: 0
; MemoryBound: 0
; FloatMode: 240
; IeeeMode: 1
; LDSByteSize: 0 bytes/workgroup (compile time only)
; SGPRBlocks: 3
; VGPRBlocks: 3
; NumSGPRsForWavesPerEU: 26
; NumVGPRsForWavesPerEU: 32
; Occupancy: 16
; WaveLimiterHint : 0
; COMPUTE_PGM_RSRC2:SCRATCH_EN: 0
; COMPUTE_PGM_RSRC2:USER_SGPR: 15
; COMPUTE_PGM_RSRC2:TRAP_HANDLER: 0
; COMPUTE_PGM_RSRC2:TGID_X_EN: 1
; COMPUTE_PGM_RSRC2:TGID_Y_EN: 0
; COMPUTE_PGM_RSRC2:TGID_Z_EN: 0
; COMPUTE_PGM_RSRC2:TIDIG_COMP_CNT: 0
	.section	.text._ZN2at6native12_GLOBAL__N_125multi_tensor_apply_kernelINS1_18TensorListMetadataILi2EEENS1_14UnaryOpFunctorIN3c107complexIdEELi2ELi1ELi1EEEJNS0_7SigmoidIS8_EEEEEvT_T0_DpT1_,"axG",@progbits,_ZN2at6native12_GLOBAL__N_125multi_tensor_apply_kernelINS1_18TensorListMetadataILi2EEENS1_14UnaryOpFunctorIN3c107complexIdEELi2ELi1ELi1EEEJNS0_7SigmoidIS8_EEEEEvT_T0_DpT1_,comdat
	.globl	_ZN2at6native12_GLOBAL__N_125multi_tensor_apply_kernelINS1_18TensorListMetadataILi2EEENS1_14UnaryOpFunctorIN3c107complexIdEELi2ELi1ELi1EEEJNS0_7SigmoidIS8_EEEEEvT_T0_DpT1_ ; -- Begin function _ZN2at6native12_GLOBAL__N_125multi_tensor_apply_kernelINS1_18TensorListMetadataILi2EEENS1_14UnaryOpFunctorIN3c107complexIdEELi2ELi1ELi1EEEJNS0_7SigmoidIS8_EEEEEvT_T0_DpT1_
	.p2align	8
	.type	_ZN2at6native12_GLOBAL__N_125multi_tensor_apply_kernelINS1_18TensorListMetadataILi2EEENS1_14UnaryOpFunctorIN3c107complexIdEELi2ELi1ELi1EEEJNS0_7SigmoidIS8_EEEEEvT_T0_DpT1_,@function
_ZN2at6native12_GLOBAL__N_125multi_tensor_apply_kernelINS1_18TensorListMetadataILi2EEENS1_14UnaryOpFunctorIN3c107complexIdEELi2ELi1ELi1EEEJNS0_7SigmoidIS8_EEEEEvT_T0_DpT1_: ; @_ZN2at6native12_GLOBAL__N_125multi_tensor_apply_kernelINS1_18TensorListMetadataILi2EEENS1_14UnaryOpFunctorIN3c107complexIdEELi2ELi1ELi1EEEJNS0_7SigmoidIS8_EEEEEvT_T0_DpT1_
; %bb.0:
	v_mov_b32_e32 v1, s15
	s_add_u32 s2, s0, s15
	s_mul_hi_u32 s3, s15, 3
	s_mul_i32 s15, s15, 3
	s_addc_u32 s4, s1, 0
	global_load_u8 v1, v1, s[0:1] offset:1536
	s_add_u32 s2, s2, s15
	s_addc_u32 s3, s4, s3
	s_mov_b32 s15, 0
	s_load_b32 s2, s[2:3], 0x740
	s_mov_b32 s17, s15
	s_mov_b32 s19, s15
	s_waitcnt vmcnt(0)
	v_readfirstlane_b32 s3, v1
	s_delay_alu instid0(VALU_DEP_1)
	s_lshl_b32 s3, s3, 3
	s_clause 0x3
	s_load_b64 s[6:7], s[0:1], s3 offset:0x0
	s_load_b64 s[20:21], s[0:1], s3 offset:0x200
	;; [unrolled: 1-line block ×3, first 2 shown]
	s_load_b128 s[8:11], s[0:1], 0xc50
	s_waitcnt lgkmcnt(0)
	s_ashr_i32 s3, s2, 31
	s_delay_alu instid0(SALU_CYCLE_1) | instskip(NEXT) | instid1(SALU_CYCLE_1)
	s_lshl_b64 s[12:13], s[2:3], 20
	s_add_u32 s33, s6, s12
	s_addc_u32 s88, s7, s13
	s_add_u32 s89, s20, s12
	s_addc_u32 s90, s21, s13
	s_and_b32 s16, s33, 63
	s_and_b32 s18, s4, 3
	;; [unrolled: 1-line block ×3, first 2 shown]
	s_or_b64 s[16:17], s[16:17], s[18:19]
	s_lshl_b64 s[2:3], s[2:3], 16
	s_or_b64 s[16:17], s[14:15], s[16:17]
	s_sub_u32 s14, s4, s2
	s_subb_u32 s15, s5, s3
	s_cmp_eq_u64 s[16:17], 0
	s_mov_b32 s2, -1
	s_cbranch_scc0 .LBB248_213
; %bb.1:
	v_mov_b32_e32 v17, 0
	v_lshlrev_b32_e32 v1, 2, v0
	s_mov_b32 s91, exec_lo
	s_delay_alu instid0(VALU_DEP_2) | instskip(NEXT) | instid1(VALU_DEP_1)
	v_mov_b32_e32 v2, v17
	v_cmpx_gt_i64_e64 s[14:15], v[1:2]
	s_cbranch_execz .LBB248_212
; %bb.2:
	s_load_b32 s2, s[0:1], 0xc6c
	v_dual_mov_b32 v20, v17 :: v_dual_lshlrev_b32 v37, 6, v0
	s_mov_b32 s18, 0x54442d18
	s_mov_b32 s26, 0x6dc9c883
	;; [unrolled: 1-line block ×17, first 2 shown]
	s_waitcnt lgkmcnt(0)
	s_and_b32 s2, s2, 0xffff
	s_mov_b32 s62, 0x9037ab78
	v_add_lshl_u32 v19, v0, s2, 2
	s_mov_b32 s64, 0x46cc5e42
	s_mov_b32 s66, 0xa17f65f6
	;; [unrolled: 1-line block ×19, first 2 shown]
	s_lshl_b32 s93, s2, 2
	s_lshl_b32 s94, s2, 6
	s_mov_b32 s39, 0xbfe62e42
	s_mov_b32 s41, 0xbc7abc9e
	;; [unrolled: 1-line block ×26, first 2 shown]
	s_branch .LBB248_4
.LBB248_3:                              ;   in Loop: Header=BB248_4 Depth=1
	s_or_b32 exec_lo, exec_lo, s2
	v_cmp_le_i64_e32 vcc_lo, s[14:15], v[19:20]
	v_cmp_lt_u64_e64 s2, 0xffff, v[19:20]
	v_add_co_u32 v21, s3, s89, v37
	s_delay_alu instid0(VALU_DEP_1)
	v_add_co_ci_u32_e64 v22, null, s90, 0, s3
	s_clause 0x1
	global_store_b128 v[21:22], v[5:8], off
	global_store_b128 v[21:22], v[13:16], off offset:16
	s_or_b32 s2, vcc_lo, s2
	s_add_u32 s33, s33, s94
	v_add_co_u32 v19, vcc_lo, v19, s93
	s_addc_u32 s88, s88, 0
	s_add_u32 s89, s89, s94
	v_add_co_ci_u32_e32 v20, vcc_lo, 0, v20, vcc_lo
	s_addc_u32 s90, s90, 0
	s_and_b32 s2, exec_lo, s2
	s_clause 0x1
	global_store_b128 v[21:22], v[9:12], off offset:32
	global_store_b128 v[21:22], v[1:4], off offset:48
	s_or_b32 s92, s2, s92
	s_delay_alu instid0(SALU_CYCLE_1)
	s_and_not1_b32 exec_lo, exec_lo, s92
	s_cbranch_execz .LBB248_212
.LBB248_4:                              ; =>This Inner Loop Header: Depth=1
	v_add_co_u32 v9, s2, s33, v37
	s_delay_alu instid0(VALU_DEP_1)
	v_add_co_ci_u32_e64 v10, null, s88, 0, s2
                                        ; implicit-def: $vgpr23_vgpr24
	s_mov_b32 s2, exec_lo
	s_clause 0x3
	global_load_b128 v[5:8], v[9:10], off
	global_load_b128 v[13:16], v[9:10], off offset:16
	global_load_b128 v[1:4], v[9:10], off offset:48
	;; [unrolled: 1-line block ×3, first 2 shown]
	s_waitcnt vmcnt(3)
	v_xor_b32_e32 v22, 0x80000000, v8
	v_mov_b32_e32 v21, v7
	s_delay_alu instid0(VALU_DEP_2) | instskip(NEXT) | instid1(VALU_DEP_1)
	v_and_b32_e32 v27, 0x7fffffff, v22
	v_or_b32_e32 v18, v27, v7
	s_delay_alu instid0(VALU_DEP_1)
	v_cmpx_ne_u32_e32 0, v18
	s_xor_b32 s96, exec_lo, s2
	s_cbranch_execz .LBB248_46
; %bb.5:                                ;   in Loop: Header=BB248_4 Depth=1
	v_xor_b32_e32 v26, 0x80000000, v6
	v_mov_b32_e32 v25, v5
                                        ; implicit-def: $vgpr23_vgpr24
	s_mov_b32 s2, exec_lo
	s_delay_alu instid0(VALU_DEP_2) | instskip(NEXT) | instid1(VALU_DEP_1)
	v_and_b32_e32 v18, 0x7fffffff, v26
	v_or_b32_e32 v21, v18, v25
	s_delay_alu instid0(VALU_DEP_1)
	v_cmpx_ne_u32_e32 0, v21
	s_xor_b32 s97, exec_lo, s2
	s_cbranch_execz .LBB248_35
; %bb.6:                                ;   in Loop: Header=BB248_4 Depth=1
                                        ; implicit-def: $vgpr23_vgpr24
	s_mov_b32 s2, exec_lo
	v_cmpx_gt_u32_e32 0x7ff00000, v27
	s_xor_b32 s98, exec_lo, s2
	s_cbranch_execz .LBB248_28
; %bb.7:                                ;   in Loop: Header=BB248_4 Depth=1
	v_add_nc_u32_e32 v18, 0xbf79d1be, v26
                                        ; implicit-def: $vgpr23_vgpr24
	s_mov_b32 s2, exec_lo
	s_delay_alu instid0(VALU_DEP_1)
	v_cmpx_lt_u32_e32 0x108aa2, v18
	s_xor_b32 s99, exec_lo, s2
	s_cbranch_execz .LBB248_17
; %bb.8:                                ;   in Loop: Header=BB248_4 Depth=1
	v_cmp_ngt_f64_e64 s3, 0x41d00000, |v[7:8]|
                                        ; implicit-def: $vgpr21
                                        ; implicit-def: $vgpr23_vgpr24
                                        ; implicit-def: $vgpr25_vgpr26
	s_delay_alu instid0(VALU_DEP_1) | instskip(NEXT) | instid1(SALU_CYCLE_1)
	s_and_saveexec_b32 s2, s3
	s_xor_b32 s4, exec_lo, s2
	s_cbranch_execz .LBB248_10
; %bb.9:                                ;   in Loop: Header=BB248_4 Depth=1
	v_ldexp_f64 v[23:24], |v[7:8]|, 0xffffff80
	v_cmp_le_f64_e64 vcc_lo, 0x7b000000, |v[7:8]|
	v_trig_preop_f64 v[25:26], |v[7:8]|, 0
	v_and_b32_e32 v18, 0x7fffffff, v8
	v_trig_preop_f64 v[27:28], |v[7:8]|, 1
	v_trig_preop_f64 v[38:39], |v[7:8]|, 2
	s_mov_b32 s16, s18
	s_mov_b32 s25, s23
	v_dual_cndmask_b32 v23, v7, v23 :: v_dual_cndmask_b32 v24, v18, v24
	s_delay_alu instid0(VALU_DEP_1) | instskip(NEXT) | instid1(VALU_DEP_4)
	v_mul_f64 v[29:30], v[25:26], v[23:24]
	v_mul_f64 v[31:32], v[27:28], v[23:24]
	s_delay_alu instid0(VALU_DEP_2) | instskip(NEXT) | instid1(VALU_DEP_2)
	v_fma_f64 v[25:26], v[25:26], v[23:24], -v[29:30]
	v_fma_f64 v[27:28], v[27:28], v[23:24], -v[31:32]
	s_delay_alu instid0(VALU_DEP_2) | instskip(NEXT) | instid1(VALU_DEP_1)
	v_add_f64 v[33:34], v[31:32], v[25:26]
	v_add_f64 v[35:36], v[33:34], -v[31:32]
	v_add_f64 v[42:43], v[29:30], v[33:34]
	s_delay_alu instid0(VALU_DEP_2) | instskip(SKIP_1) | instid1(VALU_DEP_3)
	v_add_f64 v[40:41], v[33:34], -v[35:36]
	v_add_f64 v[25:26], v[25:26], -v[35:36]
	v_ldexp_f64 v[35:36], v[42:43], -2
	v_add_f64 v[29:30], v[42:43], -v[29:30]
	s_delay_alu instid0(VALU_DEP_4) | instskip(NEXT) | instid1(VALU_DEP_3)
	v_add_f64 v[31:32], v[31:32], -v[40:41]
	v_cmp_neq_f64_e64 vcc_lo, 0x7ff00000, |v[35:36]|
	s_delay_alu instid0(VALU_DEP_3) | instskip(NEXT) | instid1(VALU_DEP_3)
	v_add_f64 v[29:30], v[33:34], -v[29:30]
	v_add_f64 v[25:26], v[25:26], v[31:32]
	v_fract_f64_e32 v[31:32], v[35:36]
	s_delay_alu instid0(VALU_DEP_1) | instskip(SKIP_1) | instid1(VALU_DEP_3)
	v_cndmask_b32_e32 v31, 0, v31, vcc_lo
	v_mul_f64 v[44:45], v[38:39], v[23:24]
	v_cndmask_b32_e32 v32, 0, v32, vcc_lo
	s_delay_alu instid0(VALU_DEP_1) | instskip(NEXT) | instid1(VALU_DEP_3)
	v_ldexp_f64 v[31:32], v[31:32], 2
	v_add_f64 v[40:41], v[44:45], v[27:28]
	v_fma_f64 v[23:24], v[38:39], v[23:24], -v[44:45]
	s_delay_alu instid0(VALU_DEP_2) | instskip(NEXT) | instid1(VALU_DEP_1)
	v_add_f64 v[33:34], v[40:41], v[25:26]
	v_add_f64 v[35:36], v[29:30], v[33:34]
	v_add_f64 v[46:47], v[33:34], -v[40:41]
	s_delay_alu instid0(VALU_DEP_2) | instskip(NEXT) | instid1(VALU_DEP_2)
	v_add_f64 v[42:43], v[35:36], v[31:32]
	v_add_f64 v[52:53], v[33:34], -v[46:47]
	v_add_f64 v[25:26], v[25:26], -v[46:47]
	;; [unrolled: 1-line block ×3, first 2 shown]
	s_delay_alu instid0(VALU_DEP_4) | instskip(SKIP_1) | instid1(VALU_DEP_3)
	v_cmp_gt_f64_e32 vcc_lo, 0, v[42:43]
	v_add_f64 v[42:43], v[40:41], -v[44:45]
	v_add_f64 v[29:30], v[33:34], -v[29:30]
	v_cndmask_b32_e64 v18, 0, 0x40100000, vcc_lo
	s_delay_alu instid0(VALU_DEP_3) | instskip(SKIP_2) | instid1(VALU_DEP_4)
	v_add_f64 v[50:51], v[40:41], -v[42:43]
	v_add_f64 v[27:28], v[27:28], -v[42:43]
	;; [unrolled: 1-line block ×3, first 2 shown]
	v_add_f64 v[31:32], v[31:32], v[17:18]
	s_delay_alu instid0(VALU_DEP_4) | instskip(NEXT) | instid1(VALU_DEP_3)
	v_add_f64 v[42:43], v[44:45], -v[50:51]
	v_add_f64 v[25:26], v[25:26], v[40:41]
	s_delay_alu instid0(VALU_DEP_3) | instskip(NEXT) | instid1(VALU_DEP_3)
	v_add_f64 v[48:49], v[35:36], v[31:32]
	v_add_f64 v[27:28], v[27:28], v[42:43]
	s_delay_alu instid0(VALU_DEP_2) | instskip(NEXT) | instid1(VALU_DEP_2)
	v_cvt_i32_f64_e32 v18, v[48:49]
	v_add_f64 v[25:26], v[27:28], v[25:26]
	s_delay_alu instid0(VALU_DEP_2) | instskip(NEXT) | instid1(VALU_DEP_2)
	v_cvt_f64_i32_e32 v[46:47], v18
	v_add_f64 v[23:24], v[23:24], v[25:26]
	s_delay_alu instid0(VALU_DEP_2) | instskip(NEXT) | instid1(VALU_DEP_2)
	v_add_f64 v[31:32], v[31:32], -v[46:47]
	v_add_f64 v[23:24], v[29:30], v[23:24]
	s_delay_alu instid0(VALU_DEP_2) | instskip(NEXT) | instid1(VALU_DEP_1)
	v_add_f64 v[27:28], v[35:36], v[31:32]
	v_add_f64 v[25:26], v[27:28], -v[31:32]
	v_cmp_le_f64_e32 vcc_lo, 0.5, v[27:28]
	s_delay_alu instid0(VALU_DEP_2) | instskip(SKIP_2) | instid1(VALU_DEP_3)
	v_add_f64 v[25:26], v[35:36], -v[25:26]
	v_add_co_ci_u32_e64 v21, s2, 0, v18, vcc_lo
	v_cndmask_b32_e64 v18, 0, 0x3ff00000, vcc_lo
	v_add_f64 v[23:24], v[23:24], v[25:26]
	s_delay_alu instid0(VALU_DEP_2) | instskip(NEXT) | instid1(VALU_DEP_1)
	v_add_f64 v[25:26], v[27:28], -v[17:18]
	v_add_f64 v[27:28], v[25:26], v[23:24]
	s_delay_alu instid0(VALU_DEP_1) | instskip(SKIP_1) | instid1(VALU_DEP_2)
	v_mul_f64 v[29:30], v[27:28], s[16:17]
	v_add_f64 v[25:26], v[27:28], -v[25:26]
	v_fma_f64 v[31:32], v[27:28], s[16:17], -v[29:30]
	s_delay_alu instid0(VALU_DEP_2) | instskip(NEXT) | instid1(VALU_DEP_2)
	v_add_f64 v[23:24], v[23:24], -v[25:26]
	v_fma_f64 v[25:26], v[27:28], s[24:25], v[31:32]
	s_delay_alu instid0(VALU_DEP_1) | instskip(NEXT) | instid1(VALU_DEP_1)
	v_fma_f64 v[25:26], v[23:24], s[16:17], v[25:26]
	v_add_f64 v[23:24], v[29:30], v[25:26]
	s_delay_alu instid0(VALU_DEP_1) | instskip(NEXT) | instid1(VALU_DEP_1)
	v_add_f64 v[27:28], v[23:24], -v[29:30]
	v_add_f64 v[25:26], v[25:26], -v[27:28]
	s_and_not1_saveexec_b32 s2, s4
	s_cbranch_execz .LBB248_12
	s_branch .LBB248_11
.LBB248_10:                             ;   in Loop: Header=BB248_4 Depth=1
	s_and_not1_saveexec_b32 s2, s4
	s_cbranch_execz .LBB248_12
.LBB248_11:                             ;   in Loop: Header=BB248_4 Depth=1
	v_mul_f64 v[23:24], |v[7:8]|, s[26:27]
	s_mov_b32 s22, s28
	s_delay_alu instid0(VALU_DEP_1) | instskip(NEXT) | instid1(VALU_DEP_1)
	v_rndne_f64_e32 v[27:28], v[23:24]
	v_fma_f64 v[23:24], v[27:28], s[18:19], |v[7:8]|
	v_mul_f64 v[25:26], v[27:28], s[28:29]
	v_cvt_i32_f64_e32 v21, v[27:28]
	s_delay_alu instid0(VALU_DEP_3) | instskip(NEXT) | instid1(VALU_DEP_3)
	v_fma_f64 v[31:32], v[27:28], s[28:29], v[23:24]
	v_add_f64 v[29:30], v[23:24], v[25:26]
	s_delay_alu instid0(VALU_DEP_1) | instskip(NEXT) | instid1(VALU_DEP_3)
	v_add_f64 v[23:24], v[23:24], -v[29:30]
	v_add_f64 v[29:30], v[29:30], -v[31:32]
	s_delay_alu instid0(VALU_DEP_2) | instskip(SKIP_1) | instid1(VALU_DEP_2)
	v_add_f64 v[23:24], v[23:24], v[25:26]
	v_fma_f64 v[25:26], v[27:28], s[22:23], v[25:26]
	v_add_f64 v[23:24], v[29:30], v[23:24]
	s_delay_alu instid0(VALU_DEP_1) | instskip(NEXT) | instid1(VALU_DEP_1)
	v_add_f64 v[23:24], v[23:24], -v[25:26]
	v_fma_f64 v[25:26], v[27:28], s[30:31], v[23:24]
	s_delay_alu instid0(VALU_DEP_1) | instskip(NEXT) | instid1(VALU_DEP_1)
	v_add_f64 v[23:24], v[31:32], v[25:26]
	v_add_f64 v[29:30], v[23:24], -v[31:32]
	s_delay_alu instid0(VALU_DEP_1)
	v_add_f64 v[25:26], v[25:26], -v[29:30]
.LBB248_12:                             ;   in Loop: Header=BB248_4 Depth=1
	s_or_b32 exec_lo, exec_lo, s2
                                        ; implicit-def: $vgpr31
                                        ; implicit-def: $vgpr27_vgpr28
                                        ; implicit-def: $vgpr29_vgpr30
	s_and_saveexec_b32 s2, s3
	s_delay_alu instid0(SALU_CYCLE_1)
	s_xor_b32 s3, exec_lo, s2
	s_cbranch_execz .LBB248_14
; %bb.13:                               ;   in Loop: Header=BB248_4 Depth=1
	v_ldexp_f64 v[27:28], |v[7:8]|, 0xffffff80
	v_cmp_le_f64_e64 vcc_lo, 0x7b000000, |v[7:8]|
	v_trig_preop_f64 v[29:30], |v[7:8]|, 0
	v_and_b32_e32 v18, 0x7fffffff, v8
	v_trig_preop_f64 v[31:32], |v[7:8]|, 1
	v_trig_preop_f64 v[42:43], |v[7:8]|, 2
	s_mov_b32 s16, s18
	s_mov_b32 s25, s23
	v_dual_cndmask_b32 v27, v7, v27 :: v_dual_cndmask_b32 v28, v18, v28
	s_delay_alu instid0(VALU_DEP_1) | instskip(NEXT) | instid1(VALU_DEP_4)
	v_mul_f64 v[33:34], v[29:30], v[27:28]
	v_mul_f64 v[35:36], v[31:32], v[27:28]
	s_delay_alu instid0(VALU_DEP_2) | instskip(NEXT) | instid1(VALU_DEP_2)
	v_fma_f64 v[29:30], v[29:30], v[27:28], -v[33:34]
	v_fma_f64 v[31:32], v[31:32], v[27:28], -v[35:36]
	s_delay_alu instid0(VALU_DEP_2) | instskip(NEXT) | instid1(VALU_DEP_1)
	v_add_f64 v[38:39], v[35:36], v[29:30]
	v_add_f64 v[40:41], v[38:39], -v[35:36]
	v_add_f64 v[46:47], v[33:34], v[38:39]
	s_delay_alu instid0(VALU_DEP_2) | instskip(SKIP_1) | instid1(VALU_DEP_3)
	v_add_f64 v[44:45], v[38:39], -v[40:41]
	v_add_f64 v[29:30], v[29:30], -v[40:41]
	v_ldexp_f64 v[40:41], v[46:47], -2
	v_add_f64 v[33:34], v[46:47], -v[33:34]
	s_delay_alu instid0(VALU_DEP_4) | instskip(NEXT) | instid1(VALU_DEP_3)
	v_add_f64 v[35:36], v[35:36], -v[44:45]
	v_cmp_neq_f64_e64 vcc_lo, 0x7ff00000, |v[40:41]|
	s_delay_alu instid0(VALU_DEP_3) | instskip(NEXT) | instid1(VALU_DEP_3)
	v_add_f64 v[33:34], v[38:39], -v[33:34]
	v_add_f64 v[29:30], v[29:30], v[35:36]
	v_fract_f64_e32 v[35:36], v[40:41]
	s_delay_alu instid0(VALU_DEP_1) | instskip(SKIP_1) | instid1(VALU_DEP_3)
	v_cndmask_b32_e32 v35, 0, v35, vcc_lo
	v_mul_f64 v[48:49], v[42:43], v[27:28]
	v_cndmask_b32_e32 v36, 0, v36, vcc_lo
	s_delay_alu instid0(VALU_DEP_1) | instskip(NEXT) | instid1(VALU_DEP_3)
	v_ldexp_f64 v[35:36], v[35:36], 2
	v_add_f64 v[44:45], v[48:49], v[31:32]
	v_fma_f64 v[27:28], v[42:43], v[27:28], -v[48:49]
	s_delay_alu instid0(VALU_DEP_2) | instskip(NEXT) | instid1(VALU_DEP_1)
	v_add_f64 v[38:39], v[44:45], v[29:30]
	v_add_f64 v[40:41], v[33:34], v[38:39]
	v_add_f64 v[50:51], v[38:39], -v[44:45]
	s_delay_alu instid0(VALU_DEP_2) | instskip(NEXT) | instid1(VALU_DEP_2)
	v_add_f64 v[46:47], v[40:41], v[35:36]
	v_add_f64 v[56:57], v[38:39], -v[50:51]
	v_add_f64 v[29:30], v[29:30], -v[50:51]
	;; [unrolled: 1-line block ×3, first 2 shown]
	s_delay_alu instid0(VALU_DEP_4) | instskip(SKIP_2) | instid1(VALU_DEP_2)
	v_cmp_gt_f64_e32 vcc_lo, 0, v[46:47]
	v_add_f64 v[46:47], v[44:45], -v[48:49]
	v_cndmask_b32_e64 v18, 0, 0x40100000, vcc_lo
	v_add_f64 v[54:55], v[44:45], -v[46:47]
	v_add_f64 v[31:32], v[31:32], -v[46:47]
	;; [unrolled: 1-line block ×3, first 2 shown]
	s_delay_alu instid0(VALU_DEP_4) | instskip(NEXT) | instid1(VALU_DEP_4)
	v_add_f64 v[35:36], v[35:36], v[17:18]
	v_add_f64 v[46:47], v[48:49], -v[54:55]
	s_delay_alu instid0(VALU_DEP_3) | instskip(NEXT) | instid1(VALU_DEP_3)
	v_add_f64 v[29:30], v[29:30], v[44:45]
	v_add_f64 v[52:53], v[40:41], v[35:36]
	s_delay_alu instid0(VALU_DEP_3) | instskip(NEXT) | instid1(VALU_DEP_2)
	v_add_f64 v[31:32], v[31:32], v[46:47]
	v_cvt_i32_f64_e32 v18, v[52:53]
	s_delay_alu instid0(VALU_DEP_2) | instskip(SKIP_1) | instid1(VALU_DEP_3)
	v_add_f64 v[29:30], v[31:32], v[29:30]
	v_add_f64 v[31:32], v[38:39], -v[33:34]
	v_cvt_f64_i32_e32 v[50:51], v18
	s_delay_alu instid0(VALU_DEP_3) | instskip(NEXT) | instid1(VALU_DEP_2)
	v_add_f64 v[27:28], v[27:28], v[29:30]
	v_add_f64 v[35:36], v[35:36], -v[50:51]
	s_delay_alu instid0(VALU_DEP_2) | instskip(NEXT) | instid1(VALU_DEP_2)
	v_add_f64 v[27:28], v[31:32], v[27:28]
	v_add_f64 v[42:43], v[40:41], v[35:36]
	s_delay_alu instid0(VALU_DEP_1) | instskip(SKIP_1) | instid1(VALU_DEP_2)
	v_add_f64 v[29:30], v[42:43], -v[35:36]
	v_cmp_le_f64_e32 vcc_lo, 0.5, v[42:43]
	v_add_f64 v[29:30], v[40:41], -v[29:30]
	v_add_co_ci_u32_e64 v31, s2, 0, v18, vcc_lo
	v_cndmask_b32_e64 v18, 0, 0x3ff00000, vcc_lo
	s_delay_alu instid0(VALU_DEP_3) | instskip(NEXT) | instid1(VALU_DEP_2)
	v_add_f64 v[27:28], v[27:28], v[29:30]
	v_add_f64 v[29:30], v[42:43], -v[17:18]
	s_delay_alu instid0(VALU_DEP_1) | instskip(NEXT) | instid1(VALU_DEP_1)
	v_add_f64 v[32:33], v[29:30], v[27:28]
	v_mul_f64 v[34:35], v[32:33], s[16:17]
	v_add_f64 v[29:30], v[32:33], -v[29:30]
	s_delay_alu instid0(VALU_DEP_2) | instskip(NEXT) | instid1(VALU_DEP_2)
	v_fma_f64 v[38:39], v[32:33], s[16:17], -v[34:35]
	v_add_f64 v[27:28], v[27:28], -v[29:30]
	s_delay_alu instid0(VALU_DEP_2) | instskip(NEXT) | instid1(VALU_DEP_1)
	v_fma_f64 v[29:30], v[32:33], s[24:25], v[38:39]
	v_fma_f64 v[29:30], v[27:28], s[16:17], v[29:30]
	s_delay_alu instid0(VALU_DEP_1) | instskip(NEXT) | instid1(VALU_DEP_1)
	v_add_f64 v[27:28], v[34:35], v[29:30]
	v_add_f64 v[32:33], v[27:28], -v[34:35]
	s_delay_alu instid0(VALU_DEP_1)
	v_add_f64 v[29:30], v[29:30], -v[32:33]
	s_and_not1_saveexec_b32 s2, s3
	s_cbranch_execnz .LBB248_15
	s_branch .LBB248_16
.LBB248_14:                             ;   in Loop: Header=BB248_4 Depth=1
	s_and_not1_saveexec_b32 s2, s3
	s_cbranch_execz .LBB248_16
.LBB248_15:                             ;   in Loop: Header=BB248_4 Depth=1
	v_mul_f64 v[27:28], |v[7:8]|, s[26:27]
	s_mov_b32 s22, s28
	s_delay_alu instid0(VALU_DEP_1) | instskip(NEXT) | instid1(VALU_DEP_1)
	v_rndne_f64_e32 v[31:32], v[27:28]
	v_fma_f64 v[27:28], v[31:32], s[18:19], |v[7:8]|
	v_mul_f64 v[29:30], v[31:32], s[28:29]
	s_delay_alu instid0(VALU_DEP_2) | instskip(NEXT) | instid1(VALU_DEP_2)
	v_fma_f64 v[35:36], v[31:32], s[28:29], v[27:28]
	v_add_f64 v[33:34], v[27:28], v[29:30]
	s_delay_alu instid0(VALU_DEP_1) | instskip(NEXT) | instid1(VALU_DEP_3)
	v_add_f64 v[27:28], v[27:28], -v[33:34]
	v_add_f64 v[33:34], v[33:34], -v[35:36]
	s_delay_alu instid0(VALU_DEP_2) | instskip(SKIP_1) | instid1(VALU_DEP_2)
	v_add_f64 v[27:28], v[27:28], v[29:30]
	v_fma_f64 v[29:30], v[31:32], s[22:23], v[29:30]
	v_add_f64 v[27:28], v[33:34], v[27:28]
	s_delay_alu instid0(VALU_DEP_1) | instskip(NEXT) | instid1(VALU_DEP_1)
	v_add_f64 v[27:28], v[27:28], -v[29:30]
	v_fma_f64 v[29:30], v[31:32], s[30:31], v[27:28]
	v_cvt_i32_f64_e32 v31, v[31:32]
	s_delay_alu instid0(VALU_DEP_2) | instskip(NEXT) | instid1(VALU_DEP_1)
	v_add_f64 v[27:28], v[35:36], v[29:30]
	v_add_f64 v[33:34], v[27:28], -v[35:36]
	s_delay_alu instid0(VALU_DEP_1)
	v_add_f64 v[29:30], v[29:30], -v[33:34]
.LBB248_16:                             ;   in Loop: Header=BB248_4 Depth=1
	s_or_b32 exec_lo, exec_lo, s2
	s_mov_b32 s34, s36
	v_mul_f64 v[40:41], v[23:24], v[23:24]
	v_mul_f64 v[32:33], v[5:6], s[34:35]
	;; [unrolled: 1-line block ×3, first 2 shown]
	s_mov_b32 s83, s55
	s_mov_b32 s85, s57
	s_delay_alu instid0(VALU_DEP_4)
	v_mul_f64 v[60:61], v[25:26], 0.5
	v_mul_f64 v[66:67], v[29:30], 0.5
	s_mov_b32 s86, s56
	v_cmp_ngt_f64_e64 s3, 0xc0900000, v[5:6]
	v_cmp_nlt_f64_e64 s4, 0x4090cc00, v[5:6]
	v_cmp_class_f64_e64 s2, v[7:8], 0x1f8
	v_and_b32_e32 v7, 1, v31
	s_delay_alu instid0(VALU_DEP_1)
	v_cmp_eq_u32_e64 s5, 0, v7
	v_fma_f64 v[44:45], v[40:41], s[74:75], s[72:73]
	v_rndne_f64_e32 v[32:33], v[32:33]
	v_fma_f64 v[46:47], v[42:43], s[74:75], s[72:73]
	v_fma_f64 v[48:49], v[40:41], s[64:65], s[62:63]
	v_mul_f64 v[50:51], v[40:41], 0.5
	v_fma_f64 v[52:53], v[42:43], s[64:65], s[62:63]
	v_mul_f64 v[54:55], v[42:43], 0.5
	v_mul_f64 v[62:63], v[23:24], -v[40:41]
	v_mul_f64 v[68:69], v[27:28], -v[42:43]
	v_fma_f64 v[44:45], v[40:41], v[44:45], s[76:77]
	v_fma_f64 v[34:35], v[32:33], s[38:39], -v[5:6]
	v_fma_f64 v[46:47], v[42:43], v[46:47], s[76:77]
	v_fma_f64 v[48:49], v[40:41], v[48:49], s[66:67]
	v_add_f64 v[56:57], -v[50:51], 1.0
	v_fma_f64 v[52:53], v[42:43], v[52:53], s[66:67]
	v_add_f64 v[58:59], -v[54:55], 1.0
	v_cvt_i32_f64_e32 v18, v[32:33]
	v_lshlrev_b32_e32 v6, 30, v21
	v_lshlrev_b32_e32 v5, 30, v31
	s_delay_alu instid0(VALU_DEP_1)
	v_xor_b32_e32 v5, v5, v22
	v_fma_f64 v[44:45], v[40:41], v[44:45], s[78:79]
	v_fma_f64 v[34:35], v[32:33], s[40:41], v[34:35]
	;; [unrolled: 1-line block ×4, first 2 shown]
	v_add_f64 v[64:65], -v[56:57], 1.0
	v_fma_f64 v[52:53], v[42:43], v[52:53], s[68:69]
	v_add_f64 v[70:71], -v[58:59], 1.0
	v_fma_f64 v[44:45], v[40:41], v[44:45], s[54:55]
	v_fma_f64 v[38:39], v[34:35], s[44:45], s[42:43]
	;; [unrolled: 1-line block ×4, first 2 shown]
	v_add_f64 v[50:51], v[64:65], -v[50:51]
	v_fma_f64 v[52:53], v[42:43], v[52:53], s[70:71]
	v_add_f64 v[54:55], v[70:71], -v[54:55]
	v_fma_f64 v[44:45], v[62:63], v[44:45], v[60:61]
	v_fma_f64 v[38:39], v[34:35], v[38:39], s[46:47]
	;; [unrolled: 1-line block ×3, first 2 shown]
	v_mul_f64 v[60:61], v[40:41], v[40:41]
	v_fma_f64 v[48:49], v[40:41], v[48:49], s[56:57]
	v_fma_f64 v[50:51], v[23:24], -v[25:26], v[50:51]
	v_fma_f64 v[25:26], v[40:41], v[44:45], -v[25:26]
	v_fma_f64 v[38:39], v[34:35], v[38:39], s[48:49]
	v_mul_f64 v[40:41], v[42:43], v[42:43]
	v_fma_f64 v[44:45], v[42:43], v[52:53], s[56:57]
	v_fma_f64 v[52:53], v[27:28], -v[29:30], v[54:55]
	v_fma_f64 v[29:30], v[42:43], v[46:47], -v[29:30]
	v_fma_f64 v[42:43], v[60:61], v[48:49], v[50:51]
	v_fma_f64 v[25:26], v[62:63], s[86:87], v[25:26]
	;; [unrolled: 1-line block ×3, first 2 shown]
	s_delay_alu instid0(VALU_DEP_4) | instskip(NEXT) | instid1(VALU_DEP_3)
	v_fma_f64 v[29:30], v[68:69], s[86:87], v[29:30]
	v_add_f64 v[23:24], v[23:24], -v[25:26]
	s_delay_alu instid0(VALU_DEP_3) | instskip(NEXT) | instid1(VALU_DEP_3)
	v_fma_f64 v[38:39], v[34:35], v[38:39], s[52:53]
	v_add_f64 v[27:28], v[27:28], -v[29:30]
	s_delay_alu instid0(VALU_DEP_2) | instskip(NEXT) | instid1(VALU_DEP_1)
	v_fma_f64 v[38:39], v[34:35], v[38:39], s[82:83]
	v_fma_f64 v[38:39], v[34:35], v[38:39], s[84:85]
	s_delay_alu instid0(VALU_DEP_1) | instskip(NEXT) | instid1(VALU_DEP_1)
	v_fma_f64 v[38:39], v[34:35], v[38:39], s[58:59]
	v_fma_f64 v[38:39], v[34:35], v[38:39], s[60:61]
	s_delay_alu instid0(VALU_DEP_1) | instskip(NEXT) | instid1(VALU_DEP_1)
	v_fma_f64 v[38:39], v[34:35], v[38:39], 1.0
	v_fma_f64 v[32:33], v[34:35], v[38:39], 1.0
	v_fma_f64 v[34:35], v[40:41], v[44:45], v[52:53]
	v_add_f64 v[38:39], v[56:57], v[42:43]
	s_delay_alu instid0(VALU_DEP_3) | instskip(NEXT) | instid1(VALU_DEP_3)
	v_ldexp_f64 v[25:26], v[32:33], v18
	v_add_f64 v[32:33], v[58:59], v[34:35]
	v_and_b32_e32 v18, 1, v21
	v_xor_b32_e32 v21, 0x80000000, v24
	s_delay_alu instid0(VALU_DEP_2) | instskip(NEXT) | instid1(VALU_DEP_2)
	v_cmp_eq_u32_e32 vcc_lo, 0, v18
	v_dual_cndmask_b32 v7, v21, v39 :: v_dual_cndmask_b32 v18, v23, v38
	s_and_b32 vcc_lo, s4, s3
	v_and_b32_e32 v6, 0x80000000, v6
	v_and_b32_e32 v21, 0x80000000, v5
	s_delay_alu instid0(VALU_DEP_3) | instskip(SKIP_3) | instid1(VALU_DEP_2)
	v_cndmask_b32_e64 v5, 0, v18, s2
	v_cndmask_b32_e64 v8, 0x7ff00000, v26, s3
	;; [unrolled: 1-line block ×4, first 2 shown]
	v_xor_b32_e32 v18, v23, v21
	v_cndmask_b32_e32 v21, 0, v25, vcc_lo
	v_xor_b32_e32 v6, v7, v6
	s_delay_alu instid0(VALU_DEP_4) | instskip(SKIP_2) | instid1(VALU_DEP_4)
	v_cndmask_b32_e64 v7, 0, v22, s2
	v_cndmask_b32_e64 v22, 0, v8, s4
	;; [unrolled: 1-line block ×4, first 2 shown]
	s_delay_alu instid0(VALU_DEP_1) | instskip(NEXT) | instid1(VALU_DEP_3)
	v_mul_f64 v[23:24], v[21:22], v[5:6]
	v_mul_f64 v[21:22], v[21:22], v[7:8]
                                        ; implicit-def: $vgpr7_vgpr8
.LBB248_17:                             ;   in Loop: Header=BB248_4 Depth=1
	s_and_not1_saveexec_b32 s34, s99
	s_cbranch_execz .LBB248_20
; %bb.18:                               ;   in Loop: Header=BB248_4 Depth=1
	v_cmp_ngt_f64_e64 s3, 0x41d00000, |v[7:8]|
                                        ; implicit-def: $vgpr21
                                        ; implicit-def: $vgpr23_vgpr24
                                        ; implicit-def: $vgpr25_vgpr26
	s_delay_alu instid0(VALU_DEP_1) | instskip(NEXT) | instid1(SALU_CYCLE_1)
	s_and_saveexec_b32 s2, s3
	s_xor_b32 s4, exec_lo, s2
	s_cbranch_execz .LBB248_21
; %bb.19:                               ;   in Loop: Header=BB248_4 Depth=1
	v_ldexp_f64 v[23:24], |v[7:8]|, 0xffffff80
	v_cmp_le_f64_e64 vcc_lo, 0x7b000000, |v[7:8]|
	v_trig_preop_f64 v[25:26], |v[7:8]|, 0
	v_and_b32_e32 v18, 0x7fffffff, v8
	v_trig_preop_f64 v[27:28], |v[7:8]|, 1
	v_trig_preop_f64 v[38:39], |v[7:8]|, 2
	s_mov_b32 s16, s18
	s_mov_b32 s25, s23
	v_dual_cndmask_b32 v23, v7, v23 :: v_dual_cndmask_b32 v24, v18, v24
	s_delay_alu instid0(VALU_DEP_1) | instskip(NEXT) | instid1(VALU_DEP_4)
	v_mul_f64 v[29:30], v[25:26], v[23:24]
	v_mul_f64 v[31:32], v[27:28], v[23:24]
	s_delay_alu instid0(VALU_DEP_2) | instskip(NEXT) | instid1(VALU_DEP_2)
	v_fma_f64 v[25:26], v[25:26], v[23:24], -v[29:30]
	v_fma_f64 v[27:28], v[27:28], v[23:24], -v[31:32]
	s_delay_alu instid0(VALU_DEP_2) | instskip(NEXT) | instid1(VALU_DEP_1)
	v_add_f64 v[33:34], v[31:32], v[25:26]
	v_add_f64 v[35:36], v[33:34], -v[31:32]
	v_add_f64 v[42:43], v[29:30], v[33:34]
	s_delay_alu instid0(VALU_DEP_2) | instskip(SKIP_1) | instid1(VALU_DEP_3)
	v_add_f64 v[40:41], v[33:34], -v[35:36]
	v_add_f64 v[25:26], v[25:26], -v[35:36]
	v_ldexp_f64 v[35:36], v[42:43], -2
	v_add_f64 v[29:30], v[42:43], -v[29:30]
	s_delay_alu instid0(VALU_DEP_4) | instskip(NEXT) | instid1(VALU_DEP_3)
	v_add_f64 v[31:32], v[31:32], -v[40:41]
	v_cmp_neq_f64_e64 vcc_lo, 0x7ff00000, |v[35:36]|
	s_delay_alu instid0(VALU_DEP_3) | instskip(NEXT) | instid1(VALU_DEP_3)
	v_add_f64 v[29:30], v[33:34], -v[29:30]
	v_add_f64 v[25:26], v[25:26], v[31:32]
	v_fract_f64_e32 v[31:32], v[35:36]
	s_delay_alu instid0(VALU_DEP_1) | instskip(SKIP_1) | instid1(VALU_DEP_3)
	v_cndmask_b32_e32 v31, 0, v31, vcc_lo
	v_mul_f64 v[44:45], v[38:39], v[23:24]
	v_cndmask_b32_e32 v32, 0, v32, vcc_lo
	s_delay_alu instid0(VALU_DEP_1) | instskip(NEXT) | instid1(VALU_DEP_3)
	v_ldexp_f64 v[31:32], v[31:32], 2
	v_add_f64 v[40:41], v[44:45], v[27:28]
	v_fma_f64 v[23:24], v[38:39], v[23:24], -v[44:45]
	s_delay_alu instid0(VALU_DEP_2) | instskip(NEXT) | instid1(VALU_DEP_1)
	v_add_f64 v[33:34], v[40:41], v[25:26]
	v_add_f64 v[35:36], v[29:30], v[33:34]
	v_add_f64 v[46:47], v[33:34], -v[40:41]
	s_delay_alu instid0(VALU_DEP_2) | instskip(NEXT) | instid1(VALU_DEP_2)
	v_add_f64 v[42:43], v[35:36], v[31:32]
	v_add_f64 v[52:53], v[33:34], -v[46:47]
	v_add_f64 v[25:26], v[25:26], -v[46:47]
	;; [unrolled: 1-line block ×3, first 2 shown]
	s_delay_alu instid0(VALU_DEP_4) | instskip(SKIP_1) | instid1(VALU_DEP_3)
	v_cmp_gt_f64_e32 vcc_lo, 0, v[42:43]
	v_add_f64 v[42:43], v[40:41], -v[44:45]
	v_add_f64 v[29:30], v[33:34], -v[29:30]
	v_cndmask_b32_e64 v18, 0, 0x40100000, vcc_lo
	s_delay_alu instid0(VALU_DEP_3) | instskip(SKIP_2) | instid1(VALU_DEP_4)
	v_add_f64 v[50:51], v[40:41], -v[42:43]
	v_add_f64 v[27:28], v[27:28], -v[42:43]
	;; [unrolled: 1-line block ×3, first 2 shown]
	v_add_f64 v[31:32], v[31:32], v[17:18]
	s_delay_alu instid0(VALU_DEP_4) | instskip(NEXT) | instid1(VALU_DEP_3)
	v_add_f64 v[42:43], v[44:45], -v[50:51]
	v_add_f64 v[25:26], v[25:26], v[40:41]
	s_delay_alu instid0(VALU_DEP_3) | instskip(NEXT) | instid1(VALU_DEP_3)
	v_add_f64 v[48:49], v[35:36], v[31:32]
	v_add_f64 v[27:28], v[27:28], v[42:43]
	s_delay_alu instid0(VALU_DEP_2) | instskip(NEXT) | instid1(VALU_DEP_2)
	v_cvt_i32_f64_e32 v18, v[48:49]
	v_add_f64 v[25:26], v[27:28], v[25:26]
	s_delay_alu instid0(VALU_DEP_2) | instskip(NEXT) | instid1(VALU_DEP_2)
	v_cvt_f64_i32_e32 v[46:47], v18
	v_add_f64 v[23:24], v[23:24], v[25:26]
	s_delay_alu instid0(VALU_DEP_2) | instskip(NEXT) | instid1(VALU_DEP_2)
	v_add_f64 v[31:32], v[31:32], -v[46:47]
	v_add_f64 v[23:24], v[29:30], v[23:24]
	s_delay_alu instid0(VALU_DEP_2) | instskip(NEXT) | instid1(VALU_DEP_1)
	v_add_f64 v[27:28], v[35:36], v[31:32]
	v_add_f64 v[25:26], v[27:28], -v[31:32]
	v_cmp_le_f64_e32 vcc_lo, 0.5, v[27:28]
	s_delay_alu instid0(VALU_DEP_2) | instskip(SKIP_2) | instid1(VALU_DEP_3)
	v_add_f64 v[25:26], v[35:36], -v[25:26]
	v_add_co_ci_u32_e64 v21, s2, 0, v18, vcc_lo
	v_cndmask_b32_e64 v18, 0, 0x3ff00000, vcc_lo
	v_add_f64 v[23:24], v[23:24], v[25:26]
	s_delay_alu instid0(VALU_DEP_2) | instskip(NEXT) | instid1(VALU_DEP_1)
	v_add_f64 v[25:26], v[27:28], -v[17:18]
	v_add_f64 v[27:28], v[25:26], v[23:24]
	s_delay_alu instid0(VALU_DEP_1) | instskip(SKIP_1) | instid1(VALU_DEP_2)
	v_mul_f64 v[29:30], v[27:28], s[16:17]
	v_add_f64 v[25:26], v[27:28], -v[25:26]
	v_fma_f64 v[31:32], v[27:28], s[16:17], -v[29:30]
	s_delay_alu instid0(VALU_DEP_2) | instskip(NEXT) | instid1(VALU_DEP_2)
	v_add_f64 v[23:24], v[23:24], -v[25:26]
	v_fma_f64 v[25:26], v[27:28], s[24:25], v[31:32]
	s_delay_alu instid0(VALU_DEP_1) | instskip(NEXT) | instid1(VALU_DEP_1)
	v_fma_f64 v[25:26], v[23:24], s[16:17], v[25:26]
	v_add_f64 v[23:24], v[29:30], v[25:26]
	s_delay_alu instid0(VALU_DEP_1) | instskip(NEXT) | instid1(VALU_DEP_1)
	v_add_f64 v[27:28], v[23:24], -v[29:30]
	v_add_f64 v[25:26], v[25:26], -v[27:28]
	s_and_not1_saveexec_b32 s2, s4
	s_cbranch_execz .LBB248_23
	s_branch .LBB248_22
.LBB248_20:                             ;   in Loop: Header=BB248_4 Depth=1
	s_or_b32 exec_lo, exec_lo, s34
                                        ; implicit-def: $vgpr25_vgpr26
                                        ; implicit-def: $vgpr5_vgpr6
                                        ; implicit-def: $vgpr18
	s_and_not1_saveexec_b32 s3, s98
	s_cbranch_execnz .LBB248_29
	s_branch .LBB248_34
.LBB248_21:                             ;   in Loop: Header=BB248_4 Depth=1
	s_and_not1_saveexec_b32 s2, s4
	s_cbranch_execz .LBB248_23
.LBB248_22:                             ;   in Loop: Header=BB248_4 Depth=1
	v_mul_f64 v[23:24], |v[7:8]|, s[26:27]
	s_mov_b32 s22, s28
	s_delay_alu instid0(VALU_DEP_1) | instskip(NEXT) | instid1(VALU_DEP_1)
	v_rndne_f64_e32 v[27:28], v[23:24]
	v_fma_f64 v[23:24], v[27:28], s[18:19], |v[7:8]|
	v_mul_f64 v[25:26], v[27:28], s[28:29]
	v_cvt_i32_f64_e32 v21, v[27:28]
	s_delay_alu instid0(VALU_DEP_3) | instskip(NEXT) | instid1(VALU_DEP_3)
	v_fma_f64 v[31:32], v[27:28], s[28:29], v[23:24]
	v_add_f64 v[29:30], v[23:24], v[25:26]
	s_delay_alu instid0(VALU_DEP_1) | instskip(NEXT) | instid1(VALU_DEP_3)
	v_add_f64 v[23:24], v[23:24], -v[29:30]
	v_add_f64 v[29:30], v[29:30], -v[31:32]
	s_delay_alu instid0(VALU_DEP_2) | instskip(SKIP_1) | instid1(VALU_DEP_2)
	v_add_f64 v[23:24], v[23:24], v[25:26]
	v_fma_f64 v[25:26], v[27:28], s[22:23], v[25:26]
	v_add_f64 v[23:24], v[29:30], v[23:24]
	s_delay_alu instid0(VALU_DEP_1) | instskip(NEXT) | instid1(VALU_DEP_1)
	v_add_f64 v[23:24], v[23:24], -v[25:26]
	v_fma_f64 v[25:26], v[27:28], s[30:31], v[23:24]
	s_delay_alu instid0(VALU_DEP_1) | instskip(NEXT) | instid1(VALU_DEP_1)
	v_add_f64 v[23:24], v[31:32], v[25:26]
	v_add_f64 v[29:30], v[23:24], -v[31:32]
	s_delay_alu instid0(VALU_DEP_1)
	v_add_f64 v[25:26], v[25:26], -v[29:30]
.LBB248_23:                             ;   in Loop: Header=BB248_4 Depth=1
	s_or_b32 exec_lo, exec_lo, s2
                                        ; implicit-def: $vgpr31
                                        ; implicit-def: $vgpr27_vgpr28
                                        ; implicit-def: $vgpr29_vgpr30
	s_and_saveexec_b32 s2, s3
	s_delay_alu instid0(SALU_CYCLE_1)
	s_xor_b32 s3, exec_lo, s2
	s_cbranch_execz .LBB248_25
; %bb.24:                               ;   in Loop: Header=BB248_4 Depth=1
	v_ldexp_f64 v[27:28], |v[7:8]|, 0xffffff80
	v_cmp_le_f64_e64 vcc_lo, 0x7b000000, |v[7:8]|
	v_trig_preop_f64 v[29:30], |v[7:8]|, 0
	v_and_b32_e32 v18, 0x7fffffff, v8
	v_trig_preop_f64 v[31:32], |v[7:8]|, 1
	v_trig_preop_f64 v[42:43], |v[7:8]|, 2
	s_mov_b32 s16, s18
	s_mov_b32 s25, s23
	v_dual_cndmask_b32 v27, v7, v27 :: v_dual_cndmask_b32 v28, v18, v28
	s_delay_alu instid0(VALU_DEP_1) | instskip(NEXT) | instid1(VALU_DEP_4)
	v_mul_f64 v[33:34], v[29:30], v[27:28]
	v_mul_f64 v[35:36], v[31:32], v[27:28]
	s_delay_alu instid0(VALU_DEP_2) | instskip(NEXT) | instid1(VALU_DEP_2)
	v_fma_f64 v[29:30], v[29:30], v[27:28], -v[33:34]
	v_fma_f64 v[31:32], v[31:32], v[27:28], -v[35:36]
	s_delay_alu instid0(VALU_DEP_2) | instskip(NEXT) | instid1(VALU_DEP_1)
	v_add_f64 v[38:39], v[35:36], v[29:30]
	v_add_f64 v[40:41], v[38:39], -v[35:36]
	v_add_f64 v[46:47], v[33:34], v[38:39]
	s_delay_alu instid0(VALU_DEP_2) | instskip(SKIP_1) | instid1(VALU_DEP_3)
	v_add_f64 v[44:45], v[38:39], -v[40:41]
	v_add_f64 v[29:30], v[29:30], -v[40:41]
	v_ldexp_f64 v[40:41], v[46:47], -2
	v_add_f64 v[33:34], v[46:47], -v[33:34]
	s_delay_alu instid0(VALU_DEP_4) | instskip(NEXT) | instid1(VALU_DEP_3)
	v_add_f64 v[35:36], v[35:36], -v[44:45]
	v_cmp_neq_f64_e64 vcc_lo, 0x7ff00000, |v[40:41]|
	s_delay_alu instid0(VALU_DEP_3) | instskip(NEXT) | instid1(VALU_DEP_3)
	v_add_f64 v[33:34], v[38:39], -v[33:34]
	v_add_f64 v[29:30], v[29:30], v[35:36]
	v_fract_f64_e32 v[35:36], v[40:41]
	s_delay_alu instid0(VALU_DEP_1) | instskip(SKIP_1) | instid1(VALU_DEP_3)
	v_cndmask_b32_e32 v35, 0, v35, vcc_lo
	v_mul_f64 v[48:49], v[42:43], v[27:28]
	v_cndmask_b32_e32 v36, 0, v36, vcc_lo
	s_delay_alu instid0(VALU_DEP_1) | instskip(NEXT) | instid1(VALU_DEP_3)
	v_ldexp_f64 v[35:36], v[35:36], 2
	v_add_f64 v[44:45], v[48:49], v[31:32]
	v_fma_f64 v[27:28], v[42:43], v[27:28], -v[48:49]
	s_delay_alu instid0(VALU_DEP_2) | instskip(NEXT) | instid1(VALU_DEP_1)
	v_add_f64 v[38:39], v[44:45], v[29:30]
	v_add_f64 v[40:41], v[33:34], v[38:39]
	v_add_f64 v[50:51], v[38:39], -v[44:45]
	s_delay_alu instid0(VALU_DEP_2) | instskip(NEXT) | instid1(VALU_DEP_2)
	v_add_f64 v[46:47], v[40:41], v[35:36]
	v_add_f64 v[56:57], v[38:39], -v[50:51]
	v_add_f64 v[29:30], v[29:30], -v[50:51]
	;; [unrolled: 1-line block ×3, first 2 shown]
	s_delay_alu instid0(VALU_DEP_4) | instskip(SKIP_2) | instid1(VALU_DEP_2)
	v_cmp_gt_f64_e32 vcc_lo, 0, v[46:47]
	v_add_f64 v[46:47], v[44:45], -v[48:49]
	v_cndmask_b32_e64 v18, 0, 0x40100000, vcc_lo
	v_add_f64 v[54:55], v[44:45], -v[46:47]
	v_add_f64 v[31:32], v[31:32], -v[46:47]
	;; [unrolled: 1-line block ×3, first 2 shown]
	s_delay_alu instid0(VALU_DEP_4) | instskip(NEXT) | instid1(VALU_DEP_4)
	v_add_f64 v[35:36], v[35:36], v[17:18]
	v_add_f64 v[46:47], v[48:49], -v[54:55]
	s_delay_alu instid0(VALU_DEP_3) | instskip(NEXT) | instid1(VALU_DEP_3)
	v_add_f64 v[29:30], v[29:30], v[44:45]
	v_add_f64 v[52:53], v[40:41], v[35:36]
	s_delay_alu instid0(VALU_DEP_3) | instskip(NEXT) | instid1(VALU_DEP_2)
	v_add_f64 v[31:32], v[31:32], v[46:47]
	v_cvt_i32_f64_e32 v18, v[52:53]
	s_delay_alu instid0(VALU_DEP_2) | instskip(SKIP_1) | instid1(VALU_DEP_3)
	v_add_f64 v[29:30], v[31:32], v[29:30]
	v_add_f64 v[31:32], v[38:39], -v[33:34]
	v_cvt_f64_i32_e32 v[50:51], v18
	s_delay_alu instid0(VALU_DEP_3) | instskip(NEXT) | instid1(VALU_DEP_2)
	v_add_f64 v[27:28], v[27:28], v[29:30]
	v_add_f64 v[35:36], v[35:36], -v[50:51]
	s_delay_alu instid0(VALU_DEP_2) | instskip(NEXT) | instid1(VALU_DEP_2)
	v_add_f64 v[27:28], v[31:32], v[27:28]
	v_add_f64 v[42:43], v[40:41], v[35:36]
	s_delay_alu instid0(VALU_DEP_1) | instskip(SKIP_1) | instid1(VALU_DEP_2)
	v_add_f64 v[29:30], v[42:43], -v[35:36]
	v_cmp_le_f64_e32 vcc_lo, 0.5, v[42:43]
	v_add_f64 v[29:30], v[40:41], -v[29:30]
	v_add_co_ci_u32_e64 v31, s2, 0, v18, vcc_lo
	v_cndmask_b32_e64 v18, 0, 0x3ff00000, vcc_lo
	s_delay_alu instid0(VALU_DEP_3) | instskip(NEXT) | instid1(VALU_DEP_2)
	v_add_f64 v[27:28], v[27:28], v[29:30]
	v_add_f64 v[29:30], v[42:43], -v[17:18]
	s_delay_alu instid0(VALU_DEP_1) | instskip(NEXT) | instid1(VALU_DEP_1)
	v_add_f64 v[32:33], v[29:30], v[27:28]
	v_mul_f64 v[34:35], v[32:33], s[16:17]
	v_add_f64 v[29:30], v[32:33], -v[29:30]
	s_delay_alu instid0(VALU_DEP_2) | instskip(NEXT) | instid1(VALU_DEP_2)
	v_fma_f64 v[38:39], v[32:33], s[16:17], -v[34:35]
	v_add_f64 v[27:28], v[27:28], -v[29:30]
	s_delay_alu instid0(VALU_DEP_2) | instskip(NEXT) | instid1(VALU_DEP_1)
	v_fma_f64 v[29:30], v[32:33], s[24:25], v[38:39]
	v_fma_f64 v[29:30], v[27:28], s[16:17], v[29:30]
	s_delay_alu instid0(VALU_DEP_1) | instskip(NEXT) | instid1(VALU_DEP_1)
	v_add_f64 v[27:28], v[34:35], v[29:30]
	v_add_f64 v[32:33], v[27:28], -v[34:35]
	s_delay_alu instid0(VALU_DEP_1)
	v_add_f64 v[29:30], v[29:30], -v[32:33]
	s_and_not1_saveexec_b32 s2, s3
	s_cbranch_execnz .LBB248_26
	s_branch .LBB248_27
.LBB248_25:                             ;   in Loop: Header=BB248_4 Depth=1
	s_and_not1_saveexec_b32 s2, s3
	s_cbranch_execz .LBB248_27
.LBB248_26:                             ;   in Loop: Header=BB248_4 Depth=1
	v_mul_f64 v[27:28], |v[7:8]|, s[26:27]
	s_mov_b32 s22, s28
	s_delay_alu instid0(VALU_DEP_1) | instskip(NEXT) | instid1(VALU_DEP_1)
	v_rndne_f64_e32 v[31:32], v[27:28]
	v_fma_f64 v[27:28], v[31:32], s[18:19], |v[7:8]|
	v_mul_f64 v[29:30], v[31:32], s[28:29]
	s_delay_alu instid0(VALU_DEP_2) | instskip(NEXT) | instid1(VALU_DEP_2)
	v_fma_f64 v[35:36], v[31:32], s[28:29], v[27:28]
	v_add_f64 v[33:34], v[27:28], v[29:30]
	s_delay_alu instid0(VALU_DEP_1) | instskip(NEXT) | instid1(VALU_DEP_3)
	v_add_f64 v[27:28], v[27:28], -v[33:34]
	v_add_f64 v[33:34], v[33:34], -v[35:36]
	s_delay_alu instid0(VALU_DEP_2) | instskip(SKIP_1) | instid1(VALU_DEP_2)
	v_add_f64 v[27:28], v[27:28], v[29:30]
	v_fma_f64 v[29:30], v[31:32], s[22:23], v[29:30]
	v_add_f64 v[27:28], v[33:34], v[27:28]
	s_delay_alu instid0(VALU_DEP_1) | instskip(NEXT) | instid1(VALU_DEP_1)
	v_add_f64 v[27:28], v[27:28], -v[29:30]
	v_fma_f64 v[29:30], v[31:32], s[30:31], v[27:28]
	v_cvt_i32_f64_e32 v31, v[31:32]
	s_delay_alu instid0(VALU_DEP_2) | instskip(NEXT) | instid1(VALU_DEP_1)
	v_add_f64 v[27:28], v[35:36], v[29:30]
	v_add_f64 v[33:34], v[27:28], -v[35:36]
	s_delay_alu instid0(VALU_DEP_1)
	v_add_f64 v[29:30], v[29:30], -v[33:34]
.LBB248_27:                             ;   in Loop: Header=BB248_4 Depth=1
	s_or_b32 exec_lo, exec_lo, s2
	v_add_f64 v[5:6], -v[5:6], s[80:81]
	s_delay_alu instid0(VALU_DEP_4) | instskip(SKIP_3) | instid1(VALU_DEP_4)
	v_mul_f64 v[40:41], v[23:24], v[23:24]
	v_mul_f64 v[42:43], v[27:28], v[27:28]
	s_mov_b32 s83, s55
	s_mov_b32 s85, s57
	v_mul_f64 v[60:61], v[25:26], 0.5
	v_mul_f64 v[66:67], v[29:30], 0.5
	s_mov_b32 s86, s56
	v_cmp_class_f64_e64 s2, v[7:8], 0x1f8
	v_mul_f64 v[32:33], v[5:6], s[36:37]
	v_fma_f64 v[44:45], v[40:41], s[74:75], s[72:73]
	v_fma_f64 v[46:47], v[42:43], s[74:75], s[72:73]
	;; [unrolled: 1-line block ×3, first 2 shown]
	v_mul_f64 v[50:51], v[40:41], 0.5
	v_fma_f64 v[52:53], v[42:43], s[64:65], s[62:63]
	v_mul_f64 v[54:55], v[42:43], 0.5
	v_mul_f64 v[62:63], v[23:24], -v[40:41]
	v_mul_f64 v[68:69], v[27:28], -v[42:43]
	v_cmp_nlt_f64_e64 s3, 0x40900000, v[5:6]
	v_cmp_ngt_f64_e64 s4, 0xc090cc00, v[5:6]
	v_rndne_f64_e32 v[32:33], v[32:33]
	v_fma_f64 v[44:45], v[40:41], v[44:45], s[76:77]
	v_fma_f64 v[46:47], v[42:43], v[46:47], s[76:77]
	;; [unrolled: 1-line block ×3, first 2 shown]
	v_add_f64 v[56:57], -v[50:51], 1.0
	v_fma_f64 v[52:53], v[42:43], v[52:53], s[66:67]
	v_add_f64 v[58:59], -v[54:55], 1.0
	v_fma_f64 v[34:35], v[32:33], s[38:39], v[5:6]
	v_fma_f64 v[44:45], v[40:41], v[44:45], s[78:79]
	;; [unrolled: 1-line block ×4, first 2 shown]
	v_add_f64 v[64:65], -v[56:57], 1.0
	v_fma_f64 v[52:53], v[42:43], v[52:53], s[68:69]
	v_add_f64 v[70:71], -v[58:59], 1.0
	v_cvt_i32_f64_e32 v18, v[32:33]
	v_lshlrev_b32_e32 v6, 30, v21
	v_lshlrev_b32_e32 v5, 30, v31
	s_delay_alu instid0(VALU_DEP_2) | instskip(NEXT) | instid1(VALU_DEP_2)
	v_and_b32_e32 v6, 0x80000000, v6
	v_xor_b32_e32 v5, v5, v22
	v_fma_f64 v[34:35], v[32:33], s[40:41], v[34:35]
	v_fma_f64 v[44:45], v[40:41], v[44:45], s[54:55]
	;; [unrolled: 1-line block ×4, first 2 shown]
	v_add_f64 v[50:51], v[64:65], -v[50:51]
	v_fma_f64 v[52:53], v[42:43], v[52:53], s[70:71]
	v_add_f64 v[54:55], v[70:71], -v[54:55]
	v_fma_f64 v[38:39], v[34:35], s[44:45], s[42:43]
	v_fma_f64 v[44:45], v[62:63], v[44:45], v[60:61]
	;; [unrolled: 1-line block ×3, first 2 shown]
	v_mul_f64 v[60:61], v[40:41], v[40:41]
	v_fma_f64 v[48:49], v[40:41], v[48:49], s[56:57]
	v_fma_f64 v[50:51], v[23:24], -v[25:26], v[50:51]
	v_fma_f64 v[38:39], v[34:35], v[38:39], s[46:47]
	v_fma_f64 v[25:26], v[40:41], v[44:45], -v[25:26]
	v_mul_f64 v[40:41], v[42:43], v[42:43]
	v_fma_f64 v[44:45], v[42:43], v[52:53], s[56:57]
	v_fma_f64 v[52:53], v[27:28], -v[29:30], v[54:55]
	v_fma_f64 v[29:30], v[42:43], v[46:47], -v[29:30]
	v_fma_f64 v[42:43], v[60:61], v[48:49], v[50:51]
	v_fma_f64 v[38:39], v[34:35], v[38:39], s[48:49]
	;; [unrolled: 1-line block ×3, first 2 shown]
	s_delay_alu instid0(VALU_DEP_4) | instskip(NEXT) | instid1(VALU_DEP_3)
	v_fma_f64 v[29:30], v[68:69], s[86:87], v[29:30]
	v_fma_f64 v[38:39], v[34:35], v[38:39], s[50:51]
	s_delay_alu instid0(VALU_DEP_3) | instskip(NEXT) | instid1(VALU_DEP_3)
	v_add_f64 v[23:24], v[23:24], -v[25:26]
	v_add_f64 v[27:28], v[27:28], -v[29:30]
	s_delay_alu instid0(VALU_DEP_3) | instskip(NEXT) | instid1(VALU_DEP_1)
	v_fma_f64 v[38:39], v[34:35], v[38:39], s[52:53]
	v_fma_f64 v[38:39], v[34:35], v[38:39], s[82:83]
	s_delay_alu instid0(VALU_DEP_1) | instskip(NEXT) | instid1(VALU_DEP_1)
	v_fma_f64 v[38:39], v[34:35], v[38:39], s[84:85]
	v_fma_f64 v[38:39], v[34:35], v[38:39], s[58:59]
	s_delay_alu instid0(VALU_DEP_1) | instskip(NEXT) | instid1(VALU_DEP_1)
	v_fma_f64 v[38:39], v[34:35], v[38:39], s[60:61]
	v_fma_f64 v[38:39], v[34:35], v[38:39], 1.0
	s_delay_alu instid0(VALU_DEP_1) | instskip(SKIP_2) | instid1(VALU_DEP_3)
	v_fma_f64 v[32:33], v[34:35], v[38:39], 1.0
	v_fma_f64 v[34:35], v[40:41], v[44:45], v[52:53]
	v_add_f64 v[38:39], v[56:57], v[42:43]
	v_ldexp_f64 v[25:26], v[32:33], v18
	s_delay_alu instid0(VALU_DEP_3) | instskip(SKIP_3) | instid1(VALU_DEP_3)
	v_add_f64 v[32:33], v[58:59], v[34:35]
	v_and_b32_e32 v18, 1, v21
	v_and_b32_e32 v8, 1, v31
	v_xor_b32_e32 v21, 0x80000000, v24
	v_cmp_eq_u32_e32 vcc_lo, 0, v18
	s_delay_alu instid0(VALU_DEP_3) | instskip(SKIP_1) | instid1(VALU_DEP_4)
	v_cmp_eq_u32_e64 s5, 0, v8
	v_cndmask_b32_e32 v18, v23, v38, vcc_lo
	v_dual_cndmask_b32 v8, v21, v39 :: v_dual_and_b32 v21, 0x80000000, v5
	s_and_b32 vcc_lo, s4, s3
	s_delay_alu instid0(VALU_DEP_2) | instskip(NEXT) | instid1(VALU_DEP_2)
	v_cndmask_b32_e64 v5, 0, v18, s2
	v_xor_b32_e32 v6, v8, v6
	s_delay_alu instid0(VALU_DEP_1) | instskip(SKIP_3) | instid1(VALU_DEP_3)
	v_cndmask_b32_e64 v6, 0x7ff80000, v6, s2
	v_cndmask_b32_e64 v7, 0x7ff00000, v26, s3
	;; [unrolled: 1-line block ×5, first 2 shown]
	s_delay_alu instid0(VALU_DEP_3) | instskip(NEXT) | instid1(VALU_DEP_3)
	v_xor_b32_e32 v8, v23, v21
	v_cndmask_b32_e64 v7, 0, v22, s2
	v_cndmask_b32_e32 v21, 0, v25, vcc_lo
	s_delay_alu instid0(VALU_DEP_4) | instskip(NEXT) | instid1(VALU_DEP_4)
	v_and_or_b32 v22, v24, s95, 0x7fe00000
	v_cndmask_b32_e64 v8, 0x7ff80000, v8, s2
	v_lshrrev_b32_e32 v18, 20, v24
	s_delay_alu instid0(VALU_DEP_3) | instskip(NEXT) | instid1(VALU_DEP_3)
	v_mul_f64 v[5:6], v[21:22], v[5:6]
	v_mul_f64 v[7:8], v[21:22], v[7:8]
	s_delay_alu instid0(VALU_DEP_3) | instskip(NEXT) | instid1(VALU_DEP_1)
	v_add_nc_u32_e32 v21, 0xffffff09, v18
	v_lshrrev_b16 v18, 15, v21
	s_delay_alu instid0(VALU_DEP_1) | instskip(NEXT) | instid1(VALU_DEP_1)
	v_add_nc_u16 v18, v21, v18
	v_ashrrev_i16 v18, 1, v18
	s_delay_alu instid0(VALU_DEP_1) | instskip(NEXT) | instid1(VALU_DEP_1)
	v_bfe_i32 v22, v18, 0, 16
	v_lshl_add_u32 v18, v22, 20, 0x3ff00000
	s_delay_alu instid0(VALU_DEP_1) | instskip(SKIP_3) | instid1(VALU_DEP_2)
	v_mul_f64 v[5:6], v[5:6], v[17:18]
	v_mul_f64 v[7:8], v[7:8], v[17:18]
	v_sub_nc_u32_e32 v18, v21, v22
	v_mov_b32_e32 v21, v17
	v_lshl_add_u32 v22, v18, 20, 0x3ff00000
	s_delay_alu instid0(VALU_DEP_1)
	v_mul_f64 v[23:24], v[5:6], v[21:22]
	v_mul_f64 v[21:22], v[7:8], v[21:22]
	s_or_b32 exec_lo, exec_lo, s34
                                        ; implicit-def: $vgpr25_vgpr26
                                        ; implicit-def: $vgpr5_vgpr6
                                        ; implicit-def: $vgpr18
.LBB248_28:                             ;   in Loop: Header=BB248_4 Depth=1
	s_and_not1_saveexec_b32 s3, s98
	s_cbranch_execz .LBB248_34
.LBB248_29:                             ;   in Loop: Header=BB248_4 Depth=1
	v_add_f64 v[21:22], v[7:8], -v[7:8]
	v_cmp_ne_u32_e32 vcc_lo, 0, v25
	v_cmp_ne_u32_e64 s2, 0x7ff00000, v18
	s_delay_alu instid0(VALU_DEP_1) | instskip(NEXT) | instid1(SALU_CYCLE_1)
	s_or_b32 s2, vcc_lo, s2
	s_and_saveexec_b32 s4, s2
	s_delay_alu instid0(SALU_CYCLE_1)
	s_xor_b32 s2, exec_lo, s4
; %bb.30:                               ;   in Loop: Header=BB248_4 Depth=1
                                        ; implicit-def: $vgpr25_vgpr26
                                        ; implicit-def: $vgpr5_vgpr6
; %bb.31:                               ;   in Loop: Header=BB248_4 Depth=1
	s_delay_alu instid0(SALU_CYCLE_1) | instskip(NEXT) | instid1(VALU_DEP_3)
	s_or_saveexec_b32 s2, s2
	v_dual_mov_b32 v24, v22 :: v_dual_mov_b32 v23, v21
	s_xor_b32 exec_lo, exec_lo, s2
; %bb.32:                               ;   in Loop: Header=BB248_4 Depth=1
	v_cmp_lt_i64_e32 vcc_lo, -1, v[25:26]
	v_dual_cndmask_b32 v24, 0, v26 :: v_dual_cndmask_b32 v23, 0, v5
	v_dual_cndmask_b32 v22, 0, v22 :: v_dual_cndmask_b32 v21, 0, v21
; %bb.33:                               ;   in Loop: Header=BB248_4 Depth=1
	s_or_b32 exec_lo, exec_lo, s2
.LBB248_34:                             ;   in Loop: Header=BB248_4 Depth=1
	s_delay_alu instid0(SALU_CYCLE_1)
	s_or_b32 exec_lo, exec_lo, s3
                                        ; implicit-def: $vgpr7_vgpr8
.LBB248_35:                             ;   in Loop: Header=BB248_4 Depth=1
	s_and_not1_saveexec_b32 s4, s97
	s_cbranch_execz .LBB248_45
; %bb.36:                               ;   in Loop: Header=BB248_4 Depth=1
	v_cmp_ngt_f64_e64 s3, 0x41d00000, |v[7:8]|
	v_trig_preop_f64 v[29:30], |v[7:8]|, 0
	v_trig_preop_f64 v[27:28], |v[7:8]|, 1
	v_ldexp_f64 v[31:32], |v[7:8]|, 0xffffff80
	v_trig_preop_f64 v[25:26], |v[7:8]|, 2
	v_and_b32_e32 v38, 0x7fffffff, v8
                                        ; implicit-def: $vgpr21
                                        ; implicit-def: $vgpr5_vgpr6
                                        ; implicit-def: $vgpr23_vgpr24
	s_and_saveexec_b32 s2, s3
	s_delay_alu instid0(SALU_CYCLE_1)
	s_xor_b32 s5, exec_lo, s2
	s_cbranch_execz .LBB248_38
; %bb.37:                               ;   in Loop: Header=BB248_4 Depth=1
	v_cmp_le_f64_e64 vcc_lo, 0x7b000000, |v[7:8]|
	s_mov_b32 s16, s18
	s_mov_b32 s25, s23
	s_delay_alu instid0(VALU_DEP_4) | instskip(NEXT) | instid1(VALU_DEP_1)
	v_dual_cndmask_b32 v6, v38, v32 :: v_dual_cndmask_b32 v5, v7, v31
	v_mul_f64 v[23:24], v[29:30], v[5:6]
	v_mul_f64 v[33:34], v[27:28], v[5:6]
	;; [unrolled: 1-line block ×3, first 2 shown]
	s_delay_alu instid0(VALU_DEP_3) | instskip(NEXT) | instid1(VALU_DEP_3)
	v_fma_f64 v[35:36], v[29:30], v[5:6], -v[23:24]
	v_fma_f64 v[49:50], v[27:28], v[5:6], -v[33:34]
	s_delay_alu instid0(VALU_DEP_3) | instskip(NEXT) | instid1(VALU_DEP_3)
	v_fma_f64 v[5:6], v[25:26], v[5:6], -v[47:48]
	v_add_f64 v[39:40], v[33:34], v[35:36]
	s_delay_alu instid0(VALU_DEP_1) | instskip(SKIP_1) | instid1(VALU_DEP_2)
	v_add_f64 v[41:42], v[39:40], -v[33:34]
	v_add_f64 v[45:46], v[23:24], v[39:40]
	v_add_f64 v[43:44], v[39:40], -v[41:42]
	v_add_f64 v[35:36], v[35:36], -v[41:42]
	s_delay_alu instid0(VALU_DEP_3) | instskip(SKIP_1) | instid1(VALU_DEP_4)
	v_ldexp_f64 v[41:42], v[45:46], -2
	v_add_f64 v[23:24], v[45:46], -v[23:24]
	v_add_f64 v[33:34], v[33:34], -v[43:44]
	v_add_f64 v[43:44], v[47:48], v[49:50]
	s_delay_alu instid0(VALU_DEP_4) | instskip(NEXT) | instid1(VALU_DEP_4)
	v_cmp_neq_f64_e64 vcc_lo, 0x7ff00000, |v[41:42]|
	v_add_f64 v[23:24], v[39:40], -v[23:24]
	s_delay_alu instid0(VALU_DEP_4) | instskip(SKIP_1) | instid1(VALU_DEP_2)
	v_add_f64 v[33:34], v[35:36], v[33:34]
	v_fract_f64_e32 v[35:36], v[41:42]
	v_add_f64 v[39:40], v[43:44], v[33:34]
	s_delay_alu instid0(VALU_DEP_2) | instskip(NEXT) | instid1(VALU_DEP_1)
	v_dual_cndmask_b32 v36, 0, v36 :: v_dual_cndmask_b32 v35, 0, v35
	v_ldexp_f64 v[35:36], v[35:36], 2
	s_delay_alu instid0(VALU_DEP_3) | instskip(SKIP_1) | instid1(VALU_DEP_2)
	v_add_f64 v[41:42], v[23:24], v[39:40]
	v_add_f64 v[51:52], v[39:40], -v[43:44]
	v_add_f64 v[45:46], v[41:42], v[35:36]
	s_delay_alu instid0(VALU_DEP_2) | instskip(SKIP_2) | instid1(VALU_DEP_4)
	v_add_f64 v[57:58], v[39:40], -v[51:52]
	v_add_f64 v[33:34], v[33:34], -v[51:52]
	;; [unrolled: 1-line block ×3, first 2 shown]
	v_cmp_gt_f64_e32 vcc_lo, 0, v[45:46]
	v_add_f64 v[45:46], v[43:44], -v[47:48]
	s_delay_alu instid0(VALU_DEP_3) | instskip(SKIP_1) | instid1(VALU_DEP_3)
	v_add_f64 v[23:24], v[39:40], -v[23:24]
	v_cndmask_b32_e64 v18, 0, 0x40100000, vcc_lo
	v_add_f64 v[55:56], v[43:44], -v[45:46]
	v_add_f64 v[45:46], v[49:50], -v[45:46]
	;; [unrolled: 1-line block ×3, first 2 shown]
	s_delay_alu instid0(VALU_DEP_4) | instskip(NEXT) | instid1(VALU_DEP_4)
	v_add_f64 v[35:36], v[35:36], v[17:18]
	v_add_f64 v[49:50], v[47:48], -v[55:56]
	s_delay_alu instid0(VALU_DEP_3) | instskip(NEXT) | instid1(VALU_DEP_3)
	v_add_f64 v[33:34], v[33:34], v[43:44]
	v_add_f64 v[53:54], v[41:42], v[35:36]
	s_delay_alu instid0(VALU_DEP_3) | instskip(NEXT) | instid1(VALU_DEP_2)
	v_add_f64 v[45:46], v[45:46], v[49:50]
	v_cvt_i32_f64_e32 v18, v[53:54]
	s_delay_alu instid0(VALU_DEP_2) | instskip(NEXT) | instid1(VALU_DEP_2)
	v_add_f64 v[33:34], v[45:46], v[33:34]
	v_cvt_f64_i32_e32 v[51:52], v18
	s_delay_alu instid0(VALU_DEP_2) | instskip(NEXT) | instid1(VALU_DEP_2)
	v_add_f64 v[5:6], v[5:6], v[33:34]
	v_add_f64 v[35:36], v[35:36], -v[51:52]
	s_delay_alu instid0(VALU_DEP_2) | instskip(NEXT) | instid1(VALU_DEP_2)
	v_add_f64 v[5:6], v[23:24], v[5:6]
	v_add_f64 v[43:44], v[41:42], v[35:36]
	s_delay_alu instid0(VALU_DEP_1) | instskip(SKIP_1) | instid1(VALU_DEP_2)
	v_add_f64 v[33:34], v[43:44], -v[35:36]
	v_cmp_le_f64_e32 vcc_lo, 0.5, v[43:44]
	v_add_f64 v[23:24], v[41:42], -v[33:34]
	v_add_co_ci_u32_e64 v21, s2, 0, v18, vcc_lo
	v_cndmask_b32_e64 v18, 0, 0x3ff00000, vcc_lo
	s_delay_alu instid0(VALU_DEP_3) | instskip(NEXT) | instid1(VALU_DEP_2)
	v_add_f64 v[5:6], v[5:6], v[23:24]
	v_add_f64 v[23:24], v[43:44], -v[17:18]
	s_delay_alu instid0(VALU_DEP_1) | instskip(NEXT) | instid1(VALU_DEP_1)
	v_add_f64 v[33:34], v[23:24], v[5:6]
	v_mul_f64 v[35:36], v[33:34], s[16:17]
	v_add_f64 v[23:24], v[33:34], -v[23:24]
	s_delay_alu instid0(VALU_DEP_2) | instskip(NEXT) | instid1(VALU_DEP_2)
	v_fma_f64 v[39:40], v[33:34], s[16:17], -v[35:36]
	v_add_f64 v[5:6], v[5:6], -v[23:24]
	s_delay_alu instid0(VALU_DEP_2) | instskip(NEXT) | instid1(VALU_DEP_1)
	v_fma_f64 v[23:24], v[33:34], s[24:25], v[39:40]
	v_fma_f64 v[23:24], v[5:6], s[16:17], v[23:24]
	s_delay_alu instid0(VALU_DEP_1) | instskip(NEXT) | instid1(VALU_DEP_1)
	v_add_f64 v[5:6], v[35:36], v[23:24]
	v_add_f64 v[33:34], v[5:6], -v[35:36]
	s_delay_alu instid0(VALU_DEP_1)
	v_add_f64 v[23:24], v[23:24], -v[33:34]
	s_and_not1_saveexec_b32 s2, s5
	s_cbranch_execz .LBB248_40
	s_branch .LBB248_39
.LBB248_38:                             ;   in Loop: Header=BB248_4 Depth=1
	s_and_not1_saveexec_b32 s2, s5
	s_cbranch_execz .LBB248_40
.LBB248_39:                             ;   in Loop: Header=BB248_4 Depth=1
	v_mul_f64 v[5:6], |v[7:8]|, s[26:27]
	s_mov_b32 s22, s28
	s_delay_alu instid0(VALU_DEP_1) | instskip(NEXT) | instid1(VALU_DEP_1)
	v_rndne_f64_e32 v[33:34], v[5:6]
	v_fma_f64 v[5:6], v[33:34], s[18:19], |v[7:8]|
	v_mul_f64 v[23:24], v[33:34], s[28:29]
	v_cvt_i32_f64_e32 v21, v[33:34]
	s_delay_alu instid0(VALU_DEP_3) | instskip(NEXT) | instid1(VALU_DEP_3)
	v_fma_f64 v[39:40], v[33:34], s[28:29], v[5:6]
	v_add_f64 v[35:36], v[5:6], v[23:24]
	s_delay_alu instid0(VALU_DEP_1) | instskip(NEXT) | instid1(VALU_DEP_3)
	v_add_f64 v[5:6], v[5:6], -v[35:36]
	v_add_f64 v[35:36], v[35:36], -v[39:40]
	s_delay_alu instid0(VALU_DEP_2) | instskip(SKIP_1) | instid1(VALU_DEP_2)
	v_add_f64 v[5:6], v[5:6], v[23:24]
	v_fma_f64 v[23:24], v[33:34], s[22:23], v[23:24]
	v_add_f64 v[5:6], v[35:36], v[5:6]
	s_delay_alu instid0(VALU_DEP_1) | instskip(NEXT) | instid1(VALU_DEP_1)
	v_add_f64 v[5:6], v[5:6], -v[23:24]
	v_fma_f64 v[23:24], v[33:34], s[30:31], v[5:6]
	s_delay_alu instid0(VALU_DEP_1) | instskip(NEXT) | instid1(VALU_DEP_1)
	v_add_f64 v[5:6], v[39:40], v[23:24]
	v_add_f64 v[35:36], v[5:6], -v[39:40]
	s_delay_alu instid0(VALU_DEP_1)
	v_add_f64 v[23:24], v[23:24], -v[35:36]
.LBB248_40:                             ;   in Loop: Header=BB248_4 Depth=1
	s_or_b32 exec_lo, exec_lo, s2
                                        ; implicit-def: $vgpr39
                                        ; implicit-def: $vgpr33_vgpr34
                                        ; implicit-def: $vgpr35_vgpr36
	s_and_saveexec_b32 s2, s3
	s_delay_alu instid0(SALU_CYCLE_1)
	s_xor_b32 s3, exec_lo, s2
	s_cbranch_execz .LBB248_42
; %bb.41:                               ;   in Loop: Header=BB248_4 Depth=1
	v_cmp_le_f64_e64 vcc_lo, 0x7b000000, |v[7:8]|
	s_mov_b32 s16, s18
	s_mov_b32 s25, s23
	s_delay_alu instid0(VALU_DEP_4) | instskip(NEXT) | instid1(VALU_DEP_1)
	v_dual_cndmask_b32 v32, v38, v32 :: v_dual_cndmask_b32 v31, v7, v31
	v_mul_f64 v[33:34], v[29:30], v[31:32]
	v_mul_f64 v[35:36], v[27:28], v[31:32]
	;; [unrolled: 1-line block ×3, first 2 shown]
	s_delay_alu instid0(VALU_DEP_3) | instskip(NEXT) | instid1(VALU_DEP_3)
	v_fma_f64 v[29:30], v[29:30], v[31:32], -v[33:34]
	v_fma_f64 v[27:28], v[27:28], v[31:32], -v[35:36]
	s_delay_alu instid0(VALU_DEP_3) | instskip(NEXT) | instid1(VALU_DEP_3)
	v_fma_f64 v[25:26], v[25:26], v[31:32], -v[46:47]
	v_add_f64 v[38:39], v[35:36], v[29:30]
	s_delay_alu instid0(VALU_DEP_1) | instskip(SKIP_1) | instid1(VALU_DEP_2)
	v_add_f64 v[40:41], v[38:39], -v[35:36]
	v_add_f64 v[44:45], v[33:34], v[38:39]
	v_add_f64 v[42:43], v[38:39], -v[40:41]
	v_add_f64 v[29:30], v[29:30], -v[40:41]
	s_delay_alu instid0(VALU_DEP_3) | instskip(SKIP_1) | instid1(VALU_DEP_4)
	v_ldexp_f64 v[40:41], v[44:45], -2
	v_add_f64 v[33:34], v[44:45], -v[33:34]
	v_add_f64 v[35:36], v[35:36], -v[42:43]
	v_add_f64 v[42:43], v[46:47], v[27:28]
	s_delay_alu instid0(VALU_DEP_4) | instskip(NEXT) | instid1(VALU_DEP_4)
	v_cmp_neq_f64_e64 vcc_lo, 0x7ff00000, |v[40:41]|
	v_add_f64 v[33:34], v[38:39], -v[33:34]
	s_delay_alu instid0(VALU_DEP_4) | instskip(SKIP_1) | instid1(VALU_DEP_2)
	v_add_f64 v[29:30], v[29:30], v[35:36]
	v_fract_f64_e32 v[35:36], v[40:41]
	v_add_f64 v[38:39], v[42:43], v[29:30]
	s_delay_alu instid0(VALU_DEP_2) | instskip(NEXT) | instid1(VALU_DEP_1)
	v_dual_cndmask_b32 v36, 0, v36 :: v_dual_cndmask_b32 v35, 0, v35
	v_ldexp_f64 v[35:36], v[35:36], 2
	s_delay_alu instid0(VALU_DEP_3) | instskip(SKIP_1) | instid1(VALU_DEP_2)
	v_add_f64 v[40:41], v[33:34], v[38:39]
	v_add_f64 v[48:49], v[38:39], -v[42:43]
	v_add_f64 v[44:45], v[40:41], v[35:36]
	s_delay_alu instid0(VALU_DEP_2) | instskip(SKIP_2) | instid1(VALU_DEP_4)
	v_add_f64 v[54:55], v[38:39], -v[48:49]
	v_add_f64 v[29:30], v[29:30], -v[48:49]
	;; [unrolled: 1-line block ×3, first 2 shown]
	v_cmp_gt_f64_e32 vcc_lo, 0, v[44:45]
	v_add_f64 v[44:45], v[42:43], -v[46:47]
	s_delay_alu instid0(VALU_DEP_3) | instskip(SKIP_1) | instid1(VALU_DEP_3)
	v_add_f64 v[31:32], v[38:39], -v[31:32]
	v_cndmask_b32_e64 v18, 0, 0x40100000, vcc_lo
	v_add_f64 v[52:53], v[42:43], -v[44:45]
	v_add_f64 v[27:28], v[27:28], -v[44:45]
	;; [unrolled: 1-line block ×3, first 2 shown]
	s_delay_alu instid0(VALU_DEP_4) | instskip(NEXT) | instid1(VALU_DEP_4)
	v_add_f64 v[35:36], v[35:36], v[17:18]
	v_add_f64 v[44:45], v[46:47], -v[52:53]
	s_delay_alu instid0(VALU_DEP_3) | instskip(NEXT) | instid1(VALU_DEP_3)
	v_add_f64 v[29:30], v[29:30], v[42:43]
	v_add_f64 v[50:51], v[40:41], v[35:36]
	s_delay_alu instid0(VALU_DEP_3) | instskip(NEXT) | instid1(VALU_DEP_2)
	v_add_f64 v[27:28], v[27:28], v[44:45]
	v_cvt_i32_f64_e32 v18, v[50:51]
	s_delay_alu instid0(VALU_DEP_2) | instskip(NEXT) | instid1(VALU_DEP_2)
	v_add_f64 v[27:28], v[27:28], v[29:30]
	v_cvt_f64_i32_e32 v[48:49], v18
	s_delay_alu instid0(VALU_DEP_2) | instskip(NEXT) | instid1(VALU_DEP_2)
	v_add_f64 v[25:26], v[25:26], v[27:28]
	v_add_f64 v[35:36], v[35:36], -v[48:49]
	s_delay_alu instid0(VALU_DEP_2) | instskip(NEXT) | instid1(VALU_DEP_2)
	v_add_f64 v[25:26], v[31:32], v[25:26]
	v_add_f64 v[29:30], v[40:41], v[35:36]
	s_delay_alu instid0(VALU_DEP_1) | instskip(SKIP_1) | instid1(VALU_DEP_2)
	v_add_f64 v[27:28], v[29:30], -v[35:36]
	v_cmp_le_f64_e32 vcc_lo, 0.5, v[29:30]
	v_add_f64 v[27:28], v[40:41], -v[27:28]
	v_add_co_ci_u32_e64 v39, s2, 0, v18, vcc_lo
	v_cndmask_b32_e64 v18, 0, 0x3ff00000, vcc_lo
	s_delay_alu instid0(VALU_DEP_3) | instskip(NEXT) | instid1(VALU_DEP_2)
	v_add_f64 v[25:26], v[25:26], v[27:28]
	v_add_f64 v[27:28], v[29:30], -v[17:18]
	s_delay_alu instid0(VALU_DEP_1) | instskip(NEXT) | instid1(VALU_DEP_1)
	v_add_f64 v[29:30], v[27:28], v[25:26]
	v_mul_f64 v[31:32], v[29:30], s[16:17]
	v_add_f64 v[27:28], v[29:30], -v[27:28]
	s_delay_alu instid0(VALU_DEP_2) | instskip(NEXT) | instid1(VALU_DEP_2)
	v_fma_f64 v[33:34], v[29:30], s[16:17], -v[31:32]
	v_add_f64 v[25:26], v[25:26], -v[27:28]
	s_delay_alu instid0(VALU_DEP_2) | instskip(NEXT) | instid1(VALU_DEP_1)
	v_fma_f64 v[27:28], v[29:30], s[24:25], v[33:34]
	v_fma_f64 v[25:26], v[25:26], s[16:17], v[27:28]
	s_delay_alu instid0(VALU_DEP_1) | instskip(NEXT) | instid1(VALU_DEP_1)
	v_add_f64 v[33:34], v[31:32], v[25:26]
	v_add_f64 v[27:28], v[33:34], -v[31:32]
	s_delay_alu instid0(VALU_DEP_1)
	v_add_f64 v[35:36], v[25:26], -v[27:28]
	s_and_not1_saveexec_b32 s2, s3
	s_cbranch_execnz .LBB248_43
	s_branch .LBB248_44
.LBB248_42:                             ;   in Loop: Header=BB248_4 Depth=1
	s_and_not1_saveexec_b32 s2, s3
	s_cbranch_execz .LBB248_44
.LBB248_43:                             ;   in Loop: Header=BB248_4 Depth=1
	v_mul_f64 v[25:26], |v[7:8]|, s[26:27]
	s_mov_b32 s22, s28
	s_delay_alu instid0(VALU_DEP_1) | instskip(NEXT) | instid1(VALU_DEP_1)
	v_rndne_f64_e32 v[25:26], v[25:26]
	v_fma_f64 v[27:28], v[25:26], s[18:19], |v[7:8]|
	v_mul_f64 v[29:30], v[25:26], s[28:29]
	v_cvt_i32_f64_e32 v39, v[25:26]
	s_delay_alu instid0(VALU_DEP_3) | instskip(NEXT) | instid1(VALU_DEP_3)
	v_fma_f64 v[35:36], v[25:26], s[28:29], v[27:28]
	v_add_f64 v[31:32], v[27:28], v[29:30]
	s_delay_alu instid0(VALU_DEP_1) | instskip(NEXT) | instid1(VALU_DEP_3)
	v_add_f64 v[27:28], v[27:28], -v[31:32]
	v_add_f64 v[31:32], v[31:32], -v[35:36]
	s_delay_alu instid0(VALU_DEP_2) | instskip(SKIP_1) | instid1(VALU_DEP_2)
	v_add_f64 v[27:28], v[27:28], v[29:30]
	v_fma_f64 v[29:30], v[25:26], s[22:23], v[29:30]
	v_add_f64 v[27:28], v[31:32], v[27:28]
	s_delay_alu instid0(VALU_DEP_1) | instskip(NEXT) | instid1(VALU_DEP_1)
	v_add_f64 v[27:28], v[27:28], -v[29:30]
	v_fma_f64 v[27:28], v[25:26], s[30:31], v[27:28]
	s_delay_alu instid0(VALU_DEP_1) | instskip(NEXT) | instid1(VALU_DEP_1)
	v_add_f64 v[33:34], v[35:36], v[27:28]
	v_add_f64 v[29:30], v[33:34], -v[35:36]
	s_delay_alu instid0(VALU_DEP_1)
	v_add_f64 v[35:36], v[27:28], -v[29:30]
.LBB248_44:                             ;   in Loop: Header=BB248_4 Depth=1
	s_or_b32 exec_lo, exec_lo, s2
	v_mul_f64 v[25:26], v[5:6], v[5:6]
	v_mul_f64 v[27:28], v[33:34], v[33:34]
	s_delay_alu instid0(VALU_DEP_3) | instskip(NEXT) | instid1(VALU_DEP_4)
	v_mul_f64 v[52:53], v[23:24], 0.5
	v_mul_f64 v[58:59], v[35:36], 0.5
	s_mov_b32 s86, s56
	v_cmp_class_f64_e64 s2, v[7:8], 0x1f8
	v_and_b32_e32 v18, 1, v21
	v_and_b32_e32 v8, 1, v39
	s_delay_alu instid0(VALU_DEP_2) | instskip(SKIP_1) | instid1(VALU_DEP_3)
	v_cmp_eq_u32_e32 vcc_lo, 0, v18
	v_lshlrev_b32_e32 v18, 30, v21
	v_cmp_eq_u32_e64 s3, 0, v8
	s_delay_alu instid0(VALU_DEP_2)
	v_and_b32_e32 v8, 0x80000000, v18
	v_fma_f64 v[29:30], v[25:26], s[74:75], s[72:73]
	v_fma_f64 v[31:32], v[27:28], s[74:75], s[72:73]
	v_fma_f64 v[40:41], v[25:26], s[64:65], s[62:63]
	v_mul_f64 v[42:43], v[25:26], 0.5
	v_fma_f64 v[44:45], v[27:28], s[64:65], s[62:63]
	v_mul_f64 v[46:47], v[27:28], 0.5
	v_mul_f64 v[54:55], v[5:6], -v[25:26]
	v_mul_f64 v[60:61], v[33:34], -v[27:28]
	v_fma_f64 v[29:30], v[25:26], v[29:30], s[76:77]
	v_fma_f64 v[31:32], v[27:28], v[31:32], s[76:77]
	;; [unrolled: 1-line block ×3, first 2 shown]
	v_add_f64 v[48:49], -v[42:43], 1.0
	v_fma_f64 v[44:45], v[27:28], v[44:45], s[66:67]
	v_add_f64 v[50:51], -v[46:47], 1.0
	v_fma_f64 v[29:30], v[25:26], v[29:30], s[78:79]
	v_fma_f64 v[31:32], v[27:28], v[31:32], s[78:79]
	;; [unrolled: 1-line block ×3, first 2 shown]
	v_add_f64 v[56:57], -v[48:49], 1.0
	v_fma_f64 v[44:45], v[27:28], v[44:45], s[68:69]
	v_add_f64 v[62:63], -v[50:51], 1.0
	v_fma_f64 v[29:30], v[25:26], v[29:30], s[54:55]
	v_fma_f64 v[31:32], v[27:28], v[31:32], s[54:55]
	;; [unrolled: 1-line block ×3, first 2 shown]
	v_add_f64 v[42:43], v[56:57], -v[42:43]
	v_fma_f64 v[44:45], v[27:28], v[44:45], s[70:71]
	v_add_f64 v[46:47], v[62:63], -v[46:47]
	v_fma_f64 v[29:30], v[54:55], v[29:30], v[52:53]
	v_fma_f64 v[31:32], v[60:61], v[31:32], v[58:59]
	v_mul_f64 v[52:53], v[25:26], v[25:26]
	v_fma_f64 v[40:41], v[25:26], v[40:41], s[56:57]
	v_fma_f64 v[42:43], v[5:6], -v[23:24], v[42:43]
	v_fma_f64 v[23:24], v[25:26], v[29:30], -v[23:24]
	v_mul_f64 v[25:26], v[27:28], v[27:28]
	v_fma_f64 v[29:30], v[27:28], v[44:45], s[56:57]
	v_fma_f64 v[44:45], v[33:34], -v[35:36], v[46:47]
	v_fma_f64 v[27:28], v[27:28], v[31:32], -v[35:36]
	v_fma_f64 v[31:32], v[52:53], v[40:41], v[42:43]
	v_fma_f64 v[23:24], v[54:55], s[86:87], v[23:24]
	s_delay_alu instid0(VALU_DEP_4) | instskip(NEXT) | instid1(VALU_DEP_4)
	v_fma_f64 v[25:26], v[25:26], v[29:30], v[44:45]
	v_fma_f64 v[27:28], v[60:61], s[86:87], v[27:28]
	s_delay_alu instid0(VALU_DEP_4) | instskip(NEXT) | instid1(VALU_DEP_4)
	v_add_f64 v[29:30], v[48:49], v[31:32]
	v_add_f64 v[5:6], v[5:6], -v[23:24]
	s_delay_alu instid0(VALU_DEP_4) | instskip(NEXT) | instid1(VALU_DEP_4)
	v_add_f64 v[23:24], v[50:51], v[25:26]
	v_add_f64 v[25:26], v[33:34], -v[27:28]
	s_delay_alu instid0(VALU_DEP_3) | instskip(NEXT) | instid1(VALU_DEP_4)
	v_cndmask_b32_e32 v5, v5, v29, vcc_lo
	v_xor_b32_e32 v6, 0x80000000, v6
	v_lshlrev_b32_e32 v7, 30, v39
	s_delay_alu instid0(VALU_DEP_4) | instskip(SKIP_1) | instid1(VALU_DEP_4)
	v_cndmask_b32_e64 v21, v24, v26, s3
	v_cndmask_b32_e64 v18, v23, v25, s3
	v_cndmask_b32_e32 v6, v6, v30, vcc_lo
	s_delay_alu instid0(VALU_DEP_4) | instskip(SKIP_1) | instid1(VALU_DEP_3)
	v_xor_b32_e32 v7, v7, v22
	v_cndmask_b32_e64 v23, 0, v5, s2
	v_xor_b32_e32 v6, v6, v8
	s_delay_alu instid0(VALU_DEP_3) | instskip(NEXT) | instid1(VALU_DEP_2)
	v_and_b32_e32 v7, 0x80000000, v7
	v_cndmask_b32_e64 v24, 0x7ff80000, v6, s2
	s_delay_alu instid0(VALU_DEP_2) | instskip(SKIP_1) | instid1(VALU_DEP_2)
	v_xor_b32_e32 v7, v21, v7
	v_cndmask_b32_e64 v21, 0, v18, s2
	v_cndmask_b32_e64 v22, 0x7ff80000, v7, s2
.LBB248_45:                             ;   in Loop: Header=BB248_4 Depth=1
	s_or_b32 exec_lo, exec_lo, s4
                                        ; implicit-def: $vgpr5_vgpr6
.LBB248_46:                             ;   in Loop: Header=BB248_4 Depth=1
	s_and_not1_saveexec_b32 s3, s96
	s_cbranch_execz .LBB248_48
; %bb.47:                               ;   in Loop: Header=BB248_4 Depth=1
	s_mov_b32 s34, s36
	s_mov_b32 s83, s55
	v_mul_f64 v[7:8], v[5:6], s[34:35]
	s_mov_b32 s85, s57
	v_cmp_ngt_f64_e32 vcc_lo, 0xc0900000, v[5:6]
	v_cmp_nlt_f64_e64 s2, 0x4090cc00, v[5:6]
	s_delay_alu instid0(VALU_DEP_3) | instskip(NEXT) | instid1(VALU_DEP_1)
	v_rndne_f64_e32 v[7:8], v[7:8]
	v_fma_f64 v[23:24], v[7:8], s[38:39], -v[5:6]
	v_cvt_i32_f64_e32 v18, v[7:8]
	s_delay_alu instid0(VALU_DEP_2) | instskip(NEXT) | instid1(VALU_DEP_1)
	v_fma_f64 v[23:24], v[7:8], s[40:41], v[23:24]
	v_fma_f64 v[25:26], v[23:24], s[44:45], s[42:43]
	s_delay_alu instid0(VALU_DEP_1) | instskip(NEXT) | instid1(VALU_DEP_1)
	v_fma_f64 v[25:26], v[23:24], v[25:26], s[46:47]
	v_fma_f64 v[25:26], v[23:24], v[25:26], s[48:49]
	s_delay_alu instid0(VALU_DEP_1) | instskip(NEXT) | instid1(VALU_DEP_1)
	;; [unrolled: 3-line block ×5, first 2 shown]
	v_fma_f64 v[25:26], v[23:24], v[25:26], 1.0
	v_fma_f64 v[7:8], v[23:24], v[25:26], 1.0
	s_delay_alu instid0(VALU_DEP_1) | instskip(NEXT) | instid1(VALU_DEP_1)
	v_ldexp_f64 v[7:8], v[7:8], v18
	v_cndmask_b32_e32 v8, 0x7ff00000, v8, vcc_lo
	s_and_b32 vcc_lo, s2, vcc_lo
	s_delay_alu instid0(VALU_DEP_2) | instskip(NEXT) | instid1(VALU_DEP_2)
	v_cndmask_b32_e32 v23, 0, v7, vcc_lo
	v_cndmask_b32_e64 v24, 0, v8, s2
.LBB248_48:                             ;   in Loop: Header=BB248_4 Depth=1
	s_or_b32 exec_lo, exec_lo, s3
	s_delay_alu instid0(VALU_DEP_1) | instskip(NEXT) | instid1(VALU_DEP_2)
	v_add_f64 v[23:24], s[8:9], v[23:24]
	v_add_f64 v[21:22], s[10:11], v[21:22]
                                        ; implicit-def: $vgpr7_vgpr8
	s_delay_alu instid0(VALU_DEP_2) | instskip(NEXT) | instid1(VALU_DEP_2)
	v_cmp_gt_f64_e32 vcc_lo, 0, v[23:24]
	v_cmp_gt_f64_e64 s2, 0, v[21:22]
	v_xor_b32_e32 v5, 0x80000000, v24
	v_xor_b32_e32 v6, 0x80000000, v22
	s_delay_alu instid0(VALU_DEP_2) | instskip(NEXT) | instid1(VALU_DEP_2)
	v_dual_cndmask_b32 v26, v24, v5 :: v_dual_cndmask_b32 v25, v23, v23
	v_cndmask_b32_e64 v28, v22, v6, s2
	v_cndmask_b32_e64 v27, v21, v21, s2
	s_mov_b32 s2, exec_lo
	s_delay_alu instid0(VALU_DEP_1)
	v_cmpx_ge_f64_e32 v[25:26], v[27:28]
	s_xor_b32 s3, exec_lo, s2
	s_cbranch_execz .LBB248_54
; %bb.49:                               ;   in Loop: Header=BB248_4 Depth=1
	v_cmp_neq_f64_e32 vcc_lo, 0, v[23:24]
	v_cmp_neq_f64_e64 s2, 0, v[21:22]
                                        ; implicit-def: $vgpr7_vgpr8
	s_delay_alu instid0(VALU_DEP_1) | instskip(NEXT) | instid1(SALU_CYCLE_1)
	s_or_b32 s2, vcc_lo, s2
	s_and_saveexec_b32 s4, s2
	s_delay_alu instid0(SALU_CYCLE_1)
	s_xor_b32 s2, exec_lo, s4
	s_cbranch_execz .LBB248_51
; %bb.50:                               ;   in Loop: Header=BB248_4 Depth=1
	v_div_scale_f64 v[5:6], null, v[23:24], v[23:24], v[21:22]
	v_div_scale_f64 v[27:28], vcc_lo, v[21:22], v[23:24], v[21:22]
	s_delay_alu instid0(VALU_DEP_2) | instskip(SKIP_2) | instid1(VALU_DEP_1)
	v_rcp_f64_e32 v[7:8], v[5:6]
	s_waitcnt_depctr 0xfff
	v_fma_f64 v[25:26], -v[5:6], v[7:8], 1.0
	v_fma_f64 v[7:8], v[7:8], v[25:26], v[7:8]
	s_delay_alu instid0(VALU_DEP_1) | instskip(NEXT) | instid1(VALU_DEP_1)
	v_fma_f64 v[25:26], -v[5:6], v[7:8], 1.0
	v_fma_f64 v[7:8], v[7:8], v[25:26], v[7:8]
	s_delay_alu instid0(VALU_DEP_1) | instskip(NEXT) | instid1(VALU_DEP_1)
	v_mul_f64 v[25:26], v[27:28], v[7:8]
	v_fma_f64 v[5:6], -v[5:6], v[25:26], v[27:28]
	s_delay_alu instid0(VALU_DEP_1) | instskip(NEXT) | instid1(VALU_DEP_1)
	v_div_fmas_f64 v[5:6], v[5:6], v[7:8], v[25:26]
	v_div_fixup_f64 v[5:6], v[5:6], v[23:24], v[21:22]
	s_delay_alu instid0(VALU_DEP_1) | instskip(NEXT) | instid1(VALU_DEP_1)
	v_fma_f64 v[7:8], v[21:22], v[5:6], v[23:24]
	v_div_scale_f64 v[21:22], null, v[7:8], v[7:8], 1.0
	v_div_scale_f64 v[27:28], vcc_lo, 1.0, v[7:8], 1.0
	s_delay_alu instid0(VALU_DEP_2) | instskip(SKIP_2) | instid1(VALU_DEP_1)
	v_rcp_f64_e32 v[23:24], v[21:22]
	s_waitcnt_depctr 0xfff
	v_fma_f64 v[25:26], -v[21:22], v[23:24], 1.0
	v_fma_f64 v[23:24], v[23:24], v[25:26], v[23:24]
	s_delay_alu instid0(VALU_DEP_1) | instskip(NEXT) | instid1(VALU_DEP_1)
	v_fma_f64 v[25:26], -v[21:22], v[23:24], 1.0
	v_fma_f64 v[23:24], v[23:24], v[25:26], v[23:24]
	s_delay_alu instid0(VALU_DEP_1) | instskip(NEXT) | instid1(VALU_DEP_1)
	v_mul_f64 v[25:26], v[27:28], v[23:24]
	v_fma_f64 v[21:22], -v[21:22], v[25:26], v[27:28]
                                        ; implicit-def: $vgpr27_vgpr28
	s_delay_alu instid0(VALU_DEP_1) | instskip(SKIP_1) | instid1(VALU_DEP_2)
	v_div_fmas_f64 v[21:22], v[21:22], v[23:24], v[25:26]
	v_fma_f64 v[23:24], s[10:11], v[5:6], s[8:9]
                                        ; implicit-def: $vgpr25_vgpr26
	v_div_fixup_f64 v[7:8], v[21:22], v[7:8], 1.0
	v_fma_f64 v[21:22], -s[8:9], v[5:6], s[10:11]
	s_delay_alu instid0(VALU_DEP_2) | instskip(NEXT) | instid1(VALU_DEP_2)
	v_mul_f64 v[5:6], v[23:24], v[7:8]
	v_mul_f64 v[7:8], v[21:22], v[7:8]
.LBB248_51:                             ;   in Loop: Header=BB248_4 Depth=1
	s_and_not1_saveexec_b32 s4, s2
	s_cbranch_execz .LBB248_53
; %bb.52:                               ;   in Loop: Header=BB248_4 Depth=1
	v_div_scale_f64 v[5:6], null, v[25:26], v[25:26], s[8:9]
	v_div_scale_f64 v[7:8], null, v[27:28], v[27:28], s[10:11]
	v_div_scale_f64 v[33:34], vcc_lo, s[8:9], v[25:26], s[8:9]
	s_delay_alu instid0(VALU_DEP_3) | instskip(NEXT) | instid1(VALU_DEP_2)
	v_rcp_f64_e32 v[21:22], v[5:6]
	v_rcp_f64_e32 v[23:24], v[7:8]
	s_waitcnt_depctr 0xfff
	v_fma_f64 v[29:30], -v[5:6], v[21:22], 1.0
	v_fma_f64 v[31:32], -v[7:8], v[23:24], 1.0
	s_delay_alu instid0(VALU_DEP_2) | instskip(NEXT) | instid1(VALU_DEP_2)
	v_fma_f64 v[21:22], v[21:22], v[29:30], v[21:22]
	v_fma_f64 v[23:24], v[23:24], v[31:32], v[23:24]
	s_delay_alu instid0(VALU_DEP_2) | instskip(NEXT) | instid1(VALU_DEP_2)
	v_fma_f64 v[29:30], -v[5:6], v[21:22], 1.0
	v_fma_f64 v[31:32], -v[7:8], v[23:24], 1.0
	s_delay_alu instid0(VALU_DEP_2) | instskip(SKIP_1) | instid1(VALU_DEP_3)
	v_fma_f64 v[21:22], v[21:22], v[29:30], v[21:22]
	v_div_scale_f64 v[29:30], s2, s[10:11], v[27:28], s[10:11]
	v_fma_f64 v[23:24], v[23:24], v[31:32], v[23:24]
	s_delay_alu instid0(VALU_DEP_3) | instskip(NEXT) | instid1(VALU_DEP_2)
	v_mul_f64 v[31:32], v[33:34], v[21:22]
	v_mul_f64 v[35:36], v[29:30], v[23:24]
	s_delay_alu instid0(VALU_DEP_2) | instskip(NEXT) | instid1(VALU_DEP_2)
	v_fma_f64 v[5:6], -v[5:6], v[31:32], v[33:34]
	v_fma_f64 v[7:8], -v[7:8], v[35:36], v[29:30]
	s_delay_alu instid0(VALU_DEP_2) | instskip(SKIP_1) | instid1(VALU_DEP_2)
	v_div_fmas_f64 v[5:6], v[5:6], v[21:22], v[31:32]
	s_mov_b32 vcc_lo, s2
	v_div_fmas_f64 v[7:8], v[7:8], v[23:24], v[35:36]
	s_delay_alu instid0(VALU_DEP_2) | instskip(NEXT) | instid1(VALU_DEP_2)
	v_div_fixup_f64 v[5:6], v[5:6], v[25:26], s[8:9]
	v_div_fixup_f64 v[7:8], v[7:8], v[27:28], s[10:11]
.LBB248_53:                             ;   in Loop: Header=BB248_4 Depth=1
	s_or_b32 exec_lo, exec_lo, s4
                                        ; implicit-def: $vgpr21_vgpr22
                                        ; implicit-def: $vgpr23_vgpr24
.LBB248_54:                             ;   in Loop: Header=BB248_4 Depth=1
	s_and_not1_saveexec_b32 s2, s3
	s_cbranch_execz .LBB248_56
; %bb.55:                               ;   in Loop: Header=BB248_4 Depth=1
	v_div_scale_f64 v[5:6], null, v[21:22], v[21:22], v[23:24]
	v_div_scale_f64 v[27:28], vcc_lo, v[23:24], v[21:22], v[23:24]
	s_delay_alu instid0(VALU_DEP_2) | instskip(SKIP_2) | instid1(VALU_DEP_1)
	v_rcp_f64_e32 v[7:8], v[5:6]
	s_waitcnt_depctr 0xfff
	v_fma_f64 v[25:26], -v[5:6], v[7:8], 1.0
	v_fma_f64 v[7:8], v[7:8], v[25:26], v[7:8]
	s_delay_alu instid0(VALU_DEP_1) | instskip(NEXT) | instid1(VALU_DEP_1)
	v_fma_f64 v[25:26], -v[5:6], v[7:8], 1.0
	v_fma_f64 v[7:8], v[7:8], v[25:26], v[7:8]
	s_delay_alu instid0(VALU_DEP_1) | instskip(NEXT) | instid1(VALU_DEP_1)
	v_mul_f64 v[25:26], v[27:28], v[7:8]
	v_fma_f64 v[5:6], -v[5:6], v[25:26], v[27:28]
	s_delay_alu instid0(VALU_DEP_1) | instskip(NEXT) | instid1(VALU_DEP_1)
	v_div_fmas_f64 v[5:6], v[5:6], v[7:8], v[25:26]
	v_div_fixup_f64 v[5:6], v[5:6], v[21:22], v[23:24]
	s_delay_alu instid0(VALU_DEP_1) | instskip(NEXT) | instid1(VALU_DEP_1)
	v_fma_f64 v[7:8], v[23:24], v[5:6], v[21:22]
	v_div_scale_f64 v[21:22], null, v[7:8], v[7:8], 1.0
	v_div_scale_f64 v[27:28], vcc_lo, 1.0, v[7:8], 1.0
	s_delay_alu instid0(VALU_DEP_2) | instskip(SKIP_2) | instid1(VALU_DEP_1)
	v_rcp_f64_e32 v[23:24], v[21:22]
	s_waitcnt_depctr 0xfff
	v_fma_f64 v[25:26], -v[21:22], v[23:24], 1.0
	v_fma_f64 v[23:24], v[23:24], v[25:26], v[23:24]
	s_delay_alu instid0(VALU_DEP_1) | instskip(NEXT) | instid1(VALU_DEP_1)
	v_fma_f64 v[25:26], -v[21:22], v[23:24], 1.0
	v_fma_f64 v[23:24], v[23:24], v[25:26], v[23:24]
	s_delay_alu instid0(VALU_DEP_1) | instskip(NEXT) | instid1(VALU_DEP_1)
	v_mul_f64 v[25:26], v[27:28], v[23:24]
	v_fma_f64 v[21:22], -v[21:22], v[25:26], v[27:28]
	s_delay_alu instid0(VALU_DEP_1) | instskip(SKIP_1) | instid1(VALU_DEP_2)
	v_div_fmas_f64 v[21:22], v[21:22], v[23:24], v[25:26]
	v_fma_f64 v[23:24], s[8:9], v[5:6], s[10:11]
	v_div_fixup_f64 v[7:8], v[21:22], v[7:8], 1.0
	v_fma_f64 v[21:22], s[10:11], v[5:6], -s[8:9]
	s_delay_alu instid0(VALU_DEP_2) | instskip(NEXT) | instid1(VALU_DEP_2)
	v_mul_f64 v[5:6], v[23:24], v[7:8]
	v_mul_f64 v[7:8], v[21:22], v[7:8]
.LBB248_56:                             ;   in Loop: Header=BB248_4 Depth=1
	s_or_b32 exec_lo, exec_lo, s2
	s_waitcnt vmcnt(2)
	v_xor_b32_e32 v22, 0x80000000, v16
	v_mov_b32_e32 v21, v15
                                        ; implicit-def: $vgpr23_vgpr24
	s_mov_b32 s2, exec_lo
	s_delay_alu instid0(VALU_DEP_2) | instskip(NEXT) | instid1(VALU_DEP_1)
	v_and_b32_e32 v27, 0x7fffffff, v22
	v_or_b32_e32 v18, v27, v15
	s_delay_alu instid0(VALU_DEP_1)
	v_cmpx_ne_u32_e32 0, v18
	s_xor_b32 s96, exec_lo, s2
	s_cbranch_execz .LBB248_98
; %bb.57:                               ;   in Loop: Header=BB248_4 Depth=1
	v_xor_b32_e32 v26, 0x80000000, v14
	v_mov_b32_e32 v25, v13
                                        ; implicit-def: $vgpr23_vgpr24
	s_mov_b32 s2, exec_lo
	s_delay_alu instid0(VALU_DEP_2) | instskip(NEXT) | instid1(VALU_DEP_1)
	v_and_b32_e32 v18, 0x7fffffff, v26
	v_or_b32_e32 v21, v18, v25
	s_delay_alu instid0(VALU_DEP_1)
	v_cmpx_ne_u32_e32 0, v21
	s_xor_b32 s97, exec_lo, s2
	s_cbranch_execz .LBB248_87
; %bb.58:                               ;   in Loop: Header=BB248_4 Depth=1
                                        ; implicit-def: $vgpr23_vgpr24
	s_mov_b32 s2, exec_lo
	v_cmpx_gt_u32_e32 0x7ff00000, v27
	s_xor_b32 s98, exec_lo, s2
	s_cbranch_execz .LBB248_80
; %bb.59:                               ;   in Loop: Header=BB248_4 Depth=1
	v_add_nc_u32_e32 v18, 0xbf79d1be, v26
                                        ; implicit-def: $vgpr23_vgpr24
	s_mov_b32 s2, exec_lo
	s_delay_alu instid0(VALU_DEP_1)
	v_cmpx_lt_u32_e32 0x108aa2, v18
	s_xor_b32 s99, exec_lo, s2
	s_cbranch_execz .LBB248_69
; %bb.60:                               ;   in Loop: Header=BB248_4 Depth=1
	v_cmp_ngt_f64_e64 s3, 0x41d00000, |v[15:16]|
                                        ; implicit-def: $vgpr21
                                        ; implicit-def: $vgpr23_vgpr24
                                        ; implicit-def: $vgpr25_vgpr26
	s_delay_alu instid0(VALU_DEP_1) | instskip(NEXT) | instid1(SALU_CYCLE_1)
	s_and_saveexec_b32 s2, s3
	s_xor_b32 s4, exec_lo, s2
	s_cbranch_execz .LBB248_62
; %bb.61:                               ;   in Loop: Header=BB248_4 Depth=1
	v_ldexp_f64 v[23:24], |v[15:16]|, 0xffffff80
	v_cmp_le_f64_e64 vcc_lo, 0x7b000000, |v[15:16]|
	v_trig_preop_f64 v[25:26], |v[15:16]|, 0
	v_and_b32_e32 v18, 0x7fffffff, v16
	v_trig_preop_f64 v[27:28], |v[15:16]|, 1
	v_trig_preop_f64 v[38:39], |v[15:16]|, 2
	s_mov_b32 s16, s18
	s_mov_b32 s25, s23
	v_dual_cndmask_b32 v23, v15, v23 :: v_dual_cndmask_b32 v24, v18, v24
	s_delay_alu instid0(VALU_DEP_1) | instskip(NEXT) | instid1(VALU_DEP_4)
	v_mul_f64 v[29:30], v[25:26], v[23:24]
	v_mul_f64 v[31:32], v[27:28], v[23:24]
	s_delay_alu instid0(VALU_DEP_2) | instskip(NEXT) | instid1(VALU_DEP_2)
	v_fma_f64 v[25:26], v[25:26], v[23:24], -v[29:30]
	v_fma_f64 v[27:28], v[27:28], v[23:24], -v[31:32]
	s_delay_alu instid0(VALU_DEP_2) | instskip(NEXT) | instid1(VALU_DEP_1)
	v_add_f64 v[33:34], v[31:32], v[25:26]
	v_add_f64 v[35:36], v[33:34], -v[31:32]
	v_add_f64 v[42:43], v[29:30], v[33:34]
	s_delay_alu instid0(VALU_DEP_2) | instskip(SKIP_1) | instid1(VALU_DEP_3)
	v_add_f64 v[40:41], v[33:34], -v[35:36]
	v_add_f64 v[25:26], v[25:26], -v[35:36]
	v_ldexp_f64 v[35:36], v[42:43], -2
	v_add_f64 v[29:30], v[42:43], -v[29:30]
	s_delay_alu instid0(VALU_DEP_4) | instskip(NEXT) | instid1(VALU_DEP_3)
	v_add_f64 v[31:32], v[31:32], -v[40:41]
	v_cmp_neq_f64_e64 vcc_lo, 0x7ff00000, |v[35:36]|
	s_delay_alu instid0(VALU_DEP_3) | instskip(NEXT) | instid1(VALU_DEP_3)
	v_add_f64 v[29:30], v[33:34], -v[29:30]
	v_add_f64 v[25:26], v[25:26], v[31:32]
	v_fract_f64_e32 v[31:32], v[35:36]
	s_delay_alu instid0(VALU_DEP_1) | instskip(SKIP_1) | instid1(VALU_DEP_3)
	v_cndmask_b32_e32 v31, 0, v31, vcc_lo
	v_mul_f64 v[44:45], v[38:39], v[23:24]
	v_cndmask_b32_e32 v32, 0, v32, vcc_lo
	s_delay_alu instid0(VALU_DEP_1) | instskip(NEXT) | instid1(VALU_DEP_3)
	v_ldexp_f64 v[31:32], v[31:32], 2
	v_add_f64 v[40:41], v[44:45], v[27:28]
	v_fma_f64 v[23:24], v[38:39], v[23:24], -v[44:45]
	s_delay_alu instid0(VALU_DEP_2) | instskip(NEXT) | instid1(VALU_DEP_1)
	v_add_f64 v[33:34], v[40:41], v[25:26]
	v_add_f64 v[35:36], v[29:30], v[33:34]
	v_add_f64 v[46:47], v[33:34], -v[40:41]
	s_delay_alu instid0(VALU_DEP_2) | instskip(NEXT) | instid1(VALU_DEP_2)
	v_add_f64 v[42:43], v[35:36], v[31:32]
	v_add_f64 v[52:53], v[33:34], -v[46:47]
	v_add_f64 v[25:26], v[25:26], -v[46:47]
	;; [unrolled: 1-line block ×3, first 2 shown]
	s_delay_alu instid0(VALU_DEP_4) | instskip(SKIP_1) | instid1(VALU_DEP_3)
	v_cmp_gt_f64_e32 vcc_lo, 0, v[42:43]
	v_add_f64 v[42:43], v[40:41], -v[44:45]
	v_add_f64 v[29:30], v[33:34], -v[29:30]
	v_cndmask_b32_e64 v18, 0, 0x40100000, vcc_lo
	s_delay_alu instid0(VALU_DEP_3) | instskip(SKIP_2) | instid1(VALU_DEP_4)
	v_add_f64 v[50:51], v[40:41], -v[42:43]
	v_add_f64 v[27:28], v[27:28], -v[42:43]
	;; [unrolled: 1-line block ×3, first 2 shown]
	v_add_f64 v[31:32], v[31:32], v[17:18]
	s_delay_alu instid0(VALU_DEP_4) | instskip(NEXT) | instid1(VALU_DEP_3)
	v_add_f64 v[42:43], v[44:45], -v[50:51]
	v_add_f64 v[25:26], v[25:26], v[40:41]
	s_delay_alu instid0(VALU_DEP_3) | instskip(NEXT) | instid1(VALU_DEP_3)
	v_add_f64 v[48:49], v[35:36], v[31:32]
	v_add_f64 v[27:28], v[27:28], v[42:43]
	s_delay_alu instid0(VALU_DEP_2) | instskip(NEXT) | instid1(VALU_DEP_2)
	v_cvt_i32_f64_e32 v18, v[48:49]
	v_add_f64 v[25:26], v[27:28], v[25:26]
	s_delay_alu instid0(VALU_DEP_2) | instskip(NEXT) | instid1(VALU_DEP_2)
	v_cvt_f64_i32_e32 v[46:47], v18
	v_add_f64 v[23:24], v[23:24], v[25:26]
	s_delay_alu instid0(VALU_DEP_2) | instskip(NEXT) | instid1(VALU_DEP_2)
	v_add_f64 v[31:32], v[31:32], -v[46:47]
	v_add_f64 v[23:24], v[29:30], v[23:24]
	s_delay_alu instid0(VALU_DEP_2) | instskip(NEXT) | instid1(VALU_DEP_1)
	v_add_f64 v[27:28], v[35:36], v[31:32]
	v_add_f64 v[25:26], v[27:28], -v[31:32]
	v_cmp_le_f64_e32 vcc_lo, 0.5, v[27:28]
	s_delay_alu instid0(VALU_DEP_2) | instskip(SKIP_2) | instid1(VALU_DEP_3)
	v_add_f64 v[25:26], v[35:36], -v[25:26]
	v_add_co_ci_u32_e64 v21, s2, 0, v18, vcc_lo
	v_cndmask_b32_e64 v18, 0, 0x3ff00000, vcc_lo
	v_add_f64 v[23:24], v[23:24], v[25:26]
	s_delay_alu instid0(VALU_DEP_2) | instskip(NEXT) | instid1(VALU_DEP_1)
	v_add_f64 v[25:26], v[27:28], -v[17:18]
	v_add_f64 v[27:28], v[25:26], v[23:24]
	s_delay_alu instid0(VALU_DEP_1) | instskip(SKIP_1) | instid1(VALU_DEP_2)
	v_mul_f64 v[29:30], v[27:28], s[16:17]
	v_add_f64 v[25:26], v[27:28], -v[25:26]
	v_fma_f64 v[31:32], v[27:28], s[16:17], -v[29:30]
	s_delay_alu instid0(VALU_DEP_2) | instskip(NEXT) | instid1(VALU_DEP_2)
	v_add_f64 v[23:24], v[23:24], -v[25:26]
	v_fma_f64 v[25:26], v[27:28], s[24:25], v[31:32]
	s_delay_alu instid0(VALU_DEP_1) | instskip(NEXT) | instid1(VALU_DEP_1)
	v_fma_f64 v[25:26], v[23:24], s[16:17], v[25:26]
	v_add_f64 v[23:24], v[29:30], v[25:26]
	s_delay_alu instid0(VALU_DEP_1) | instskip(NEXT) | instid1(VALU_DEP_1)
	v_add_f64 v[27:28], v[23:24], -v[29:30]
	v_add_f64 v[25:26], v[25:26], -v[27:28]
	s_and_not1_saveexec_b32 s2, s4
	s_cbranch_execz .LBB248_64
	s_branch .LBB248_63
.LBB248_62:                             ;   in Loop: Header=BB248_4 Depth=1
	s_and_not1_saveexec_b32 s2, s4
	s_cbranch_execz .LBB248_64
.LBB248_63:                             ;   in Loop: Header=BB248_4 Depth=1
	v_mul_f64 v[23:24], |v[15:16]|, s[26:27]
	s_mov_b32 s22, s28
	s_delay_alu instid0(VALU_DEP_1) | instskip(NEXT) | instid1(VALU_DEP_1)
	v_rndne_f64_e32 v[27:28], v[23:24]
	v_fma_f64 v[23:24], v[27:28], s[18:19], |v[15:16]|
	v_mul_f64 v[25:26], v[27:28], s[28:29]
	v_cvt_i32_f64_e32 v21, v[27:28]
	s_delay_alu instid0(VALU_DEP_3) | instskip(NEXT) | instid1(VALU_DEP_3)
	v_fma_f64 v[31:32], v[27:28], s[28:29], v[23:24]
	v_add_f64 v[29:30], v[23:24], v[25:26]
	s_delay_alu instid0(VALU_DEP_1) | instskip(NEXT) | instid1(VALU_DEP_3)
	v_add_f64 v[23:24], v[23:24], -v[29:30]
	v_add_f64 v[29:30], v[29:30], -v[31:32]
	s_delay_alu instid0(VALU_DEP_2) | instskip(SKIP_1) | instid1(VALU_DEP_2)
	v_add_f64 v[23:24], v[23:24], v[25:26]
	v_fma_f64 v[25:26], v[27:28], s[22:23], v[25:26]
	v_add_f64 v[23:24], v[29:30], v[23:24]
	s_delay_alu instid0(VALU_DEP_1) | instskip(NEXT) | instid1(VALU_DEP_1)
	v_add_f64 v[23:24], v[23:24], -v[25:26]
	v_fma_f64 v[25:26], v[27:28], s[30:31], v[23:24]
	s_delay_alu instid0(VALU_DEP_1) | instskip(NEXT) | instid1(VALU_DEP_1)
	v_add_f64 v[23:24], v[31:32], v[25:26]
	v_add_f64 v[29:30], v[23:24], -v[31:32]
	s_delay_alu instid0(VALU_DEP_1)
	v_add_f64 v[25:26], v[25:26], -v[29:30]
.LBB248_64:                             ;   in Loop: Header=BB248_4 Depth=1
	s_or_b32 exec_lo, exec_lo, s2
                                        ; implicit-def: $vgpr31
                                        ; implicit-def: $vgpr27_vgpr28
                                        ; implicit-def: $vgpr29_vgpr30
	s_and_saveexec_b32 s2, s3
	s_delay_alu instid0(SALU_CYCLE_1)
	s_xor_b32 s3, exec_lo, s2
	s_cbranch_execz .LBB248_66
; %bb.65:                               ;   in Loop: Header=BB248_4 Depth=1
	v_ldexp_f64 v[27:28], |v[15:16]|, 0xffffff80
	v_cmp_le_f64_e64 vcc_lo, 0x7b000000, |v[15:16]|
	v_trig_preop_f64 v[29:30], |v[15:16]|, 0
	v_and_b32_e32 v18, 0x7fffffff, v16
	v_trig_preop_f64 v[31:32], |v[15:16]|, 1
	v_trig_preop_f64 v[42:43], |v[15:16]|, 2
	s_mov_b32 s16, s18
	s_mov_b32 s25, s23
	v_dual_cndmask_b32 v27, v15, v27 :: v_dual_cndmask_b32 v28, v18, v28
	s_delay_alu instid0(VALU_DEP_1) | instskip(NEXT) | instid1(VALU_DEP_4)
	v_mul_f64 v[33:34], v[29:30], v[27:28]
	v_mul_f64 v[35:36], v[31:32], v[27:28]
	s_delay_alu instid0(VALU_DEP_2) | instskip(NEXT) | instid1(VALU_DEP_2)
	v_fma_f64 v[29:30], v[29:30], v[27:28], -v[33:34]
	v_fma_f64 v[31:32], v[31:32], v[27:28], -v[35:36]
	s_delay_alu instid0(VALU_DEP_2) | instskip(NEXT) | instid1(VALU_DEP_1)
	v_add_f64 v[38:39], v[35:36], v[29:30]
	v_add_f64 v[40:41], v[38:39], -v[35:36]
	v_add_f64 v[46:47], v[33:34], v[38:39]
	s_delay_alu instid0(VALU_DEP_2) | instskip(SKIP_1) | instid1(VALU_DEP_3)
	v_add_f64 v[44:45], v[38:39], -v[40:41]
	v_add_f64 v[29:30], v[29:30], -v[40:41]
	v_ldexp_f64 v[40:41], v[46:47], -2
	v_add_f64 v[33:34], v[46:47], -v[33:34]
	s_delay_alu instid0(VALU_DEP_4) | instskip(NEXT) | instid1(VALU_DEP_3)
	v_add_f64 v[35:36], v[35:36], -v[44:45]
	v_cmp_neq_f64_e64 vcc_lo, 0x7ff00000, |v[40:41]|
	s_delay_alu instid0(VALU_DEP_3) | instskip(NEXT) | instid1(VALU_DEP_3)
	v_add_f64 v[33:34], v[38:39], -v[33:34]
	v_add_f64 v[29:30], v[29:30], v[35:36]
	v_fract_f64_e32 v[35:36], v[40:41]
	s_delay_alu instid0(VALU_DEP_1) | instskip(SKIP_1) | instid1(VALU_DEP_3)
	v_cndmask_b32_e32 v35, 0, v35, vcc_lo
	v_mul_f64 v[48:49], v[42:43], v[27:28]
	v_cndmask_b32_e32 v36, 0, v36, vcc_lo
	s_delay_alu instid0(VALU_DEP_1) | instskip(NEXT) | instid1(VALU_DEP_3)
	v_ldexp_f64 v[35:36], v[35:36], 2
	v_add_f64 v[44:45], v[48:49], v[31:32]
	v_fma_f64 v[27:28], v[42:43], v[27:28], -v[48:49]
	s_delay_alu instid0(VALU_DEP_2) | instskip(NEXT) | instid1(VALU_DEP_1)
	v_add_f64 v[38:39], v[44:45], v[29:30]
	v_add_f64 v[40:41], v[33:34], v[38:39]
	v_add_f64 v[50:51], v[38:39], -v[44:45]
	s_delay_alu instid0(VALU_DEP_2) | instskip(NEXT) | instid1(VALU_DEP_2)
	v_add_f64 v[46:47], v[40:41], v[35:36]
	v_add_f64 v[56:57], v[38:39], -v[50:51]
	v_add_f64 v[29:30], v[29:30], -v[50:51]
	;; [unrolled: 1-line block ×3, first 2 shown]
	s_delay_alu instid0(VALU_DEP_4) | instskip(SKIP_2) | instid1(VALU_DEP_2)
	v_cmp_gt_f64_e32 vcc_lo, 0, v[46:47]
	v_add_f64 v[46:47], v[44:45], -v[48:49]
	v_cndmask_b32_e64 v18, 0, 0x40100000, vcc_lo
	v_add_f64 v[54:55], v[44:45], -v[46:47]
	v_add_f64 v[31:32], v[31:32], -v[46:47]
	v_add_f64 v[44:45], v[44:45], -v[56:57]
	s_delay_alu instid0(VALU_DEP_4) | instskip(NEXT) | instid1(VALU_DEP_4)
	v_add_f64 v[35:36], v[35:36], v[17:18]
	v_add_f64 v[46:47], v[48:49], -v[54:55]
	s_delay_alu instid0(VALU_DEP_3) | instskip(NEXT) | instid1(VALU_DEP_3)
	v_add_f64 v[29:30], v[29:30], v[44:45]
	v_add_f64 v[52:53], v[40:41], v[35:36]
	s_delay_alu instid0(VALU_DEP_3) | instskip(NEXT) | instid1(VALU_DEP_2)
	v_add_f64 v[31:32], v[31:32], v[46:47]
	v_cvt_i32_f64_e32 v18, v[52:53]
	s_delay_alu instid0(VALU_DEP_2) | instskip(SKIP_1) | instid1(VALU_DEP_3)
	v_add_f64 v[29:30], v[31:32], v[29:30]
	v_add_f64 v[31:32], v[38:39], -v[33:34]
	v_cvt_f64_i32_e32 v[50:51], v18
	s_delay_alu instid0(VALU_DEP_3) | instskip(NEXT) | instid1(VALU_DEP_2)
	v_add_f64 v[27:28], v[27:28], v[29:30]
	v_add_f64 v[35:36], v[35:36], -v[50:51]
	s_delay_alu instid0(VALU_DEP_2) | instskip(NEXT) | instid1(VALU_DEP_2)
	v_add_f64 v[27:28], v[31:32], v[27:28]
	v_add_f64 v[42:43], v[40:41], v[35:36]
	s_delay_alu instid0(VALU_DEP_1) | instskip(SKIP_1) | instid1(VALU_DEP_2)
	v_add_f64 v[29:30], v[42:43], -v[35:36]
	v_cmp_le_f64_e32 vcc_lo, 0.5, v[42:43]
	v_add_f64 v[29:30], v[40:41], -v[29:30]
	v_add_co_ci_u32_e64 v31, s2, 0, v18, vcc_lo
	v_cndmask_b32_e64 v18, 0, 0x3ff00000, vcc_lo
	s_delay_alu instid0(VALU_DEP_3) | instskip(NEXT) | instid1(VALU_DEP_2)
	v_add_f64 v[27:28], v[27:28], v[29:30]
	v_add_f64 v[29:30], v[42:43], -v[17:18]
	s_delay_alu instid0(VALU_DEP_1) | instskip(NEXT) | instid1(VALU_DEP_1)
	v_add_f64 v[32:33], v[29:30], v[27:28]
	v_mul_f64 v[34:35], v[32:33], s[16:17]
	v_add_f64 v[29:30], v[32:33], -v[29:30]
	s_delay_alu instid0(VALU_DEP_2) | instskip(NEXT) | instid1(VALU_DEP_2)
	v_fma_f64 v[38:39], v[32:33], s[16:17], -v[34:35]
	v_add_f64 v[27:28], v[27:28], -v[29:30]
	s_delay_alu instid0(VALU_DEP_2) | instskip(NEXT) | instid1(VALU_DEP_1)
	v_fma_f64 v[29:30], v[32:33], s[24:25], v[38:39]
	v_fma_f64 v[29:30], v[27:28], s[16:17], v[29:30]
	s_delay_alu instid0(VALU_DEP_1) | instskip(NEXT) | instid1(VALU_DEP_1)
	v_add_f64 v[27:28], v[34:35], v[29:30]
	v_add_f64 v[32:33], v[27:28], -v[34:35]
	s_delay_alu instid0(VALU_DEP_1)
	v_add_f64 v[29:30], v[29:30], -v[32:33]
	s_and_not1_saveexec_b32 s2, s3
	s_cbranch_execnz .LBB248_67
	s_branch .LBB248_68
.LBB248_66:                             ;   in Loop: Header=BB248_4 Depth=1
	s_and_not1_saveexec_b32 s2, s3
	s_cbranch_execz .LBB248_68
.LBB248_67:                             ;   in Loop: Header=BB248_4 Depth=1
	v_mul_f64 v[27:28], |v[15:16]|, s[26:27]
	s_mov_b32 s22, s28
	s_delay_alu instid0(VALU_DEP_1) | instskip(NEXT) | instid1(VALU_DEP_1)
	v_rndne_f64_e32 v[31:32], v[27:28]
	v_fma_f64 v[27:28], v[31:32], s[18:19], |v[15:16]|
	v_mul_f64 v[29:30], v[31:32], s[28:29]
	s_delay_alu instid0(VALU_DEP_2) | instskip(NEXT) | instid1(VALU_DEP_2)
	v_fma_f64 v[35:36], v[31:32], s[28:29], v[27:28]
	v_add_f64 v[33:34], v[27:28], v[29:30]
	s_delay_alu instid0(VALU_DEP_1) | instskip(NEXT) | instid1(VALU_DEP_3)
	v_add_f64 v[27:28], v[27:28], -v[33:34]
	v_add_f64 v[33:34], v[33:34], -v[35:36]
	s_delay_alu instid0(VALU_DEP_2) | instskip(SKIP_1) | instid1(VALU_DEP_2)
	v_add_f64 v[27:28], v[27:28], v[29:30]
	v_fma_f64 v[29:30], v[31:32], s[22:23], v[29:30]
	v_add_f64 v[27:28], v[33:34], v[27:28]
	s_delay_alu instid0(VALU_DEP_1) | instskip(NEXT) | instid1(VALU_DEP_1)
	v_add_f64 v[27:28], v[27:28], -v[29:30]
	v_fma_f64 v[29:30], v[31:32], s[30:31], v[27:28]
	v_cvt_i32_f64_e32 v31, v[31:32]
	s_delay_alu instid0(VALU_DEP_2) | instskip(NEXT) | instid1(VALU_DEP_1)
	v_add_f64 v[27:28], v[35:36], v[29:30]
	v_add_f64 v[33:34], v[27:28], -v[35:36]
	s_delay_alu instid0(VALU_DEP_1)
	v_add_f64 v[29:30], v[29:30], -v[33:34]
.LBB248_68:                             ;   in Loop: Header=BB248_4 Depth=1
	s_or_b32 exec_lo, exec_lo, s2
	s_mov_b32 s34, s36
	v_mul_f64 v[40:41], v[23:24], v[23:24]
	v_mul_f64 v[32:33], v[13:14], s[34:35]
	;; [unrolled: 1-line block ×3, first 2 shown]
	s_mov_b32 s83, s55
	s_mov_b32 s85, s57
	s_delay_alu instid0(VALU_DEP_4)
	v_mul_f64 v[60:61], v[25:26], 0.5
	v_mul_f64 v[66:67], v[29:30], 0.5
	s_mov_b32 s86, s56
	v_cmp_ngt_f64_e64 s3, 0xc0900000, v[13:14]
	v_cmp_nlt_f64_e64 s4, 0x4090cc00, v[13:14]
	v_cmp_class_f64_e64 s2, v[15:16], 0x1f8
	v_and_b32_e32 v15, 1, v31
	s_delay_alu instid0(VALU_DEP_1)
	v_cmp_eq_u32_e64 s5, 0, v15
	v_fma_f64 v[44:45], v[40:41], s[74:75], s[72:73]
	v_rndne_f64_e32 v[32:33], v[32:33]
	v_fma_f64 v[46:47], v[42:43], s[74:75], s[72:73]
	v_fma_f64 v[48:49], v[40:41], s[64:65], s[62:63]
	v_mul_f64 v[50:51], v[40:41], 0.5
	v_fma_f64 v[52:53], v[42:43], s[64:65], s[62:63]
	v_mul_f64 v[54:55], v[42:43], 0.5
	v_mul_f64 v[62:63], v[23:24], -v[40:41]
	v_mul_f64 v[68:69], v[27:28], -v[42:43]
	v_fma_f64 v[44:45], v[40:41], v[44:45], s[76:77]
	v_fma_f64 v[34:35], v[32:33], s[38:39], -v[13:14]
	v_fma_f64 v[46:47], v[42:43], v[46:47], s[76:77]
	v_fma_f64 v[48:49], v[40:41], v[48:49], s[66:67]
	v_add_f64 v[56:57], -v[50:51], 1.0
	v_fma_f64 v[52:53], v[42:43], v[52:53], s[66:67]
	v_add_f64 v[58:59], -v[54:55], 1.0
	v_cvt_i32_f64_e32 v18, v[32:33]
	v_lshlrev_b32_e32 v14, 30, v21
	v_lshlrev_b32_e32 v13, 30, v31
	s_delay_alu instid0(VALU_DEP_1)
	v_xor_b32_e32 v13, v13, v22
	v_fma_f64 v[44:45], v[40:41], v[44:45], s[78:79]
	v_fma_f64 v[34:35], v[32:33], s[40:41], v[34:35]
	;; [unrolled: 1-line block ×4, first 2 shown]
	v_add_f64 v[64:65], -v[56:57], 1.0
	v_fma_f64 v[52:53], v[42:43], v[52:53], s[68:69]
	v_add_f64 v[70:71], -v[58:59], 1.0
	v_fma_f64 v[44:45], v[40:41], v[44:45], s[54:55]
	v_fma_f64 v[38:39], v[34:35], s[44:45], s[42:43]
	;; [unrolled: 1-line block ×4, first 2 shown]
	v_add_f64 v[50:51], v[64:65], -v[50:51]
	v_fma_f64 v[52:53], v[42:43], v[52:53], s[70:71]
	v_add_f64 v[54:55], v[70:71], -v[54:55]
	v_fma_f64 v[44:45], v[62:63], v[44:45], v[60:61]
	v_fma_f64 v[38:39], v[34:35], v[38:39], s[46:47]
	;; [unrolled: 1-line block ×3, first 2 shown]
	v_mul_f64 v[60:61], v[40:41], v[40:41]
	v_fma_f64 v[48:49], v[40:41], v[48:49], s[56:57]
	v_fma_f64 v[50:51], v[23:24], -v[25:26], v[50:51]
	v_fma_f64 v[25:26], v[40:41], v[44:45], -v[25:26]
	v_fma_f64 v[38:39], v[34:35], v[38:39], s[48:49]
	v_mul_f64 v[40:41], v[42:43], v[42:43]
	v_fma_f64 v[44:45], v[42:43], v[52:53], s[56:57]
	v_fma_f64 v[52:53], v[27:28], -v[29:30], v[54:55]
	v_fma_f64 v[29:30], v[42:43], v[46:47], -v[29:30]
	v_fma_f64 v[42:43], v[60:61], v[48:49], v[50:51]
	v_fma_f64 v[25:26], v[62:63], s[86:87], v[25:26]
	;; [unrolled: 1-line block ×3, first 2 shown]
	s_delay_alu instid0(VALU_DEP_4) | instskip(NEXT) | instid1(VALU_DEP_3)
	v_fma_f64 v[29:30], v[68:69], s[86:87], v[29:30]
	v_add_f64 v[23:24], v[23:24], -v[25:26]
	s_delay_alu instid0(VALU_DEP_3) | instskip(NEXT) | instid1(VALU_DEP_3)
	v_fma_f64 v[38:39], v[34:35], v[38:39], s[52:53]
	v_add_f64 v[27:28], v[27:28], -v[29:30]
	s_delay_alu instid0(VALU_DEP_2) | instskip(NEXT) | instid1(VALU_DEP_1)
	v_fma_f64 v[38:39], v[34:35], v[38:39], s[82:83]
	v_fma_f64 v[38:39], v[34:35], v[38:39], s[84:85]
	s_delay_alu instid0(VALU_DEP_1) | instskip(NEXT) | instid1(VALU_DEP_1)
	v_fma_f64 v[38:39], v[34:35], v[38:39], s[58:59]
	v_fma_f64 v[38:39], v[34:35], v[38:39], s[60:61]
	s_delay_alu instid0(VALU_DEP_1) | instskip(NEXT) | instid1(VALU_DEP_1)
	v_fma_f64 v[38:39], v[34:35], v[38:39], 1.0
	v_fma_f64 v[32:33], v[34:35], v[38:39], 1.0
	v_fma_f64 v[34:35], v[40:41], v[44:45], v[52:53]
	v_add_f64 v[38:39], v[56:57], v[42:43]
	s_delay_alu instid0(VALU_DEP_3) | instskip(NEXT) | instid1(VALU_DEP_3)
	v_ldexp_f64 v[25:26], v[32:33], v18
	v_add_f64 v[32:33], v[58:59], v[34:35]
	v_and_b32_e32 v18, 1, v21
	v_xor_b32_e32 v21, 0x80000000, v24
	s_delay_alu instid0(VALU_DEP_2) | instskip(NEXT) | instid1(VALU_DEP_2)
	v_cmp_eq_u32_e32 vcc_lo, 0, v18
	v_dual_cndmask_b32 v15, v21, v39 :: v_dual_cndmask_b32 v18, v23, v38
	s_and_b32 vcc_lo, s4, s3
	v_and_b32_e32 v14, 0x80000000, v14
	v_and_b32_e32 v21, 0x80000000, v13
	s_delay_alu instid0(VALU_DEP_3) | instskip(SKIP_3) | instid1(VALU_DEP_2)
	v_cndmask_b32_e64 v13, 0, v18, s2
	v_cndmask_b32_e64 v16, 0x7ff00000, v26, s3
	;; [unrolled: 1-line block ×4, first 2 shown]
	v_xor_b32_e32 v18, v23, v21
	v_cndmask_b32_e32 v21, 0, v25, vcc_lo
	v_xor_b32_e32 v14, v15, v14
	s_delay_alu instid0(VALU_DEP_4) | instskip(SKIP_2) | instid1(VALU_DEP_4)
	v_cndmask_b32_e64 v15, 0, v22, s2
	v_cndmask_b32_e64 v22, 0, v16, s4
	;; [unrolled: 1-line block ×4, first 2 shown]
	s_delay_alu instid0(VALU_DEP_1) | instskip(NEXT) | instid1(VALU_DEP_3)
	v_mul_f64 v[23:24], v[21:22], v[13:14]
	v_mul_f64 v[21:22], v[21:22], v[15:16]
                                        ; implicit-def: $vgpr15_vgpr16
.LBB248_69:                             ;   in Loop: Header=BB248_4 Depth=1
	s_and_not1_saveexec_b32 s34, s99
	s_cbranch_execz .LBB248_79
; %bb.70:                               ;   in Loop: Header=BB248_4 Depth=1
	v_cmp_ngt_f64_e64 s3, 0x41d00000, |v[15:16]|
                                        ; implicit-def: $vgpr21
                                        ; implicit-def: $vgpr23_vgpr24
                                        ; implicit-def: $vgpr25_vgpr26
	s_delay_alu instid0(VALU_DEP_1) | instskip(NEXT) | instid1(SALU_CYCLE_1)
	s_and_saveexec_b32 s2, s3
	s_xor_b32 s4, exec_lo, s2
	s_cbranch_execz .LBB248_72
; %bb.71:                               ;   in Loop: Header=BB248_4 Depth=1
	v_ldexp_f64 v[23:24], |v[15:16]|, 0xffffff80
	v_cmp_le_f64_e64 vcc_lo, 0x7b000000, |v[15:16]|
	v_trig_preop_f64 v[25:26], |v[15:16]|, 0
	v_and_b32_e32 v18, 0x7fffffff, v16
	v_trig_preop_f64 v[27:28], |v[15:16]|, 1
	v_trig_preop_f64 v[38:39], |v[15:16]|, 2
	s_mov_b32 s16, s18
	s_mov_b32 s25, s23
	v_dual_cndmask_b32 v23, v15, v23 :: v_dual_cndmask_b32 v24, v18, v24
	s_delay_alu instid0(VALU_DEP_1) | instskip(NEXT) | instid1(VALU_DEP_4)
	v_mul_f64 v[29:30], v[25:26], v[23:24]
	v_mul_f64 v[31:32], v[27:28], v[23:24]
	s_delay_alu instid0(VALU_DEP_2) | instskip(NEXT) | instid1(VALU_DEP_2)
	v_fma_f64 v[25:26], v[25:26], v[23:24], -v[29:30]
	v_fma_f64 v[27:28], v[27:28], v[23:24], -v[31:32]
	s_delay_alu instid0(VALU_DEP_2) | instskip(NEXT) | instid1(VALU_DEP_1)
	v_add_f64 v[33:34], v[31:32], v[25:26]
	v_add_f64 v[35:36], v[33:34], -v[31:32]
	v_add_f64 v[42:43], v[29:30], v[33:34]
	s_delay_alu instid0(VALU_DEP_2) | instskip(SKIP_1) | instid1(VALU_DEP_3)
	v_add_f64 v[40:41], v[33:34], -v[35:36]
	v_add_f64 v[25:26], v[25:26], -v[35:36]
	v_ldexp_f64 v[35:36], v[42:43], -2
	v_add_f64 v[29:30], v[42:43], -v[29:30]
	s_delay_alu instid0(VALU_DEP_4) | instskip(NEXT) | instid1(VALU_DEP_3)
	v_add_f64 v[31:32], v[31:32], -v[40:41]
	v_cmp_neq_f64_e64 vcc_lo, 0x7ff00000, |v[35:36]|
	s_delay_alu instid0(VALU_DEP_3) | instskip(NEXT) | instid1(VALU_DEP_3)
	v_add_f64 v[29:30], v[33:34], -v[29:30]
	v_add_f64 v[25:26], v[25:26], v[31:32]
	v_fract_f64_e32 v[31:32], v[35:36]
	s_delay_alu instid0(VALU_DEP_1) | instskip(SKIP_1) | instid1(VALU_DEP_3)
	v_cndmask_b32_e32 v31, 0, v31, vcc_lo
	v_mul_f64 v[44:45], v[38:39], v[23:24]
	v_cndmask_b32_e32 v32, 0, v32, vcc_lo
	s_delay_alu instid0(VALU_DEP_1) | instskip(NEXT) | instid1(VALU_DEP_3)
	v_ldexp_f64 v[31:32], v[31:32], 2
	v_add_f64 v[40:41], v[44:45], v[27:28]
	v_fma_f64 v[23:24], v[38:39], v[23:24], -v[44:45]
	s_delay_alu instid0(VALU_DEP_2) | instskip(NEXT) | instid1(VALU_DEP_1)
	v_add_f64 v[33:34], v[40:41], v[25:26]
	v_add_f64 v[35:36], v[29:30], v[33:34]
	v_add_f64 v[46:47], v[33:34], -v[40:41]
	s_delay_alu instid0(VALU_DEP_2) | instskip(NEXT) | instid1(VALU_DEP_2)
	v_add_f64 v[42:43], v[35:36], v[31:32]
	v_add_f64 v[52:53], v[33:34], -v[46:47]
	v_add_f64 v[25:26], v[25:26], -v[46:47]
	v_add_f64 v[29:30], v[35:36], -v[29:30]
	s_delay_alu instid0(VALU_DEP_4) | instskip(SKIP_1) | instid1(VALU_DEP_3)
	v_cmp_gt_f64_e32 vcc_lo, 0, v[42:43]
	v_add_f64 v[42:43], v[40:41], -v[44:45]
	v_add_f64 v[29:30], v[33:34], -v[29:30]
	v_cndmask_b32_e64 v18, 0, 0x40100000, vcc_lo
	s_delay_alu instid0(VALU_DEP_3) | instskip(SKIP_2) | instid1(VALU_DEP_4)
	v_add_f64 v[50:51], v[40:41], -v[42:43]
	v_add_f64 v[27:28], v[27:28], -v[42:43]
	v_add_f64 v[40:41], v[40:41], -v[52:53]
	v_add_f64 v[31:32], v[31:32], v[17:18]
	s_delay_alu instid0(VALU_DEP_4) | instskip(NEXT) | instid1(VALU_DEP_3)
	v_add_f64 v[42:43], v[44:45], -v[50:51]
	v_add_f64 v[25:26], v[25:26], v[40:41]
	s_delay_alu instid0(VALU_DEP_3) | instskip(NEXT) | instid1(VALU_DEP_3)
	v_add_f64 v[48:49], v[35:36], v[31:32]
	v_add_f64 v[27:28], v[27:28], v[42:43]
	s_delay_alu instid0(VALU_DEP_2) | instskip(NEXT) | instid1(VALU_DEP_2)
	v_cvt_i32_f64_e32 v18, v[48:49]
	v_add_f64 v[25:26], v[27:28], v[25:26]
	s_delay_alu instid0(VALU_DEP_2) | instskip(NEXT) | instid1(VALU_DEP_2)
	v_cvt_f64_i32_e32 v[46:47], v18
	v_add_f64 v[23:24], v[23:24], v[25:26]
	s_delay_alu instid0(VALU_DEP_2) | instskip(NEXT) | instid1(VALU_DEP_2)
	v_add_f64 v[31:32], v[31:32], -v[46:47]
	v_add_f64 v[23:24], v[29:30], v[23:24]
	s_delay_alu instid0(VALU_DEP_2) | instskip(NEXT) | instid1(VALU_DEP_1)
	v_add_f64 v[27:28], v[35:36], v[31:32]
	v_add_f64 v[25:26], v[27:28], -v[31:32]
	v_cmp_le_f64_e32 vcc_lo, 0.5, v[27:28]
	s_delay_alu instid0(VALU_DEP_2) | instskip(SKIP_2) | instid1(VALU_DEP_3)
	v_add_f64 v[25:26], v[35:36], -v[25:26]
	v_add_co_ci_u32_e64 v21, s2, 0, v18, vcc_lo
	v_cndmask_b32_e64 v18, 0, 0x3ff00000, vcc_lo
	v_add_f64 v[23:24], v[23:24], v[25:26]
	s_delay_alu instid0(VALU_DEP_2) | instskip(NEXT) | instid1(VALU_DEP_1)
	v_add_f64 v[25:26], v[27:28], -v[17:18]
	v_add_f64 v[27:28], v[25:26], v[23:24]
	s_delay_alu instid0(VALU_DEP_1) | instskip(SKIP_1) | instid1(VALU_DEP_2)
	v_mul_f64 v[29:30], v[27:28], s[16:17]
	v_add_f64 v[25:26], v[27:28], -v[25:26]
	v_fma_f64 v[31:32], v[27:28], s[16:17], -v[29:30]
	s_delay_alu instid0(VALU_DEP_2) | instskip(NEXT) | instid1(VALU_DEP_2)
	v_add_f64 v[23:24], v[23:24], -v[25:26]
	v_fma_f64 v[25:26], v[27:28], s[24:25], v[31:32]
	s_delay_alu instid0(VALU_DEP_1) | instskip(NEXT) | instid1(VALU_DEP_1)
	v_fma_f64 v[25:26], v[23:24], s[16:17], v[25:26]
	v_add_f64 v[23:24], v[29:30], v[25:26]
	s_delay_alu instid0(VALU_DEP_1) | instskip(NEXT) | instid1(VALU_DEP_1)
	v_add_f64 v[27:28], v[23:24], -v[29:30]
	v_add_f64 v[25:26], v[25:26], -v[27:28]
	s_and_not1_saveexec_b32 s2, s4
	s_cbranch_execz .LBB248_74
	s_branch .LBB248_73
.LBB248_72:                             ;   in Loop: Header=BB248_4 Depth=1
	s_and_not1_saveexec_b32 s2, s4
	s_cbranch_execz .LBB248_74
.LBB248_73:                             ;   in Loop: Header=BB248_4 Depth=1
	v_mul_f64 v[23:24], |v[15:16]|, s[26:27]
	s_mov_b32 s22, s28
	s_delay_alu instid0(VALU_DEP_1) | instskip(NEXT) | instid1(VALU_DEP_1)
	v_rndne_f64_e32 v[27:28], v[23:24]
	v_fma_f64 v[23:24], v[27:28], s[18:19], |v[15:16]|
	v_mul_f64 v[25:26], v[27:28], s[28:29]
	v_cvt_i32_f64_e32 v21, v[27:28]
	s_delay_alu instid0(VALU_DEP_3) | instskip(NEXT) | instid1(VALU_DEP_3)
	v_fma_f64 v[31:32], v[27:28], s[28:29], v[23:24]
	v_add_f64 v[29:30], v[23:24], v[25:26]
	s_delay_alu instid0(VALU_DEP_1) | instskip(NEXT) | instid1(VALU_DEP_3)
	v_add_f64 v[23:24], v[23:24], -v[29:30]
	v_add_f64 v[29:30], v[29:30], -v[31:32]
	s_delay_alu instid0(VALU_DEP_2) | instskip(SKIP_1) | instid1(VALU_DEP_2)
	v_add_f64 v[23:24], v[23:24], v[25:26]
	v_fma_f64 v[25:26], v[27:28], s[22:23], v[25:26]
	v_add_f64 v[23:24], v[29:30], v[23:24]
	s_delay_alu instid0(VALU_DEP_1) | instskip(NEXT) | instid1(VALU_DEP_1)
	v_add_f64 v[23:24], v[23:24], -v[25:26]
	v_fma_f64 v[25:26], v[27:28], s[30:31], v[23:24]
	s_delay_alu instid0(VALU_DEP_1) | instskip(NEXT) | instid1(VALU_DEP_1)
	v_add_f64 v[23:24], v[31:32], v[25:26]
	v_add_f64 v[29:30], v[23:24], -v[31:32]
	s_delay_alu instid0(VALU_DEP_1)
	v_add_f64 v[25:26], v[25:26], -v[29:30]
.LBB248_74:                             ;   in Loop: Header=BB248_4 Depth=1
	s_or_b32 exec_lo, exec_lo, s2
                                        ; implicit-def: $vgpr31
                                        ; implicit-def: $vgpr27_vgpr28
                                        ; implicit-def: $vgpr29_vgpr30
	s_and_saveexec_b32 s2, s3
	s_delay_alu instid0(SALU_CYCLE_1)
	s_xor_b32 s3, exec_lo, s2
	s_cbranch_execz .LBB248_76
; %bb.75:                               ;   in Loop: Header=BB248_4 Depth=1
	v_ldexp_f64 v[27:28], |v[15:16]|, 0xffffff80
	v_cmp_le_f64_e64 vcc_lo, 0x7b000000, |v[15:16]|
	v_trig_preop_f64 v[29:30], |v[15:16]|, 0
	v_and_b32_e32 v18, 0x7fffffff, v16
	v_trig_preop_f64 v[31:32], |v[15:16]|, 1
	v_trig_preop_f64 v[42:43], |v[15:16]|, 2
	s_mov_b32 s16, s18
	s_mov_b32 s25, s23
	v_dual_cndmask_b32 v27, v15, v27 :: v_dual_cndmask_b32 v28, v18, v28
	s_delay_alu instid0(VALU_DEP_1) | instskip(NEXT) | instid1(VALU_DEP_4)
	v_mul_f64 v[33:34], v[29:30], v[27:28]
	v_mul_f64 v[35:36], v[31:32], v[27:28]
	s_delay_alu instid0(VALU_DEP_2) | instskip(NEXT) | instid1(VALU_DEP_2)
	v_fma_f64 v[29:30], v[29:30], v[27:28], -v[33:34]
	v_fma_f64 v[31:32], v[31:32], v[27:28], -v[35:36]
	s_delay_alu instid0(VALU_DEP_2) | instskip(NEXT) | instid1(VALU_DEP_1)
	v_add_f64 v[38:39], v[35:36], v[29:30]
	v_add_f64 v[40:41], v[38:39], -v[35:36]
	v_add_f64 v[46:47], v[33:34], v[38:39]
	s_delay_alu instid0(VALU_DEP_2) | instskip(SKIP_1) | instid1(VALU_DEP_3)
	v_add_f64 v[44:45], v[38:39], -v[40:41]
	v_add_f64 v[29:30], v[29:30], -v[40:41]
	v_ldexp_f64 v[40:41], v[46:47], -2
	v_add_f64 v[33:34], v[46:47], -v[33:34]
	s_delay_alu instid0(VALU_DEP_4) | instskip(NEXT) | instid1(VALU_DEP_3)
	v_add_f64 v[35:36], v[35:36], -v[44:45]
	v_cmp_neq_f64_e64 vcc_lo, 0x7ff00000, |v[40:41]|
	s_delay_alu instid0(VALU_DEP_3) | instskip(NEXT) | instid1(VALU_DEP_3)
	v_add_f64 v[33:34], v[38:39], -v[33:34]
	v_add_f64 v[29:30], v[29:30], v[35:36]
	v_fract_f64_e32 v[35:36], v[40:41]
	s_delay_alu instid0(VALU_DEP_1) | instskip(SKIP_1) | instid1(VALU_DEP_3)
	v_cndmask_b32_e32 v35, 0, v35, vcc_lo
	v_mul_f64 v[48:49], v[42:43], v[27:28]
	v_cndmask_b32_e32 v36, 0, v36, vcc_lo
	s_delay_alu instid0(VALU_DEP_1) | instskip(NEXT) | instid1(VALU_DEP_3)
	v_ldexp_f64 v[35:36], v[35:36], 2
	v_add_f64 v[44:45], v[48:49], v[31:32]
	v_fma_f64 v[27:28], v[42:43], v[27:28], -v[48:49]
	s_delay_alu instid0(VALU_DEP_2) | instskip(NEXT) | instid1(VALU_DEP_1)
	v_add_f64 v[38:39], v[44:45], v[29:30]
	v_add_f64 v[40:41], v[33:34], v[38:39]
	v_add_f64 v[50:51], v[38:39], -v[44:45]
	s_delay_alu instid0(VALU_DEP_2) | instskip(NEXT) | instid1(VALU_DEP_2)
	v_add_f64 v[46:47], v[40:41], v[35:36]
	v_add_f64 v[56:57], v[38:39], -v[50:51]
	v_add_f64 v[29:30], v[29:30], -v[50:51]
	;; [unrolled: 1-line block ×3, first 2 shown]
	s_delay_alu instid0(VALU_DEP_4) | instskip(SKIP_2) | instid1(VALU_DEP_2)
	v_cmp_gt_f64_e32 vcc_lo, 0, v[46:47]
	v_add_f64 v[46:47], v[44:45], -v[48:49]
	v_cndmask_b32_e64 v18, 0, 0x40100000, vcc_lo
	v_add_f64 v[54:55], v[44:45], -v[46:47]
	v_add_f64 v[31:32], v[31:32], -v[46:47]
	;; [unrolled: 1-line block ×3, first 2 shown]
	s_delay_alu instid0(VALU_DEP_4) | instskip(NEXT) | instid1(VALU_DEP_4)
	v_add_f64 v[35:36], v[35:36], v[17:18]
	v_add_f64 v[46:47], v[48:49], -v[54:55]
	s_delay_alu instid0(VALU_DEP_3) | instskip(NEXT) | instid1(VALU_DEP_3)
	v_add_f64 v[29:30], v[29:30], v[44:45]
	v_add_f64 v[52:53], v[40:41], v[35:36]
	s_delay_alu instid0(VALU_DEP_3) | instskip(NEXT) | instid1(VALU_DEP_2)
	v_add_f64 v[31:32], v[31:32], v[46:47]
	v_cvt_i32_f64_e32 v18, v[52:53]
	s_delay_alu instid0(VALU_DEP_2) | instskip(SKIP_1) | instid1(VALU_DEP_3)
	v_add_f64 v[29:30], v[31:32], v[29:30]
	v_add_f64 v[31:32], v[38:39], -v[33:34]
	v_cvt_f64_i32_e32 v[50:51], v18
	s_delay_alu instid0(VALU_DEP_3) | instskip(NEXT) | instid1(VALU_DEP_2)
	v_add_f64 v[27:28], v[27:28], v[29:30]
	v_add_f64 v[35:36], v[35:36], -v[50:51]
	s_delay_alu instid0(VALU_DEP_2) | instskip(NEXT) | instid1(VALU_DEP_2)
	v_add_f64 v[27:28], v[31:32], v[27:28]
	v_add_f64 v[42:43], v[40:41], v[35:36]
	s_delay_alu instid0(VALU_DEP_1) | instskip(SKIP_1) | instid1(VALU_DEP_2)
	v_add_f64 v[29:30], v[42:43], -v[35:36]
	v_cmp_le_f64_e32 vcc_lo, 0.5, v[42:43]
	v_add_f64 v[29:30], v[40:41], -v[29:30]
	v_add_co_ci_u32_e64 v31, s2, 0, v18, vcc_lo
	v_cndmask_b32_e64 v18, 0, 0x3ff00000, vcc_lo
	s_delay_alu instid0(VALU_DEP_3) | instskip(NEXT) | instid1(VALU_DEP_2)
	v_add_f64 v[27:28], v[27:28], v[29:30]
	v_add_f64 v[29:30], v[42:43], -v[17:18]
	s_delay_alu instid0(VALU_DEP_1) | instskip(NEXT) | instid1(VALU_DEP_1)
	v_add_f64 v[32:33], v[29:30], v[27:28]
	v_mul_f64 v[34:35], v[32:33], s[16:17]
	v_add_f64 v[29:30], v[32:33], -v[29:30]
	s_delay_alu instid0(VALU_DEP_2) | instskip(NEXT) | instid1(VALU_DEP_2)
	v_fma_f64 v[38:39], v[32:33], s[16:17], -v[34:35]
	v_add_f64 v[27:28], v[27:28], -v[29:30]
	s_delay_alu instid0(VALU_DEP_2) | instskip(NEXT) | instid1(VALU_DEP_1)
	v_fma_f64 v[29:30], v[32:33], s[24:25], v[38:39]
	v_fma_f64 v[29:30], v[27:28], s[16:17], v[29:30]
	s_delay_alu instid0(VALU_DEP_1) | instskip(NEXT) | instid1(VALU_DEP_1)
	v_add_f64 v[27:28], v[34:35], v[29:30]
	v_add_f64 v[32:33], v[27:28], -v[34:35]
	s_delay_alu instid0(VALU_DEP_1)
	v_add_f64 v[29:30], v[29:30], -v[32:33]
	s_and_not1_saveexec_b32 s2, s3
	s_cbranch_execnz .LBB248_77
	s_branch .LBB248_78
.LBB248_76:                             ;   in Loop: Header=BB248_4 Depth=1
	s_and_not1_saveexec_b32 s2, s3
	s_cbranch_execz .LBB248_78
.LBB248_77:                             ;   in Loop: Header=BB248_4 Depth=1
	v_mul_f64 v[27:28], |v[15:16]|, s[26:27]
	s_mov_b32 s22, s28
	s_delay_alu instid0(VALU_DEP_1) | instskip(NEXT) | instid1(VALU_DEP_1)
	v_rndne_f64_e32 v[31:32], v[27:28]
	v_fma_f64 v[27:28], v[31:32], s[18:19], |v[15:16]|
	v_mul_f64 v[29:30], v[31:32], s[28:29]
	s_delay_alu instid0(VALU_DEP_2) | instskip(NEXT) | instid1(VALU_DEP_2)
	v_fma_f64 v[35:36], v[31:32], s[28:29], v[27:28]
	v_add_f64 v[33:34], v[27:28], v[29:30]
	s_delay_alu instid0(VALU_DEP_1) | instskip(NEXT) | instid1(VALU_DEP_3)
	v_add_f64 v[27:28], v[27:28], -v[33:34]
	v_add_f64 v[33:34], v[33:34], -v[35:36]
	s_delay_alu instid0(VALU_DEP_2) | instskip(SKIP_1) | instid1(VALU_DEP_2)
	v_add_f64 v[27:28], v[27:28], v[29:30]
	v_fma_f64 v[29:30], v[31:32], s[22:23], v[29:30]
	v_add_f64 v[27:28], v[33:34], v[27:28]
	s_delay_alu instid0(VALU_DEP_1) | instskip(NEXT) | instid1(VALU_DEP_1)
	v_add_f64 v[27:28], v[27:28], -v[29:30]
	v_fma_f64 v[29:30], v[31:32], s[30:31], v[27:28]
	v_cvt_i32_f64_e32 v31, v[31:32]
	s_delay_alu instid0(VALU_DEP_2) | instskip(NEXT) | instid1(VALU_DEP_1)
	v_add_f64 v[27:28], v[35:36], v[29:30]
	v_add_f64 v[33:34], v[27:28], -v[35:36]
	s_delay_alu instid0(VALU_DEP_1)
	v_add_f64 v[29:30], v[29:30], -v[33:34]
.LBB248_78:                             ;   in Loop: Header=BB248_4 Depth=1
	s_or_b32 exec_lo, exec_lo, s2
	v_add_f64 v[13:14], -v[13:14], s[80:81]
	s_delay_alu instid0(VALU_DEP_4) | instskip(SKIP_3) | instid1(VALU_DEP_4)
	v_mul_f64 v[40:41], v[23:24], v[23:24]
	v_mul_f64 v[42:43], v[27:28], v[27:28]
	s_mov_b32 s83, s55
	s_mov_b32 s85, s57
	v_mul_f64 v[60:61], v[25:26], 0.5
	v_mul_f64 v[66:67], v[29:30], 0.5
	s_mov_b32 s86, s56
	v_cmp_class_f64_e64 s2, v[15:16], 0x1f8
	v_mul_f64 v[32:33], v[13:14], s[36:37]
	v_fma_f64 v[44:45], v[40:41], s[74:75], s[72:73]
	v_fma_f64 v[46:47], v[42:43], s[74:75], s[72:73]
	;; [unrolled: 1-line block ×3, first 2 shown]
	v_mul_f64 v[50:51], v[40:41], 0.5
	v_fma_f64 v[52:53], v[42:43], s[64:65], s[62:63]
	v_mul_f64 v[54:55], v[42:43], 0.5
	v_mul_f64 v[62:63], v[23:24], -v[40:41]
	v_mul_f64 v[68:69], v[27:28], -v[42:43]
	v_cmp_nlt_f64_e64 s3, 0x40900000, v[13:14]
	v_cmp_ngt_f64_e64 s4, 0xc090cc00, v[13:14]
	v_rndne_f64_e32 v[32:33], v[32:33]
	v_fma_f64 v[44:45], v[40:41], v[44:45], s[76:77]
	v_fma_f64 v[46:47], v[42:43], v[46:47], s[76:77]
	v_fma_f64 v[48:49], v[40:41], v[48:49], s[66:67]
	v_add_f64 v[56:57], -v[50:51], 1.0
	v_fma_f64 v[52:53], v[42:43], v[52:53], s[66:67]
	v_add_f64 v[58:59], -v[54:55], 1.0
	v_fma_f64 v[34:35], v[32:33], s[38:39], v[13:14]
	v_fma_f64 v[44:45], v[40:41], v[44:45], s[78:79]
	;; [unrolled: 1-line block ×4, first 2 shown]
	v_add_f64 v[64:65], -v[56:57], 1.0
	v_fma_f64 v[52:53], v[42:43], v[52:53], s[68:69]
	v_add_f64 v[70:71], -v[58:59], 1.0
	v_cvt_i32_f64_e32 v18, v[32:33]
	v_lshlrev_b32_e32 v14, 30, v21
	v_lshlrev_b32_e32 v13, 30, v31
	s_delay_alu instid0(VALU_DEP_2) | instskip(NEXT) | instid1(VALU_DEP_2)
	v_and_b32_e32 v14, 0x80000000, v14
	v_xor_b32_e32 v13, v13, v22
	v_fma_f64 v[34:35], v[32:33], s[40:41], v[34:35]
	v_fma_f64 v[44:45], v[40:41], v[44:45], s[54:55]
	;; [unrolled: 1-line block ×4, first 2 shown]
	v_add_f64 v[50:51], v[64:65], -v[50:51]
	v_fma_f64 v[52:53], v[42:43], v[52:53], s[70:71]
	v_add_f64 v[54:55], v[70:71], -v[54:55]
	v_fma_f64 v[38:39], v[34:35], s[44:45], s[42:43]
	v_fma_f64 v[44:45], v[62:63], v[44:45], v[60:61]
	;; [unrolled: 1-line block ×3, first 2 shown]
	v_mul_f64 v[60:61], v[40:41], v[40:41]
	v_fma_f64 v[48:49], v[40:41], v[48:49], s[56:57]
	v_fma_f64 v[50:51], v[23:24], -v[25:26], v[50:51]
	v_fma_f64 v[38:39], v[34:35], v[38:39], s[46:47]
	v_fma_f64 v[25:26], v[40:41], v[44:45], -v[25:26]
	v_mul_f64 v[40:41], v[42:43], v[42:43]
	v_fma_f64 v[44:45], v[42:43], v[52:53], s[56:57]
	v_fma_f64 v[52:53], v[27:28], -v[29:30], v[54:55]
	v_fma_f64 v[29:30], v[42:43], v[46:47], -v[29:30]
	v_fma_f64 v[42:43], v[60:61], v[48:49], v[50:51]
	v_fma_f64 v[38:39], v[34:35], v[38:39], s[48:49]
	;; [unrolled: 1-line block ×3, first 2 shown]
	s_delay_alu instid0(VALU_DEP_4) | instskip(NEXT) | instid1(VALU_DEP_3)
	v_fma_f64 v[29:30], v[68:69], s[86:87], v[29:30]
	v_fma_f64 v[38:39], v[34:35], v[38:39], s[50:51]
	s_delay_alu instid0(VALU_DEP_3) | instskip(NEXT) | instid1(VALU_DEP_3)
	v_add_f64 v[23:24], v[23:24], -v[25:26]
	v_add_f64 v[27:28], v[27:28], -v[29:30]
	s_delay_alu instid0(VALU_DEP_3) | instskip(NEXT) | instid1(VALU_DEP_1)
	v_fma_f64 v[38:39], v[34:35], v[38:39], s[52:53]
	v_fma_f64 v[38:39], v[34:35], v[38:39], s[82:83]
	s_delay_alu instid0(VALU_DEP_1) | instskip(NEXT) | instid1(VALU_DEP_1)
	v_fma_f64 v[38:39], v[34:35], v[38:39], s[84:85]
	v_fma_f64 v[38:39], v[34:35], v[38:39], s[58:59]
	s_delay_alu instid0(VALU_DEP_1) | instskip(NEXT) | instid1(VALU_DEP_1)
	v_fma_f64 v[38:39], v[34:35], v[38:39], s[60:61]
	v_fma_f64 v[38:39], v[34:35], v[38:39], 1.0
	s_delay_alu instid0(VALU_DEP_1) | instskip(SKIP_2) | instid1(VALU_DEP_3)
	v_fma_f64 v[32:33], v[34:35], v[38:39], 1.0
	v_fma_f64 v[34:35], v[40:41], v[44:45], v[52:53]
	v_add_f64 v[38:39], v[56:57], v[42:43]
	v_ldexp_f64 v[25:26], v[32:33], v18
	s_delay_alu instid0(VALU_DEP_3) | instskip(SKIP_3) | instid1(VALU_DEP_3)
	v_add_f64 v[32:33], v[58:59], v[34:35]
	v_and_b32_e32 v18, 1, v21
	v_and_b32_e32 v16, 1, v31
	v_xor_b32_e32 v21, 0x80000000, v24
	v_cmp_eq_u32_e32 vcc_lo, 0, v18
	s_delay_alu instid0(VALU_DEP_3) | instskip(SKIP_1) | instid1(VALU_DEP_4)
	v_cmp_eq_u32_e64 s5, 0, v16
	v_cndmask_b32_e32 v18, v23, v38, vcc_lo
	v_dual_cndmask_b32 v16, v21, v39 :: v_dual_and_b32 v21, 0x80000000, v13
	s_and_b32 vcc_lo, s4, s3
	s_delay_alu instid0(VALU_DEP_2) | instskip(NEXT) | instid1(VALU_DEP_2)
	v_cndmask_b32_e64 v13, 0, v18, s2
	v_xor_b32_e32 v14, v16, v14
	s_delay_alu instid0(VALU_DEP_1) | instskip(SKIP_3) | instid1(VALU_DEP_3)
	v_cndmask_b32_e64 v14, 0x7ff80000, v14, s2
	v_cndmask_b32_e64 v15, 0x7ff00000, v26, s3
	;; [unrolled: 1-line block ×5, first 2 shown]
	s_delay_alu instid0(VALU_DEP_3) | instskip(NEXT) | instid1(VALU_DEP_3)
	v_xor_b32_e32 v16, v23, v21
	v_cndmask_b32_e64 v15, 0, v22, s2
	v_cndmask_b32_e32 v21, 0, v25, vcc_lo
	s_delay_alu instid0(VALU_DEP_4) | instskip(NEXT) | instid1(VALU_DEP_4)
	v_and_or_b32 v22, v24, s95, 0x7fe00000
	v_cndmask_b32_e64 v16, 0x7ff80000, v16, s2
	v_lshrrev_b32_e32 v18, 20, v24
	s_delay_alu instid0(VALU_DEP_3) | instskip(NEXT) | instid1(VALU_DEP_3)
	v_mul_f64 v[13:14], v[21:22], v[13:14]
	v_mul_f64 v[15:16], v[21:22], v[15:16]
	s_delay_alu instid0(VALU_DEP_3) | instskip(NEXT) | instid1(VALU_DEP_1)
	v_add_nc_u32_e32 v21, 0xffffff09, v18
	v_lshrrev_b16 v18, 15, v21
	s_delay_alu instid0(VALU_DEP_1) | instskip(NEXT) | instid1(VALU_DEP_1)
	v_add_nc_u16 v18, v21, v18
	v_ashrrev_i16 v18, 1, v18
	s_delay_alu instid0(VALU_DEP_1) | instskip(NEXT) | instid1(VALU_DEP_1)
	v_bfe_i32 v22, v18, 0, 16
	v_lshl_add_u32 v18, v22, 20, 0x3ff00000
	s_delay_alu instid0(VALU_DEP_1) | instskip(SKIP_3) | instid1(VALU_DEP_2)
	v_mul_f64 v[13:14], v[13:14], v[17:18]
	v_mul_f64 v[15:16], v[15:16], v[17:18]
	v_sub_nc_u32_e32 v18, v21, v22
	v_mov_b32_e32 v21, v17
	v_lshl_add_u32 v22, v18, 20, 0x3ff00000
	s_delay_alu instid0(VALU_DEP_1)
	v_mul_f64 v[23:24], v[13:14], v[21:22]
	v_mul_f64 v[21:22], v[15:16], v[21:22]
.LBB248_79:                             ;   in Loop: Header=BB248_4 Depth=1
	s_or_b32 exec_lo, exec_lo, s34
                                        ; implicit-def: $vgpr25_vgpr26
                                        ; implicit-def: $vgpr13_vgpr14
                                        ; implicit-def: $vgpr18
.LBB248_80:                             ;   in Loop: Header=BB248_4 Depth=1
	s_and_not1_saveexec_b32 s3, s98
	s_cbranch_execz .LBB248_86
; %bb.81:                               ;   in Loop: Header=BB248_4 Depth=1
	v_add_f64 v[21:22], v[15:16], -v[15:16]
	v_cmp_ne_u32_e32 vcc_lo, 0, v25
	v_cmp_ne_u32_e64 s2, 0x7ff00000, v18
	s_delay_alu instid0(VALU_DEP_1) | instskip(NEXT) | instid1(SALU_CYCLE_1)
	s_or_b32 s2, vcc_lo, s2
	s_and_saveexec_b32 s4, s2
	s_delay_alu instid0(SALU_CYCLE_1)
	s_xor_b32 s2, exec_lo, s4
; %bb.82:                               ;   in Loop: Header=BB248_4 Depth=1
                                        ; implicit-def: $vgpr25_vgpr26
                                        ; implicit-def: $vgpr13_vgpr14
; %bb.83:                               ;   in Loop: Header=BB248_4 Depth=1
	s_delay_alu instid0(SALU_CYCLE_1) | instskip(NEXT) | instid1(VALU_DEP_3)
	s_or_saveexec_b32 s2, s2
	v_dual_mov_b32 v24, v22 :: v_dual_mov_b32 v23, v21
	s_xor_b32 exec_lo, exec_lo, s2
; %bb.84:                               ;   in Loop: Header=BB248_4 Depth=1
	v_cmp_lt_i64_e32 vcc_lo, -1, v[25:26]
	v_dual_cndmask_b32 v24, 0, v26 :: v_dual_cndmask_b32 v23, 0, v13
	v_dual_cndmask_b32 v22, 0, v22 :: v_dual_cndmask_b32 v21, 0, v21
; %bb.85:                               ;   in Loop: Header=BB248_4 Depth=1
	s_or_b32 exec_lo, exec_lo, s2
.LBB248_86:                             ;   in Loop: Header=BB248_4 Depth=1
	s_delay_alu instid0(SALU_CYCLE_1)
	s_or_b32 exec_lo, exec_lo, s3
                                        ; implicit-def: $vgpr15_vgpr16
.LBB248_87:                             ;   in Loop: Header=BB248_4 Depth=1
	s_and_not1_saveexec_b32 s4, s97
	s_cbranch_execz .LBB248_97
; %bb.88:                               ;   in Loop: Header=BB248_4 Depth=1
	v_cmp_ngt_f64_e64 s3, 0x41d00000, |v[15:16]|
	v_trig_preop_f64 v[29:30], |v[15:16]|, 0
	v_trig_preop_f64 v[27:28], |v[15:16]|, 1
	v_ldexp_f64 v[31:32], |v[15:16]|, 0xffffff80
	v_trig_preop_f64 v[25:26], |v[15:16]|, 2
	v_and_b32_e32 v38, 0x7fffffff, v16
                                        ; implicit-def: $vgpr21
                                        ; implicit-def: $vgpr13_vgpr14
                                        ; implicit-def: $vgpr23_vgpr24
	s_and_saveexec_b32 s2, s3
	s_delay_alu instid0(SALU_CYCLE_1)
	s_xor_b32 s5, exec_lo, s2
	s_cbranch_execz .LBB248_90
; %bb.89:                               ;   in Loop: Header=BB248_4 Depth=1
	v_cmp_le_f64_e64 vcc_lo, 0x7b000000, |v[15:16]|
	s_mov_b32 s16, s18
	s_mov_b32 s25, s23
	s_delay_alu instid0(VALU_DEP_4) | instskip(NEXT) | instid1(VALU_DEP_1)
	v_dual_cndmask_b32 v14, v38, v32 :: v_dual_cndmask_b32 v13, v15, v31
	v_mul_f64 v[23:24], v[29:30], v[13:14]
	v_mul_f64 v[33:34], v[27:28], v[13:14]
	;; [unrolled: 1-line block ×3, first 2 shown]
	s_delay_alu instid0(VALU_DEP_3) | instskip(NEXT) | instid1(VALU_DEP_3)
	v_fma_f64 v[35:36], v[29:30], v[13:14], -v[23:24]
	v_fma_f64 v[49:50], v[27:28], v[13:14], -v[33:34]
	s_delay_alu instid0(VALU_DEP_3) | instskip(NEXT) | instid1(VALU_DEP_3)
	v_fma_f64 v[13:14], v[25:26], v[13:14], -v[47:48]
	v_add_f64 v[39:40], v[33:34], v[35:36]
	s_delay_alu instid0(VALU_DEP_1) | instskip(SKIP_1) | instid1(VALU_DEP_2)
	v_add_f64 v[41:42], v[39:40], -v[33:34]
	v_add_f64 v[45:46], v[23:24], v[39:40]
	v_add_f64 v[43:44], v[39:40], -v[41:42]
	v_add_f64 v[35:36], v[35:36], -v[41:42]
	s_delay_alu instid0(VALU_DEP_3) | instskip(SKIP_1) | instid1(VALU_DEP_4)
	v_ldexp_f64 v[41:42], v[45:46], -2
	v_add_f64 v[23:24], v[45:46], -v[23:24]
	v_add_f64 v[33:34], v[33:34], -v[43:44]
	v_add_f64 v[43:44], v[47:48], v[49:50]
	s_delay_alu instid0(VALU_DEP_4) | instskip(NEXT) | instid1(VALU_DEP_4)
	v_cmp_neq_f64_e64 vcc_lo, 0x7ff00000, |v[41:42]|
	v_add_f64 v[23:24], v[39:40], -v[23:24]
	s_delay_alu instid0(VALU_DEP_4) | instskip(SKIP_1) | instid1(VALU_DEP_2)
	v_add_f64 v[33:34], v[35:36], v[33:34]
	v_fract_f64_e32 v[35:36], v[41:42]
	v_add_f64 v[39:40], v[43:44], v[33:34]
	s_delay_alu instid0(VALU_DEP_2) | instskip(NEXT) | instid1(VALU_DEP_1)
	v_dual_cndmask_b32 v36, 0, v36 :: v_dual_cndmask_b32 v35, 0, v35
	v_ldexp_f64 v[35:36], v[35:36], 2
	s_delay_alu instid0(VALU_DEP_3) | instskip(SKIP_1) | instid1(VALU_DEP_2)
	v_add_f64 v[41:42], v[23:24], v[39:40]
	v_add_f64 v[51:52], v[39:40], -v[43:44]
	v_add_f64 v[45:46], v[41:42], v[35:36]
	s_delay_alu instid0(VALU_DEP_2) | instskip(SKIP_2) | instid1(VALU_DEP_4)
	v_add_f64 v[57:58], v[39:40], -v[51:52]
	v_add_f64 v[33:34], v[33:34], -v[51:52]
	;; [unrolled: 1-line block ×3, first 2 shown]
	v_cmp_gt_f64_e32 vcc_lo, 0, v[45:46]
	v_add_f64 v[45:46], v[43:44], -v[47:48]
	s_delay_alu instid0(VALU_DEP_3) | instskip(SKIP_1) | instid1(VALU_DEP_3)
	v_add_f64 v[23:24], v[39:40], -v[23:24]
	v_cndmask_b32_e64 v18, 0, 0x40100000, vcc_lo
	v_add_f64 v[55:56], v[43:44], -v[45:46]
	v_add_f64 v[45:46], v[49:50], -v[45:46]
	;; [unrolled: 1-line block ×3, first 2 shown]
	s_delay_alu instid0(VALU_DEP_4) | instskip(NEXT) | instid1(VALU_DEP_4)
	v_add_f64 v[35:36], v[35:36], v[17:18]
	v_add_f64 v[49:50], v[47:48], -v[55:56]
	s_delay_alu instid0(VALU_DEP_3) | instskip(NEXT) | instid1(VALU_DEP_3)
	v_add_f64 v[33:34], v[33:34], v[43:44]
	v_add_f64 v[53:54], v[41:42], v[35:36]
	s_delay_alu instid0(VALU_DEP_3) | instskip(NEXT) | instid1(VALU_DEP_2)
	v_add_f64 v[45:46], v[45:46], v[49:50]
	v_cvt_i32_f64_e32 v18, v[53:54]
	s_delay_alu instid0(VALU_DEP_2) | instskip(NEXT) | instid1(VALU_DEP_2)
	v_add_f64 v[33:34], v[45:46], v[33:34]
	v_cvt_f64_i32_e32 v[51:52], v18
	s_delay_alu instid0(VALU_DEP_2) | instskip(NEXT) | instid1(VALU_DEP_2)
	v_add_f64 v[13:14], v[13:14], v[33:34]
	v_add_f64 v[35:36], v[35:36], -v[51:52]
	s_delay_alu instid0(VALU_DEP_2) | instskip(NEXT) | instid1(VALU_DEP_2)
	v_add_f64 v[13:14], v[23:24], v[13:14]
	v_add_f64 v[43:44], v[41:42], v[35:36]
	s_delay_alu instid0(VALU_DEP_1) | instskip(SKIP_1) | instid1(VALU_DEP_2)
	v_add_f64 v[33:34], v[43:44], -v[35:36]
	v_cmp_le_f64_e32 vcc_lo, 0.5, v[43:44]
	v_add_f64 v[23:24], v[41:42], -v[33:34]
	v_add_co_ci_u32_e64 v21, s2, 0, v18, vcc_lo
	v_cndmask_b32_e64 v18, 0, 0x3ff00000, vcc_lo
	s_delay_alu instid0(VALU_DEP_3) | instskip(NEXT) | instid1(VALU_DEP_2)
	v_add_f64 v[13:14], v[13:14], v[23:24]
	v_add_f64 v[23:24], v[43:44], -v[17:18]
	s_delay_alu instid0(VALU_DEP_1) | instskip(NEXT) | instid1(VALU_DEP_1)
	v_add_f64 v[33:34], v[23:24], v[13:14]
	v_mul_f64 v[35:36], v[33:34], s[16:17]
	v_add_f64 v[23:24], v[33:34], -v[23:24]
	s_delay_alu instid0(VALU_DEP_2) | instskip(NEXT) | instid1(VALU_DEP_2)
	v_fma_f64 v[39:40], v[33:34], s[16:17], -v[35:36]
	v_add_f64 v[13:14], v[13:14], -v[23:24]
	s_delay_alu instid0(VALU_DEP_2) | instskip(NEXT) | instid1(VALU_DEP_1)
	v_fma_f64 v[23:24], v[33:34], s[24:25], v[39:40]
	v_fma_f64 v[23:24], v[13:14], s[16:17], v[23:24]
	s_delay_alu instid0(VALU_DEP_1) | instskip(NEXT) | instid1(VALU_DEP_1)
	v_add_f64 v[13:14], v[35:36], v[23:24]
	v_add_f64 v[33:34], v[13:14], -v[35:36]
	s_delay_alu instid0(VALU_DEP_1)
	v_add_f64 v[23:24], v[23:24], -v[33:34]
	s_and_not1_saveexec_b32 s2, s5
	s_cbranch_execz .LBB248_92
	s_branch .LBB248_91
.LBB248_90:                             ;   in Loop: Header=BB248_4 Depth=1
	s_and_not1_saveexec_b32 s2, s5
	s_cbranch_execz .LBB248_92
.LBB248_91:                             ;   in Loop: Header=BB248_4 Depth=1
	v_mul_f64 v[13:14], |v[15:16]|, s[26:27]
	s_mov_b32 s22, s28
	s_delay_alu instid0(VALU_DEP_1) | instskip(NEXT) | instid1(VALU_DEP_1)
	v_rndne_f64_e32 v[33:34], v[13:14]
	v_fma_f64 v[13:14], v[33:34], s[18:19], |v[15:16]|
	v_mul_f64 v[23:24], v[33:34], s[28:29]
	v_cvt_i32_f64_e32 v21, v[33:34]
	s_delay_alu instid0(VALU_DEP_3) | instskip(NEXT) | instid1(VALU_DEP_3)
	v_fma_f64 v[39:40], v[33:34], s[28:29], v[13:14]
	v_add_f64 v[35:36], v[13:14], v[23:24]
	s_delay_alu instid0(VALU_DEP_1) | instskip(NEXT) | instid1(VALU_DEP_3)
	v_add_f64 v[13:14], v[13:14], -v[35:36]
	v_add_f64 v[35:36], v[35:36], -v[39:40]
	s_delay_alu instid0(VALU_DEP_2) | instskip(SKIP_1) | instid1(VALU_DEP_2)
	v_add_f64 v[13:14], v[13:14], v[23:24]
	v_fma_f64 v[23:24], v[33:34], s[22:23], v[23:24]
	v_add_f64 v[13:14], v[35:36], v[13:14]
	s_delay_alu instid0(VALU_DEP_1) | instskip(NEXT) | instid1(VALU_DEP_1)
	v_add_f64 v[13:14], v[13:14], -v[23:24]
	v_fma_f64 v[23:24], v[33:34], s[30:31], v[13:14]
	s_delay_alu instid0(VALU_DEP_1) | instskip(NEXT) | instid1(VALU_DEP_1)
	v_add_f64 v[13:14], v[39:40], v[23:24]
	v_add_f64 v[35:36], v[13:14], -v[39:40]
	s_delay_alu instid0(VALU_DEP_1)
	v_add_f64 v[23:24], v[23:24], -v[35:36]
.LBB248_92:                             ;   in Loop: Header=BB248_4 Depth=1
	s_or_b32 exec_lo, exec_lo, s2
                                        ; implicit-def: $vgpr39
                                        ; implicit-def: $vgpr33_vgpr34
                                        ; implicit-def: $vgpr35_vgpr36
	s_and_saveexec_b32 s2, s3
	s_delay_alu instid0(SALU_CYCLE_1)
	s_xor_b32 s3, exec_lo, s2
	s_cbranch_execz .LBB248_94
; %bb.93:                               ;   in Loop: Header=BB248_4 Depth=1
	v_cmp_le_f64_e64 vcc_lo, 0x7b000000, |v[15:16]|
	s_mov_b32 s16, s18
	s_mov_b32 s25, s23
	s_delay_alu instid0(VALU_DEP_4) | instskip(NEXT) | instid1(VALU_DEP_1)
	v_dual_cndmask_b32 v32, v38, v32 :: v_dual_cndmask_b32 v31, v15, v31
	v_mul_f64 v[33:34], v[29:30], v[31:32]
	v_mul_f64 v[35:36], v[27:28], v[31:32]
	;; [unrolled: 1-line block ×3, first 2 shown]
	s_delay_alu instid0(VALU_DEP_3) | instskip(NEXT) | instid1(VALU_DEP_3)
	v_fma_f64 v[29:30], v[29:30], v[31:32], -v[33:34]
	v_fma_f64 v[27:28], v[27:28], v[31:32], -v[35:36]
	s_delay_alu instid0(VALU_DEP_3) | instskip(NEXT) | instid1(VALU_DEP_3)
	v_fma_f64 v[25:26], v[25:26], v[31:32], -v[46:47]
	v_add_f64 v[38:39], v[35:36], v[29:30]
	s_delay_alu instid0(VALU_DEP_1) | instskip(SKIP_1) | instid1(VALU_DEP_2)
	v_add_f64 v[40:41], v[38:39], -v[35:36]
	v_add_f64 v[44:45], v[33:34], v[38:39]
	v_add_f64 v[42:43], v[38:39], -v[40:41]
	v_add_f64 v[29:30], v[29:30], -v[40:41]
	s_delay_alu instid0(VALU_DEP_3) | instskip(SKIP_1) | instid1(VALU_DEP_4)
	v_ldexp_f64 v[40:41], v[44:45], -2
	v_add_f64 v[33:34], v[44:45], -v[33:34]
	v_add_f64 v[35:36], v[35:36], -v[42:43]
	v_add_f64 v[42:43], v[46:47], v[27:28]
	s_delay_alu instid0(VALU_DEP_4) | instskip(NEXT) | instid1(VALU_DEP_4)
	v_cmp_neq_f64_e64 vcc_lo, 0x7ff00000, |v[40:41]|
	v_add_f64 v[33:34], v[38:39], -v[33:34]
	s_delay_alu instid0(VALU_DEP_4) | instskip(SKIP_1) | instid1(VALU_DEP_2)
	v_add_f64 v[29:30], v[29:30], v[35:36]
	v_fract_f64_e32 v[35:36], v[40:41]
	v_add_f64 v[38:39], v[42:43], v[29:30]
	s_delay_alu instid0(VALU_DEP_2) | instskip(NEXT) | instid1(VALU_DEP_1)
	v_dual_cndmask_b32 v36, 0, v36 :: v_dual_cndmask_b32 v35, 0, v35
	v_ldexp_f64 v[35:36], v[35:36], 2
	s_delay_alu instid0(VALU_DEP_3) | instskip(SKIP_1) | instid1(VALU_DEP_2)
	v_add_f64 v[40:41], v[33:34], v[38:39]
	v_add_f64 v[48:49], v[38:39], -v[42:43]
	v_add_f64 v[44:45], v[40:41], v[35:36]
	s_delay_alu instid0(VALU_DEP_2) | instskip(SKIP_2) | instid1(VALU_DEP_4)
	v_add_f64 v[54:55], v[38:39], -v[48:49]
	v_add_f64 v[29:30], v[29:30], -v[48:49]
	;; [unrolled: 1-line block ×3, first 2 shown]
	v_cmp_gt_f64_e32 vcc_lo, 0, v[44:45]
	v_add_f64 v[44:45], v[42:43], -v[46:47]
	s_delay_alu instid0(VALU_DEP_3) | instskip(SKIP_1) | instid1(VALU_DEP_3)
	v_add_f64 v[31:32], v[38:39], -v[31:32]
	v_cndmask_b32_e64 v18, 0, 0x40100000, vcc_lo
	v_add_f64 v[52:53], v[42:43], -v[44:45]
	v_add_f64 v[27:28], v[27:28], -v[44:45]
	;; [unrolled: 1-line block ×3, first 2 shown]
	s_delay_alu instid0(VALU_DEP_4) | instskip(NEXT) | instid1(VALU_DEP_4)
	v_add_f64 v[35:36], v[35:36], v[17:18]
	v_add_f64 v[44:45], v[46:47], -v[52:53]
	s_delay_alu instid0(VALU_DEP_3) | instskip(NEXT) | instid1(VALU_DEP_3)
	v_add_f64 v[29:30], v[29:30], v[42:43]
	v_add_f64 v[50:51], v[40:41], v[35:36]
	s_delay_alu instid0(VALU_DEP_3) | instskip(NEXT) | instid1(VALU_DEP_2)
	v_add_f64 v[27:28], v[27:28], v[44:45]
	v_cvt_i32_f64_e32 v18, v[50:51]
	s_delay_alu instid0(VALU_DEP_2) | instskip(NEXT) | instid1(VALU_DEP_2)
	v_add_f64 v[27:28], v[27:28], v[29:30]
	v_cvt_f64_i32_e32 v[48:49], v18
	s_delay_alu instid0(VALU_DEP_2) | instskip(NEXT) | instid1(VALU_DEP_2)
	v_add_f64 v[25:26], v[25:26], v[27:28]
	v_add_f64 v[35:36], v[35:36], -v[48:49]
	s_delay_alu instid0(VALU_DEP_2) | instskip(NEXT) | instid1(VALU_DEP_2)
	v_add_f64 v[25:26], v[31:32], v[25:26]
	v_add_f64 v[29:30], v[40:41], v[35:36]
	s_delay_alu instid0(VALU_DEP_1) | instskip(SKIP_1) | instid1(VALU_DEP_2)
	v_add_f64 v[27:28], v[29:30], -v[35:36]
	v_cmp_le_f64_e32 vcc_lo, 0.5, v[29:30]
	v_add_f64 v[27:28], v[40:41], -v[27:28]
	v_add_co_ci_u32_e64 v39, s2, 0, v18, vcc_lo
	v_cndmask_b32_e64 v18, 0, 0x3ff00000, vcc_lo
	s_delay_alu instid0(VALU_DEP_3) | instskip(NEXT) | instid1(VALU_DEP_2)
	v_add_f64 v[25:26], v[25:26], v[27:28]
	v_add_f64 v[27:28], v[29:30], -v[17:18]
	s_delay_alu instid0(VALU_DEP_1) | instskip(NEXT) | instid1(VALU_DEP_1)
	v_add_f64 v[29:30], v[27:28], v[25:26]
	v_mul_f64 v[31:32], v[29:30], s[16:17]
	v_add_f64 v[27:28], v[29:30], -v[27:28]
	s_delay_alu instid0(VALU_DEP_2) | instskip(NEXT) | instid1(VALU_DEP_2)
	v_fma_f64 v[33:34], v[29:30], s[16:17], -v[31:32]
	v_add_f64 v[25:26], v[25:26], -v[27:28]
	s_delay_alu instid0(VALU_DEP_2) | instskip(NEXT) | instid1(VALU_DEP_1)
	v_fma_f64 v[27:28], v[29:30], s[24:25], v[33:34]
	v_fma_f64 v[25:26], v[25:26], s[16:17], v[27:28]
	s_delay_alu instid0(VALU_DEP_1) | instskip(NEXT) | instid1(VALU_DEP_1)
	v_add_f64 v[33:34], v[31:32], v[25:26]
	v_add_f64 v[27:28], v[33:34], -v[31:32]
	s_delay_alu instid0(VALU_DEP_1)
	v_add_f64 v[35:36], v[25:26], -v[27:28]
	s_and_not1_saveexec_b32 s2, s3
	s_cbranch_execnz .LBB248_95
	s_branch .LBB248_96
.LBB248_94:                             ;   in Loop: Header=BB248_4 Depth=1
	s_and_not1_saveexec_b32 s2, s3
	s_cbranch_execz .LBB248_96
.LBB248_95:                             ;   in Loop: Header=BB248_4 Depth=1
	v_mul_f64 v[25:26], |v[15:16]|, s[26:27]
	s_mov_b32 s22, s28
	s_delay_alu instid0(VALU_DEP_1) | instskip(NEXT) | instid1(VALU_DEP_1)
	v_rndne_f64_e32 v[25:26], v[25:26]
	v_fma_f64 v[27:28], v[25:26], s[18:19], |v[15:16]|
	v_mul_f64 v[29:30], v[25:26], s[28:29]
	v_cvt_i32_f64_e32 v39, v[25:26]
	s_delay_alu instid0(VALU_DEP_3) | instskip(NEXT) | instid1(VALU_DEP_3)
	v_fma_f64 v[35:36], v[25:26], s[28:29], v[27:28]
	v_add_f64 v[31:32], v[27:28], v[29:30]
	s_delay_alu instid0(VALU_DEP_1) | instskip(NEXT) | instid1(VALU_DEP_3)
	v_add_f64 v[27:28], v[27:28], -v[31:32]
	v_add_f64 v[31:32], v[31:32], -v[35:36]
	s_delay_alu instid0(VALU_DEP_2) | instskip(SKIP_1) | instid1(VALU_DEP_2)
	v_add_f64 v[27:28], v[27:28], v[29:30]
	v_fma_f64 v[29:30], v[25:26], s[22:23], v[29:30]
	v_add_f64 v[27:28], v[31:32], v[27:28]
	s_delay_alu instid0(VALU_DEP_1) | instskip(NEXT) | instid1(VALU_DEP_1)
	v_add_f64 v[27:28], v[27:28], -v[29:30]
	v_fma_f64 v[27:28], v[25:26], s[30:31], v[27:28]
	s_delay_alu instid0(VALU_DEP_1) | instskip(NEXT) | instid1(VALU_DEP_1)
	v_add_f64 v[33:34], v[35:36], v[27:28]
	v_add_f64 v[29:30], v[33:34], -v[35:36]
	s_delay_alu instid0(VALU_DEP_1)
	v_add_f64 v[35:36], v[27:28], -v[29:30]
.LBB248_96:                             ;   in Loop: Header=BB248_4 Depth=1
	s_or_b32 exec_lo, exec_lo, s2
	v_mul_f64 v[25:26], v[13:14], v[13:14]
	v_mul_f64 v[27:28], v[33:34], v[33:34]
	s_delay_alu instid0(VALU_DEP_3) | instskip(NEXT) | instid1(VALU_DEP_4)
	v_mul_f64 v[52:53], v[23:24], 0.5
	v_mul_f64 v[58:59], v[35:36], 0.5
	s_mov_b32 s86, s56
	v_cmp_class_f64_e64 s2, v[15:16], 0x1f8
	v_and_b32_e32 v18, 1, v21
	v_and_b32_e32 v16, 1, v39
	s_delay_alu instid0(VALU_DEP_2) | instskip(SKIP_1) | instid1(VALU_DEP_3)
	v_cmp_eq_u32_e32 vcc_lo, 0, v18
	v_lshlrev_b32_e32 v18, 30, v21
	v_cmp_eq_u32_e64 s3, 0, v16
	s_delay_alu instid0(VALU_DEP_2)
	v_and_b32_e32 v16, 0x80000000, v18
	v_fma_f64 v[29:30], v[25:26], s[74:75], s[72:73]
	v_fma_f64 v[31:32], v[27:28], s[74:75], s[72:73]
	;; [unrolled: 1-line block ×3, first 2 shown]
	v_mul_f64 v[42:43], v[25:26], 0.5
	v_fma_f64 v[44:45], v[27:28], s[64:65], s[62:63]
	v_mul_f64 v[46:47], v[27:28], 0.5
	v_mul_f64 v[54:55], v[13:14], -v[25:26]
	v_mul_f64 v[60:61], v[33:34], -v[27:28]
	v_fma_f64 v[29:30], v[25:26], v[29:30], s[76:77]
	v_fma_f64 v[31:32], v[27:28], v[31:32], s[76:77]
	;; [unrolled: 1-line block ×3, first 2 shown]
	v_add_f64 v[48:49], -v[42:43], 1.0
	v_fma_f64 v[44:45], v[27:28], v[44:45], s[66:67]
	v_add_f64 v[50:51], -v[46:47], 1.0
	v_fma_f64 v[29:30], v[25:26], v[29:30], s[78:79]
	v_fma_f64 v[31:32], v[27:28], v[31:32], s[78:79]
	;; [unrolled: 1-line block ×3, first 2 shown]
	v_add_f64 v[56:57], -v[48:49], 1.0
	v_fma_f64 v[44:45], v[27:28], v[44:45], s[68:69]
	v_add_f64 v[62:63], -v[50:51], 1.0
	v_fma_f64 v[29:30], v[25:26], v[29:30], s[54:55]
	v_fma_f64 v[31:32], v[27:28], v[31:32], s[54:55]
	;; [unrolled: 1-line block ×3, first 2 shown]
	v_add_f64 v[42:43], v[56:57], -v[42:43]
	v_fma_f64 v[44:45], v[27:28], v[44:45], s[70:71]
	v_add_f64 v[46:47], v[62:63], -v[46:47]
	v_fma_f64 v[29:30], v[54:55], v[29:30], v[52:53]
	v_fma_f64 v[31:32], v[60:61], v[31:32], v[58:59]
	v_mul_f64 v[52:53], v[25:26], v[25:26]
	v_fma_f64 v[40:41], v[25:26], v[40:41], s[56:57]
	v_fma_f64 v[42:43], v[13:14], -v[23:24], v[42:43]
	v_fma_f64 v[23:24], v[25:26], v[29:30], -v[23:24]
	v_mul_f64 v[25:26], v[27:28], v[27:28]
	v_fma_f64 v[29:30], v[27:28], v[44:45], s[56:57]
	v_fma_f64 v[44:45], v[33:34], -v[35:36], v[46:47]
	v_fma_f64 v[27:28], v[27:28], v[31:32], -v[35:36]
	v_fma_f64 v[31:32], v[52:53], v[40:41], v[42:43]
	v_fma_f64 v[23:24], v[54:55], s[86:87], v[23:24]
	s_delay_alu instid0(VALU_DEP_4) | instskip(NEXT) | instid1(VALU_DEP_4)
	v_fma_f64 v[25:26], v[25:26], v[29:30], v[44:45]
	v_fma_f64 v[27:28], v[60:61], s[86:87], v[27:28]
	s_delay_alu instid0(VALU_DEP_4) | instskip(NEXT) | instid1(VALU_DEP_4)
	v_add_f64 v[29:30], v[48:49], v[31:32]
	v_add_f64 v[13:14], v[13:14], -v[23:24]
	s_delay_alu instid0(VALU_DEP_4) | instskip(NEXT) | instid1(VALU_DEP_4)
	v_add_f64 v[23:24], v[50:51], v[25:26]
	v_add_f64 v[25:26], v[33:34], -v[27:28]
	s_delay_alu instid0(VALU_DEP_3) | instskip(NEXT) | instid1(VALU_DEP_4)
	v_cndmask_b32_e32 v13, v13, v29, vcc_lo
	v_xor_b32_e32 v14, 0x80000000, v14
	v_lshlrev_b32_e32 v15, 30, v39
	s_delay_alu instid0(VALU_DEP_4) | instskip(SKIP_1) | instid1(VALU_DEP_4)
	v_cndmask_b32_e64 v21, v24, v26, s3
	v_cndmask_b32_e64 v18, v23, v25, s3
	v_cndmask_b32_e32 v14, v14, v30, vcc_lo
	s_delay_alu instid0(VALU_DEP_4) | instskip(SKIP_1) | instid1(VALU_DEP_3)
	v_xor_b32_e32 v15, v15, v22
	v_cndmask_b32_e64 v23, 0, v13, s2
	v_xor_b32_e32 v14, v14, v16
	s_delay_alu instid0(VALU_DEP_3) | instskip(NEXT) | instid1(VALU_DEP_2)
	v_and_b32_e32 v15, 0x80000000, v15
	v_cndmask_b32_e64 v24, 0x7ff80000, v14, s2
	s_delay_alu instid0(VALU_DEP_2) | instskip(SKIP_1) | instid1(VALU_DEP_2)
	v_xor_b32_e32 v15, v21, v15
	v_cndmask_b32_e64 v21, 0, v18, s2
	v_cndmask_b32_e64 v22, 0x7ff80000, v15, s2
.LBB248_97:                             ;   in Loop: Header=BB248_4 Depth=1
	s_or_b32 exec_lo, exec_lo, s4
                                        ; implicit-def: $vgpr13_vgpr14
.LBB248_98:                             ;   in Loop: Header=BB248_4 Depth=1
	s_and_not1_saveexec_b32 s3, s96
	s_cbranch_execz .LBB248_100
; %bb.99:                               ;   in Loop: Header=BB248_4 Depth=1
	s_mov_b32 s34, s36
	s_mov_b32 s83, s55
	v_mul_f64 v[15:16], v[13:14], s[34:35]
	s_mov_b32 s85, s57
	v_cmp_ngt_f64_e32 vcc_lo, 0xc0900000, v[13:14]
	v_cmp_nlt_f64_e64 s2, 0x4090cc00, v[13:14]
	s_delay_alu instid0(VALU_DEP_3) | instskip(NEXT) | instid1(VALU_DEP_1)
	v_rndne_f64_e32 v[15:16], v[15:16]
	v_fma_f64 v[23:24], v[15:16], s[38:39], -v[13:14]
	v_cvt_i32_f64_e32 v18, v[15:16]
	s_delay_alu instid0(VALU_DEP_2) | instskip(NEXT) | instid1(VALU_DEP_1)
	v_fma_f64 v[23:24], v[15:16], s[40:41], v[23:24]
	v_fma_f64 v[25:26], v[23:24], s[44:45], s[42:43]
	s_delay_alu instid0(VALU_DEP_1) | instskip(NEXT) | instid1(VALU_DEP_1)
	v_fma_f64 v[25:26], v[23:24], v[25:26], s[46:47]
	v_fma_f64 v[25:26], v[23:24], v[25:26], s[48:49]
	s_delay_alu instid0(VALU_DEP_1) | instskip(NEXT) | instid1(VALU_DEP_1)
	;; [unrolled: 3-line block ×5, first 2 shown]
	v_fma_f64 v[25:26], v[23:24], v[25:26], 1.0
	v_fma_f64 v[15:16], v[23:24], v[25:26], 1.0
	s_delay_alu instid0(VALU_DEP_1) | instskip(NEXT) | instid1(VALU_DEP_1)
	v_ldexp_f64 v[15:16], v[15:16], v18
	v_cndmask_b32_e32 v16, 0x7ff00000, v16, vcc_lo
	s_and_b32 vcc_lo, s2, vcc_lo
	s_delay_alu instid0(VALU_DEP_2) | instskip(NEXT) | instid1(VALU_DEP_2)
	v_cndmask_b32_e32 v23, 0, v15, vcc_lo
	v_cndmask_b32_e64 v24, 0, v16, s2
.LBB248_100:                            ;   in Loop: Header=BB248_4 Depth=1
	s_or_b32 exec_lo, exec_lo, s3
	s_delay_alu instid0(VALU_DEP_1) | instskip(NEXT) | instid1(VALU_DEP_2)
	v_add_f64 v[23:24], s[8:9], v[23:24]
	v_add_f64 v[21:22], s[10:11], v[21:22]
                                        ; implicit-def: $vgpr15_vgpr16
	s_delay_alu instid0(VALU_DEP_2) | instskip(NEXT) | instid1(VALU_DEP_2)
	v_cmp_gt_f64_e32 vcc_lo, 0, v[23:24]
	v_cmp_gt_f64_e64 s2, 0, v[21:22]
	v_xor_b32_e32 v13, 0x80000000, v24
	v_xor_b32_e32 v14, 0x80000000, v22
	s_delay_alu instid0(VALU_DEP_2) | instskip(NEXT) | instid1(VALU_DEP_2)
	v_dual_cndmask_b32 v26, v24, v13 :: v_dual_cndmask_b32 v25, v23, v23
	v_cndmask_b32_e64 v28, v22, v14, s2
	v_cndmask_b32_e64 v27, v21, v21, s2
	s_mov_b32 s2, exec_lo
	s_delay_alu instid0(VALU_DEP_1)
	v_cmpx_ge_f64_e32 v[25:26], v[27:28]
	s_xor_b32 s3, exec_lo, s2
	s_cbranch_execz .LBB248_106
; %bb.101:                              ;   in Loop: Header=BB248_4 Depth=1
	v_cmp_neq_f64_e32 vcc_lo, 0, v[23:24]
	v_cmp_neq_f64_e64 s2, 0, v[21:22]
                                        ; implicit-def: $vgpr15_vgpr16
	s_delay_alu instid0(VALU_DEP_1) | instskip(NEXT) | instid1(SALU_CYCLE_1)
	s_or_b32 s2, vcc_lo, s2
	s_and_saveexec_b32 s4, s2
	s_delay_alu instid0(SALU_CYCLE_1)
	s_xor_b32 s2, exec_lo, s4
	s_cbranch_execz .LBB248_103
; %bb.102:                              ;   in Loop: Header=BB248_4 Depth=1
	v_div_scale_f64 v[13:14], null, v[23:24], v[23:24], v[21:22]
	v_div_scale_f64 v[27:28], vcc_lo, v[21:22], v[23:24], v[21:22]
	s_delay_alu instid0(VALU_DEP_2) | instskip(SKIP_2) | instid1(VALU_DEP_1)
	v_rcp_f64_e32 v[15:16], v[13:14]
	s_waitcnt_depctr 0xfff
	v_fma_f64 v[25:26], -v[13:14], v[15:16], 1.0
	v_fma_f64 v[15:16], v[15:16], v[25:26], v[15:16]
	s_delay_alu instid0(VALU_DEP_1) | instskip(NEXT) | instid1(VALU_DEP_1)
	v_fma_f64 v[25:26], -v[13:14], v[15:16], 1.0
	v_fma_f64 v[15:16], v[15:16], v[25:26], v[15:16]
	s_delay_alu instid0(VALU_DEP_1) | instskip(NEXT) | instid1(VALU_DEP_1)
	v_mul_f64 v[25:26], v[27:28], v[15:16]
	v_fma_f64 v[13:14], -v[13:14], v[25:26], v[27:28]
	s_delay_alu instid0(VALU_DEP_1) | instskip(NEXT) | instid1(VALU_DEP_1)
	v_div_fmas_f64 v[13:14], v[13:14], v[15:16], v[25:26]
	v_div_fixup_f64 v[13:14], v[13:14], v[23:24], v[21:22]
	s_delay_alu instid0(VALU_DEP_1) | instskip(NEXT) | instid1(VALU_DEP_1)
	v_fma_f64 v[15:16], v[21:22], v[13:14], v[23:24]
	v_div_scale_f64 v[21:22], null, v[15:16], v[15:16], 1.0
	v_div_scale_f64 v[27:28], vcc_lo, 1.0, v[15:16], 1.0
	s_delay_alu instid0(VALU_DEP_2) | instskip(SKIP_2) | instid1(VALU_DEP_1)
	v_rcp_f64_e32 v[23:24], v[21:22]
	s_waitcnt_depctr 0xfff
	v_fma_f64 v[25:26], -v[21:22], v[23:24], 1.0
	v_fma_f64 v[23:24], v[23:24], v[25:26], v[23:24]
	s_delay_alu instid0(VALU_DEP_1) | instskip(NEXT) | instid1(VALU_DEP_1)
	v_fma_f64 v[25:26], -v[21:22], v[23:24], 1.0
	v_fma_f64 v[23:24], v[23:24], v[25:26], v[23:24]
	s_delay_alu instid0(VALU_DEP_1) | instskip(NEXT) | instid1(VALU_DEP_1)
	v_mul_f64 v[25:26], v[27:28], v[23:24]
	v_fma_f64 v[21:22], -v[21:22], v[25:26], v[27:28]
                                        ; implicit-def: $vgpr27_vgpr28
	s_delay_alu instid0(VALU_DEP_1) | instskip(SKIP_1) | instid1(VALU_DEP_2)
	v_div_fmas_f64 v[21:22], v[21:22], v[23:24], v[25:26]
	v_fma_f64 v[23:24], s[10:11], v[13:14], s[8:9]
                                        ; implicit-def: $vgpr25_vgpr26
	v_div_fixup_f64 v[15:16], v[21:22], v[15:16], 1.0
	v_fma_f64 v[21:22], -s[8:9], v[13:14], s[10:11]
	s_delay_alu instid0(VALU_DEP_2) | instskip(NEXT) | instid1(VALU_DEP_2)
	v_mul_f64 v[13:14], v[23:24], v[15:16]
	v_mul_f64 v[15:16], v[21:22], v[15:16]
.LBB248_103:                            ;   in Loop: Header=BB248_4 Depth=1
	s_and_not1_saveexec_b32 s4, s2
	s_cbranch_execz .LBB248_105
; %bb.104:                              ;   in Loop: Header=BB248_4 Depth=1
	v_div_scale_f64 v[13:14], null, v[25:26], v[25:26], s[8:9]
	v_div_scale_f64 v[15:16], null, v[27:28], v[27:28], s[10:11]
	v_div_scale_f64 v[33:34], vcc_lo, s[8:9], v[25:26], s[8:9]
	s_delay_alu instid0(VALU_DEP_3) | instskip(NEXT) | instid1(VALU_DEP_2)
	v_rcp_f64_e32 v[21:22], v[13:14]
	v_rcp_f64_e32 v[23:24], v[15:16]
	s_waitcnt_depctr 0xfff
	v_fma_f64 v[29:30], -v[13:14], v[21:22], 1.0
	v_fma_f64 v[31:32], -v[15:16], v[23:24], 1.0
	s_delay_alu instid0(VALU_DEP_2) | instskip(NEXT) | instid1(VALU_DEP_2)
	v_fma_f64 v[21:22], v[21:22], v[29:30], v[21:22]
	v_fma_f64 v[23:24], v[23:24], v[31:32], v[23:24]
	s_delay_alu instid0(VALU_DEP_2) | instskip(NEXT) | instid1(VALU_DEP_2)
	v_fma_f64 v[29:30], -v[13:14], v[21:22], 1.0
	v_fma_f64 v[31:32], -v[15:16], v[23:24], 1.0
	s_delay_alu instid0(VALU_DEP_2) | instskip(SKIP_1) | instid1(VALU_DEP_3)
	v_fma_f64 v[21:22], v[21:22], v[29:30], v[21:22]
	v_div_scale_f64 v[29:30], s2, s[10:11], v[27:28], s[10:11]
	v_fma_f64 v[23:24], v[23:24], v[31:32], v[23:24]
	s_delay_alu instid0(VALU_DEP_3) | instskip(NEXT) | instid1(VALU_DEP_2)
	v_mul_f64 v[31:32], v[33:34], v[21:22]
	v_mul_f64 v[35:36], v[29:30], v[23:24]
	s_delay_alu instid0(VALU_DEP_2) | instskip(NEXT) | instid1(VALU_DEP_2)
	v_fma_f64 v[13:14], -v[13:14], v[31:32], v[33:34]
	v_fma_f64 v[15:16], -v[15:16], v[35:36], v[29:30]
	s_delay_alu instid0(VALU_DEP_2) | instskip(SKIP_1) | instid1(VALU_DEP_2)
	v_div_fmas_f64 v[13:14], v[13:14], v[21:22], v[31:32]
	s_mov_b32 vcc_lo, s2
	v_div_fmas_f64 v[15:16], v[15:16], v[23:24], v[35:36]
	s_delay_alu instid0(VALU_DEP_2) | instskip(NEXT) | instid1(VALU_DEP_2)
	v_div_fixup_f64 v[13:14], v[13:14], v[25:26], s[8:9]
	v_div_fixup_f64 v[15:16], v[15:16], v[27:28], s[10:11]
.LBB248_105:                            ;   in Loop: Header=BB248_4 Depth=1
	s_or_b32 exec_lo, exec_lo, s4
                                        ; implicit-def: $vgpr21_vgpr22
                                        ; implicit-def: $vgpr23_vgpr24
.LBB248_106:                            ;   in Loop: Header=BB248_4 Depth=1
	s_and_not1_saveexec_b32 s2, s3
	s_cbranch_execz .LBB248_108
; %bb.107:                              ;   in Loop: Header=BB248_4 Depth=1
	v_div_scale_f64 v[13:14], null, v[21:22], v[21:22], v[23:24]
	v_div_scale_f64 v[27:28], vcc_lo, v[23:24], v[21:22], v[23:24]
	s_delay_alu instid0(VALU_DEP_2) | instskip(SKIP_2) | instid1(VALU_DEP_1)
	v_rcp_f64_e32 v[15:16], v[13:14]
	s_waitcnt_depctr 0xfff
	v_fma_f64 v[25:26], -v[13:14], v[15:16], 1.0
	v_fma_f64 v[15:16], v[15:16], v[25:26], v[15:16]
	s_delay_alu instid0(VALU_DEP_1) | instskip(NEXT) | instid1(VALU_DEP_1)
	v_fma_f64 v[25:26], -v[13:14], v[15:16], 1.0
	v_fma_f64 v[15:16], v[15:16], v[25:26], v[15:16]
	s_delay_alu instid0(VALU_DEP_1) | instskip(NEXT) | instid1(VALU_DEP_1)
	v_mul_f64 v[25:26], v[27:28], v[15:16]
	v_fma_f64 v[13:14], -v[13:14], v[25:26], v[27:28]
	s_delay_alu instid0(VALU_DEP_1) | instskip(NEXT) | instid1(VALU_DEP_1)
	v_div_fmas_f64 v[13:14], v[13:14], v[15:16], v[25:26]
	v_div_fixup_f64 v[13:14], v[13:14], v[21:22], v[23:24]
	s_delay_alu instid0(VALU_DEP_1) | instskip(NEXT) | instid1(VALU_DEP_1)
	v_fma_f64 v[15:16], v[23:24], v[13:14], v[21:22]
	v_div_scale_f64 v[21:22], null, v[15:16], v[15:16], 1.0
	v_div_scale_f64 v[27:28], vcc_lo, 1.0, v[15:16], 1.0
	s_delay_alu instid0(VALU_DEP_2) | instskip(SKIP_2) | instid1(VALU_DEP_1)
	v_rcp_f64_e32 v[23:24], v[21:22]
	s_waitcnt_depctr 0xfff
	v_fma_f64 v[25:26], -v[21:22], v[23:24], 1.0
	v_fma_f64 v[23:24], v[23:24], v[25:26], v[23:24]
	s_delay_alu instid0(VALU_DEP_1) | instskip(NEXT) | instid1(VALU_DEP_1)
	v_fma_f64 v[25:26], -v[21:22], v[23:24], 1.0
	v_fma_f64 v[23:24], v[23:24], v[25:26], v[23:24]
	s_delay_alu instid0(VALU_DEP_1) | instskip(NEXT) | instid1(VALU_DEP_1)
	v_mul_f64 v[25:26], v[27:28], v[23:24]
	v_fma_f64 v[21:22], -v[21:22], v[25:26], v[27:28]
	s_delay_alu instid0(VALU_DEP_1) | instskip(SKIP_1) | instid1(VALU_DEP_2)
	v_div_fmas_f64 v[21:22], v[21:22], v[23:24], v[25:26]
	v_fma_f64 v[23:24], s[8:9], v[13:14], s[10:11]
	v_div_fixup_f64 v[15:16], v[21:22], v[15:16], 1.0
	v_fma_f64 v[21:22], s[10:11], v[13:14], -s[8:9]
	s_delay_alu instid0(VALU_DEP_2) | instskip(NEXT) | instid1(VALU_DEP_2)
	v_mul_f64 v[13:14], v[23:24], v[15:16]
	v_mul_f64 v[15:16], v[21:22], v[15:16]
.LBB248_108:                            ;   in Loop: Header=BB248_4 Depth=1
	s_or_b32 exec_lo, exec_lo, s2
	s_waitcnt vmcnt(0)
	v_xor_b32_e32 v22, 0x80000000, v12
	v_mov_b32_e32 v21, v11
                                        ; implicit-def: $vgpr23_vgpr24
	s_mov_b32 s2, exec_lo
	s_delay_alu instid0(VALU_DEP_2) | instskip(NEXT) | instid1(VALU_DEP_1)
	v_and_b32_e32 v27, 0x7fffffff, v22
	v_or_b32_e32 v18, v27, v11
	s_delay_alu instid0(VALU_DEP_1)
	v_cmpx_ne_u32_e32 0, v18
	s_xor_b32 s96, exec_lo, s2
	s_cbranch_execz .LBB248_150
; %bb.109:                              ;   in Loop: Header=BB248_4 Depth=1
	v_xor_b32_e32 v26, 0x80000000, v10
	v_mov_b32_e32 v25, v9
                                        ; implicit-def: $vgpr23_vgpr24
	s_mov_b32 s2, exec_lo
	s_delay_alu instid0(VALU_DEP_2) | instskip(NEXT) | instid1(VALU_DEP_1)
	v_and_b32_e32 v18, 0x7fffffff, v26
	v_or_b32_e32 v21, v18, v25
	s_delay_alu instid0(VALU_DEP_1)
	v_cmpx_ne_u32_e32 0, v21
	s_xor_b32 s97, exec_lo, s2
	s_cbranch_execz .LBB248_139
; %bb.110:                              ;   in Loop: Header=BB248_4 Depth=1
                                        ; implicit-def: $vgpr23_vgpr24
	s_mov_b32 s2, exec_lo
	v_cmpx_gt_u32_e32 0x7ff00000, v27
	s_xor_b32 s98, exec_lo, s2
	s_cbranch_execz .LBB248_132
; %bb.111:                              ;   in Loop: Header=BB248_4 Depth=1
	v_add_nc_u32_e32 v18, 0xbf79d1be, v26
                                        ; implicit-def: $vgpr23_vgpr24
	s_mov_b32 s2, exec_lo
	s_delay_alu instid0(VALU_DEP_1)
	v_cmpx_lt_u32_e32 0x108aa2, v18
	s_xor_b32 s99, exec_lo, s2
	s_cbranch_execz .LBB248_121
; %bb.112:                              ;   in Loop: Header=BB248_4 Depth=1
	v_cmp_ngt_f64_e64 s3, 0x41d00000, |v[11:12]|
                                        ; implicit-def: $vgpr21
                                        ; implicit-def: $vgpr23_vgpr24
                                        ; implicit-def: $vgpr25_vgpr26
	s_delay_alu instid0(VALU_DEP_1) | instskip(NEXT) | instid1(SALU_CYCLE_1)
	s_and_saveexec_b32 s2, s3
	s_xor_b32 s4, exec_lo, s2
	s_cbranch_execz .LBB248_114
; %bb.113:                              ;   in Loop: Header=BB248_4 Depth=1
	v_ldexp_f64 v[23:24], |v[11:12]|, 0xffffff80
	v_cmp_le_f64_e64 vcc_lo, 0x7b000000, |v[11:12]|
	v_trig_preop_f64 v[25:26], |v[11:12]|, 0
	v_and_b32_e32 v18, 0x7fffffff, v12
	v_trig_preop_f64 v[27:28], |v[11:12]|, 1
	v_trig_preop_f64 v[38:39], |v[11:12]|, 2
	s_mov_b32 s16, s18
	s_mov_b32 s25, s23
	v_dual_cndmask_b32 v23, v11, v23 :: v_dual_cndmask_b32 v24, v18, v24
	s_delay_alu instid0(VALU_DEP_1) | instskip(NEXT) | instid1(VALU_DEP_4)
	v_mul_f64 v[29:30], v[25:26], v[23:24]
	v_mul_f64 v[31:32], v[27:28], v[23:24]
	s_delay_alu instid0(VALU_DEP_2) | instskip(NEXT) | instid1(VALU_DEP_2)
	v_fma_f64 v[25:26], v[25:26], v[23:24], -v[29:30]
	v_fma_f64 v[27:28], v[27:28], v[23:24], -v[31:32]
	s_delay_alu instid0(VALU_DEP_2) | instskip(NEXT) | instid1(VALU_DEP_1)
	v_add_f64 v[33:34], v[31:32], v[25:26]
	v_add_f64 v[35:36], v[33:34], -v[31:32]
	v_add_f64 v[42:43], v[29:30], v[33:34]
	s_delay_alu instid0(VALU_DEP_2) | instskip(SKIP_1) | instid1(VALU_DEP_3)
	v_add_f64 v[40:41], v[33:34], -v[35:36]
	v_add_f64 v[25:26], v[25:26], -v[35:36]
	v_ldexp_f64 v[35:36], v[42:43], -2
	v_add_f64 v[29:30], v[42:43], -v[29:30]
	s_delay_alu instid0(VALU_DEP_4) | instskip(NEXT) | instid1(VALU_DEP_3)
	v_add_f64 v[31:32], v[31:32], -v[40:41]
	v_cmp_neq_f64_e64 vcc_lo, 0x7ff00000, |v[35:36]|
	s_delay_alu instid0(VALU_DEP_3) | instskip(NEXT) | instid1(VALU_DEP_3)
	v_add_f64 v[29:30], v[33:34], -v[29:30]
	v_add_f64 v[25:26], v[25:26], v[31:32]
	v_fract_f64_e32 v[31:32], v[35:36]
	s_delay_alu instid0(VALU_DEP_1) | instskip(SKIP_1) | instid1(VALU_DEP_3)
	v_cndmask_b32_e32 v31, 0, v31, vcc_lo
	v_mul_f64 v[44:45], v[38:39], v[23:24]
	v_cndmask_b32_e32 v32, 0, v32, vcc_lo
	s_delay_alu instid0(VALU_DEP_1) | instskip(NEXT) | instid1(VALU_DEP_3)
	v_ldexp_f64 v[31:32], v[31:32], 2
	v_add_f64 v[40:41], v[44:45], v[27:28]
	v_fma_f64 v[23:24], v[38:39], v[23:24], -v[44:45]
	s_delay_alu instid0(VALU_DEP_2) | instskip(NEXT) | instid1(VALU_DEP_1)
	v_add_f64 v[33:34], v[40:41], v[25:26]
	v_add_f64 v[35:36], v[29:30], v[33:34]
	v_add_f64 v[46:47], v[33:34], -v[40:41]
	s_delay_alu instid0(VALU_DEP_2) | instskip(NEXT) | instid1(VALU_DEP_2)
	v_add_f64 v[42:43], v[35:36], v[31:32]
	v_add_f64 v[52:53], v[33:34], -v[46:47]
	v_add_f64 v[25:26], v[25:26], -v[46:47]
	;; [unrolled: 1-line block ×3, first 2 shown]
	s_delay_alu instid0(VALU_DEP_4) | instskip(SKIP_1) | instid1(VALU_DEP_3)
	v_cmp_gt_f64_e32 vcc_lo, 0, v[42:43]
	v_add_f64 v[42:43], v[40:41], -v[44:45]
	v_add_f64 v[29:30], v[33:34], -v[29:30]
	v_cndmask_b32_e64 v18, 0, 0x40100000, vcc_lo
	s_delay_alu instid0(VALU_DEP_3) | instskip(SKIP_2) | instid1(VALU_DEP_4)
	v_add_f64 v[50:51], v[40:41], -v[42:43]
	v_add_f64 v[27:28], v[27:28], -v[42:43]
	;; [unrolled: 1-line block ×3, first 2 shown]
	v_add_f64 v[31:32], v[31:32], v[17:18]
	s_delay_alu instid0(VALU_DEP_4) | instskip(NEXT) | instid1(VALU_DEP_3)
	v_add_f64 v[42:43], v[44:45], -v[50:51]
	v_add_f64 v[25:26], v[25:26], v[40:41]
	s_delay_alu instid0(VALU_DEP_3) | instskip(NEXT) | instid1(VALU_DEP_3)
	v_add_f64 v[48:49], v[35:36], v[31:32]
	v_add_f64 v[27:28], v[27:28], v[42:43]
	s_delay_alu instid0(VALU_DEP_2) | instskip(NEXT) | instid1(VALU_DEP_2)
	v_cvt_i32_f64_e32 v18, v[48:49]
	v_add_f64 v[25:26], v[27:28], v[25:26]
	s_delay_alu instid0(VALU_DEP_2) | instskip(NEXT) | instid1(VALU_DEP_2)
	v_cvt_f64_i32_e32 v[46:47], v18
	v_add_f64 v[23:24], v[23:24], v[25:26]
	s_delay_alu instid0(VALU_DEP_2) | instskip(NEXT) | instid1(VALU_DEP_2)
	v_add_f64 v[31:32], v[31:32], -v[46:47]
	v_add_f64 v[23:24], v[29:30], v[23:24]
	s_delay_alu instid0(VALU_DEP_2) | instskip(NEXT) | instid1(VALU_DEP_1)
	v_add_f64 v[27:28], v[35:36], v[31:32]
	v_add_f64 v[25:26], v[27:28], -v[31:32]
	v_cmp_le_f64_e32 vcc_lo, 0.5, v[27:28]
	s_delay_alu instid0(VALU_DEP_2) | instskip(SKIP_2) | instid1(VALU_DEP_3)
	v_add_f64 v[25:26], v[35:36], -v[25:26]
	v_add_co_ci_u32_e64 v21, s2, 0, v18, vcc_lo
	v_cndmask_b32_e64 v18, 0, 0x3ff00000, vcc_lo
	v_add_f64 v[23:24], v[23:24], v[25:26]
	s_delay_alu instid0(VALU_DEP_2) | instskip(NEXT) | instid1(VALU_DEP_1)
	v_add_f64 v[25:26], v[27:28], -v[17:18]
	v_add_f64 v[27:28], v[25:26], v[23:24]
	s_delay_alu instid0(VALU_DEP_1) | instskip(SKIP_1) | instid1(VALU_DEP_2)
	v_mul_f64 v[29:30], v[27:28], s[16:17]
	v_add_f64 v[25:26], v[27:28], -v[25:26]
	v_fma_f64 v[31:32], v[27:28], s[16:17], -v[29:30]
	s_delay_alu instid0(VALU_DEP_2) | instskip(NEXT) | instid1(VALU_DEP_2)
	v_add_f64 v[23:24], v[23:24], -v[25:26]
	v_fma_f64 v[25:26], v[27:28], s[24:25], v[31:32]
	s_delay_alu instid0(VALU_DEP_1) | instskip(NEXT) | instid1(VALU_DEP_1)
	v_fma_f64 v[25:26], v[23:24], s[16:17], v[25:26]
	v_add_f64 v[23:24], v[29:30], v[25:26]
	s_delay_alu instid0(VALU_DEP_1) | instskip(NEXT) | instid1(VALU_DEP_1)
	v_add_f64 v[27:28], v[23:24], -v[29:30]
	v_add_f64 v[25:26], v[25:26], -v[27:28]
	s_and_not1_saveexec_b32 s2, s4
	s_cbranch_execz .LBB248_116
	s_branch .LBB248_115
.LBB248_114:                            ;   in Loop: Header=BB248_4 Depth=1
	s_and_not1_saveexec_b32 s2, s4
	s_cbranch_execz .LBB248_116
.LBB248_115:                            ;   in Loop: Header=BB248_4 Depth=1
	v_mul_f64 v[23:24], |v[11:12]|, s[26:27]
	s_mov_b32 s22, s28
	s_delay_alu instid0(VALU_DEP_1) | instskip(NEXT) | instid1(VALU_DEP_1)
	v_rndne_f64_e32 v[27:28], v[23:24]
	v_fma_f64 v[23:24], v[27:28], s[18:19], |v[11:12]|
	v_mul_f64 v[25:26], v[27:28], s[28:29]
	v_cvt_i32_f64_e32 v21, v[27:28]
	s_delay_alu instid0(VALU_DEP_3) | instskip(NEXT) | instid1(VALU_DEP_3)
	v_fma_f64 v[31:32], v[27:28], s[28:29], v[23:24]
	v_add_f64 v[29:30], v[23:24], v[25:26]
	s_delay_alu instid0(VALU_DEP_1) | instskip(NEXT) | instid1(VALU_DEP_3)
	v_add_f64 v[23:24], v[23:24], -v[29:30]
	v_add_f64 v[29:30], v[29:30], -v[31:32]
	s_delay_alu instid0(VALU_DEP_2) | instskip(SKIP_1) | instid1(VALU_DEP_2)
	v_add_f64 v[23:24], v[23:24], v[25:26]
	v_fma_f64 v[25:26], v[27:28], s[22:23], v[25:26]
	v_add_f64 v[23:24], v[29:30], v[23:24]
	s_delay_alu instid0(VALU_DEP_1) | instskip(NEXT) | instid1(VALU_DEP_1)
	v_add_f64 v[23:24], v[23:24], -v[25:26]
	v_fma_f64 v[25:26], v[27:28], s[30:31], v[23:24]
	s_delay_alu instid0(VALU_DEP_1) | instskip(NEXT) | instid1(VALU_DEP_1)
	v_add_f64 v[23:24], v[31:32], v[25:26]
	v_add_f64 v[29:30], v[23:24], -v[31:32]
	s_delay_alu instid0(VALU_DEP_1)
	v_add_f64 v[25:26], v[25:26], -v[29:30]
.LBB248_116:                            ;   in Loop: Header=BB248_4 Depth=1
	s_or_b32 exec_lo, exec_lo, s2
                                        ; implicit-def: $vgpr31
                                        ; implicit-def: $vgpr27_vgpr28
                                        ; implicit-def: $vgpr29_vgpr30
	s_and_saveexec_b32 s2, s3
	s_delay_alu instid0(SALU_CYCLE_1)
	s_xor_b32 s3, exec_lo, s2
	s_cbranch_execz .LBB248_118
; %bb.117:                              ;   in Loop: Header=BB248_4 Depth=1
	v_ldexp_f64 v[27:28], |v[11:12]|, 0xffffff80
	v_cmp_le_f64_e64 vcc_lo, 0x7b000000, |v[11:12]|
	v_trig_preop_f64 v[29:30], |v[11:12]|, 0
	v_and_b32_e32 v18, 0x7fffffff, v12
	v_trig_preop_f64 v[31:32], |v[11:12]|, 1
	v_trig_preop_f64 v[42:43], |v[11:12]|, 2
	s_mov_b32 s16, s18
	s_mov_b32 s25, s23
	v_dual_cndmask_b32 v27, v11, v27 :: v_dual_cndmask_b32 v28, v18, v28
	s_delay_alu instid0(VALU_DEP_1) | instskip(NEXT) | instid1(VALU_DEP_4)
	v_mul_f64 v[33:34], v[29:30], v[27:28]
	v_mul_f64 v[35:36], v[31:32], v[27:28]
	s_delay_alu instid0(VALU_DEP_2) | instskip(NEXT) | instid1(VALU_DEP_2)
	v_fma_f64 v[29:30], v[29:30], v[27:28], -v[33:34]
	v_fma_f64 v[31:32], v[31:32], v[27:28], -v[35:36]
	s_delay_alu instid0(VALU_DEP_2) | instskip(NEXT) | instid1(VALU_DEP_1)
	v_add_f64 v[38:39], v[35:36], v[29:30]
	v_add_f64 v[40:41], v[38:39], -v[35:36]
	v_add_f64 v[46:47], v[33:34], v[38:39]
	s_delay_alu instid0(VALU_DEP_2) | instskip(SKIP_1) | instid1(VALU_DEP_3)
	v_add_f64 v[44:45], v[38:39], -v[40:41]
	v_add_f64 v[29:30], v[29:30], -v[40:41]
	v_ldexp_f64 v[40:41], v[46:47], -2
	v_add_f64 v[33:34], v[46:47], -v[33:34]
	s_delay_alu instid0(VALU_DEP_4) | instskip(NEXT) | instid1(VALU_DEP_3)
	v_add_f64 v[35:36], v[35:36], -v[44:45]
	v_cmp_neq_f64_e64 vcc_lo, 0x7ff00000, |v[40:41]|
	s_delay_alu instid0(VALU_DEP_3) | instskip(NEXT) | instid1(VALU_DEP_3)
	v_add_f64 v[33:34], v[38:39], -v[33:34]
	v_add_f64 v[29:30], v[29:30], v[35:36]
	v_fract_f64_e32 v[35:36], v[40:41]
	s_delay_alu instid0(VALU_DEP_1) | instskip(SKIP_1) | instid1(VALU_DEP_3)
	v_cndmask_b32_e32 v35, 0, v35, vcc_lo
	v_mul_f64 v[48:49], v[42:43], v[27:28]
	v_cndmask_b32_e32 v36, 0, v36, vcc_lo
	s_delay_alu instid0(VALU_DEP_1) | instskip(NEXT) | instid1(VALU_DEP_3)
	v_ldexp_f64 v[35:36], v[35:36], 2
	v_add_f64 v[44:45], v[48:49], v[31:32]
	v_fma_f64 v[27:28], v[42:43], v[27:28], -v[48:49]
	s_delay_alu instid0(VALU_DEP_2) | instskip(NEXT) | instid1(VALU_DEP_1)
	v_add_f64 v[38:39], v[44:45], v[29:30]
	v_add_f64 v[40:41], v[33:34], v[38:39]
	v_add_f64 v[50:51], v[38:39], -v[44:45]
	s_delay_alu instid0(VALU_DEP_2) | instskip(NEXT) | instid1(VALU_DEP_2)
	v_add_f64 v[46:47], v[40:41], v[35:36]
	v_add_f64 v[56:57], v[38:39], -v[50:51]
	v_add_f64 v[29:30], v[29:30], -v[50:51]
	v_add_f64 v[33:34], v[40:41], -v[33:34]
	s_delay_alu instid0(VALU_DEP_4) | instskip(SKIP_2) | instid1(VALU_DEP_2)
	v_cmp_gt_f64_e32 vcc_lo, 0, v[46:47]
	v_add_f64 v[46:47], v[44:45], -v[48:49]
	v_cndmask_b32_e64 v18, 0, 0x40100000, vcc_lo
	v_add_f64 v[54:55], v[44:45], -v[46:47]
	v_add_f64 v[31:32], v[31:32], -v[46:47]
	;; [unrolled: 1-line block ×3, first 2 shown]
	s_delay_alu instid0(VALU_DEP_4) | instskip(NEXT) | instid1(VALU_DEP_4)
	v_add_f64 v[35:36], v[35:36], v[17:18]
	v_add_f64 v[46:47], v[48:49], -v[54:55]
	s_delay_alu instid0(VALU_DEP_3) | instskip(NEXT) | instid1(VALU_DEP_3)
	v_add_f64 v[29:30], v[29:30], v[44:45]
	v_add_f64 v[52:53], v[40:41], v[35:36]
	s_delay_alu instid0(VALU_DEP_3) | instskip(NEXT) | instid1(VALU_DEP_2)
	v_add_f64 v[31:32], v[31:32], v[46:47]
	v_cvt_i32_f64_e32 v18, v[52:53]
	s_delay_alu instid0(VALU_DEP_2) | instskip(SKIP_1) | instid1(VALU_DEP_3)
	v_add_f64 v[29:30], v[31:32], v[29:30]
	v_add_f64 v[31:32], v[38:39], -v[33:34]
	v_cvt_f64_i32_e32 v[50:51], v18
	s_delay_alu instid0(VALU_DEP_3) | instskip(NEXT) | instid1(VALU_DEP_2)
	v_add_f64 v[27:28], v[27:28], v[29:30]
	v_add_f64 v[35:36], v[35:36], -v[50:51]
	s_delay_alu instid0(VALU_DEP_2) | instskip(NEXT) | instid1(VALU_DEP_2)
	v_add_f64 v[27:28], v[31:32], v[27:28]
	v_add_f64 v[42:43], v[40:41], v[35:36]
	s_delay_alu instid0(VALU_DEP_1) | instskip(SKIP_1) | instid1(VALU_DEP_2)
	v_add_f64 v[29:30], v[42:43], -v[35:36]
	v_cmp_le_f64_e32 vcc_lo, 0.5, v[42:43]
	v_add_f64 v[29:30], v[40:41], -v[29:30]
	v_add_co_ci_u32_e64 v31, s2, 0, v18, vcc_lo
	v_cndmask_b32_e64 v18, 0, 0x3ff00000, vcc_lo
	s_delay_alu instid0(VALU_DEP_3) | instskip(NEXT) | instid1(VALU_DEP_2)
	v_add_f64 v[27:28], v[27:28], v[29:30]
	v_add_f64 v[29:30], v[42:43], -v[17:18]
	s_delay_alu instid0(VALU_DEP_1) | instskip(NEXT) | instid1(VALU_DEP_1)
	v_add_f64 v[32:33], v[29:30], v[27:28]
	v_mul_f64 v[34:35], v[32:33], s[16:17]
	v_add_f64 v[29:30], v[32:33], -v[29:30]
	s_delay_alu instid0(VALU_DEP_2) | instskip(NEXT) | instid1(VALU_DEP_2)
	v_fma_f64 v[38:39], v[32:33], s[16:17], -v[34:35]
	v_add_f64 v[27:28], v[27:28], -v[29:30]
	s_delay_alu instid0(VALU_DEP_2) | instskip(NEXT) | instid1(VALU_DEP_1)
	v_fma_f64 v[29:30], v[32:33], s[24:25], v[38:39]
	v_fma_f64 v[29:30], v[27:28], s[16:17], v[29:30]
	s_delay_alu instid0(VALU_DEP_1) | instskip(NEXT) | instid1(VALU_DEP_1)
	v_add_f64 v[27:28], v[34:35], v[29:30]
	v_add_f64 v[32:33], v[27:28], -v[34:35]
	s_delay_alu instid0(VALU_DEP_1)
	v_add_f64 v[29:30], v[29:30], -v[32:33]
	s_and_not1_saveexec_b32 s2, s3
	s_cbranch_execnz .LBB248_119
	s_branch .LBB248_120
.LBB248_118:                            ;   in Loop: Header=BB248_4 Depth=1
	s_and_not1_saveexec_b32 s2, s3
	s_cbranch_execz .LBB248_120
.LBB248_119:                            ;   in Loop: Header=BB248_4 Depth=1
	v_mul_f64 v[27:28], |v[11:12]|, s[26:27]
	s_mov_b32 s22, s28
	s_delay_alu instid0(VALU_DEP_1) | instskip(NEXT) | instid1(VALU_DEP_1)
	v_rndne_f64_e32 v[31:32], v[27:28]
	v_fma_f64 v[27:28], v[31:32], s[18:19], |v[11:12]|
	v_mul_f64 v[29:30], v[31:32], s[28:29]
	s_delay_alu instid0(VALU_DEP_2) | instskip(NEXT) | instid1(VALU_DEP_2)
	v_fma_f64 v[35:36], v[31:32], s[28:29], v[27:28]
	v_add_f64 v[33:34], v[27:28], v[29:30]
	s_delay_alu instid0(VALU_DEP_1) | instskip(NEXT) | instid1(VALU_DEP_3)
	v_add_f64 v[27:28], v[27:28], -v[33:34]
	v_add_f64 v[33:34], v[33:34], -v[35:36]
	s_delay_alu instid0(VALU_DEP_2) | instskip(SKIP_1) | instid1(VALU_DEP_2)
	v_add_f64 v[27:28], v[27:28], v[29:30]
	v_fma_f64 v[29:30], v[31:32], s[22:23], v[29:30]
	v_add_f64 v[27:28], v[33:34], v[27:28]
	s_delay_alu instid0(VALU_DEP_1) | instskip(NEXT) | instid1(VALU_DEP_1)
	v_add_f64 v[27:28], v[27:28], -v[29:30]
	v_fma_f64 v[29:30], v[31:32], s[30:31], v[27:28]
	v_cvt_i32_f64_e32 v31, v[31:32]
	s_delay_alu instid0(VALU_DEP_2) | instskip(NEXT) | instid1(VALU_DEP_1)
	v_add_f64 v[27:28], v[35:36], v[29:30]
	v_add_f64 v[33:34], v[27:28], -v[35:36]
	s_delay_alu instid0(VALU_DEP_1)
	v_add_f64 v[29:30], v[29:30], -v[33:34]
.LBB248_120:                            ;   in Loop: Header=BB248_4 Depth=1
	s_or_b32 exec_lo, exec_lo, s2
	s_mov_b32 s34, s36
	v_mul_f64 v[40:41], v[23:24], v[23:24]
	v_mul_f64 v[32:33], v[9:10], s[34:35]
	;; [unrolled: 1-line block ×3, first 2 shown]
	s_mov_b32 s83, s55
	s_mov_b32 s85, s57
	s_delay_alu instid0(VALU_DEP_4)
	v_mul_f64 v[60:61], v[25:26], 0.5
	v_mul_f64 v[66:67], v[29:30], 0.5
	s_mov_b32 s86, s56
	v_cmp_ngt_f64_e64 s3, 0xc0900000, v[9:10]
	v_cmp_nlt_f64_e64 s4, 0x4090cc00, v[9:10]
	v_cmp_class_f64_e64 s2, v[11:12], 0x1f8
	v_and_b32_e32 v11, 1, v31
	s_delay_alu instid0(VALU_DEP_1)
	v_cmp_eq_u32_e64 s5, 0, v11
	v_fma_f64 v[44:45], v[40:41], s[74:75], s[72:73]
	v_rndne_f64_e32 v[32:33], v[32:33]
	v_fma_f64 v[46:47], v[42:43], s[74:75], s[72:73]
	v_fma_f64 v[48:49], v[40:41], s[64:65], s[62:63]
	v_mul_f64 v[50:51], v[40:41], 0.5
	v_fma_f64 v[52:53], v[42:43], s[64:65], s[62:63]
	v_mul_f64 v[54:55], v[42:43], 0.5
	v_mul_f64 v[62:63], v[23:24], -v[40:41]
	v_mul_f64 v[68:69], v[27:28], -v[42:43]
	v_fma_f64 v[44:45], v[40:41], v[44:45], s[76:77]
	v_fma_f64 v[34:35], v[32:33], s[38:39], -v[9:10]
	v_fma_f64 v[46:47], v[42:43], v[46:47], s[76:77]
	v_fma_f64 v[48:49], v[40:41], v[48:49], s[66:67]
	v_add_f64 v[56:57], -v[50:51], 1.0
	v_fma_f64 v[52:53], v[42:43], v[52:53], s[66:67]
	v_add_f64 v[58:59], -v[54:55], 1.0
	v_cvt_i32_f64_e32 v18, v[32:33]
	v_lshlrev_b32_e32 v10, 30, v21
	v_lshlrev_b32_e32 v9, 30, v31
	s_delay_alu instid0(VALU_DEP_1)
	v_xor_b32_e32 v9, v9, v22
	v_fma_f64 v[44:45], v[40:41], v[44:45], s[78:79]
	v_fma_f64 v[34:35], v[32:33], s[40:41], v[34:35]
	;; [unrolled: 1-line block ×4, first 2 shown]
	v_add_f64 v[64:65], -v[56:57], 1.0
	v_fma_f64 v[52:53], v[42:43], v[52:53], s[68:69]
	v_add_f64 v[70:71], -v[58:59], 1.0
	v_fma_f64 v[44:45], v[40:41], v[44:45], s[54:55]
	v_fma_f64 v[38:39], v[34:35], s[44:45], s[42:43]
	v_fma_f64 v[46:47], v[42:43], v[46:47], s[54:55]
	v_fma_f64 v[48:49], v[40:41], v[48:49], s[70:71]
	v_add_f64 v[50:51], v[64:65], -v[50:51]
	v_fma_f64 v[52:53], v[42:43], v[52:53], s[70:71]
	v_add_f64 v[54:55], v[70:71], -v[54:55]
	v_fma_f64 v[44:45], v[62:63], v[44:45], v[60:61]
	v_fma_f64 v[38:39], v[34:35], v[38:39], s[46:47]
	;; [unrolled: 1-line block ×3, first 2 shown]
	v_mul_f64 v[60:61], v[40:41], v[40:41]
	v_fma_f64 v[48:49], v[40:41], v[48:49], s[56:57]
	v_fma_f64 v[50:51], v[23:24], -v[25:26], v[50:51]
	v_fma_f64 v[25:26], v[40:41], v[44:45], -v[25:26]
	v_fma_f64 v[38:39], v[34:35], v[38:39], s[48:49]
	v_mul_f64 v[40:41], v[42:43], v[42:43]
	v_fma_f64 v[44:45], v[42:43], v[52:53], s[56:57]
	v_fma_f64 v[52:53], v[27:28], -v[29:30], v[54:55]
	v_fma_f64 v[29:30], v[42:43], v[46:47], -v[29:30]
	v_fma_f64 v[42:43], v[60:61], v[48:49], v[50:51]
	v_fma_f64 v[25:26], v[62:63], s[86:87], v[25:26]
	;; [unrolled: 1-line block ×3, first 2 shown]
	s_delay_alu instid0(VALU_DEP_4) | instskip(NEXT) | instid1(VALU_DEP_3)
	v_fma_f64 v[29:30], v[68:69], s[86:87], v[29:30]
	v_add_f64 v[23:24], v[23:24], -v[25:26]
	s_delay_alu instid0(VALU_DEP_3) | instskip(NEXT) | instid1(VALU_DEP_3)
	v_fma_f64 v[38:39], v[34:35], v[38:39], s[52:53]
	v_add_f64 v[27:28], v[27:28], -v[29:30]
	s_delay_alu instid0(VALU_DEP_2) | instskip(NEXT) | instid1(VALU_DEP_1)
	v_fma_f64 v[38:39], v[34:35], v[38:39], s[82:83]
	v_fma_f64 v[38:39], v[34:35], v[38:39], s[84:85]
	s_delay_alu instid0(VALU_DEP_1) | instskip(NEXT) | instid1(VALU_DEP_1)
	v_fma_f64 v[38:39], v[34:35], v[38:39], s[58:59]
	v_fma_f64 v[38:39], v[34:35], v[38:39], s[60:61]
	s_delay_alu instid0(VALU_DEP_1) | instskip(NEXT) | instid1(VALU_DEP_1)
	v_fma_f64 v[38:39], v[34:35], v[38:39], 1.0
	v_fma_f64 v[32:33], v[34:35], v[38:39], 1.0
	v_fma_f64 v[34:35], v[40:41], v[44:45], v[52:53]
	v_add_f64 v[38:39], v[56:57], v[42:43]
	s_delay_alu instid0(VALU_DEP_3) | instskip(NEXT) | instid1(VALU_DEP_3)
	v_ldexp_f64 v[25:26], v[32:33], v18
	v_add_f64 v[32:33], v[58:59], v[34:35]
	v_and_b32_e32 v18, 1, v21
	v_xor_b32_e32 v21, 0x80000000, v24
	s_delay_alu instid0(VALU_DEP_2) | instskip(NEXT) | instid1(VALU_DEP_2)
	v_cmp_eq_u32_e32 vcc_lo, 0, v18
	v_dual_cndmask_b32 v11, v21, v39 :: v_dual_cndmask_b32 v18, v23, v38
	s_and_b32 vcc_lo, s4, s3
	v_and_b32_e32 v10, 0x80000000, v10
	v_and_b32_e32 v21, 0x80000000, v9
	s_delay_alu instid0(VALU_DEP_3) | instskip(SKIP_3) | instid1(VALU_DEP_2)
	v_cndmask_b32_e64 v9, 0, v18, s2
	v_cndmask_b32_e64 v12, 0x7ff00000, v26, s3
	v_cndmask_b32_e64 v23, v33, v28, s5
	v_cndmask_b32_e64 v22, v32, v27, s5
	v_xor_b32_e32 v18, v23, v21
	v_cndmask_b32_e32 v21, 0, v25, vcc_lo
	v_xor_b32_e32 v10, v11, v10
	s_delay_alu instid0(VALU_DEP_4) | instskip(SKIP_2) | instid1(VALU_DEP_4)
	v_cndmask_b32_e64 v11, 0, v22, s2
	v_cndmask_b32_e64 v22, 0, v12, s4
	;; [unrolled: 1-line block ×4, first 2 shown]
	s_delay_alu instid0(VALU_DEP_1) | instskip(NEXT) | instid1(VALU_DEP_3)
	v_mul_f64 v[23:24], v[21:22], v[9:10]
	v_mul_f64 v[21:22], v[21:22], v[11:12]
                                        ; implicit-def: $vgpr11_vgpr12
.LBB248_121:                            ;   in Loop: Header=BB248_4 Depth=1
	s_and_not1_saveexec_b32 s34, s99
	s_cbranch_execz .LBB248_131
; %bb.122:                              ;   in Loop: Header=BB248_4 Depth=1
	v_cmp_ngt_f64_e64 s3, 0x41d00000, |v[11:12]|
                                        ; implicit-def: $vgpr21
                                        ; implicit-def: $vgpr23_vgpr24
                                        ; implicit-def: $vgpr25_vgpr26
	s_delay_alu instid0(VALU_DEP_1) | instskip(NEXT) | instid1(SALU_CYCLE_1)
	s_and_saveexec_b32 s2, s3
	s_xor_b32 s4, exec_lo, s2
	s_cbranch_execz .LBB248_124
; %bb.123:                              ;   in Loop: Header=BB248_4 Depth=1
	v_ldexp_f64 v[23:24], |v[11:12]|, 0xffffff80
	v_cmp_le_f64_e64 vcc_lo, 0x7b000000, |v[11:12]|
	v_trig_preop_f64 v[25:26], |v[11:12]|, 0
	v_and_b32_e32 v18, 0x7fffffff, v12
	v_trig_preop_f64 v[27:28], |v[11:12]|, 1
	v_trig_preop_f64 v[38:39], |v[11:12]|, 2
	s_mov_b32 s16, s18
	s_mov_b32 s25, s23
	v_dual_cndmask_b32 v23, v11, v23 :: v_dual_cndmask_b32 v24, v18, v24
	s_delay_alu instid0(VALU_DEP_1) | instskip(NEXT) | instid1(VALU_DEP_4)
	v_mul_f64 v[29:30], v[25:26], v[23:24]
	v_mul_f64 v[31:32], v[27:28], v[23:24]
	s_delay_alu instid0(VALU_DEP_2) | instskip(NEXT) | instid1(VALU_DEP_2)
	v_fma_f64 v[25:26], v[25:26], v[23:24], -v[29:30]
	v_fma_f64 v[27:28], v[27:28], v[23:24], -v[31:32]
	s_delay_alu instid0(VALU_DEP_2) | instskip(NEXT) | instid1(VALU_DEP_1)
	v_add_f64 v[33:34], v[31:32], v[25:26]
	v_add_f64 v[35:36], v[33:34], -v[31:32]
	v_add_f64 v[42:43], v[29:30], v[33:34]
	s_delay_alu instid0(VALU_DEP_2) | instskip(SKIP_1) | instid1(VALU_DEP_3)
	v_add_f64 v[40:41], v[33:34], -v[35:36]
	v_add_f64 v[25:26], v[25:26], -v[35:36]
	v_ldexp_f64 v[35:36], v[42:43], -2
	v_add_f64 v[29:30], v[42:43], -v[29:30]
	s_delay_alu instid0(VALU_DEP_4) | instskip(NEXT) | instid1(VALU_DEP_3)
	v_add_f64 v[31:32], v[31:32], -v[40:41]
	v_cmp_neq_f64_e64 vcc_lo, 0x7ff00000, |v[35:36]|
	s_delay_alu instid0(VALU_DEP_3) | instskip(NEXT) | instid1(VALU_DEP_3)
	v_add_f64 v[29:30], v[33:34], -v[29:30]
	v_add_f64 v[25:26], v[25:26], v[31:32]
	v_fract_f64_e32 v[31:32], v[35:36]
	s_delay_alu instid0(VALU_DEP_1) | instskip(SKIP_1) | instid1(VALU_DEP_3)
	v_cndmask_b32_e32 v31, 0, v31, vcc_lo
	v_mul_f64 v[44:45], v[38:39], v[23:24]
	v_cndmask_b32_e32 v32, 0, v32, vcc_lo
	s_delay_alu instid0(VALU_DEP_1) | instskip(NEXT) | instid1(VALU_DEP_3)
	v_ldexp_f64 v[31:32], v[31:32], 2
	v_add_f64 v[40:41], v[44:45], v[27:28]
	v_fma_f64 v[23:24], v[38:39], v[23:24], -v[44:45]
	s_delay_alu instid0(VALU_DEP_2) | instskip(NEXT) | instid1(VALU_DEP_1)
	v_add_f64 v[33:34], v[40:41], v[25:26]
	v_add_f64 v[35:36], v[29:30], v[33:34]
	v_add_f64 v[46:47], v[33:34], -v[40:41]
	s_delay_alu instid0(VALU_DEP_2) | instskip(NEXT) | instid1(VALU_DEP_2)
	v_add_f64 v[42:43], v[35:36], v[31:32]
	v_add_f64 v[52:53], v[33:34], -v[46:47]
	v_add_f64 v[25:26], v[25:26], -v[46:47]
	;; [unrolled: 1-line block ×3, first 2 shown]
	s_delay_alu instid0(VALU_DEP_4) | instskip(SKIP_1) | instid1(VALU_DEP_3)
	v_cmp_gt_f64_e32 vcc_lo, 0, v[42:43]
	v_add_f64 v[42:43], v[40:41], -v[44:45]
	v_add_f64 v[29:30], v[33:34], -v[29:30]
	v_cndmask_b32_e64 v18, 0, 0x40100000, vcc_lo
	s_delay_alu instid0(VALU_DEP_3) | instskip(SKIP_2) | instid1(VALU_DEP_4)
	v_add_f64 v[50:51], v[40:41], -v[42:43]
	v_add_f64 v[27:28], v[27:28], -v[42:43]
	;; [unrolled: 1-line block ×3, first 2 shown]
	v_add_f64 v[31:32], v[31:32], v[17:18]
	s_delay_alu instid0(VALU_DEP_4) | instskip(NEXT) | instid1(VALU_DEP_3)
	v_add_f64 v[42:43], v[44:45], -v[50:51]
	v_add_f64 v[25:26], v[25:26], v[40:41]
	s_delay_alu instid0(VALU_DEP_3) | instskip(NEXT) | instid1(VALU_DEP_3)
	v_add_f64 v[48:49], v[35:36], v[31:32]
	v_add_f64 v[27:28], v[27:28], v[42:43]
	s_delay_alu instid0(VALU_DEP_2) | instskip(NEXT) | instid1(VALU_DEP_2)
	v_cvt_i32_f64_e32 v18, v[48:49]
	v_add_f64 v[25:26], v[27:28], v[25:26]
	s_delay_alu instid0(VALU_DEP_2) | instskip(NEXT) | instid1(VALU_DEP_2)
	v_cvt_f64_i32_e32 v[46:47], v18
	v_add_f64 v[23:24], v[23:24], v[25:26]
	s_delay_alu instid0(VALU_DEP_2) | instskip(NEXT) | instid1(VALU_DEP_2)
	v_add_f64 v[31:32], v[31:32], -v[46:47]
	v_add_f64 v[23:24], v[29:30], v[23:24]
	s_delay_alu instid0(VALU_DEP_2) | instskip(NEXT) | instid1(VALU_DEP_1)
	v_add_f64 v[27:28], v[35:36], v[31:32]
	v_add_f64 v[25:26], v[27:28], -v[31:32]
	v_cmp_le_f64_e32 vcc_lo, 0.5, v[27:28]
	s_delay_alu instid0(VALU_DEP_2) | instskip(SKIP_2) | instid1(VALU_DEP_3)
	v_add_f64 v[25:26], v[35:36], -v[25:26]
	v_add_co_ci_u32_e64 v21, s2, 0, v18, vcc_lo
	v_cndmask_b32_e64 v18, 0, 0x3ff00000, vcc_lo
	v_add_f64 v[23:24], v[23:24], v[25:26]
	s_delay_alu instid0(VALU_DEP_2) | instskip(NEXT) | instid1(VALU_DEP_1)
	v_add_f64 v[25:26], v[27:28], -v[17:18]
	v_add_f64 v[27:28], v[25:26], v[23:24]
	s_delay_alu instid0(VALU_DEP_1) | instskip(SKIP_1) | instid1(VALU_DEP_2)
	v_mul_f64 v[29:30], v[27:28], s[16:17]
	v_add_f64 v[25:26], v[27:28], -v[25:26]
	v_fma_f64 v[31:32], v[27:28], s[16:17], -v[29:30]
	s_delay_alu instid0(VALU_DEP_2) | instskip(NEXT) | instid1(VALU_DEP_2)
	v_add_f64 v[23:24], v[23:24], -v[25:26]
	v_fma_f64 v[25:26], v[27:28], s[24:25], v[31:32]
	s_delay_alu instid0(VALU_DEP_1) | instskip(NEXT) | instid1(VALU_DEP_1)
	v_fma_f64 v[25:26], v[23:24], s[16:17], v[25:26]
	v_add_f64 v[23:24], v[29:30], v[25:26]
	s_delay_alu instid0(VALU_DEP_1) | instskip(NEXT) | instid1(VALU_DEP_1)
	v_add_f64 v[27:28], v[23:24], -v[29:30]
	v_add_f64 v[25:26], v[25:26], -v[27:28]
	s_and_not1_saveexec_b32 s2, s4
	s_cbranch_execz .LBB248_126
	s_branch .LBB248_125
.LBB248_124:                            ;   in Loop: Header=BB248_4 Depth=1
	s_and_not1_saveexec_b32 s2, s4
	s_cbranch_execz .LBB248_126
.LBB248_125:                            ;   in Loop: Header=BB248_4 Depth=1
	v_mul_f64 v[23:24], |v[11:12]|, s[26:27]
	s_mov_b32 s22, s28
	s_delay_alu instid0(VALU_DEP_1) | instskip(NEXT) | instid1(VALU_DEP_1)
	v_rndne_f64_e32 v[27:28], v[23:24]
	v_fma_f64 v[23:24], v[27:28], s[18:19], |v[11:12]|
	v_mul_f64 v[25:26], v[27:28], s[28:29]
	v_cvt_i32_f64_e32 v21, v[27:28]
	s_delay_alu instid0(VALU_DEP_3) | instskip(NEXT) | instid1(VALU_DEP_3)
	v_fma_f64 v[31:32], v[27:28], s[28:29], v[23:24]
	v_add_f64 v[29:30], v[23:24], v[25:26]
	s_delay_alu instid0(VALU_DEP_1) | instskip(NEXT) | instid1(VALU_DEP_3)
	v_add_f64 v[23:24], v[23:24], -v[29:30]
	v_add_f64 v[29:30], v[29:30], -v[31:32]
	s_delay_alu instid0(VALU_DEP_2) | instskip(SKIP_1) | instid1(VALU_DEP_2)
	v_add_f64 v[23:24], v[23:24], v[25:26]
	v_fma_f64 v[25:26], v[27:28], s[22:23], v[25:26]
	v_add_f64 v[23:24], v[29:30], v[23:24]
	s_delay_alu instid0(VALU_DEP_1) | instskip(NEXT) | instid1(VALU_DEP_1)
	v_add_f64 v[23:24], v[23:24], -v[25:26]
	v_fma_f64 v[25:26], v[27:28], s[30:31], v[23:24]
	s_delay_alu instid0(VALU_DEP_1) | instskip(NEXT) | instid1(VALU_DEP_1)
	v_add_f64 v[23:24], v[31:32], v[25:26]
	v_add_f64 v[29:30], v[23:24], -v[31:32]
	s_delay_alu instid0(VALU_DEP_1)
	v_add_f64 v[25:26], v[25:26], -v[29:30]
.LBB248_126:                            ;   in Loop: Header=BB248_4 Depth=1
	s_or_b32 exec_lo, exec_lo, s2
                                        ; implicit-def: $vgpr31
                                        ; implicit-def: $vgpr27_vgpr28
                                        ; implicit-def: $vgpr29_vgpr30
	s_and_saveexec_b32 s2, s3
	s_delay_alu instid0(SALU_CYCLE_1)
	s_xor_b32 s3, exec_lo, s2
	s_cbranch_execz .LBB248_128
; %bb.127:                              ;   in Loop: Header=BB248_4 Depth=1
	v_ldexp_f64 v[27:28], |v[11:12]|, 0xffffff80
	v_cmp_le_f64_e64 vcc_lo, 0x7b000000, |v[11:12]|
	v_trig_preop_f64 v[29:30], |v[11:12]|, 0
	v_and_b32_e32 v18, 0x7fffffff, v12
	v_trig_preop_f64 v[31:32], |v[11:12]|, 1
	v_trig_preop_f64 v[42:43], |v[11:12]|, 2
	s_mov_b32 s16, s18
	s_mov_b32 s25, s23
	v_dual_cndmask_b32 v27, v11, v27 :: v_dual_cndmask_b32 v28, v18, v28
	s_delay_alu instid0(VALU_DEP_1) | instskip(NEXT) | instid1(VALU_DEP_4)
	v_mul_f64 v[33:34], v[29:30], v[27:28]
	v_mul_f64 v[35:36], v[31:32], v[27:28]
	s_delay_alu instid0(VALU_DEP_2) | instskip(NEXT) | instid1(VALU_DEP_2)
	v_fma_f64 v[29:30], v[29:30], v[27:28], -v[33:34]
	v_fma_f64 v[31:32], v[31:32], v[27:28], -v[35:36]
	s_delay_alu instid0(VALU_DEP_2) | instskip(NEXT) | instid1(VALU_DEP_1)
	v_add_f64 v[38:39], v[35:36], v[29:30]
	v_add_f64 v[40:41], v[38:39], -v[35:36]
	v_add_f64 v[46:47], v[33:34], v[38:39]
	s_delay_alu instid0(VALU_DEP_2) | instskip(SKIP_1) | instid1(VALU_DEP_3)
	v_add_f64 v[44:45], v[38:39], -v[40:41]
	v_add_f64 v[29:30], v[29:30], -v[40:41]
	v_ldexp_f64 v[40:41], v[46:47], -2
	v_add_f64 v[33:34], v[46:47], -v[33:34]
	s_delay_alu instid0(VALU_DEP_4) | instskip(NEXT) | instid1(VALU_DEP_3)
	v_add_f64 v[35:36], v[35:36], -v[44:45]
	v_cmp_neq_f64_e64 vcc_lo, 0x7ff00000, |v[40:41]|
	s_delay_alu instid0(VALU_DEP_3) | instskip(NEXT) | instid1(VALU_DEP_3)
	v_add_f64 v[33:34], v[38:39], -v[33:34]
	v_add_f64 v[29:30], v[29:30], v[35:36]
	v_fract_f64_e32 v[35:36], v[40:41]
	s_delay_alu instid0(VALU_DEP_1) | instskip(SKIP_1) | instid1(VALU_DEP_3)
	v_cndmask_b32_e32 v35, 0, v35, vcc_lo
	v_mul_f64 v[48:49], v[42:43], v[27:28]
	v_cndmask_b32_e32 v36, 0, v36, vcc_lo
	s_delay_alu instid0(VALU_DEP_1) | instskip(NEXT) | instid1(VALU_DEP_3)
	v_ldexp_f64 v[35:36], v[35:36], 2
	v_add_f64 v[44:45], v[48:49], v[31:32]
	v_fma_f64 v[27:28], v[42:43], v[27:28], -v[48:49]
	s_delay_alu instid0(VALU_DEP_2) | instskip(NEXT) | instid1(VALU_DEP_1)
	v_add_f64 v[38:39], v[44:45], v[29:30]
	v_add_f64 v[40:41], v[33:34], v[38:39]
	v_add_f64 v[50:51], v[38:39], -v[44:45]
	s_delay_alu instid0(VALU_DEP_2) | instskip(NEXT) | instid1(VALU_DEP_2)
	v_add_f64 v[46:47], v[40:41], v[35:36]
	v_add_f64 v[56:57], v[38:39], -v[50:51]
	v_add_f64 v[29:30], v[29:30], -v[50:51]
	;; [unrolled: 1-line block ×3, first 2 shown]
	s_delay_alu instid0(VALU_DEP_4) | instskip(SKIP_2) | instid1(VALU_DEP_2)
	v_cmp_gt_f64_e32 vcc_lo, 0, v[46:47]
	v_add_f64 v[46:47], v[44:45], -v[48:49]
	v_cndmask_b32_e64 v18, 0, 0x40100000, vcc_lo
	v_add_f64 v[54:55], v[44:45], -v[46:47]
	v_add_f64 v[31:32], v[31:32], -v[46:47]
	;; [unrolled: 1-line block ×3, first 2 shown]
	s_delay_alu instid0(VALU_DEP_4) | instskip(NEXT) | instid1(VALU_DEP_4)
	v_add_f64 v[35:36], v[35:36], v[17:18]
	v_add_f64 v[46:47], v[48:49], -v[54:55]
	s_delay_alu instid0(VALU_DEP_3) | instskip(NEXT) | instid1(VALU_DEP_3)
	v_add_f64 v[29:30], v[29:30], v[44:45]
	v_add_f64 v[52:53], v[40:41], v[35:36]
	s_delay_alu instid0(VALU_DEP_3) | instskip(NEXT) | instid1(VALU_DEP_2)
	v_add_f64 v[31:32], v[31:32], v[46:47]
	v_cvt_i32_f64_e32 v18, v[52:53]
	s_delay_alu instid0(VALU_DEP_2) | instskip(SKIP_1) | instid1(VALU_DEP_3)
	v_add_f64 v[29:30], v[31:32], v[29:30]
	v_add_f64 v[31:32], v[38:39], -v[33:34]
	v_cvt_f64_i32_e32 v[50:51], v18
	s_delay_alu instid0(VALU_DEP_3) | instskip(NEXT) | instid1(VALU_DEP_2)
	v_add_f64 v[27:28], v[27:28], v[29:30]
	v_add_f64 v[35:36], v[35:36], -v[50:51]
	s_delay_alu instid0(VALU_DEP_2) | instskip(NEXT) | instid1(VALU_DEP_2)
	v_add_f64 v[27:28], v[31:32], v[27:28]
	v_add_f64 v[42:43], v[40:41], v[35:36]
	s_delay_alu instid0(VALU_DEP_1) | instskip(SKIP_1) | instid1(VALU_DEP_2)
	v_add_f64 v[29:30], v[42:43], -v[35:36]
	v_cmp_le_f64_e32 vcc_lo, 0.5, v[42:43]
	v_add_f64 v[29:30], v[40:41], -v[29:30]
	v_add_co_ci_u32_e64 v31, s2, 0, v18, vcc_lo
	v_cndmask_b32_e64 v18, 0, 0x3ff00000, vcc_lo
	s_delay_alu instid0(VALU_DEP_3) | instskip(NEXT) | instid1(VALU_DEP_2)
	v_add_f64 v[27:28], v[27:28], v[29:30]
	v_add_f64 v[29:30], v[42:43], -v[17:18]
	s_delay_alu instid0(VALU_DEP_1) | instskip(NEXT) | instid1(VALU_DEP_1)
	v_add_f64 v[32:33], v[29:30], v[27:28]
	v_mul_f64 v[34:35], v[32:33], s[16:17]
	v_add_f64 v[29:30], v[32:33], -v[29:30]
	s_delay_alu instid0(VALU_DEP_2) | instskip(NEXT) | instid1(VALU_DEP_2)
	v_fma_f64 v[38:39], v[32:33], s[16:17], -v[34:35]
	v_add_f64 v[27:28], v[27:28], -v[29:30]
	s_delay_alu instid0(VALU_DEP_2) | instskip(NEXT) | instid1(VALU_DEP_1)
	v_fma_f64 v[29:30], v[32:33], s[24:25], v[38:39]
	v_fma_f64 v[29:30], v[27:28], s[16:17], v[29:30]
	s_delay_alu instid0(VALU_DEP_1) | instskip(NEXT) | instid1(VALU_DEP_1)
	v_add_f64 v[27:28], v[34:35], v[29:30]
	v_add_f64 v[32:33], v[27:28], -v[34:35]
	s_delay_alu instid0(VALU_DEP_1)
	v_add_f64 v[29:30], v[29:30], -v[32:33]
	s_and_not1_saveexec_b32 s2, s3
	s_cbranch_execnz .LBB248_129
	s_branch .LBB248_130
.LBB248_128:                            ;   in Loop: Header=BB248_4 Depth=1
	s_and_not1_saveexec_b32 s2, s3
	s_cbranch_execz .LBB248_130
.LBB248_129:                            ;   in Loop: Header=BB248_4 Depth=1
	v_mul_f64 v[27:28], |v[11:12]|, s[26:27]
	s_mov_b32 s22, s28
	s_delay_alu instid0(VALU_DEP_1) | instskip(NEXT) | instid1(VALU_DEP_1)
	v_rndne_f64_e32 v[31:32], v[27:28]
	v_fma_f64 v[27:28], v[31:32], s[18:19], |v[11:12]|
	v_mul_f64 v[29:30], v[31:32], s[28:29]
	s_delay_alu instid0(VALU_DEP_2) | instskip(NEXT) | instid1(VALU_DEP_2)
	v_fma_f64 v[35:36], v[31:32], s[28:29], v[27:28]
	v_add_f64 v[33:34], v[27:28], v[29:30]
	s_delay_alu instid0(VALU_DEP_1) | instskip(NEXT) | instid1(VALU_DEP_3)
	v_add_f64 v[27:28], v[27:28], -v[33:34]
	v_add_f64 v[33:34], v[33:34], -v[35:36]
	s_delay_alu instid0(VALU_DEP_2) | instskip(SKIP_1) | instid1(VALU_DEP_2)
	v_add_f64 v[27:28], v[27:28], v[29:30]
	v_fma_f64 v[29:30], v[31:32], s[22:23], v[29:30]
	v_add_f64 v[27:28], v[33:34], v[27:28]
	s_delay_alu instid0(VALU_DEP_1) | instskip(NEXT) | instid1(VALU_DEP_1)
	v_add_f64 v[27:28], v[27:28], -v[29:30]
	v_fma_f64 v[29:30], v[31:32], s[30:31], v[27:28]
	v_cvt_i32_f64_e32 v31, v[31:32]
	s_delay_alu instid0(VALU_DEP_2) | instskip(NEXT) | instid1(VALU_DEP_1)
	v_add_f64 v[27:28], v[35:36], v[29:30]
	v_add_f64 v[33:34], v[27:28], -v[35:36]
	s_delay_alu instid0(VALU_DEP_1)
	v_add_f64 v[29:30], v[29:30], -v[33:34]
.LBB248_130:                            ;   in Loop: Header=BB248_4 Depth=1
	s_or_b32 exec_lo, exec_lo, s2
	v_add_f64 v[9:10], -v[9:10], s[80:81]
	s_delay_alu instid0(VALU_DEP_4) | instskip(SKIP_3) | instid1(VALU_DEP_4)
	v_mul_f64 v[40:41], v[23:24], v[23:24]
	v_mul_f64 v[42:43], v[27:28], v[27:28]
	s_mov_b32 s83, s55
	s_mov_b32 s85, s57
	v_mul_f64 v[60:61], v[25:26], 0.5
	v_mul_f64 v[66:67], v[29:30], 0.5
	s_mov_b32 s86, s56
	v_cmp_class_f64_e64 s2, v[11:12], 0x1f8
	v_mul_f64 v[32:33], v[9:10], s[36:37]
	v_fma_f64 v[44:45], v[40:41], s[74:75], s[72:73]
	v_fma_f64 v[46:47], v[42:43], s[74:75], s[72:73]
	;; [unrolled: 1-line block ×3, first 2 shown]
	v_mul_f64 v[50:51], v[40:41], 0.5
	v_fma_f64 v[52:53], v[42:43], s[64:65], s[62:63]
	v_mul_f64 v[54:55], v[42:43], 0.5
	v_mul_f64 v[62:63], v[23:24], -v[40:41]
	v_mul_f64 v[68:69], v[27:28], -v[42:43]
	v_cmp_nlt_f64_e64 s3, 0x40900000, v[9:10]
	v_cmp_ngt_f64_e64 s4, 0xc090cc00, v[9:10]
	v_rndne_f64_e32 v[32:33], v[32:33]
	v_fma_f64 v[44:45], v[40:41], v[44:45], s[76:77]
	v_fma_f64 v[46:47], v[42:43], v[46:47], s[76:77]
	;; [unrolled: 1-line block ×3, first 2 shown]
	v_add_f64 v[56:57], -v[50:51], 1.0
	v_fma_f64 v[52:53], v[42:43], v[52:53], s[66:67]
	v_add_f64 v[58:59], -v[54:55], 1.0
	v_fma_f64 v[34:35], v[32:33], s[38:39], v[9:10]
	v_fma_f64 v[44:45], v[40:41], v[44:45], s[78:79]
	;; [unrolled: 1-line block ×4, first 2 shown]
	v_add_f64 v[64:65], -v[56:57], 1.0
	v_fma_f64 v[52:53], v[42:43], v[52:53], s[68:69]
	v_add_f64 v[70:71], -v[58:59], 1.0
	v_cvt_i32_f64_e32 v18, v[32:33]
	v_lshlrev_b32_e32 v10, 30, v21
	v_lshlrev_b32_e32 v9, 30, v31
	s_delay_alu instid0(VALU_DEP_2) | instskip(NEXT) | instid1(VALU_DEP_2)
	v_and_b32_e32 v10, 0x80000000, v10
	v_xor_b32_e32 v9, v9, v22
	v_fma_f64 v[34:35], v[32:33], s[40:41], v[34:35]
	v_fma_f64 v[44:45], v[40:41], v[44:45], s[54:55]
	;; [unrolled: 1-line block ×4, first 2 shown]
	v_add_f64 v[50:51], v[64:65], -v[50:51]
	v_fma_f64 v[52:53], v[42:43], v[52:53], s[70:71]
	v_add_f64 v[54:55], v[70:71], -v[54:55]
	v_fma_f64 v[38:39], v[34:35], s[44:45], s[42:43]
	v_fma_f64 v[44:45], v[62:63], v[44:45], v[60:61]
	;; [unrolled: 1-line block ×3, first 2 shown]
	v_mul_f64 v[60:61], v[40:41], v[40:41]
	v_fma_f64 v[48:49], v[40:41], v[48:49], s[56:57]
	v_fma_f64 v[50:51], v[23:24], -v[25:26], v[50:51]
	v_fma_f64 v[38:39], v[34:35], v[38:39], s[46:47]
	v_fma_f64 v[25:26], v[40:41], v[44:45], -v[25:26]
	v_mul_f64 v[40:41], v[42:43], v[42:43]
	v_fma_f64 v[44:45], v[42:43], v[52:53], s[56:57]
	v_fma_f64 v[52:53], v[27:28], -v[29:30], v[54:55]
	v_fma_f64 v[29:30], v[42:43], v[46:47], -v[29:30]
	v_fma_f64 v[42:43], v[60:61], v[48:49], v[50:51]
	v_fma_f64 v[38:39], v[34:35], v[38:39], s[48:49]
	;; [unrolled: 1-line block ×3, first 2 shown]
	s_delay_alu instid0(VALU_DEP_4) | instskip(NEXT) | instid1(VALU_DEP_3)
	v_fma_f64 v[29:30], v[68:69], s[86:87], v[29:30]
	v_fma_f64 v[38:39], v[34:35], v[38:39], s[50:51]
	s_delay_alu instid0(VALU_DEP_3) | instskip(NEXT) | instid1(VALU_DEP_3)
	v_add_f64 v[23:24], v[23:24], -v[25:26]
	v_add_f64 v[27:28], v[27:28], -v[29:30]
	s_delay_alu instid0(VALU_DEP_3) | instskip(NEXT) | instid1(VALU_DEP_1)
	v_fma_f64 v[38:39], v[34:35], v[38:39], s[52:53]
	v_fma_f64 v[38:39], v[34:35], v[38:39], s[82:83]
	s_delay_alu instid0(VALU_DEP_1) | instskip(NEXT) | instid1(VALU_DEP_1)
	v_fma_f64 v[38:39], v[34:35], v[38:39], s[84:85]
	v_fma_f64 v[38:39], v[34:35], v[38:39], s[58:59]
	s_delay_alu instid0(VALU_DEP_1) | instskip(NEXT) | instid1(VALU_DEP_1)
	v_fma_f64 v[38:39], v[34:35], v[38:39], s[60:61]
	v_fma_f64 v[38:39], v[34:35], v[38:39], 1.0
	s_delay_alu instid0(VALU_DEP_1) | instskip(SKIP_2) | instid1(VALU_DEP_3)
	v_fma_f64 v[32:33], v[34:35], v[38:39], 1.0
	v_fma_f64 v[34:35], v[40:41], v[44:45], v[52:53]
	v_add_f64 v[38:39], v[56:57], v[42:43]
	v_ldexp_f64 v[25:26], v[32:33], v18
	s_delay_alu instid0(VALU_DEP_3) | instskip(SKIP_3) | instid1(VALU_DEP_3)
	v_add_f64 v[32:33], v[58:59], v[34:35]
	v_and_b32_e32 v18, 1, v21
	v_and_b32_e32 v12, 1, v31
	v_xor_b32_e32 v21, 0x80000000, v24
	v_cmp_eq_u32_e32 vcc_lo, 0, v18
	s_delay_alu instid0(VALU_DEP_3) | instskip(SKIP_1) | instid1(VALU_DEP_4)
	v_cmp_eq_u32_e64 s5, 0, v12
	v_cndmask_b32_e32 v18, v23, v38, vcc_lo
	v_dual_cndmask_b32 v12, v21, v39 :: v_dual_and_b32 v21, 0x80000000, v9
	s_and_b32 vcc_lo, s4, s3
	s_delay_alu instid0(VALU_DEP_2) | instskip(NEXT) | instid1(VALU_DEP_2)
	v_cndmask_b32_e64 v9, 0, v18, s2
	v_xor_b32_e32 v10, v12, v10
	s_delay_alu instid0(VALU_DEP_1) | instskip(SKIP_3) | instid1(VALU_DEP_3)
	v_cndmask_b32_e64 v10, 0x7ff80000, v10, s2
	v_cndmask_b32_e64 v11, 0x7ff00000, v26, s3
	;; [unrolled: 1-line block ×5, first 2 shown]
	s_delay_alu instid0(VALU_DEP_3) | instskip(NEXT) | instid1(VALU_DEP_3)
	v_xor_b32_e32 v12, v23, v21
	v_cndmask_b32_e64 v11, 0, v22, s2
	v_cndmask_b32_e32 v21, 0, v25, vcc_lo
	s_delay_alu instid0(VALU_DEP_4) | instskip(NEXT) | instid1(VALU_DEP_4)
	v_and_or_b32 v22, v24, s95, 0x7fe00000
	v_cndmask_b32_e64 v12, 0x7ff80000, v12, s2
	v_lshrrev_b32_e32 v18, 20, v24
	s_delay_alu instid0(VALU_DEP_3) | instskip(NEXT) | instid1(VALU_DEP_3)
	v_mul_f64 v[9:10], v[21:22], v[9:10]
	v_mul_f64 v[11:12], v[21:22], v[11:12]
	s_delay_alu instid0(VALU_DEP_3) | instskip(NEXT) | instid1(VALU_DEP_1)
	v_add_nc_u32_e32 v21, 0xffffff09, v18
	v_lshrrev_b16 v18, 15, v21
	s_delay_alu instid0(VALU_DEP_1) | instskip(NEXT) | instid1(VALU_DEP_1)
	v_add_nc_u16 v18, v21, v18
	v_ashrrev_i16 v18, 1, v18
	s_delay_alu instid0(VALU_DEP_1) | instskip(NEXT) | instid1(VALU_DEP_1)
	v_bfe_i32 v22, v18, 0, 16
	v_lshl_add_u32 v18, v22, 20, 0x3ff00000
	s_delay_alu instid0(VALU_DEP_1) | instskip(SKIP_3) | instid1(VALU_DEP_2)
	v_mul_f64 v[9:10], v[9:10], v[17:18]
	v_mul_f64 v[11:12], v[11:12], v[17:18]
	v_sub_nc_u32_e32 v18, v21, v22
	v_mov_b32_e32 v21, v17
	v_lshl_add_u32 v22, v18, 20, 0x3ff00000
	s_delay_alu instid0(VALU_DEP_1)
	v_mul_f64 v[23:24], v[9:10], v[21:22]
	v_mul_f64 v[21:22], v[11:12], v[21:22]
.LBB248_131:                            ;   in Loop: Header=BB248_4 Depth=1
	s_or_b32 exec_lo, exec_lo, s34
                                        ; implicit-def: $vgpr25_vgpr26
                                        ; implicit-def: $vgpr9_vgpr10
                                        ; implicit-def: $vgpr18
.LBB248_132:                            ;   in Loop: Header=BB248_4 Depth=1
	s_and_not1_saveexec_b32 s3, s98
	s_cbranch_execz .LBB248_138
; %bb.133:                              ;   in Loop: Header=BB248_4 Depth=1
	v_add_f64 v[21:22], v[11:12], -v[11:12]
	v_cmp_ne_u32_e32 vcc_lo, 0, v25
	v_cmp_ne_u32_e64 s2, 0x7ff00000, v18
	s_delay_alu instid0(VALU_DEP_1) | instskip(NEXT) | instid1(SALU_CYCLE_1)
	s_or_b32 s2, vcc_lo, s2
	s_and_saveexec_b32 s4, s2
	s_delay_alu instid0(SALU_CYCLE_1)
	s_xor_b32 s2, exec_lo, s4
; %bb.134:                              ;   in Loop: Header=BB248_4 Depth=1
                                        ; implicit-def: $vgpr25_vgpr26
                                        ; implicit-def: $vgpr9_vgpr10
; %bb.135:                              ;   in Loop: Header=BB248_4 Depth=1
	s_delay_alu instid0(SALU_CYCLE_1) | instskip(NEXT) | instid1(VALU_DEP_3)
	s_or_saveexec_b32 s2, s2
	v_dual_mov_b32 v24, v22 :: v_dual_mov_b32 v23, v21
	s_xor_b32 exec_lo, exec_lo, s2
; %bb.136:                              ;   in Loop: Header=BB248_4 Depth=1
	v_cmp_lt_i64_e32 vcc_lo, -1, v[25:26]
	v_dual_cndmask_b32 v24, 0, v26 :: v_dual_cndmask_b32 v23, 0, v9
	v_dual_cndmask_b32 v22, 0, v22 :: v_dual_cndmask_b32 v21, 0, v21
; %bb.137:                              ;   in Loop: Header=BB248_4 Depth=1
	s_or_b32 exec_lo, exec_lo, s2
.LBB248_138:                            ;   in Loop: Header=BB248_4 Depth=1
	s_delay_alu instid0(SALU_CYCLE_1)
	s_or_b32 exec_lo, exec_lo, s3
                                        ; implicit-def: $vgpr11_vgpr12
.LBB248_139:                            ;   in Loop: Header=BB248_4 Depth=1
	s_and_not1_saveexec_b32 s4, s97
	s_cbranch_execz .LBB248_149
; %bb.140:                              ;   in Loop: Header=BB248_4 Depth=1
	v_cmp_ngt_f64_e64 s3, 0x41d00000, |v[11:12]|
	v_trig_preop_f64 v[29:30], |v[11:12]|, 0
	v_trig_preop_f64 v[27:28], |v[11:12]|, 1
	v_ldexp_f64 v[31:32], |v[11:12]|, 0xffffff80
	v_trig_preop_f64 v[25:26], |v[11:12]|, 2
	v_and_b32_e32 v38, 0x7fffffff, v12
                                        ; implicit-def: $vgpr21
                                        ; implicit-def: $vgpr9_vgpr10
                                        ; implicit-def: $vgpr23_vgpr24
	s_and_saveexec_b32 s2, s3
	s_delay_alu instid0(SALU_CYCLE_1)
	s_xor_b32 s5, exec_lo, s2
	s_cbranch_execz .LBB248_142
; %bb.141:                              ;   in Loop: Header=BB248_4 Depth=1
	v_cmp_le_f64_e64 vcc_lo, 0x7b000000, |v[11:12]|
	s_mov_b32 s16, s18
	s_mov_b32 s25, s23
	s_delay_alu instid0(VALU_DEP_4) | instskip(NEXT) | instid1(VALU_DEP_1)
	v_dual_cndmask_b32 v10, v38, v32 :: v_dual_cndmask_b32 v9, v11, v31
	v_mul_f64 v[23:24], v[29:30], v[9:10]
	v_mul_f64 v[33:34], v[27:28], v[9:10]
	;; [unrolled: 1-line block ×3, first 2 shown]
	s_delay_alu instid0(VALU_DEP_3) | instskip(NEXT) | instid1(VALU_DEP_3)
	v_fma_f64 v[35:36], v[29:30], v[9:10], -v[23:24]
	v_fma_f64 v[49:50], v[27:28], v[9:10], -v[33:34]
	s_delay_alu instid0(VALU_DEP_3) | instskip(NEXT) | instid1(VALU_DEP_3)
	v_fma_f64 v[9:10], v[25:26], v[9:10], -v[47:48]
	v_add_f64 v[39:40], v[33:34], v[35:36]
	s_delay_alu instid0(VALU_DEP_1) | instskip(SKIP_1) | instid1(VALU_DEP_2)
	v_add_f64 v[41:42], v[39:40], -v[33:34]
	v_add_f64 v[45:46], v[23:24], v[39:40]
	v_add_f64 v[43:44], v[39:40], -v[41:42]
	v_add_f64 v[35:36], v[35:36], -v[41:42]
	s_delay_alu instid0(VALU_DEP_3) | instskip(SKIP_1) | instid1(VALU_DEP_4)
	v_ldexp_f64 v[41:42], v[45:46], -2
	v_add_f64 v[23:24], v[45:46], -v[23:24]
	v_add_f64 v[33:34], v[33:34], -v[43:44]
	v_add_f64 v[43:44], v[47:48], v[49:50]
	s_delay_alu instid0(VALU_DEP_4) | instskip(NEXT) | instid1(VALU_DEP_4)
	v_cmp_neq_f64_e64 vcc_lo, 0x7ff00000, |v[41:42]|
	v_add_f64 v[23:24], v[39:40], -v[23:24]
	s_delay_alu instid0(VALU_DEP_4) | instskip(SKIP_1) | instid1(VALU_DEP_2)
	v_add_f64 v[33:34], v[35:36], v[33:34]
	v_fract_f64_e32 v[35:36], v[41:42]
	v_add_f64 v[39:40], v[43:44], v[33:34]
	s_delay_alu instid0(VALU_DEP_2) | instskip(NEXT) | instid1(VALU_DEP_1)
	v_dual_cndmask_b32 v36, 0, v36 :: v_dual_cndmask_b32 v35, 0, v35
	v_ldexp_f64 v[35:36], v[35:36], 2
	s_delay_alu instid0(VALU_DEP_3) | instskip(SKIP_1) | instid1(VALU_DEP_2)
	v_add_f64 v[41:42], v[23:24], v[39:40]
	v_add_f64 v[51:52], v[39:40], -v[43:44]
	v_add_f64 v[45:46], v[41:42], v[35:36]
	s_delay_alu instid0(VALU_DEP_2) | instskip(SKIP_2) | instid1(VALU_DEP_4)
	v_add_f64 v[57:58], v[39:40], -v[51:52]
	v_add_f64 v[33:34], v[33:34], -v[51:52]
	;; [unrolled: 1-line block ×3, first 2 shown]
	v_cmp_gt_f64_e32 vcc_lo, 0, v[45:46]
	v_add_f64 v[45:46], v[43:44], -v[47:48]
	s_delay_alu instid0(VALU_DEP_3) | instskip(SKIP_1) | instid1(VALU_DEP_3)
	v_add_f64 v[23:24], v[39:40], -v[23:24]
	v_cndmask_b32_e64 v18, 0, 0x40100000, vcc_lo
	v_add_f64 v[55:56], v[43:44], -v[45:46]
	v_add_f64 v[45:46], v[49:50], -v[45:46]
	;; [unrolled: 1-line block ×3, first 2 shown]
	s_delay_alu instid0(VALU_DEP_4) | instskip(NEXT) | instid1(VALU_DEP_4)
	v_add_f64 v[35:36], v[35:36], v[17:18]
	v_add_f64 v[49:50], v[47:48], -v[55:56]
	s_delay_alu instid0(VALU_DEP_3) | instskip(NEXT) | instid1(VALU_DEP_3)
	v_add_f64 v[33:34], v[33:34], v[43:44]
	v_add_f64 v[53:54], v[41:42], v[35:36]
	s_delay_alu instid0(VALU_DEP_3) | instskip(NEXT) | instid1(VALU_DEP_2)
	v_add_f64 v[45:46], v[45:46], v[49:50]
	v_cvt_i32_f64_e32 v18, v[53:54]
	s_delay_alu instid0(VALU_DEP_2) | instskip(NEXT) | instid1(VALU_DEP_2)
	v_add_f64 v[33:34], v[45:46], v[33:34]
	v_cvt_f64_i32_e32 v[51:52], v18
	s_delay_alu instid0(VALU_DEP_2) | instskip(NEXT) | instid1(VALU_DEP_2)
	v_add_f64 v[9:10], v[9:10], v[33:34]
	v_add_f64 v[35:36], v[35:36], -v[51:52]
	s_delay_alu instid0(VALU_DEP_2) | instskip(NEXT) | instid1(VALU_DEP_2)
	v_add_f64 v[9:10], v[23:24], v[9:10]
	v_add_f64 v[43:44], v[41:42], v[35:36]
	s_delay_alu instid0(VALU_DEP_1) | instskip(SKIP_1) | instid1(VALU_DEP_2)
	v_add_f64 v[33:34], v[43:44], -v[35:36]
	v_cmp_le_f64_e32 vcc_lo, 0.5, v[43:44]
	v_add_f64 v[23:24], v[41:42], -v[33:34]
	v_add_co_ci_u32_e64 v21, s2, 0, v18, vcc_lo
	v_cndmask_b32_e64 v18, 0, 0x3ff00000, vcc_lo
	s_delay_alu instid0(VALU_DEP_3) | instskip(NEXT) | instid1(VALU_DEP_2)
	v_add_f64 v[9:10], v[9:10], v[23:24]
	v_add_f64 v[23:24], v[43:44], -v[17:18]
	s_delay_alu instid0(VALU_DEP_1) | instskip(NEXT) | instid1(VALU_DEP_1)
	v_add_f64 v[33:34], v[23:24], v[9:10]
	v_mul_f64 v[35:36], v[33:34], s[16:17]
	v_add_f64 v[23:24], v[33:34], -v[23:24]
	s_delay_alu instid0(VALU_DEP_2) | instskip(NEXT) | instid1(VALU_DEP_2)
	v_fma_f64 v[39:40], v[33:34], s[16:17], -v[35:36]
	v_add_f64 v[9:10], v[9:10], -v[23:24]
	s_delay_alu instid0(VALU_DEP_2) | instskip(NEXT) | instid1(VALU_DEP_1)
	v_fma_f64 v[23:24], v[33:34], s[24:25], v[39:40]
	v_fma_f64 v[23:24], v[9:10], s[16:17], v[23:24]
	s_delay_alu instid0(VALU_DEP_1) | instskip(NEXT) | instid1(VALU_DEP_1)
	v_add_f64 v[9:10], v[35:36], v[23:24]
	v_add_f64 v[33:34], v[9:10], -v[35:36]
	s_delay_alu instid0(VALU_DEP_1)
	v_add_f64 v[23:24], v[23:24], -v[33:34]
	s_and_not1_saveexec_b32 s2, s5
	s_cbranch_execz .LBB248_144
	s_branch .LBB248_143
.LBB248_142:                            ;   in Loop: Header=BB248_4 Depth=1
	s_and_not1_saveexec_b32 s2, s5
	s_cbranch_execz .LBB248_144
.LBB248_143:                            ;   in Loop: Header=BB248_4 Depth=1
	v_mul_f64 v[9:10], |v[11:12]|, s[26:27]
	s_mov_b32 s22, s28
	s_delay_alu instid0(VALU_DEP_1) | instskip(NEXT) | instid1(VALU_DEP_1)
	v_rndne_f64_e32 v[33:34], v[9:10]
	v_fma_f64 v[9:10], v[33:34], s[18:19], |v[11:12]|
	v_mul_f64 v[23:24], v[33:34], s[28:29]
	v_cvt_i32_f64_e32 v21, v[33:34]
	s_delay_alu instid0(VALU_DEP_3) | instskip(NEXT) | instid1(VALU_DEP_3)
	v_fma_f64 v[39:40], v[33:34], s[28:29], v[9:10]
	v_add_f64 v[35:36], v[9:10], v[23:24]
	s_delay_alu instid0(VALU_DEP_1) | instskip(NEXT) | instid1(VALU_DEP_3)
	v_add_f64 v[9:10], v[9:10], -v[35:36]
	v_add_f64 v[35:36], v[35:36], -v[39:40]
	s_delay_alu instid0(VALU_DEP_2) | instskip(SKIP_1) | instid1(VALU_DEP_2)
	v_add_f64 v[9:10], v[9:10], v[23:24]
	v_fma_f64 v[23:24], v[33:34], s[22:23], v[23:24]
	v_add_f64 v[9:10], v[35:36], v[9:10]
	s_delay_alu instid0(VALU_DEP_1) | instskip(NEXT) | instid1(VALU_DEP_1)
	v_add_f64 v[9:10], v[9:10], -v[23:24]
	v_fma_f64 v[23:24], v[33:34], s[30:31], v[9:10]
	s_delay_alu instid0(VALU_DEP_1) | instskip(NEXT) | instid1(VALU_DEP_1)
	v_add_f64 v[9:10], v[39:40], v[23:24]
	v_add_f64 v[35:36], v[9:10], -v[39:40]
	s_delay_alu instid0(VALU_DEP_1)
	v_add_f64 v[23:24], v[23:24], -v[35:36]
.LBB248_144:                            ;   in Loop: Header=BB248_4 Depth=1
	s_or_b32 exec_lo, exec_lo, s2
                                        ; implicit-def: $vgpr39
                                        ; implicit-def: $vgpr33_vgpr34
                                        ; implicit-def: $vgpr35_vgpr36
	s_and_saveexec_b32 s2, s3
	s_delay_alu instid0(SALU_CYCLE_1)
	s_xor_b32 s3, exec_lo, s2
	s_cbranch_execz .LBB248_146
; %bb.145:                              ;   in Loop: Header=BB248_4 Depth=1
	v_cmp_le_f64_e64 vcc_lo, 0x7b000000, |v[11:12]|
	s_mov_b32 s16, s18
	s_mov_b32 s25, s23
	s_delay_alu instid0(VALU_DEP_4) | instskip(NEXT) | instid1(VALU_DEP_1)
	v_dual_cndmask_b32 v32, v38, v32 :: v_dual_cndmask_b32 v31, v11, v31
	v_mul_f64 v[33:34], v[29:30], v[31:32]
	v_mul_f64 v[35:36], v[27:28], v[31:32]
	;; [unrolled: 1-line block ×3, first 2 shown]
	s_delay_alu instid0(VALU_DEP_3) | instskip(NEXT) | instid1(VALU_DEP_3)
	v_fma_f64 v[29:30], v[29:30], v[31:32], -v[33:34]
	v_fma_f64 v[27:28], v[27:28], v[31:32], -v[35:36]
	s_delay_alu instid0(VALU_DEP_3) | instskip(NEXT) | instid1(VALU_DEP_3)
	v_fma_f64 v[25:26], v[25:26], v[31:32], -v[46:47]
	v_add_f64 v[38:39], v[35:36], v[29:30]
	s_delay_alu instid0(VALU_DEP_1) | instskip(SKIP_1) | instid1(VALU_DEP_2)
	v_add_f64 v[40:41], v[38:39], -v[35:36]
	v_add_f64 v[44:45], v[33:34], v[38:39]
	v_add_f64 v[42:43], v[38:39], -v[40:41]
	v_add_f64 v[29:30], v[29:30], -v[40:41]
	s_delay_alu instid0(VALU_DEP_3) | instskip(SKIP_1) | instid1(VALU_DEP_4)
	v_ldexp_f64 v[40:41], v[44:45], -2
	v_add_f64 v[33:34], v[44:45], -v[33:34]
	v_add_f64 v[35:36], v[35:36], -v[42:43]
	v_add_f64 v[42:43], v[46:47], v[27:28]
	s_delay_alu instid0(VALU_DEP_4) | instskip(NEXT) | instid1(VALU_DEP_4)
	v_cmp_neq_f64_e64 vcc_lo, 0x7ff00000, |v[40:41]|
	v_add_f64 v[33:34], v[38:39], -v[33:34]
	s_delay_alu instid0(VALU_DEP_4) | instskip(SKIP_1) | instid1(VALU_DEP_2)
	v_add_f64 v[29:30], v[29:30], v[35:36]
	v_fract_f64_e32 v[35:36], v[40:41]
	v_add_f64 v[38:39], v[42:43], v[29:30]
	s_delay_alu instid0(VALU_DEP_2) | instskip(NEXT) | instid1(VALU_DEP_1)
	v_dual_cndmask_b32 v36, 0, v36 :: v_dual_cndmask_b32 v35, 0, v35
	v_ldexp_f64 v[35:36], v[35:36], 2
	s_delay_alu instid0(VALU_DEP_3) | instskip(SKIP_1) | instid1(VALU_DEP_2)
	v_add_f64 v[40:41], v[33:34], v[38:39]
	v_add_f64 v[48:49], v[38:39], -v[42:43]
	v_add_f64 v[44:45], v[40:41], v[35:36]
	s_delay_alu instid0(VALU_DEP_2) | instskip(SKIP_2) | instid1(VALU_DEP_4)
	v_add_f64 v[54:55], v[38:39], -v[48:49]
	v_add_f64 v[29:30], v[29:30], -v[48:49]
	;; [unrolled: 1-line block ×3, first 2 shown]
	v_cmp_gt_f64_e32 vcc_lo, 0, v[44:45]
	v_add_f64 v[44:45], v[42:43], -v[46:47]
	s_delay_alu instid0(VALU_DEP_3) | instskip(SKIP_1) | instid1(VALU_DEP_3)
	v_add_f64 v[31:32], v[38:39], -v[31:32]
	v_cndmask_b32_e64 v18, 0, 0x40100000, vcc_lo
	v_add_f64 v[52:53], v[42:43], -v[44:45]
	v_add_f64 v[27:28], v[27:28], -v[44:45]
	;; [unrolled: 1-line block ×3, first 2 shown]
	s_delay_alu instid0(VALU_DEP_4) | instskip(NEXT) | instid1(VALU_DEP_4)
	v_add_f64 v[35:36], v[35:36], v[17:18]
	v_add_f64 v[44:45], v[46:47], -v[52:53]
	s_delay_alu instid0(VALU_DEP_3) | instskip(NEXT) | instid1(VALU_DEP_3)
	v_add_f64 v[29:30], v[29:30], v[42:43]
	v_add_f64 v[50:51], v[40:41], v[35:36]
	s_delay_alu instid0(VALU_DEP_3) | instskip(NEXT) | instid1(VALU_DEP_2)
	v_add_f64 v[27:28], v[27:28], v[44:45]
	v_cvt_i32_f64_e32 v18, v[50:51]
	s_delay_alu instid0(VALU_DEP_2) | instskip(NEXT) | instid1(VALU_DEP_2)
	v_add_f64 v[27:28], v[27:28], v[29:30]
	v_cvt_f64_i32_e32 v[48:49], v18
	s_delay_alu instid0(VALU_DEP_2) | instskip(NEXT) | instid1(VALU_DEP_2)
	v_add_f64 v[25:26], v[25:26], v[27:28]
	v_add_f64 v[35:36], v[35:36], -v[48:49]
	s_delay_alu instid0(VALU_DEP_2) | instskip(NEXT) | instid1(VALU_DEP_2)
	v_add_f64 v[25:26], v[31:32], v[25:26]
	v_add_f64 v[29:30], v[40:41], v[35:36]
	s_delay_alu instid0(VALU_DEP_1) | instskip(SKIP_1) | instid1(VALU_DEP_2)
	v_add_f64 v[27:28], v[29:30], -v[35:36]
	v_cmp_le_f64_e32 vcc_lo, 0.5, v[29:30]
	v_add_f64 v[27:28], v[40:41], -v[27:28]
	v_add_co_ci_u32_e64 v39, s2, 0, v18, vcc_lo
	v_cndmask_b32_e64 v18, 0, 0x3ff00000, vcc_lo
	s_delay_alu instid0(VALU_DEP_3) | instskip(NEXT) | instid1(VALU_DEP_2)
	v_add_f64 v[25:26], v[25:26], v[27:28]
	v_add_f64 v[27:28], v[29:30], -v[17:18]
	s_delay_alu instid0(VALU_DEP_1) | instskip(NEXT) | instid1(VALU_DEP_1)
	v_add_f64 v[29:30], v[27:28], v[25:26]
	v_mul_f64 v[31:32], v[29:30], s[16:17]
	v_add_f64 v[27:28], v[29:30], -v[27:28]
	s_delay_alu instid0(VALU_DEP_2) | instskip(NEXT) | instid1(VALU_DEP_2)
	v_fma_f64 v[33:34], v[29:30], s[16:17], -v[31:32]
	v_add_f64 v[25:26], v[25:26], -v[27:28]
	s_delay_alu instid0(VALU_DEP_2) | instskip(NEXT) | instid1(VALU_DEP_1)
	v_fma_f64 v[27:28], v[29:30], s[24:25], v[33:34]
	v_fma_f64 v[25:26], v[25:26], s[16:17], v[27:28]
	s_delay_alu instid0(VALU_DEP_1) | instskip(NEXT) | instid1(VALU_DEP_1)
	v_add_f64 v[33:34], v[31:32], v[25:26]
	v_add_f64 v[27:28], v[33:34], -v[31:32]
	s_delay_alu instid0(VALU_DEP_1)
	v_add_f64 v[35:36], v[25:26], -v[27:28]
	s_and_not1_saveexec_b32 s2, s3
	s_cbranch_execnz .LBB248_147
	s_branch .LBB248_148
.LBB248_146:                            ;   in Loop: Header=BB248_4 Depth=1
	s_and_not1_saveexec_b32 s2, s3
	s_cbranch_execz .LBB248_148
.LBB248_147:                            ;   in Loop: Header=BB248_4 Depth=1
	v_mul_f64 v[25:26], |v[11:12]|, s[26:27]
	s_mov_b32 s22, s28
	s_delay_alu instid0(VALU_DEP_1) | instskip(NEXT) | instid1(VALU_DEP_1)
	v_rndne_f64_e32 v[25:26], v[25:26]
	v_fma_f64 v[27:28], v[25:26], s[18:19], |v[11:12]|
	v_mul_f64 v[29:30], v[25:26], s[28:29]
	v_cvt_i32_f64_e32 v39, v[25:26]
	s_delay_alu instid0(VALU_DEP_3) | instskip(NEXT) | instid1(VALU_DEP_3)
	v_fma_f64 v[35:36], v[25:26], s[28:29], v[27:28]
	v_add_f64 v[31:32], v[27:28], v[29:30]
	s_delay_alu instid0(VALU_DEP_1) | instskip(NEXT) | instid1(VALU_DEP_3)
	v_add_f64 v[27:28], v[27:28], -v[31:32]
	v_add_f64 v[31:32], v[31:32], -v[35:36]
	s_delay_alu instid0(VALU_DEP_2) | instskip(SKIP_1) | instid1(VALU_DEP_2)
	v_add_f64 v[27:28], v[27:28], v[29:30]
	v_fma_f64 v[29:30], v[25:26], s[22:23], v[29:30]
	v_add_f64 v[27:28], v[31:32], v[27:28]
	s_delay_alu instid0(VALU_DEP_1) | instskip(NEXT) | instid1(VALU_DEP_1)
	v_add_f64 v[27:28], v[27:28], -v[29:30]
	v_fma_f64 v[27:28], v[25:26], s[30:31], v[27:28]
	s_delay_alu instid0(VALU_DEP_1) | instskip(NEXT) | instid1(VALU_DEP_1)
	v_add_f64 v[33:34], v[35:36], v[27:28]
	v_add_f64 v[29:30], v[33:34], -v[35:36]
	s_delay_alu instid0(VALU_DEP_1)
	v_add_f64 v[35:36], v[27:28], -v[29:30]
.LBB248_148:                            ;   in Loop: Header=BB248_4 Depth=1
	s_or_b32 exec_lo, exec_lo, s2
	v_mul_f64 v[25:26], v[9:10], v[9:10]
	v_mul_f64 v[27:28], v[33:34], v[33:34]
	s_delay_alu instid0(VALU_DEP_3) | instskip(NEXT) | instid1(VALU_DEP_4)
	v_mul_f64 v[52:53], v[23:24], 0.5
	v_mul_f64 v[58:59], v[35:36], 0.5
	s_mov_b32 s86, s56
	v_cmp_class_f64_e64 s2, v[11:12], 0x1f8
	v_and_b32_e32 v18, 1, v21
	v_and_b32_e32 v12, 1, v39
	s_delay_alu instid0(VALU_DEP_2) | instskip(SKIP_1) | instid1(VALU_DEP_3)
	v_cmp_eq_u32_e32 vcc_lo, 0, v18
	v_lshlrev_b32_e32 v18, 30, v21
	v_cmp_eq_u32_e64 s3, 0, v12
	s_delay_alu instid0(VALU_DEP_2)
	v_and_b32_e32 v12, 0x80000000, v18
	v_fma_f64 v[29:30], v[25:26], s[74:75], s[72:73]
	v_fma_f64 v[31:32], v[27:28], s[74:75], s[72:73]
	v_fma_f64 v[40:41], v[25:26], s[64:65], s[62:63]
	v_mul_f64 v[42:43], v[25:26], 0.5
	v_fma_f64 v[44:45], v[27:28], s[64:65], s[62:63]
	v_mul_f64 v[46:47], v[27:28], 0.5
	v_mul_f64 v[54:55], v[9:10], -v[25:26]
	v_mul_f64 v[60:61], v[33:34], -v[27:28]
	v_fma_f64 v[29:30], v[25:26], v[29:30], s[76:77]
	v_fma_f64 v[31:32], v[27:28], v[31:32], s[76:77]
	;; [unrolled: 1-line block ×3, first 2 shown]
	v_add_f64 v[48:49], -v[42:43], 1.0
	v_fma_f64 v[44:45], v[27:28], v[44:45], s[66:67]
	v_add_f64 v[50:51], -v[46:47], 1.0
	v_fma_f64 v[29:30], v[25:26], v[29:30], s[78:79]
	v_fma_f64 v[31:32], v[27:28], v[31:32], s[78:79]
	;; [unrolled: 1-line block ×3, first 2 shown]
	v_add_f64 v[56:57], -v[48:49], 1.0
	v_fma_f64 v[44:45], v[27:28], v[44:45], s[68:69]
	v_add_f64 v[62:63], -v[50:51], 1.0
	v_fma_f64 v[29:30], v[25:26], v[29:30], s[54:55]
	v_fma_f64 v[31:32], v[27:28], v[31:32], s[54:55]
	;; [unrolled: 1-line block ×3, first 2 shown]
	v_add_f64 v[42:43], v[56:57], -v[42:43]
	v_fma_f64 v[44:45], v[27:28], v[44:45], s[70:71]
	v_add_f64 v[46:47], v[62:63], -v[46:47]
	v_fma_f64 v[29:30], v[54:55], v[29:30], v[52:53]
	v_fma_f64 v[31:32], v[60:61], v[31:32], v[58:59]
	v_mul_f64 v[52:53], v[25:26], v[25:26]
	v_fma_f64 v[40:41], v[25:26], v[40:41], s[56:57]
	v_fma_f64 v[42:43], v[9:10], -v[23:24], v[42:43]
	v_fma_f64 v[23:24], v[25:26], v[29:30], -v[23:24]
	v_mul_f64 v[25:26], v[27:28], v[27:28]
	v_fma_f64 v[29:30], v[27:28], v[44:45], s[56:57]
	v_fma_f64 v[44:45], v[33:34], -v[35:36], v[46:47]
	v_fma_f64 v[27:28], v[27:28], v[31:32], -v[35:36]
	v_fma_f64 v[31:32], v[52:53], v[40:41], v[42:43]
	v_fma_f64 v[23:24], v[54:55], s[86:87], v[23:24]
	s_delay_alu instid0(VALU_DEP_4) | instskip(NEXT) | instid1(VALU_DEP_4)
	v_fma_f64 v[25:26], v[25:26], v[29:30], v[44:45]
	v_fma_f64 v[27:28], v[60:61], s[86:87], v[27:28]
	s_delay_alu instid0(VALU_DEP_4) | instskip(NEXT) | instid1(VALU_DEP_4)
	v_add_f64 v[29:30], v[48:49], v[31:32]
	v_add_f64 v[9:10], v[9:10], -v[23:24]
	s_delay_alu instid0(VALU_DEP_4) | instskip(NEXT) | instid1(VALU_DEP_4)
	v_add_f64 v[23:24], v[50:51], v[25:26]
	v_add_f64 v[25:26], v[33:34], -v[27:28]
	s_delay_alu instid0(VALU_DEP_3) | instskip(NEXT) | instid1(VALU_DEP_4)
	v_cndmask_b32_e32 v9, v9, v29, vcc_lo
	v_xor_b32_e32 v10, 0x80000000, v10
	v_lshlrev_b32_e32 v11, 30, v39
	s_delay_alu instid0(VALU_DEP_4) | instskip(SKIP_1) | instid1(VALU_DEP_4)
	v_cndmask_b32_e64 v21, v24, v26, s3
	v_cndmask_b32_e64 v18, v23, v25, s3
	v_cndmask_b32_e32 v10, v10, v30, vcc_lo
	s_delay_alu instid0(VALU_DEP_4) | instskip(SKIP_1) | instid1(VALU_DEP_3)
	v_xor_b32_e32 v11, v11, v22
	v_cndmask_b32_e64 v23, 0, v9, s2
	v_xor_b32_e32 v10, v10, v12
	s_delay_alu instid0(VALU_DEP_3) | instskip(NEXT) | instid1(VALU_DEP_2)
	v_and_b32_e32 v11, 0x80000000, v11
	v_cndmask_b32_e64 v24, 0x7ff80000, v10, s2
	s_delay_alu instid0(VALU_DEP_2) | instskip(SKIP_1) | instid1(VALU_DEP_2)
	v_xor_b32_e32 v11, v21, v11
	v_cndmask_b32_e64 v21, 0, v18, s2
	v_cndmask_b32_e64 v22, 0x7ff80000, v11, s2
.LBB248_149:                            ;   in Loop: Header=BB248_4 Depth=1
	s_or_b32 exec_lo, exec_lo, s4
                                        ; implicit-def: $vgpr9_vgpr10
.LBB248_150:                            ;   in Loop: Header=BB248_4 Depth=1
	s_and_not1_saveexec_b32 s3, s96
	s_cbranch_execz .LBB248_152
; %bb.151:                              ;   in Loop: Header=BB248_4 Depth=1
	s_mov_b32 s34, s36
	s_mov_b32 s83, s55
	v_mul_f64 v[11:12], v[9:10], s[34:35]
	s_mov_b32 s85, s57
	v_cmp_ngt_f64_e32 vcc_lo, 0xc0900000, v[9:10]
	v_cmp_nlt_f64_e64 s2, 0x4090cc00, v[9:10]
	s_delay_alu instid0(VALU_DEP_3) | instskip(NEXT) | instid1(VALU_DEP_1)
	v_rndne_f64_e32 v[11:12], v[11:12]
	v_fma_f64 v[23:24], v[11:12], s[38:39], -v[9:10]
	v_cvt_i32_f64_e32 v18, v[11:12]
	s_delay_alu instid0(VALU_DEP_2) | instskip(NEXT) | instid1(VALU_DEP_1)
	v_fma_f64 v[23:24], v[11:12], s[40:41], v[23:24]
	v_fma_f64 v[25:26], v[23:24], s[44:45], s[42:43]
	s_delay_alu instid0(VALU_DEP_1) | instskip(NEXT) | instid1(VALU_DEP_1)
	v_fma_f64 v[25:26], v[23:24], v[25:26], s[46:47]
	v_fma_f64 v[25:26], v[23:24], v[25:26], s[48:49]
	s_delay_alu instid0(VALU_DEP_1) | instskip(NEXT) | instid1(VALU_DEP_1)
	;; [unrolled: 3-line block ×5, first 2 shown]
	v_fma_f64 v[25:26], v[23:24], v[25:26], 1.0
	v_fma_f64 v[11:12], v[23:24], v[25:26], 1.0
	s_delay_alu instid0(VALU_DEP_1) | instskip(NEXT) | instid1(VALU_DEP_1)
	v_ldexp_f64 v[11:12], v[11:12], v18
	v_cndmask_b32_e32 v12, 0x7ff00000, v12, vcc_lo
	s_and_b32 vcc_lo, s2, vcc_lo
	s_delay_alu instid0(VALU_DEP_2) | instskip(NEXT) | instid1(VALU_DEP_2)
	v_cndmask_b32_e32 v23, 0, v11, vcc_lo
	v_cndmask_b32_e64 v24, 0, v12, s2
.LBB248_152:                            ;   in Loop: Header=BB248_4 Depth=1
	s_or_b32 exec_lo, exec_lo, s3
	s_delay_alu instid0(VALU_DEP_1) | instskip(NEXT) | instid1(VALU_DEP_2)
	v_add_f64 v[23:24], s[8:9], v[23:24]
	v_add_f64 v[21:22], s[10:11], v[21:22]
                                        ; implicit-def: $vgpr11_vgpr12
	s_delay_alu instid0(VALU_DEP_2) | instskip(NEXT) | instid1(VALU_DEP_2)
	v_cmp_gt_f64_e32 vcc_lo, 0, v[23:24]
	v_cmp_gt_f64_e64 s2, 0, v[21:22]
	v_xor_b32_e32 v9, 0x80000000, v24
	v_xor_b32_e32 v10, 0x80000000, v22
	s_delay_alu instid0(VALU_DEP_2) | instskip(NEXT) | instid1(VALU_DEP_2)
	v_dual_cndmask_b32 v26, v24, v9 :: v_dual_cndmask_b32 v25, v23, v23
	v_cndmask_b32_e64 v28, v22, v10, s2
	v_cndmask_b32_e64 v27, v21, v21, s2
	s_mov_b32 s2, exec_lo
	s_delay_alu instid0(VALU_DEP_1)
	v_cmpx_ge_f64_e32 v[25:26], v[27:28]
	s_xor_b32 s3, exec_lo, s2
	s_cbranch_execz .LBB248_158
; %bb.153:                              ;   in Loop: Header=BB248_4 Depth=1
	v_cmp_neq_f64_e32 vcc_lo, 0, v[23:24]
	v_cmp_neq_f64_e64 s2, 0, v[21:22]
                                        ; implicit-def: $vgpr11_vgpr12
	s_delay_alu instid0(VALU_DEP_1) | instskip(NEXT) | instid1(SALU_CYCLE_1)
	s_or_b32 s2, vcc_lo, s2
	s_and_saveexec_b32 s4, s2
	s_delay_alu instid0(SALU_CYCLE_1)
	s_xor_b32 s2, exec_lo, s4
	s_cbranch_execz .LBB248_155
; %bb.154:                              ;   in Loop: Header=BB248_4 Depth=1
	v_div_scale_f64 v[9:10], null, v[23:24], v[23:24], v[21:22]
	v_div_scale_f64 v[27:28], vcc_lo, v[21:22], v[23:24], v[21:22]
	s_delay_alu instid0(VALU_DEP_2) | instskip(SKIP_2) | instid1(VALU_DEP_1)
	v_rcp_f64_e32 v[11:12], v[9:10]
	s_waitcnt_depctr 0xfff
	v_fma_f64 v[25:26], -v[9:10], v[11:12], 1.0
	v_fma_f64 v[11:12], v[11:12], v[25:26], v[11:12]
	s_delay_alu instid0(VALU_DEP_1) | instskip(NEXT) | instid1(VALU_DEP_1)
	v_fma_f64 v[25:26], -v[9:10], v[11:12], 1.0
	v_fma_f64 v[11:12], v[11:12], v[25:26], v[11:12]
	s_delay_alu instid0(VALU_DEP_1) | instskip(NEXT) | instid1(VALU_DEP_1)
	v_mul_f64 v[25:26], v[27:28], v[11:12]
	v_fma_f64 v[9:10], -v[9:10], v[25:26], v[27:28]
	s_delay_alu instid0(VALU_DEP_1) | instskip(NEXT) | instid1(VALU_DEP_1)
	v_div_fmas_f64 v[9:10], v[9:10], v[11:12], v[25:26]
	v_div_fixup_f64 v[9:10], v[9:10], v[23:24], v[21:22]
	s_delay_alu instid0(VALU_DEP_1) | instskip(NEXT) | instid1(VALU_DEP_1)
	v_fma_f64 v[11:12], v[21:22], v[9:10], v[23:24]
	v_div_scale_f64 v[21:22], null, v[11:12], v[11:12], 1.0
	v_div_scale_f64 v[27:28], vcc_lo, 1.0, v[11:12], 1.0
	s_delay_alu instid0(VALU_DEP_2) | instskip(SKIP_2) | instid1(VALU_DEP_1)
	v_rcp_f64_e32 v[23:24], v[21:22]
	s_waitcnt_depctr 0xfff
	v_fma_f64 v[25:26], -v[21:22], v[23:24], 1.0
	v_fma_f64 v[23:24], v[23:24], v[25:26], v[23:24]
	s_delay_alu instid0(VALU_DEP_1) | instskip(NEXT) | instid1(VALU_DEP_1)
	v_fma_f64 v[25:26], -v[21:22], v[23:24], 1.0
	v_fma_f64 v[23:24], v[23:24], v[25:26], v[23:24]
	s_delay_alu instid0(VALU_DEP_1) | instskip(NEXT) | instid1(VALU_DEP_1)
	v_mul_f64 v[25:26], v[27:28], v[23:24]
	v_fma_f64 v[21:22], -v[21:22], v[25:26], v[27:28]
                                        ; implicit-def: $vgpr27_vgpr28
	s_delay_alu instid0(VALU_DEP_1) | instskip(SKIP_1) | instid1(VALU_DEP_2)
	v_div_fmas_f64 v[21:22], v[21:22], v[23:24], v[25:26]
	v_fma_f64 v[23:24], s[10:11], v[9:10], s[8:9]
                                        ; implicit-def: $vgpr25_vgpr26
	v_div_fixup_f64 v[11:12], v[21:22], v[11:12], 1.0
	v_fma_f64 v[21:22], -s[8:9], v[9:10], s[10:11]
	s_delay_alu instid0(VALU_DEP_2) | instskip(NEXT) | instid1(VALU_DEP_2)
	v_mul_f64 v[9:10], v[23:24], v[11:12]
	v_mul_f64 v[11:12], v[21:22], v[11:12]
.LBB248_155:                            ;   in Loop: Header=BB248_4 Depth=1
	s_and_not1_saveexec_b32 s4, s2
	s_cbranch_execz .LBB248_157
; %bb.156:                              ;   in Loop: Header=BB248_4 Depth=1
	v_div_scale_f64 v[9:10], null, v[25:26], v[25:26], s[8:9]
	v_div_scale_f64 v[11:12], null, v[27:28], v[27:28], s[10:11]
	v_div_scale_f64 v[33:34], vcc_lo, s[8:9], v[25:26], s[8:9]
	s_delay_alu instid0(VALU_DEP_3) | instskip(NEXT) | instid1(VALU_DEP_2)
	v_rcp_f64_e32 v[21:22], v[9:10]
	v_rcp_f64_e32 v[23:24], v[11:12]
	s_waitcnt_depctr 0xfff
	v_fma_f64 v[29:30], -v[9:10], v[21:22], 1.0
	v_fma_f64 v[31:32], -v[11:12], v[23:24], 1.0
	s_delay_alu instid0(VALU_DEP_2) | instskip(NEXT) | instid1(VALU_DEP_2)
	v_fma_f64 v[21:22], v[21:22], v[29:30], v[21:22]
	v_fma_f64 v[23:24], v[23:24], v[31:32], v[23:24]
	s_delay_alu instid0(VALU_DEP_2) | instskip(NEXT) | instid1(VALU_DEP_2)
	v_fma_f64 v[29:30], -v[9:10], v[21:22], 1.0
	v_fma_f64 v[31:32], -v[11:12], v[23:24], 1.0
	s_delay_alu instid0(VALU_DEP_2) | instskip(SKIP_1) | instid1(VALU_DEP_3)
	v_fma_f64 v[21:22], v[21:22], v[29:30], v[21:22]
	v_div_scale_f64 v[29:30], s2, s[10:11], v[27:28], s[10:11]
	v_fma_f64 v[23:24], v[23:24], v[31:32], v[23:24]
	s_delay_alu instid0(VALU_DEP_3) | instskip(NEXT) | instid1(VALU_DEP_2)
	v_mul_f64 v[31:32], v[33:34], v[21:22]
	v_mul_f64 v[35:36], v[29:30], v[23:24]
	s_delay_alu instid0(VALU_DEP_2) | instskip(NEXT) | instid1(VALU_DEP_2)
	v_fma_f64 v[9:10], -v[9:10], v[31:32], v[33:34]
	v_fma_f64 v[11:12], -v[11:12], v[35:36], v[29:30]
	s_delay_alu instid0(VALU_DEP_2) | instskip(SKIP_1) | instid1(VALU_DEP_2)
	v_div_fmas_f64 v[9:10], v[9:10], v[21:22], v[31:32]
	s_mov_b32 vcc_lo, s2
	v_div_fmas_f64 v[11:12], v[11:12], v[23:24], v[35:36]
	s_delay_alu instid0(VALU_DEP_2) | instskip(NEXT) | instid1(VALU_DEP_2)
	v_div_fixup_f64 v[9:10], v[9:10], v[25:26], s[8:9]
	v_div_fixup_f64 v[11:12], v[11:12], v[27:28], s[10:11]
.LBB248_157:                            ;   in Loop: Header=BB248_4 Depth=1
	s_or_b32 exec_lo, exec_lo, s4
                                        ; implicit-def: $vgpr21_vgpr22
                                        ; implicit-def: $vgpr23_vgpr24
.LBB248_158:                            ;   in Loop: Header=BB248_4 Depth=1
	s_and_not1_saveexec_b32 s2, s3
	s_cbranch_execz .LBB248_160
; %bb.159:                              ;   in Loop: Header=BB248_4 Depth=1
	v_div_scale_f64 v[9:10], null, v[21:22], v[21:22], v[23:24]
	v_div_scale_f64 v[27:28], vcc_lo, v[23:24], v[21:22], v[23:24]
	s_delay_alu instid0(VALU_DEP_2) | instskip(SKIP_2) | instid1(VALU_DEP_1)
	v_rcp_f64_e32 v[11:12], v[9:10]
	s_waitcnt_depctr 0xfff
	v_fma_f64 v[25:26], -v[9:10], v[11:12], 1.0
	v_fma_f64 v[11:12], v[11:12], v[25:26], v[11:12]
	s_delay_alu instid0(VALU_DEP_1) | instskip(NEXT) | instid1(VALU_DEP_1)
	v_fma_f64 v[25:26], -v[9:10], v[11:12], 1.0
	v_fma_f64 v[11:12], v[11:12], v[25:26], v[11:12]
	s_delay_alu instid0(VALU_DEP_1) | instskip(NEXT) | instid1(VALU_DEP_1)
	v_mul_f64 v[25:26], v[27:28], v[11:12]
	v_fma_f64 v[9:10], -v[9:10], v[25:26], v[27:28]
	s_delay_alu instid0(VALU_DEP_1) | instskip(NEXT) | instid1(VALU_DEP_1)
	v_div_fmas_f64 v[9:10], v[9:10], v[11:12], v[25:26]
	v_div_fixup_f64 v[9:10], v[9:10], v[21:22], v[23:24]
	s_delay_alu instid0(VALU_DEP_1) | instskip(NEXT) | instid1(VALU_DEP_1)
	v_fma_f64 v[11:12], v[23:24], v[9:10], v[21:22]
	v_div_scale_f64 v[21:22], null, v[11:12], v[11:12], 1.0
	v_div_scale_f64 v[27:28], vcc_lo, 1.0, v[11:12], 1.0
	s_delay_alu instid0(VALU_DEP_2) | instskip(SKIP_2) | instid1(VALU_DEP_1)
	v_rcp_f64_e32 v[23:24], v[21:22]
	s_waitcnt_depctr 0xfff
	v_fma_f64 v[25:26], -v[21:22], v[23:24], 1.0
	v_fma_f64 v[23:24], v[23:24], v[25:26], v[23:24]
	s_delay_alu instid0(VALU_DEP_1) | instskip(NEXT) | instid1(VALU_DEP_1)
	v_fma_f64 v[25:26], -v[21:22], v[23:24], 1.0
	v_fma_f64 v[23:24], v[23:24], v[25:26], v[23:24]
	s_delay_alu instid0(VALU_DEP_1) | instskip(NEXT) | instid1(VALU_DEP_1)
	v_mul_f64 v[25:26], v[27:28], v[23:24]
	v_fma_f64 v[21:22], -v[21:22], v[25:26], v[27:28]
	s_delay_alu instid0(VALU_DEP_1) | instskip(SKIP_1) | instid1(VALU_DEP_2)
	v_div_fmas_f64 v[21:22], v[21:22], v[23:24], v[25:26]
	v_fma_f64 v[23:24], s[8:9], v[9:10], s[10:11]
	v_div_fixup_f64 v[11:12], v[21:22], v[11:12], 1.0
	v_fma_f64 v[21:22], s[10:11], v[9:10], -s[8:9]
	s_delay_alu instid0(VALU_DEP_2) | instskip(NEXT) | instid1(VALU_DEP_2)
	v_mul_f64 v[9:10], v[23:24], v[11:12]
	v_mul_f64 v[11:12], v[21:22], v[11:12]
.LBB248_160:                            ;   in Loop: Header=BB248_4 Depth=1
	s_or_b32 exec_lo, exec_lo, s2
	v_xor_b32_e32 v22, 0x80000000, v4
	v_mov_b32_e32 v21, v3
                                        ; implicit-def: $vgpr23_vgpr24
	s_mov_b32 s2, exec_lo
	s_delay_alu instid0(VALU_DEP_2) | instskip(NEXT) | instid1(VALU_DEP_1)
	v_and_b32_e32 v27, 0x7fffffff, v22
	v_or_b32_e32 v18, v27, v3
	s_delay_alu instid0(VALU_DEP_1)
	v_cmpx_ne_u32_e32 0, v18
	s_xor_b32 s96, exec_lo, s2
	s_cbranch_execz .LBB248_202
; %bb.161:                              ;   in Loop: Header=BB248_4 Depth=1
	v_xor_b32_e32 v26, 0x80000000, v2
	v_mov_b32_e32 v25, v1
                                        ; implicit-def: $vgpr23_vgpr24
	s_mov_b32 s2, exec_lo
	s_delay_alu instid0(VALU_DEP_2) | instskip(NEXT) | instid1(VALU_DEP_1)
	v_and_b32_e32 v18, 0x7fffffff, v26
	v_or_b32_e32 v21, v18, v25
	s_delay_alu instid0(VALU_DEP_1)
	v_cmpx_ne_u32_e32 0, v21
	s_xor_b32 s97, exec_lo, s2
	s_cbranch_execz .LBB248_191
; %bb.162:                              ;   in Loop: Header=BB248_4 Depth=1
                                        ; implicit-def: $vgpr23_vgpr24
	s_mov_b32 s2, exec_lo
	v_cmpx_gt_u32_e32 0x7ff00000, v27
	s_xor_b32 s98, exec_lo, s2
	s_cbranch_execz .LBB248_184
; %bb.163:                              ;   in Loop: Header=BB248_4 Depth=1
	v_add_nc_u32_e32 v18, 0xbf79d1be, v26
                                        ; implicit-def: $vgpr23_vgpr24
	s_mov_b32 s2, exec_lo
	s_delay_alu instid0(VALU_DEP_1)
	v_cmpx_lt_u32_e32 0x108aa2, v18
	s_xor_b32 s99, exec_lo, s2
	s_cbranch_execz .LBB248_173
; %bb.164:                              ;   in Loop: Header=BB248_4 Depth=1
	v_cmp_ngt_f64_e64 s3, 0x41d00000, |v[3:4]|
                                        ; implicit-def: $vgpr21
                                        ; implicit-def: $vgpr23_vgpr24
                                        ; implicit-def: $vgpr25_vgpr26
	s_delay_alu instid0(VALU_DEP_1) | instskip(NEXT) | instid1(SALU_CYCLE_1)
	s_and_saveexec_b32 s2, s3
	s_xor_b32 s4, exec_lo, s2
	s_cbranch_execz .LBB248_166
; %bb.165:                              ;   in Loop: Header=BB248_4 Depth=1
	v_ldexp_f64 v[23:24], |v[3:4]|, 0xffffff80
	v_cmp_le_f64_e64 vcc_lo, 0x7b000000, |v[3:4]|
	v_trig_preop_f64 v[25:26], |v[3:4]|, 0
	v_and_b32_e32 v18, 0x7fffffff, v4
	v_trig_preop_f64 v[27:28], |v[3:4]|, 1
	v_trig_preop_f64 v[38:39], |v[3:4]|, 2
	s_mov_b32 s16, s18
	s_mov_b32 s25, s23
	v_dual_cndmask_b32 v23, v3, v23 :: v_dual_cndmask_b32 v24, v18, v24
	s_delay_alu instid0(VALU_DEP_1) | instskip(NEXT) | instid1(VALU_DEP_4)
	v_mul_f64 v[29:30], v[25:26], v[23:24]
	v_mul_f64 v[31:32], v[27:28], v[23:24]
	s_delay_alu instid0(VALU_DEP_2) | instskip(NEXT) | instid1(VALU_DEP_2)
	v_fma_f64 v[25:26], v[25:26], v[23:24], -v[29:30]
	v_fma_f64 v[27:28], v[27:28], v[23:24], -v[31:32]
	s_delay_alu instid0(VALU_DEP_2) | instskip(NEXT) | instid1(VALU_DEP_1)
	v_add_f64 v[33:34], v[31:32], v[25:26]
	v_add_f64 v[35:36], v[33:34], -v[31:32]
	v_add_f64 v[42:43], v[29:30], v[33:34]
	s_delay_alu instid0(VALU_DEP_2) | instskip(SKIP_1) | instid1(VALU_DEP_3)
	v_add_f64 v[40:41], v[33:34], -v[35:36]
	v_add_f64 v[25:26], v[25:26], -v[35:36]
	v_ldexp_f64 v[35:36], v[42:43], -2
	v_add_f64 v[29:30], v[42:43], -v[29:30]
	s_delay_alu instid0(VALU_DEP_4) | instskip(NEXT) | instid1(VALU_DEP_3)
	v_add_f64 v[31:32], v[31:32], -v[40:41]
	v_cmp_neq_f64_e64 vcc_lo, 0x7ff00000, |v[35:36]|
	s_delay_alu instid0(VALU_DEP_3) | instskip(NEXT) | instid1(VALU_DEP_3)
	v_add_f64 v[29:30], v[33:34], -v[29:30]
	v_add_f64 v[25:26], v[25:26], v[31:32]
	v_fract_f64_e32 v[31:32], v[35:36]
	s_delay_alu instid0(VALU_DEP_1) | instskip(SKIP_1) | instid1(VALU_DEP_3)
	v_cndmask_b32_e32 v31, 0, v31, vcc_lo
	v_mul_f64 v[44:45], v[38:39], v[23:24]
	v_cndmask_b32_e32 v32, 0, v32, vcc_lo
	s_delay_alu instid0(VALU_DEP_1) | instskip(NEXT) | instid1(VALU_DEP_3)
	v_ldexp_f64 v[31:32], v[31:32], 2
	v_add_f64 v[40:41], v[44:45], v[27:28]
	v_fma_f64 v[23:24], v[38:39], v[23:24], -v[44:45]
	s_delay_alu instid0(VALU_DEP_2) | instskip(NEXT) | instid1(VALU_DEP_1)
	v_add_f64 v[33:34], v[40:41], v[25:26]
	v_add_f64 v[35:36], v[29:30], v[33:34]
	v_add_f64 v[46:47], v[33:34], -v[40:41]
	s_delay_alu instid0(VALU_DEP_2) | instskip(NEXT) | instid1(VALU_DEP_2)
	v_add_f64 v[42:43], v[35:36], v[31:32]
	v_add_f64 v[52:53], v[33:34], -v[46:47]
	v_add_f64 v[25:26], v[25:26], -v[46:47]
	v_add_f64 v[29:30], v[35:36], -v[29:30]
	s_delay_alu instid0(VALU_DEP_4) | instskip(SKIP_1) | instid1(VALU_DEP_3)
	v_cmp_gt_f64_e32 vcc_lo, 0, v[42:43]
	v_add_f64 v[42:43], v[40:41], -v[44:45]
	v_add_f64 v[29:30], v[33:34], -v[29:30]
	v_cndmask_b32_e64 v18, 0, 0x40100000, vcc_lo
	s_delay_alu instid0(VALU_DEP_3) | instskip(SKIP_2) | instid1(VALU_DEP_4)
	v_add_f64 v[50:51], v[40:41], -v[42:43]
	v_add_f64 v[27:28], v[27:28], -v[42:43]
	;; [unrolled: 1-line block ×3, first 2 shown]
	v_add_f64 v[31:32], v[31:32], v[17:18]
	s_delay_alu instid0(VALU_DEP_4) | instskip(NEXT) | instid1(VALU_DEP_3)
	v_add_f64 v[42:43], v[44:45], -v[50:51]
	v_add_f64 v[25:26], v[25:26], v[40:41]
	s_delay_alu instid0(VALU_DEP_3) | instskip(NEXT) | instid1(VALU_DEP_3)
	v_add_f64 v[48:49], v[35:36], v[31:32]
	v_add_f64 v[27:28], v[27:28], v[42:43]
	s_delay_alu instid0(VALU_DEP_2) | instskip(NEXT) | instid1(VALU_DEP_2)
	v_cvt_i32_f64_e32 v18, v[48:49]
	v_add_f64 v[25:26], v[27:28], v[25:26]
	s_delay_alu instid0(VALU_DEP_2) | instskip(NEXT) | instid1(VALU_DEP_2)
	v_cvt_f64_i32_e32 v[46:47], v18
	v_add_f64 v[23:24], v[23:24], v[25:26]
	s_delay_alu instid0(VALU_DEP_2) | instskip(NEXT) | instid1(VALU_DEP_2)
	v_add_f64 v[31:32], v[31:32], -v[46:47]
	v_add_f64 v[23:24], v[29:30], v[23:24]
	s_delay_alu instid0(VALU_DEP_2) | instskip(NEXT) | instid1(VALU_DEP_1)
	v_add_f64 v[27:28], v[35:36], v[31:32]
	v_add_f64 v[25:26], v[27:28], -v[31:32]
	v_cmp_le_f64_e32 vcc_lo, 0.5, v[27:28]
	s_delay_alu instid0(VALU_DEP_2) | instskip(SKIP_2) | instid1(VALU_DEP_3)
	v_add_f64 v[25:26], v[35:36], -v[25:26]
	v_add_co_ci_u32_e64 v21, s2, 0, v18, vcc_lo
	v_cndmask_b32_e64 v18, 0, 0x3ff00000, vcc_lo
	v_add_f64 v[23:24], v[23:24], v[25:26]
	s_delay_alu instid0(VALU_DEP_2) | instskip(NEXT) | instid1(VALU_DEP_1)
	v_add_f64 v[25:26], v[27:28], -v[17:18]
	v_add_f64 v[27:28], v[25:26], v[23:24]
	s_delay_alu instid0(VALU_DEP_1) | instskip(SKIP_1) | instid1(VALU_DEP_2)
	v_mul_f64 v[29:30], v[27:28], s[16:17]
	v_add_f64 v[25:26], v[27:28], -v[25:26]
	v_fma_f64 v[31:32], v[27:28], s[16:17], -v[29:30]
	s_delay_alu instid0(VALU_DEP_2) | instskip(NEXT) | instid1(VALU_DEP_2)
	v_add_f64 v[23:24], v[23:24], -v[25:26]
	v_fma_f64 v[25:26], v[27:28], s[24:25], v[31:32]
	s_delay_alu instid0(VALU_DEP_1) | instskip(NEXT) | instid1(VALU_DEP_1)
	v_fma_f64 v[25:26], v[23:24], s[16:17], v[25:26]
	v_add_f64 v[23:24], v[29:30], v[25:26]
	s_delay_alu instid0(VALU_DEP_1) | instskip(NEXT) | instid1(VALU_DEP_1)
	v_add_f64 v[27:28], v[23:24], -v[29:30]
	v_add_f64 v[25:26], v[25:26], -v[27:28]
	s_and_not1_saveexec_b32 s2, s4
	s_cbranch_execz .LBB248_168
	s_branch .LBB248_167
.LBB248_166:                            ;   in Loop: Header=BB248_4 Depth=1
	s_and_not1_saveexec_b32 s2, s4
	s_cbranch_execz .LBB248_168
.LBB248_167:                            ;   in Loop: Header=BB248_4 Depth=1
	v_mul_f64 v[23:24], |v[3:4]|, s[26:27]
	s_mov_b32 s22, s28
	s_delay_alu instid0(VALU_DEP_1) | instskip(NEXT) | instid1(VALU_DEP_1)
	v_rndne_f64_e32 v[27:28], v[23:24]
	v_fma_f64 v[23:24], v[27:28], s[18:19], |v[3:4]|
	v_mul_f64 v[25:26], v[27:28], s[28:29]
	v_cvt_i32_f64_e32 v21, v[27:28]
	s_delay_alu instid0(VALU_DEP_3) | instskip(NEXT) | instid1(VALU_DEP_3)
	v_fma_f64 v[31:32], v[27:28], s[28:29], v[23:24]
	v_add_f64 v[29:30], v[23:24], v[25:26]
	s_delay_alu instid0(VALU_DEP_1) | instskip(NEXT) | instid1(VALU_DEP_3)
	v_add_f64 v[23:24], v[23:24], -v[29:30]
	v_add_f64 v[29:30], v[29:30], -v[31:32]
	s_delay_alu instid0(VALU_DEP_2) | instskip(SKIP_1) | instid1(VALU_DEP_2)
	v_add_f64 v[23:24], v[23:24], v[25:26]
	v_fma_f64 v[25:26], v[27:28], s[22:23], v[25:26]
	v_add_f64 v[23:24], v[29:30], v[23:24]
	s_delay_alu instid0(VALU_DEP_1) | instskip(NEXT) | instid1(VALU_DEP_1)
	v_add_f64 v[23:24], v[23:24], -v[25:26]
	v_fma_f64 v[25:26], v[27:28], s[30:31], v[23:24]
	s_delay_alu instid0(VALU_DEP_1) | instskip(NEXT) | instid1(VALU_DEP_1)
	v_add_f64 v[23:24], v[31:32], v[25:26]
	v_add_f64 v[29:30], v[23:24], -v[31:32]
	s_delay_alu instid0(VALU_DEP_1)
	v_add_f64 v[25:26], v[25:26], -v[29:30]
.LBB248_168:                            ;   in Loop: Header=BB248_4 Depth=1
	s_or_b32 exec_lo, exec_lo, s2
                                        ; implicit-def: $vgpr31
                                        ; implicit-def: $vgpr27_vgpr28
                                        ; implicit-def: $vgpr29_vgpr30
	s_and_saveexec_b32 s2, s3
	s_delay_alu instid0(SALU_CYCLE_1)
	s_xor_b32 s3, exec_lo, s2
	s_cbranch_execz .LBB248_170
; %bb.169:                              ;   in Loop: Header=BB248_4 Depth=1
	v_ldexp_f64 v[27:28], |v[3:4]|, 0xffffff80
	v_cmp_le_f64_e64 vcc_lo, 0x7b000000, |v[3:4]|
	v_trig_preop_f64 v[29:30], |v[3:4]|, 0
	v_and_b32_e32 v18, 0x7fffffff, v4
	v_trig_preop_f64 v[31:32], |v[3:4]|, 1
	v_trig_preop_f64 v[42:43], |v[3:4]|, 2
	s_mov_b32 s16, s18
	s_mov_b32 s25, s23
	v_dual_cndmask_b32 v27, v3, v27 :: v_dual_cndmask_b32 v28, v18, v28
	s_delay_alu instid0(VALU_DEP_1) | instskip(NEXT) | instid1(VALU_DEP_4)
	v_mul_f64 v[33:34], v[29:30], v[27:28]
	v_mul_f64 v[35:36], v[31:32], v[27:28]
	s_delay_alu instid0(VALU_DEP_2) | instskip(NEXT) | instid1(VALU_DEP_2)
	v_fma_f64 v[29:30], v[29:30], v[27:28], -v[33:34]
	v_fma_f64 v[31:32], v[31:32], v[27:28], -v[35:36]
	s_delay_alu instid0(VALU_DEP_2) | instskip(NEXT) | instid1(VALU_DEP_1)
	v_add_f64 v[38:39], v[35:36], v[29:30]
	v_add_f64 v[40:41], v[38:39], -v[35:36]
	v_add_f64 v[46:47], v[33:34], v[38:39]
	s_delay_alu instid0(VALU_DEP_2) | instskip(SKIP_1) | instid1(VALU_DEP_3)
	v_add_f64 v[44:45], v[38:39], -v[40:41]
	v_add_f64 v[29:30], v[29:30], -v[40:41]
	v_ldexp_f64 v[40:41], v[46:47], -2
	v_add_f64 v[33:34], v[46:47], -v[33:34]
	s_delay_alu instid0(VALU_DEP_4) | instskip(NEXT) | instid1(VALU_DEP_3)
	v_add_f64 v[35:36], v[35:36], -v[44:45]
	v_cmp_neq_f64_e64 vcc_lo, 0x7ff00000, |v[40:41]|
	s_delay_alu instid0(VALU_DEP_3) | instskip(NEXT) | instid1(VALU_DEP_3)
	v_add_f64 v[33:34], v[38:39], -v[33:34]
	v_add_f64 v[29:30], v[29:30], v[35:36]
	v_fract_f64_e32 v[35:36], v[40:41]
	s_delay_alu instid0(VALU_DEP_1) | instskip(SKIP_1) | instid1(VALU_DEP_3)
	v_cndmask_b32_e32 v35, 0, v35, vcc_lo
	v_mul_f64 v[48:49], v[42:43], v[27:28]
	v_cndmask_b32_e32 v36, 0, v36, vcc_lo
	s_delay_alu instid0(VALU_DEP_1) | instskip(NEXT) | instid1(VALU_DEP_3)
	v_ldexp_f64 v[35:36], v[35:36], 2
	v_add_f64 v[44:45], v[48:49], v[31:32]
	v_fma_f64 v[27:28], v[42:43], v[27:28], -v[48:49]
	s_delay_alu instid0(VALU_DEP_2) | instskip(NEXT) | instid1(VALU_DEP_1)
	v_add_f64 v[38:39], v[44:45], v[29:30]
	v_add_f64 v[40:41], v[33:34], v[38:39]
	v_add_f64 v[50:51], v[38:39], -v[44:45]
	s_delay_alu instid0(VALU_DEP_2) | instskip(NEXT) | instid1(VALU_DEP_2)
	v_add_f64 v[46:47], v[40:41], v[35:36]
	v_add_f64 v[56:57], v[38:39], -v[50:51]
	v_add_f64 v[29:30], v[29:30], -v[50:51]
	;; [unrolled: 1-line block ×3, first 2 shown]
	s_delay_alu instid0(VALU_DEP_4) | instskip(SKIP_2) | instid1(VALU_DEP_2)
	v_cmp_gt_f64_e32 vcc_lo, 0, v[46:47]
	v_add_f64 v[46:47], v[44:45], -v[48:49]
	v_cndmask_b32_e64 v18, 0, 0x40100000, vcc_lo
	v_add_f64 v[54:55], v[44:45], -v[46:47]
	v_add_f64 v[31:32], v[31:32], -v[46:47]
	;; [unrolled: 1-line block ×3, first 2 shown]
	s_delay_alu instid0(VALU_DEP_4) | instskip(NEXT) | instid1(VALU_DEP_4)
	v_add_f64 v[35:36], v[35:36], v[17:18]
	v_add_f64 v[46:47], v[48:49], -v[54:55]
	s_delay_alu instid0(VALU_DEP_3) | instskip(NEXT) | instid1(VALU_DEP_3)
	v_add_f64 v[29:30], v[29:30], v[44:45]
	v_add_f64 v[52:53], v[40:41], v[35:36]
	s_delay_alu instid0(VALU_DEP_3) | instskip(NEXT) | instid1(VALU_DEP_2)
	v_add_f64 v[31:32], v[31:32], v[46:47]
	v_cvt_i32_f64_e32 v18, v[52:53]
	s_delay_alu instid0(VALU_DEP_2) | instskip(SKIP_1) | instid1(VALU_DEP_3)
	v_add_f64 v[29:30], v[31:32], v[29:30]
	v_add_f64 v[31:32], v[38:39], -v[33:34]
	v_cvt_f64_i32_e32 v[50:51], v18
	s_delay_alu instid0(VALU_DEP_3) | instskip(NEXT) | instid1(VALU_DEP_2)
	v_add_f64 v[27:28], v[27:28], v[29:30]
	v_add_f64 v[35:36], v[35:36], -v[50:51]
	s_delay_alu instid0(VALU_DEP_2) | instskip(NEXT) | instid1(VALU_DEP_2)
	v_add_f64 v[27:28], v[31:32], v[27:28]
	v_add_f64 v[42:43], v[40:41], v[35:36]
	s_delay_alu instid0(VALU_DEP_1) | instskip(SKIP_1) | instid1(VALU_DEP_2)
	v_add_f64 v[29:30], v[42:43], -v[35:36]
	v_cmp_le_f64_e32 vcc_lo, 0.5, v[42:43]
	v_add_f64 v[29:30], v[40:41], -v[29:30]
	v_add_co_ci_u32_e64 v31, s2, 0, v18, vcc_lo
	v_cndmask_b32_e64 v18, 0, 0x3ff00000, vcc_lo
	s_delay_alu instid0(VALU_DEP_3) | instskip(NEXT) | instid1(VALU_DEP_2)
	v_add_f64 v[27:28], v[27:28], v[29:30]
	v_add_f64 v[29:30], v[42:43], -v[17:18]
	s_delay_alu instid0(VALU_DEP_1) | instskip(NEXT) | instid1(VALU_DEP_1)
	v_add_f64 v[32:33], v[29:30], v[27:28]
	v_mul_f64 v[34:35], v[32:33], s[16:17]
	v_add_f64 v[29:30], v[32:33], -v[29:30]
	s_delay_alu instid0(VALU_DEP_2) | instskip(NEXT) | instid1(VALU_DEP_2)
	v_fma_f64 v[38:39], v[32:33], s[16:17], -v[34:35]
	v_add_f64 v[27:28], v[27:28], -v[29:30]
	s_delay_alu instid0(VALU_DEP_2) | instskip(NEXT) | instid1(VALU_DEP_1)
	v_fma_f64 v[29:30], v[32:33], s[24:25], v[38:39]
	v_fma_f64 v[29:30], v[27:28], s[16:17], v[29:30]
	s_delay_alu instid0(VALU_DEP_1) | instskip(NEXT) | instid1(VALU_DEP_1)
	v_add_f64 v[27:28], v[34:35], v[29:30]
	v_add_f64 v[32:33], v[27:28], -v[34:35]
	s_delay_alu instid0(VALU_DEP_1)
	v_add_f64 v[29:30], v[29:30], -v[32:33]
	s_and_not1_saveexec_b32 s2, s3
	s_cbranch_execnz .LBB248_171
	s_branch .LBB248_172
.LBB248_170:                            ;   in Loop: Header=BB248_4 Depth=1
	s_and_not1_saveexec_b32 s2, s3
	s_cbranch_execz .LBB248_172
.LBB248_171:                            ;   in Loop: Header=BB248_4 Depth=1
	v_mul_f64 v[27:28], |v[3:4]|, s[26:27]
	s_mov_b32 s22, s28
	s_delay_alu instid0(VALU_DEP_1) | instskip(NEXT) | instid1(VALU_DEP_1)
	v_rndne_f64_e32 v[31:32], v[27:28]
	v_fma_f64 v[27:28], v[31:32], s[18:19], |v[3:4]|
	v_mul_f64 v[29:30], v[31:32], s[28:29]
	s_delay_alu instid0(VALU_DEP_2) | instskip(NEXT) | instid1(VALU_DEP_2)
	v_fma_f64 v[35:36], v[31:32], s[28:29], v[27:28]
	v_add_f64 v[33:34], v[27:28], v[29:30]
	s_delay_alu instid0(VALU_DEP_1) | instskip(NEXT) | instid1(VALU_DEP_3)
	v_add_f64 v[27:28], v[27:28], -v[33:34]
	v_add_f64 v[33:34], v[33:34], -v[35:36]
	s_delay_alu instid0(VALU_DEP_2) | instskip(SKIP_1) | instid1(VALU_DEP_2)
	v_add_f64 v[27:28], v[27:28], v[29:30]
	v_fma_f64 v[29:30], v[31:32], s[22:23], v[29:30]
	v_add_f64 v[27:28], v[33:34], v[27:28]
	s_delay_alu instid0(VALU_DEP_1) | instskip(NEXT) | instid1(VALU_DEP_1)
	v_add_f64 v[27:28], v[27:28], -v[29:30]
	v_fma_f64 v[29:30], v[31:32], s[30:31], v[27:28]
	v_cvt_i32_f64_e32 v31, v[31:32]
	s_delay_alu instid0(VALU_DEP_2) | instskip(NEXT) | instid1(VALU_DEP_1)
	v_add_f64 v[27:28], v[35:36], v[29:30]
	v_add_f64 v[33:34], v[27:28], -v[35:36]
	s_delay_alu instid0(VALU_DEP_1)
	v_add_f64 v[29:30], v[29:30], -v[33:34]
.LBB248_172:                            ;   in Loop: Header=BB248_4 Depth=1
	s_or_b32 exec_lo, exec_lo, s2
	s_mov_b32 s34, s36
	v_mul_f64 v[40:41], v[23:24], v[23:24]
	v_mul_f64 v[32:33], v[1:2], s[34:35]
	;; [unrolled: 1-line block ×3, first 2 shown]
	s_mov_b32 s83, s55
	s_mov_b32 s85, s57
	s_delay_alu instid0(VALU_DEP_4)
	v_mul_f64 v[60:61], v[25:26], 0.5
	v_mul_f64 v[66:67], v[29:30], 0.5
	s_mov_b32 s86, s56
	v_cmp_ngt_f64_e64 s3, 0xc0900000, v[1:2]
	v_cmp_nlt_f64_e64 s4, 0x4090cc00, v[1:2]
	v_cmp_class_f64_e64 s2, v[3:4], 0x1f8
	v_and_b32_e32 v3, 1, v31
	s_delay_alu instid0(VALU_DEP_1)
	v_cmp_eq_u32_e64 s5, 0, v3
	v_fma_f64 v[44:45], v[40:41], s[74:75], s[72:73]
	v_rndne_f64_e32 v[32:33], v[32:33]
	v_fma_f64 v[46:47], v[42:43], s[74:75], s[72:73]
	v_fma_f64 v[48:49], v[40:41], s[64:65], s[62:63]
	v_mul_f64 v[50:51], v[40:41], 0.5
	v_fma_f64 v[52:53], v[42:43], s[64:65], s[62:63]
	v_mul_f64 v[54:55], v[42:43], 0.5
	v_mul_f64 v[62:63], v[23:24], -v[40:41]
	v_mul_f64 v[68:69], v[27:28], -v[42:43]
	v_fma_f64 v[44:45], v[40:41], v[44:45], s[76:77]
	v_fma_f64 v[34:35], v[32:33], s[38:39], -v[1:2]
	v_fma_f64 v[46:47], v[42:43], v[46:47], s[76:77]
	v_fma_f64 v[48:49], v[40:41], v[48:49], s[66:67]
	v_add_f64 v[56:57], -v[50:51], 1.0
	v_fma_f64 v[52:53], v[42:43], v[52:53], s[66:67]
	v_add_f64 v[58:59], -v[54:55], 1.0
	v_cvt_i32_f64_e32 v18, v[32:33]
	v_lshlrev_b32_e32 v2, 30, v21
	v_lshlrev_b32_e32 v1, 30, v31
	s_delay_alu instid0(VALU_DEP_1)
	v_xor_b32_e32 v1, v1, v22
	v_fma_f64 v[44:45], v[40:41], v[44:45], s[78:79]
	v_fma_f64 v[34:35], v[32:33], s[40:41], v[34:35]
	;; [unrolled: 1-line block ×4, first 2 shown]
	v_add_f64 v[64:65], -v[56:57], 1.0
	v_fma_f64 v[52:53], v[42:43], v[52:53], s[68:69]
	v_add_f64 v[70:71], -v[58:59], 1.0
	v_fma_f64 v[44:45], v[40:41], v[44:45], s[54:55]
	v_fma_f64 v[38:39], v[34:35], s[44:45], s[42:43]
	;; [unrolled: 1-line block ×4, first 2 shown]
	v_add_f64 v[50:51], v[64:65], -v[50:51]
	v_fma_f64 v[52:53], v[42:43], v[52:53], s[70:71]
	v_add_f64 v[54:55], v[70:71], -v[54:55]
	v_fma_f64 v[44:45], v[62:63], v[44:45], v[60:61]
	v_fma_f64 v[38:39], v[34:35], v[38:39], s[46:47]
	;; [unrolled: 1-line block ×3, first 2 shown]
	v_mul_f64 v[60:61], v[40:41], v[40:41]
	v_fma_f64 v[48:49], v[40:41], v[48:49], s[56:57]
	v_fma_f64 v[50:51], v[23:24], -v[25:26], v[50:51]
	v_fma_f64 v[25:26], v[40:41], v[44:45], -v[25:26]
	v_fma_f64 v[38:39], v[34:35], v[38:39], s[48:49]
	v_mul_f64 v[40:41], v[42:43], v[42:43]
	v_fma_f64 v[44:45], v[42:43], v[52:53], s[56:57]
	v_fma_f64 v[52:53], v[27:28], -v[29:30], v[54:55]
	v_fma_f64 v[29:30], v[42:43], v[46:47], -v[29:30]
	v_fma_f64 v[42:43], v[60:61], v[48:49], v[50:51]
	v_fma_f64 v[25:26], v[62:63], s[86:87], v[25:26]
	;; [unrolled: 1-line block ×3, first 2 shown]
	s_delay_alu instid0(VALU_DEP_4) | instskip(NEXT) | instid1(VALU_DEP_3)
	v_fma_f64 v[29:30], v[68:69], s[86:87], v[29:30]
	v_add_f64 v[23:24], v[23:24], -v[25:26]
	s_delay_alu instid0(VALU_DEP_3) | instskip(NEXT) | instid1(VALU_DEP_3)
	v_fma_f64 v[38:39], v[34:35], v[38:39], s[52:53]
	v_add_f64 v[27:28], v[27:28], -v[29:30]
	s_delay_alu instid0(VALU_DEP_2) | instskip(NEXT) | instid1(VALU_DEP_1)
	v_fma_f64 v[38:39], v[34:35], v[38:39], s[82:83]
	v_fma_f64 v[38:39], v[34:35], v[38:39], s[84:85]
	s_delay_alu instid0(VALU_DEP_1) | instskip(NEXT) | instid1(VALU_DEP_1)
	v_fma_f64 v[38:39], v[34:35], v[38:39], s[58:59]
	v_fma_f64 v[38:39], v[34:35], v[38:39], s[60:61]
	s_delay_alu instid0(VALU_DEP_1) | instskip(NEXT) | instid1(VALU_DEP_1)
	v_fma_f64 v[38:39], v[34:35], v[38:39], 1.0
	v_fma_f64 v[32:33], v[34:35], v[38:39], 1.0
	v_fma_f64 v[34:35], v[40:41], v[44:45], v[52:53]
	v_add_f64 v[38:39], v[56:57], v[42:43]
	s_delay_alu instid0(VALU_DEP_3) | instskip(NEXT) | instid1(VALU_DEP_3)
	v_ldexp_f64 v[25:26], v[32:33], v18
	v_add_f64 v[32:33], v[58:59], v[34:35]
	v_and_b32_e32 v18, 1, v21
	v_xor_b32_e32 v21, 0x80000000, v24
	s_delay_alu instid0(VALU_DEP_2) | instskip(NEXT) | instid1(VALU_DEP_2)
	v_cmp_eq_u32_e32 vcc_lo, 0, v18
	v_dual_cndmask_b32 v3, v21, v39 :: v_dual_cndmask_b32 v18, v23, v38
	s_and_b32 vcc_lo, s4, s3
	v_and_b32_e32 v2, 0x80000000, v2
	v_and_b32_e32 v21, 0x80000000, v1
	s_delay_alu instid0(VALU_DEP_3) | instskip(SKIP_3) | instid1(VALU_DEP_2)
	v_cndmask_b32_e64 v1, 0, v18, s2
	v_cndmask_b32_e64 v4, 0x7ff00000, v26, s3
	;; [unrolled: 1-line block ×4, first 2 shown]
	v_xor_b32_e32 v18, v23, v21
	v_cndmask_b32_e32 v21, 0, v25, vcc_lo
	v_xor_b32_e32 v2, v3, v2
	s_delay_alu instid0(VALU_DEP_4) | instskip(SKIP_2) | instid1(VALU_DEP_4)
	v_cndmask_b32_e64 v3, 0, v22, s2
	v_cndmask_b32_e64 v22, 0, v4, s4
	;; [unrolled: 1-line block ×4, first 2 shown]
	s_delay_alu instid0(VALU_DEP_1) | instskip(NEXT) | instid1(VALU_DEP_3)
	v_mul_f64 v[23:24], v[21:22], v[1:2]
	v_mul_f64 v[21:22], v[21:22], v[3:4]
                                        ; implicit-def: $vgpr3_vgpr4
.LBB248_173:                            ;   in Loop: Header=BB248_4 Depth=1
	s_and_not1_saveexec_b32 s34, s99
	s_cbranch_execz .LBB248_183
; %bb.174:                              ;   in Loop: Header=BB248_4 Depth=1
	v_cmp_ngt_f64_e64 s3, 0x41d00000, |v[3:4]|
                                        ; implicit-def: $vgpr21
                                        ; implicit-def: $vgpr23_vgpr24
                                        ; implicit-def: $vgpr25_vgpr26
	s_delay_alu instid0(VALU_DEP_1) | instskip(NEXT) | instid1(SALU_CYCLE_1)
	s_and_saveexec_b32 s2, s3
	s_xor_b32 s4, exec_lo, s2
	s_cbranch_execz .LBB248_176
; %bb.175:                              ;   in Loop: Header=BB248_4 Depth=1
	v_ldexp_f64 v[23:24], |v[3:4]|, 0xffffff80
	v_cmp_le_f64_e64 vcc_lo, 0x7b000000, |v[3:4]|
	v_trig_preop_f64 v[25:26], |v[3:4]|, 0
	v_and_b32_e32 v18, 0x7fffffff, v4
	v_trig_preop_f64 v[27:28], |v[3:4]|, 1
	v_trig_preop_f64 v[38:39], |v[3:4]|, 2
	s_mov_b32 s16, s18
	s_mov_b32 s25, s23
	v_dual_cndmask_b32 v23, v3, v23 :: v_dual_cndmask_b32 v24, v18, v24
	s_delay_alu instid0(VALU_DEP_1) | instskip(NEXT) | instid1(VALU_DEP_4)
	v_mul_f64 v[29:30], v[25:26], v[23:24]
	v_mul_f64 v[31:32], v[27:28], v[23:24]
	s_delay_alu instid0(VALU_DEP_2) | instskip(NEXT) | instid1(VALU_DEP_2)
	v_fma_f64 v[25:26], v[25:26], v[23:24], -v[29:30]
	v_fma_f64 v[27:28], v[27:28], v[23:24], -v[31:32]
	s_delay_alu instid0(VALU_DEP_2) | instskip(NEXT) | instid1(VALU_DEP_1)
	v_add_f64 v[33:34], v[31:32], v[25:26]
	v_add_f64 v[35:36], v[33:34], -v[31:32]
	v_add_f64 v[42:43], v[29:30], v[33:34]
	s_delay_alu instid0(VALU_DEP_2) | instskip(SKIP_1) | instid1(VALU_DEP_3)
	v_add_f64 v[40:41], v[33:34], -v[35:36]
	v_add_f64 v[25:26], v[25:26], -v[35:36]
	v_ldexp_f64 v[35:36], v[42:43], -2
	v_add_f64 v[29:30], v[42:43], -v[29:30]
	s_delay_alu instid0(VALU_DEP_4) | instskip(NEXT) | instid1(VALU_DEP_3)
	v_add_f64 v[31:32], v[31:32], -v[40:41]
	v_cmp_neq_f64_e64 vcc_lo, 0x7ff00000, |v[35:36]|
	s_delay_alu instid0(VALU_DEP_3) | instskip(NEXT) | instid1(VALU_DEP_3)
	v_add_f64 v[29:30], v[33:34], -v[29:30]
	v_add_f64 v[25:26], v[25:26], v[31:32]
	v_fract_f64_e32 v[31:32], v[35:36]
	s_delay_alu instid0(VALU_DEP_1) | instskip(SKIP_1) | instid1(VALU_DEP_3)
	v_cndmask_b32_e32 v31, 0, v31, vcc_lo
	v_mul_f64 v[44:45], v[38:39], v[23:24]
	v_cndmask_b32_e32 v32, 0, v32, vcc_lo
	s_delay_alu instid0(VALU_DEP_1) | instskip(NEXT) | instid1(VALU_DEP_3)
	v_ldexp_f64 v[31:32], v[31:32], 2
	v_add_f64 v[40:41], v[44:45], v[27:28]
	v_fma_f64 v[23:24], v[38:39], v[23:24], -v[44:45]
	s_delay_alu instid0(VALU_DEP_2) | instskip(NEXT) | instid1(VALU_DEP_1)
	v_add_f64 v[33:34], v[40:41], v[25:26]
	v_add_f64 v[35:36], v[29:30], v[33:34]
	v_add_f64 v[46:47], v[33:34], -v[40:41]
	s_delay_alu instid0(VALU_DEP_2) | instskip(NEXT) | instid1(VALU_DEP_2)
	v_add_f64 v[42:43], v[35:36], v[31:32]
	v_add_f64 v[52:53], v[33:34], -v[46:47]
	v_add_f64 v[25:26], v[25:26], -v[46:47]
	;; [unrolled: 1-line block ×3, first 2 shown]
	s_delay_alu instid0(VALU_DEP_4) | instskip(SKIP_1) | instid1(VALU_DEP_3)
	v_cmp_gt_f64_e32 vcc_lo, 0, v[42:43]
	v_add_f64 v[42:43], v[40:41], -v[44:45]
	v_add_f64 v[29:30], v[33:34], -v[29:30]
	v_cndmask_b32_e64 v18, 0, 0x40100000, vcc_lo
	s_delay_alu instid0(VALU_DEP_3) | instskip(SKIP_2) | instid1(VALU_DEP_4)
	v_add_f64 v[50:51], v[40:41], -v[42:43]
	v_add_f64 v[27:28], v[27:28], -v[42:43]
	;; [unrolled: 1-line block ×3, first 2 shown]
	v_add_f64 v[31:32], v[31:32], v[17:18]
	s_delay_alu instid0(VALU_DEP_4) | instskip(NEXT) | instid1(VALU_DEP_3)
	v_add_f64 v[42:43], v[44:45], -v[50:51]
	v_add_f64 v[25:26], v[25:26], v[40:41]
	s_delay_alu instid0(VALU_DEP_3) | instskip(NEXT) | instid1(VALU_DEP_3)
	v_add_f64 v[48:49], v[35:36], v[31:32]
	v_add_f64 v[27:28], v[27:28], v[42:43]
	s_delay_alu instid0(VALU_DEP_2) | instskip(NEXT) | instid1(VALU_DEP_2)
	v_cvt_i32_f64_e32 v18, v[48:49]
	v_add_f64 v[25:26], v[27:28], v[25:26]
	s_delay_alu instid0(VALU_DEP_2) | instskip(NEXT) | instid1(VALU_DEP_2)
	v_cvt_f64_i32_e32 v[46:47], v18
	v_add_f64 v[23:24], v[23:24], v[25:26]
	s_delay_alu instid0(VALU_DEP_2) | instskip(NEXT) | instid1(VALU_DEP_2)
	v_add_f64 v[31:32], v[31:32], -v[46:47]
	v_add_f64 v[23:24], v[29:30], v[23:24]
	s_delay_alu instid0(VALU_DEP_2) | instskip(NEXT) | instid1(VALU_DEP_1)
	v_add_f64 v[27:28], v[35:36], v[31:32]
	v_add_f64 v[25:26], v[27:28], -v[31:32]
	v_cmp_le_f64_e32 vcc_lo, 0.5, v[27:28]
	s_delay_alu instid0(VALU_DEP_2) | instskip(SKIP_2) | instid1(VALU_DEP_3)
	v_add_f64 v[25:26], v[35:36], -v[25:26]
	v_add_co_ci_u32_e64 v21, s2, 0, v18, vcc_lo
	v_cndmask_b32_e64 v18, 0, 0x3ff00000, vcc_lo
	v_add_f64 v[23:24], v[23:24], v[25:26]
	s_delay_alu instid0(VALU_DEP_2) | instskip(NEXT) | instid1(VALU_DEP_1)
	v_add_f64 v[25:26], v[27:28], -v[17:18]
	v_add_f64 v[27:28], v[25:26], v[23:24]
	s_delay_alu instid0(VALU_DEP_1) | instskip(SKIP_1) | instid1(VALU_DEP_2)
	v_mul_f64 v[29:30], v[27:28], s[16:17]
	v_add_f64 v[25:26], v[27:28], -v[25:26]
	v_fma_f64 v[31:32], v[27:28], s[16:17], -v[29:30]
	s_delay_alu instid0(VALU_DEP_2) | instskip(NEXT) | instid1(VALU_DEP_2)
	v_add_f64 v[23:24], v[23:24], -v[25:26]
	v_fma_f64 v[25:26], v[27:28], s[24:25], v[31:32]
	s_delay_alu instid0(VALU_DEP_1) | instskip(NEXT) | instid1(VALU_DEP_1)
	v_fma_f64 v[25:26], v[23:24], s[16:17], v[25:26]
	v_add_f64 v[23:24], v[29:30], v[25:26]
	s_delay_alu instid0(VALU_DEP_1) | instskip(NEXT) | instid1(VALU_DEP_1)
	v_add_f64 v[27:28], v[23:24], -v[29:30]
	v_add_f64 v[25:26], v[25:26], -v[27:28]
	s_and_not1_saveexec_b32 s2, s4
	s_cbranch_execz .LBB248_178
	s_branch .LBB248_177
.LBB248_176:                            ;   in Loop: Header=BB248_4 Depth=1
	s_and_not1_saveexec_b32 s2, s4
	s_cbranch_execz .LBB248_178
.LBB248_177:                            ;   in Loop: Header=BB248_4 Depth=1
	v_mul_f64 v[23:24], |v[3:4]|, s[26:27]
	s_mov_b32 s22, s28
	s_delay_alu instid0(VALU_DEP_1) | instskip(NEXT) | instid1(VALU_DEP_1)
	v_rndne_f64_e32 v[27:28], v[23:24]
	v_fma_f64 v[23:24], v[27:28], s[18:19], |v[3:4]|
	v_mul_f64 v[25:26], v[27:28], s[28:29]
	v_cvt_i32_f64_e32 v21, v[27:28]
	s_delay_alu instid0(VALU_DEP_3) | instskip(NEXT) | instid1(VALU_DEP_3)
	v_fma_f64 v[31:32], v[27:28], s[28:29], v[23:24]
	v_add_f64 v[29:30], v[23:24], v[25:26]
	s_delay_alu instid0(VALU_DEP_1) | instskip(NEXT) | instid1(VALU_DEP_3)
	v_add_f64 v[23:24], v[23:24], -v[29:30]
	v_add_f64 v[29:30], v[29:30], -v[31:32]
	s_delay_alu instid0(VALU_DEP_2) | instskip(SKIP_1) | instid1(VALU_DEP_2)
	v_add_f64 v[23:24], v[23:24], v[25:26]
	v_fma_f64 v[25:26], v[27:28], s[22:23], v[25:26]
	v_add_f64 v[23:24], v[29:30], v[23:24]
	s_delay_alu instid0(VALU_DEP_1) | instskip(NEXT) | instid1(VALU_DEP_1)
	v_add_f64 v[23:24], v[23:24], -v[25:26]
	v_fma_f64 v[25:26], v[27:28], s[30:31], v[23:24]
	s_delay_alu instid0(VALU_DEP_1) | instskip(NEXT) | instid1(VALU_DEP_1)
	v_add_f64 v[23:24], v[31:32], v[25:26]
	v_add_f64 v[29:30], v[23:24], -v[31:32]
	s_delay_alu instid0(VALU_DEP_1)
	v_add_f64 v[25:26], v[25:26], -v[29:30]
.LBB248_178:                            ;   in Loop: Header=BB248_4 Depth=1
	s_or_b32 exec_lo, exec_lo, s2
                                        ; implicit-def: $vgpr31
                                        ; implicit-def: $vgpr27_vgpr28
                                        ; implicit-def: $vgpr29_vgpr30
	s_and_saveexec_b32 s2, s3
	s_delay_alu instid0(SALU_CYCLE_1)
	s_xor_b32 s3, exec_lo, s2
	s_cbranch_execz .LBB248_180
; %bb.179:                              ;   in Loop: Header=BB248_4 Depth=1
	v_ldexp_f64 v[27:28], |v[3:4]|, 0xffffff80
	v_cmp_le_f64_e64 vcc_lo, 0x7b000000, |v[3:4]|
	v_trig_preop_f64 v[29:30], |v[3:4]|, 0
	v_and_b32_e32 v18, 0x7fffffff, v4
	v_trig_preop_f64 v[31:32], |v[3:4]|, 1
	v_trig_preop_f64 v[42:43], |v[3:4]|, 2
	s_mov_b32 s16, s18
	s_mov_b32 s25, s23
	v_dual_cndmask_b32 v27, v3, v27 :: v_dual_cndmask_b32 v28, v18, v28
	s_delay_alu instid0(VALU_DEP_1) | instskip(NEXT) | instid1(VALU_DEP_4)
	v_mul_f64 v[33:34], v[29:30], v[27:28]
	v_mul_f64 v[35:36], v[31:32], v[27:28]
	s_delay_alu instid0(VALU_DEP_2) | instskip(NEXT) | instid1(VALU_DEP_2)
	v_fma_f64 v[29:30], v[29:30], v[27:28], -v[33:34]
	v_fma_f64 v[31:32], v[31:32], v[27:28], -v[35:36]
	s_delay_alu instid0(VALU_DEP_2) | instskip(NEXT) | instid1(VALU_DEP_1)
	v_add_f64 v[38:39], v[35:36], v[29:30]
	v_add_f64 v[40:41], v[38:39], -v[35:36]
	v_add_f64 v[46:47], v[33:34], v[38:39]
	s_delay_alu instid0(VALU_DEP_2) | instskip(SKIP_1) | instid1(VALU_DEP_3)
	v_add_f64 v[44:45], v[38:39], -v[40:41]
	v_add_f64 v[29:30], v[29:30], -v[40:41]
	v_ldexp_f64 v[40:41], v[46:47], -2
	v_add_f64 v[33:34], v[46:47], -v[33:34]
	s_delay_alu instid0(VALU_DEP_4) | instskip(NEXT) | instid1(VALU_DEP_3)
	v_add_f64 v[35:36], v[35:36], -v[44:45]
	v_cmp_neq_f64_e64 vcc_lo, 0x7ff00000, |v[40:41]|
	s_delay_alu instid0(VALU_DEP_3) | instskip(NEXT) | instid1(VALU_DEP_3)
	v_add_f64 v[33:34], v[38:39], -v[33:34]
	v_add_f64 v[29:30], v[29:30], v[35:36]
	v_fract_f64_e32 v[35:36], v[40:41]
	s_delay_alu instid0(VALU_DEP_1) | instskip(SKIP_1) | instid1(VALU_DEP_3)
	v_cndmask_b32_e32 v35, 0, v35, vcc_lo
	v_mul_f64 v[48:49], v[42:43], v[27:28]
	v_cndmask_b32_e32 v36, 0, v36, vcc_lo
	s_delay_alu instid0(VALU_DEP_1) | instskip(NEXT) | instid1(VALU_DEP_3)
	v_ldexp_f64 v[35:36], v[35:36], 2
	v_add_f64 v[44:45], v[48:49], v[31:32]
	v_fma_f64 v[27:28], v[42:43], v[27:28], -v[48:49]
	s_delay_alu instid0(VALU_DEP_2) | instskip(NEXT) | instid1(VALU_DEP_1)
	v_add_f64 v[38:39], v[44:45], v[29:30]
	v_add_f64 v[40:41], v[33:34], v[38:39]
	v_add_f64 v[50:51], v[38:39], -v[44:45]
	s_delay_alu instid0(VALU_DEP_2) | instskip(NEXT) | instid1(VALU_DEP_2)
	v_add_f64 v[46:47], v[40:41], v[35:36]
	v_add_f64 v[56:57], v[38:39], -v[50:51]
	v_add_f64 v[29:30], v[29:30], -v[50:51]
	;; [unrolled: 1-line block ×3, first 2 shown]
	s_delay_alu instid0(VALU_DEP_4) | instskip(SKIP_2) | instid1(VALU_DEP_2)
	v_cmp_gt_f64_e32 vcc_lo, 0, v[46:47]
	v_add_f64 v[46:47], v[44:45], -v[48:49]
	v_cndmask_b32_e64 v18, 0, 0x40100000, vcc_lo
	v_add_f64 v[54:55], v[44:45], -v[46:47]
	v_add_f64 v[31:32], v[31:32], -v[46:47]
	;; [unrolled: 1-line block ×3, first 2 shown]
	s_delay_alu instid0(VALU_DEP_4) | instskip(NEXT) | instid1(VALU_DEP_4)
	v_add_f64 v[35:36], v[35:36], v[17:18]
	v_add_f64 v[46:47], v[48:49], -v[54:55]
	s_delay_alu instid0(VALU_DEP_3) | instskip(NEXT) | instid1(VALU_DEP_3)
	v_add_f64 v[29:30], v[29:30], v[44:45]
	v_add_f64 v[52:53], v[40:41], v[35:36]
	s_delay_alu instid0(VALU_DEP_3) | instskip(NEXT) | instid1(VALU_DEP_2)
	v_add_f64 v[31:32], v[31:32], v[46:47]
	v_cvt_i32_f64_e32 v18, v[52:53]
	s_delay_alu instid0(VALU_DEP_2) | instskip(SKIP_1) | instid1(VALU_DEP_3)
	v_add_f64 v[29:30], v[31:32], v[29:30]
	v_add_f64 v[31:32], v[38:39], -v[33:34]
	v_cvt_f64_i32_e32 v[50:51], v18
	s_delay_alu instid0(VALU_DEP_3) | instskip(NEXT) | instid1(VALU_DEP_2)
	v_add_f64 v[27:28], v[27:28], v[29:30]
	v_add_f64 v[35:36], v[35:36], -v[50:51]
	s_delay_alu instid0(VALU_DEP_2) | instskip(NEXT) | instid1(VALU_DEP_2)
	v_add_f64 v[27:28], v[31:32], v[27:28]
	v_add_f64 v[42:43], v[40:41], v[35:36]
	s_delay_alu instid0(VALU_DEP_1) | instskip(SKIP_1) | instid1(VALU_DEP_2)
	v_add_f64 v[29:30], v[42:43], -v[35:36]
	v_cmp_le_f64_e32 vcc_lo, 0.5, v[42:43]
	v_add_f64 v[29:30], v[40:41], -v[29:30]
	v_add_co_ci_u32_e64 v31, s2, 0, v18, vcc_lo
	v_cndmask_b32_e64 v18, 0, 0x3ff00000, vcc_lo
	s_delay_alu instid0(VALU_DEP_3) | instskip(NEXT) | instid1(VALU_DEP_2)
	v_add_f64 v[27:28], v[27:28], v[29:30]
	v_add_f64 v[29:30], v[42:43], -v[17:18]
	s_delay_alu instid0(VALU_DEP_1) | instskip(NEXT) | instid1(VALU_DEP_1)
	v_add_f64 v[32:33], v[29:30], v[27:28]
	v_mul_f64 v[34:35], v[32:33], s[16:17]
	v_add_f64 v[29:30], v[32:33], -v[29:30]
	s_delay_alu instid0(VALU_DEP_2) | instskip(NEXT) | instid1(VALU_DEP_2)
	v_fma_f64 v[38:39], v[32:33], s[16:17], -v[34:35]
	v_add_f64 v[27:28], v[27:28], -v[29:30]
	s_delay_alu instid0(VALU_DEP_2) | instskip(NEXT) | instid1(VALU_DEP_1)
	v_fma_f64 v[29:30], v[32:33], s[24:25], v[38:39]
	v_fma_f64 v[29:30], v[27:28], s[16:17], v[29:30]
	s_delay_alu instid0(VALU_DEP_1) | instskip(NEXT) | instid1(VALU_DEP_1)
	v_add_f64 v[27:28], v[34:35], v[29:30]
	v_add_f64 v[32:33], v[27:28], -v[34:35]
	s_delay_alu instid0(VALU_DEP_1)
	v_add_f64 v[29:30], v[29:30], -v[32:33]
	s_and_not1_saveexec_b32 s2, s3
	s_cbranch_execnz .LBB248_181
	s_branch .LBB248_182
.LBB248_180:                            ;   in Loop: Header=BB248_4 Depth=1
	s_and_not1_saveexec_b32 s2, s3
	s_cbranch_execz .LBB248_182
.LBB248_181:                            ;   in Loop: Header=BB248_4 Depth=1
	v_mul_f64 v[27:28], |v[3:4]|, s[26:27]
	s_mov_b32 s22, s28
	s_delay_alu instid0(VALU_DEP_1) | instskip(NEXT) | instid1(VALU_DEP_1)
	v_rndne_f64_e32 v[31:32], v[27:28]
	v_fma_f64 v[27:28], v[31:32], s[18:19], |v[3:4]|
	v_mul_f64 v[29:30], v[31:32], s[28:29]
	s_delay_alu instid0(VALU_DEP_2) | instskip(NEXT) | instid1(VALU_DEP_2)
	v_fma_f64 v[35:36], v[31:32], s[28:29], v[27:28]
	v_add_f64 v[33:34], v[27:28], v[29:30]
	s_delay_alu instid0(VALU_DEP_1) | instskip(NEXT) | instid1(VALU_DEP_3)
	v_add_f64 v[27:28], v[27:28], -v[33:34]
	v_add_f64 v[33:34], v[33:34], -v[35:36]
	s_delay_alu instid0(VALU_DEP_2) | instskip(SKIP_1) | instid1(VALU_DEP_2)
	v_add_f64 v[27:28], v[27:28], v[29:30]
	v_fma_f64 v[29:30], v[31:32], s[22:23], v[29:30]
	v_add_f64 v[27:28], v[33:34], v[27:28]
	s_delay_alu instid0(VALU_DEP_1) | instskip(NEXT) | instid1(VALU_DEP_1)
	v_add_f64 v[27:28], v[27:28], -v[29:30]
	v_fma_f64 v[29:30], v[31:32], s[30:31], v[27:28]
	v_cvt_i32_f64_e32 v31, v[31:32]
	s_delay_alu instid0(VALU_DEP_2) | instskip(NEXT) | instid1(VALU_DEP_1)
	v_add_f64 v[27:28], v[35:36], v[29:30]
	v_add_f64 v[33:34], v[27:28], -v[35:36]
	s_delay_alu instid0(VALU_DEP_1)
	v_add_f64 v[29:30], v[29:30], -v[33:34]
.LBB248_182:                            ;   in Loop: Header=BB248_4 Depth=1
	s_or_b32 exec_lo, exec_lo, s2
	v_add_f64 v[1:2], -v[1:2], s[80:81]
	s_delay_alu instid0(VALU_DEP_4) | instskip(SKIP_3) | instid1(VALU_DEP_4)
	v_mul_f64 v[40:41], v[23:24], v[23:24]
	v_mul_f64 v[42:43], v[27:28], v[27:28]
	s_mov_b32 s83, s55
	s_mov_b32 s85, s57
	v_mul_f64 v[60:61], v[25:26], 0.5
	v_mul_f64 v[66:67], v[29:30], 0.5
	s_mov_b32 s86, s56
	v_cmp_class_f64_e64 s2, v[3:4], 0x1f8
	v_mul_f64 v[32:33], v[1:2], s[36:37]
	v_fma_f64 v[44:45], v[40:41], s[74:75], s[72:73]
	v_fma_f64 v[46:47], v[42:43], s[74:75], s[72:73]
	;; [unrolled: 1-line block ×3, first 2 shown]
	v_mul_f64 v[50:51], v[40:41], 0.5
	v_fma_f64 v[52:53], v[42:43], s[64:65], s[62:63]
	v_mul_f64 v[54:55], v[42:43], 0.5
	v_mul_f64 v[62:63], v[23:24], -v[40:41]
	v_mul_f64 v[68:69], v[27:28], -v[42:43]
	v_cmp_nlt_f64_e64 s3, 0x40900000, v[1:2]
	v_cmp_ngt_f64_e64 s4, 0xc090cc00, v[1:2]
	v_rndne_f64_e32 v[32:33], v[32:33]
	v_fma_f64 v[44:45], v[40:41], v[44:45], s[76:77]
	v_fma_f64 v[46:47], v[42:43], v[46:47], s[76:77]
	;; [unrolled: 1-line block ×3, first 2 shown]
	v_add_f64 v[56:57], -v[50:51], 1.0
	v_fma_f64 v[52:53], v[42:43], v[52:53], s[66:67]
	v_add_f64 v[58:59], -v[54:55], 1.0
	v_fma_f64 v[34:35], v[32:33], s[38:39], v[1:2]
	v_fma_f64 v[44:45], v[40:41], v[44:45], s[78:79]
	;; [unrolled: 1-line block ×4, first 2 shown]
	v_add_f64 v[64:65], -v[56:57], 1.0
	v_fma_f64 v[52:53], v[42:43], v[52:53], s[68:69]
	v_add_f64 v[70:71], -v[58:59], 1.0
	v_cvt_i32_f64_e32 v18, v[32:33]
	v_lshlrev_b32_e32 v2, 30, v21
	v_lshlrev_b32_e32 v1, 30, v31
	s_delay_alu instid0(VALU_DEP_2) | instskip(NEXT) | instid1(VALU_DEP_2)
	v_and_b32_e32 v2, 0x80000000, v2
	v_xor_b32_e32 v1, v1, v22
	v_fma_f64 v[34:35], v[32:33], s[40:41], v[34:35]
	v_fma_f64 v[44:45], v[40:41], v[44:45], s[54:55]
	;; [unrolled: 1-line block ×4, first 2 shown]
	v_add_f64 v[50:51], v[64:65], -v[50:51]
	v_fma_f64 v[52:53], v[42:43], v[52:53], s[70:71]
	v_add_f64 v[54:55], v[70:71], -v[54:55]
	v_fma_f64 v[38:39], v[34:35], s[44:45], s[42:43]
	v_fma_f64 v[44:45], v[62:63], v[44:45], v[60:61]
	;; [unrolled: 1-line block ×3, first 2 shown]
	v_mul_f64 v[60:61], v[40:41], v[40:41]
	v_fma_f64 v[48:49], v[40:41], v[48:49], s[56:57]
	v_fma_f64 v[50:51], v[23:24], -v[25:26], v[50:51]
	v_fma_f64 v[38:39], v[34:35], v[38:39], s[46:47]
	v_fma_f64 v[25:26], v[40:41], v[44:45], -v[25:26]
	v_mul_f64 v[40:41], v[42:43], v[42:43]
	v_fma_f64 v[44:45], v[42:43], v[52:53], s[56:57]
	v_fma_f64 v[52:53], v[27:28], -v[29:30], v[54:55]
	v_fma_f64 v[29:30], v[42:43], v[46:47], -v[29:30]
	v_fma_f64 v[42:43], v[60:61], v[48:49], v[50:51]
	v_fma_f64 v[38:39], v[34:35], v[38:39], s[48:49]
	;; [unrolled: 1-line block ×3, first 2 shown]
	s_delay_alu instid0(VALU_DEP_4) | instskip(NEXT) | instid1(VALU_DEP_3)
	v_fma_f64 v[29:30], v[68:69], s[86:87], v[29:30]
	v_fma_f64 v[38:39], v[34:35], v[38:39], s[50:51]
	s_delay_alu instid0(VALU_DEP_3) | instskip(NEXT) | instid1(VALU_DEP_3)
	v_add_f64 v[23:24], v[23:24], -v[25:26]
	v_add_f64 v[27:28], v[27:28], -v[29:30]
	s_delay_alu instid0(VALU_DEP_3) | instskip(NEXT) | instid1(VALU_DEP_1)
	v_fma_f64 v[38:39], v[34:35], v[38:39], s[52:53]
	v_fma_f64 v[38:39], v[34:35], v[38:39], s[82:83]
	s_delay_alu instid0(VALU_DEP_1) | instskip(NEXT) | instid1(VALU_DEP_1)
	v_fma_f64 v[38:39], v[34:35], v[38:39], s[84:85]
	v_fma_f64 v[38:39], v[34:35], v[38:39], s[58:59]
	s_delay_alu instid0(VALU_DEP_1) | instskip(NEXT) | instid1(VALU_DEP_1)
	v_fma_f64 v[38:39], v[34:35], v[38:39], s[60:61]
	v_fma_f64 v[38:39], v[34:35], v[38:39], 1.0
	s_delay_alu instid0(VALU_DEP_1) | instskip(SKIP_2) | instid1(VALU_DEP_3)
	v_fma_f64 v[32:33], v[34:35], v[38:39], 1.0
	v_fma_f64 v[34:35], v[40:41], v[44:45], v[52:53]
	v_add_f64 v[38:39], v[56:57], v[42:43]
	v_ldexp_f64 v[25:26], v[32:33], v18
	s_delay_alu instid0(VALU_DEP_3) | instskip(SKIP_3) | instid1(VALU_DEP_3)
	v_add_f64 v[32:33], v[58:59], v[34:35]
	v_and_b32_e32 v18, 1, v21
	v_and_b32_e32 v4, 1, v31
	v_xor_b32_e32 v21, 0x80000000, v24
	v_cmp_eq_u32_e32 vcc_lo, 0, v18
	s_delay_alu instid0(VALU_DEP_3) | instskip(SKIP_1) | instid1(VALU_DEP_4)
	v_cmp_eq_u32_e64 s5, 0, v4
	v_cndmask_b32_e32 v18, v23, v38, vcc_lo
	v_dual_cndmask_b32 v4, v21, v39 :: v_dual_and_b32 v21, 0x80000000, v1
	s_and_b32 vcc_lo, s4, s3
	s_delay_alu instid0(VALU_DEP_2) | instskip(NEXT) | instid1(VALU_DEP_2)
	v_cndmask_b32_e64 v1, 0, v18, s2
	v_xor_b32_e32 v2, v4, v2
	s_delay_alu instid0(VALU_DEP_1) | instskip(SKIP_3) | instid1(VALU_DEP_3)
	v_cndmask_b32_e64 v2, 0x7ff80000, v2, s2
	v_cndmask_b32_e64 v3, 0x7ff00000, v26, s3
	;; [unrolled: 1-line block ×5, first 2 shown]
	s_delay_alu instid0(VALU_DEP_3) | instskip(NEXT) | instid1(VALU_DEP_3)
	v_xor_b32_e32 v4, v23, v21
	v_cndmask_b32_e64 v3, 0, v22, s2
	v_cndmask_b32_e32 v21, 0, v25, vcc_lo
	s_delay_alu instid0(VALU_DEP_4) | instskip(NEXT) | instid1(VALU_DEP_4)
	v_and_or_b32 v22, v24, s95, 0x7fe00000
	v_cndmask_b32_e64 v4, 0x7ff80000, v4, s2
	v_lshrrev_b32_e32 v18, 20, v24
	s_delay_alu instid0(VALU_DEP_3) | instskip(NEXT) | instid1(VALU_DEP_3)
	v_mul_f64 v[1:2], v[21:22], v[1:2]
	v_mul_f64 v[3:4], v[21:22], v[3:4]
	s_delay_alu instid0(VALU_DEP_3) | instskip(NEXT) | instid1(VALU_DEP_1)
	v_add_nc_u32_e32 v21, 0xffffff09, v18
	v_lshrrev_b16 v18, 15, v21
	s_delay_alu instid0(VALU_DEP_1) | instskip(NEXT) | instid1(VALU_DEP_1)
	v_add_nc_u16 v18, v21, v18
	v_ashrrev_i16 v18, 1, v18
	s_delay_alu instid0(VALU_DEP_1) | instskip(NEXT) | instid1(VALU_DEP_1)
	v_bfe_i32 v22, v18, 0, 16
	v_lshl_add_u32 v18, v22, 20, 0x3ff00000
	s_delay_alu instid0(VALU_DEP_1) | instskip(SKIP_3) | instid1(VALU_DEP_2)
	v_mul_f64 v[1:2], v[1:2], v[17:18]
	v_mul_f64 v[3:4], v[3:4], v[17:18]
	v_sub_nc_u32_e32 v18, v21, v22
	v_mov_b32_e32 v21, v17
	v_lshl_add_u32 v22, v18, 20, 0x3ff00000
	s_delay_alu instid0(VALU_DEP_1)
	v_mul_f64 v[23:24], v[1:2], v[21:22]
	v_mul_f64 v[21:22], v[3:4], v[21:22]
.LBB248_183:                            ;   in Loop: Header=BB248_4 Depth=1
	s_or_b32 exec_lo, exec_lo, s34
                                        ; implicit-def: $vgpr25_vgpr26
                                        ; implicit-def: $vgpr1_vgpr2
                                        ; implicit-def: $vgpr18
.LBB248_184:                            ;   in Loop: Header=BB248_4 Depth=1
	s_and_not1_saveexec_b32 s3, s98
	s_cbranch_execz .LBB248_190
; %bb.185:                              ;   in Loop: Header=BB248_4 Depth=1
	v_add_f64 v[21:22], v[3:4], -v[3:4]
	v_cmp_ne_u32_e32 vcc_lo, 0, v25
	v_cmp_ne_u32_e64 s2, 0x7ff00000, v18
	s_delay_alu instid0(VALU_DEP_1) | instskip(NEXT) | instid1(SALU_CYCLE_1)
	s_or_b32 s2, vcc_lo, s2
	s_and_saveexec_b32 s4, s2
	s_delay_alu instid0(SALU_CYCLE_1)
	s_xor_b32 s2, exec_lo, s4
; %bb.186:                              ;   in Loop: Header=BB248_4 Depth=1
                                        ; implicit-def: $vgpr25_vgpr26
                                        ; implicit-def: $vgpr1_vgpr2
; %bb.187:                              ;   in Loop: Header=BB248_4 Depth=1
	s_delay_alu instid0(SALU_CYCLE_1) | instskip(NEXT) | instid1(VALU_DEP_3)
	s_or_saveexec_b32 s2, s2
	v_dual_mov_b32 v24, v22 :: v_dual_mov_b32 v23, v21
	s_xor_b32 exec_lo, exec_lo, s2
; %bb.188:                              ;   in Loop: Header=BB248_4 Depth=1
	v_cmp_lt_i64_e32 vcc_lo, -1, v[25:26]
	v_dual_cndmask_b32 v24, 0, v26 :: v_dual_cndmask_b32 v23, 0, v1
	v_dual_cndmask_b32 v22, 0, v22 :: v_dual_cndmask_b32 v21, 0, v21
; %bb.189:                              ;   in Loop: Header=BB248_4 Depth=1
	s_or_b32 exec_lo, exec_lo, s2
.LBB248_190:                            ;   in Loop: Header=BB248_4 Depth=1
	s_delay_alu instid0(SALU_CYCLE_1)
	s_or_b32 exec_lo, exec_lo, s3
                                        ; implicit-def: $vgpr3_vgpr4
.LBB248_191:                            ;   in Loop: Header=BB248_4 Depth=1
	s_and_not1_saveexec_b32 s4, s97
	s_cbranch_execz .LBB248_201
; %bb.192:                              ;   in Loop: Header=BB248_4 Depth=1
	v_cmp_ngt_f64_e64 s3, 0x41d00000, |v[3:4]|
	v_trig_preop_f64 v[29:30], |v[3:4]|, 0
	v_trig_preop_f64 v[27:28], |v[3:4]|, 1
	v_ldexp_f64 v[31:32], |v[3:4]|, 0xffffff80
	v_trig_preop_f64 v[25:26], |v[3:4]|, 2
	v_and_b32_e32 v38, 0x7fffffff, v4
                                        ; implicit-def: $vgpr21
                                        ; implicit-def: $vgpr1_vgpr2
                                        ; implicit-def: $vgpr23_vgpr24
	s_and_saveexec_b32 s2, s3
	s_delay_alu instid0(SALU_CYCLE_1)
	s_xor_b32 s5, exec_lo, s2
	s_cbranch_execz .LBB248_194
; %bb.193:                              ;   in Loop: Header=BB248_4 Depth=1
	v_cmp_le_f64_e64 vcc_lo, 0x7b000000, |v[3:4]|
	s_mov_b32 s16, s18
	s_mov_b32 s25, s23
	s_delay_alu instid0(VALU_DEP_4) | instskip(NEXT) | instid1(VALU_DEP_1)
	v_dual_cndmask_b32 v2, v38, v32 :: v_dual_cndmask_b32 v1, v3, v31
	v_mul_f64 v[23:24], v[29:30], v[1:2]
	v_mul_f64 v[33:34], v[27:28], v[1:2]
	;; [unrolled: 1-line block ×3, first 2 shown]
	s_delay_alu instid0(VALU_DEP_3) | instskip(NEXT) | instid1(VALU_DEP_3)
	v_fma_f64 v[35:36], v[29:30], v[1:2], -v[23:24]
	v_fma_f64 v[49:50], v[27:28], v[1:2], -v[33:34]
	s_delay_alu instid0(VALU_DEP_3) | instskip(NEXT) | instid1(VALU_DEP_3)
	v_fma_f64 v[1:2], v[25:26], v[1:2], -v[47:48]
	v_add_f64 v[39:40], v[33:34], v[35:36]
	s_delay_alu instid0(VALU_DEP_1) | instskip(SKIP_1) | instid1(VALU_DEP_2)
	v_add_f64 v[41:42], v[39:40], -v[33:34]
	v_add_f64 v[45:46], v[23:24], v[39:40]
	v_add_f64 v[43:44], v[39:40], -v[41:42]
	v_add_f64 v[35:36], v[35:36], -v[41:42]
	s_delay_alu instid0(VALU_DEP_3) | instskip(SKIP_1) | instid1(VALU_DEP_4)
	v_ldexp_f64 v[41:42], v[45:46], -2
	v_add_f64 v[23:24], v[45:46], -v[23:24]
	v_add_f64 v[33:34], v[33:34], -v[43:44]
	v_add_f64 v[43:44], v[47:48], v[49:50]
	s_delay_alu instid0(VALU_DEP_4) | instskip(NEXT) | instid1(VALU_DEP_4)
	v_cmp_neq_f64_e64 vcc_lo, 0x7ff00000, |v[41:42]|
	v_add_f64 v[23:24], v[39:40], -v[23:24]
	s_delay_alu instid0(VALU_DEP_4) | instskip(SKIP_1) | instid1(VALU_DEP_2)
	v_add_f64 v[33:34], v[35:36], v[33:34]
	v_fract_f64_e32 v[35:36], v[41:42]
	v_add_f64 v[39:40], v[43:44], v[33:34]
	s_delay_alu instid0(VALU_DEP_2) | instskip(NEXT) | instid1(VALU_DEP_1)
	v_dual_cndmask_b32 v36, 0, v36 :: v_dual_cndmask_b32 v35, 0, v35
	v_ldexp_f64 v[35:36], v[35:36], 2
	s_delay_alu instid0(VALU_DEP_3) | instskip(SKIP_1) | instid1(VALU_DEP_2)
	v_add_f64 v[41:42], v[23:24], v[39:40]
	v_add_f64 v[51:52], v[39:40], -v[43:44]
	v_add_f64 v[45:46], v[41:42], v[35:36]
	s_delay_alu instid0(VALU_DEP_2) | instskip(SKIP_2) | instid1(VALU_DEP_4)
	v_add_f64 v[57:58], v[39:40], -v[51:52]
	v_add_f64 v[33:34], v[33:34], -v[51:52]
	v_add_f64 v[23:24], v[41:42], -v[23:24]
	v_cmp_gt_f64_e32 vcc_lo, 0, v[45:46]
	v_add_f64 v[45:46], v[43:44], -v[47:48]
	s_delay_alu instid0(VALU_DEP_3) | instskip(SKIP_1) | instid1(VALU_DEP_3)
	v_add_f64 v[23:24], v[39:40], -v[23:24]
	v_cndmask_b32_e64 v18, 0, 0x40100000, vcc_lo
	v_add_f64 v[55:56], v[43:44], -v[45:46]
	v_add_f64 v[45:46], v[49:50], -v[45:46]
	;; [unrolled: 1-line block ×3, first 2 shown]
	s_delay_alu instid0(VALU_DEP_4) | instskip(NEXT) | instid1(VALU_DEP_4)
	v_add_f64 v[35:36], v[35:36], v[17:18]
	v_add_f64 v[49:50], v[47:48], -v[55:56]
	s_delay_alu instid0(VALU_DEP_3) | instskip(NEXT) | instid1(VALU_DEP_3)
	v_add_f64 v[33:34], v[33:34], v[43:44]
	v_add_f64 v[53:54], v[41:42], v[35:36]
	s_delay_alu instid0(VALU_DEP_3) | instskip(NEXT) | instid1(VALU_DEP_2)
	v_add_f64 v[45:46], v[45:46], v[49:50]
	v_cvt_i32_f64_e32 v18, v[53:54]
	s_delay_alu instid0(VALU_DEP_2) | instskip(NEXT) | instid1(VALU_DEP_2)
	v_add_f64 v[33:34], v[45:46], v[33:34]
	v_cvt_f64_i32_e32 v[51:52], v18
	s_delay_alu instid0(VALU_DEP_2) | instskip(NEXT) | instid1(VALU_DEP_2)
	v_add_f64 v[1:2], v[1:2], v[33:34]
	v_add_f64 v[35:36], v[35:36], -v[51:52]
	s_delay_alu instid0(VALU_DEP_2) | instskip(NEXT) | instid1(VALU_DEP_2)
	v_add_f64 v[1:2], v[23:24], v[1:2]
	v_add_f64 v[43:44], v[41:42], v[35:36]
	s_delay_alu instid0(VALU_DEP_1) | instskip(SKIP_1) | instid1(VALU_DEP_2)
	v_add_f64 v[33:34], v[43:44], -v[35:36]
	v_cmp_le_f64_e32 vcc_lo, 0.5, v[43:44]
	v_add_f64 v[23:24], v[41:42], -v[33:34]
	v_add_co_ci_u32_e64 v21, s2, 0, v18, vcc_lo
	v_cndmask_b32_e64 v18, 0, 0x3ff00000, vcc_lo
	s_delay_alu instid0(VALU_DEP_3) | instskip(NEXT) | instid1(VALU_DEP_2)
	v_add_f64 v[1:2], v[1:2], v[23:24]
	v_add_f64 v[23:24], v[43:44], -v[17:18]
	s_delay_alu instid0(VALU_DEP_1) | instskip(NEXT) | instid1(VALU_DEP_1)
	v_add_f64 v[33:34], v[23:24], v[1:2]
	v_mul_f64 v[35:36], v[33:34], s[16:17]
	v_add_f64 v[23:24], v[33:34], -v[23:24]
	s_delay_alu instid0(VALU_DEP_2) | instskip(NEXT) | instid1(VALU_DEP_2)
	v_fma_f64 v[39:40], v[33:34], s[16:17], -v[35:36]
	v_add_f64 v[1:2], v[1:2], -v[23:24]
	s_delay_alu instid0(VALU_DEP_2) | instskip(NEXT) | instid1(VALU_DEP_1)
	v_fma_f64 v[23:24], v[33:34], s[24:25], v[39:40]
	v_fma_f64 v[23:24], v[1:2], s[16:17], v[23:24]
	s_delay_alu instid0(VALU_DEP_1) | instskip(NEXT) | instid1(VALU_DEP_1)
	v_add_f64 v[1:2], v[35:36], v[23:24]
	v_add_f64 v[33:34], v[1:2], -v[35:36]
	s_delay_alu instid0(VALU_DEP_1)
	v_add_f64 v[23:24], v[23:24], -v[33:34]
	s_and_not1_saveexec_b32 s2, s5
	s_cbranch_execz .LBB248_196
	s_branch .LBB248_195
.LBB248_194:                            ;   in Loop: Header=BB248_4 Depth=1
	s_and_not1_saveexec_b32 s2, s5
	s_cbranch_execz .LBB248_196
.LBB248_195:                            ;   in Loop: Header=BB248_4 Depth=1
	v_mul_f64 v[1:2], |v[3:4]|, s[26:27]
	s_mov_b32 s22, s28
	s_delay_alu instid0(VALU_DEP_1) | instskip(NEXT) | instid1(VALU_DEP_1)
	v_rndne_f64_e32 v[33:34], v[1:2]
	v_fma_f64 v[1:2], v[33:34], s[18:19], |v[3:4]|
	v_mul_f64 v[23:24], v[33:34], s[28:29]
	v_cvt_i32_f64_e32 v21, v[33:34]
	s_delay_alu instid0(VALU_DEP_3) | instskip(NEXT) | instid1(VALU_DEP_3)
	v_fma_f64 v[39:40], v[33:34], s[28:29], v[1:2]
	v_add_f64 v[35:36], v[1:2], v[23:24]
	s_delay_alu instid0(VALU_DEP_1) | instskip(NEXT) | instid1(VALU_DEP_3)
	v_add_f64 v[1:2], v[1:2], -v[35:36]
	v_add_f64 v[35:36], v[35:36], -v[39:40]
	s_delay_alu instid0(VALU_DEP_2) | instskip(SKIP_1) | instid1(VALU_DEP_2)
	v_add_f64 v[1:2], v[1:2], v[23:24]
	v_fma_f64 v[23:24], v[33:34], s[22:23], v[23:24]
	v_add_f64 v[1:2], v[35:36], v[1:2]
	s_delay_alu instid0(VALU_DEP_1) | instskip(NEXT) | instid1(VALU_DEP_1)
	v_add_f64 v[1:2], v[1:2], -v[23:24]
	v_fma_f64 v[23:24], v[33:34], s[30:31], v[1:2]
	s_delay_alu instid0(VALU_DEP_1) | instskip(NEXT) | instid1(VALU_DEP_1)
	v_add_f64 v[1:2], v[39:40], v[23:24]
	v_add_f64 v[35:36], v[1:2], -v[39:40]
	s_delay_alu instid0(VALU_DEP_1)
	v_add_f64 v[23:24], v[23:24], -v[35:36]
.LBB248_196:                            ;   in Loop: Header=BB248_4 Depth=1
	s_or_b32 exec_lo, exec_lo, s2
                                        ; implicit-def: $vgpr39
                                        ; implicit-def: $vgpr33_vgpr34
                                        ; implicit-def: $vgpr35_vgpr36
	s_and_saveexec_b32 s2, s3
	s_delay_alu instid0(SALU_CYCLE_1)
	s_xor_b32 s3, exec_lo, s2
	s_cbranch_execz .LBB248_198
; %bb.197:                              ;   in Loop: Header=BB248_4 Depth=1
	v_cmp_le_f64_e64 vcc_lo, 0x7b000000, |v[3:4]|
	s_mov_b32 s16, s18
	s_mov_b32 s25, s23
	s_delay_alu instid0(VALU_DEP_4) | instskip(NEXT) | instid1(VALU_DEP_1)
	v_dual_cndmask_b32 v32, v38, v32 :: v_dual_cndmask_b32 v31, v3, v31
	v_mul_f64 v[33:34], v[29:30], v[31:32]
	v_mul_f64 v[35:36], v[27:28], v[31:32]
	;; [unrolled: 1-line block ×3, first 2 shown]
	s_delay_alu instid0(VALU_DEP_3) | instskip(NEXT) | instid1(VALU_DEP_3)
	v_fma_f64 v[29:30], v[29:30], v[31:32], -v[33:34]
	v_fma_f64 v[27:28], v[27:28], v[31:32], -v[35:36]
	s_delay_alu instid0(VALU_DEP_3) | instskip(NEXT) | instid1(VALU_DEP_3)
	v_fma_f64 v[25:26], v[25:26], v[31:32], -v[46:47]
	v_add_f64 v[38:39], v[35:36], v[29:30]
	s_delay_alu instid0(VALU_DEP_1) | instskip(SKIP_1) | instid1(VALU_DEP_2)
	v_add_f64 v[40:41], v[38:39], -v[35:36]
	v_add_f64 v[44:45], v[33:34], v[38:39]
	v_add_f64 v[42:43], v[38:39], -v[40:41]
	v_add_f64 v[29:30], v[29:30], -v[40:41]
	s_delay_alu instid0(VALU_DEP_3) | instskip(SKIP_1) | instid1(VALU_DEP_4)
	v_ldexp_f64 v[40:41], v[44:45], -2
	v_add_f64 v[33:34], v[44:45], -v[33:34]
	v_add_f64 v[35:36], v[35:36], -v[42:43]
	v_add_f64 v[42:43], v[46:47], v[27:28]
	s_delay_alu instid0(VALU_DEP_4) | instskip(NEXT) | instid1(VALU_DEP_4)
	v_cmp_neq_f64_e64 vcc_lo, 0x7ff00000, |v[40:41]|
	v_add_f64 v[33:34], v[38:39], -v[33:34]
	s_delay_alu instid0(VALU_DEP_4) | instskip(SKIP_1) | instid1(VALU_DEP_2)
	v_add_f64 v[29:30], v[29:30], v[35:36]
	v_fract_f64_e32 v[35:36], v[40:41]
	v_add_f64 v[38:39], v[42:43], v[29:30]
	s_delay_alu instid0(VALU_DEP_2) | instskip(NEXT) | instid1(VALU_DEP_1)
	v_dual_cndmask_b32 v36, 0, v36 :: v_dual_cndmask_b32 v35, 0, v35
	v_ldexp_f64 v[35:36], v[35:36], 2
	s_delay_alu instid0(VALU_DEP_3) | instskip(SKIP_1) | instid1(VALU_DEP_2)
	v_add_f64 v[40:41], v[33:34], v[38:39]
	v_add_f64 v[48:49], v[38:39], -v[42:43]
	v_add_f64 v[44:45], v[40:41], v[35:36]
	s_delay_alu instid0(VALU_DEP_2) | instskip(SKIP_2) | instid1(VALU_DEP_4)
	v_add_f64 v[54:55], v[38:39], -v[48:49]
	v_add_f64 v[29:30], v[29:30], -v[48:49]
	v_add_f64 v[31:32], v[40:41], -v[33:34]
	v_cmp_gt_f64_e32 vcc_lo, 0, v[44:45]
	v_add_f64 v[44:45], v[42:43], -v[46:47]
	s_delay_alu instid0(VALU_DEP_3) | instskip(SKIP_1) | instid1(VALU_DEP_3)
	v_add_f64 v[31:32], v[38:39], -v[31:32]
	v_cndmask_b32_e64 v18, 0, 0x40100000, vcc_lo
	v_add_f64 v[52:53], v[42:43], -v[44:45]
	v_add_f64 v[27:28], v[27:28], -v[44:45]
	;; [unrolled: 1-line block ×3, first 2 shown]
	s_delay_alu instid0(VALU_DEP_4) | instskip(NEXT) | instid1(VALU_DEP_4)
	v_add_f64 v[35:36], v[35:36], v[17:18]
	v_add_f64 v[44:45], v[46:47], -v[52:53]
	s_delay_alu instid0(VALU_DEP_3) | instskip(NEXT) | instid1(VALU_DEP_3)
	v_add_f64 v[29:30], v[29:30], v[42:43]
	v_add_f64 v[50:51], v[40:41], v[35:36]
	s_delay_alu instid0(VALU_DEP_3) | instskip(NEXT) | instid1(VALU_DEP_2)
	v_add_f64 v[27:28], v[27:28], v[44:45]
	v_cvt_i32_f64_e32 v18, v[50:51]
	s_delay_alu instid0(VALU_DEP_2) | instskip(NEXT) | instid1(VALU_DEP_2)
	v_add_f64 v[27:28], v[27:28], v[29:30]
	v_cvt_f64_i32_e32 v[48:49], v18
	s_delay_alu instid0(VALU_DEP_2) | instskip(NEXT) | instid1(VALU_DEP_2)
	v_add_f64 v[25:26], v[25:26], v[27:28]
	v_add_f64 v[35:36], v[35:36], -v[48:49]
	s_delay_alu instid0(VALU_DEP_2) | instskip(NEXT) | instid1(VALU_DEP_2)
	v_add_f64 v[25:26], v[31:32], v[25:26]
	v_add_f64 v[29:30], v[40:41], v[35:36]
	s_delay_alu instid0(VALU_DEP_1) | instskip(SKIP_1) | instid1(VALU_DEP_2)
	v_add_f64 v[27:28], v[29:30], -v[35:36]
	v_cmp_le_f64_e32 vcc_lo, 0.5, v[29:30]
	v_add_f64 v[27:28], v[40:41], -v[27:28]
	v_add_co_ci_u32_e64 v39, s2, 0, v18, vcc_lo
	v_cndmask_b32_e64 v18, 0, 0x3ff00000, vcc_lo
	s_delay_alu instid0(VALU_DEP_3) | instskip(NEXT) | instid1(VALU_DEP_2)
	v_add_f64 v[25:26], v[25:26], v[27:28]
	v_add_f64 v[27:28], v[29:30], -v[17:18]
	s_delay_alu instid0(VALU_DEP_1) | instskip(NEXT) | instid1(VALU_DEP_1)
	v_add_f64 v[29:30], v[27:28], v[25:26]
	v_mul_f64 v[31:32], v[29:30], s[16:17]
	v_add_f64 v[27:28], v[29:30], -v[27:28]
	s_delay_alu instid0(VALU_DEP_2) | instskip(NEXT) | instid1(VALU_DEP_2)
	v_fma_f64 v[33:34], v[29:30], s[16:17], -v[31:32]
	v_add_f64 v[25:26], v[25:26], -v[27:28]
	s_delay_alu instid0(VALU_DEP_2) | instskip(NEXT) | instid1(VALU_DEP_1)
	v_fma_f64 v[27:28], v[29:30], s[24:25], v[33:34]
	v_fma_f64 v[25:26], v[25:26], s[16:17], v[27:28]
	s_delay_alu instid0(VALU_DEP_1) | instskip(NEXT) | instid1(VALU_DEP_1)
	v_add_f64 v[33:34], v[31:32], v[25:26]
	v_add_f64 v[27:28], v[33:34], -v[31:32]
	s_delay_alu instid0(VALU_DEP_1)
	v_add_f64 v[35:36], v[25:26], -v[27:28]
	s_and_not1_saveexec_b32 s2, s3
	s_cbranch_execnz .LBB248_199
	s_branch .LBB248_200
.LBB248_198:                            ;   in Loop: Header=BB248_4 Depth=1
	s_and_not1_saveexec_b32 s2, s3
	s_cbranch_execz .LBB248_200
.LBB248_199:                            ;   in Loop: Header=BB248_4 Depth=1
	v_mul_f64 v[25:26], |v[3:4]|, s[26:27]
	s_mov_b32 s22, s28
	s_delay_alu instid0(VALU_DEP_1) | instskip(NEXT) | instid1(VALU_DEP_1)
	v_rndne_f64_e32 v[25:26], v[25:26]
	v_fma_f64 v[27:28], v[25:26], s[18:19], |v[3:4]|
	v_mul_f64 v[29:30], v[25:26], s[28:29]
	v_cvt_i32_f64_e32 v39, v[25:26]
	s_delay_alu instid0(VALU_DEP_3) | instskip(NEXT) | instid1(VALU_DEP_3)
	v_fma_f64 v[35:36], v[25:26], s[28:29], v[27:28]
	v_add_f64 v[31:32], v[27:28], v[29:30]
	s_delay_alu instid0(VALU_DEP_1) | instskip(NEXT) | instid1(VALU_DEP_3)
	v_add_f64 v[27:28], v[27:28], -v[31:32]
	v_add_f64 v[31:32], v[31:32], -v[35:36]
	s_delay_alu instid0(VALU_DEP_2) | instskip(SKIP_1) | instid1(VALU_DEP_2)
	v_add_f64 v[27:28], v[27:28], v[29:30]
	v_fma_f64 v[29:30], v[25:26], s[22:23], v[29:30]
	v_add_f64 v[27:28], v[31:32], v[27:28]
	s_delay_alu instid0(VALU_DEP_1) | instskip(NEXT) | instid1(VALU_DEP_1)
	v_add_f64 v[27:28], v[27:28], -v[29:30]
	v_fma_f64 v[27:28], v[25:26], s[30:31], v[27:28]
	s_delay_alu instid0(VALU_DEP_1) | instskip(NEXT) | instid1(VALU_DEP_1)
	v_add_f64 v[33:34], v[35:36], v[27:28]
	v_add_f64 v[29:30], v[33:34], -v[35:36]
	s_delay_alu instid0(VALU_DEP_1)
	v_add_f64 v[35:36], v[27:28], -v[29:30]
.LBB248_200:                            ;   in Loop: Header=BB248_4 Depth=1
	s_or_b32 exec_lo, exec_lo, s2
	v_mul_f64 v[25:26], v[1:2], v[1:2]
	v_mul_f64 v[27:28], v[33:34], v[33:34]
	s_delay_alu instid0(VALU_DEP_3) | instskip(NEXT) | instid1(VALU_DEP_4)
	v_mul_f64 v[52:53], v[23:24], 0.5
	v_mul_f64 v[58:59], v[35:36], 0.5
	s_mov_b32 s86, s56
	v_cmp_class_f64_e64 s2, v[3:4], 0x1f8
	v_and_b32_e32 v18, 1, v21
	v_and_b32_e32 v4, 1, v39
	s_delay_alu instid0(VALU_DEP_2) | instskip(SKIP_1) | instid1(VALU_DEP_3)
	v_cmp_eq_u32_e32 vcc_lo, 0, v18
	v_lshlrev_b32_e32 v18, 30, v21
	v_cmp_eq_u32_e64 s3, 0, v4
	s_delay_alu instid0(VALU_DEP_2)
	v_and_b32_e32 v4, 0x80000000, v18
	v_fma_f64 v[29:30], v[25:26], s[74:75], s[72:73]
	v_fma_f64 v[31:32], v[27:28], s[74:75], s[72:73]
	;; [unrolled: 1-line block ×3, first 2 shown]
	v_mul_f64 v[42:43], v[25:26], 0.5
	v_fma_f64 v[44:45], v[27:28], s[64:65], s[62:63]
	v_mul_f64 v[46:47], v[27:28], 0.5
	v_mul_f64 v[54:55], v[1:2], -v[25:26]
	v_mul_f64 v[60:61], v[33:34], -v[27:28]
	v_fma_f64 v[29:30], v[25:26], v[29:30], s[76:77]
	v_fma_f64 v[31:32], v[27:28], v[31:32], s[76:77]
	;; [unrolled: 1-line block ×3, first 2 shown]
	v_add_f64 v[48:49], -v[42:43], 1.0
	v_fma_f64 v[44:45], v[27:28], v[44:45], s[66:67]
	v_add_f64 v[50:51], -v[46:47], 1.0
	v_fma_f64 v[29:30], v[25:26], v[29:30], s[78:79]
	v_fma_f64 v[31:32], v[27:28], v[31:32], s[78:79]
	;; [unrolled: 1-line block ×3, first 2 shown]
	v_add_f64 v[56:57], -v[48:49], 1.0
	v_fma_f64 v[44:45], v[27:28], v[44:45], s[68:69]
	v_add_f64 v[62:63], -v[50:51], 1.0
	v_fma_f64 v[29:30], v[25:26], v[29:30], s[54:55]
	v_fma_f64 v[31:32], v[27:28], v[31:32], s[54:55]
	;; [unrolled: 1-line block ×3, first 2 shown]
	v_add_f64 v[42:43], v[56:57], -v[42:43]
	v_fma_f64 v[44:45], v[27:28], v[44:45], s[70:71]
	v_add_f64 v[46:47], v[62:63], -v[46:47]
	v_fma_f64 v[29:30], v[54:55], v[29:30], v[52:53]
	v_fma_f64 v[31:32], v[60:61], v[31:32], v[58:59]
	v_mul_f64 v[52:53], v[25:26], v[25:26]
	v_fma_f64 v[40:41], v[25:26], v[40:41], s[56:57]
	v_fma_f64 v[42:43], v[1:2], -v[23:24], v[42:43]
	v_fma_f64 v[23:24], v[25:26], v[29:30], -v[23:24]
	v_mul_f64 v[25:26], v[27:28], v[27:28]
	v_fma_f64 v[29:30], v[27:28], v[44:45], s[56:57]
	v_fma_f64 v[44:45], v[33:34], -v[35:36], v[46:47]
	v_fma_f64 v[27:28], v[27:28], v[31:32], -v[35:36]
	v_fma_f64 v[31:32], v[52:53], v[40:41], v[42:43]
	v_fma_f64 v[23:24], v[54:55], s[86:87], v[23:24]
	s_delay_alu instid0(VALU_DEP_4) | instskip(NEXT) | instid1(VALU_DEP_4)
	v_fma_f64 v[25:26], v[25:26], v[29:30], v[44:45]
	v_fma_f64 v[27:28], v[60:61], s[86:87], v[27:28]
	s_delay_alu instid0(VALU_DEP_4) | instskip(NEXT) | instid1(VALU_DEP_4)
	v_add_f64 v[29:30], v[48:49], v[31:32]
	v_add_f64 v[1:2], v[1:2], -v[23:24]
	s_delay_alu instid0(VALU_DEP_4) | instskip(NEXT) | instid1(VALU_DEP_4)
	v_add_f64 v[23:24], v[50:51], v[25:26]
	v_add_f64 v[25:26], v[33:34], -v[27:28]
	s_delay_alu instid0(VALU_DEP_3) | instskip(NEXT) | instid1(VALU_DEP_4)
	v_cndmask_b32_e32 v1, v1, v29, vcc_lo
	v_xor_b32_e32 v2, 0x80000000, v2
	v_lshlrev_b32_e32 v3, 30, v39
	s_delay_alu instid0(VALU_DEP_4) | instskip(SKIP_1) | instid1(VALU_DEP_4)
	v_cndmask_b32_e64 v21, v24, v26, s3
	v_cndmask_b32_e64 v18, v23, v25, s3
	v_cndmask_b32_e32 v2, v2, v30, vcc_lo
	s_delay_alu instid0(VALU_DEP_4) | instskip(SKIP_1) | instid1(VALU_DEP_3)
	v_xor_b32_e32 v3, v3, v22
	v_cndmask_b32_e64 v23, 0, v1, s2
	v_xor_b32_e32 v2, v2, v4
	s_delay_alu instid0(VALU_DEP_3) | instskip(NEXT) | instid1(VALU_DEP_2)
	v_and_b32_e32 v3, 0x80000000, v3
	v_cndmask_b32_e64 v24, 0x7ff80000, v2, s2
	s_delay_alu instid0(VALU_DEP_2) | instskip(SKIP_1) | instid1(VALU_DEP_2)
	v_xor_b32_e32 v3, v21, v3
	v_cndmask_b32_e64 v21, 0, v18, s2
	v_cndmask_b32_e64 v22, 0x7ff80000, v3, s2
.LBB248_201:                            ;   in Loop: Header=BB248_4 Depth=1
	s_or_b32 exec_lo, exec_lo, s4
                                        ; implicit-def: $vgpr1_vgpr2
.LBB248_202:                            ;   in Loop: Header=BB248_4 Depth=1
	s_and_not1_saveexec_b32 s3, s96
	s_cbranch_execz .LBB248_204
; %bb.203:                              ;   in Loop: Header=BB248_4 Depth=1
	s_mov_b32 s34, s36
	s_mov_b32 s83, s55
	v_mul_f64 v[3:4], v[1:2], s[34:35]
	s_mov_b32 s85, s57
	v_cmp_ngt_f64_e32 vcc_lo, 0xc0900000, v[1:2]
	v_cmp_nlt_f64_e64 s2, 0x4090cc00, v[1:2]
	s_delay_alu instid0(VALU_DEP_3) | instskip(NEXT) | instid1(VALU_DEP_1)
	v_rndne_f64_e32 v[3:4], v[3:4]
	v_fma_f64 v[23:24], v[3:4], s[38:39], -v[1:2]
	v_cvt_i32_f64_e32 v18, v[3:4]
	s_delay_alu instid0(VALU_DEP_2) | instskip(NEXT) | instid1(VALU_DEP_1)
	v_fma_f64 v[23:24], v[3:4], s[40:41], v[23:24]
	v_fma_f64 v[25:26], v[23:24], s[44:45], s[42:43]
	s_delay_alu instid0(VALU_DEP_1) | instskip(NEXT) | instid1(VALU_DEP_1)
	v_fma_f64 v[25:26], v[23:24], v[25:26], s[46:47]
	v_fma_f64 v[25:26], v[23:24], v[25:26], s[48:49]
	s_delay_alu instid0(VALU_DEP_1) | instskip(NEXT) | instid1(VALU_DEP_1)
	;; [unrolled: 3-line block ×5, first 2 shown]
	v_fma_f64 v[25:26], v[23:24], v[25:26], 1.0
	v_fma_f64 v[3:4], v[23:24], v[25:26], 1.0
	s_delay_alu instid0(VALU_DEP_1) | instskip(NEXT) | instid1(VALU_DEP_1)
	v_ldexp_f64 v[3:4], v[3:4], v18
	v_cndmask_b32_e32 v4, 0x7ff00000, v4, vcc_lo
	s_and_b32 vcc_lo, s2, vcc_lo
	s_delay_alu instid0(VALU_DEP_2) | instskip(NEXT) | instid1(VALU_DEP_2)
	v_cndmask_b32_e32 v23, 0, v3, vcc_lo
	v_cndmask_b32_e64 v24, 0, v4, s2
.LBB248_204:                            ;   in Loop: Header=BB248_4 Depth=1
	s_or_b32 exec_lo, exec_lo, s3
	s_delay_alu instid0(VALU_DEP_1) | instskip(NEXT) | instid1(VALU_DEP_2)
	v_add_f64 v[23:24], s[8:9], v[23:24]
	v_add_f64 v[21:22], s[10:11], v[21:22]
                                        ; implicit-def: $vgpr3_vgpr4
	s_delay_alu instid0(VALU_DEP_2) | instskip(NEXT) | instid1(VALU_DEP_2)
	v_cmp_gt_f64_e32 vcc_lo, 0, v[23:24]
	v_cmp_gt_f64_e64 s2, 0, v[21:22]
	v_xor_b32_e32 v1, 0x80000000, v24
	v_xor_b32_e32 v2, 0x80000000, v22
	s_delay_alu instid0(VALU_DEP_2) | instskip(NEXT) | instid1(VALU_DEP_2)
	v_dual_cndmask_b32 v26, v24, v1 :: v_dual_cndmask_b32 v25, v23, v23
	v_cndmask_b32_e64 v28, v22, v2, s2
	v_cndmask_b32_e64 v27, v21, v21, s2
	s_mov_b32 s2, exec_lo
	s_delay_alu instid0(VALU_DEP_1)
	v_cmpx_ge_f64_e32 v[25:26], v[27:28]
	s_xor_b32 s3, exec_lo, s2
	s_cbranch_execz .LBB248_210
; %bb.205:                              ;   in Loop: Header=BB248_4 Depth=1
	v_cmp_neq_f64_e32 vcc_lo, 0, v[23:24]
	v_cmp_neq_f64_e64 s2, 0, v[21:22]
                                        ; implicit-def: $vgpr3_vgpr4
	s_delay_alu instid0(VALU_DEP_1) | instskip(NEXT) | instid1(SALU_CYCLE_1)
	s_or_b32 s2, vcc_lo, s2
	s_and_saveexec_b32 s4, s2
	s_delay_alu instid0(SALU_CYCLE_1)
	s_xor_b32 s2, exec_lo, s4
	s_cbranch_execz .LBB248_207
; %bb.206:                              ;   in Loop: Header=BB248_4 Depth=1
	v_div_scale_f64 v[1:2], null, v[23:24], v[23:24], v[21:22]
	v_div_scale_f64 v[27:28], vcc_lo, v[21:22], v[23:24], v[21:22]
	s_delay_alu instid0(VALU_DEP_2) | instskip(SKIP_2) | instid1(VALU_DEP_1)
	v_rcp_f64_e32 v[3:4], v[1:2]
	s_waitcnt_depctr 0xfff
	v_fma_f64 v[25:26], -v[1:2], v[3:4], 1.0
	v_fma_f64 v[3:4], v[3:4], v[25:26], v[3:4]
	s_delay_alu instid0(VALU_DEP_1) | instskip(NEXT) | instid1(VALU_DEP_1)
	v_fma_f64 v[25:26], -v[1:2], v[3:4], 1.0
	v_fma_f64 v[3:4], v[3:4], v[25:26], v[3:4]
	s_delay_alu instid0(VALU_DEP_1) | instskip(NEXT) | instid1(VALU_DEP_1)
	v_mul_f64 v[25:26], v[27:28], v[3:4]
	v_fma_f64 v[1:2], -v[1:2], v[25:26], v[27:28]
	s_delay_alu instid0(VALU_DEP_1) | instskip(NEXT) | instid1(VALU_DEP_1)
	v_div_fmas_f64 v[1:2], v[1:2], v[3:4], v[25:26]
	v_div_fixup_f64 v[1:2], v[1:2], v[23:24], v[21:22]
	s_delay_alu instid0(VALU_DEP_1) | instskip(NEXT) | instid1(VALU_DEP_1)
	v_fma_f64 v[3:4], v[21:22], v[1:2], v[23:24]
	v_div_scale_f64 v[21:22], null, v[3:4], v[3:4], 1.0
	v_div_scale_f64 v[27:28], vcc_lo, 1.0, v[3:4], 1.0
	s_delay_alu instid0(VALU_DEP_2) | instskip(SKIP_2) | instid1(VALU_DEP_1)
	v_rcp_f64_e32 v[23:24], v[21:22]
	s_waitcnt_depctr 0xfff
	v_fma_f64 v[25:26], -v[21:22], v[23:24], 1.0
	v_fma_f64 v[23:24], v[23:24], v[25:26], v[23:24]
	s_delay_alu instid0(VALU_DEP_1) | instskip(NEXT) | instid1(VALU_DEP_1)
	v_fma_f64 v[25:26], -v[21:22], v[23:24], 1.0
	v_fma_f64 v[23:24], v[23:24], v[25:26], v[23:24]
	s_delay_alu instid0(VALU_DEP_1) | instskip(NEXT) | instid1(VALU_DEP_1)
	v_mul_f64 v[25:26], v[27:28], v[23:24]
	v_fma_f64 v[21:22], -v[21:22], v[25:26], v[27:28]
                                        ; implicit-def: $vgpr27_vgpr28
	s_delay_alu instid0(VALU_DEP_1) | instskip(SKIP_1) | instid1(VALU_DEP_2)
	v_div_fmas_f64 v[21:22], v[21:22], v[23:24], v[25:26]
	v_fma_f64 v[23:24], s[10:11], v[1:2], s[8:9]
                                        ; implicit-def: $vgpr25_vgpr26
	v_div_fixup_f64 v[3:4], v[21:22], v[3:4], 1.0
	v_fma_f64 v[21:22], -s[8:9], v[1:2], s[10:11]
	s_delay_alu instid0(VALU_DEP_2) | instskip(NEXT) | instid1(VALU_DEP_2)
	v_mul_f64 v[1:2], v[23:24], v[3:4]
	v_mul_f64 v[3:4], v[21:22], v[3:4]
.LBB248_207:                            ;   in Loop: Header=BB248_4 Depth=1
	s_and_not1_saveexec_b32 s4, s2
	s_cbranch_execz .LBB248_209
; %bb.208:                              ;   in Loop: Header=BB248_4 Depth=1
	v_div_scale_f64 v[1:2], null, v[25:26], v[25:26], s[8:9]
	v_div_scale_f64 v[3:4], null, v[27:28], v[27:28], s[10:11]
	v_div_scale_f64 v[33:34], vcc_lo, s[8:9], v[25:26], s[8:9]
	s_delay_alu instid0(VALU_DEP_3) | instskip(NEXT) | instid1(VALU_DEP_2)
	v_rcp_f64_e32 v[21:22], v[1:2]
	v_rcp_f64_e32 v[23:24], v[3:4]
	s_waitcnt_depctr 0xfff
	v_fma_f64 v[29:30], -v[1:2], v[21:22], 1.0
	v_fma_f64 v[31:32], -v[3:4], v[23:24], 1.0
	s_delay_alu instid0(VALU_DEP_2) | instskip(NEXT) | instid1(VALU_DEP_2)
	v_fma_f64 v[21:22], v[21:22], v[29:30], v[21:22]
	v_fma_f64 v[23:24], v[23:24], v[31:32], v[23:24]
	s_delay_alu instid0(VALU_DEP_2) | instskip(NEXT) | instid1(VALU_DEP_2)
	v_fma_f64 v[29:30], -v[1:2], v[21:22], 1.0
	v_fma_f64 v[31:32], -v[3:4], v[23:24], 1.0
	s_delay_alu instid0(VALU_DEP_2) | instskip(SKIP_1) | instid1(VALU_DEP_3)
	v_fma_f64 v[21:22], v[21:22], v[29:30], v[21:22]
	v_div_scale_f64 v[29:30], s2, s[10:11], v[27:28], s[10:11]
	v_fma_f64 v[23:24], v[23:24], v[31:32], v[23:24]
	s_delay_alu instid0(VALU_DEP_3) | instskip(NEXT) | instid1(VALU_DEP_2)
	v_mul_f64 v[31:32], v[33:34], v[21:22]
	v_mul_f64 v[35:36], v[29:30], v[23:24]
	s_delay_alu instid0(VALU_DEP_2) | instskip(NEXT) | instid1(VALU_DEP_2)
	v_fma_f64 v[1:2], -v[1:2], v[31:32], v[33:34]
	v_fma_f64 v[3:4], -v[3:4], v[35:36], v[29:30]
	s_delay_alu instid0(VALU_DEP_2) | instskip(SKIP_1) | instid1(VALU_DEP_2)
	v_div_fmas_f64 v[1:2], v[1:2], v[21:22], v[31:32]
	s_mov_b32 vcc_lo, s2
	v_div_fmas_f64 v[3:4], v[3:4], v[23:24], v[35:36]
	s_delay_alu instid0(VALU_DEP_2) | instskip(NEXT) | instid1(VALU_DEP_2)
	v_div_fixup_f64 v[1:2], v[1:2], v[25:26], s[8:9]
	v_div_fixup_f64 v[3:4], v[3:4], v[27:28], s[10:11]
.LBB248_209:                            ;   in Loop: Header=BB248_4 Depth=1
	s_or_b32 exec_lo, exec_lo, s4
                                        ; implicit-def: $vgpr21_vgpr22
                                        ; implicit-def: $vgpr23_vgpr24
.LBB248_210:                            ;   in Loop: Header=BB248_4 Depth=1
	s_and_not1_saveexec_b32 s2, s3
	s_cbranch_execz .LBB248_3
; %bb.211:                              ;   in Loop: Header=BB248_4 Depth=1
	v_div_scale_f64 v[1:2], null, v[21:22], v[21:22], v[23:24]
	v_div_scale_f64 v[27:28], vcc_lo, v[23:24], v[21:22], v[23:24]
	s_delay_alu instid0(VALU_DEP_2) | instskip(SKIP_2) | instid1(VALU_DEP_1)
	v_rcp_f64_e32 v[3:4], v[1:2]
	s_waitcnt_depctr 0xfff
	v_fma_f64 v[25:26], -v[1:2], v[3:4], 1.0
	v_fma_f64 v[3:4], v[3:4], v[25:26], v[3:4]
	s_delay_alu instid0(VALU_DEP_1) | instskip(NEXT) | instid1(VALU_DEP_1)
	v_fma_f64 v[25:26], -v[1:2], v[3:4], 1.0
	v_fma_f64 v[3:4], v[3:4], v[25:26], v[3:4]
	s_delay_alu instid0(VALU_DEP_1) | instskip(NEXT) | instid1(VALU_DEP_1)
	v_mul_f64 v[25:26], v[27:28], v[3:4]
	v_fma_f64 v[1:2], -v[1:2], v[25:26], v[27:28]
	s_delay_alu instid0(VALU_DEP_1) | instskip(NEXT) | instid1(VALU_DEP_1)
	v_div_fmas_f64 v[1:2], v[1:2], v[3:4], v[25:26]
	v_div_fixup_f64 v[1:2], v[1:2], v[21:22], v[23:24]
	s_delay_alu instid0(VALU_DEP_1) | instskip(NEXT) | instid1(VALU_DEP_1)
	v_fma_f64 v[3:4], v[23:24], v[1:2], v[21:22]
	v_div_scale_f64 v[21:22], null, v[3:4], v[3:4], 1.0
	v_div_scale_f64 v[27:28], vcc_lo, 1.0, v[3:4], 1.0
	s_delay_alu instid0(VALU_DEP_2) | instskip(SKIP_2) | instid1(VALU_DEP_1)
	v_rcp_f64_e32 v[23:24], v[21:22]
	s_waitcnt_depctr 0xfff
	v_fma_f64 v[25:26], -v[21:22], v[23:24], 1.0
	v_fma_f64 v[23:24], v[23:24], v[25:26], v[23:24]
	s_delay_alu instid0(VALU_DEP_1) | instskip(NEXT) | instid1(VALU_DEP_1)
	v_fma_f64 v[25:26], -v[21:22], v[23:24], 1.0
	v_fma_f64 v[23:24], v[23:24], v[25:26], v[23:24]
	s_delay_alu instid0(VALU_DEP_1) | instskip(NEXT) | instid1(VALU_DEP_1)
	v_mul_f64 v[25:26], v[27:28], v[23:24]
	v_fma_f64 v[21:22], -v[21:22], v[25:26], v[27:28]
	s_delay_alu instid0(VALU_DEP_1) | instskip(SKIP_1) | instid1(VALU_DEP_2)
	v_div_fmas_f64 v[21:22], v[21:22], v[23:24], v[25:26]
	v_fma_f64 v[23:24], s[8:9], v[1:2], s[10:11]
	v_div_fixup_f64 v[3:4], v[21:22], v[3:4], 1.0
	v_fma_f64 v[21:22], s[10:11], v[1:2], -s[8:9]
	s_delay_alu instid0(VALU_DEP_2) | instskip(NEXT) | instid1(VALU_DEP_2)
	v_mul_f64 v[1:2], v[23:24], v[3:4]
	v_mul_f64 v[3:4], v[21:22], v[3:4]
	s_branch .LBB248_3
.LBB248_212:
	s_or_b32 exec_lo, exec_lo, s91
	s_mov_b32 s2, 0
.LBB248_213:
	s_delay_alu instid0(SALU_CYCLE_1)
	s_and_not1_b32 vcc_lo, exec_lo, s2
	s_cbranch_vccnz .LBB248_441
; %bb.214:
	v_cmp_lt_i64_e64 s2, s[14:15], 1
	s_delay_alu instid0(VALU_DEP_1)
	s_and_b32 vcc_lo, exec_lo, s2
	s_cbranch_vccnz .LBB248_441
; %bb.215:
	s_load_b32 s0, s[0:1], 0xc6c
	v_mov_b32_e32 v18, 0
	v_lshl_or_b32 v2, v0, 4, 8
	v_cmp_gt_u64_e64 s1, 0x10000, s[14:15]
	s_mov_b32 s17, 0
	s_mov_b32 s22, 0x54442d18
	v_mov_b32_e32 v3, v18
	v_add_co_u32 v29, s2, s6, v2
	s_delay_alu instid0(VALU_DEP_1)
	v_add_co_ci_u32_e64 v30, null, s7, 0, s2
	v_add_co_u32 v31, s2, s20, v2
	v_mov_b32_e32 v1, v18
	v_add_co_ci_u32_e64 v32, null, s21, 0, s2
	s_mov_b32 s28, 0x6dc9c883
	s_mov_b32 s30, 0x33145c00
	;; [unrolled: 1-line block ×4, first 2 shown]
	s_waitcnt lgkmcnt(0)
	s_and_b32 s33, s0, 0xffff
	s_and_b32 s0, s1, exec_lo
	v_add_lshl_u32 v6, v0, s33, 4
	v_mad_u64_u32 v[4:5], null, s33, 48, v[2:3]
	s_cselect_b32 s19, s15, 0
	s_cselect_b32 s18, s14, 0x10000
	s_delay_alu instid0(VALU_DEP_2) | instskip(NEXT) | instid1(VALU_DEP_1)
	v_add_co_u32 v33, s0, s20, v6
	v_add_co_ci_u32_e64 v34, null, s21, 0, s0
	v_add_co_u32 v37, s0, s6, v6
	s_delay_alu instid0(VALU_DEP_1)
	v_add_co_ci_u32_e64 v38, null, s7, 0, s0
	s_lshl_b32 s0, s33, 5
	v_add_co_u32 v35, vcc_lo, s6, v4
	v_add_co_u32 v2, s0, v2, s0
	v_add_co_ci_u32_e32 v36, vcc_lo, s7, v5, vcc_lo
	v_add_co_ci_u32_e64 v3, null, 0, 0, s0
	v_add_co_u32 v39, vcc_lo, s20, v4
	v_add_co_ci_u32_e32 v40, vcc_lo, s21, v5, vcc_lo
	v_add_co_u32 v41, vcc_lo, s6, v2
	s_delay_alu instid0(VALU_DEP_4)
	v_add_co_ci_u32_e32 v42, vcc_lo, s7, v3, vcc_lo
	v_add_co_u32 v43, vcc_lo, s20, v2
	v_add_co_ci_u32_e32 v44, vcc_lo, s21, v3, vcc_lo
	s_lshl_b32 s16, s33, 2
	s_mov_b32 s40, 0xfefa39ef
	s_mov_b32 s42, 0x3b39803f
	;; [unrolled: 1-line block ×22, first 2 shown]
	s_lshl_b32 s92, s33, 1
	s_mul_i32 s93, s33, 3
	s_lshl_b32 s94, s33, 6
	s_mov_b32 s21, 0x3ff921fb
	s_mov_b32 s23, 0xbff921fb
	s_mov_b32 s25, 0x3c91a626
	s_mov_b32 s26, 0x33145c07
	s_mov_b32 s29, 0x3fe45f30
	s_mov_b32 s31, 0xbc91a626
	s_mov_b32 s35, 0xb97b839a
	s_mov_b32 s37, 0xbff71547
	s_mov_b32 s39, 0x3ff71547
	s_mov_b32 s41, 0xbfe62e42
	s_mov_b32 s43, 0xbc7abc9e
	s_mov_b32 s45, 0x3e928af3
	s_mov_b32 s47, 0x3e5ade15
	s_mov_b32 s49, 0x3ec71dee
	s_mov_b32 s51, 0x3efa0199
	s_mov_b32 s53, 0x3f2a01a0
	s_mov_b32 s55, 0x3f56c16c
	s_mov_b32 s57, 0x3f811111
	s_mov_b32 s58, 0x11122322
	s_mov_b32 s61, 0x3fa55555
	s_mov_b32 s63, 0x3fc55555
	s_mov_b32 s65, 0x3fe00000
	s_mov_b32 s67, 0x3e21eeb6
	s_mov_b32 s69, 0xbda907db
	s_mov_b32 s71, 0xbe927e4f
	s_mov_b32 s73, 0x3efa01a0
	s_mov_b32 s75, 0xbf56c16c
	s_mov_b32 s77, 0xbe5ae600
	s_mov_b32 s79, 0x3de5e0b2
	s_mov_b32 s81, 0x3ec71de3
	s_mov_b32 s83, 0xbf2a01a0
	s_mov_b32 s85, 0xc0937be3
	s_mov_b32 s86, 0x555502a1
	s_mov_b32 s89, 0xbfc55555
	s_mov_b32 s95, 0xfffff
	s_mov_b64 s[90:91], s[16:17]
	s_branch .LBB248_217
.LBB248_216:                            ;   in Loop: Header=BB248_217 Depth=1
	s_or_b32 exec_lo, exec_lo, s0
	v_add_co_u32 v0, vcc_lo, v0, s16
	v_add_co_ci_u32_e32 v1, vcc_lo, 0, v1, vcc_lo
	v_add_co_u32 v29, vcc_lo, v29, s94
	v_add_co_ci_u32_e32 v30, vcc_lo, 0, v30, vcc_lo
	;; [unrolled: 2-line block ×7, first 2 shown]
	v_cmp_ge_i64_e64 s0, s[90:91], s[14:15]
	v_cmp_lt_u64_e64 s1, 0xffff, s[90:91]
	v_add_co_u32 v41, vcc_lo, v41, s94
	v_add_co_ci_u32_e32 v42, vcc_lo, 0, v42, vcc_lo
	v_add_co_u32 v43, vcc_lo, v43, s94
	v_add_co_ci_u32_e32 v44, vcc_lo, 0, v44, vcc_lo
	s_or_b32 s0, s0, s1
	s_add_u32 s90, s90, s16
	s_addc_u32 s91, s91, 0
	s_and_b32 vcc_lo, exec_lo, s0
	s_cbranch_vccnz .LBB248_441
.LBB248_217:                            ; =>This Inner Loop Header: Depth=1
	v_mov_b32_e32 v16, 0
	v_mov_b32_e32 v17, 0
	v_cmp_gt_u64_e64 s0, s[18:19], v[0:1]
	s_delay_alu instid0(VALU_DEP_3) | instskip(NEXT) | instid1(VALU_DEP_3)
	v_mov_b32_e32 v8, v16
	v_dual_mov_b32 v6, v16 :: v_dual_mov_b32 v7, v17
	v_mov_b32_e32 v9, v17
	s_delay_alu instid0(VALU_DEP_4)
	s_and_saveexec_b32 s1, s0
	s_cbranch_execz .LBB248_219
; %bb.218:                              ;   in Loop: Header=BB248_217 Depth=1
	v_add_co_u32 v2, vcc_lo, v29, s12
	v_add_co_ci_u32_e32 v3, vcc_lo, s13, v30, vcc_lo
	global_load_b128 v[6:9], v[2:3], off offset:-8
.LBB248_219:                            ;   in Loop: Header=BB248_217 Depth=1
	s_or_b32 exec_lo, exec_lo, s1
	v_add_co_u32 v2, vcc_lo, s33, v0
	v_add_co_ci_u32_e32 v3, vcc_lo, 0, v1, vcc_lo
	v_dual_mov_b32 v14, v16 :: v_dual_mov_b32 v15, v17
	s_delay_alu instid0(VALU_DEP_2) | instskip(NEXT) | instid1(VALU_DEP_1)
	v_cmp_gt_u64_e64 s1, s[18:19], v[2:3]
	s_and_saveexec_b32 s2, s1
	s_cbranch_execz .LBB248_221
; %bb.220:                              ;   in Loop: Header=BB248_217 Depth=1
	v_add_co_u32 v2, vcc_lo, v37, s12
	v_add_co_ci_u32_e32 v3, vcc_lo, s13, v38, vcc_lo
	global_load_b128 v[14:17], v[2:3], off
.LBB248_221:                            ;   in Loop: Header=BB248_217 Depth=1
	s_or_b32 exec_lo, exec_lo, s2
	v_add_co_u32 v2, vcc_lo, s92, v0
	v_add_co_ci_u32_e32 v3, vcc_lo, 0, v1, vcc_lo
	v_mov_b32_e32 v4, 0
	v_mov_b32_e32 v5, 0
	s_delay_alu instid0(VALU_DEP_3) | instskip(NEXT) | instid1(VALU_DEP_2)
	v_cmp_gt_u64_e64 s2, s[18:19], v[2:3]
	v_dual_mov_b32 v13, v5 :: v_dual_mov_b32 v12, v4
	v_dual_mov_b32 v11, v5 :: v_dual_mov_b32 v10, v4
	s_delay_alu instid0(VALU_DEP_3)
	s_and_saveexec_b32 s3, s2
	s_cbranch_execz .LBB248_223
; %bb.222:                              ;   in Loop: Header=BB248_217 Depth=1
	v_add_co_u32 v2, vcc_lo, v41, s12
	v_add_co_ci_u32_e32 v3, vcc_lo, s13, v42, vcc_lo
	global_load_b128 v[10:13], v[2:3], off offset:-8
.LBB248_223:                            ;   in Loop: Header=BB248_217 Depth=1
	s_or_b32 exec_lo, exec_lo, s3
	v_add_co_u32 v2, vcc_lo, s93, v0
	v_add_co_ci_u32_e32 v3, vcc_lo, 0, v1, vcc_lo
	s_delay_alu instid0(VALU_DEP_1) | instskip(SKIP_1) | instid1(VALU_DEP_2)
	v_cmp_gt_u64_e64 s3, s[18:19], v[2:3]
	v_dual_mov_b32 v2, v4 :: v_dual_mov_b32 v3, v5
	s_and_saveexec_b32 s4, s3
	s_cbranch_execz .LBB248_225
; %bb.224:                              ;   in Loop: Header=BB248_217 Depth=1
	v_add_co_u32 v2, vcc_lo, v35, s12
	v_add_co_ci_u32_e32 v3, vcc_lo, s13, v36, vcc_lo
	global_load_b128 v[2:5], v[2:3], off offset:-8
.LBB248_225:                            ;   in Loop: Header=BB248_217 Depth=1
	s_or_b32 exec_lo, exec_lo, s4
	s_waitcnt vmcnt(0)
	v_xor_b32_e32 v20, 0x80000000, v9
	s_delay_alu instid0(VALU_DEP_1) | instskip(NEXT) | instid1(VALU_DEP_1)
	v_dual_mov_b32 v19, v8 :: v_dual_and_b32 v26, 0x7fffffff, v20
	v_or_b32_e32 v21, v26, v19
	s_delay_alu instid0(VALU_DEP_1) | instskip(SKIP_1) | instid1(SALU_CYCLE_1)
	v_cmp_ne_u32_e32 vcc_lo, 0, v21
                                        ; implicit-def: $vgpr21_vgpr22
	s_and_saveexec_b32 s4, vcc_lo
	s_xor_b32 s17, exec_lo, s4
	s_cbranch_execz .LBB248_266
; %bb.226:                              ;   in Loop: Header=BB248_217 Depth=1
	v_xor_b32_e32 v24, 0x80000000, v7
	v_mov_b32_e32 v23, v6
                                        ; implicit-def: $vgpr21_vgpr22
	s_mov_b32 s4, exec_lo
	s_delay_alu instid0(VALU_DEP_2) | instskip(NEXT) | instid1(VALU_DEP_1)
	v_and_b32_e32 v25, 0x7fffffff, v24
	v_or_b32_e32 v19, v25, v23
	s_delay_alu instid0(VALU_DEP_1)
	v_cmpx_ne_u32_e32 0, v19
	s_xor_b32 s96, exec_lo, s4
	s_cbranch_execz .LBB248_255
; %bb.227:                              ;   in Loop: Header=BB248_217 Depth=1
                                        ; implicit-def: $vgpr21_vgpr22
	s_mov_b32 s4, exec_lo
	v_cmpx_gt_u32_e32 0x7ff00000, v26
	s_xor_b32 s97, exec_lo, s4
	s_cbranch_execz .LBB248_248
; %bb.228:                              ;   in Loop: Header=BB248_217 Depth=1
	v_add_nc_u32_e32 v19, 0xbf79d1be, v24
                                        ; implicit-def: $vgpr21_vgpr22
	s_mov_b32 s4, exec_lo
	s_delay_alu instid0(VALU_DEP_1)
	v_cmpx_lt_u32_e32 0x108aa2, v19
	s_xor_b32 s98, exec_lo, s4
	s_cbranch_execz .LBB248_238
; %bb.229:                              ;   in Loop: Header=BB248_217 Depth=1
	v_cmp_ngt_f64_e64 s5, 0x41d00000, |v[8:9]|
                                        ; implicit-def: $vgpr45
                                        ; implicit-def: $vgpr21_vgpr22
                                        ; implicit-def: $vgpr23_vgpr24
	s_delay_alu instid0(VALU_DEP_1) | instskip(NEXT) | instid1(SALU_CYCLE_1)
	s_and_saveexec_b32 s4, s5
	s_xor_b32 s6, exec_lo, s4
	s_cbranch_execz .LBB248_231
; %bb.230:                              ;   in Loop: Header=BB248_217 Depth=1
	v_ldexp_f64 v[21:22], |v[8:9]|, 0xffffff80
	v_cmp_le_f64_e64 vcc_lo, 0x7b000000, |v[8:9]|
	v_trig_preop_f64 v[23:24], |v[8:9]|, 0
	v_and_b32_e32 v19, 0x7fffffff, v9
	v_trig_preop_f64 v[25:26], |v[8:9]|, 1
	v_trig_preop_f64 v[51:52], |v[8:9]|, 2
	s_mov_b32 s20, s22
	s_mov_b32 s27, s25
	v_dual_cndmask_b32 v22, v19, v22 :: v_dual_cndmask_b32 v21, v8, v21
	s_delay_alu instid0(VALU_DEP_1) | instskip(NEXT) | instid1(VALU_DEP_4)
	v_mul_f64 v[27:28], v[23:24], v[21:22]
	v_mul_f64 v[45:46], v[25:26], v[21:22]
	s_delay_alu instid0(VALU_DEP_4) | instskip(NEXT) | instid1(VALU_DEP_3)
	v_mul_f64 v[57:58], v[51:52], v[21:22]
	v_fma_f64 v[23:24], v[23:24], v[21:22], -v[27:28]
	s_delay_alu instid0(VALU_DEP_3) | instskip(NEXT) | instid1(VALU_DEP_3)
	v_fma_f64 v[25:26], v[25:26], v[21:22], -v[45:46]
	v_fma_f64 v[21:22], v[51:52], v[21:22], -v[57:58]
	s_delay_alu instid0(VALU_DEP_3) | instskip(NEXT) | instid1(VALU_DEP_1)
	v_add_f64 v[47:48], v[45:46], v[23:24]
	v_add_f64 v[49:50], v[47:48], -v[45:46]
	v_add_f64 v[55:56], v[27:28], v[47:48]
	s_delay_alu instid0(VALU_DEP_2) | instskip(SKIP_1) | instid1(VALU_DEP_3)
	v_add_f64 v[53:54], v[47:48], -v[49:50]
	v_add_f64 v[23:24], v[23:24], -v[49:50]
	v_ldexp_f64 v[49:50], v[55:56], -2
	v_add_f64 v[27:28], v[55:56], -v[27:28]
	s_delay_alu instid0(VALU_DEP_4) | instskip(SKIP_1) | instid1(VALU_DEP_4)
	v_add_f64 v[45:46], v[45:46], -v[53:54]
	v_add_f64 v[53:54], v[57:58], v[25:26]
	v_cmp_neq_f64_e64 vcc_lo, 0x7ff00000, |v[49:50]|
	s_delay_alu instid0(VALU_DEP_4) | instskip(NEXT) | instid1(VALU_DEP_4)
	v_add_f64 v[27:28], v[47:48], -v[27:28]
	v_add_f64 v[23:24], v[23:24], v[45:46]
	v_fract_f64_e32 v[45:46], v[49:50]
	s_delay_alu instid0(VALU_DEP_2) | instskip(NEXT) | instid1(VALU_DEP_2)
	v_add_f64 v[47:48], v[53:54], v[23:24]
	v_dual_cndmask_b32 v46, 0, v46 :: v_dual_cndmask_b32 v45, 0, v45
	s_delay_alu instid0(VALU_DEP_1) | instskip(NEXT) | instid1(VALU_DEP_3)
	v_ldexp_f64 v[45:46], v[45:46], 2
	v_add_f64 v[49:50], v[27:28], v[47:48]
	v_add_f64 v[59:60], v[47:48], -v[53:54]
	s_delay_alu instid0(VALU_DEP_2) | instskip(NEXT) | instid1(VALU_DEP_2)
	v_add_f64 v[55:56], v[49:50], v[45:46]
	v_add_f64 v[65:66], v[47:48], -v[59:60]
	v_add_f64 v[23:24], v[23:24], -v[59:60]
	;; [unrolled: 1-line block ×3, first 2 shown]
	s_delay_alu instid0(VALU_DEP_4) | instskip(SKIP_1) | instid1(VALU_DEP_3)
	v_cmp_gt_f64_e32 vcc_lo, 0, v[55:56]
	v_add_f64 v[55:56], v[53:54], -v[57:58]
	v_add_f64 v[27:28], v[47:48], -v[27:28]
	v_cndmask_b32_e64 v19, 0, 0x40100000, vcc_lo
	s_delay_alu instid0(VALU_DEP_3) | instskip(SKIP_2) | instid1(VALU_DEP_4)
	v_add_f64 v[63:64], v[53:54], -v[55:56]
	v_add_f64 v[25:26], v[25:26], -v[55:56]
	;; [unrolled: 1-line block ×3, first 2 shown]
	v_add_f64 v[45:46], v[45:46], v[18:19]
	s_delay_alu instid0(VALU_DEP_4) | instskip(NEXT) | instid1(VALU_DEP_3)
	v_add_f64 v[55:56], v[57:58], -v[63:64]
	v_add_f64 v[23:24], v[23:24], v[53:54]
	s_delay_alu instid0(VALU_DEP_3) | instskip(NEXT) | instid1(VALU_DEP_3)
	v_add_f64 v[61:62], v[49:50], v[45:46]
	v_add_f64 v[25:26], v[25:26], v[55:56]
	s_delay_alu instid0(VALU_DEP_2) | instskip(NEXT) | instid1(VALU_DEP_2)
	v_cvt_i32_f64_e32 v19, v[61:62]
	v_add_f64 v[23:24], v[25:26], v[23:24]
	s_delay_alu instid0(VALU_DEP_2) | instskip(NEXT) | instid1(VALU_DEP_2)
	v_cvt_f64_i32_e32 v[59:60], v19
	v_add_f64 v[21:22], v[21:22], v[23:24]
	s_delay_alu instid0(VALU_DEP_2) | instskip(NEXT) | instid1(VALU_DEP_2)
	v_add_f64 v[45:46], v[45:46], -v[59:60]
	v_add_f64 v[21:22], v[27:28], v[21:22]
	s_delay_alu instid0(VALU_DEP_2) | instskip(NEXT) | instid1(VALU_DEP_1)
	v_add_f64 v[25:26], v[49:50], v[45:46]
	v_add_f64 v[23:24], v[25:26], -v[45:46]
	v_cmp_le_f64_e32 vcc_lo, 0.5, v[25:26]
	s_delay_alu instid0(VALU_DEP_2) | instskip(SKIP_2) | instid1(VALU_DEP_3)
	v_add_f64 v[23:24], v[49:50], -v[23:24]
	v_add_co_ci_u32_e64 v45, s4, 0, v19, vcc_lo
	v_cndmask_b32_e64 v19, 0, 0x3ff00000, vcc_lo
	v_add_f64 v[21:22], v[21:22], v[23:24]
	s_delay_alu instid0(VALU_DEP_2) | instskip(NEXT) | instid1(VALU_DEP_1)
	v_add_f64 v[23:24], v[25:26], -v[18:19]
	v_add_f64 v[25:26], v[23:24], v[21:22]
	s_delay_alu instid0(VALU_DEP_1) | instskip(SKIP_1) | instid1(VALU_DEP_2)
	v_mul_f64 v[27:28], v[25:26], s[20:21]
	v_add_f64 v[23:24], v[25:26], -v[23:24]
	v_fma_f64 v[46:47], v[25:26], s[20:21], -v[27:28]
	s_delay_alu instid0(VALU_DEP_2) | instskip(NEXT) | instid1(VALU_DEP_2)
	v_add_f64 v[21:22], v[21:22], -v[23:24]
	v_fma_f64 v[23:24], v[25:26], s[26:27], v[46:47]
	s_delay_alu instid0(VALU_DEP_1) | instskip(NEXT) | instid1(VALU_DEP_1)
	v_fma_f64 v[23:24], v[21:22], s[20:21], v[23:24]
	v_add_f64 v[21:22], v[27:28], v[23:24]
	s_delay_alu instid0(VALU_DEP_1) | instskip(NEXT) | instid1(VALU_DEP_1)
	v_add_f64 v[25:26], v[21:22], -v[27:28]
	v_add_f64 v[23:24], v[23:24], -v[25:26]
	s_and_not1_saveexec_b32 s4, s6
	s_cbranch_execz .LBB248_233
	s_branch .LBB248_232
.LBB248_231:                            ;   in Loop: Header=BB248_217 Depth=1
	s_and_not1_saveexec_b32 s4, s6
	s_cbranch_execz .LBB248_233
.LBB248_232:                            ;   in Loop: Header=BB248_217 Depth=1
	v_mul_f64 v[21:22], |v[8:9]|, s[28:29]
	s_mov_b32 s24, s30
	s_delay_alu instid0(VALU_DEP_1) | instskip(NEXT) | instid1(VALU_DEP_1)
	v_rndne_f64_e32 v[25:26], v[21:22]
	v_fma_f64 v[21:22], v[25:26], s[22:23], |v[8:9]|
	v_mul_f64 v[23:24], v[25:26], s[30:31]
	s_delay_alu instid0(VALU_DEP_2) | instskip(NEXT) | instid1(VALU_DEP_2)
	v_fma_f64 v[45:46], v[25:26], s[30:31], v[21:22]
	v_add_f64 v[27:28], v[21:22], v[23:24]
	s_delay_alu instid0(VALU_DEP_1) | instskip(NEXT) | instid1(VALU_DEP_3)
	v_add_f64 v[21:22], v[21:22], -v[27:28]
	v_add_f64 v[27:28], v[27:28], -v[45:46]
	s_delay_alu instid0(VALU_DEP_2) | instskip(SKIP_1) | instid1(VALU_DEP_2)
	v_add_f64 v[21:22], v[21:22], v[23:24]
	v_fma_f64 v[23:24], v[25:26], s[24:25], v[23:24]
	v_add_f64 v[21:22], v[27:28], v[21:22]
	s_delay_alu instid0(VALU_DEP_1) | instskip(NEXT) | instid1(VALU_DEP_1)
	v_add_f64 v[21:22], v[21:22], -v[23:24]
	v_fma_f64 v[23:24], v[25:26], s[34:35], v[21:22]
	s_delay_alu instid0(VALU_DEP_1) | instskip(NEXT) | instid1(VALU_DEP_1)
	v_add_f64 v[21:22], v[45:46], v[23:24]
	v_add_f64 v[27:28], v[21:22], -v[45:46]
	v_cvt_i32_f64_e32 v45, v[25:26]
	s_delay_alu instid0(VALU_DEP_2)
	v_add_f64 v[23:24], v[23:24], -v[27:28]
.LBB248_233:                            ;   in Loop: Header=BB248_217 Depth=1
	s_or_b32 exec_lo, exec_lo, s4
                                        ; implicit-def: $vgpr46
                                        ; implicit-def: $vgpr25_vgpr26
                                        ; implicit-def: $vgpr27_vgpr28
	s_and_saveexec_b32 s4, s5
	s_delay_alu instid0(SALU_CYCLE_1)
	s_xor_b32 s5, exec_lo, s4
	s_cbranch_execz .LBB248_235
; %bb.234:                              ;   in Loop: Header=BB248_217 Depth=1
	v_ldexp_f64 v[25:26], |v[8:9]|, 0xffffff80
	v_cmp_le_f64_e64 vcc_lo, 0x7b000000, |v[8:9]|
	v_trig_preop_f64 v[27:28], |v[8:9]|, 0
	v_and_b32_e32 v19, 0x7fffffff, v9
	v_trig_preop_f64 v[46:47], |v[8:9]|, 1
	v_trig_preop_f64 v[56:57], |v[8:9]|, 2
	s_mov_b32 s20, s22
	s_mov_b32 s27, s25
	v_dual_cndmask_b32 v26, v19, v26 :: v_dual_cndmask_b32 v25, v8, v25
	s_delay_alu instid0(VALU_DEP_1) | instskip(NEXT) | instid1(VALU_DEP_4)
	v_mul_f64 v[48:49], v[27:28], v[25:26]
	v_mul_f64 v[50:51], v[46:47], v[25:26]
	s_delay_alu instid0(VALU_DEP_4) | instskip(NEXT) | instid1(VALU_DEP_3)
	v_mul_f64 v[62:63], v[56:57], v[25:26]
	v_fma_f64 v[27:28], v[27:28], v[25:26], -v[48:49]
	s_delay_alu instid0(VALU_DEP_3) | instskip(NEXT) | instid1(VALU_DEP_3)
	v_fma_f64 v[46:47], v[46:47], v[25:26], -v[50:51]
	v_fma_f64 v[25:26], v[56:57], v[25:26], -v[62:63]
	s_delay_alu instid0(VALU_DEP_3) | instskip(NEXT) | instid1(VALU_DEP_1)
	v_add_f64 v[52:53], v[50:51], v[27:28]
	v_add_f64 v[54:55], v[52:53], -v[50:51]
	v_add_f64 v[60:61], v[48:49], v[52:53]
	s_delay_alu instid0(VALU_DEP_2) | instskip(SKIP_1) | instid1(VALU_DEP_3)
	v_add_f64 v[58:59], v[52:53], -v[54:55]
	v_add_f64 v[27:28], v[27:28], -v[54:55]
	v_ldexp_f64 v[54:55], v[60:61], -2
	v_add_f64 v[48:49], v[60:61], -v[48:49]
	s_delay_alu instid0(VALU_DEP_4) | instskip(SKIP_1) | instid1(VALU_DEP_4)
	v_add_f64 v[50:51], v[50:51], -v[58:59]
	v_add_f64 v[58:59], v[62:63], v[46:47]
	v_cmp_neq_f64_e64 vcc_lo, 0x7ff00000, |v[54:55]|
	s_delay_alu instid0(VALU_DEP_4) | instskip(NEXT) | instid1(VALU_DEP_4)
	v_add_f64 v[48:49], v[52:53], -v[48:49]
	v_add_f64 v[27:28], v[27:28], v[50:51]
	v_fract_f64_e32 v[50:51], v[54:55]
	s_delay_alu instid0(VALU_DEP_2) | instskip(NEXT) | instid1(VALU_DEP_2)
	v_add_f64 v[52:53], v[58:59], v[27:28]
	v_dual_cndmask_b32 v51, 0, v51 :: v_dual_cndmask_b32 v50, 0, v50
	s_delay_alu instid0(VALU_DEP_1) | instskip(NEXT) | instid1(VALU_DEP_3)
	v_ldexp_f64 v[50:51], v[50:51], 2
	v_add_f64 v[54:55], v[48:49], v[52:53]
	v_add_f64 v[64:65], v[52:53], -v[58:59]
	s_delay_alu instid0(VALU_DEP_2) | instskip(NEXT) | instid1(VALU_DEP_2)
	v_add_f64 v[60:61], v[54:55], v[50:51]
	v_add_f64 v[70:71], v[52:53], -v[64:65]
	v_add_f64 v[27:28], v[27:28], -v[64:65]
	;; [unrolled: 1-line block ×3, first 2 shown]
	s_delay_alu instid0(VALU_DEP_4) | instskip(SKIP_2) | instid1(VALU_DEP_2)
	v_cmp_gt_f64_e32 vcc_lo, 0, v[60:61]
	v_add_f64 v[60:61], v[58:59], -v[62:63]
	v_cndmask_b32_e64 v19, 0, 0x40100000, vcc_lo
	v_add_f64 v[68:69], v[58:59], -v[60:61]
	v_add_f64 v[46:47], v[46:47], -v[60:61]
	;; [unrolled: 1-line block ×3, first 2 shown]
	s_delay_alu instid0(VALU_DEP_4) | instskip(NEXT) | instid1(VALU_DEP_4)
	v_add_f64 v[50:51], v[50:51], v[18:19]
	v_add_f64 v[60:61], v[62:63], -v[68:69]
	s_delay_alu instid0(VALU_DEP_3) | instskip(NEXT) | instid1(VALU_DEP_3)
	v_add_f64 v[27:28], v[27:28], v[58:59]
	v_add_f64 v[66:67], v[54:55], v[50:51]
	s_delay_alu instid0(VALU_DEP_3) | instskip(NEXT) | instid1(VALU_DEP_2)
	v_add_f64 v[46:47], v[46:47], v[60:61]
	v_cvt_i32_f64_e32 v19, v[66:67]
	s_delay_alu instid0(VALU_DEP_2) | instskip(SKIP_1) | instid1(VALU_DEP_3)
	v_add_f64 v[27:28], v[46:47], v[27:28]
	v_add_f64 v[46:47], v[52:53], -v[48:49]
	v_cvt_f64_i32_e32 v[64:65], v19
	s_delay_alu instid0(VALU_DEP_3) | instskip(NEXT) | instid1(VALU_DEP_2)
	v_add_f64 v[25:26], v[25:26], v[27:28]
	v_add_f64 v[50:51], v[50:51], -v[64:65]
	s_delay_alu instid0(VALU_DEP_2) | instskip(NEXT) | instid1(VALU_DEP_2)
	v_add_f64 v[25:26], v[46:47], v[25:26]
	v_add_f64 v[56:57], v[54:55], v[50:51]
	s_delay_alu instid0(VALU_DEP_1) | instskip(SKIP_1) | instid1(VALU_DEP_2)
	v_add_f64 v[27:28], v[56:57], -v[50:51]
	v_cmp_le_f64_e32 vcc_lo, 0.5, v[56:57]
	v_add_f64 v[27:28], v[54:55], -v[27:28]
	v_add_co_ci_u32_e64 v46, s4, 0, v19, vcc_lo
	v_cndmask_b32_e64 v19, 0, 0x3ff00000, vcc_lo
	s_delay_alu instid0(VALU_DEP_3) | instskip(NEXT) | instid1(VALU_DEP_2)
	v_add_f64 v[25:26], v[25:26], v[27:28]
	v_add_f64 v[27:28], v[56:57], -v[18:19]
	s_delay_alu instid0(VALU_DEP_1) | instskip(NEXT) | instid1(VALU_DEP_1)
	v_add_f64 v[47:48], v[27:28], v[25:26]
	v_mul_f64 v[49:50], v[47:48], s[20:21]
	v_add_f64 v[27:28], v[47:48], -v[27:28]
	s_delay_alu instid0(VALU_DEP_2) | instskip(NEXT) | instid1(VALU_DEP_2)
	v_fma_f64 v[51:52], v[47:48], s[20:21], -v[49:50]
	v_add_f64 v[25:26], v[25:26], -v[27:28]
	s_delay_alu instid0(VALU_DEP_2) | instskip(NEXT) | instid1(VALU_DEP_1)
	v_fma_f64 v[27:28], v[47:48], s[26:27], v[51:52]
	v_fma_f64 v[27:28], v[25:26], s[20:21], v[27:28]
	s_delay_alu instid0(VALU_DEP_1) | instskip(NEXT) | instid1(VALU_DEP_1)
	v_add_f64 v[25:26], v[49:50], v[27:28]
	v_add_f64 v[47:48], v[25:26], -v[49:50]
	s_delay_alu instid0(VALU_DEP_1)
	v_add_f64 v[27:28], v[27:28], -v[47:48]
	s_and_not1_saveexec_b32 s4, s5
	s_cbranch_execnz .LBB248_236
	s_branch .LBB248_237
.LBB248_235:                            ;   in Loop: Header=BB248_217 Depth=1
	s_and_not1_saveexec_b32 s4, s5
	s_cbranch_execz .LBB248_237
.LBB248_236:                            ;   in Loop: Header=BB248_217 Depth=1
	v_mul_f64 v[25:26], |v[8:9]|, s[28:29]
	s_mov_b32 s24, s30
	s_delay_alu instid0(VALU_DEP_1) | instskip(NEXT) | instid1(VALU_DEP_1)
	v_rndne_f64_e32 v[46:47], v[25:26]
	v_fma_f64 v[25:26], v[46:47], s[22:23], |v[8:9]|
	v_mul_f64 v[27:28], v[46:47], s[30:31]
	s_delay_alu instid0(VALU_DEP_2) | instskip(NEXT) | instid1(VALU_DEP_2)
	v_fma_f64 v[50:51], v[46:47], s[30:31], v[25:26]
	v_add_f64 v[48:49], v[25:26], v[27:28]
	s_delay_alu instid0(VALU_DEP_1) | instskip(NEXT) | instid1(VALU_DEP_3)
	v_add_f64 v[25:26], v[25:26], -v[48:49]
	v_add_f64 v[48:49], v[48:49], -v[50:51]
	s_delay_alu instid0(VALU_DEP_2) | instskip(SKIP_1) | instid1(VALU_DEP_2)
	v_add_f64 v[25:26], v[25:26], v[27:28]
	v_fma_f64 v[27:28], v[46:47], s[24:25], v[27:28]
	v_add_f64 v[25:26], v[48:49], v[25:26]
	s_delay_alu instid0(VALU_DEP_1) | instskip(NEXT) | instid1(VALU_DEP_1)
	v_add_f64 v[25:26], v[25:26], -v[27:28]
	v_fma_f64 v[27:28], v[46:47], s[34:35], v[25:26]
	v_cvt_i32_f64_e32 v46, v[46:47]
	s_delay_alu instid0(VALU_DEP_2) | instskip(NEXT) | instid1(VALU_DEP_1)
	v_add_f64 v[25:26], v[50:51], v[27:28]
	v_add_f64 v[48:49], v[25:26], -v[50:51]
	s_delay_alu instid0(VALU_DEP_1)
	v_add_f64 v[27:28], v[27:28], -v[48:49]
.LBB248_237:                            ;   in Loop: Header=BB248_217 Depth=1
	s_or_b32 exec_lo, exec_lo, s4
	s_mov_b32 s36, s38
	v_mul_f64 v[53:54], v[21:22], v[21:22]
	v_mul_f64 v[47:48], v[6:7], s[36:37]
	;; [unrolled: 1-line block ×3, first 2 shown]
	s_mov_b32 s59, s57
	s_mov_b32 s87, s61
	s_delay_alu instid0(VALU_DEP_4)
	v_mul_f64 v[73:74], v[23:24], 0.5
	v_mul_f64 v[79:80], v[27:28], 0.5
	s_mov_b32 s88, s60
	v_cmp_ngt_f64_e64 s5, 0xc0900000, v[6:7]
	v_cmp_nlt_f64_e64 s6, 0x4090cc00, v[6:7]
	v_cmp_class_f64_e64 s4, v[8:9], 0x1f8
	v_fma_f64 v[57:58], v[53:54], s[78:79], s[76:77]
	v_rndne_f64_e32 v[47:48], v[47:48]
	v_fma_f64 v[59:60], v[55:56], s[78:79], s[76:77]
	v_fma_f64 v[61:62], v[53:54], s[68:69], s[66:67]
	v_mul_f64 v[63:64], v[53:54], 0.5
	v_fma_f64 v[65:66], v[55:56], s[68:69], s[66:67]
	v_mul_f64 v[67:68], v[55:56], 0.5
	v_mul_f64 v[75:76], v[21:22], -v[53:54]
	v_mul_f64 v[81:82], v[25:26], -v[55:56]
	v_fma_f64 v[57:58], v[53:54], v[57:58], s[80:81]
	v_fma_f64 v[49:50], v[47:48], s[40:41], -v[6:7]
	v_fma_f64 v[59:60], v[55:56], v[59:60], s[80:81]
	v_fma_f64 v[61:62], v[53:54], v[61:62], s[70:71]
	v_add_f64 v[69:70], -v[63:64], 1.0
	v_fma_f64 v[65:66], v[55:56], v[65:66], s[70:71]
	v_add_f64 v[71:72], -v[67:68], 1.0
	v_cvt_i32_f64_e32 v19, v[47:48]
	v_lshlrev_b32_e32 v7, 30, v45
	v_lshlrev_b32_e32 v6, 30, v46
	s_delay_alu instid0(VALU_DEP_2) | instskip(NEXT) | instid1(VALU_DEP_2)
	v_and_b32_e32 v7, 0x80000000, v7
	v_xor_b32_e32 v6, v6, v20
	s_delay_alu instid0(VALU_DEP_1)
	v_and_b32_e32 v20, 0x80000000, v6
	v_fma_f64 v[57:58], v[53:54], v[57:58], s[82:83]
	v_fma_f64 v[49:50], v[47:48], s[42:43], v[49:50]
	;; [unrolled: 1-line block ×4, first 2 shown]
	v_add_f64 v[77:78], -v[69:70], 1.0
	v_fma_f64 v[65:66], v[55:56], v[65:66], s[72:73]
	v_add_f64 v[83:84], -v[71:72], 1.0
	v_fma_f64 v[57:58], v[53:54], v[57:58], s[56:57]
	v_fma_f64 v[51:52], v[49:50], s[46:47], s[44:45]
	;; [unrolled: 1-line block ×4, first 2 shown]
	v_add_f64 v[63:64], v[77:78], -v[63:64]
	v_fma_f64 v[65:66], v[55:56], v[65:66], s[74:75]
	v_add_f64 v[67:68], v[83:84], -v[67:68]
	v_fma_f64 v[57:58], v[75:76], v[57:58], v[73:74]
	v_fma_f64 v[51:52], v[49:50], v[51:52], s[48:49]
	v_fma_f64 v[59:60], v[81:82], v[59:60], v[79:80]
	v_mul_f64 v[73:74], v[53:54], v[53:54]
	v_fma_f64 v[61:62], v[53:54], v[61:62], s[60:61]
	v_fma_f64 v[63:64], v[21:22], -v[23:24], v[63:64]
	v_fma_f64 v[23:24], v[53:54], v[57:58], -v[23:24]
	v_fma_f64 v[51:52], v[49:50], v[51:52], s[50:51]
	v_mul_f64 v[53:54], v[55:56], v[55:56]
	v_fma_f64 v[57:58], v[55:56], v[65:66], s[60:61]
	v_fma_f64 v[65:66], v[25:26], -v[27:28], v[67:68]
	v_fma_f64 v[27:28], v[55:56], v[59:60], -v[27:28]
	v_fma_f64 v[55:56], v[73:74], v[61:62], v[63:64]
	v_fma_f64 v[23:24], v[75:76], s[88:89], v[23:24]
	;; [unrolled: 1-line block ×3, first 2 shown]
	s_delay_alu instid0(VALU_DEP_4) | instskip(NEXT) | instid1(VALU_DEP_3)
	v_fma_f64 v[27:28], v[81:82], s[88:89], v[27:28]
	v_add_f64 v[21:22], v[21:22], -v[23:24]
	s_delay_alu instid0(VALU_DEP_3) | instskip(NEXT) | instid1(VALU_DEP_3)
	v_fma_f64 v[51:52], v[49:50], v[51:52], s[54:55]
	v_add_f64 v[25:26], v[25:26], -v[27:28]
	s_delay_alu instid0(VALU_DEP_2) | instskip(NEXT) | instid1(VALU_DEP_1)
	v_fma_f64 v[51:52], v[49:50], v[51:52], s[58:59]
	v_fma_f64 v[51:52], v[49:50], v[51:52], s[86:87]
	s_delay_alu instid0(VALU_DEP_1) | instskip(NEXT) | instid1(VALU_DEP_1)
	v_fma_f64 v[51:52], v[49:50], v[51:52], s[62:63]
	v_fma_f64 v[51:52], v[49:50], v[51:52], s[64:65]
	s_delay_alu instid0(VALU_DEP_1) | instskip(NEXT) | instid1(VALU_DEP_1)
	v_fma_f64 v[51:52], v[49:50], v[51:52], 1.0
	v_fma_f64 v[47:48], v[49:50], v[51:52], 1.0
	v_fma_f64 v[49:50], v[53:54], v[57:58], v[65:66]
	v_add_f64 v[51:52], v[69:70], v[55:56]
	s_delay_alu instid0(VALU_DEP_3) | instskip(NEXT) | instid1(VALU_DEP_3)
	v_ldexp_f64 v[23:24], v[47:48], v19
	v_add_f64 v[47:48], v[71:72], v[49:50]
	v_and_b32_e32 v19, 1, v45
	v_and_b32_e32 v8, 1, v46
	s_delay_alu instid0(VALU_DEP_2) | instskip(NEXT) | instid1(VALU_DEP_2)
	v_cmp_eq_u32_e32 vcc_lo, 0, v19
	v_cmp_eq_u32_e64 s7, 0, v8
	v_cndmask_b32_e32 v19, v21, v51, vcc_lo
	v_xor_b32_e32 v21, 0x80000000, v22
	s_delay_alu instid0(VALU_DEP_2) | instskip(NEXT) | instid1(VALU_DEP_2)
	v_cndmask_b32_e64 v6, 0, v19, s4
	v_cndmask_b32_e32 v8, v21, v52, vcc_lo
	s_and_b32 vcc_lo, s6, s5
	s_delay_alu instid0(VALU_DEP_1) | instskip(NEXT) | instid1(VALU_DEP_1)
	v_xor_b32_e32 v7, v8, v7
	v_cndmask_b32_e64 v7, 0x7ff80000, v7, s4
	v_cndmask_b32_e64 v9, 0x7ff00000, v24, s5
	;; [unrolled: 1-line block ×4, first 2 shown]
	v_cndmask_b32_e32 v19, 0, v23, vcc_lo
	s_delay_alu instid0(VALU_DEP_3) | instskip(NEXT) | instid1(VALU_DEP_3)
	v_xor_b32_e32 v22, v22, v20
	v_cndmask_b32_e64 v8, 0, v21, s4
	v_cndmask_b32_e64 v20, 0, v9, s6
	s_delay_alu instid0(VALU_DEP_3) | instskip(NEXT) | instid1(VALU_DEP_2)
	v_cndmask_b32_e64 v9, 0x7ff80000, v22, s4
	v_mul_f64 v[21:22], v[19:20], v[6:7]
	s_delay_alu instid0(VALU_DEP_2)
	v_mul_f64 v[19:20], v[19:20], v[8:9]
                                        ; implicit-def: $vgpr8_vgpr9
.LBB248_238:                            ;   in Loop: Header=BB248_217 Depth=1
	s_and_not1_saveexec_b32 s36, s98
	s_cbranch_execz .LBB248_282
; %bb.239:                              ;   in Loop: Header=BB248_217 Depth=1
	v_cmp_ngt_f64_e64 s5, 0x41d00000, |v[8:9]|
                                        ; implicit-def: $vgpr45
                                        ; implicit-def: $vgpr21_vgpr22
                                        ; implicit-def: $vgpr23_vgpr24
	s_delay_alu instid0(VALU_DEP_1) | instskip(NEXT) | instid1(SALU_CYCLE_1)
	s_and_saveexec_b32 s4, s5
	s_xor_b32 s6, exec_lo, s4
	s_cbranch_execz .LBB248_241
; %bb.240:                              ;   in Loop: Header=BB248_217 Depth=1
	v_ldexp_f64 v[21:22], |v[8:9]|, 0xffffff80
	v_cmp_le_f64_e64 vcc_lo, 0x7b000000, |v[8:9]|
	v_trig_preop_f64 v[23:24], |v[8:9]|, 0
	v_and_b32_e32 v19, 0x7fffffff, v9
	v_trig_preop_f64 v[25:26], |v[8:9]|, 1
	v_trig_preop_f64 v[51:52], |v[8:9]|, 2
	s_mov_b32 s20, s22
	s_mov_b32 s27, s25
	v_dual_cndmask_b32 v22, v19, v22 :: v_dual_cndmask_b32 v21, v8, v21
	s_delay_alu instid0(VALU_DEP_1) | instskip(NEXT) | instid1(VALU_DEP_4)
	v_mul_f64 v[27:28], v[23:24], v[21:22]
	v_mul_f64 v[45:46], v[25:26], v[21:22]
	s_delay_alu instid0(VALU_DEP_4) | instskip(NEXT) | instid1(VALU_DEP_3)
	v_mul_f64 v[57:58], v[51:52], v[21:22]
	v_fma_f64 v[23:24], v[23:24], v[21:22], -v[27:28]
	s_delay_alu instid0(VALU_DEP_3) | instskip(NEXT) | instid1(VALU_DEP_3)
	v_fma_f64 v[25:26], v[25:26], v[21:22], -v[45:46]
	v_fma_f64 v[21:22], v[51:52], v[21:22], -v[57:58]
	s_delay_alu instid0(VALU_DEP_3) | instskip(NEXT) | instid1(VALU_DEP_1)
	v_add_f64 v[47:48], v[45:46], v[23:24]
	v_add_f64 v[49:50], v[47:48], -v[45:46]
	v_add_f64 v[55:56], v[27:28], v[47:48]
	s_delay_alu instid0(VALU_DEP_2) | instskip(SKIP_1) | instid1(VALU_DEP_3)
	v_add_f64 v[53:54], v[47:48], -v[49:50]
	v_add_f64 v[23:24], v[23:24], -v[49:50]
	v_ldexp_f64 v[49:50], v[55:56], -2
	v_add_f64 v[27:28], v[55:56], -v[27:28]
	s_delay_alu instid0(VALU_DEP_4) | instskip(SKIP_1) | instid1(VALU_DEP_4)
	v_add_f64 v[45:46], v[45:46], -v[53:54]
	v_add_f64 v[53:54], v[57:58], v[25:26]
	v_cmp_neq_f64_e64 vcc_lo, 0x7ff00000, |v[49:50]|
	s_delay_alu instid0(VALU_DEP_4) | instskip(NEXT) | instid1(VALU_DEP_4)
	v_add_f64 v[27:28], v[47:48], -v[27:28]
	v_add_f64 v[23:24], v[23:24], v[45:46]
	v_fract_f64_e32 v[45:46], v[49:50]
	s_delay_alu instid0(VALU_DEP_2) | instskip(NEXT) | instid1(VALU_DEP_2)
	v_add_f64 v[47:48], v[53:54], v[23:24]
	v_dual_cndmask_b32 v46, 0, v46 :: v_dual_cndmask_b32 v45, 0, v45
	s_delay_alu instid0(VALU_DEP_1) | instskip(NEXT) | instid1(VALU_DEP_3)
	v_ldexp_f64 v[45:46], v[45:46], 2
	v_add_f64 v[49:50], v[27:28], v[47:48]
	v_add_f64 v[59:60], v[47:48], -v[53:54]
	s_delay_alu instid0(VALU_DEP_2) | instskip(NEXT) | instid1(VALU_DEP_2)
	v_add_f64 v[55:56], v[49:50], v[45:46]
	v_add_f64 v[65:66], v[47:48], -v[59:60]
	v_add_f64 v[23:24], v[23:24], -v[59:60]
	;; [unrolled: 1-line block ×3, first 2 shown]
	s_delay_alu instid0(VALU_DEP_4) | instskip(SKIP_1) | instid1(VALU_DEP_3)
	v_cmp_gt_f64_e32 vcc_lo, 0, v[55:56]
	v_add_f64 v[55:56], v[53:54], -v[57:58]
	v_add_f64 v[27:28], v[47:48], -v[27:28]
	v_cndmask_b32_e64 v19, 0, 0x40100000, vcc_lo
	s_delay_alu instid0(VALU_DEP_3) | instskip(SKIP_2) | instid1(VALU_DEP_4)
	v_add_f64 v[63:64], v[53:54], -v[55:56]
	v_add_f64 v[25:26], v[25:26], -v[55:56]
	;; [unrolled: 1-line block ×3, first 2 shown]
	v_add_f64 v[45:46], v[45:46], v[18:19]
	s_delay_alu instid0(VALU_DEP_4) | instskip(NEXT) | instid1(VALU_DEP_3)
	v_add_f64 v[55:56], v[57:58], -v[63:64]
	v_add_f64 v[23:24], v[23:24], v[53:54]
	s_delay_alu instid0(VALU_DEP_3) | instskip(NEXT) | instid1(VALU_DEP_3)
	v_add_f64 v[61:62], v[49:50], v[45:46]
	v_add_f64 v[25:26], v[25:26], v[55:56]
	s_delay_alu instid0(VALU_DEP_2) | instskip(NEXT) | instid1(VALU_DEP_2)
	v_cvt_i32_f64_e32 v19, v[61:62]
	v_add_f64 v[23:24], v[25:26], v[23:24]
	s_delay_alu instid0(VALU_DEP_2) | instskip(NEXT) | instid1(VALU_DEP_2)
	v_cvt_f64_i32_e32 v[59:60], v19
	v_add_f64 v[21:22], v[21:22], v[23:24]
	s_delay_alu instid0(VALU_DEP_2) | instskip(NEXT) | instid1(VALU_DEP_2)
	v_add_f64 v[45:46], v[45:46], -v[59:60]
	v_add_f64 v[21:22], v[27:28], v[21:22]
	s_delay_alu instid0(VALU_DEP_2) | instskip(NEXT) | instid1(VALU_DEP_1)
	v_add_f64 v[25:26], v[49:50], v[45:46]
	v_add_f64 v[23:24], v[25:26], -v[45:46]
	v_cmp_le_f64_e32 vcc_lo, 0.5, v[25:26]
	s_delay_alu instid0(VALU_DEP_2) | instskip(SKIP_2) | instid1(VALU_DEP_3)
	v_add_f64 v[23:24], v[49:50], -v[23:24]
	v_add_co_ci_u32_e64 v45, s4, 0, v19, vcc_lo
	v_cndmask_b32_e64 v19, 0, 0x3ff00000, vcc_lo
	v_add_f64 v[21:22], v[21:22], v[23:24]
	s_delay_alu instid0(VALU_DEP_2) | instskip(NEXT) | instid1(VALU_DEP_1)
	v_add_f64 v[23:24], v[25:26], -v[18:19]
	v_add_f64 v[25:26], v[23:24], v[21:22]
	s_delay_alu instid0(VALU_DEP_1) | instskip(SKIP_1) | instid1(VALU_DEP_2)
	v_mul_f64 v[27:28], v[25:26], s[20:21]
	v_add_f64 v[23:24], v[25:26], -v[23:24]
	v_fma_f64 v[46:47], v[25:26], s[20:21], -v[27:28]
	s_delay_alu instid0(VALU_DEP_2) | instskip(NEXT) | instid1(VALU_DEP_2)
	v_add_f64 v[21:22], v[21:22], -v[23:24]
	v_fma_f64 v[23:24], v[25:26], s[26:27], v[46:47]
	s_delay_alu instid0(VALU_DEP_1) | instskip(NEXT) | instid1(VALU_DEP_1)
	v_fma_f64 v[23:24], v[21:22], s[20:21], v[23:24]
	v_add_f64 v[21:22], v[27:28], v[23:24]
	s_delay_alu instid0(VALU_DEP_1) | instskip(NEXT) | instid1(VALU_DEP_1)
	v_add_f64 v[25:26], v[21:22], -v[27:28]
	v_add_f64 v[23:24], v[23:24], -v[25:26]
	s_and_not1_saveexec_b32 s4, s6
	s_cbranch_execz .LBB248_243
	s_branch .LBB248_242
.LBB248_241:                            ;   in Loop: Header=BB248_217 Depth=1
	s_and_not1_saveexec_b32 s4, s6
	s_cbranch_execz .LBB248_243
.LBB248_242:                            ;   in Loop: Header=BB248_217 Depth=1
	v_mul_f64 v[21:22], |v[8:9]|, s[28:29]
	s_mov_b32 s24, s30
	s_delay_alu instid0(VALU_DEP_1) | instskip(NEXT) | instid1(VALU_DEP_1)
	v_rndne_f64_e32 v[25:26], v[21:22]
	v_fma_f64 v[21:22], v[25:26], s[22:23], |v[8:9]|
	v_mul_f64 v[23:24], v[25:26], s[30:31]
	s_delay_alu instid0(VALU_DEP_2) | instskip(NEXT) | instid1(VALU_DEP_2)
	v_fma_f64 v[45:46], v[25:26], s[30:31], v[21:22]
	v_add_f64 v[27:28], v[21:22], v[23:24]
	s_delay_alu instid0(VALU_DEP_1) | instskip(NEXT) | instid1(VALU_DEP_3)
	v_add_f64 v[21:22], v[21:22], -v[27:28]
	v_add_f64 v[27:28], v[27:28], -v[45:46]
	s_delay_alu instid0(VALU_DEP_2) | instskip(SKIP_1) | instid1(VALU_DEP_2)
	v_add_f64 v[21:22], v[21:22], v[23:24]
	v_fma_f64 v[23:24], v[25:26], s[24:25], v[23:24]
	v_add_f64 v[21:22], v[27:28], v[21:22]
	s_delay_alu instid0(VALU_DEP_1) | instskip(NEXT) | instid1(VALU_DEP_1)
	v_add_f64 v[21:22], v[21:22], -v[23:24]
	v_fma_f64 v[23:24], v[25:26], s[34:35], v[21:22]
	s_delay_alu instid0(VALU_DEP_1) | instskip(NEXT) | instid1(VALU_DEP_1)
	v_add_f64 v[21:22], v[45:46], v[23:24]
	v_add_f64 v[27:28], v[21:22], -v[45:46]
	v_cvt_i32_f64_e32 v45, v[25:26]
	s_delay_alu instid0(VALU_DEP_2)
	v_add_f64 v[23:24], v[23:24], -v[27:28]
.LBB248_243:                            ;   in Loop: Header=BB248_217 Depth=1
	s_or_b32 exec_lo, exec_lo, s4
                                        ; implicit-def: $vgpr46
                                        ; implicit-def: $vgpr25_vgpr26
                                        ; implicit-def: $vgpr27_vgpr28
	s_and_saveexec_b32 s4, s5
	s_delay_alu instid0(SALU_CYCLE_1)
	s_xor_b32 s5, exec_lo, s4
	s_cbranch_execz .LBB248_245
; %bb.244:                              ;   in Loop: Header=BB248_217 Depth=1
	v_ldexp_f64 v[25:26], |v[8:9]|, 0xffffff80
	v_cmp_le_f64_e64 vcc_lo, 0x7b000000, |v[8:9]|
	v_trig_preop_f64 v[27:28], |v[8:9]|, 0
	v_and_b32_e32 v19, 0x7fffffff, v9
	v_trig_preop_f64 v[46:47], |v[8:9]|, 1
	v_trig_preop_f64 v[56:57], |v[8:9]|, 2
	s_mov_b32 s20, s22
	s_mov_b32 s27, s25
	v_dual_cndmask_b32 v26, v19, v26 :: v_dual_cndmask_b32 v25, v8, v25
	s_delay_alu instid0(VALU_DEP_1) | instskip(NEXT) | instid1(VALU_DEP_4)
	v_mul_f64 v[48:49], v[27:28], v[25:26]
	v_mul_f64 v[50:51], v[46:47], v[25:26]
	s_delay_alu instid0(VALU_DEP_4) | instskip(NEXT) | instid1(VALU_DEP_3)
	v_mul_f64 v[62:63], v[56:57], v[25:26]
	v_fma_f64 v[27:28], v[27:28], v[25:26], -v[48:49]
	s_delay_alu instid0(VALU_DEP_3) | instskip(NEXT) | instid1(VALU_DEP_3)
	v_fma_f64 v[46:47], v[46:47], v[25:26], -v[50:51]
	v_fma_f64 v[25:26], v[56:57], v[25:26], -v[62:63]
	s_delay_alu instid0(VALU_DEP_3) | instskip(NEXT) | instid1(VALU_DEP_1)
	v_add_f64 v[52:53], v[50:51], v[27:28]
	v_add_f64 v[54:55], v[52:53], -v[50:51]
	v_add_f64 v[60:61], v[48:49], v[52:53]
	s_delay_alu instid0(VALU_DEP_2) | instskip(SKIP_1) | instid1(VALU_DEP_3)
	v_add_f64 v[58:59], v[52:53], -v[54:55]
	v_add_f64 v[27:28], v[27:28], -v[54:55]
	v_ldexp_f64 v[54:55], v[60:61], -2
	v_add_f64 v[48:49], v[60:61], -v[48:49]
	s_delay_alu instid0(VALU_DEP_4) | instskip(SKIP_1) | instid1(VALU_DEP_4)
	v_add_f64 v[50:51], v[50:51], -v[58:59]
	v_add_f64 v[58:59], v[62:63], v[46:47]
	v_cmp_neq_f64_e64 vcc_lo, 0x7ff00000, |v[54:55]|
	s_delay_alu instid0(VALU_DEP_4) | instskip(NEXT) | instid1(VALU_DEP_4)
	v_add_f64 v[48:49], v[52:53], -v[48:49]
	v_add_f64 v[27:28], v[27:28], v[50:51]
	v_fract_f64_e32 v[50:51], v[54:55]
	s_delay_alu instid0(VALU_DEP_2) | instskip(NEXT) | instid1(VALU_DEP_2)
	v_add_f64 v[52:53], v[58:59], v[27:28]
	v_dual_cndmask_b32 v51, 0, v51 :: v_dual_cndmask_b32 v50, 0, v50
	s_delay_alu instid0(VALU_DEP_1) | instskip(NEXT) | instid1(VALU_DEP_3)
	v_ldexp_f64 v[50:51], v[50:51], 2
	v_add_f64 v[54:55], v[48:49], v[52:53]
	v_add_f64 v[64:65], v[52:53], -v[58:59]
	s_delay_alu instid0(VALU_DEP_2) | instskip(NEXT) | instid1(VALU_DEP_2)
	v_add_f64 v[60:61], v[54:55], v[50:51]
	v_add_f64 v[70:71], v[52:53], -v[64:65]
	v_add_f64 v[27:28], v[27:28], -v[64:65]
	;; [unrolled: 1-line block ×3, first 2 shown]
	s_delay_alu instid0(VALU_DEP_4) | instskip(SKIP_2) | instid1(VALU_DEP_2)
	v_cmp_gt_f64_e32 vcc_lo, 0, v[60:61]
	v_add_f64 v[60:61], v[58:59], -v[62:63]
	v_cndmask_b32_e64 v19, 0, 0x40100000, vcc_lo
	v_add_f64 v[68:69], v[58:59], -v[60:61]
	v_add_f64 v[46:47], v[46:47], -v[60:61]
	;; [unrolled: 1-line block ×3, first 2 shown]
	s_delay_alu instid0(VALU_DEP_4) | instskip(NEXT) | instid1(VALU_DEP_4)
	v_add_f64 v[50:51], v[50:51], v[18:19]
	v_add_f64 v[60:61], v[62:63], -v[68:69]
	s_delay_alu instid0(VALU_DEP_3) | instskip(NEXT) | instid1(VALU_DEP_3)
	v_add_f64 v[27:28], v[27:28], v[58:59]
	v_add_f64 v[66:67], v[54:55], v[50:51]
	s_delay_alu instid0(VALU_DEP_3) | instskip(NEXT) | instid1(VALU_DEP_2)
	v_add_f64 v[46:47], v[46:47], v[60:61]
	v_cvt_i32_f64_e32 v19, v[66:67]
	s_delay_alu instid0(VALU_DEP_2) | instskip(SKIP_1) | instid1(VALU_DEP_3)
	v_add_f64 v[27:28], v[46:47], v[27:28]
	v_add_f64 v[46:47], v[52:53], -v[48:49]
	v_cvt_f64_i32_e32 v[64:65], v19
	s_delay_alu instid0(VALU_DEP_3) | instskip(NEXT) | instid1(VALU_DEP_2)
	v_add_f64 v[25:26], v[25:26], v[27:28]
	v_add_f64 v[50:51], v[50:51], -v[64:65]
	s_delay_alu instid0(VALU_DEP_2) | instskip(NEXT) | instid1(VALU_DEP_2)
	v_add_f64 v[25:26], v[46:47], v[25:26]
	v_add_f64 v[56:57], v[54:55], v[50:51]
	s_delay_alu instid0(VALU_DEP_1) | instskip(SKIP_1) | instid1(VALU_DEP_2)
	v_add_f64 v[27:28], v[56:57], -v[50:51]
	v_cmp_le_f64_e32 vcc_lo, 0.5, v[56:57]
	v_add_f64 v[27:28], v[54:55], -v[27:28]
	v_add_co_ci_u32_e64 v46, s4, 0, v19, vcc_lo
	v_cndmask_b32_e64 v19, 0, 0x3ff00000, vcc_lo
	s_delay_alu instid0(VALU_DEP_3) | instskip(NEXT) | instid1(VALU_DEP_2)
	v_add_f64 v[25:26], v[25:26], v[27:28]
	v_add_f64 v[27:28], v[56:57], -v[18:19]
	s_delay_alu instid0(VALU_DEP_1) | instskip(NEXT) | instid1(VALU_DEP_1)
	v_add_f64 v[47:48], v[27:28], v[25:26]
	v_mul_f64 v[49:50], v[47:48], s[20:21]
	v_add_f64 v[27:28], v[47:48], -v[27:28]
	s_delay_alu instid0(VALU_DEP_2) | instskip(NEXT) | instid1(VALU_DEP_2)
	v_fma_f64 v[51:52], v[47:48], s[20:21], -v[49:50]
	v_add_f64 v[25:26], v[25:26], -v[27:28]
	s_delay_alu instid0(VALU_DEP_2) | instskip(NEXT) | instid1(VALU_DEP_1)
	v_fma_f64 v[27:28], v[47:48], s[26:27], v[51:52]
	v_fma_f64 v[27:28], v[25:26], s[20:21], v[27:28]
	s_delay_alu instid0(VALU_DEP_1) | instskip(NEXT) | instid1(VALU_DEP_1)
	v_add_f64 v[25:26], v[49:50], v[27:28]
	v_add_f64 v[47:48], v[25:26], -v[49:50]
	s_delay_alu instid0(VALU_DEP_1)
	v_add_f64 v[27:28], v[27:28], -v[47:48]
	s_and_not1_saveexec_b32 s4, s5
	s_cbranch_execnz .LBB248_246
	s_branch .LBB248_247
.LBB248_245:                            ;   in Loop: Header=BB248_217 Depth=1
	s_and_not1_saveexec_b32 s4, s5
	s_cbranch_execz .LBB248_247
.LBB248_246:                            ;   in Loop: Header=BB248_217 Depth=1
	v_mul_f64 v[25:26], |v[8:9]|, s[28:29]
	s_mov_b32 s24, s30
	s_delay_alu instid0(VALU_DEP_1) | instskip(NEXT) | instid1(VALU_DEP_1)
	v_rndne_f64_e32 v[46:47], v[25:26]
	v_fma_f64 v[25:26], v[46:47], s[22:23], |v[8:9]|
	v_mul_f64 v[27:28], v[46:47], s[30:31]
	s_delay_alu instid0(VALU_DEP_2) | instskip(NEXT) | instid1(VALU_DEP_2)
	v_fma_f64 v[50:51], v[46:47], s[30:31], v[25:26]
	v_add_f64 v[48:49], v[25:26], v[27:28]
	s_delay_alu instid0(VALU_DEP_1) | instskip(NEXT) | instid1(VALU_DEP_3)
	v_add_f64 v[25:26], v[25:26], -v[48:49]
	v_add_f64 v[48:49], v[48:49], -v[50:51]
	s_delay_alu instid0(VALU_DEP_2) | instskip(SKIP_1) | instid1(VALU_DEP_2)
	v_add_f64 v[25:26], v[25:26], v[27:28]
	v_fma_f64 v[27:28], v[46:47], s[24:25], v[27:28]
	v_add_f64 v[25:26], v[48:49], v[25:26]
	s_delay_alu instid0(VALU_DEP_1) | instskip(NEXT) | instid1(VALU_DEP_1)
	v_add_f64 v[25:26], v[25:26], -v[27:28]
	v_fma_f64 v[27:28], v[46:47], s[34:35], v[25:26]
	v_cvt_i32_f64_e32 v46, v[46:47]
	s_delay_alu instid0(VALU_DEP_2) | instskip(NEXT) | instid1(VALU_DEP_1)
	v_add_f64 v[25:26], v[50:51], v[27:28]
	v_add_f64 v[48:49], v[25:26], -v[50:51]
	s_delay_alu instid0(VALU_DEP_1)
	v_add_f64 v[27:28], v[27:28], -v[48:49]
.LBB248_247:                            ;   in Loop: Header=BB248_217 Depth=1
	s_or_b32 exec_lo, exec_lo, s4
	v_add_f64 v[6:7], -v[6:7], s[84:85]
	s_delay_alu instid0(VALU_DEP_4) | instskip(SKIP_3) | instid1(VALU_DEP_4)
	v_mul_f64 v[53:54], v[21:22], v[21:22]
	v_mul_f64 v[55:56], v[25:26], v[25:26]
	s_mov_b32 s59, s57
	s_mov_b32 s87, s61
	v_mul_f64 v[73:74], v[23:24], 0.5
	v_mul_f64 v[79:80], v[27:28], 0.5
	s_mov_b32 s88, s60
	v_cmp_class_f64_e64 s4, v[8:9], 0x1f8
	v_and_b32_e32 v9, 1, v46
	s_delay_alu instid0(VALU_DEP_1)
	v_cmp_eq_u32_e64 s7, 0, v9
	v_mul_f64 v[47:48], v[6:7], s[38:39]
	v_fma_f64 v[57:58], v[53:54], s[78:79], s[76:77]
	v_fma_f64 v[59:60], v[55:56], s[78:79], s[76:77]
	;; [unrolled: 1-line block ×3, first 2 shown]
	v_mul_f64 v[63:64], v[53:54], 0.5
	v_fma_f64 v[65:66], v[55:56], s[68:69], s[66:67]
	v_mul_f64 v[67:68], v[55:56], 0.5
	v_mul_f64 v[75:76], v[21:22], -v[53:54]
	v_mul_f64 v[81:82], v[25:26], -v[55:56]
	v_cmp_nlt_f64_e64 s5, 0x40900000, v[6:7]
	v_cmp_ngt_f64_e64 s6, 0xc090cc00, v[6:7]
	v_rndne_f64_e32 v[47:48], v[47:48]
	v_fma_f64 v[57:58], v[53:54], v[57:58], s[80:81]
	v_fma_f64 v[59:60], v[55:56], v[59:60], s[80:81]
	;; [unrolled: 1-line block ×3, first 2 shown]
	v_add_f64 v[69:70], -v[63:64], 1.0
	v_fma_f64 v[65:66], v[55:56], v[65:66], s[70:71]
	v_add_f64 v[71:72], -v[67:68], 1.0
	v_fma_f64 v[49:50], v[47:48], s[40:41], v[6:7]
	v_fma_f64 v[57:58], v[53:54], v[57:58], s[82:83]
	;; [unrolled: 1-line block ×4, first 2 shown]
	v_add_f64 v[77:78], -v[69:70], 1.0
	v_fma_f64 v[65:66], v[55:56], v[65:66], s[72:73]
	v_add_f64 v[83:84], -v[71:72], 1.0
	v_cvt_i32_f64_e32 v19, v[47:48]
	v_lshlrev_b32_e32 v7, 30, v45
	v_lshlrev_b32_e32 v6, 30, v46
	s_delay_alu instid0(VALU_DEP_2) | instskip(NEXT) | instid1(VALU_DEP_2)
	v_and_b32_e32 v7, 0x80000000, v7
	v_xor_b32_e32 v6, v6, v20
	s_delay_alu instid0(VALU_DEP_1)
	v_and_b32_e32 v20, 0x80000000, v6
	v_fma_f64 v[49:50], v[47:48], s[42:43], v[49:50]
	v_fma_f64 v[57:58], v[53:54], v[57:58], s[56:57]
	;; [unrolled: 1-line block ×4, first 2 shown]
	v_add_f64 v[63:64], v[77:78], -v[63:64]
	v_fma_f64 v[65:66], v[55:56], v[65:66], s[74:75]
	v_add_f64 v[67:68], v[83:84], -v[67:68]
	v_fma_f64 v[51:52], v[49:50], s[46:47], s[44:45]
	v_fma_f64 v[57:58], v[75:76], v[57:58], v[73:74]
	;; [unrolled: 1-line block ×3, first 2 shown]
	v_mul_f64 v[73:74], v[53:54], v[53:54]
	v_fma_f64 v[61:62], v[53:54], v[61:62], s[60:61]
	v_fma_f64 v[63:64], v[21:22], -v[23:24], v[63:64]
	v_fma_f64 v[51:52], v[49:50], v[51:52], s[48:49]
	v_fma_f64 v[23:24], v[53:54], v[57:58], -v[23:24]
	v_mul_f64 v[53:54], v[55:56], v[55:56]
	v_fma_f64 v[57:58], v[55:56], v[65:66], s[60:61]
	v_fma_f64 v[65:66], v[25:26], -v[27:28], v[67:68]
	v_fma_f64 v[27:28], v[55:56], v[59:60], -v[27:28]
	v_fma_f64 v[55:56], v[73:74], v[61:62], v[63:64]
	v_fma_f64 v[51:52], v[49:50], v[51:52], s[50:51]
	;; [unrolled: 1-line block ×3, first 2 shown]
	s_delay_alu instid0(VALU_DEP_4) | instskip(NEXT) | instid1(VALU_DEP_3)
	v_fma_f64 v[27:28], v[81:82], s[88:89], v[27:28]
	v_fma_f64 v[51:52], v[49:50], v[51:52], s[52:53]
	s_delay_alu instid0(VALU_DEP_3) | instskip(NEXT) | instid1(VALU_DEP_3)
	v_add_f64 v[21:22], v[21:22], -v[23:24]
	v_add_f64 v[25:26], v[25:26], -v[27:28]
	s_delay_alu instid0(VALU_DEP_3) | instskip(NEXT) | instid1(VALU_DEP_1)
	v_fma_f64 v[51:52], v[49:50], v[51:52], s[54:55]
	v_fma_f64 v[51:52], v[49:50], v[51:52], s[58:59]
	s_delay_alu instid0(VALU_DEP_1) | instskip(NEXT) | instid1(VALU_DEP_1)
	v_fma_f64 v[51:52], v[49:50], v[51:52], s[86:87]
	v_fma_f64 v[51:52], v[49:50], v[51:52], s[62:63]
	s_delay_alu instid0(VALU_DEP_1) | instskip(NEXT) | instid1(VALU_DEP_1)
	v_fma_f64 v[51:52], v[49:50], v[51:52], s[64:65]
	v_fma_f64 v[51:52], v[49:50], v[51:52], 1.0
	s_delay_alu instid0(VALU_DEP_1) | instskip(SKIP_2) | instid1(VALU_DEP_3)
	v_fma_f64 v[47:48], v[49:50], v[51:52], 1.0
	v_fma_f64 v[49:50], v[53:54], v[57:58], v[65:66]
	v_add_f64 v[51:52], v[69:70], v[55:56]
	v_ldexp_f64 v[23:24], v[47:48], v19
	s_delay_alu instid0(VALU_DEP_3) | instskip(SKIP_1) | instid1(VALU_DEP_1)
	v_add_f64 v[47:48], v[71:72], v[49:50]
	v_and_b32_e32 v19, 1, v45
	v_cmp_eq_u32_e32 vcc_lo, 0, v19
	v_cndmask_b32_e32 v19, v21, v51, vcc_lo
	v_xor_b32_e32 v21, 0x80000000, v22
	s_delay_alu instid0(VALU_DEP_2) | instskip(NEXT) | instid1(VALU_DEP_2)
	v_cndmask_b32_e64 v6, 0, v19, s4
	v_cndmask_b32_e32 v9, v21, v52, vcc_lo
	s_and_b32 vcc_lo, s6, s5
	s_delay_alu instid0(VALU_DEP_1) | instskip(NEXT) | instid1(VALU_DEP_1)
	v_xor_b32_e32 v7, v9, v7
	v_cndmask_b32_e64 v7, 0x7ff80000, v7, s4
	v_cndmask_b32_e64 v8, 0x7ff00000, v24, s5
	;; [unrolled: 1-line block ×4, first 2 shown]
	v_cndmask_b32_e32 v19, 0, v23, vcc_lo
	s_delay_alu instid0(VALU_DEP_4) | instskip(NEXT) | instid1(VALU_DEP_4)
	v_cndmask_b32_e64 v24, 0, v8, s6
	v_xor_b32_e32 v9, v22, v20
	s_delay_alu instid0(VALU_DEP_4) | instskip(NEXT) | instid1(VALU_DEP_3)
	v_cndmask_b32_e64 v8, 0, v21, s4
	v_and_or_b32 v20, v24, s95, 0x7fe00000
	s_delay_alu instid0(VALU_DEP_3) | instskip(NEXT) | instid1(VALU_DEP_2)
	v_cndmask_b32_e64 v9, 0x7ff80000, v9, s4
	v_mul_f64 v[6:7], v[19:20], v[6:7]
	s_delay_alu instid0(VALU_DEP_2) | instskip(SKIP_1) | instid1(VALU_DEP_1)
	v_mul_f64 v[8:9], v[19:20], v[8:9]
	v_lshrrev_b32_e32 v19, 20, v24
	v_add_nc_u32_e32 v20, 0xffffff09, v19
	s_delay_alu instid0(VALU_DEP_1) | instskip(NEXT) | instid1(VALU_DEP_1)
	v_lshrrev_b16 v19, 15, v20
	v_add_nc_u16 v19, v20, v19
	s_delay_alu instid0(VALU_DEP_1) | instskip(NEXT) | instid1(VALU_DEP_1)
	v_ashrrev_i16 v19, 1, v19
	v_bfe_i32 v21, v19, 0, 16
	s_delay_alu instid0(VALU_DEP_1) | instskip(NEXT) | instid1(VALU_DEP_1)
	v_lshl_add_u32 v19, v21, 20, 0x3ff00000
	v_mul_f64 v[6:7], v[6:7], v[18:19]
	v_mul_f64 v[8:9], v[8:9], v[18:19]
	v_mov_b32_e32 v19, v18
	v_sub_nc_u32_e32 v20, v20, v21
	s_delay_alu instid0(VALU_DEP_1) | instskip(NEXT) | instid1(VALU_DEP_1)
	v_lshl_add_u32 v20, v20, 20, 0x3ff00000
	v_mul_f64 v[21:22], v[6:7], v[19:20]
	v_mul_f64 v[19:20], v[8:9], v[19:20]
	s_or_b32 exec_lo, exec_lo, s36
                                        ; implicit-def: $vgpr23_vgpr24
                                        ; implicit-def: $vgpr8_vgpr9
                                        ; implicit-def: $vgpr25
.LBB248_248:                            ;   in Loop: Header=BB248_217 Depth=1
	s_and_not1_saveexec_b32 s5, s97
	s_cbranch_execz .LBB248_254
.LBB248_249:                            ;   in Loop: Header=BB248_217 Depth=1
	v_cmp_ne_u32_e32 vcc_lo, 0, v23
	v_cmp_ne_u32_e64 s4, 0x7ff00000, v25
                                        ; implicit-def: $vgpr19_vgpr20
	s_delay_alu instid0(VALU_DEP_1) | instskip(NEXT) | instid1(SALU_CYCLE_1)
	s_or_b32 s4, vcc_lo, s4
	s_and_saveexec_b32 s6, s4
	s_delay_alu instid0(SALU_CYCLE_1)
	s_xor_b32 s4, exec_lo, s6
; %bb.250:                              ;   in Loop: Header=BB248_217 Depth=1
	v_add_f64 v[19:20], v[8:9], -v[8:9]
                                        ; implicit-def: $vgpr23_vgpr24
                                        ; implicit-def: $vgpr8_vgpr9
; %bb.251:                              ;   in Loop: Header=BB248_217 Depth=1
	s_or_saveexec_b32 s4, s4
	s_delay_alu instid0(VALU_DEP_1)
	v_dual_mov_b32 v22, v20 :: v_dual_mov_b32 v21, v19
	s_xor_b32 exec_lo, exec_lo, s4
; %bb.252:                              ;   in Loop: Header=BB248_217 Depth=1
	v_add_f64 v[7:8], v[8:9], -v[8:9]
	v_cmp_lt_i64_e32 vcc_lo, -1, v[23:24]
	v_dual_cndmask_b32 v22, 0, v24 :: v_dual_cndmask_b32 v21, 0, v6
	s_delay_alu instid0(VALU_DEP_3)
	v_dual_cndmask_b32 v20, 0, v8 :: v_dual_cndmask_b32 v19, 0, v7
; %bb.253:                              ;   in Loop: Header=BB248_217 Depth=1
	s_or_b32 exec_lo, exec_lo, s4
.LBB248_254:                            ;   in Loop: Header=BB248_217 Depth=1
	s_delay_alu instid0(SALU_CYCLE_1)
	s_or_b32 exec_lo, exec_lo, s5
                                        ; implicit-def: $vgpr8_vgpr9
.LBB248_255:                            ;   in Loop: Header=BB248_217 Depth=1
	s_and_not1_saveexec_b32 s6, s96
	s_cbranch_execz .LBB248_265
; %bb.256:                              ;   in Loop: Header=BB248_217 Depth=1
	v_cmp_ngt_f64_e64 s5, 0x41d00000, |v[8:9]|
                                        ; implicit-def: $vgpr27
                                        ; implicit-def: $vgpr6_vgpr7
                                        ; implicit-def: $vgpr21_vgpr22
	s_delay_alu instid0(VALU_DEP_1) | instskip(NEXT) | instid1(SALU_CYCLE_1)
	s_and_saveexec_b32 s4, s5
	s_xor_b32 s7, exec_lo, s4
	s_cbranch_execz .LBB248_258
; %bb.257:                              ;   in Loop: Header=BB248_217 Depth=1
	v_ldexp_f64 v[6:7], |v[8:9]|, 0xffffff80
	v_cmp_le_f64_e64 vcc_lo, 0x7b000000, |v[8:9]|
	v_trig_preop_f64 v[21:22], |v[8:9]|, 0
	v_and_b32_e32 v19, 0x7fffffff, v9
	v_trig_preop_f64 v[23:24], |v[8:9]|, 1
	v_trig_preop_f64 v[49:50], |v[8:9]|, 2
	s_mov_b32 s20, s22
	s_mov_b32 s27, s25
	v_dual_cndmask_b32 v6, v8, v6 :: v_dual_cndmask_b32 v7, v19, v7
	s_delay_alu instid0(VALU_DEP_1) | instskip(NEXT) | instid1(VALU_DEP_4)
	v_mul_f64 v[25:26], v[21:22], v[6:7]
	v_mul_f64 v[27:28], v[23:24], v[6:7]
	s_delay_alu instid0(VALU_DEP_2) | instskip(NEXT) | instid1(VALU_DEP_2)
	v_fma_f64 v[21:22], v[21:22], v[6:7], -v[25:26]
	v_fma_f64 v[23:24], v[23:24], v[6:7], -v[27:28]
	s_delay_alu instid0(VALU_DEP_2) | instskip(NEXT) | instid1(VALU_DEP_1)
	v_add_f64 v[45:46], v[27:28], v[21:22]
	v_add_f64 v[47:48], v[45:46], -v[27:28]
	v_add_f64 v[53:54], v[25:26], v[45:46]
	s_delay_alu instid0(VALU_DEP_2) | instskip(SKIP_1) | instid1(VALU_DEP_3)
	v_add_f64 v[51:52], v[45:46], -v[47:48]
	v_add_f64 v[21:22], v[21:22], -v[47:48]
	v_ldexp_f64 v[47:48], v[53:54], -2
	v_add_f64 v[25:26], v[53:54], -v[25:26]
	s_delay_alu instid0(VALU_DEP_4) | instskip(NEXT) | instid1(VALU_DEP_3)
	v_add_f64 v[27:28], v[27:28], -v[51:52]
	v_cmp_neq_f64_e64 vcc_lo, 0x7ff00000, |v[47:48]|
	s_delay_alu instid0(VALU_DEP_3) | instskip(NEXT) | instid1(VALU_DEP_3)
	v_add_f64 v[25:26], v[45:46], -v[25:26]
	v_add_f64 v[21:22], v[21:22], v[27:28]
	v_fract_f64_e32 v[27:28], v[47:48]
	s_delay_alu instid0(VALU_DEP_1) | instskip(SKIP_1) | instid1(VALU_DEP_3)
	v_cndmask_b32_e32 v28, 0, v28, vcc_lo
	v_mul_f64 v[55:56], v[49:50], v[6:7]
	v_cndmask_b32_e32 v27, 0, v27, vcc_lo
	s_delay_alu instid0(VALU_DEP_1) | instskip(NEXT) | instid1(VALU_DEP_3)
	v_ldexp_f64 v[27:28], v[27:28], 2
	v_add_f64 v[51:52], v[55:56], v[23:24]
	v_fma_f64 v[6:7], v[49:50], v[6:7], -v[55:56]
	s_delay_alu instid0(VALU_DEP_2) | instskip(NEXT) | instid1(VALU_DEP_1)
	v_add_f64 v[45:46], v[51:52], v[21:22]
	v_add_f64 v[47:48], v[25:26], v[45:46]
	v_add_f64 v[57:58], v[45:46], -v[51:52]
	s_delay_alu instid0(VALU_DEP_2) | instskip(NEXT) | instid1(VALU_DEP_2)
	v_add_f64 v[53:54], v[47:48], v[27:28]
	v_add_f64 v[63:64], v[45:46], -v[57:58]
	v_add_f64 v[21:22], v[21:22], -v[57:58]
	v_add_f64 v[25:26], v[47:48], -v[25:26]
	s_delay_alu instid0(VALU_DEP_4) | instskip(SKIP_1) | instid1(VALU_DEP_3)
	v_cmp_gt_f64_e32 vcc_lo, 0, v[53:54]
	v_add_f64 v[53:54], v[51:52], -v[55:56]
	v_add_f64 v[25:26], v[45:46], -v[25:26]
	v_cndmask_b32_e64 v19, 0, 0x40100000, vcc_lo
	s_delay_alu instid0(VALU_DEP_3) | instskip(SKIP_2) | instid1(VALU_DEP_4)
	v_add_f64 v[61:62], v[51:52], -v[53:54]
	v_add_f64 v[23:24], v[23:24], -v[53:54]
	;; [unrolled: 1-line block ×3, first 2 shown]
	v_add_f64 v[27:28], v[27:28], v[18:19]
	s_delay_alu instid0(VALU_DEP_4) | instskip(NEXT) | instid1(VALU_DEP_3)
	v_add_f64 v[53:54], v[55:56], -v[61:62]
	v_add_f64 v[21:22], v[21:22], v[51:52]
	s_delay_alu instid0(VALU_DEP_3) | instskip(NEXT) | instid1(VALU_DEP_3)
	v_add_f64 v[59:60], v[47:48], v[27:28]
	v_add_f64 v[23:24], v[23:24], v[53:54]
	s_delay_alu instid0(VALU_DEP_2) | instskip(NEXT) | instid1(VALU_DEP_2)
	v_cvt_i32_f64_e32 v19, v[59:60]
	v_add_f64 v[21:22], v[23:24], v[21:22]
	s_delay_alu instid0(VALU_DEP_2) | instskip(NEXT) | instid1(VALU_DEP_2)
	v_cvt_f64_i32_e32 v[57:58], v19
	v_add_f64 v[6:7], v[6:7], v[21:22]
	s_delay_alu instid0(VALU_DEP_2) | instskip(NEXT) | instid1(VALU_DEP_2)
	v_add_f64 v[27:28], v[27:28], -v[57:58]
	v_add_f64 v[6:7], v[25:26], v[6:7]
	s_delay_alu instid0(VALU_DEP_2) | instskip(NEXT) | instid1(VALU_DEP_1)
	v_add_f64 v[23:24], v[47:48], v[27:28]
	v_add_f64 v[21:22], v[23:24], -v[27:28]
	v_cmp_le_f64_e32 vcc_lo, 0.5, v[23:24]
	s_delay_alu instid0(VALU_DEP_2) | instskip(SKIP_2) | instid1(VALU_DEP_3)
	v_add_f64 v[21:22], v[47:48], -v[21:22]
	v_add_co_ci_u32_e64 v27, s4, 0, v19, vcc_lo
	v_cndmask_b32_e64 v19, 0, 0x3ff00000, vcc_lo
	v_add_f64 v[6:7], v[6:7], v[21:22]
	s_delay_alu instid0(VALU_DEP_2) | instskip(NEXT) | instid1(VALU_DEP_1)
	v_add_f64 v[21:22], v[23:24], -v[18:19]
	v_add_f64 v[23:24], v[21:22], v[6:7]
	s_delay_alu instid0(VALU_DEP_1) | instskip(SKIP_1) | instid1(VALU_DEP_2)
	v_mul_f64 v[25:26], v[23:24], s[20:21]
	v_add_f64 v[21:22], v[23:24], -v[21:22]
	v_fma_f64 v[45:46], v[23:24], s[20:21], -v[25:26]
	s_delay_alu instid0(VALU_DEP_2) | instskip(NEXT) | instid1(VALU_DEP_2)
	v_add_f64 v[6:7], v[6:7], -v[21:22]
	v_fma_f64 v[21:22], v[23:24], s[26:27], v[45:46]
	s_delay_alu instid0(VALU_DEP_1) | instskip(NEXT) | instid1(VALU_DEP_1)
	v_fma_f64 v[21:22], v[6:7], s[20:21], v[21:22]
	v_add_f64 v[6:7], v[25:26], v[21:22]
	s_delay_alu instid0(VALU_DEP_1) | instskip(NEXT) | instid1(VALU_DEP_1)
	v_add_f64 v[23:24], v[6:7], -v[25:26]
	v_add_f64 v[21:22], v[21:22], -v[23:24]
	s_and_not1_saveexec_b32 s4, s7
	s_cbranch_execz .LBB248_260
	s_branch .LBB248_259
.LBB248_258:                            ;   in Loop: Header=BB248_217 Depth=1
	s_and_not1_saveexec_b32 s4, s7
	s_cbranch_execz .LBB248_260
.LBB248_259:                            ;   in Loop: Header=BB248_217 Depth=1
	v_mul_f64 v[6:7], |v[8:9]|, s[28:29]
	s_mov_b32 s24, s30
	s_delay_alu instid0(VALU_DEP_1) | instskip(NEXT) | instid1(VALU_DEP_1)
	v_rndne_f64_e32 v[23:24], v[6:7]
	v_fma_f64 v[6:7], v[23:24], s[22:23], |v[8:9]|
	v_mul_f64 v[21:22], v[23:24], s[30:31]
	s_delay_alu instid0(VALU_DEP_2) | instskip(NEXT) | instid1(VALU_DEP_2)
	v_fma_f64 v[27:28], v[23:24], s[30:31], v[6:7]
	v_add_f64 v[25:26], v[6:7], v[21:22]
	s_delay_alu instid0(VALU_DEP_1) | instskip(NEXT) | instid1(VALU_DEP_3)
	v_add_f64 v[6:7], v[6:7], -v[25:26]
	v_add_f64 v[25:26], v[25:26], -v[27:28]
	s_delay_alu instid0(VALU_DEP_2) | instskip(SKIP_1) | instid1(VALU_DEP_2)
	v_add_f64 v[6:7], v[6:7], v[21:22]
	v_fma_f64 v[21:22], v[23:24], s[24:25], v[21:22]
	v_add_f64 v[6:7], v[25:26], v[6:7]
	s_delay_alu instid0(VALU_DEP_1) | instskip(NEXT) | instid1(VALU_DEP_1)
	v_add_f64 v[6:7], v[6:7], -v[21:22]
	v_fma_f64 v[21:22], v[23:24], s[34:35], v[6:7]
	s_delay_alu instid0(VALU_DEP_1) | instskip(NEXT) | instid1(VALU_DEP_1)
	v_add_f64 v[6:7], v[27:28], v[21:22]
	v_add_f64 v[25:26], v[6:7], -v[27:28]
	v_cvt_i32_f64_e32 v27, v[23:24]
	s_delay_alu instid0(VALU_DEP_2)
	v_add_f64 v[21:22], v[21:22], -v[25:26]
.LBB248_260:                            ;   in Loop: Header=BB248_217 Depth=1
	s_or_b32 exec_lo, exec_lo, s4
                                        ; implicit-def: $vgpr28
                                        ; implicit-def: $vgpr23_vgpr24
                                        ; implicit-def: $vgpr25_vgpr26
	s_and_saveexec_b32 s4, s5
	s_delay_alu instid0(SALU_CYCLE_1)
	s_xor_b32 s5, exec_lo, s4
	s_cbranch_execz .LBB248_262
; %bb.261:                              ;   in Loop: Header=BB248_217 Depth=1
	v_ldexp_f64 v[23:24], |v[8:9]|, 0xffffff80
	v_cmp_le_f64_e64 vcc_lo, 0x7b000000, |v[8:9]|
	v_trig_preop_f64 v[25:26], |v[8:9]|, 0
	v_and_b32_e32 v19, 0x7fffffff, v9
	v_trig_preop_f64 v[45:46], |v[8:9]|, 1
	v_trig_preop_f64 v[55:56], |v[8:9]|, 2
	s_mov_b32 s20, s22
	s_mov_b32 s27, s25
	v_dual_cndmask_b32 v24, v19, v24 :: v_dual_cndmask_b32 v23, v8, v23
	s_delay_alu instid0(VALU_DEP_1) | instskip(NEXT) | instid1(VALU_DEP_4)
	v_mul_f64 v[47:48], v[25:26], v[23:24]
	v_mul_f64 v[49:50], v[45:46], v[23:24]
	s_delay_alu instid0(VALU_DEP_4) | instskip(NEXT) | instid1(VALU_DEP_3)
	v_mul_f64 v[61:62], v[55:56], v[23:24]
	v_fma_f64 v[25:26], v[25:26], v[23:24], -v[47:48]
	s_delay_alu instid0(VALU_DEP_3) | instskip(NEXT) | instid1(VALU_DEP_3)
	v_fma_f64 v[45:46], v[45:46], v[23:24], -v[49:50]
	v_fma_f64 v[23:24], v[55:56], v[23:24], -v[61:62]
	s_delay_alu instid0(VALU_DEP_3) | instskip(NEXT) | instid1(VALU_DEP_1)
	v_add_f64 v[51:52], v[49:50], v[25:26]
	v_add_f64 v[53:54], v[51:52], -v[49:50]
	v_add_f64 v[59:60], v[47:48], v[51:52]
	s_delay_alu instid0(VALU_DEP_2) | instskip(SKIP_1) | instid1(VALU_DEP_3)
	v_add_f64 v[57:58], v[51:52], -v[53:54]
	v_add_f64 v[25:26], v[25:26], -v[53:54]
	v_ldexp_f64 v[53:54], v[59:60], -2
	v_add_f64 v[47:48], v[59:60], -v[47:48]
	s_delay_alu instid0(VALU_DEP_4) | instskip(SKIP_1) | instid1(VALU_DEP_4)
	v_add_f64 v[49:50], v[49:50], -v[57:58]
	v_add_f64 v[57:58], v[61:62], v[45:46]
	v_cmp_neq_f64_e64 vcc_lo, 0x7ff00000, |v[53:54]|
	s_delay_alu instid0(VALU_DEP_4) | instskip(NEXT) | instid1(VALU_DEP_4)
	v_add_f64 v[47:48], v[51:52], -v[47:48]
	v_add_f64 v[25:26], v[25:26], v[49:50]
	v_fract_f64_e32 v[49:50], v[53:54]
	s_delay_alu instid0(VALU_DEP_2) | instskip(NEXT) | instid1(VALU_DEP_2)
	v_add_f64 v[51:52], v[57:58], v[25:26]
	v_dual_cndmask_b32 v50, 0, v50 :: v_dual_cndmask_b32 v49, 0, v49
	s_delay_alu instid0(VALU_DEP_1) | instskip(NEXT) | instid1(VALU_DEP_3)
	v_ldexp_f64 v[49:50], v[49:50], 2
	v_add_f64 v[53:54], v[47:48], v[51:52]
	v_add_f64 v[63:64], v[51:52], -v[57:58]
	s_delay_alu instid0(VALU_DEP_2) | instskip(NEXT) | instid1(VALU_DEP_2)
	v_add_f64 v[59:60], v[53:54], v[49:50]
	v_add_f64 v[69:70], v[51:52], -v[63:64]
	v_add_f64 v[25:26], v[25:26], -v[63:64]
	;; [unrolled: 1-line block ×3, first 2 shown]
	s_delay_alu instid0(VALU_DEP_4) | instskip(SKIP_1) | instid1(VALU_DEP_3)
	v_cmp_gt_f64_e32 vcc_lo, 0, v[59:60]
	v_add_f64 v[59:60], v[57:58], -v[61:62]
	v_add_f64 v[47:48], v[51:52], -v[47:48]
	v_cndmask_b32_e64 v19, 0, 0x40100000, vcc_lo
	s_delay_alu instid0(VALU_DEP_3) | instskip(SKIP_2) | instid1(VALU_DEP_4)
	v_add_f64 v[67:68], v[57:58], -v[59:60]
	v_add_f64 v[45:46], v[45:46], -v[59:60]
	;; [unrolled: 1-line block ×3, first 2 shown]
	v_add_f64 v[49:50], v[49:50], v[18:19]
	s_delay_alu instid0(VALU_DEP_4) | instskip(NEXT) | instid1(VALU_DEP_3)
	v_add_f64 v[59:60], v[61:62], -v[67:68]
	v_add_f64 v[25:26], v[25:26], v[57:58]
	s_delay_alu instid0(VALU_DEP_3) | instskip(NEXT) | instid1(VALU_DEP_3)
	v_add_f64 v[65:66], v[53:54], v[49:50]
	v_add_f64 v[45:46], v[45:46], v[59:60]
	s_delay_alu instid0(VALU_DEP_2) | instskip(NEXT) | instid1(VALU_DEP_2)
	v_cvt_i32_f64_e32 v19, v[65:66]
	v_add_f64 v[25:26], v[45:46], v[25:26]
	s_delay_alu instid0(VALU_DEP_2) | instskip(NEXT) | instid1(VALU_DEP_2)
	v_cvt_f64_i32_e32 v[63:64], v19
	v_add_f64 v[23:24], v[23:24], v[25:26]
	s_delay_alu instid0(VALU_DEP_2) | instskip(NEXT) | instid1(VALU_DEP_2)
	v_add_f64 v[49:50], v[49:50], -v[63:64]
	v_add_f64 v[23:24], v[47:48], v[23:24]
	s_delay_alu instid0(VALU_DEP_2) | instskip(NEXT) | instid1(VALU_DEP_1)
	v_add_f64 v[45:46], v[53:54], v[49:50]
	v_add_f64 v[25:26], v[45:46], -v[49:50]
	v_cmp_le_f64_e32 vcc_lo, 0.5, v[45:46]
	s_delay_alu instid0(VALU_DEP_2) | instskip(SKIP_2) | instid1(VALU_DEP_3)
	v_add_f64 v[25:26], v[53:54], -v[25:26]
	v_add_co_ci_u32_e64 v28, s4, 0, v19, vcc_lo
	v_cndmask_b32_e64 v19, 0, 0x3ff00000, vcc_lo
	v_add_f64 v[23:24], v[23:24], v[25:26]
	s_delay_alu instid0(VALU_DEP_2) | instskip(NEXT) | instid1(VALU_DEP_1)
	v_add_f64 v[25:26], v[45:46], -v[18:19]
	v_add_f64 v[45:46], v[25:26], v[23:24]
	s_delay_alu instid0(VALU_DEP_1) | instskip(SKIP_1) | instid1(VALU_DEP_2)
	v_mul_f64 v[47:48], v[45:46], s[20:21]
	v_add_f64 v[25:26], v[45:46], -v[25:26]
	v_fma_f64 v[49:50], v[45:46], s[20:21], -v[47:48]
	s_delay_alu instid0(VALU_DEP_2) | instskip(NEXT) | instid1(VALU_DEP_2)
	v_add_f64 v[23:24], v[23:24], -v[25:26]
	v_fma_f64 v[25:26], v[45:46], s[26:27], v[49:50]
	s_delay_alu instid0(VALU_DEP_1) | instskip(NEXT) | instid1(VALU_DEP_1)
	v_fma_f64 v[25:26], v[23:24], s[20:21], v[25:26]
	v_add_f64 v[23:24], v[47:48], v[25:26]
	s_delay_alu instid0(VALU_DEP_1) | instskip(NEXT) | instid1(VALU_DEP_1)
	v_add_f64 v[45:46], v[23:24], -v[47:48]
	v_add_f64 v[25:26], v[25:26], -v[45:46]
	s_and_not1_saveexec_b32 s4, s5
	s_cbranch_execnz .LBB248_263
	s_branch .LBB248_264
.LBB248_262:                            ;   in Loop: Header=BB248_217 Depth=1
	s_and_not1_saveexec_b32 s4, s5
	s_cbranch_execz .LBB248_264
.LBB248_263:                            ;   in Loop: Header=BB248_217 Depth=1
	v_mul_f64 v[23:24], |v[8:9]|, s[28:29]
	s_mov_b32 s24, s30
	s_delay_alu instid0(VALU_DEP_1) | instskip(NEXT) | instid1(VALU_DEP_1)
	v_rndne_f64_e32 v[45:46], v[23:24]
	v_fma_f64 v[23:24], v[45:46], s[22:23], |v[8:9]|
	v_mul_f64 v[25:26], v[45:46], s[30:31]
	v_cvt_i32_f64_e32 v28, v[45:46]
	s_delay_alu instid0(VALU_DEP_3) | instskip(NEXT) | instid1(VALU_DEP_3)
	v_fma_f64 v[49:50], v[45:46], s[30:31], v[23:24]
	v_add_f64 v[47:48], v[23:24], v[25:26]
	s_delay_alu instid0(VALU_DEP_1) | instskip(NEXT) | instid1(VALU_DEP_3)
	v_add_f64 v[23:24], v[23:24], -v[47:48]
	v_add_f64 v[47:48], v[47:48], -v[49:50]
	s_delay_alu instid0(VALU_DEP_2) | instskip(SKIP_1) | instid1(VALU_DEP_2)
	v_add_f64 v[23:24], v[23:24], v[25:26]
	v_fma_f64 v[25:26], v[45:46], s[24:25], v[25:26]
	v_add_f64 v[23:24], v[47:48], v[23:24]
	s_delay_alu instid0(VALU_DEP_1) | instskip(NEXT) | instid1(VALU_DEP_1)
	v_add_f64 v[23:24], v[23:24], -v[25:26]
	v_fma_f64 v[25:26], v[45:46], s[34:35], v[23:24]
	s_delay_alu instid0(VALU_DEP_1) | instskip(NEXT) | instid1(VALU_DEP_1)
	v_add_f64 v[23:24], v[49:50], v[25:26]
	v_add_f64 v[47:48], v[23:24], -v[49:50]
	s_delay_alu instid0(VALU_DEP_1)
	v_add_f64 v[25:26], v[25:26], -v[47:48]
.LBB248_264:                            ;   in Loop: Header=BB248_217 Depth=1
	s_or_b32 exec_lo, exec_lo, s4
	v_mul_f64 v[45:46], v[6:7], v[6:7]
	v_mul_f64 v[47:48], v[23:24], v[23:24]
	s_delay_alu instid0(VALU_DEP_3) | instskip(NEXT) | instid1(VALU_DEP_4)
	v_mul_f64 v[65:66], v[21:22], 0.5
	v_mul_f64 v[71:72], v[25:26], 0.5
	s_mov_b32 s88, s60
	v_cmp_class_f64_e64 s4, v[8:9], 0x1f8
	v_and_b32_e32 v19, 1, v27
	v_lshlrev_b32_e32 v8, 30, v28
	v_and_b32_e32 v9, 1, v28
	s_delay_alu instid0(VALU_DEP_3) | instskip(SKIP_1) | instid1(VALU_DEP_4)
	v_cmp_eq_u32_e32 vcc_lo, 0, v19
	v_lshlrev_b32_e32 v19, 30, v27
	v_xor_b32_e32 v8, v8, v20
	s_delay_alu instid0(VALU_DEP_4) | instskip(NEXT) | instid1(VALU_DEP_3)
	v_cmp_eq_u32_e64 s5, 0, v9
	v_and_b32_e32 v9, 0x80000000, v19
	s_delay_alu instid0(VALU_DEP_3)
	v_and_b32_e32 v8, 0x80000000, v8
	v_fma_f64 v[49:50], v[45:46], s[78:79], s[76:77]
	v_fma_f64 v[51:52], v[47:48], s[78:79], s[76:77]
	;; [unrolled: 1-line block ×3, first 2 shown]
	v_mul_f64 v[55:56], v[45:46], 0.5
	v_fma_f64 v[57:58], v[47:48], s[68:69], s[66:67]
	v_mul_f64 v[59:60], v[47:48], 0.5
	v_mul_f64 v[67:68], v[6:7], -v[45:46]
	v_mul_f64 v[73:74], v[23:24], -v[47:48]
	v_fma_f64 v[49:50], v[45:46], v[49:50], s[80:81]
	v_fma_f64 v[51:52], v[47:48], v[51:52], s[80:81]
	;; [unrolled: 1-line block ×3, first 2 shown]
	v_add_f64 v[61:62], -v[55:56], 1.0
	v_fma_f64 v[57:58], v[47:48], v[57:58], s[70:71]
	v_add_f64 v[63:64], -v[59:60], 1.0
	v_fma_f64 v[49:50], v[45:46], v[49:50], s[82:83]
	v_fma_f64 v[51:52], v[47:48], v[51:52], s[82:83]
	;; [unrolled: 1-line block ×3, first 2 shown]
	v_add_f64 v[69:70], -v[61:62], 1.0
	v_fma_f64 v[57:58], v[47:48], v[57:58], s[72:73]
	v_add_f64 v[75:76], -v[63:64], 1.0
	v_fma_f64 v[49:50], v[45:46], v[49:50], s[56:57]
	v_fma_f64 v[51:52], v[47:48], v[51:52], s[56:57]
	;; [unrolled: 1-line block ×3, first 2 shown]
	v_add_f64 v[55:56], v[69:70], -v[55:56]
	v_fma_f64 v[57:58], v[47:48], v[57:58], s[74:75]
	v_add_f64 v[59:60], v[75:76], -v[59:60]
	v_fma_f64 v[49:50], v[67:68], v[49:50], v[65:66]
	v_fma_f64 v[51:52], v[73:74], v[51:52], v[71:72]
	v_mul_f64 v[65:66], v[45:46], v[45:46]
	v_fma_f64 v[53:54], v[45:46], v[53:54], s[60:61]
	v_fma_f64 v[55:56], v[6:7], -v[21:22], v[55:56]
	v_fma_f64 v[21:22], v[45:46], v[49:50], -v[21:22]
	v_mul_f64 v[45:46], v[47:48], v[47:48]
	v_fma_f64 v[49:50], v[47:48], v[57:58], s[60:61]
	v_fma_f64 v[57:58], v[23:24], -v[25:26], v[59:60]
	v_fma_f64 v[25:26], v[47:48], v[51:52], -v[25:26]
	v_fma_f64 v[47:48], v[65:66], v[53:54], v[55:56]
	v_fma_f64 v[21:22], v[67:68], s[88:89], v[21:22]
	s_delay_alu instid0(VALU_DEP_4) | instskip(NEXT) | instid1(VALU_DEP_4)
	v_fma_f64 v[45:46], v[45:46], v[49:50], v[57:58]
	v_fma_f64 v[25:26], v[73:74], s[88:89], v[25:26]
	s_delay_alu instid0(VALU_DEP_4) | instskip(NEXT) | instid1(VALU_DEP_4)
	v_add_f64 v[47:48], v[61:62], v[47:48]
	v_add_f64 v[6:7], v[6:7], -v[21:22]
	s_delay_alu instid0(VALU_DEP_4) | instskip(NEXT) | instid1(VALU_DEP_4)
	v_add_f64 v[21:22], v[63:64], v[45:46]
	v_add_f64 v[23:24], v[23:24], -v[25:26]
	s_delay_alu instid0(VALU_DEP_3) | instskip(NEXT) | instid1(VALU_DEP_4)
	v_cndmask_b32_e32 v6, v6, v47, vcc_lo
	v_xor_b32_e32 v7, 0x80000000, v7
	s_delay_alu instid0(VALU_DEP_3) | instskip(NEXT) | instid1(VALU_DEP_4)
	v_cndmask_b32_e64 v20, v22, v24, s5
	v_cndmask_b32_e64 v19, v21, v23, s5
	s_delay_alu instid0(VALU_DEP_3) | instskip(SKIP_1) | instid1(VALU_DEP_4)
	v_cndmask_b32_e32 v7, v7, v48, vcc_lo
	v_cndmask_b32_e64 v21, 0, v6, s4
	v_xor_b32_e32 v8, v20, v8
	s_delay_alu instid0(VALU_DEP_4) | instskip(NEXT) | instid1(VALU_DEP_4)
	v_cndmask_b32_e64 v19, 0, v19, s4
	v_xor_b32_e32 v7, v7, v9
	s_delay_alu instid0(VALU_DEP_3) | instskip(NEXT) | instid1(VALU_DEP_2)
	v_cndmask_b32_e64 v20, 0x7ff80000, v8, s4
	v_cndmask_b32_e64 v22, 0x7ff80000, v7, s4
.LBB248_265:                            ;   in Loop: Header=BB248_217 Depth=1
	s_or_b32 exec_lo, exec_lo, s6
                                        ; implicit-def: $vgpr6_vgpr7
.LBB248_266:                            ;   in Loop: Header=BB248_217 Depth=1
	s_and_not1_saveexec_b32 s5, s17
	s_cbranch_execz .LBB248_268
; %bb.267:                              ;   in Loop: Header=BB248_217 Depth=1
	s_mov_b32 s36, s38
	s_mov_b32 s59, s57
	v_mul_f64 v[8:9], v[6:7], s[36:37]
	s_mov_b32 s87, s61
	v_cmp_ngt_f64_e32 vcc_lo, 0xc0900000, v[6:7]
	v_cmp_nlt_f64_e64 s4, 0x4090cc00, v[6:7]
	s_delay_alu instid0(VALU_DEP_3) | instskip(NEXT) | instid1(VALU_DEP_1)
	v_rndne_f64_e32 v[8:9], v[8:9]
	v_fma_f64 v[21:22], v[8:9], s[40:41], -v[6:7]
	v_cvt_i32_f64_e32 v25, v[8:9]
	s_delay_alu instid0(VALU_DEP_2) | instskip(NEXT) | instid1(VALU_DEP_1)
	v_fma_f64 v[21:22], v[8:9], s[42:43], v[21:22]
	v_fma_f64 v[23:24], v[21:22], s[46:47], s[44:45]
	s_delay_alu instid0(VALU_DEP_1) | instskip(NEXT) | instid1(VALU_DEP_1)
	v_fma_f64 v[23:24], v[21:22], v[23:24], s[48:49]
	v_fma_f64 v[23:24], v[21:22], v[23:24], s[50:51]
	s_delay_alu instid0(VALU_DEP_1) | instskip(NEXT) | instid1(VALU_DEP_1)
	;; [unrolled: 3-line block ×5, first 2 shown]
	v_fma_f64 v[23:24], v[21:22], v[23:24], 1.0
	v_fma_f64 v[8:9], v[21:22], v[23:24], 1.0
	s_delay_alu instid0(VALU_DEP_1) | instskip(NEXT) | instid1(VALU_DEP_1)
	v_ldexp_f64 v[8:9], v[8:9], v25
	v_cndmask_b32_e32 v9, 0x7ff00000, v9, vcc_lo
	s_and_b32 vcc_lo, s4, vcc_lo
	s_delay_alu instid0(VALU_DEP_2) | instskip(NEXT) | instid1(VALU_DEP_2)
	v_cndmask_b32_e32 v21, 0, v8, vcc_lo
	v_cndmask_b32_e64 v22, 0, v9, s4
.LBB248_268:                            ;   in Loop: Header=BB248_217 Depth=1
	s_or_b32 exec_lo, exec_lo, s5
	s_delay_alu instid0(VALU_DEP_1) | instskip(NEXT) | instid1(VALU_DEP_2)
	v_add_f64 v[21:22], s[8:9], v[21:22]
	v_add_f64 v[19:20], s[10:11], v[19:20]
                                        ; implicit-def: $vgpr8_vgpr9
	s_delay_alu instid0(VALU_DEP_2) | instskip(NEXT) | instid1(VALU_DEP_2)
	v_cmp_gt_f64_e32 vcc_lo, 0, v[21:22]
	v_cmp_gt_f64_e64 s4, 0, v[19:20]
	v_xor_b32_e32 v6, 0x80000000, v22
	v_xor_b32_e32 v7, 0x80000000, v20
	s_delay_alu instid0(VALU_DEP_2) | instskip(NEXT) | instid1(VALU_DEP_2)
	v_dual_cndmask_b32 v24, v22, v6 :: v_dual_cndmask_b32 v23, v21, v21
	v_cndmask_b32_e64 v26, v20, v7, s4
	v_cndmask_b32_e64 v25, v19, v19, s4
	s_mov_b32 s4, exec_lo
	s_delay_alu instid0(VALU_DEP_1)
	v_cmpx_ge_f64_e32 v[23:24], v[25:26]
	s_xor_b32 s5, exec_lo, s4
	s_cbranch_execz .LBB248_274
; %bb.269:                              ;   in Loop: Header=BB248_217 Depth=1
	v_cmp_neq_f64_e32 vcc_lo, 0, v[21:22]
	v_cmp_neq_f64_e64 s4, 0, v[19:20]
                                        ; implicit-def: $vgpr8_vgpr9
	s_delay_alu instid0(VALU_DEP_1) | instskip(NEXT) | instid1(SALU_CYCLE_1)
	s_or_b32 s4, vcc_lo, s4
	s_and_saveexec_b32 s6, s4
	s_delay_alu instid0(SALU_CYCLE_1)
	s_xor_b32 s4, exec_lo, s6
	s_cbranch_execz .LBB248_271
; %bb.270:                              ;   in Loop: Header=BB248_217 Depth=1
	v_div_scale_f64 v[6:7], null, v[21:22], v[21:22], v[19:20]
	v_div_scale_f64 v[25:26], vcc_lo, v[19:20], v[21:22], v[19:20]
	s_delay_alu instid0(VALU_DEP_2) | instskip(SKIP_2) | instid1(VALU_DEP_1)
	v_rcp_f64_e32 v[8:9], v[6:7]
	s_waitcnt_depctr 0xfff
	v_fma_f64 v[23:24], -v[6:7], v[8:9], 1.0
	v_fma_f64 v[8:9], v[8:9], v[23:24], v[8:9]
	s_delay_alu instid0(VALU_DEP_1) | instskip(NEXT) | instid1(VALU_DEP_1)
	v_fma_f64 v[23:24], -v[6:7], v[8:9], 1.0
	v_fma_f64 v[8:9], v[8:9], v[23:24], v[8:9]
	s_delay_alu instid0(VALU_DEP_1) | instskip(NEXT) | instid1(VALU_DEP_1)
	v_mul_f64 v[23:24], v[25:26], v[8:9]
	v_fma_f64 v[6:7], -v[6:7], v[23:24], v[25:26]
	s_delay_alu instid0(VALU_DEP_1) | instskip(NEXT) | instid1(VALU_DEP_1)
	v_div_fmas_f64 v[6:7], v[6:7], v[8:9], v[23:24]
	v_div_fixup_f64 v[6:7], v[6:7], v[21:22], v[19:20]
	s_delay_alu instid0(VALU_DEP_1) | instskip(NEXT) | instid1(VALU_DEP_1)
	v_fma_f64 v[8:9], v[19:20], v[6:7], v[21:22]
	v_div_scale_f64 v[19:20], null, v[8:9], v[8:9], 1.0
	v_div_scale_f64 v[25:26], vcc_lo, 1.0, v[8:9], 1.0
	s_delay_alu instid0(VALU_DEP_2) | instskip(SKIP_2) | instid1(VALU_DEP_1)
	v_rcp_f64_e32 v[21:22], v[19:20]
	s_waitcnt_depctr 0xfff
	v_fma_f64 v[23:24], -v[19:20], v[21:22], 1.0
	v_fma_f64 v[21:22], v[21:22], v[23:24], v[21:22]
	s_delay_alu instid0(VALU_DEP_1) | instskip(NEXT) | instid1(VALU_DEP_1)
	v_fma_f64 v[23:24], -v[19:20], v[21:22], 1.0
	v_fma_f64 v[21:22], v[21:22], v[23:24], v[21:22]
	s_delay_alu instid0(VALU_DEP_1) | instskip(NEXT) | instid1(VALU_DEP_1)
	v_mul_f64 v[23:24], v[25:26], v[21:22]
	v_fma_f64 v[19:20], -v[19:20], v[23:24], v[25:26]
                                        ; implicit-def: $vgpr25_vgpr26
	s_delay_alu instid0(VALU_DEP_1) | instskip(SKIP_1) | instid1(VALU_DEP_2)
	v_div_fmas_f64 v[19:20], v[19:20], v[21:22], v[23:24]
	v_fma_f64 v[21:22], s[10:11], v[6:7], s[8:9]
                                        ; implicit-def: $vgpr23_vgpr24
	v_div_fixup_f64 v[8:9], v[19:20], v[8:9], 1.0
	v_fma_f64 v[19:20], -s[8:9], v[6:7], s[10:11]
	s_delay_alu instid0(VALU_DEP_2) | instskip(NEXT) | instid1(VALU_DEP_2)
	v_mul_f64 v[6:7], v[21:22], v[8:9]
	v_mul_f64 v[8:9], v[19:20], v[8:9]
.LBB248_271:                            ;   in Loop: Header=BB248_217 Depth=1
	s_and_not1_saveexec_b32 s6, s4
	s_cbranch_execz .LBB248_273
; %bb.272:                              ;   in Loop: Header=BB248_217 Depth=1
	v_div_scale_f64 v[6:7], null, v[23:24], v[23:24], s[8:9]
	v_div_scale_f64 v[8:9], null, v[25:26], v[25:26], s[10:11]
	v_div_scale_f64 v[47:48], vcc_lo, s[8:9], v[23:24], s[8:9]
	s_delay_alu instid0(VALU_DEP_3) | instskip(NEXT) | instid1(VALU_DEP_2)
	v_rcp_f64_e32 v[19:20], v[6:7]
	v_rcp_f64_e32 v[21:22], v[8:9]
	s_waitcnt_depctr 0xfff
	v_fma_f64 v[27:28], -v[6:7], v[19:20], 1.0
	v_fma_f64 v[45:46], -v[8:9], v[21:22], 1.0
	s_delay_alu instid0(VALU_DEP_2) | instskip(NEXT) | instid1(VALU_DEP_2)
	v_fma_f64 v[19:20], v[19:20], v[27:28], v[19:20]
	v_fma_f64 v[21:22], v[21:22], v[45:46], v[21:22]
	s_delay_alu instid0(VALU_DEP_2) | instskip(NEXT) | instid1(VALU_DEP_2)
	v_fma_f64 v[27:28], -v[6:7], v[19:20], 1.0
	v_fma_f64 v[45:46], -v[8:9], v[21:22], 1.0
	s_delay_alu instid0(VALU_DEP_2) | instskip(SKIP_1) | instid1(VALU_DEP_3)
	v_fma_f64 v[19:20], v[19:20], v[27:28], v[19:20]
	v_div_scale_f64 v[27:28], s4, s[10:11], v[25:26], s[10:11]
	v_fma_f64 v[21:22], v[21:22], v[45:46], v[21:22]
	s_delay_alu instid0(VALU_DEP_3) | instskip(NEXT) | instid1(VALU_DEP_2)
	v_mul_f64 v[45:46], v[47:48], v[19:20]
	v_mul_f64 v[49:50], v[27:28], v[21:22]
	s_delay_alu instid0(VALU_DEP_2) | instskip(NEXT) | instid1(VALU_DEP_2)
	v_fma_f64 v[6:7], -v[6:7], v[45:46], v[47:48]
	v_fma_f64 v[8:9], -v[8:9], v[49:50], v[27:28]
	s_delay_alu instid0(VALU_DEP_2) | instskip(SKIP_1) | instid1(VALU_DEP_2)
	v_div_fmas_f64 v[6:7], v[6:7], v[19:20], v[45:46]
	s_mov_b32 vcc_lo, s4
	v_div_fmas_f64 v[8:9], v[8:9], v[21:22], v[49:50]
	s_delay_alu instid0(VALU_DEP_2) | instskip(NEXT) | instid1(VALU_DEP_2)
	v_div_fixup_f64 v[6:7], v[6:7], v[23:24], s[8:9]
	v_div_fixup_f64 v[8:9], v[8:9], v[25:26], s[10:11]
.LBB248_273:                            ;   in Loop: Header=BB248_217 Depth=1
	s_or_b32 exec_lo, exec_lo, s6
                                        ; implicit-def: $vgpr19_vgpr20
                                        ; implicit-def: $vgpr21_vgpr22
.LBB248_274:                            ;   in Loop: Header=BB248_217 Depth=1
	s_and_not1_saveexec_b32 s4, s5
	s_cbranch_execz .LBB248_276
; %bb.275:                              ;   in Loop: Header=BB248_217 Depth=1
	v_div_scale_f64 v[6:7], null, v[19:20], v[19:20], v[21:22]
	v_div_scale_f64 v[25:26], vcc_lo, v[21:22], v[19:20], v[21:22]
	s_delay_alu instid0(VALU_DEP_2) | instskip(SKIP_2) | instid1(VALU_DEP_1)
	v_rcp_f64_e32 v[8:9], v[6:7]
	s_waitcnt_depctr 0xfff
	v_fma_f64 v[23:24], -v[6:7], v[8:9], 1.0
	v_fma_f64 v[8:9], v[8:9], v[23:24], v[8:9]
	s_delay_alu instid0(VALU_DEP_1) | instskip(NEXT) | instid1(VALU_DEP_1)
	v_fma_f64 v[23:24], -v[6:7], v[8:9], 1.0
	v_fma_f64 v[8:9], v[8:9], v[23:24], v[8:9]
	s_delay_alu instid0(VALU_DEP_1) | instskip(NEXT) | instid1(VALU_DEP_1)
	v_mul_f64 v[23:24], v[25:26], v[8:9]
	v_fma_f64 v[6:7], -v[6:7], v[23:24], v[25:26]
	s_delay_alu instid0(VALU_DEP_1) | instskip(NEXT) | instid1(VALU_DEP_1)
	v_div_fmas_f64 v[6:7], v[6:7], v[8:9], v[23:24]
	v_div_fixup_f64 v[6:7], v[6:7], v[19:20], v[21:22]
	s_delay_alu instid0(VALU_DEP_1) | instskip(NEXT) | instid1(VALU_DEP_1)
	v_fma_f64 v[8:9], v[21:22], v[6:7], v[19:20]
	v_div_scale_f64 v[19:20], null, v[8:9], v[8:9], 1.0
	v_div_scale_f64 v[25:26], vcc_lo, 1.0, v[8:9], 1.0
	s_delay_alu instid0(VALU_DEP_2) | instskip(SKIP_2) | instid1(VALU_DEP_1)
	v_rcp_f64_e32 v[21:22], v[19:20]
	s_waitcnt_depctr 0xfff
	v_fma_f64 v[23:24], -v[19:20], v[21:22], 1.0
	v_fma_f64 v[21:22], v[21:22], v[23:24], v[21:22]
	s_delay_alu instid0(VALU_DEP_1) | instskip(NEXT) | instid1(VALU_DEP_1)
	v_fma_f64 v[23:24], -v[19:20], v[21:22], 1.0
	v_fma_f64 v[21:22], v[21:22], v[23:24], v[21:22]
	s_delay_alu instid0(VALU_DEP_1) | instskip(NEXT) | instid1(VALU_DEP_1)
	v_mul_f64 v[23:24], v[25:26], v[21:22]
	v_fma_f64 v[19:20], -v[19:20], v[23:24], v[25:26]
	s_delay_alu instid0(VALU_DEP_1) | instskip(SKIP_1) | instid1(VALU_DEP_2)
	v_div_fmas_f64 v[19:20], v[19:20], v[21:22], v[23:24]
	v_fma_f64 v[21:22], s[8:9], v[6:7], s[10:11]
	v_div_fixup_f64 v[8:9], v[19:20], v[8:9], 1.0
	v_fma_f64 v[19:20], s[10:11], v[6:7], -s[8:9]
	s_delay_alu instid0(VALU_DEP_2) | instskip(NEXT) | instid1(VALU_DEP_2)
	v_mul_f64 v[6:7], v[21:22], v[8:9]
	v_mul_f64 v[8:9], v[19:20], v[8:9]
.LBB248_276:                            ;   in Loop: Header=BB248_217 Depth=1
	s_or_b32 exec_lo, exec_lo, s4
	v_xor_b32_e32 v20, 0x80000000, v17
	s_delay_alu instid0(VALU_DEP_1) | instskip(NEXT) | instid1(VALU_DEP_1)
	v_dual_mov_b32 v19, v16 :: v_dual_and_b32 v26, 0x7fffffff, v20
	v_or_b32_e32 v21, v26, v19
	s_delay_alu instid0(VALU_DEP_1) | instskip(SKIP_1) | instid1(SALU_CYCLE_1)
	v_cmp_ne_u32_e32 vcc_lo, 0, v21
                                        ; implicit-def: $vgpr21_vgpr22
	s_and_saveexec_b32 s4, vcc_lo
	s_xor_b32 s17, exec_lo, s4
	s_cbranch_execz .LBB248_319
; %bb.277:                              ;   in Loop: Header=BB248_217 Depth=1
	v_xor_b32_e32 v24, 0x80000000, v15
	v_mov_b32_e32 v23, v14
                                        ; implicit-def: $vgpr21_vgpr22
	s_mov_b32 s4, exec_lo
	s_delay_alu instid0(VALU_DEP_2) | instskip(NEXT) | instid1(VALU_DEP_1)
	v_and_b32_e32 v25, 0x7fffffff, v24
	v_or_b32_e32 v19, v25, v23
	s_delay_alu instid0(VALU_DEP_1)
	v_cmpx_ne_u32_e32 0, v19
	s_xor_b32 s96, exec_lo, s4
	s_cbranch_execz .LBB248_308
; %bb.278:                              ;   in Loop: Header=BB248_217 Depth=1
                                        ; implicit-def: $vgpr21_vgpr22
	s_mov_b32 s4, exec_lo
	v_cmpx_gt_u32_e32 0x7ff00000, v26
	s_xor_b32 s97, exec_lo, s4
	s_cbranch_execz .LBB248_301
; %bb.279:                              ;   in Loop: Header=BB248_217 Depth=1
	v_add_nc_u32_e32 v19, 0xbf79d1be, v24
                                        ; implicit-def: $vgpr21_vgpr22
	s_mov_b32 s4, exec_lo
	s_delay_alu instid0(VALU_DEP_1)
	v_cmpx_lt_u32_e32 0x108aa2, v19
	s_xor_b32 s98, exec_lo, s4
	s_cbranch_execz .LBB248_290
; %bb.280:                              ;   in Loop: Header=BB248_217 Depth=1
	v_cmp_ngt_f64_e64 s5, 0x41d00000, |v[16:17]|
                                        ; implicit-def: $vgpr45
                                        ; implicit-def: $vgpr21_vgpr22
                                        ; implicit-def: $vgpr23_vgpr24
	s_delay_alu instid0(VALU_DEP_1) | instskip(NEXT) | instid1(SALU_CYCLE_1)
	s_and_saveexec_b32 s4, s5
	s_xor_b32 s6, exec_lo, s4
	s_cbranch_execz .LBB248_283
; %bb.281:                              ;   in Loop: Header=BB248_217 Depth=1
	v_ldexp_f64 v[21:22], |v[16:17]|, 0xffffff80
	v_cmp_le_f64_e64 vcc_lo, 0x7b000000, |v[16:17]|
	v_trig_preop_f64 v[23:24], |v[16:17]|, 0
	v_and_b32_e32 v19, 0x7fffffff, v17
	v_trig_preop_f64 v[25:26], |v[16:17]|, 1
	v_trig_preop_f64 v[51:52], |v[16:17]|, 2
	s_mov_b32 s20, s22
	s_mov_b32 s27, s25
	v_dual_cndmask_b32 v22, v19, v22 :: v_dual_cndmask_b32 v21, v16, v21
	s_delay_alu instid0(VALU_DEP_1) | instskip(NEXT) | instid1(VALU_DEP_4)
	v_mul_f64 v[27:28], v[23:24], v[21:22]
	v_mul_f64 v[45:46], v[25:26], v[21:22]
	s_delay_alu instid0(VALU_DEP_4) | instskip(NEXT) | instid1(VALU_DEP_3)
	v_mul_f64 v[57:58], v[51:52], v[21:22]
	v_fma_f64 v[23:24], v[23:24], v[21:22], -v[27:28]
	s_delay_alu instid0(VALU_DEP_3) | instskip(NEXT) | instid1(VALU_DEP_3)
	v_fma_f64 v[25:26], v[25:26], v[21:22], -v[45:46]
	v_fma_f64 v[21:22], v[51:52], v[21:22], -v[57:58]
	s_delay_alu instid0(VALU_DEP_3) | instskip(NEXT) | instid1(VALU_DEP_1)
	v_add_f64 v[47:48], v[45:46], v[23:24]
	v_add_f64 v[49:50], v[47:48], -v[45:46]
	v_add_f64 v[55:56], v[27:28], v[47:48]
	s_delay_alu instid0(VALU_DEP_2) | instskip(SKIP_1) | instid1(VALU_DEP_3)
	v_add_f64 v[53:54], v[47:48], -v[49:50]
	v_add_f64 v[23:24], v[23:24], -v[49:50]
	v_ldexp_f64 v[49:50], v[55:56], -2
	v_add_f64 v[27:28], v[55:56], -v[27:28]
	s_delay_alu instid0(VALU_DEP_4) | instskip(SKIP_1) | instid1(VALU_DEP_4)
	v_add_f64 v[45:46], v[45:46], -v[53:54]
	v_add_f64 v[53:54], v[57:58], v[25:26]
	v_cmp_neq_f64_e64 vcc_lo, 0x7ff00000, |v[49:50]|
	s_delay_alu instid0(VALU_DEP_4) | instskip(NEXT) | instid1(VALU_DEP_4)
	v_add_f64 v[27:28], v[47:48], -v[27:28]
	v_add_f64 v[23:24], v[23:24], v[45:46]
	v_fract_f64_e32 v[45:46], v[49:50]
	s_delay_alu instid0(VALU_DEP_2) | instskip(NEXT) | instid1(VALU_DEP_2)
	v_add_f64 v[47:48], v[53:54], v[23:24]
	v_dual_cndmask_b32 v46, 0, v46 :: v_dual_cndmask_b32 v45, 0, v45
	s_delay_alu instid0(VALU_DEP_1) | instskip(NEXT) | instid1(VALU_DEP_3)
	v_ldexp_f64 v[45:46], v[45:46], 2
	v_add_f64 v[49:50], v[27:28], v[47:48]
	v_add_f64 v[59:60], v[47:48], -v[53:54]
	s_delay_alu instid0(VALU_DEP_2) | instskip(NEXT) | instid1(VALU_DEP_2)
	v_add_f64 v[55:56], v[49:50], v[45:46]
	v_add_f64 v[65:66], v[47:48], -v[59:60]
	v_add_f64 v[23:24], v[23:24], -v[59:60]
	;; [unrolled: 1-line block ×3, first 2 shown]
	s_delay_alu instid0(VALU_DEP_4) | instskip(SKIP_1) | instid1(VALU_DEP_3)
	v_cmp_gt_f64_e32 vcc_lo, 0, v[55:56]
	v_add_f64 v[55:56], v[53:54], -v[57:58]
	v_add_f64 v[27:28], v[47:48], -v[27:28]
	v_cndmask_b32_e64 v19, 0, 0x40100000, vcc_lo
	s_delay_alu instid0(VALU_DEP_3) | instskip(SKIP_2) | instid1(VALU_DEP_4)
	v_add_f64 v[63:64], v[53:54], -v[55:56]
	v_add_f64 v[25:26], v[25:26], -v[55:56]
	;; [unrolled: 1-line block ×3, first 2 shown]
	v_add_f64 v[45:46], v[45:46], v[18:19]
	s_delay_alu instid0(VALU_DEP_4) | instskip(NEXT) | instid1(VALU_DEP_3)
	v_add_f64 v[55:56], v[57:58], -v[63:64]
	v_add_f64 v[23:24], v[23:24], v[53:54]
	s_delay_alu instid0(VALU_DEP_3) | instskip(NEXT) | instid1(VALU_DEP_3)
	v_add_f64 v[61:62], v[49:50], v[45:46]
	v_add_f64 v[25:26], v[25:26], v[55:56]
	s_delay_alu instid0(VALU_DEP_2) | instskip(NEXT) | instid1(VALU_DEP_2)
	v_cvt_i32_f64_e32 v19, v[61:62]
	v_add_f64 v[23:24], v[25:26], v[23:24]
	s_delay_alu instid0(VALU_DEP_2) | instskip(NEXT) | instid1(VALU_DEP_2)
	v_cvt_f64_i32_e32 v[59:60], v19
	v_add_f64 v[21:22], v[21:22], v[23:24]
	s_delay_alu instid0(VALU_DEP_2) | instskip(NEXT) | instid1(VALU_DEP_2)
	v_add_f64 v[45:46], v[45:46], -v[59:60]
	v_add_f64 v[21:22], v[27:28], v[21:22]
	s_delay_alu instid0(VALU_DEP_2) | instskip(NEXT) | instid1(VALU_DEP_1)
	v_add_f64 v[25:26], v[49:50], v[45:46]
	v_add_f64 v[23:24], v[25:26], -v[45:46]
	v_cmp_le_f64_e32 vcc_lo, 0.5, v[25:26]
	s_delay_alu instid0(VALU_DEP_2) | instskip(SKIP_2) | instid1(VALU_DEP_3)
	v_add_f64 v[23:24], v[49:50], -v[23:24]
	v_add_co_ci_u32_e64 v45, s4, 0, v19, vcc_lo
	v_cndmask_b32_e64 v19, 0, 0x3ff00000, vcc_lo
	v_add_f64 v[21:22], v[21:22], v[23:24]
	s_delay_alu instid0(VALU_DEP_2) | instskip(NEXT) | instid1(VALU_DEP_1)
	v_add_f64 v[23:24], v[25:26], -v[18:19]
	v_add_f64 v[25:26], v[23:24], v[21:22]
	s_delay_alu instid0(VALU_DEP_1) | instskip(SKIP_1) | instid1(VALU_DEP_2)
	v_mul_f64 v[27:28], v[25:26], s[20:21]
	v_add_f64 v[23:24], v[25:26], -v[23:24]
	v_fma_f64 v[46:47], v[25:26], s[20:21], -v[27:28]
	s_delay_alu instid0(VALU_DEP_2) | instskip(NEXT) | instid1(VALU_DEP_2)
	v_add_f64 v[21:22], v[21:22], -v[23:24]
	v_fma_f64 v[23:24], v[25:26], s[26:27], v[46:47]
	s_delay_alu instid0(VALU_DEP_1) | instskip(NEXT) | instid1(VALU_DEP_1)
	v_fma_f64 v[23:24], v[21:22], s[20:21], v[23:24]
	v_add_f64 v[21:22], v[27:28], v[23:24]
	s_delay_alu instid0(VALU_DEP_1) | instskip(NEXT) | instid1(VALU_DEP_1)
	v_add_f64 v[25:26], v[21:22], -v[27:28]
	v_add_f64 v[23:24], v[23:24], -v[25:26]
	s_and_not1_saveexec_b32 s4, s6
	s_cbranch_execz .LBB248_285
	s_branch .LBB248_284
.LBB248_282:                            ;   in Loop: Header=BB248_217 Depth=1
	s_or_b32 exec_lo, exec_lo, s36
                                        ; implicit-def: $vgpr23_vgpr24
                                        ; implicit-def: $vgpr8_vgpr9
                                        ; implicit-def: $vgpr25
	s_and_not1_saveexec_b32 s5, s97
	s_cbranch_execnz .LBB248_249
	s_branch .LBB248_254
.LBB248_283:                            ;   in Loop: Header=BB248_217 Depth=1
	s_and_not1_saveexec_b32 s4, s6
	s_cbranch_execz .LBB248_285
.LBB248_284:                            ;   in Loop: Header=BB248_217 Depth=1
	v_mul_f64 v[21:22], |v[16:17]|, s[28:29]
	s_mov_b32 s24, s30
	s_delay_alu instid0(VALU_DEP_1) | instskip(NEXT) | instid1(VALU_DEP_1)
	v_rndne_f64_e32 v[25:26], v[21:22]
	v_fma_f64 v[21:22], v[25:26], s[22:23], |v[16:17]|
	v_mul_f64 v[23:24], v[25:26], s[30:31]
	s_delay_alu instid0(VALU_DEP_2) | instskip(NEXT) | instid1(VALU_DEP_2)
	v_fma_f64 v[45:46], v[25:26], s[30:31], v[21:22]
	v_add_f64 v[27:28], v[21:22], v[23:24]
	s_delay_alu instid0(VALU_DEP_1) | instskip(NEXT) | instid1(VALU_DEP_3)
	v_add_f64 v[21:22], v[21:22], -v[27:28]
	v_add_f64 v[27:28], v[27:28], -v[45:46]
	s_delay_alu instid0(VALU_DEP_2) | instskip(SKIP_1) | instid1(VALU_DEP_2)
	v_add_f64 v[21:22], v[21:22], v[23:24]
	v_fma_f64 v[23:24], v[25:26], s[24:25], v[23:24]
	v_add_f64 v[21:22], v[27:28], v[21:22]
	s_delay_alu instid0(VALU_DEP_1) | instskip(NEXT) | instid1(VALU_DEP_1)
	v_add_f64 v[21:22], v[21:22], -v[23:24]
	v_fma_f64 v[23:24], v[25:26], s[34:35], v[21:22]
	s_delay_alu instid0(VALU_DEP_1) | instskip(NEXT) | instid1(VALU_DEP_1)
	v_add_f64 v[21:22], v[45:46], v[23:24]
	v_add_f64 v[27:28], v[21:22], -v[45:46]
	v_cvt_i32_f64_e32 v45, v[25:26]
	s_delay_alu instid0(VALU_DEP_2)
	v_add_f64 v[23:24], v[23:24], -v[27:28]
.LBB248_285:                            ;   in Loop: Header=BB248_217 Depth=1
	s_or_b32 exec_lo, exec_lo, s4
                                        ; implicit-def: $vgpr46
                                        ; implicit-def: $vgpr25_vgpr26
                                        ; implicit-def: $vgpr27_vgpr28
	s_and_saveexec_b32 s4, s5
	s_delay_alu instid0(SALU_CYCLE_1)
	s_xor_b32 s5, exec_lo, s4
	s_cbranch_execz .LBB248_287
; %bb.286:                              ;   in Loop: Header=BB248_217 Depth=1
	v_ldexp_f64 v[25:26], |v[16:17]|, 0xffffff80
	v_cmp_le_f64_e64 vcc_lo, 0x7b000000, |v[16:17]|
	v_trig_preop_f64 v[27:28], |v[16:17]|, 0
	v_and_b32_e32 v19, 0x7fffffff, v17
	v_trig_preop_f64 v[46:47], |v[16:17]|, 1
	v_trig_preop_f64 v[56:57], |v[16:17]|, 2
	s_mov_b32 s20, s22
	s_mov_b32 s27, s25
	v_dual_cndmask_b32 v26, v19, v26 :: v_dual_cndmask_b32 v25, v16, v25
	s_delay_alu instid0(VALU_DEP_1) | instskip(NEXT) | instid1(VALU_DEP_4)
	v_mul_f64 v[48:49], v[27:28], v[25:26]
	v_mul_f64 v[50:51], v[46:47], v[25:26]
	s_delay_alu instid0(VALU_DEP_4) | instskip(NEXT) | instid1(VALU_DEP_3)
	v_mul_f64 v[62:63], v[56:57], v[25:26]
	v_fma_f64 v[27:28], v[27:28], v[25:26], -v[48:49]
	s_delay_alu instid0(VALU_DEP_3) | instskip(NEXT) | instid1(VALU_DEP_3)
	v_fma_f64 v[46:47], v[46:47], v[25:26], -v[50:51]
	v_fma_f64 v[25:26], v[56:57], v[25:26], -v[62:63]
	s_delay_alu instid0(VALU_DEP_3) | instskip(NEXT) | instid1(VALU_DEP_1)
	v_add_f64 v[52:53], v[50:51], v[27:28]
	v_add_f64 v[54:55], v[52:53], -v[50:51]
	v_add_f64 v[60:61], v[48:49], v[52:53]
	s_delay_alu instid0(VALU_DEP_2) | instskip(SKIP_1) | instid1(VALU_DEP_3)
	v_add_f64 v[58:59], v[52:53], -v[54:55]
	v_add_f64 v[27:28], v[27:28], -v[54:55]
	v_ldexp_f64 v[54:55], v[60:61], -2
	v_add_f64 v[48:49], v[60:61], -v[48:49]
	s_delay_alu instid0(VALU_DEP_4) | instskip(SKIP_1) | instid1(VALU_DEP_4)
	v_add_f64 v[50:51], v[50:51], -v[58:59]
	v_add_f64 v[58:59], v[62:63], v[46:47]
	v_cmp_neq_f64_e64 vcc_lo, 0x7ff00000, |v[54:55]|
	s_delay_alu instid0(VALU_DEP_4) | instskip(NEXT) | instid1(VALU_DEP_4)
	v_add_f64 v[48:49], v[52:53], -v[48:49]
	v_add_f64 v[27:28], v[27:28], v[50:51]
	v_fract_f64_e32 v[50:51], v[54:55]
	s_delay_alu instid0(VALU_DEP_2) | instskip(NEXT) | instid1(VALU_DEP_2)
	v_add_f64 v[52:53], v[58:59], v[27:28]
	v_dual_cndmask_b32 v51, 0, v51 :: v_dual_cndmask_b32 v50, 0, v50
	s_delay_alu instid0(VALU_DEP_1) | instskip(NEXT) | instid1(VALU_DEP_3)
	v_ldexp_f64 v[50:51], v[50:51], 2
	v_add_f64 v[54:55], v[48:49], v[52:53]
	v_add_f64 v[64:65], v[52:53], -v[58:59]
	s_delay_alu instid0(VALU_DEP_2) | instskip(NEXT) | instid1(VALU_DEP_2)
	v_add_f64 v[60:61], v[54:55], v[50:51]
	v_add_f64 v[70:71], v[52:53], -v[64:65]
	v_add_f64 v[27:28], v[27:28], -v[64:65]
	;; [unrolled: 1-line block ×3, first 2 shown]
	s_delay_alu instid0(VALU_DEP_4) | instskip(SKIP_2) | instid1(VALU_DEP_2)
	v_cmp_gt_f64_e32 vcc_lo, 0, v[60:61]
	v_add_f64 v[60:61], v[58:59], -v[62:63]
	v_cndmask_b32_e64 v19, 0, 0x40100000, vcc_lo
	v_add_f64 v[68:69], v[58:59], -v[60:61]
	v_add_f64 v[46:47], v[46:47], -v[60:61]
	;; [unrolled: 1-line block ×3, first 2 shown]
	s_delay_alu instid0(VALU_DEP_4) | instskip(NEXT) | instid1(VALU_DEP_4)
	v_add_f64 v[50:51], v[50:51], v[18:19]
	v_add_f64 v[60:61], v[62:63], -v[68:69]
	s_delay_alu instid0(VALU_DEP_3) | instskip(NEXT) | instid1(VALU_DEP_3)
	v_add_f64 v[27:28], v[27:28], v[58:59]
	v_add_f64 v[66:67], v[54:55], v[50:51]
	s_delay_alu instid0(VALU_DEP_3) | instskip(NEXT) | instid1(VALU_DEP_2)
	v_add_f64 v[46:47], v[46:47], v[60:61]
	v_cvt_i32_f64_e32 v19, v[66:67]
	s_delay_alu instid0(VALU_DEP_2) | instskip(SKIP_1) | instid1(VALU_DEP_3)
	v_add_f64 v[27:28], v[46:47], v[27:28]
	v_add_f64 v[46:47], v[52:53], -v[48:49]
	v_cvt_f64_i32_e32 v[64:65], v19
	s_delay_alu instid0(VALU_DEP_3) | instskip(NEXT) | instid1(VALU_DEP_2)
	v_add_f64 v[25:26], v[25:26], v[27:28]
	v_add_f64 v[50:51], v[50:51], -v[64:65]
	s_delay_alu instid0(VALU_DEP_2) | instskip(NEXT) | instid1(VALU_DEP_2)
	v_add_f64 v[25:26], v[46:47], v[25:26]
	v_add_f64 v[56:57], v[54:55], v[50:51]
	s_delay_alu instid0(VALU_DEP_1) | instskip(SKIP_1) | instid1(VALU_DEP_2)
	v_add_f64 v[27:28], v[56:57], -v[50:51]
	v_cmp_le_f64_e32 vcc_lo, 0.5, v[56:57]
	v_add_f64 v[27:28], v[54:55], -v[27:28]
	v_add_co_ci_u32_e64 v46, s4, 0, v19, vcc_lo
	v_cndmask_b32_e64 v19, 0, 0x3ff00000, vcc_lo
	s_delay_alu instid0(VALU_DEP_3) | instskip(NEXT) | instid1(VALU_DEP_2)
	v_add_f64 v[25:26], v[25:26], v[27:28]
	v_add_f64 v[27:28], v[56:57], -v[18:19]
	s_delay_alu instid0(VALU_DEP_1) | instskip(NEXT) | instid1(VALU_DEP_1)
	v_add_f64 v[47:48], v[27:28], v[25:26]
	v_mul_f64 v[49:50], v[47:48], s[20:21]
	v_add_f64 v[27:28], v[47:48], -v[27:28]
	s_delay_alu instid0(VALU_DEP_2) | instskip(NEXT) | instid1(VALU_DEP_2)
	v_fma_f64 v[51:52], v[47:48], s[20:21], -v[49:50]
	v_add_f64 v[25:26], v[25:26], -v[27:28]
	s_delay_alu instid0(VALU_DEP_2) | instskip(NEXT) | instid1(VALU_DEP_1)
	v_fma_f64 v[27:28], v[47:48], s[26:27], v[51:52]
	v_fma_f64 v[27:28], v[25:26], s[20:21], v[27:28]
	s_delay_alu instid0(VALU_DEP_1) | instskip(NEXT) | instid1(VALU_DEP_1)
	v_add_f64 v[25:26], v[49:50], v[27:28]
	v_add_f64 v[47:48], v[25:26], -v[49:50]
	s_delay_alu instid0(VALU_DEP_1)
	v_add_f64 v[27:28], v[27:28], -v[47:48]
	s_and_not1_saveexec_b32 s4, s5
	s_cbranch_execnz .LBB248_288
	s_branch .LBB248_289
.LBB248_287:                            ;   in Loop: Header=BB248_217 Depth=1
	s_and_not1_saveexec_b32 s4, s5
	s_cbranch_execz .LBB248_289
.LBB248_288:                            ;   in Loop: Header=BB248_217 Depth=1
	v_mul_f64 v[25:26], |v[16:17]|, s[28:29]
	s_mov_b32 s24, s30
	s_delay_alu instid0(VALU_DEP_1) | instskip(NEXT) | instid1(VALU_DEP_1)
	v_rndne_f64_e32 v[46:47], v[25:26]
	v_fma_f64 v[25:26], v[46:47], s[22:23], |v[16:17]|
	v_mul_f64 v[27:28], v[46:47], s[30:31]
	s_delay_alu instid0(VALU_DEP_2) | instskip(NEXT) | instid1(VALU_DEP_2)
	v_fma_f64 v[50:51], v[46:47], s[30:31], v[25:26]
	v_add_f64 v[48:49], v[25:26], v[27:28]
	s_delay_alu instid0(VALU_DEP_1) | instskip(NEXT) | instid1(VALU_DEP_3)
	v_add_f64 v[25:26], v[25:26], -v[48:49]
	v_add_f64 v[48:49], v[48:49], -v[50:51]
	s_delay_alu instid0(VALU_DEP_2) | instskip(SKIP_1) | instid1(VALU_DEP_2)
	v_add_f64 v[25:26], v[25:26], v[27:28]
	v_fma_f64 v[27:28], v[46:47], s[24:25], v[27:28]
	v_add_f64 v[25:26], v[48:49], v[25:26]
	s_delay_alu instid0(VALU_DEP_1) | instskip(NEXT) | instid1(VALU_DEP_1)
	v_add_f64 v[25:26], v[25:26], -v[27:28]
	v_fma_f64 v[27:28], v[46:47], s[34:35], v[25:26]
	v_cvt_i32_f64_e32 v46, v[46:47]
	s_delay_alu instid0(VALU_DEP_2) | instskip(NEXT) | instid1(VALU_DEP_1)
	v_add_f64 v[25:26], v[50:51], v[27:28]
	v_add_f64 v[48:49], v[25:26], -v[50:51]
	s_delay_alu instid0(VALU_DEP_1)
	v_add_f64 v[27:28], v[27:28], -v[48:49]
.LBB248_289:                            ;   in Loop: Header=BB248_217 Depth=1
	s_or_b32 exec_lo, exec_lo, s4
	s_mov_b32 s36, s38
	v_mul_f64 v[53:54], v[21:22], v[21:22]
	v_mul_f64 v[47:48], v[14:15], s[36:37]
	;; [unrolled: 1-line block ×3, first 2 shown]
	s_mov_b32 s59, s57
	s_mov_b32 s87, s61
	s_delay_alu instid0(VALU_DEP_4)
	v_mul_f64 v[73:74], v[23:24], 0.5
	v_mul_f64 v[79:80], v[27:28], 0.5
	s_mov_b32 s88, s60
	v_cmp_ngt_f64_e64 s5, 0xc0900000, v[14:15]
	v_cmp_nlt_f64_e64 s6, 0x4090cc00, v[14:15]
	v_cmp_class_f64_e64 s4, v[16:17], 0x1f8
	v_fma_f64 v[57:58], v[53:54], s[78:79], s[76:77]
	v_rndne_f64_e32 v[47:48], v[47:48]
	v_fma_f64 v[59:60], v[55:56], s[78:79], s[76:77]
	v_fma_f64 v[61:62], v[53:54], s[68:69], s[66:67]
	v_mul_f64 v[63:64], v[53:54], 0.5
	v_fma_f64 v[65:66], v[55:56], s[68:69], s[66:67]
	v_mul_f64 v[67:68], v[55:56], 0.5
	v_mul_f64 v[75:76], v[21:22], -v[53:54]
	v_mul_f64 v[81:82], v[25:26], -v[55:56]
	v_fma_f64 v[57:58], v[53:54], v[57:58], s[80:81]
	v_fma_f64 v[49:50], v[47:48], s[40:41], -v[14:15]
	v_fma_f64 v[59:60], v[55:56], v[59:60], s[80:81]
	v_fma_f64 v[61:62], v[53:54], v[61:62], s[70:71]
	v_add_f64 v[69:70], -v[63:64], 1.0
	v_fma_f64 v[65:66], v[55:56], v[65:66], s[70:71]
	v_add_f64 v[71:72], -v[67:68], 1.0
	v_cvt_i32_f64_e32 v19, v[47:48]
	v_lshlrev_b32_e32 v15, 30, v45
	v_lshlrev_b32_e32 v14, 30, v46
	s_delay_alu instid0(VALU_DEP_2) | instskip(NEXT) | instid1(VALU_DEP_2)
	v_and_b32_e32 v15, 0x80000000, v15
	v_xor_b32_e32 v14, v14, v20
	s_delay_alu instid0(VALU_DEP_1)
	v_and_b32_e32 v20, 0x80000000, v14
	v_fma_f64 v[57:58], v[53:54], v[57:58], s[82:83]
	v_fma_f64 v[49:50], v[47:48], s[42:43], v[49:50]
	;; [unrolled: 1-line block ×4, first 2 shown]
	v_add_f64 v[77:78], -v[69:70], 1.0
	v_fma_f64 v[65:66], v[55:56], v[65:66], s[72:73]
	v_add_f64 v[83:84], -v[71:72], 1.0
	v_fma_f64 v[57:58], v[53:54], v[57:58], s[56:57]
	v_fma_f64 v[51:52], v[49:50], s[46:47], s[44:45]
	;; [unrolled: 1-line block ×4, first 2 shown]
	v_add_f64 v[63:64], v[77:78], -v[63:64]
	v_fma_f64 v[65:66], v[55:56], v[65:66], s[74:75]
	v_add_f64 v[67:68], v[83:84], -v[67:68]
	v_fma_f64 v[57:58], v[75:76], v[57:58], v[73:74]
	v_fma_f64 v[51:52], v[49:50], v[51:52], s[48:49]
	;; [unrolled: 1-line block ×3, first 2 shown]
	v_mul_f64 v[73:74], v[53:54], v[53:54]
	v_fma_f64 v[61:62], v[53:54], v[61:62], s[60:61]
	v_fma_f64 v[63:64], v[21:22], -v[23:24], v[63:64]
	v_fma_f64 v[23:24], v[53:54], v[57:58], -v[23:24]
	v_fma_f64 v[51:52], v[49:50], v[51:52], s[50:51]
	v_mul_f64 v[53:54], v[55:56], v[55:56]
	v_fma_f64 v[57:58], v[55:56], v[65:66], s[60:61]
	v_fma_f64 v[65:66], v[25:26], -v[27:28], v[67:68]
	v_fma_f64 v[27:28], v[55:56], v[59:60], -v[27:28]
	v_fma_f64 v[55:56], v[73:74], v[61:62], v[63:64]
	v_fma_f64 v[23:24], v[75:76], s[88:89], v[23:24]
	;; [unrolled: 1-line block ×3, first 2 shown]
	s_delay_alu instid0(VALU_DEP_4) | instskip(NEXT) | instid1(VALU_DEP_3)
	v_fma_f64 v[27:28], v[81:82], s[88:89], v[27:28]
	v_add_f64 v[21:22], v[21:22], -v[23:24]
	s_delay_alu instid0(VALU_DEP_3) | instskip(NEXT) | instid1(VALU_DEP_3)
	v_fma_f64 v[51:52], v[49:50], v[51:52], s[54:55]
	v_add_f64 v[25:26], v[25:26], -v[27:28]
	s_delay_alu instid0(VALU_DEP_2) | instskip(NEXT) | instid1(VALU_DEP_1)
	v_fma_f64 v[51:52], v[49:50], v[51:52], s[58:59]
	v_fma_f64 v[51:52], v[49:50], v[51:52], s[86:87]
	s_delay_alu instid0(VALU_DEP_1) | instskip(NEXT) | instid1(VALU_DEP_1)
	v_fma_f64 v[51:52], v[49:50], v[51:52], s[62:63]
	v_fma_f64 v[51:52], v[49:50], v[51:52], s[64:65]
	s_delay_alu instid0(VALU_DEP_1) | instskip(NEXT) | instid1(VALU_DEP_1)
	v_fma_f64 v[51:52], v[49:50], v[51:52], 1.0
	v_fma_f64 v[47:48], v[49:50], v[51:52], 1.0
	v_fma_f64 v[49:50], v[53:54], v[57:58], v[65:66]
	v_add_f64 v[51:52], v[69:70], v[55:56]
	s_delay_alu instid0(VALU_DEP_3) | instskip(NEXT) | instid1(VALU_DEP_3)
	v_ldexp_f64 v[23:24], v[47:48], v19
	v_add_f64 v[47:48], v[71:72], v[49:50]
	v_and_b32_e32 v19, 1, v45
	v_and_b32_e32 v16, 1, v46
	s_delay_alu instid0(VALU_DEP_2) | instskip(NEXT) | instid1(VALU_DEP_2)
	v_cmp_eq_u32_e32 vcc_lo, 0, v19
	v_cmp_eq_u32_e64 s7, 0, v16
	v_cndmask_b32_e32 v19, v21, v51, vcc_lo
	v_xor_b32_e32 v21, 0x80000000, v22
	s_delay_alu instid0(VALU_DEP_2) | instskip(NEXT) | instid1(VALU_DEP_2)
	v_cndmask_b32_e64 v14, 0, v19, s4
	v_cndmask_b32_e32 v16, v21, v52, vcc_lo
	s_and_b32 vcc_lo, s6, s5
	s_delay_alu instid0(VALU_DEP_1) | instskip(NEXT) | instid1(VALU_DEP_1)
	v_xor_b32_e32 v15, v16, v15
	v_cndmask_b32_e64 v15, 0x7ff80000, v15, s4
	v_cndmask_b32_e64 v17, 0x7ff00000, v24, s5
	;; [unrolled: 1-line block ×4, first 2 shown]
	v_cndmask_b32_e32 v19, 0, v23, vcc_lo
	s_delay_alu instid0(VALU_DEP_3) | instskip(NEXT) | instid1(VALU_DEP_3)
	v_xor_b32_e32 v22, v22, v20
	v_cndmask_b32_e64 v16, 0, v21, s4
	v_cndmask_b32_e64 v20, 0, v17, s6
	s_delay_alu instid0(VALU_DEP_3) | instskip(NEXT) | instid1(VALU_DEP_2)
	v_cndmask_b32_e64 v17, 0x7ff80000, v22, s4
	v_mul_f64 v[21:22], v[19:20], v[14:15]
	s_delay_alu instid0(VALU_DEP_2)
	v_mul_f64 v[19:20], v[19:20], v[16:17]
                                        ; implicit-def: $vgpr16_vgpr17
.LBB248_290:                            ;   in Loop: Header=BB248_217 Depth=1
	s_and_not1_saveexec_b32 s36, s98
	s_cbranch_execz .LBB248_300
; %bb.291:                              ;   in Loop: Header=BB248_217 Depth=1
	v_cmp_ngt_f64_e64 s5, 0x41d00000, |v[16:17]|
                                        ; implicit-def: $vgpr45
                                        ; implicit-def: $vgpr21_vgpr22
                                        ; implicit-def: $vgpr23_vgpr24
	s_delay_alu instid0(VALU_DEP_1) | instskip(NEXT) | instid1(SALU_CYCLE_1)
	s_and_saveexec_b32 s4, s5
	s_xor_b32 s6, exec_lo, s4
	s_cbranch_execz .LBB248_293
; %bb.292:                              ;   in Loop: Header=BB248_217 Depth=1
	v_ldexp_f64 v[21:22], |v[16:17]|, 0xffffff80
	v_cmp_le_f64_e64 vcc_lo, 0x7b000000, |v[16:17]|
	v_trig_preop_f64 v[23:24], |v[16:17]|, 0
	v_and_b32_e32 v19, 0x7fffffff, v17
	v_trig_preop_f64 v[25:26], |v[16:17]|, 1
	v_trig_preop_f64 v[51:52], |v[16:17]|, 2
	s_mov_b32 s20, s22
	s_mov_b32 s27, s25
	v_dual_cndmask_b32 v22, v19, v22 :: v_dual_cndmask_b32 v21, v16, v21
	s_delay_alu instid0(VALU_DEP_1) | instskip(NEXT) | instid1(VALU_DEP_4)
	v_mul_f64 v[27:28], v[23:24], v[21:22]
	v_mul_f64 v[45:46], v[25:26], v[21:22]
	s_delay_alu instid0(VALU_DEP_4) | instskip(NEXT) | instid1(VALU_DEP_3)
	v_mul_f64 v[57:58], v[51:52], v[21:22]
	v_fma_f64 v[23:24], v[23:24], v[21:22], -v[27:28]
	s_delay_alu instid0(VALU_DEP_3) | instskip(NEXT) | instid1(VALU_DEP_3)
	v_fma_f64 v[25:26], v[25:26], v[21:22], -v[45:46]
	v_fma_f64 v[21:22], v[51:52], v[21:22], -v[57:58]
	s_delay_alu instid0(VALU_DEP_3) | instskip(NEXT) | instid1(VALU_DEP_1)
	v_add_f64 v[47:48], v[45:46], v[23:24]
	v_add_f64 v[49:50], v[47:48], -v[45:46]
	v_add_f64 v[55:56], v[27:28], v[47:48]
	s_delay_alu instid0(VALU_DEP_2) | instskip(SKIP_1) | instid1(VALU_DEP_3)
	v_add_f64 v[53:54], v[47:48], -v[49:50]
	v_add_f64 v[23:24], v[23:24], -v[49:50]
	v_ldexp_f64 v[49:50], v[55:56], -2
	v_add_f64 v[27:28], v[55:56], -v[27:28]
	s_delay_alu instid0(VALU_DEP_4) | instskip(SKIP_1) | instid1(VALU_DEP_4)
	v_add_f64 v[45:46], v[45:46], -v[53:54]
	v_add_f64 v[53:54], v[57:58], v[25:26]
	v_cmp_neq_f64_e64 vcc_lo, 0x7ff00000, |v[49:50]|
	s_delay_alu instid0(VALU_DEP_4) | instskip(NEXT) | instid1(VALU_DEP_4)
	v_add_f64 v[27:28], v[47:48], -v[27:28]
	v_add_f64 v[23:24], v[23:24], v[45:46]
	v_fract_f64_e32 v[45:46], v[49:50]
	s_delay_alu instid0(VALU_DEP_2) | instskip(NEXT) | instid1(VALU_DEP_2)
	v_add_f64 v[47:48], v[53:54], v[23:24]
	v_dual_cndmask_b32 v46, 0, v46 :: v_dual_cndmask_b32 v45, 0, v45
	s_delay_alu instid0(VALU_DEP_1) | instskip(NEXT) | instid1(VALU_DEP_3)
	v_ldexp_f64 v[45:46], v[45:46], 2
	v_add_f64 v[49:50], v[27:28], v[47:48]
	v_add_f64 v[59:60], v[47:48], -v[53:54]
	s_delay_alu instid0(VALU_DEP_2) | instskip(NEXT) | instid1(VALU_DEP_2)
	v_add_f64 v[55:56], v[49:50], v[45:46]
	v_add_f64 v[65:66], v[47:48], -v[59:60]
	v_add_f64 v[23:24], v[23:24], -v[59:60]
	;; [unrolled: 1-line block ×3, first 2 shown]
	s_delay_alu instid0(VALU_DEP_4) | instskip(SKIP_1) | instid1(VALU_DEP_3)
	v_cmp_gt_f64_e32 vcc_lo, 0, v[55:56]
	v_add_f64 v[55:56], v[53:54], -v[57:58]
	v_add_f64 v[27:28], v[47:48], -v[27:28]
	v_cndmask_b32_e64 v19, 0, 0x40100000, vcc_lo
	s_delay_alu instid0(VALU_DEP_3) | instskip(SKIP_2) | instid1(VALU_DEP_4)
	v_add_f64 v[63:64], v[53:54], -v[55:56]
	v_add_f64 v[25:26], v[25:26], -v[55:56]
	;; [unrolled: 1-line block ×3, first 2 shown]
	v_add_f64 v[45:46], v[45:46], v[18:19]
	s_delay_alu instid0(VALU_DEP_4) | instskip(NEXT) | instid1(VALU_DEP_3)
	v_add_f64 v[55:56], v[57:58], -v[63:64]
	v_add_f64 v[23:24], v[23:24], v[53:54]
	s_delay_alu instid0(VALU_DEP_3) | instskip(NEXT) | instid1(VALU_DEP_3)
	v_add_f64 v[61:62], v[49:50], v[45:46]
	v_add_f64 v[25:26], v[25:26], v[55:56]
	s_delay_alu instid0(VALU_DEP_2) | instskip(NEXT) | instid1(VALU_DEP_2)
	v_cvt_i32_f64_e32 v19, v[61:62]
	v_add_f64 v[23:24], v[25:26], v[23:24]
	s_delay_alu instid0(VALU_DEP_2) | instskip(NEXT) | instid1(VALU_DEP_2)
	v_cvt_f64_i32_e32 v[59:60], v19
	v_add_f64 v[21:22], v[21:22], v[23:24]
	s_delay_alu instid0(VALU_DEP_2) | instskip(NEXT) | instid1(VALU_DEP_2)
	v_add_f64 v[45:46], v[45:46], -v[59:60]
	v_add_f64 v[21:22], v[27:28], v[21:22]
	s_delay_alu instid0(VALU_DEP_2) | instskip(NEXT) | instid1(VALU_DEP_1)
	v_add_f64 v[25:26], v[49:50], v[45:46]
	v_add_f64 v[23:24], v[25:26], -v[45:46]
	v_cmp_le_f64_e32 vcc_lo, 0.5, v[25:26]
	s_delay_alu instid0(VALU_DEP_2) | instskip(SKIP_2) | instid1(VALU_DEP_3)
	v_add_f64 v[23:24], v[49:50], -v[23:24]
	v_add_co_ci_u32_e64 v45, s4, 0, v19, vcc_lo
	v_cndmask_b32_e64 v19, 0, 0x3ff00000, vcc_lo
	v_add_f64 v[21:22], v[21:22], v[23:24]
	s_delay_alu instid0(VALU_DEP_2) | instskip(NEXT) | instid1(VALU_DEP_1)
	v_add_f64 v[23:24], v[25:26], -v[18:19]
	v_add_f64 v[25:26], v[23:24], v[21:22]
	s_delay_alu instid0(VALU_DEP_1) | instskip(SKIP_1) | instid1(VALU_DEP_2)
	v_mul_f64 v[27:28], v[25:26], s[20:21]
	v_add_f64 v[23:24], v[25:26], -v[23:24]
	v_fma_f64 v[46:47], v[25:26], s[20:21], -v[27:28]
	s_delay_alu instid0(VALU_DEP_2) | instskip(NEXT) | instid1(VALU_DEP_2)
	v_add_f64 v[21:22], v[21:22], -v[23:24]
	v_fma_f64 v[23:24], v[25:26], s[26:27], v[46:47]
	s_delay_alu instid0(VALU_DEP_1) | instskip(NEXT) | instid1(VALU_DEP_1)
	v_fma_f64 v[23:24], v[21:22], s[20:21], v[23:24]
	v_add_f64 v[21:22], v[27:28], v[23:24]
	s_delay_alu instid0(VALU_DEP_1) | instskip(NEXT) | instid1(VALU_DEP_1)
	v_add_f64 v[25:26], v[21:22], -v[27:28]
	v_add_f64 v[23:24], v[23:24], -v[25:26]
	s_and_not1_saveexec_b32 s4, s6
	s_cbranch_execz .LBB248_295
	s_branch .LBB248_294
.LBB248_293:                            ;   in Loop: Header=BB248_217 Depth=1
	s_and_not1_saveexec_b32 s4, s6
	s_cbranch_execz .LBB248_295
.LBB248_294:                            ;   in Loop: Header=BB248_217 Depth=1
	v_mul_f64 v[21:22], |v[16:17]|, s[28:29]
	s_mov_b32 s24, s30
	s_delay_alu instid0(VALU_DEP_1) | instskip(NEXT) | instid1(VALU_DEP_1)
	v_rndne_f64_e32 v[25:26], v[21:22]
	v_fma_f64 v[21:22], v[25:26], s[22:23], |v[16:17]|
	v_mul_f64 v[23:24], v[25:26], s[30:31]
	s_delay_alu instid0(VALU_DEP_2) | instskip(NEXT) | instid1(VALU_DEP_2)
	v_fma_f64 v[45:46], v[25:26], s[30:31], v[21:22]
	v_add_f64 v[27:28], v[21:22], v[23:24]
	s_delay_alu instid0(VALU_DEP_1) | instskip(NEXT) | instid1(VALU_DEP_3)
	v_add_f64 v[21:22], v[21:22], -v[27:28]
	v_add_f64 v[27:28], v[27:28], -v[45:46]
	s_delay_alu instid0(VALU_DEP_2) | instskip(SKIP_1) | instid1(VALU_DEP_2)
	v_add_f64 v[21:22], v[21:22], v[23:24]
	v_fma_f64 v[23:24], v[25:26], s[24:25], v[23:24]
	v_add_f64 v[21:22], v[27:28], v[21:22]
	s_delay_alu instid0(VALU_DEP_1) | instskip(NEXT) | instid1(VALU_DEP_1)
	v_add_f64 v[21:22], v[21:22], -v[23:24]
	v_fma_f64 v[23:24], v[25:26], s[34:35], v[21:22]
	s_delay_alu instid0(VALU_DEP_1) | instskip(NEXT) | instid1(VALU_DEP_1)
	v_add_f64 v[21:22], v[45:46], v[23:24]
	v_add_f64 v[27:28], v[21:22], -v[45:46]
	v_cvt_i32_f64_e32 v45, v[25:26]
	s_delay_alu instid0(VALU_DEP_2)
	v_add_f64 v[23:24], v[23:24], -v[27:28]
.LBB248_295:                            ;   in Loop: Header=BB248_217 Depth=1
	s_or_b32 exec_lo, exec_lo, s4
                                        ; implicit-def: $vgpr46
                                        ; implicit-def: $vgpr25_vgpr26
                                        ; implicit-def: $vgpr27_vgpr28
	s_and_saveexec_b32 s4, s5
	s_delay_alu instid0(SALU_CYCLE_1)
	s_xor_b32 s5, exec_lo, s4
	s_cbranch_execz .LBB248_297
; %bb.296:                              ;   in Loop: Header=BB248_217 Depth=1
	v_ldexp_f64 v[25:26], |v[16:17]|, 0xffffff80
	v_cmp_le_f64_e64 vcc_lo, 0x7b000000, |v[16:17]|
	v_trig_preop_f64 v[27:28], |v[16:17]|, 0
	v_and_b32_e32 v19, 0x7fffffff, v17
	v_trig_preop_f64 v[46:47], |v[16:17]|, 1
	v_trig_preop_f64 v[56:57], |v[16:17]|, 2
	s_mov_b32 s20, s22
	s_mov_b32 s27, s25
	v_dual_cndmask_b32 v26, v19, v26 :: v_dual_cndmask_b32 v25, v16, v25
	s_delay_alu instid0(VALU_DEP_1) | instskip(NEXT) | instid1(VALU_DEP_4)
	v_mul_f64 v[48:49], v[27:28], v[25:26]
	v_mul_f64 v[50:51], v[46:47], v[25:26]
	s_delay_alu instid0(VALU_DEP_4) | instskip(NEXT) | instid1(VALU_DEP_3)
	v_mul_f64 v[62:63], v[56:57], v[25:26]
	v_fma_f64 v[27:28], v[27:28], v[25:26], -v[48:49]
	s_delay_alu instid0(VALU_DEP_3) | instskip(NEXT) | instid1(VALU_DEP_3)
	v_fma_f64 v[46:47], v[46:47], v[25:26], -v[50:51]
	v_fma_f64 v[25:26], v[56:57], v[25:26], -v[62:63]
	s_delay_alu instid0(VALU_DEP_3) | instskip(NEXT) | instid1(VALU_DEP_1)
	v_add_f64 v[52:53], v[50:51], v[27:28]
	v_add_f64 v[54:55], v[52:53], -v[50:51]
	v_add_f64 v[60:61], v[48:49], v[52:53]
	s_delay_alu instid0(VALU_DEP_2) | instskip(SKIP_1) | instid1(VALU_DEP_3)
	v_add_f64 v[58:59], v[52:53], -v[54:55]
	v_add_f64 v[27:28], v[27:28], -v[54:55]
	v_ldexp_f64 v[54:55], v[60:61], -2
	v_add_f64 v[48:49], v[60:61], -v[48:49]
	s_delay_alu instid0(VALU_DEP_4) | instskip(SKIP_1) | instid1(VALU_DEP_4)
	v_add_f64 v[50:51], v[50:51], -v[58:59]
	v_add_f64 v[58:59], v[62:63], v[46:47]
	v_cmp_neq_f64_e64 vcc_lo, 0x7ff00000, |v[54:55]|
	s_delay_alu instid0(VALU_DEP_4) | instskip(NEXT) | instid1(VALU_DEP_4)
	v_add_f64 v[48:49], v[52:53], -v[48:49]
	v_add_f64 v[27:28], v[27:28], v[50:51]
	v_fract_f64_e32 v[50:51], v[54:55]
	s_delay_alu instid0(VALU_DEP_2) | instskip(NEXT) | instid1(VALU_DEP_2)
	v_add_f64 v[52:53], v[58:59], v[27:28]
	v_dual_cndmask_b32 v51, 0, v51 :: v_dual_cndmask_b32 v50, 0, v50
	s_delay_alu instid0(VALU_DEP_1) | instskip(NEXT) | instid1(VALU_DEP_3)
	v_ldexp_f64 v[50:51], v[50:51], 2
	v_add_f64 v[54:55], v[48:49], v[52:53]
	v_add_f64 v[64:65], v[52:53], -v[58:59]
	s_delay_alu instid0(VALU_DEP_2) | instskip(NEXT) | instid1(VALU_DEP_2)
	v_add_f64 v[60:61], v[54:55], v[50:51]
	v_add_f64 v[70:71], v[52:53], -v[64:65]
	v_add_f64 v[27:28], v[27:28], -v[64:65]
	;; [unrolled: 1-line block ×3, first 2 shown]
	s_delay_alu instid0(VALU_DEP_4) | instskip(SKIP_2) | instid1(VALU_DEP_2)
	v_cmp_gt_f64_e32 vcc_lo, 0, v[60:61]
	v_add_f64 v[60:61], v[58:59], -v[62:63]
	v_cndmask_b32_e64 v19, 0, 0x40100000, vcc_lo
	v_add_f64 v[68:69], v[58:59], -v[60:61]
	v_add_f64 v[46:47], v[46:47], -v[60:61]
	;; [unrolled: 1-line block ×3, first 2 shown]
	s_delay_alu instid0(VALU_DEP_4) | instskip(NEXT) | instid1(VALU_DEP_4)
	v_add_f64 v[50:51], v[50:51], v[18:19]
	v_add_f64 v[60:61], v[62:63], -v[68:69]
	s_delay_alu instid0(VALU_DEP_3) | instskip(NEXT) | instid1(VALU_DEP_3)
	v_add_f64 v[27:28], v[27:28], v[58:59]
	v_add_f64 v[66:67], v[54:55], v[50:51]
	s_delay_alu instid0(VALU_DEP_3) | instskip(NEXT) | instid1(VALU_DEP_2)
	v_add_f64 v[46:47], v[46:47], v[60:61]
	v_cvt_i32_f64_e32 v19, v[66:67]
	s_delay_alu instid0(VALU_DEP_2) | instskip(SKIP_1) | instid1(VALU_DEP_3)
	v_add_f64 v[27:28], v[46:47], v[27:28]
	v_add_f64 v[46:47], v[52:53], -v[48:49]
	v_cvt_f64_i32_e32 v[64:65], v19
	s_delay_alu instid0(VALU_DEP_3) | instskip(NEXT) | instid1(VALU_DEP_2)
	v_add_f64 v[25:26], v[25:26], v[27:28]
	v_add_f64 v[50:51], v[50:51], -v[64:65]
	s_delay_alu instid0(VALU_DEP_2) | instskip(NEXT) | instid1(VALU_DEP_2)
	v_add_f64 v[25:26], v[46:47], v[25:26]
	v_add_f64 v[56:57], v[54:55], v[50:51]
	s_delay_alu instid0(VALU_DEP_1) | instskip(SKIP_1) | instid1(VALU_DEP_2)
	v_add_f64 v[27:28], v[56:57], -v[50:51]
	v_cmp_le_f64_e32 vcc_lo, 0.5, v[56:57]
	v_add_f64 v[27:28], v[54:55], -v[27:28]
	v_add_co_ci_u32_e64 v46, s4, 0, v19, vcc_lo
	v_cndmask_b32_e64 v19, 0, 0x3ff00000, vcc_lo
	s_delay_alu instid0(VALU_DEP_3) | instskip(NEXT) | instid1(VALU_DEP_2)
	v_add_f64 v[25:26], v[25:26], v[27:28]
	v_add_f64 v[27:28], v[56:57], -v[18:19]
	s_delay_alu instid0(VALU_DEP_1) | instskip(NEXT) | instid1(VALU_DEP_1)
	v_add_f64 v[47:48], v[27:28], v[25:26]
	v_mul_f64 v[49:50], v[47:48], s[20:21]
	v_add_f64 v[27:28], v[47:48], -v[27:28]
	s_delay_alu instid0(VALU_DEP_2) | instskip(NEXT) | instid1(VALU_DEP_2)
	v_fma_f64 v[51:52], v[47:48], s[20:21], -v[49:50]
	v_add_f64 v[25:26], v[25:26], -v[27:28]
	s_delay_alu instid0(VALU_DEP_2) | instskip(NEXT) | instid1(VALU_DEP_1)
	v_fma_f64 v[27:28], v[47:48], s[26:27], v[51:52]
	v_fma_f64 v[27:28], v[25:26], s[20:21], v[27:28]
	s_delay_alu instid0(VALU_DEP_1) | instskip(NEXT) | instid1(VALU_DEP_1)
	v_add_f64 v[25:26], v[49:50], v[27:28]
	v_add_f64 v[47:48], v[25:26], -v[49:50]
	s_delay_alu instid0(VALU_DEP_1)
	v_add_f64 v[27:28], v[27:28], -v[47:48]
	s_and_not1_saveexec_b32 s4, s5
	s_cbranch_execnz .LBB248_298
	s_branch .LBB248_299
.LBB248_297:                            ;   in Loop: Header=BB248_217 Depth=1
	s_and_not1_saveexec_b32 s4, s5
	s_cbranch_execz .LBB248_299
.LBB248_298:                            ;   in Loop: Header=BB248_217 Depth=1
	v_mul_f64 v[25:26], |v[16:17]|, s[28:29]
	s_mov_b32 s24, s30
	s_delay_alu instid0(VALU_DEP_1) | instskip(NEXT) | instid1(VALU_DEP_1)
	v_rndne_f64_e32 v[46:47], v[25:26]
	v_fma_f64 v[25:26], v[46:47], s[22:23], |v[16:17]|
	v_mul_f64 v[27:28], v[46:47], s[30:31]
	s_delay_alu instid0(VALU_DEP_2) | instskip(NEXT) | instid1(VALU_DEP_2)
	v_fma_f64 v[50:51], v[46:47], s[30:31], v[25:26]
	v_add_f64 v[48:49], v[25:26], v[27:28]
	s_delay_alu instid0(VALU_DEP_1) | instskip(NEXT) | instid1(VALU_DEP_3)
	v_add_f64 v[25:26], v[25:26], -v[48:49]
	v_add_f64 v[48:49], v[48:49], -v[50:51]
	s_delay_alu instid0(VALU_DEP_2) | instskip(SKIP_1) | instid1(VALU_DEP_2)
	v_add_f64 v[25:26], v[25:26], v[27:28]
	v_fma_f64 v[27:28], v[46:47], s[24:25], v[27:28]
	v_add_f64 v[25:26], v[48:49], v[25:26]
	s_delay_alu instid0(VALU_DEP_1) | instskip(NEXT) | instid1(VALU_DEP_1)
	v_add_f64 v[25:26], v[25:26], -v[27:28]
	v_fma_f64 v[27:28], v[46:47], s[34:35], v[25:26]
	v_cvt_i32_f64_e32 v46, v[46:47]
	s_delay_alu instid0(VALU_DEP_2) | instskip(NEXT) | instid1(VALU_DEP_1)
	v_add_f64 v[25:26], v[50:51], v[27:28]
	v_add_f64 v[48:49], v[25:26], -v[50:51]
	s_delay_alu instid0(VALU_DEP_1)
	v_add_f64 v[27:28], v[27:28], -v[48:49]
.LBB248_299:                            ;   in Loop: Header=BB248_217 Depth=1
	s_or_b32 exec_lo, exec_lo, s4
	v_add_f64 v[14:15], -v[14:15], s[84:85]
	s_delay_alu instid0(VALU_DEP_4) | instskip(SKIP_3) | instid1(VALU_DEP_4)
	v_mul_f64 v[53:54], v[21:22], v[21:22]
	v_mul_f64 v[55:56], v[25:26], v[25:26]
	s_mov_b32 s59, s57
	s_mov_b32 s87, s61
	v_mul_f64 v[73:74], v[23:24], 0.5
	v_mul_f64 v[79:80], v[27:28], 0.5
	s_mov_b32 s88, s60
	v_cmp_class_f64_e64 s4, v[16:17], 0x1f8
	v_and_b32_e32 v17, 1, v46
	s_delay_alu instid0(VALU_DEP_1)
	v_cmp_eq_u32_e64 s7, 0, v17
	v_mul_f64 v[47:48], v[14:15], s[38:39]
	v_fma_f64 v[57:58], v[53:54], s[78:79], s[76:77]
	v_fma_f64 v[59:60], v[55:56], s[78:79], s[76:77]
	;; [unrolled: 1-line block ×3, first 2 shown]
	v_mul_f64 v[63:64], v[53:54], 0.5
	v_fma_f64 v[65:66], v[55:56], s[68:69], s[66:67]
	v_mul_f64 v[67:68], v[55:56], 0.5
	v_mul_f64 v[75:76], v[21:22], -v[53:54]
	v_mul_f64 v[81:82], v[25:26], -v[55:56]
	v_cmp_nlt_f64_e64 s5, 0x40900000, v[14:15]
	v_cmp_ngt_f64_e64 s6, 0xc090cc00, v[14:15]
	v_rndne_f64_e32 v[47:48], v[47:48]
	v_fma_f64 v[57:58], v[53:54], v[57:58], s[80:81]
	v_fma_f64 v[59:60], v[55:56], v[59:60], s[80:81]
	v_fma_f64 v[61:62], v[53:54], v[61:62], s[70:71]
	v_add_f64 v[69:70], -v[63:64], 1.0
	v_fma_f64 v[65:66], v[55:56], v[65:66], s[70:71]
	v_add_f64 v[71:72], -v[67:68], 1.0
	v_fma_f64 v[49:50], v[47:48], s[40:41], v[14:15]
	v_fma_f64 v[57:58], v[53:54], v[57:58], s[82:83]
	;; [unrolled: 1-line block ×4, first 2 shown]
	v_add_f64 v[77:78], -v[69:70], 1.0
	v_fma_f64 v[65:66], v[55:56], v[65:66], s[72:73]
	v_add_f64 v[83:84], -v[71:72], 1.0
	v_cvt_i32_f64_e32 v19, v[47:48]
	v_lshlrev_b32_e32 v15, 30, v45
	v_lshlrev_b32_e32 v14, 30, v46
	s_delay_alu instid0(VALU_DEP_2) | instskip(NEXT) | instid1(VALU_DEP_2)
	v_and_b32_e32 v15, 0x80000000, v15
	v_xor_b32_e32 v14, v14, v20
	s_delay_alu instid0(VALU_DEP_1)
	v_and_b32_e32 v20, 0x80000000, v14
	v_fma_f64 v[49:50], v[47:48], s[42:43], v[49:50]
	v_fma_f64 v[57:58], v[53:54], v[57:58], s[56:57]
	;; [unrolled: 1-line block ×4, first 2 shown]
	v_add_f64 v[63:64], v[77:78], -v[63:64]
	v_fma_f64 v[65:66], v[55:56], v[65:66], s[74:75]
	v_add_f64 v[67:68], v[83:84], -v[67:68]
	v_fma_f64 v[51:52], v[49:50], s[46:47], s[44:45]
	v_fma_f64 v[57:58], v[75:76], v[57:58], v[73:74]
	v_fma_f64 v[59:60], v[81:82], v[59:60], v[79:80]
	v_mul_f64 v[73:74], v[53:54], v[53:54]
	v_fma_f64 v[61:62], v[53:54], v[61:62], s[60:61]
	v_fma_f64 v[63:64], v[21:22], -v[23:24], v[63:64]
	v_fma_f64 v[51:52], v[49:50], v[51:52], s[48:49]
	v_fma_f64 v[23:24], v[53:54], v[57:58], -v[23:24]
	v_mul_f64 v[53:54], v[55:56], v[55:56]
	v_fma_f64 v[57:58], v[55:56], v[65:66], s[60:61]
	v_fma_f64 v[65:66], v[25:26], -v[27:28], v[67:68]
	v_fma_f64 v[27:28], v[55:56], v[59:60], -v[27:28]
	v_fma_f64 v[55:56], v[73:74], v[61:62], v[63:64]
	v_fma_f64 v[51:52], v[49:50], v[51:52], s[50:51]
	;; [unrolled: 1-line block ×3, first 2 shown]
	s_delay_alu instid0(VALU_DEP_4) | instskip(NEXT) | instid1(VALU_DEP_3)
	v_fma_f64 v[27:28], v[81:82], s[88:89], v[27:28]
	v_fma_f64 v[51:52], v[49:50], v[51:52], s[52:53]
	s_delay_alu instid0(VALU_DEP_3) | instskip(NEXT) | instid1(VALU_DEP_3)
	v_add_f64 v[21:22], v[21:22], -v[23:24]
	v_add_f64 v[25:26], v[25:26], -v[27:28]
	s_delay_alu instid0(VALU_DEP_3) | instskip(NEXT) | instid1(VALU_DEP_1)
	v_fma_f64 v[51:52], v[49:50], v[51:52], s[54:55]
	v_fma_f64 v[51:52], v[49:50], v[51:52], s[58:59]
	s_delay_alu instid0(VALU_DEP_1) | instskip(NEXT) | instid1(VALU_DEP_1)
	v_fma_f64 v[51:52], v[49:50], v[51:52], s[86:87]
	v_fma_f64 v[51:52], v[49:50], v[51:52], s[62:63]
	s_delay_alu instid0(VALU_DEP_1) | instskip(NEXT) | instid1(VALU_DEP_1)
	v_fma_f64 v[51:52], v[49:50], v[51:52], s[64:65]
	v_fma_f64 v[51:52], v[49:50], v[51:52], 1.0
	s_delay_alu instid0(VALU_DEP_1) | instskip(SKIP_2) | instid1(VALU_DEP_3)
	v_fma_f64 v[47:48], v[49:50], v[51:52], 1.0
	v_fma_f64 v[49:50], v[53:54], v[57:58], v[65:66]
	v_add_f64 v[51:52], v[69:70], v[55:56]
	v_ldexp_f64 v[23:24], v[47:48], v19
	s_delay_alu instid0(VALU_DEP_3) | instskip(SKIP_1) | instid1(VALU_DEP_1)
	v_add_f64 v[47:48], v[71:72], v[49:50]
	v_and_b32_e32 v19, 1, v45
	v_cmp_eq_u32_e32 vcc_lo, 0, v19
	v_cndmask_b32_e32 v19, v21, v51, vcc_lo
	v_xor_b32_e32 v21, 0x80000000, v22
	s_delay_alu instid0(VALU_DEP_2) | instskip(NEXT) | instid1(VALU_DEP_2)
	v_cndmask_b32_e64 v14, 0, v19, s4
	v_cndmask_b32_e32 v17, v21, v52, vcc_lo
	s_and_b32 vcc_lo, s6, s5
	s_delay_alu instid0(VALU_DEP_1) | instskip(NEXT) | instid1(VALU_DEP_1)
	v_xor_b32_e32 v15, v17, v15
	v_cndmask_b32_e64 v15, 0x7ff80000, v15, s4
	v_cndmask_b32_e64 v16, 0x7ff00000, v24, s5
	;; [unrolled: 1-line block ×4, first 2 shown]
	v_cndmask_b32_e32 v19, 0, v23, vcc_lo
	s_delay_alu instid0(VALU_DEP_4) | instskip(NEXT) | instid1(VALU_DEP_4)
	v_cndmask_b32_e64 v24, 0, v16, s6
	v_xor_b32_e32 v17, v22, v20
	s_delay_alu instid0(VALU_DEP_4) | instskip(NEXT) | instid1(VALU_DEP_3)
	v_cndmask_b32_e64 v16, 0, v21, s4
	v_and_or_b32 v20, v24, s95, 0x7fe00000
	s_delay_alu instid0(VALU_DEP_3) | instskip(NEXT) | instid1(VALU_DEP_2)
	v_cndmask_b32_e64 v17, 0x7ff80000, v17, s4
	v_mul_f64 v[14:15], v[19:20], v[14:15]
	s_delay_alu instid0(VALU_DEP_2) | instskip(SKIP_1) | instid1(VALU_DEP_1)
	v_mul_f64 v[16:17], v[19:20], v[16:17]
	v_lshrrev_b32_e32 v19, 20, v24
	v_add_nc_u32_e32 v20, 0xffffff09, v19
	s_delay_alu instid0(VALU_DEP_1) | instskip(NEXT) | instid1(VALU_DEP_1)
	v_lshrrev_b16 v19, 15, v20
	v_add_nc_u16 v19, v20, v19
	s_delay_alu instid0(VALU_DEP_1) | instskip(NEXT) | instid1(VALU_DEP_1)
	v_ashrrev_i16 v19, 1, v19
	v_bfe_i32 v21, v19, 0, 16
	s_delay_alu instid0(VALU_DEP_1) | instskip(NEXT) | instid1(VALU_DEP_1)
	v_lshl_add_u32 v19, v21, 20, 0x3ff00000
	v_mul_f64 v[14:15], v[14:15], v[18:19]
	v_mul_f64 v[16:17], v[16:17], v[18:19]
	v_mov_b32_e32 v19, v18
	v_sub_nc_u32_e32 v20, v20, v21
	s_delay_alu instid0(VALU_DEP_1) | instskip(NEXT) | instid1(VALU_DEP_1)
	v_lshl_add_u32 v20, v20, 20, 0x3ff00000
	v_mul_f64 v[21:22], v[14:15], v[19:20]
	v_mul_f64 v[19:20], v[16:17], v[19:20]
.LBB248_300:                            ;   in Loop: Header=BB248_217 Depth=1
	s_or_b32 exec_lo, exec_lo, s36
                                        ; implicit-def: $vgpr23_vgpr24
                                        ; implicit-def: $vgpr16_vgpr17
                                        ; implicit-def: $vgpr25
.LBB248_301:                            ;   in Loop: Header=BB248_217 Depth=1
	s_and_not1_saveexec_b32 s5, s97
	s_cbranch_execz .LBB248_307
; %bb.302:                              ;   in Loop: Header=BB248_217 Depth=1
	v_cmp_ne_u32_e32 vcc_lo, 0, v23
	v_cmp_ne_u32_e64 s4, 0x7ff00000, v25
                                        ; implicit-def: $vgpr19_vgpr20
	s_delay_alu instid0(VALU_DEP_1) | instskip(NEXT) | instid1(SALU_CYCLE_1)
	s_or_b32 s4, vcc_lo, s4
	s_and_saveexec_b32 s6, s4
	s_delay_alu instid0(SALU_CYCLE_1)
	s_xor_b32 s4, exec_lo, s6
; %bb.303:                              ;   in Loop: Header=BB248_217 Depth=1
	v_add_f64 v[19:20], v[16:17], -v[16:17]
                                        ; implicit-def: $vgpr23_vgpr24
                                        ; implicit-def: $vgpr16_vgpr17
; %bb.304:                              ;   in Loop: Header=BB248_217 Depth=1
	s_or_saveexec_b32 s4, s4
	s_delay_alu instid0(VALU_DEP_1)
	v_dual_mov_b32 v22, v20 :: v_dual_mov_b32 v21, v19
	s_xor_b32 exec_lo, exec_lo, s4
; %bb.305:                              ;   in Loop: Header=BB248_217 Depth=1
	v_add_f64 v[15:16], v[16:17], -v[16:17]
	v_cmp_lt_i64_e32 vcc_lo, -1, v[23:24]
	v_dual_cndmask_b32 v22, 0, v24 :: v_dual_cndmask_b32 v21, 0, v14
	s_delay_alu instid0(VALU_DEP_3)
	v_dual_cndmask_b32 v20, 0, v16 :: v_dual_cndmask_b32 v19, 0, v15
; %bb.306:                              ;   in Loop: Header=BB248_217 Depth=1
	s_or_b32 exec_lo, exec_lo, s4
.LBB248_307:                            ;   in Loop: Header=BB248_217 Depth=1
	s_delay_alu instid0(SALU_CYCLE_1)
	s_or_b32 exec_lo, exec_lo, s5
                                        ; implicit-def: $vgpr16_vgpr17
.LBB248_308:                            ;   in Loop: Header=BB248_217 Depth=1
	s_and_not1_saveexec_b32 s6, s96
	s_cbranch_execz .LBB248_318
; %bb.309:                              ;   in Loop: Header=BB248_217 Depth=1
	v_cmp_ngt_f64_e64 s5, 0x41d00000, |v[16:17]|
                                        ; implicit-def: $vgpr27
                                        ; implicit-def: $vgpr14_vgpr15
                                        ; implicit-def: $vgpr21_vgpr22
	s_delay_alu instid0(VALU_DEP_1) | instskip(NEXT) | instid1(SALU_CYCLE_1)
	s_and_saveexec_b32 s4, s5
	s_xor_b32 s7, exec_lo, s4
	s_cbranch_execz .LBB248_311
; %bb.310:                              ;   in Loop: Header=BB248_217 Depth=1
	v_ldexp_f64 v[14:15], |v[16:17]|, 0xffffff80
	v_cmp_le_f64_e64 vcc_lo, 0x7b000000, |v[16:17]|
	v_trig_preop_f64 v[21:22], |v[16:17]|, 0
	v_and_b32_e32 v19, 0x7fffffff, v17
	v_trig_preop_f64 v[23:24], |v[16:17]|, 1
	v_trig_preop_f64 v[49:50], |v[16:17]|, 2
	s_mov_b32 s20, s22
	s_mov_b32 s27, s25
	v_dual_cndmask_b32 v14, v16, v14 :: v_dual_cndmask_b32 v15, v19, v15
	s_delay_alu instid0(VALU_DEP_1) | instskip(NEXT) | instid1(VALU_DEP_4)
	v_mul_f64 v[25:26], v[21:22], v[14:15]
	v_mul_f64 v[27:28], v[23:24], v[14:15]
	s_delay_alu instid0(VALU_DEP_2) | instskip(NEXT) | instid1(VALU_DEP_2)
	v_fma_f64 v[21:22], v[21:22], v[14:15], -v[25:26]
	v_fma_f64 v[23:24], v[23:24], v[14:15], -v[27:28]
	s_delay_alu instid0(VALU_DEP_2) | instskip(NEXT) | instid1(VALU_DEP_1)
	v_add_f64 v[45:46], v[27:28], v[21:22]
	v_add_f64 v[47:48], v[45:46], -v[27:28]
	v_add_f64 v[53:54], v[25:26], v[45:46]
	s_delay_alu instid0(VALU_DEP_2) | instskip(SKIP_1) | instid1(VALU_DEP_3)
	v_add_f64 v[51:52], v[45:46], -v[47:48]
	v_add_f64 v[21:22], v[21:22], -v[47:48]
	v_ldexp_f64 v[47:48], v[53:54], -2
	v_add_f64 v[25:26], v[53:54], -v[25:26]
	s_delay_alu instid0(VALU_DEP_4) | instskip(NEXT) | instid1(VALU_DEP_3)
	v_add_f64 v[27:28], v[27:28], -v[51:52]
	v_cmp_neq_f64_e64 vcc_lo, 0x7ff00000, |v[47:48]|
	s_delay_alu instid0(VALU_DEP_3) | instskip(NEXT) | instid1(VALU_DEP_3)
	v_add_f64 v[25:26], v[45:46], -v[25:26]
	v_add_f64 v[21:22], v[21:22], v[27:28]
	v_fract_f64_e32 v[27:28], v[47:48]
	s_delay_alu instid0(VALU_DEP_1) | instskip(SKIP_1) | instid1(VALU_DEP_3)
	v_cndmask_b32_e32 v28, 0, v28, vcc_lo
	v_mul_f64 v[55:56], v[49:50], v[14:15]
	v_cndmask_b32_e32 v27, 0, v27, vcc_lo
	s_delay_alu instid0(VALU_DEP_1) | instskip(NEXT) | instid1(VALU_DEP_3)
	v_ldexp_f64 v[27:28], v[27:28], 2
	v_add_f64 v[51:52], v[55:56], v[23:24]
	v_fma_f64 v[14:15], v[49:50], v[14:15], -v[55:56]
	s_delay_alu instid0(VALU_DEP_2) | instskip(NEXT) | instid1(VALU_DEP_1)
	v_add_f64 v[45:46], v[51:52], v[21:22]
	v_add_f64 v[47:48], v[25:26], v[45:46]
	v_add_f64 v[57:58], v[45:46], -v[51:52]
	s_delay_alu instid0(VALU_DEP_2) | instskip(NEXT) | instid1(VALU_DEP_2)
	v_add_f64 v[53:54], v[47:48], v[27:28]
	v_add_f64 v[63:64], v[45:46], -v[57:58]
	v_add_f64 v[21:22], v[21:22], -v[57:58]
	;; [unrolled: 1-line block ×3, first 2 shown]
	s_delay_alu instid0(VALU_DEP_4) | instskip(SKIP_1) | instid1(VALU_DEP_3)
	v_cmp_gt_f64_e32 vcc_lo, 0, v[53:54]
	v_add_f64 v[53:54], v[51:52], -v[55:56]
	v_add_f64 v[25:26], v[45:46], -v[25:26]
	v_cndmask_b32_e64 v19, 0, 0x40100000, vcc_lo
	s_delay_alu instid0(VALU_DEP_3) | instskip(SKIP_2) | instid1(VALU_DEP_4)
	v_add_f64 v[61:62], v[51:52], -v[53:54]
	v_add_f64 v[23:24], v[23:24], -v[53:54]
	;; [unrolled: 1-line block ×3, first 2 shown]
	v_add_f64 v[27:28], v[27:28], v[18:19]
	s_delay_alu instid0(VALU_DEP_4) | instskip(NEXT) | instid1(VALU_DEP_3)
	v_add_f64 v[53:54], v[55:56], -v[61:62]
	v_add_f64 v[21:22], v[21:22], v[51:52]
	s_delay_alu instid0(VALU_DEP_3) | instskip(NEXT) | instid1(VALU_DEP_3)
	v_add_f64 v[59:60], v[47:48], v[27:28]
	v_add_f64 v[23:24], v[23:24], v[53:54]
	s_delay_alu instid0(VALU_DEP_2) | instskip(NEXT) | instid1(VALU_DEP_2)
	v_cvt_i32_f64_e32 v19, v[59:60]
	v_add_f64 v[21:22], v[23:24], v[21:22]
	s_delay_alu instid0(VALU_DEP_2) | instskip(NEXT) | instid1(VALU_DEP_2)
	v_cvt_f64_i32_e32 v[57:58], v19
	v_add_f64 v[14:15], v[14:15], v[21:22]
	s_delay_alu instid0(VALU_DEP_2) | instskip(NEXT) | instid1(VALU_DEP_2)
	v_add_f64 v[27:28], v[27:28], -v[57:58]
	v_add_f64 v[14:15], v[25:26], v[14:15]
	s_delay_alu instid0(VALU_DEP_2) | instskip(NEXT) | instid1(VALU_DEP_1)
	v_add_f64 v[23:24], v[47:48], v[27:28]
	v_add_f64 v[21:22], v[23:24], -v[27:28]
	v_cmp_le_f64_e32 vcc_lo, 0.5, v[23:24]
	s_delay_alu instid0(VALU_DEP_2) | instskip(SKIP_2) | instid1(VALU_DEP_3)
	v_add_f64 v[21:22], v[47:48], -v[21:22]
	v_add_co_ci_u32_e64 v27, s4, 0, v19, vcc_lo
	v_cndmask_b32_e64 v19, 0, 0x3ff00000, vcc_lo
	v_add_f64 v[14:15], v[14:15], v[21:22]
	s_delay_alu instid0(VALU_DEP_2) | instskip(NEXT) | instid1(VALU_DEP_1)
	v_add_f64 v[21:22], v[23:24], -v[18:19]
	v_add_f64 v[23:24], v[21:22], v[14:15]
	s_delay_alu instid0(VALU_DEP_1) | instskip(SKIP_1) | instid1(VALU_DEP_2)
	v_mul_f64 v[25:26], v[23:24], s[20:21]
	v_add_f64 v[21:22], v[23:24], -v[21:22]
	v_fma_f64 v[45:46], v[23:24], s[20:21], -v[25:26]
	s_delay_alu instid0(VALU_DEP_2) | instskip(NEXT) | instid1(VALU_DEP_2)
	v_add_f64 v[14:15], v[14:15], -v[21:22]
	v_fma_f64 v[21:22], v[23:24], s[26:27], v[45:46]
	s_delay_alu instid0(VALU_DEP_1) | instskip(NEXT) | instid1(VALU_DEP_1)
	v_fma_f64 v[21:22], v[14:15], s[20:21], v[21:22]
	v_add_f64 v[14:15], v[25:26], v[21:22]
	s_delay_alu instid0(VALU_DEP_1) | instskip(NEXT) | instid1(VALU_DEP_1)
	v_add_f64 v[23:24], v[14:15], -v[25:26]
	v_add_f64 v[21:22], v[21:22], -v[23:24]
	s_and_not1_saveexec_b32 s4, s7
	s_cbranch_execz .LBB248_313
	s_branch .LBB248_312
.LBB248_311:                            ;   in Loop: Header=BB248_217 Depth=1
	s_and_not1_saveexec_b32 s4, s7
	s_cbranch_execz .LBB248_313
.LBB248_312:                            ;   in Loop: Header=BB248_217 Depth=1
	v_mul_f64 v[14:15], |v[16:17]|, s[28:29]
	s_mov_b32 s24, s30
	s_delay_alu instid0(VALU_DEP_1) | instskip(NEXT) | instid1(VALU_DEP_1)
	v_rndne_f64_e32 v[23:24], v[14:15]
	v_fma_f64 v[14:15], v[23:24], s[22:23], |v[16:17]|
	v_mul_f64 v[21:22], v[23:24], s[30:31]
	s_delay_alu instid0(VALU_DEP_2) | instskip(NEXT) | instid1(VALU_DEP_2)
	v_fma_f64 v[27:28], v[23:24], s[30:31], v[14:15]
	v_add_f64 v[25:26], v[14:15], v[21:22]
	s_delay_alu instid0(VALU_DEP_1) | instskip(NEXT) | instid1(VALU_DEP_3)
	v_add_f64 v[14:15], v[14:15], -v[25:26]
	v_add_f64 v[25:26], v[25:26], -v[27:28]
	s_delay_alu instid0(VALU_DEP_2) | instskip(SKIP_1) | instid1(VALU_DEP_2)
	v_add_f64 v[14:15], v[14:15], v[21:22]
	v_fma_f64 v[21:22], v[23:24], s[24:25], v[21:22]
	v_add_f64 v[14:15], v[25:26], v[14:15]
	s_delay_alu instid0(VALU_DEP_1) | instskip(NEXT) | instid1(VALU_DEP_1)
	v_add_f64 v[14:15], v[14:15], -v[21:22]
	v_fma_f64 v[21:22], v[23:24], s[34:35], v[14:15]
	s_delay_alu instid0(VALU_DEP_1) | instskip(NEXT) | instid1(VALU_DEP_1)
	v_add_f64 v[14:15], v[27:28], v[21:22]
	v_add_f64 v[25:26], v[14:15], -v[27:28]
	v_cvt_i32_f64_e32 v27, v[23:24]
	s_delay_alu instid0(VALU_DEP_2)
	v_add_f64 v[21:22], v[21:22], -v[25:26]
.LBB248_313:                            ;   in Loop: Header=BB248_217 Depth=1
	s_or_b32 exec_lo, exec_lo, s4
                                        ; implicit-def: $vgpr28
                                        ; implicit-def: $vgpr23_vgpr24
                                        ; implicit-def: $vgpr25_vgpr26
	s_and_saveexec_b32 s4, s5
	s_delay_alu instid0(SALU_CYCLE_1)
	s_xor_b32 s5, exec_lo, s4
	s_cbranch_execz .LBB248_315
; %bb.314:                              ;   in Loop: Header=BB248_217 Depth=1
	v_ldexp_f64 v[23:24], |v[16:17]|, 0xffffff80
	v_cmp_le_f64_e64 vcc_lo, 0x7b000000, |v[16:17]|
	v_trig_preop_f64 v[25:26], |v[16:17]|, 0
	v_and_b32_e32 v19, 0x7fffffff, v17
	v_trig_preop_f64 v[45:46], |v[16:17]|, 1
	v_trig_preop_f64 v[55:56], |v[16:17]|, 2
	s_mov_b32 s20, s22
	s_mov_b32 s27, s25
	v_dual_cndmask_b32 v24, v19, v24 :: v_dual_cndmask_b32 v23, v16, v23
	s_delay_alu instid0(VALU_DEP_1) | instskip(NEXT) | instid1(VALU_DEP_4)
	v_mul_f64 v[47:48], v[25:26], v[23:24]
	v_mul_f64 v[49:50], v[45:46], v[23:24]
	s_delay_alu instid0(VALU_DEP_4) | instskip(NEXT) | instid1(VALU_DEP_3)
	v_mul_f64 v[61:62], v[55:56], v[23:24]
	v_fma_f64 v[25:26], v[25:26], v[23:24], -v[47:48]
	s_delay_alu instid0(VALU_DEP_3) | instskip(NEXT) | instid1(VALU_DEP_3)
	v_fma_f64 v[45:46], v[45:46], v[23:24], -v[49:50]
	v_fma_f64 v[23:24], v[55:56], v[23:24], -v[61:62]
	s_delay_alu instid0(VALU_DEP_3) | instskip(NEXT) | instid1(VALU_DEP_1)
	v_add_f64 v[51:52], v[49:50], v[25:26]
	v_add_f64 v[53:54], v[51:52], -v[49:50]
	v_add_f64 v[59:60], v[47:48], v[51:52]
	s_delay_alu instid0(VALU_DEP_2) | instskip(SKIP_1) | instid1(VALU_DEP_3)
	v_add_f64 v[57:58], v[51:52], -v[53:54]
	v_add_f64 v[25:26], v[25:26], -v[53:54]
	v_ldexp_f64 v[53:54], v[59:60], -2
	v_add_f64 v[47:48], v[59:60], -v[47:48]
	s_delay_alu instid0(VALU_DEP_4) | instskip(SKIP_1) | instid1(VALU_DEP_4)
	v_add_f64 v[49:50], v[49:50], -v[57:58]
	v_add_f64 v[57:58], v[61:62], v[45:46]
	v_cmp_neq_f64_e64 vcc_lo, 0x7ff00000, |v[53:54]|
	s_delay_alu instid0(VALU_DEP_4) | instskip(NEXT) | instid1(VALU_DEP_4)
	v_add_f64 v[47:48], v[51:52], -v[47:48]
	v_add_f64 v[25:26], v[25:26], v[49:50]
	v_fract_f64_e32 v[49:50], v[53:54]
	s_delay_alu instid0(VALU_DEP_2) | instskip(NEXT) | instid1(VALU_DEP_2)
	v_add_f64 v[51:52], v[57:58], v[25:26]
	v_dual_cndmask_b32 v50, 0, v50 :: v_dual_cndmask_b32 v49, 0, v49
	s_delay_alu instid0(VALU_DEP_1) | instskip(NEXT) | instid1(VALU_DEP_3)
	v_ldexp_f64 v[49:50], v[49:50], 2
	v_add_f64 v[53:54], v[47:48], v[51:52]
	v_add_f64 v[63:64], v[51:52], -v[57:58]
	s_delay_alu instid0(VALU_DEP_2) | instskip(NEXT) | instid1(VALU_DEP_2)
	v_add_f64 v[59:60], v[53:54], v[49:50]
	v_add_f64 v[69:70], v[51:52], -v[63:64]
	v_add_f64 v[25:26], v[25:26], -v[63:64]
	;; [unrolled: 1-line block ×3, first 2 shown]
	s_delay_alu instid0(VALU_DEP_4) | instskip(SKIP_1) | instid1(VALU_DEP_3)
	v_cmp_gt_f64_e32 vcc_lo, 0, v[59:60]
	v_add_f64 v[59:60], v[57:58], -v[61:62]
	v_add_f64 v[47:48], v[51:52], -v[47:48]
	v_cndmask_b32_e64 v19, 0, 0x40100000, vcc_lo
	s_delay_alu instid0(VALU_DEP_3) | instskip(SKIP_2) | instid1(VALU_DEP_4)
	v_add_f64 v[67:68], v[57:58], -v[59:60]
	v_add_f64 v[45:46], v[45:46], -v[59:60]
	;; [unrolled: 1-line block ×3, first 2 shown]
	v_add_f64 v[49:50], v[49:50], v[18:19]
	s_delay_alu instid0(VALU_DEP_4) | instskip(NEXT) | instid1(VALU_DEP_3)
	v_add_f64 v[59:60], v[61:62], -v[67:68]
	v_add_f64 v[25:26], v[25:26], v[57:58]
	s_delay_alu instid0(VALU_DEP_3) | instskip(NEXT) | instid1(VALU_DEP_3)
	v_add_f64 v[65:66], v[53:54], v[49:50]
	v_add_f64 v[45:46], v[45:46], v[59:60]
	s_delay_alu instid0(VALU_DEP_2) | instskip(NEXT) | instid1(VALU_DEP_2)
	v_cvt_i32_f64_e32 v19, v[65:66]
	v_add_f64 v[25:26], v[45:46], v[25:26]
	s_delay_alu instid0(VALU_DEP_2) | instskip(NEXT) | instid1(VALU_DEP_2)
	v_cvt_f64_i32_e32 v[63:64], v19
	v_add_f64 v[23:24], v[23:24], v[25:26]
	s_delay_alu instid0(VALU_DEP_2) | instskip(NEXT) | instid1(VALU_DEP_2)
	v_add_f64 v[49:50], v[49:50], -v[63:64]
	v_add_f64 v[23:24], v[47:48], v[23:24]
	s_delay_alu instid0(VALU_DEP_2) | instskip(NEXT) | instid1(VALU_DEP_1)
	v_add_f64 v[45:46], v[53:54], v[49:50]
	v_add_f64 v[25:26], v[45:46], -v[49:50]
	v_cmp_le_f64_e32 vcc_lo, 0.5, v[45:46]
	s_delay_alu instid0(VALU_DEP_2) | instskip(SKIP_2) | instid1(VALU_DEP_3)
	v_add_f64 v[25:26], v[53:54], -v[25:26]
	v_add_co_ci_u32_e64 v28, s4, 0, v19, vcc_lo
	v_cndmask_b32_e64 v19, 0, 0x3ff00000, vcc_lo
	v_add_f64 v[23:24], v[23:24], v[25:26]
	s_delay_alu instid0(VALU_DEP_2) | instskip(NEXT) | instid1(VALU_DEP_1)
	v_add_f64 v[25:26], v[45:46], -v[18:19]
	v_add_f64 v[45:46], v[25:26], v[23:24]
	s_delay_alu instid0(VALU_DEP_1) | instskip(SKIP_1) | instid1(VALU_DEP_2)
	v_mul_f64 v[47:48], v[45:46], s[20:21]
	v_add_f64 v[25:26], v[45:46], -v[25:26]
	v_fma_f64 v[49:50], v[45:46], s[20:21], -v[47:48]
	s_delay_alu instid0(VALU_DEP_2) | instskip(NEXT) | instid1(VALU_DEP_2)
	v_add_f64 v[23:24], v[23:24], -v[25:26]
	v_fma_f64 v[25:26], v[45:46], s[26:27], v[49:50]
	s_delay_alu instid0(VALU_DEP_1) | instskip(NEXT) | instid1(VALU_DEP_1)
	v_fma_f64 v[25:26], v[23:24], s[20:21], v[25:26]
	v_add_f64 v[23:24], v[47:48], v[25:26]
	s_delay_alu instid0(VALU_DEP_1) | instskip(NEXT) | instid1(VALU_DEP_1)
	v_add_f64 v[45:46], v[23:24], -v[47:48]
	v_add_f64 v[25:26], v[25:26], -v[45:46]
	s_and_not1_saveexec_b32 s4, s5
	s_cbranch_execnz .LBB248_316
	s_branch .LBB248_317
.LBB248_315:                            ;   in Loop: Header=BB248_217 Depth=1
	s_and_not1_saveexec_b32 s4, s5
	s_cbranch_execz .LBB248_317
.LBB248_316:                            ;   in Loop: Header=BB248_217 Depth=1
	v_mul_f64 v[23:24], |v[16:17]|, s[28:29]
	s_mov_b32 s24, s30
	s_delay_alu instid0(VALU_DEP_1) | instskip(NEXT) | instid1(VALU_DEP_1)
	v_rndne_f64_e32 v[45:46], v[23:24]
	v_fma_f64 v[23:24], v[45:46], s[22:23], |v[16:17]|
	v_mul_f64 v[25:26], v[45:46], s[30:31]
	v_cvt_i32_f64_e32 v28, v[45:46]
	s_delay_alu instid0(VALU_DEP_3) | instskip(NEXT) | instid1(VALU_DEP_3)
	v_fma_f64 v[49:50], v[45:46], s[30:31], v[23:24]
	v_add_f64 v[47:48], v[23:24], v[25:26]
	s_delay_alu instid0(VALU_DEP_1) | instskip(NEXT) | instid1(VALU_DEP_3)
	v_add_f64 v[23:24], v[23:24], -v[47:48]
	v_add_f64 v[47:48], v[47:48], -v[49:50]
	s_delay_alu instid0(VALU_DEP_2) | instskip(SKIP_1) | instid1(VALU_DEP_2)
	v_add_f64 v[23:24], v[23:24], v[25:26]
	v_fma_f64 v[25:26], v[45:46], s[24:25], v[25:26]
	v_add_f64 v[23:24], v[47:48], v[23:24]
	s_delay_alu instid0(VALU_DEP_1) | instskip(NEXT) | instid1(VALU_DEP_1)
	v_add_f64 v[23:24], v[23:24], -v[25:26]
	v_fma_f64 v[25:26], v[45:46], s[34:35], v[23:24]
	s_delay_alu instid0(VALU_DEP_1) | instskip(NEXT) | instid1(VALU_DEP_1)
	v_add_f64 v[23:24], v[49:50], v[25:26]
	v_add_f64 v[47:48], v[23:24], -v[49:50]
	s_delay_alu instid0(VALU_DEP_1)
	v_add_f64 v[25:26], v[25:26], -v[47:48]
.LBB248_317:                            ;   in Loop: Header=BB248_217 Depth=1
	s_or_b32 exec_lo, exec_lo, s4
	v_mul_f64 v[45:46], v[14:15], v[14:15]
	v_mul_f64 v[47:48], v[23:24], v[23:24]
	s_delay_alu instid0(VALU_DEP_3) | instskip(NEXT) | instid1(VALU_DEP_4)
	v_mul_f64 v[65:66], v[21:22], 0.5
	v_mul_f64 v[71:72], v[25:26], 0.5
	s_mov_b32 s88, s60
	v_cmp_class_f64_e64 s4, v[16:17], 0x1f8
	v_and_b32_e32 v19, 1, v27
	v_lshlrev_b32_e32 v16, 30, v28
	v_and_b32_e32 v17, 1, v28
	s_delay_alu instid0(VALU_DEP_3) | instskip(SKIP_1) | instid1(VALU_DEP_4)
	v_cmp_eq_u32_e32 vcc_lo, 0, v19
	v_lshlrev_b32_e32 v19, 30, v27
	v_xor_b32_e32 v16, v16, v20
	s_delay_alu instid0(VALU_DEP_4) | instskip(NEXT) | instid1(VALU_DEP_3)
	v_cmp_eq_u32_e64 s5, 0, v17
	v_and_b32_e32 v17, 0x80000000, v19
	s_delay_alu instid0(VALU_DEP_3)
	v_and_b32_e32 v16, 0x80000000, v16
	v_fma_f64 v[49:50], v[45:46], s[78:79], s[76:77]
	v_fma_f64 v[51:52], v[47:48], s[78:79], s[76:77]
	;; [unrolled: 1-line block ×3, first 2 shown]
	v_mul_f64 v[55:56], v[45:46], 0.5
	v_fma_f64 v[57:58], v[47:48], s[68:69], s[66:67]
	v_mul_f64 v[59:60], v[47:48], 0.5
	v_mul_f64 v[67:68], v[14:15], -v[45:46]
	v_mul_f64 v[73:74], v[23:24], -v[47:48]
	v_fma_f64 v[49:50], v[45:46], v[49:50], s[80:81]
	v_fma_f64 v[51:52], v[47:48], v[51:52], s[80:81]
	;; [unrolled: 1-line block ×3, first 2 shown]
	v_add_f64 v[61:62], -v[55:56], 1.0
	v_fma_f64 v[57:58], v[47:48], v[57:58], s[70:71]
	v_add_f64 v[63:64], -v[59:60], 1.0
	v_fma_f64 v[49:50], v[45:46], v[49:50], s[82:83]
	v_fma_f64 v[51:52], v[47:48], v[51:52], s[82:83]
	;; [unrolled: 1-line block ×3, first 2 shown]
	v_add_f64 v[69:70], -v[61:62], 1.0
	v_fma_f64 v[57:58], v[47:48], v[57:58], s[72:73]
	v_add_f64 v[75:76], -v[63:64], 1.0
	v_fma_f64 v[49:50], v[45:46], v[49:50], s[56:57]
	v_fma_f64 v[51:52], v[47:48], v[51:52], s[56:57]
	;; [unrolled: 1-line block ×3, first 2 shown]
	v_add_f64 v[55:56], v[69:70], -v[55:56]
	v_fma_f64 v[57:58], v[47:48], v[57:58], s[74:75]
	v_add_f64 v[59:60], v[75:76], -v[59:60]
	v_fma_f64 v[49:50], v[67:68], v[49:50], v[65:66]
	v_fma_f64 v[51:52], v[73:74], v[51:52], v[71:72]
	v_mul_f64 v[65:66], v[45:46], v[45:46]
	v_fma_f64 v[53:54], v[45:46], v[53:54], s[60:61]
	v_fma_f64 v[55:56], v[14:15], -v[21:22], v[55:56]
	v_fma_f64 v[21:22], v[45:46], v[49:50], -v[21:22]
	v_mul_f64 v[45:46], v[47:48], v[47:48]
	v_fma_f64 v[49:50], v[47:48], v[57:58], s[60:61]
	v_fma_f64 v[57:58], v[23:24], -v[25:26], v[59:60]
	v_fma_f64 v[25:26], v[47:48], v[51:52], -v[25:26]
	v_fma_f64 v[47:48], v[65:66], v[53:54], v[55:56]
	v_fma_f64 v[21:22], v[67:68], s[88:89], v[21:22]
	s_delay_alu instid0(VALU_DEP_4) | instskip(NEXT) | instid1(VALU_DEP_4)
	v_fma_f64 v[45:46], v[45:46], v[49:50], v[57:58]
	v_fma_f64 v[25:26], v[73:74], s[88:89], v[25:26]
	s_delay_alu instid0(VALU_DEP_4) | instskip(NEXT) | instid1(VALU_DEP_4)
	v_add_f64 v[47:48], v[61:62], v[47:48]
	v_add_f64 v[14:15], v[14:15], -v[21:22]
	s_delay_alu instid0(VALU_DEP_4) | instskip(NEXT) | instid1(VALU_DEP_4)
	v_add_f64 v[21:22], v[63:64], v[45:46]
	v_add_f64 v[23:24], v[23:24], -v[25:26]
	s_delay_alu instid0(VALU_DEP_3) | instskip(NEXT) | instid1(VALU_DEP_4)
	v_cndmask_b32_e32 v14, v14, v47, vcc_lo
	v_xor_b32_e32 v15, 0x80000000, v15
	s_delay_alu instid0(VALU_DEP_3) | instskip(NEXT) | instid1(VALU_DEP_4)
	v_cndmask_b32_e64 v20, v22, v24, s5
	v_cndmask_b32_e64 v19, v21, v23, s5
	s_delay_alu instid0(VALU_DEP_3) | instskip(SKIP_1) | instid1(VALU_DEP_4)
	v_cndmask_b32_e32 v15, v15, v48, vcc_lo
	v_cndmask_b32_e64 v21, 0, v14, s4
	v_xor_b32_e32 v16, v20, v16
	s_delay_alu instid0(VALU_DEP_4) | instskip(NEXT) | instid1(VALU_DEP_4)
	v_cndmask_b32_e64 v19, 0, v19, s4
	v_xor_b32_e32 v15, v15, v17
	s_delay_alu instid0(VALU_DEP_3) | instskip(NEXT) | instid1(VALU_DEP_2)
	v_cndmask_b32_e64 v20, 0x7ff80000, v16, s4
	v_cndmask_b32_e64 v22, 0x7ff80000, v15, s4
.LBB248_318:                            ;   in Loop: Header=BB248_217 Depth=1
	s_or_b32 exec_lo, exec_lo, s6
                                        ; implicit-def: $vgpr14_vgpr15
.LBB248_319:                            ;   in Loop: Header=BB248_217 Depth=1
	s_and_not1_saveexec_b32 s5, s17
	s_cbranch_execz .LBB248_321
; %bb.320:                              ;   in Loop: Header=BB248_217 Depth=1
	s_mov_b32 s36, s38
	s_mov_b32 s59, s57
	v_mul_f64 v[16:17], v[14:15], s[36:37]
	s_mov_b32 s87, s61
	v_cmp_ngt_f64_e32 vcc_lo, 0xc0900000, v[14:15]
	v_cmp_nlt_f64_e64 s4, 0x4090cc00, v[14:15]
	s_delay_alu instid0(VALU_DEP_3) | instskip(NEXT) | instid1(VALU_DEP_1)
	v_rndne_f64_e32 v[16:17], v[16:17]
	v_fma_f64 v[21:22], v[16:17], s[40:41], -v[14:15]
	v_cvt_i32_f64_e32 v25, v[16:17]
	s_delay_alu instid0(VALU_DEP_2) | instskip(NEXT) | instid1(VALU_DEP_1)
	v_fma_f64 v[21:22], v[16:17], s[42:43], v[21:22]
	v_fma_f64 v[23:24], v[21:22], s[46:47], s[44:45]
	s_delay_alu instid0(VALU_DEP_1) | instskip(NEXT) | instid1(VALU_DEP_1)
	v_fma_f64 v[23:24], v[21:22], v[23:24], s[48:49]
	v_fma_f64 v[23:24], v[21:22], v[23:24], s[50:51]
	s_delay_alu instid0(VALU_DEP_1) | instskip(NEXT) | instid1(VALU_DEP_1)
	;; [unrolled: 3-line block ×5, first 2 shown]
	v_fma_f64 v[23:24], v[21:22], v[23:24], 1.0
	v_fma_f64 v[16:17], v[21:22], v[23:24], 1.0
	s_delay_alu instid0(VALU_DEP_1) | instskip(NEXT) | instid1(VALU_DEP_1)
	v_ldexp_f64 v[16:17], v[16:17], v25
	v_cndmask_b32_e32 v17, 0x7ff00000, v17, vcc_lo
	s_and_b32 vcc_lo, s4, vcc_lo
	s_delay_alu instid0(VALU_DEP_2) | instskip(NEXT) | instid1(VALU_DEP_2)
	v_cndmask_b32_e32 v21, 0, v16, vcc_lo
	v_cndmask_b32_e64 v22, 0, v17, s4
.LBB248_321:                            ;   in Loop: Header=BB248_217 Depth=1
	s_or_b32 exec_lo, exec_lo, s5
	s_delay_alu instid0(VALU_DEP_1) | instskip(NEXT) | instid1(VALU_DEP_2)
	v_add_f64 v[21:22], s[8:9], v[21:22]
	v_add_f64 v[19:20], s[10:11], v[19:20]
                                        ; implicit-def: $vgpr16_vgpr17
	s_delay_alu instid0(VALU_DEP_2) | instskip(NEXT) | instid1(VALU_DEP_2)
	v_cmp_gt_f64_e32 vcc_lo, 0, v[21:22]
	v_cmp_gt_f64_e64 s4, 0, v[19:20]
	v_xor_b32_e32 v14, 0x80000000, v22
	v_xor_b32_e32 v15, 0x80000000, v20
	s_delay_alu instid0(VALU_DEP_2) | instskip(NEXT) | instid1(VALU_DEP_2)
	v_dual_cndmask_b32 v24, v22, v14 :: v_dual_cndmask_b32 v23, v21, v21
	v_cndmask_b32_e64 v26, v20, v15, s4
	v_cndmask_b32_e64 v25, v19, v19, s4
	s_mov_b32 s4, exec_lo
	s_delay_alu instid0(VALU_DEP_1)
	v_cmpx_ge_f64_e32 v[23:24], v[25:26]
	s_xor_b32 s5, exec_lo, s4
	s_cbranch_execz .LBB248_327
; %bb.322:                              ;   in Loop: Header=BB248_217 Depth=1
	v_cmp_neq_f64_e32 vcc_lo, 0, v[21:22]
	v_cmp_neq_f64_e64 s4, 0, v[19:20]
                                        ; implicit-def: $vgpr16_vgpr17
	s_delay_alu instid0(VALU_DEP_1) | instskip(NEXT) | instid1(SALU_CYCLE_1)
	s_or_b32 s4, vcc_lo, s4
	s_and_saveexec_b32 s6, s4
	s_delay_alu instid0(SALU_CYCLE_1)
	s_xor_b32 s4, exec_lo, s6
	s_cbranch_execz .LBB248_324
; %bb.323:                              ;   in Loop: Header=BB248_217 Depth=1
	v_div_scale_f64 v[14:15], null, v[21:22], v[21:22], v[19:20]
	v_div_scale_f64 v[25:26], vcc_lo, v[19:20], v[21:22], v[19:20]
	s_delay_alu instid0(VALU_DEP_2) | instskip(SKIP_2) | instid1(VALU_DEP_1)
	v_rcp_f64_e32 v[16:17], v[14:15]
	s_waitcnt_depctr 0xfff
	v_fma_f64 v[23:24], -v[14:15], v[16:17], 1.0
	v_fma_f64 v[16:17], v[16:17], v[23:24], v[16:17]
	s_delay_alu instid0(VALU_DEP_1) | instskip(NEXT) | instid1(VALU_DEP_1)
	v_fma_f64 v[23:24], -v[14:15], v[16:17], 1.0
	v_fma_f64 v[16:17], v[16:17], v[23:24], v[16:17]
	s_delay_alu instid0(VALU_DEP_1) | instskip(NEXT) | instid1(VALU_DEP_1)
	v_mul_f64 v[23:24], v[25:26], v[16:17]
	v_fma_f64 v[14:15], -v[14:15], v[23:24], v[25:26]
	s_delay_alu instid0(VALU_DEP_1) | instskip(NEXT) | instid1(VALU_DEP_1)
	v_div_fmas_f64 v[14:15], v[14:15], v[16:17], v[23:24]
	v_div_fixup_f64 v[14:15], v[14:15], v[21:22], v[19:20]
	s_delay_alu instid0(VALU_DEP_1) | instskip(NEXT) | instid1(VALU_DEP_1)
	v_fma_f64 v[16:17], v[19:20], v[14:15], v[21:22]
	v_div_scale_f64 v[19:20], null, v[16:17], v[16:17], 1.0
	v_div_scale_f64 v[25:26], vcc_lo, 1.0, v[16:17], 1.0
	s_delay_alu instid0(VALU_DEP_2) | instskip(SKIP_2) | instid1(VALU_DEP_1)
	v_rcp_f64_e32 v[21:22], v[19:20]
	s_waitcnt_depctr 0xfff
	v_fma_f64 v[23:24], -v[19:20], v[21:22], 1.0
	v_fma_f64 v[21:22], v[21:22], v[23:24], v[21:22]
	s_delay_alu instid0(VALU_DEP_1) | instskip(NEXT) | instid1(VALU_DEP_1)
	v_fma_f64 v[23:24], -v[19:20], v[21:22], 1.0
	v_fma_f64 v[21:22], v[21:22], v[23:24], v[21:22]
	s_delay_alu instid0(VALU_DEP_1) | instskip(NEXT) | instid1(VALU_DEP_1)
	v_mul_f64 v[23:24], v[25:26], v[21:22]
	v_fma_f64 v[19:20], -v[19:20], v[23:24], v[25:26]
                                        ; implicit-def: $vgpr25_vgpr26
	s_delay_alu instid0(VALU_DEP_1) | instskip(SKIP_1) | instid1(VALU_DEP_2)
	v_div_fmas_f64 v[19:20], v[19:20], v[21:22], v[23:24]
	v_fma_f64 v[21:22], s[10:11], v[14:15], s[8:9]
                                        ; implicit-def: $vgpr23_vgpr24
	v_div_fixup_f64 v[16:17], v[19:20], v[16:17], 1.0
	v_fma_f64 v[19:20], -s[8:9], v[14:15], s[10:11]
	s_delay_alu instid0(VALU_DEP_2) | instskip(NEXT) | instid1(VALU_DEP_2)
	v_mul_f64 v[14:15], v[21:22], v[16:17]
	v_mul_f64 v[16:17], v[19:20], v[16:17]
.LBB248_324:                            ;   in Loop: Header=BB248_217 Depth=1
	s_and_not1_saveexec_b32 s6, s4
	s_cbranch_execz .LBB248_326
; %bb.325:                              ;   in Loop: Header=BB248_217 Depth=1
	v_div_scale_f64 v[14:15], null, v[23:24], v[23:24], s[8:9]
	v_div_scale_f64 v[16:17], null, v[25:26], v[25:26], s[10:11]
	v_div_scale_f64 v[47:48], vcc_lo, s[8:9], v[23:24], s[8:9]
	s_delay_alu instid0(VALU_DEP_3) | instskip(NEXT) | instid1(VALU_DEP_2)
	v_rcp_f64_e32 v[19:20], v[14:15]
	v_rcp_f64_e32 v[21:22], v[16:17]
	s_waitcnt_depctr 0xfff
	v_fma_f64 v[27:28], -v[14:15], v[19:20], 1.0
	v_fma_f64 v[45:46], -v[16:17], v[21:22], 1.0
	s_delay_alu instid0(VALU_DEP_2) | instskip(NEXT) | instid1(VALU_DEP_2)
	v_fma_f64 v[19:20], v[19:20], v[27:28], v[19:20]
	v_fma_f64 v[21:22], v[21:22], v[45:46], v[21:22]
	s_delay_alu instid0(VALU_DEP_2) | instskip(NEXT) | instid1(VALU_DEP_2)
	v_fma_f64 v[27:28], -v[14:15], v[19:20], 1.0
	v_fma_f64 v[45:46], -v[16:17], v[21:22], 1.0
	s_delay_alu instid0(VALU_DEP_2) | instskip(SKIP_1) | instid1(VALU_DEP_3)
	v_fma_f64 v[19:20], v[19:20], v[27:28], v[19:20]
	v_div_scale_f64 v[27:28], s4, s[10:11], v[25:26], s[10:11]
	v_fma_f64 v[21:22], v[21:22], v[45:46], v[21:22]
	s_delay_alu instid0(VALU_DEP_3) | instskip(NEXT) | instid1(VALU_DEP_2)
	v_mul_f64 v[45:46], v[47:48], v[19:20]
	v_mul_f64 v[49:50], v[27:28], v[21:22]
	s_delay_alu instid0(VALU_DEP_2) | instskip(NEXT) | instid1(VALU_DEP_2)
	v_fma_f64 v[14:15], -v[14:15], v[45:46], v[47:48]
	v_fma_f64 v[16:17], -v[16:17], v[49:50], v[27:28]
	s_delay_alu instid0(VALU_DEP_2) | instskip(SKIP_1) | instid1(VALU_DEP_2)
	v_div_fmas_f64 v[14:15], v[14:15], v[19:20], v[45:46]
	s_mov_b32 vcc_lo, s4
	v_div_fmas_f64 v[16:17], v[16:17], v[21:22], v[49:50]
	s_delay_alu instid0(VALU_DEP_2) | instskip(NEXT) | instid1(VALU_DEP_2)
	v_div_fixup_f64 v[14:15], v[14:15], v[23:24], s[8:9]
	v_div_fixup_f64 v[16:17], v[16:17], v[25:26], s[10:11]
.LBB248_326:                            ;   in Loop: Header=BB248_217 Depth=1
	s_or_b32 exec_lo, exec_lo, s6
                                        ; implicit-def: $vgpr19_vgpr20
                                        ; implicit-def: $vgpr21_vgpr22
.LBB248_327:                            ;   in Loop: Header=BB248_217 Depth=1
	s_and_not1_saveexec_b32 s4, s5
	s_cbranch_execz .LBB248_329
; %bb.328:                              ;   in Loop: Header=BB248_217 Depth=1
	v_div_scale_f64 v[14:15], null, v[19:20], v[19:20], v[21:22]
	v_div_scale_f64 v[25:26], vcc_lo, v[21:22], v[19:20], v[21:22]
	s_delay_alu instid0(VALU_DEP_2) | instskip(SKIP_2) | instid1(VALU_DEP_1)
	v_rcp_f64_e32 v[16:17], v[14:15]
	s_waitcnt_depctr 0xfff
	v_fma_f64 v[23:24], -v[14:15], v[16:17], 1.0
	v_fma_f64 v[16:17], v[16:17], v[23:24], v[16:17]
	s_delay_alu instid0(VALU_DEP_1) | instskip(NEXT) | instid1(VALU_DEP_1)
	v_fma_f64 v[23:24], -v[14:15], v[16:17], 1.0
	v_fma_f64 v[16:17], v[16:17], v[23:24], v[16:17]
	s_delay_alu instid0(VALU_DEP_1) | instskip(NEXT) | instid1(VALU_DEP_1)
	v_mul_f64 v[23:24], v[25:26], v[16:17]
	v_fma_f64 v[14:15], -v[14:15], v[23:24], v[25:26]
	s_delay_alu instid0(VALU_DEP_1) | instskip(NEXT) | instid1(VALU_DEP_1)
	v_div_fmas_f64 v[14:15], v[14:15], v[16:17], v[23:24]
	v_div_fixup_f64 v[14:15], v[14:15], v[19:20], v[21:22]
	s_delay_alu instid0(VALU_DEP_1) | instskip(NEXT) | instid1(VALU_DEP_1)
	v_fma_f64 v[16:17], v[21:22], v[14:15], v[19:20]
	v_div_scale_f64 v[19:20], null, v[16:17], v[16:17], 1.0
	v_div_scale_f64 v[25:26], vcc_lo, 1.0, v[16:17], 1.0
	s_delay_alu instid0(VALU_DEP_2) | instskip(SKIP_2) | instid1(VALU_DEP_1)
	v_rcp_f64_e32 v[21:22], v[19:20]
	s_waitcnt_depctr 0xfff
	v_fma_f64 v[23:24], -v[19:20], v[21:22], 1.0
	v_fma_f64 v[21:22], v[21:22], v[23:24], v[21:22]
	s_delay_alu instid0(VALU_DEP_1) | instskip(NEXT) | instid1(VALU_DEP_1)
	v_fma_f64 v[23:24], -v[19:20], v[21:22], 1.0
	v_fma_f64 v[21:22], v[21:22], v[23:24], v[21:22]
	s_delay_alu instid0(VALU_DEP_1) | instskip(NEXT) | instid1(VALU_DEP_1)
	v_mul_f64 v[23:24], v[25:26], v[21:22]
	v_fma_f64 v[19:20], -v[19:20], v[23:24], v[25:26]
	s_delay_alu instid0(VALU_DEP_1) | instskip(SKIP_1) | instid1(VALU_DEP_2)
	v_div_fmas_f64 v[19:20], v[19:20], v[21:22], v[23:24]
	v_fma_f64 v[21:22], s[8:9], v[14:15], s[10:11]
	v_div_fixup_f64 v[16:17], v[19:20], v[16:17], 1.0
	v_fma_f64 v[19:20], s[10:11], v[14:15], -s[8:9]
	s_delay_alu instid0(VALU_DEP_2) | instskip(NEXT) | instid1(VALU_DEP_2)
	v_mul_f64 v[14:15], v[21:22], v[16:17]
	v_mul_f64 v[16:17], v[19:20], v[16:17]
.LBB248_329:                            ;   in Loop: Header=BB248_217 Depth=1
	s_or_b32 exec_lo, exec_lo, s4
	v_xor_b32_e32 v20, 0x80000000, v13
	s_delay_alu instid0(VALU_DEP_1) | instskip(NEXT) | instid1(VALU_DEP_1)
	v_dual_mov_b32 v19, v12 :: v_dual_and_b32 v26, 0x7fffffff, v20
	v_or_b32_e32 v21, v26, v19
	s_delay_alu instid0(VALU_DEP_1) | instskip(SKIP_1) | instid1(SALU_CYCLE_1)
	v_cmp_ne_u32_e32 vcc_lo, 0, v21
                                        ; implicit-def: $vgpr21_vgpr22
	s_and_saveexec_b32 s4, vcc_lo
	s_xor_b32 s17, exec_lo, s4
	s_cbranch_execz .LBB248_371
; %bb.330:                              ;   in Loop: Header=BB248_217 Depth=1
	v_xor_b32_e32 v24, 0x80000000, v11
	v_mov_b32_e32 v23, v10
                                        ; implicit-def: $vgpr21_vgpr22
	s_mov_b32 s4, exec_lo
	s_delay_alu instid0(VALU_DEP_2) | instskip(NEXT) | instid1(VALU_DEP_1)
	v_and_b32_e32 v25, 0x7fffffff, v24
	v_or_b32_e32 v19, v25, v23
	s_delay_alu instid0(VALU_DEP_1)
	v_cmpx_ne_u32_e32 0, v19
	s_xor_b32 s96, exec_lo, s4
	s_cbranch_execz .LBB248_360
; %bb.331:                              ;   in Loop: Header=BB248_217 Depth=1
                                        ; implicit-def: $vgpr21_vgpr22
	s_mov_b32 s4, exec_lo
	v_cmpx_gt_u32_e32 0x7ff00000, v26
	s_xor_b32 s97, exec_lo, s4
	s_cbranch_execz .LBB248_353
; %bb.332:                              ;   in Loop: Header=BB248_217 Depth=1
	v_add_nc_u32_e32 v19, 0xbf79d1be, v24
                                        ; implicit-def: $vgpr21_vgpr22
	s_mov_b32 s4, exec_lo
	s_delay_alu instid0(VALU_DEP_1)
	v_cmpx_lt_u32_e32 0x108aa2, v19
	s_xor_b32 s98, exec_lo, s4
	s_cbranch_execz .LBB248_342
; %bb.333:                              ;   in Loop: Header=BB248_217 Depth=1
	v_cmp_ngt_f64_e64 s5, 0x41d00000, |v[12:13]|
                                        ; implicit-def: $vgpr45
                                        ; implicit-def: $vgpr21_vgpr22
                                        ; implicit-def: $vgpr23_vgpr24
	s_delay_alu instid0(VALU_DEP_1) | instskip(NEXT) | instid1(SALU_CYCLE_1)
	s_and_saveexec_b32 s4, s5
	s_xor_b32 s6, exec_lo, s4
	s_cbranch_execz .LBB248_335
; %bb.334:                              ;   in Loop: Header=BB248_217 Depth=1
	v_ldexp_f64 v[21:22], |v[12:13]|, 0xffffff80
	v_cmp_le_f64_e64 vcc_lo, 0x7b000000, |v[12:13]|
	v_trig_preop_f64 v[23:24], |v[12:13]|, 0
	v_and_b32_e32 v19, 0x7fffffff, v13
	v_trig_preop_f64 v[25:26], |v[12:13]|, 1
	v_trig_preop_f64 v[51:52], |v[12:13]|, 2
	s_mov_b32 s20, s22
	s_mov_b32 s27, s25
	v_dual_cndmask_b32 v22, v19, v22 :: v_dual_cndmask_b32 v21, v12, v21
	s_delay_alu instid0(VALU_DEP_1) | instskip(NEXT) | instid1(VALU_DEP_4)
	v_mul_f64 v[27:28], v[23:24], v[21:22]
	v_mul_f64 v[45:46], v[25:26], v[21:22]
	s_delay_alu instid0(VALU_DEP_4) | instskip(NEXT) | instid1(VALU_DEP_3)
	v_mul_f64 v[57:58], v[51:52], v[21:22]
	v_fma_f64 v[23:24], v[23:24], v[21:22], -v[27:28]
	s_delay_alu instid0(VALU_DEP_3) | instskip(NEXT) | instid1(VALU_DEP_3)
	v_fma_f64 v[25:26], v[25:26], v[21:22], -v[45:46]
	v_fma_f64 v[21:22], v[51:52], v[21:22], -v[57:58]
	s_delay_alu instid0(VALU_DEP_3) | instskip(NEXT) | instid1(VALU_DEP_1)
	v_add_f64 v[47:48], v[45:46], v[23:24]
	v_add_f64 v[49:50], v[47:48], -v[45:46]
	v_add_f64 v[55:56], v[27:28], v[47:48]
	s_delay_alu instid0(VALU_DEP_2) | instskip(SKIP_1) | instid1(VALU_DEP_3)
	v_add_f64 v[53:54], v[47:48], -v[49:50]
	v_add_f64 v[23:24], v[23:24], -v[49:50]
	v_ldexp_f64 v[49:50], v[55:56], -2
	v_add_f64 v[27:28], v[55:56], -v[27:28]
	s_delay_alu instid0(VALU_DEP_4) | instskip(SKIP_1) | instid1(VALU_DEP_4)
	v_add_f64 v[45:46], v[45:46], -v[53:54]
	v_add_f64 v[53:54], v[57:58], v[25:26]
	v_cmp_neq_f64_e64 vcc_lo, 0x7ff00000, |v[49:50]|
	s_delay_alu instid0(VALU_DEP_4) | instskip(NEXT) | instid1(VALU_DEP_4)
	v_add_f64 v[27:28], v[47:48], -v[27:28]
	v_add_f64 v[23:24], v[23:24], v[45:46]
	v_fract_f64_e32 v[45:46], v[49:50]
	s_delay_alu instid0(VALU_DEP_2) | instskip(NEXT) | instid1(VALU_DEP_2)
	v_add_f64 v[47:48], v[53:54], v[23:24]
	v_dual_cndmask_b32 v46, 0, v46 :: v_dual_cndmask_b32 v45, 0, v45
	s_delay_alu instid0(VALU_DEP_1) | instskip(NEXT) | instid1(VALU_DEP_3)
	v_ldexp_f64 v[45:46], v[45:46], 2
	v_add_f64 v[49:50], v[27:28], v[47:48]
	v_add_f64 v[59:60], v[47:48], -v[53:54]
	s_delay_alu instid0(VALU_DEP_2) | instskip(NEXT) | instid1(VALU_DEP_2)
	v_add_f64 v[55:56], v[49:50], v[45:46]
	v_add_f64 v[65:66], v[47:48], -v[59:60]
	v_add_f64 v[23:24], v[23:24], -v[59:60]
	;; [unrolled: 1-line block ×3, first 2 shown]
	s_delay_alu instid0(VALU_DEP_4) | instskip(SKIP_1) | instid1(VALU_DEP_3)
	v_cmp_gt_f64_e32 vcc_lo, 0, v[55:56]
	v_add_f64 v[55:56], v[53:54], -v[57:58]
	v_add_f64 v[27:28], v[47:48], -v[27:28]
	v_cndmask_b32_e64 v19, 0, 0x40100000, vcc_lo
	s_delay_alu instid0(VALU_DEP_3) | instskip(SKIP_2) | instid1(VALU_DEP_4)
	v_add_f64 v[63:64], v[53:54], -v[55:56]
	v_add_f64 v[25:26], v[25:26], -v[55:56]
	;; [unrolled: 1-line block ×3, first 2 shown]
	v_add_f64 v[45:46], v[45:46], v[18:19]
	s_delay_alu instid0(VALU_DEP_4) | instskip(NEXT) | instid1(VALU_DEP_3)
	v_add_f64 v[55:56], v[57:58], -v[63:64]
	v_add_f64 v[23:24], v[23:24], v[53:54]
	s_delay_alu instid0(VALU_DEP_3) | instskip(NEXT) | instid1(VALU_DEP_3)
	v_add_f64 v[61:62], v[49:50], v[45:46]
	v_add_f64 v[25:26], v[25:26], v[55:56]
	s_delay_alu instid0(VALU_DEP_2) | instskip(NEXT) | instid1(VALU_DEP_2)
	v_cvt_i32_f64_e32 v19, v[61:62]
	v_add_f64 v[23:24], v[25:26], v[23:24]
	s_delay_alu instid0(VALU_DEP_2) | instskip(NEXT) | instid1(VALU_DEP_2)
	v_cvt_f64_i32_e32 v[59:60], v19
	v_add_f64 v[21:22], v[21:22], v[23:24]
	s_delay_alu instid0(VALU_DEP_2) | instskip(NEXT) | instid1(VALU_DEP_2)
	v_add_f64 v[45:46], v[45:46], -v[59:60]
	v_add_f64 v[21:22], v[27:28], v[21:22]
	s_delay_alu instid0(VALU_DEP_2) | instskip(NEXT) | instid1(VALU_DEP_1)
	v_add_f64 v[25:26], v[49:50], v[45:46]
	v_add_f64 v[23:24], v[25:26], -v[45:46]
	v_cmp_le_f64_e32 vcc_lo, 0.5, v[25:26]
	s_delay_alu instid0(VALU_DEP_2) | instskip(SKIP_2) | instid1(VALU_DEP_3)
	v_add_f64 v[23:24], v[49:50], -v[23:24]
	v_add_co_ci_u32_e64 v45, s4, 0, v19, vcc_lo
	v_cndmask_b32_e64 v19, 0, 0x3ff00000, vcc_lo
	v_add_f64 v[21:22], v[21:22], v[23:24]
	s_delay_alu instid0(VALU_DEP_2) | instskip(NEXT) | instid1(VALU_DEP_1)
	v_add_f64 v[23:24], v[25:26], -v[18:19]
	v_add_f64 v[25:26], v[23:24], v[21:22]
	s_delay_alu instid0(VALU_DEP_1) | instskip(SKIP_1) | instid1(VALU_DEP_2)
	v_mul_f64 v[27:28], v[25:26], s[20:21]
	v_add_f64 v[23:24], v[25:26], -v[23:24]
	v_fma_f64 v[46:47], v[25:26], s[20:21], -v[27:28]
	s_delay_alu instid0(VALU_DEP_2) | instskip(NEXT) | instid1(VALU_DEP_2)
	v_add_f64 v[21:22], v[21:22], -v[23:24]
	v_fma_f64 v[23:24], v[25:26], s[26:27], v[46:47]
	s_delay_alu instid0(VALU_DEP_1) | instskip(NEXT) | instid1(VALU_DEP_1)
	v_fma_f64 v[23:24], v[21:22], s[20:21], v[23:24]
	v_add_f64 v[21:22], v[27:28], v[23:24]
	s_delay_alu instid0(VALU_DEP_1) | instskip(NEXT) | instid1(VALU_DEP_1)
	v_add_f64 v[25:26], v[21:22], -v[27:28]
	v_add_f64 v[23:24], v[23:24], -v[25:26]
	s_and_not1_saveexec_b32 s4, s6
	s_cbranch_execz .LBB248_337
	s_branch .LBB248_336
.LBB248_335:                            ;   in Loop: Header=BB248_217 Depth=1
	s_and_not1_saveexec_b32 s4, s6
	s_cbranch_execz .LBB248_337
.LBB248_336:                            ;   in Loop: Header=BB248_217 Depth=1
	v_mul_f64 v[21:22], |v[12:13]|, s[28:29]
	s_mov_b32 s24, s30
	s_delay_alu instid0(VALU_DEP_1) | instskip(NEXT) | instid1(VALU_DEP_1)
	v_rndne_f64_e32 v[25:26], v[21:22]
	v_fma_f64 v[21:22], v[25:26], s[22:23], |v[12:13]|
	v_mul_f64 v[23:24], v[25:26], s[30:31]
	s_delay_alu instid0(VALU_DEP_2) | instskip(NEXT) | instid1(VALU_DEP_2)
	v_fma_f64 v[45:46], v[25:26], s[30:31], v[21:22]
	v_add_f64 v[27:28], v[21:22], v[23:24]
	s_delay_alu instid0(VALU_DEP_1) | instskip(NEXT) | instid1(VALU_DEP_3)
	v_add_f64 v[21:22], v[21:22], -v[27:28]
	v_add_f64 v[27:28], v[27:28], -v[45:46]
	s_delay_alu instid0(VALU_DEP_2) | instskip(SKIP_1) | instid1(VALU_DEP_2)
	v_add_f64 v[21:22], v[21:22], v[23:24]
	v_fma_f64 v[23:24], v[25:26], s[24:25], v[23:24]
	v_add_f64 v[21:22], v[27:28], v[21:22]
	s_delay_alu instid0(VALU_DEP_1) | instskip(NEXT) | instid1(VALU_DEP_1)
	v_add_f64 v[21:22], v[21:22], -v[23:24]
	v_fma_f64 v[23:24], v[25:26], s[34:35], v[21:22]
	s_delay_alu instid0(VALU_DEP_1) | instskip(NEXT) | instid1(VALU_DEP_1)
	v_add_f64 v[21:22], v[45:46], v[23:24]
	v_add_f64 v[27:28], v[21:22], -v[45:46]
	v_cvt_i32_f64_e32 v45, v[25:26]
	s_delay_alu instid0(VALU_DEP_2)
	v_add_f64 v[23:24], v[23:24], -v[27:28]
.LBB248_337:                            ;   in Loop: Header=BB248_217 Depth=1
	s_or_b32 exec_lo, exec_lo, s4
                                        ; implicit-def: $vgpr46
                                        ; implicit-def: $vgpr25_vgpr26
                                        ; implicit-def: $vgpr27_vgpr28
	s_and_saveexec_b32 s4, s5
	s_delay_alu instid0(SALU_CYCLE_1)
	s_xor_b32 s5, exec_lo, s4
	s_cbranch_execz .LBB248_339
; %bb.338:                              ;   in Loop: Header=BB248_217 Depth=1
	v_ldexp_f64 v[25:26], |v[12:13]|, 0xffffff80
	v_cmp_le_f64_e64 vcc_lo, 0x7b000000, |v[12:13]|
	v_trig_preop_f64 v[27:28], |v[12:13]|, 0
	v_and_b32_e32 v19, 0x7fffffff, v13
	v_trig_preop_f64 v[46:47], |v[12:13]|, 1
	v_trig_preop_f64 v[56:57], |v[12:13]|, 2
	s_mov_b32 s20, s22
	s_mov_b32 s27, s25
	v_dual_cndmask_b32 v26, v19, v26 :: v_dual_cndmask_b32 v25, v12, v25
	s_delay_alu instid0(VALU_DEP_1) | instskip(NEXT) | instid1(VALU_DEP_4)
	v_mul_f64 v[48:49], v[27:28], v[25:26]
	v_mul_f64 v[50:51], v[46:47], v[25:26]
	s_delay_alu instid0(VALU_DEP_4) | instskip(NEXT) | instid1(VALU_DEP_3)
	v_mul_f64 v[62:63], v[56:57], v[25:26]
	v_fma_f64 v[27:28], v[27:28], v[25:26], -v[48:49]
	s_delay_alu instid0(VALU_DEP_3) | instskip(NEXT) | instid1(VALU_DEP_3)
	v_fma_f64 v[46:47], v[46:47], v[25:26], -v[50:51]
	v_fma_f64 v[25:26], v[56:57], v[25:26], -v[62:63]
	s_delay_alu instid0(VALU_DEP_3) | instskip(NEXT) | instid1(VALU_DEP_1)
	v_add_f64 v[52:53], v[50:51], v[27:28]
	v_add_f64 v[54:55], v[52:53], -v[50:51]
	v_add_f64 v[60:61], v[48:49], v[52:53]
	s_delay_alu instid0(VALU_DEP_2) | instskip(SKIP_1) | instid1(VALU_DEP_3)
	v_add_f64 v[58:59], v[52:53], -v[54:55]
	v_add_f64 v[27:28], v[27:28], -v[54:55]
	v_ldexp_f64 v[54:55], v[60:61], -2
	v_add_f64 v[48:49], v[60:61], -v[48:49]
	s_delay_alu instid0(VALU_DEP_4) | instskip(SKIP_1) | instid1(VALU_DEP_4)
	v_add_f64 v[50:51], v[50:51], -v[58:59]
	v_add_f64 v[58:59], v[62:63], v[46:47]
	v_cmp_neq_f64_e64 vcc_lo, 0x7ff00000, |v[54:55]|
	s_delay_alu instid0(VALU_DEP_4) | instskip(NEXT) | instid1(VALU_DEP_4)
	v_add_f64 v[48:49], v[52:53], -v[48:49]
	v_add_f64 v[27:28], v[27:28], v[50:51]
	v_fract_f64_e32 v[50:51], v[54:55]
	s_delay_alu instid0(VALU_DEP_2) | instskip(NEXT) | instid1(VALU_DEP_2)
	v_add_f64 v[52:53], v[58:59], v[27:28]
	v_dual_cndmask_b32 v51, 0, v51 :: v_dual_cndmask_b32 v50, 0, v50
	s_delay_alu instid0(VALU_DEP_1) | instskip(NEXT) | instid1(VALU_DEP_3)
	v_ldexp_f64 v[50:51], v[50:51], 2
	v_add_f64 v[54:55], v[48:49], v[52:53]
	v_add_f64 v[64:65], v[52:53], -v[58:59]
	s_delay_alu instid0(VALU_DEP_2) | instskip(NEXT) | instid1(VALU_DEP_2)
	v_add_f64 v[60:61], v[54:55], v[50:51]
	v_add_f64 v[70:71], v[52:53], -v[64:65]
	v_add_f64 v[27:28], v[27:28], -v[64:65]
	v_add_f64 v[48:49], v[54:55], -v[48:49]
	s_delay_alu instid0(VALU_DEP_4) | instskip(SKIP_2) | instid1(VALU_DEP_2)
	v_cmp_gt_f64_e32 vcc_lo, 0, v[60:61]
	v_add_f64 v[60:61], v[58:59], -v[62:63]
	v_cndmask_b32_e64 v19, 0, 0x40100000, vcc_lo
	v_add_f64 v[68:69], v[58:59], -v[60:61]
	v_add_f64 v[46:47], v[46:47], -v[60:61]
	;; [unrolled: 1-line block ×3, first 2 shown]
	s_delay_alu instid0(VALU_DEP_4) | instskip(NEXT) | instid1(VALU_DEP_4)
	v_add_f64 v[50:51], v[50:51], v[18:19]
	v_add_f64 v[60:61], v[62:63], -v[68:69]
	s_delay_alu instid0(VALU_DEP_3) | instskip(NEXT) | instid1(VALU_DEP_3)
	v_add_f64 v[27:28], v[27:28], v[58:59]
	v_add_f64 v[66:67], v[54:55], v[50:51]
	s_delay_alu instid0(VALU_DEP_3) | instskip(NEXT) | instid1(VALU_DEP_2)
	v_add_f64 v[46:47], v[46:47], v[60:61]
	v_cvt_i32_f64_e32 v19, v[66:67]
	s_delay_alu instid0(VALU_DEP_2) | instskip(SKIP_1) | instid1(VALU_DEP_3)
	v_add_f64 v[27:28], v[46:47], v[27:28]
	v_add_f64 v[46:47], v[52:53], -v[48:49]
	v_cvt_f64_i32_e32 v[64:65], v19
	s_delay_alu instid0(VALU_DEP_3) | instskip(NEXT) | instid1(VALU_DEP_2)
	v_add_f64 v[25:26], v[25:26], v[27:28]
	v_add_f64 v[50:51], v[50:51], -v[64:65]
	s_delay_alu instid0(VALU_DEP_2) | instskip(NEXT) | instid1(VALU_DEP_2)
	v_add_f64 v[25:26], v[46:47], v[25:26]
	v_add_f64 v[56:57], v[54:55], v[50:51]
	s_delay_alu instid0(VALU_DEP_1) | instskip(SKIP_1) | instid1(VALU_DEP_2)
	v_add_f64 v[27:28], v[56:57], -v[50:51]
	v_cmp_le_f64_e32 vcc_lo, 0.5, v[56:57]
	v_add_f64 v[27:28], v[54:55], -v[27:28]
	v_add_co_ci_u32_e64 v46, s4, 0, v19, vcc_lo
	v_cndmask_b32_e64 v19, 0, 0x3ff00000, vcc_lo
	s_delay_alu instid0(VALU_DEP_3) | instskip(NEXT) | instid1(VALU_DEP_2)
	v_add_f64 v[25:26], v[25:26], v[27:28]
	v_add_f64 v[27:28], v[56:57], -v[18:19]
	s_delay_alu instid0(VALU_DEP_1) | instskip(NEXT) | instid1(VALU_DEP_1)
	v_add_f64 v[47:48], v[27:28], v[25:26]
	v_mul_f64 v[49:50], v[47:48], s[20:21]
	v_add_f64 v[27:28], v[47:48], -v[27:28]
	s_delay_alu instid0(VALU_DEP_2) | instskip(NEXT) | instid1(VALU_DEP_2)
	v_fma_f64 v[51:52], v[47:48], s[20:21], -v[49:50]
	v_add_f64 v[25:26], v[25:26], -v[27:28]
	s_delay_alu instid0(VALU_DEP_2) | instskip(NEXT) | instid1(VALU_DEP_1)
	v_fma_f64 v[27:28], v[47:48], s[26:27], v[51:52]
	v_fma_f64 v[27:28], v[25:26], s[20:21], v[27:28]
	s_delay_alu instid0(VALU_DEP_1) | instskip(NEXT) | instid1(VALU_DEP_1)
	v_add_f64 v[25:26], v[49:50], v[27:28]
	v_add_f64 v[47:48], v[25:26], -v[49:50]
	s_delay_alu instid0(VALU_DEP_1)
	v_add_f64 v[27:28], v[27:28], -v[47:48]
	s_and_not1_saveexec_b32 s4, s5
	s_cbranch_execnz .LBB248_340
	s_branch .LBB248_341
.LBB248_339:                            ;   in Loop: Header=BB248_217 Depth=1
	s_and_not1_saveexec_b32 s4, s5
	s_cbranch_execz .LBB248_341
.LBB248_340:                            ;   in Loop: Header=BB248_217 Depth=1
	v_mul_f64 v[25:26], |v[12:13]|, s[28:29]
	s_mov_b32 s24, s30
	s_delay_alu instid0(VALU_DEP_1) | instskip(NEXT) | instid1(VALU_DEP_1)
	v_rndne_f64_e32 v[46:47], v[25:26]
	v_fma_f64 v[25:26], v[46:47], s[22:23], |v[12:13]|
	v_mul_f64 v[27:28], v[46:47], s[30:31]
	s_delay_alu instid0(VALU_DEP_2) | instskip(NEXT) | instid1(VALU_DEP_2)
	v_fma_f64 v[50:51], v[46:47], s[30:31], v[25:26]
	v_add_f64 v[48:49], v[25:26], v[27:28]
	s_delay_alu instid0(VALU_DEP_1) | instskip(NEXT) | instid1(VALU_DEP_3)
	v_add_f64 v[25:26], v[25:26], -v[48:49]
	v_add_f64 v[48:49], v[48:49], -v[50:51]
	s_delay_alu instid0(VALU_DEP_2) | instskip(SKIP_1) | instid1(VALU_DEP_2)
	v_add_f64 v[25:26], v[25:26], v[27:28]
	v_fma_f64 v[27:28], v[46:47], s[24:25], v[27:28]
	v_add_f64 v[25:26], v[48:49], v[25:26]
	s_delay_alu instid0(VALU_DEP_1) | instskip(NEXT) | instid1(VALU_DEP_1)
	v_add_f64 v[25:26], v[25:26], -v[27:28]
	v_fma_f64 v[27:28], v[46:47], s[34:35], v[25:26]
	v_cvt_i32_f64_e32 v46, v[46:47]
	s_delay_alu instid0(VALU_DEP_2) | instskip(NEXT) | instid1(VALU_DEP_1)
	v_add_f64 v[25:26], v[50:51], v[27:28]
	v_add_f64 v[48:49], v[25:26], -v[50:51]
	s_delay_alu instid0(VALU_DEP_1)
	v_add_f64 v[27:28], v[27:28], -v[48:49]
.LBB248_341:                            ;   in Loop: Header=BB248_217 Depth=1
	s_or_b32 exec_lo, exec_lo, s4
	s_mov_b32 s36, s38
	v_mul_f64 v[53:54], v[21:22], v[21:22]
	v_mul_f64 v[47:48], v[10:11], s[36:37]
	;; [unrolled: 1-line block ×3, first 2 shown]
	s_mov_b32 s59, s57
	s_mov_b32 s87, s61
	s_delay_alu instid0(VALU_DEP_4)
	v_mul_f64 v[73:74], v[23:24], 0.5
	v_mul_f64 v[79:80], v[27:28], 0.5
	s_mov_b32 s88, s60
	v_cmp_ngt_f64_e64 s5, 0xc0900000, v[10:11]
	v_cmp_nlt_f64_e64 s6, 0x4090cc00, v[10:11]
	v_cmp_class_f64_e64 s4, v[12:13], 0x1f8
	v_fma_f64 v[57:58], v[53:54], s[78:79], s[76:77]
	v_rndne_f64_e32 v[47:48], v[47:48]
	v_fma_f64 v[59:60], v[55:56], s[78:79], s[76:77]
	v_fma_f64 v[61:62], v[53:54], s[68:69], s[66:67]
	v_mul_f64 v[63:64], v[53:54], 0.5
	v_fma_f64 v[65:66], v[55:56], s[68:69], s[66:67]
	v_mul_f64 v[67:68], v[55:56], 0.5
	v_mul_f64 v[75:76], v[21:22], -v[53:54]
	v_mul_f64 v[81:82], v[25:26], -v[55:56]
	v_fma_f64 v[57:58], v[53:54], v[57:58], s[80:81]
	v_fma_f64 v[49:50], v[47:48], s[40:41], -v[10:11]
	v_fma_f64 v[59:60], v[55:56], v[59:60], s[80:81]
	v_fma_f64 v[61:62], v[53:54], v[61:62], s[70:71]
	v_add_f64 v[69:70], -v[63:64], 1.0
	v_fma_f64 v[65:66], v[55:56], v[65:66], s[70:71]
	v_add_f64 v[71:72], -v[67:68], 1.0
	v_cvt_i32_f64_e32 v19, v[47:48]
	v_lshlrev_b32_e32 v11, 30, v45
	v_lshlrev_b32_e32 v10, 30, v46
	s_delay_alu instid0(VALU_DEP_2) | instskip(NEXT) | instid1(VALU_DEP_2)
	v_and_b32_e32 v11, 0x80000000, v11
	v_xor_b32_e32 v10, v10, v20
	s_delay_alu instid0(VALU_DEP_1)
	v_and_b32_e32 v20, 0x80000000, v10
	v_fma_f64 v[57:58], v[53:54], v[57:58], s[82:83]
	v_fma_f64 v[49:50], v[47:48], s[42:43], v[49:50]
	;; [unrolled: 1-line block ×4, first 2 shown]
	v_add_f64 v[77:78], -v[69:70], 1.0
	v_fma_f64 v[65:66], v[55:56], v[65:66], s[72:73]
	v_add_f64 v[83:84], -v[71:72], 1.0
	v_fma_f64 v[57:58], v[53:54], v[57:58], s[56:57]
	v_fma_f64 v[51:52], v[49:50], s[46:47], s[44:45]
	;; [unrolled: 1-line block ×4, first 2 shown]
	v_add_f64 v[63:64], v[77:78], -v[63:64]
	v_fma_f64 v[65:66], v[55:56], v[65:66], s[74:75]
	v_add_f64 v[67:68], v[83:84], -v[67:68]
	v_fma_f64 v[57:58], v[75:76], v[57:58], v[73:74]
	v_fma_f64 v[51:52], v[49:50], v[51:52], s[48:49]
	;; [unrolled: 1-line block ×3, first 2 shown]
	v_mul_f64 v[73:74], v[53:54], v[53:54]
	v_fma_f64 v[61:62], v[53:54], v[61:62], s[60:61]
	v_fma_f64 v[63:64], v[21:22], -v[23:24], v[63:64]
	v_fma_f64 v[23:24], v[53:54], v[57:58], -v[23:24]
	v_fma_f64 v[51:52], v[49:50], v[51:52], s[50:51]
	v_mul_f64 v[53:54], v[55:56], v[55:56]
	v_fma_f64 v[57:58], v[55:56], v[65:66], s[60:61]
	v_fma_f64 v[65:66], v[25:26], -v[27:28], v[67:68]
	v_fma_f64 v[27:28], v[55:56], v[59:60], -v[27:28]
	v_fma_f64 v[55:56], v[73:74], v[61:62], v[63:64]
	v_fma_f64 v[23:24], v[75:76], s[88:89], v[23:24]
	;; [unrolled: 1-line block ×3, first 2 shown]
	s_delay_alu instid0(VALU_DEP_4) | instskip(NEXT) | instid1(VALU_DEP_3)
	v_fma_f64 v[27:28], v[81:82], s[88:89], v[27:28]
	v_add_f64 v[21:22], v[21:22], -v[23:24]
	s_delay_alu instid0(VALU_DEP_3) | instskip(NEXT) | instid1(VALU_DEP_3)
	v_fma_f64 v[51:52], v[49:50], v[51:52], s[54:55]
	v_add_f64 v[25:26], v[25:26], -v[27:28]
	s_delay_alu instid0(VALU_DEP_2) | instskip(NEXT) | instid1(VALU_DEP_1)
	v_fma_f64 v[51:52], v[49:50], v[51:52], s[58:59]
	v_fma_f64 v[51:52], v[49:50], v[51:52], s[86:87]
	s_delay_alu instid0(VALU_DEP_1) | instskip(NEXT) | instid1(VALU_DEP_1)
	v_fma_f64 v[51:52], v[49:50], v[51:52], s[62:63]
	v_fma_f64 v[51:52], v[49:50], v[51:52], s[64:65]
	s_delay_alu instid0(VALU_DEP_1) | instskip(NEXT) | instid1(VALU_DEP_1)
	v_fma_f64 v[51:52], v[49:50], v[51:52], 1.0
	v_fma_f64 v[47:48], v[49:50], v[51:52], 1.0
	v_fma_f64 v[49:50], v[53:54], v[57:58], v[65:66]
	v_add_f64 v[51:52], v[69:70], v[55:56]
	s_delay_alu instid0(VALU_DEP_3) | instskip(NEXT) | instid1(VALU_DEP_3)
	v_ldexp_f64 v[23:24], v[47:48], v19
	v_add_f64 v[47:48], v[71:72], v[49:50]
	v_and_b32_e32 v19, 1, v45
	v_and_b32_e32 v12, 1, v46
	s_delay_alu instid0(VALU_DEP_2) | instskip(NEXT) | instid1(VALU_DEP_2)
	v_cmp_eq_u32_e32 vcc_lo, 0, v19
	v_cmp_eq_u32_e64 s7, 0, v12
	v_cndmask_b32_e32 v19, v21, v51, vcc_lo
	v_xor_b32_e32 v21, 0x80000000, v22
	s_delay_alu instid0(VALU_DEP_2) | instskip(NEXT) | instid1(VALU_DEP_2)
	v_cndmask_b32_e64 v10, 0, v19, s4
	v_cndmask_b32_e32 v12, v21, v52, vcc_lo
	s_and_b32 vcc_lo, s6, s5
	s_delay_alu instid0(VALU_DEP_1) | instskip(NEXT) | instid1(VALU_DEP_1)
	v_xor_b32_e32 v11, v12, v11
	v_cndmask_b32_e64 v11, 0x7ff80000, v11, s4
	v_cndmask_b32_e64 v13, 0x7ff00000, v24, s5
	;; [unrolled: 1-line block ×4, first 2 shown]
	v_cndmask_b32_e32 v19, 0, v23, vcc_lo
	s_delay_alu instid0(VALU_DEP_3) | instskip(NEXT) | instid1(VALU_DEP_3)
	v_xor_b32_e32 v22, v22, v20
	v_cndmask_b32_e64 v12, 0, v21, s4
	v_cndmask_b32_e64 v20, 0, v13, s6
	s_delay_alu instid0(VALU_DEP_3) | instskip(NEXT) | instid1(VALU_DEP_2)
	v_cndmask_b32_e64 v13, 0x7ff80000, v22, s4
	v_mul_f64 v[21:22], v[19:20], v[10:11]
	s_delay_alu instid0(VALU_DEP_2)
	v_mul_f64 v[19:20], v[19:20], v[12:13]
                                        ; implicit-def: $vgpr12_vgpr13
.LBB248_342:                            ;   in Loop: Header=BB248_217 Depth=1
	s_and_not1_saveexec_b32 s36, s98
	s_cbranch_execz .LBB248_352
; %bb.343:                              ;   in Loop: Header=BB248_217 Depth=1
	v_cmp_ngt_f64_e64 s5, 0x41d00000, |v[12:13]|
                                        ; implicit-def: $vgpr45
                                        ; implicit-def: $vgpr21_vgpr22
                                        ; implicit-def: $vgpr23_vgpr24
	s_delay_alu instid0(VALU_DEP_1) | instskip(NEXT) | instid1(SALU_CYCLE_1)
	s_and_saveexec_b32 s4, s5
	s_xor_b32 s6, exec_lo, s4
	s_cbranch_execz .LBB248_345
; %bb.344:                              ;   in Loop: Header=BB248_217 Depth=1
	v_ldexp_f64 v[21:22], |v[12:13]|, 0xffffff80
	v_cmp_le_f64_e64 vcc_lo, 0x7b000000, |v[12:13]|
	v_trig_preop_f64 v[23:24], |v[12:13]|, 0
	v_and_b32_e32 v19, 0x7fffffff, v13
	v_trig_preop_f64 v[25:26], |v[12:13]|, 1
	v_trig_preop_f64 v[51:52], |v[12:13]|, 2
	s_mov_b32 s20, s22
	s_mov_b32 s27, s25
	v_dual_cndmask_b32 v22, v19, v22 :: v_dual_cndmask_b32 v21, v12, v21
	s_delay_alu instid0(VALU_DEP_1) | instskip(NEXT) | instid1(VALU_DEP_4)
	v_mul_f64 v[27:28], v[23:24], v[21:22]
	v_mul_f64 v[45:46], v[25:26], v[21:22]
	s_delay_alu instid0(VALU_DEP_4) | instskip(NEXT) | instid1(VALU_DEP_3)
	v_mul_f64 v[57:58], v[51:52], v[21:22]
	v_fma_f64 v[23:24], v[23:24], v[21:22], -v[27:28]
	s_delay_alu instid0(VALU_DEP_3) | instskip(NEXT) | instid1(VALU_DEP_3)
	v_fma_f64 v[25:26], v[25:26], v[21:22], -v[45:46]
	v_fma_f64 v[21:22], v[51:52], v[21:22], -v[57:58]
	s_delay_alu instid0(VALU_DEP_3) | instskip(NEXT) | instid1(VALU_DEP_1)
	v_add_f64 v[47:48], v[45:46], v[23:24]
	v_add_f64 v[49:50], v[47:48], -v[45:46]
	v_add_f64 v[55:56], v[27:28], v[47:48]
	s_delay_alu instid0(VALU_DEP_2) | instskip(SKIP_1) | instid1(VALU_DEP_3)
	v_add_f64 v[53:54], v[47:48], -v[49:50]
	v_add_f64 v[23:24], v[23:24], -v[49:50]
	v_ldexp_f64 v[49:50], v[55:56], -2
	v_add_f64 v[27:28], v[55:56], -v[27:28]
	s_delay_alu instid0(VALU_DEP_4) | instskip(SKIP_1) | instid1(VALU_DEP_4)
	v_add_f64 v[45:46], v[45:46], -v[53:54]
	v_add_f64 v[53:54], v[57:58], v[25:26]
	v_cmp_neq_f64_e64 vcc_lo, 0x7ff00000, |v[49:50]|
	s_delay_alu instid0(VALU_DEP_4) | instskip(NEXT) | instid1(VALU_DEP_4)
	v_add_f64 v[27:28], v[47:48], -v[27:28]
	v_add_f64 v[23:24], v[23:24], v[45:46]
	v_fract_f64_e32 v[45:46], v[49:50]
	s_delay_alu instid0(VALU_DEP_2) | instskip(NEXT) | instid1(VALU_DEP_2)
	v_add_f64 v[47:48], v[53:54], v[23:24]
	v_dual_cndmask_b32 v46, 0, v46 :: v_dual_cndmask_b32 v45, 0, v45
	s_delay_alu instid0(VALU_DEP_1) | instskip(NEXT) | instid1(VALU_DEP_3)
	v_ldexp_f64 v[45:46], v[45:46], 2
	v_add_f64 v[49:50], v[27:28], v[47:48]
	v_add_f64 v[59:60], v[47:48], -v[53:54]
	s_delay_alu instid0(VALU_DEP_2) | instskip(NEXT) | instid1(VALU_DEP_2)
	v_add_f64 v[55:56], v[49:50], v[45:46]
	v_add_f64 v[65:66], v[47:48], -v[59:60]
	v_add_f64 v[23:24], v[23:24], -v[59:60]
	;; [unrolled: 1-line block ×3, first 2 shown]
	s_delay_alu instid0(VALU_DEP_4) | instskip(SKIP_1) | instid1(VALU_DEP_3)
	v_cmp_gt_f64_e32 vcc_lo, 0, v[55:56]
	v_add_f64 v[55:56], v[53:54], -v[57:58]
	v_add_f64 v[27:28], v[47:48], -v[27:28]
	v_cndmask_b32_e64 v19, 0, 0x40100000, vcc_lo
	s_delay_alu instid0(VALU_DEP_3) | instskip(SKIP_2) | instid1(VALU_DEP_4)
	v_add_f64 v[63:64], v[53:54], -v[55:56]
	v_add_f64 v[25:26], v[25:26], -v[55:56]
	;; [unrolled: 1-line block ×3, first 2 shown]
	v_add_f64 v[45:46], v[45:46], v[18:19]
	s_delay_alu instid0(VALU_DEP_4) | instskip(NEXT) | instid1(VALU_DEP_3)
	v_add_f64 v[55:56], v[57:58], -v[63:64]
	v_add_f64 v[23:24], v[23:24], v[53:54]
	s_delay_alu instid0(VALU_DEP_3) | instskip(NEXT) | instid1(VALU_DEP_3)
	v_add_f64 v[61:62], v[49:50], v[45:46]
	v_add_f64 v[25:26], v[25:26], v[55:56]
	s_delay_alu instid0(VALU_DEP_2) | instskip(NEXT) | instid1(VALU_DEP_2)
	v_cvt_i32_f64_e32 v19, v[61:62]
	v_add_f64 v[23:24], v[25:26], v[23:24]
	s_delay_alu instid0(VALU_DEP_2) | instskip(NEXT) | instid1(VALU_DEP_2)
	v_cvt_f64_i32_e32 v[59:60], v19
	v_add_f64 v[21:22], v[21:22], v[23:24]
	s_delay_alu instid0(VALU_DEP_2) | instskip(NEXT) | instid1(VALU_DEP_2)
	v_add_f64 v[45:46], v[45:46], -v[59:60]
	v_add_f64 v[21:22], v[27:28], v[21:22]
	s_delay_alu instid0(VALU_DEP_2) | instskip(NEXT) | instid1(VALU_DEP_1)
	v_add_f64 v[25:26], v[49:50], v[45:46]
	v_add_f64 v[23:24], v[25:26], -v[45:46]
	v_cmp_le_f64_e32 vcc_lo, 0.5, v[25:26]
	s_delay_alu instid0(VALU_DEP_2) | instskip(SKIP_2) | instid1(VALU_DEP_3)
	v_add_f64 v[23:24], v[49:50], -v[23:24]
	v_add_co_ci_u32_e64 v45, s4, 0, v19, vcc_lo
	v_cndmask_b32_e64 v19, 0, 0x3ff00000, vcc_lo
	v_add_f64 v[21:22], v[21:22], v[23:24]
	s_delay_alu instid0(VALU_DEP_2) | instskip(NEXT) | instid1(VALU_DEP_1)
	v_add_f64 v[23:24], v[25:26], -v[18:19]
	v_add_f64 v[25:26], v[23:24], v[21:22]
	s_delay_alu instid0(VALU_DEP_1) | instskip(SKIP_1) | instid1(VALU_DEP_2)
	v_mul_f64 v[27:28], v[25:26], s[20:21]
	v_add_f64 v[23:24], v[25:26], -v[23:24]
	v_fma_f64 v[46:47], v[25:26], s[20:21], -v[27:28]
	s_delay_alu instid0(VALU_DEP_2) | instskip(NEXT) | instid1(VALU_DEP_2)
	v_add_f64 v[21:22], v[21:22], -v[23:24]
	v_fma_f64 v[23:24], v[25:26], s[26:27], v[46:47]
	s_delay_alu instid0(VALU_DEP_1) | instskip(NEXT) | instid1(VALU_DEP_1)
	v_fma_f64 v[23:24], v[21:22], s[20:21], v[23:24]
	v_add_f64 v[21:22], v[27:28], v[23:24]
	s_delay_alu instid0(VALU_DEP_1) | instskip(NEXT) | instid1(VALU_DEP_1)
	v_add_f64 v[25:26], v[21:22], -v[27:28]
	v_add_f64 v[23:24], v[23:24], -v[25:26]
	s_and_not1_saveexec_b32 s4, s6
	s_cbranch_execz .LBB248_347
	s_branch .LBB248_346
.LBB248_345:                            ;   in Loop: Header=BB248_217 Depth=1
	s_and_not1_saveexec_b32 s4, s6
	s_cbranch_execz .LBB248_347
.LBB248_346:                            ;   in Loop: Header=BB248_217 Depth=1
	v_mul_f64 v[21:22], |v[12:13]|, s[28:29]
	s_mov_b32 s24, s30
	s_delay_alu instid0(VALU_DEP_1) | instskip(NEXT) | instid1(VALU_DEP_1)
	v_rndne_f64_e32 v[25:26], v[21:22]
	v_fma_f64 v[21:22], v[25:26], s[22:23], |v[12:13]|
	v_mul_f64 v[23:24], v[25:26], s[30:31]
	s_delay_alu instid0(VALU_DEP_2) | instskip(NEXT) | instid1(VALU_DEP_2)
	v_fma_f64 v[45:46], v[25:26], s[30:31], v[21:22]
	v_add_f64 v[27:28], v[21:22], v[23:24]
	s_delay_alu instid0(VALU_DEP_1) | instskip(NEXT) | instid1(VALU_DEP_3)
	v_add_f64 v[21:22], v[21:22], -v[27:28]
	v_add_f64 v[27:28], v[27:28], -v[45:46]
	s_delay_alu instid0(VALU_DEP_2) | instskip(SKIP_1) | instid1(VALU_DEP_2)
	v_add_f64 v[21:22], v[21:22], v[23:24]
	v_fma_f64 v[23:24], v[25:26], s[24:25], v[23:24]
	v_add_f64 v[21:22], v[27:28], v[21:22]
	s_delay_alu instid0(VALU_DEP_1) | instskip(NEXT) | instid1(VALU_DEP_1)
	v_add_f64 v[21:22], v[21:22], -v[23:24]
	v_fma_f64 v[23:24], v[25:26], s[34:35], v[21:22]
	s_delay_alu instid0(VALU_DEP_1) | instskip(NEXT) | instid1(VALU_DEP_1)
	v_add_f64 v[21:22], v[45:46], v[23:24]
	v_add_f64 v[27:28], v[21:22], -v[45:46]
	v_cvt_i32_f64_e32 v45, v[25:26]
	s_delay_alu instid0(VALU_DEP_2)
	v_add_f64 v[23:24], v[23:24], -v[27:28]
.LBB248_347:                            ;   in Loop: Header=BB248_217 Depth=1
	s_or_b32 exec_lo, exec_lo, s4
                                        ; implicit-def: $vgpr46
                                        ; implicit-def: $vgpr25_vgpr26
                                        ; implicit-def: $vgpr27_vgpr28
	s_and_saveexec_b32 s4, s5
	s_delay_alu instid0(SALU_CYCLE_1)
	s_xor_b32 s5, exec_lo, s4
	s_cbranch_execz .LBB248_349
; %bb.348:                              ;   in Loop: Header=BB248_217 Depth=1
	v_ldexp_f64 v[25:26], |v[12:13]|, 0xffffff80
	v_cmp_le_f64_e64 vcc_lo, 0x7b000000, |v[12:13]|
	v_trig_preop_f64 v[27:28], |v[12:13]|, 0
	v_and_b32_e32 v19, 0x7fffffff, v13
	v_trig_preop_f64 v[46:47], |v[12:13]|, 1
	v_trig_preop_f64 v[56:57], |v[12:13]|, 2
	s_mov_b32 s20, s22
	s_mov_b32 s27, s25
	v_dual_cndmask_b32 v26, v19, v26 :: v_dual_cndmask_b32 v25, v12, v25
	s_delay_alu instid0(VALU_DEP_1) | instskip(NEXT) | instid1(VALU_DEP_4)
	v_mul_f64 v[48:49], v[27:28], v[25:26]
	v_mul_f64 v[50:51], v[46:47], v[25:26]
	s_delay_alu instid0(VALU_DEP_4) | instskip(NEXT) | instid1(VALU_DEP_3)
	v_mul_f64 v[62:63], v[56:57], v[25:26]
	v_fma_f64 v[27:28], v[27:28], v[25:26], -v[48:49]
	s_delay_alu instid0(VALU_DEP_3) | instskip(NEXT) | instid1(VALU_DEP_3)
	v_fma_f64 v[46:47], v[46:47], v[25:26], -v[50:51]
	v_fma_f64 v[25:26], v[56:57], v[25:26], -v[62:63]
	s_delay_alu instid0(VALU_DEP_3) | instskip(NEXT) | instid1(VALU_DEP_1)
	v_add_f64 v[52:53], v[50:51], v[27:28]
	v_add_f64 v[54:55], v[52:53], -v[50:51]
	v_add_f64 v[60:61], v[48:49], v[52:53]
	s_delay_alu instid0(VALU_DEP_2) | instskip(SKIP_1) | instid1(VALU_DEP_3)
	v_add_f64 v[58:59], v[52:53], -v[54:55]
	v_add_f64 v[27:28], v[27:28], -v[54:55]
	v_ldexp_f64 v[54:55], v[60:61], -2
	v_add_f64 v[48:49], v[60:61], -v[48:49]
	s_delay_alu instid0(VALU_DEP_4) | instskip(SKIP_1) | instid1(VALU_DEP_4)
	v_add_f64 v[50:51], v[50:51], -v[58:59]
	v_add_f64 v[58:59], v[62:63], v[46:47]
	v_cmp_neq_f64_e64 vcc_lo, 0x7ff00000, |v[54:55]|
	s_delay_alu instid0(VALU_DEP_4) | instskip(NEXT) | instid1(VALU_DEP_4)
	v_add_f64 v[48:49], v[52:53], -v[48:49]
	v_add_f64 v[27:28], v[27:28], v[50:51]
	v_fract_f64_e32 v[50:51], v[54:55]
	s_delay_alu instid0(VALU_DEP_2) | instskip(NEXT) | instid1(VALU_DEP_2)
	v_add_f64 v[52:53], v[58:59], v[27:28]
	v_dual_cndmask_b32 v51, 0, v51 :: v_dual_cndmask_b32 v50, 0, v50
	s_delay_alu instid0(VALU_DEP_1) | instskip(NEXT) | instid1(VALU_DEP_3)
	v_ldexp_f64 v[50:51], v[50:51], 2
	v_add_f64 v[54:55], v[48:49], v[52:53]
	v_add_f64 v[64:65], v[52:53], -v[58:59]
	s_delay_alu instid0(VALU_DEP_2) | instskip(NEXT) | instid1(VALU_DEP_2)
	v_add_f64 v[60:61], v[54:55], v[50:51]
	v_add_f64 v[70:71], v[52:53], -v[64:65]
	v_add_f64 v[27:28], v[27:28], -v[64:65]
	;; [unrolled: 1-line block ×3, first 2 shown]
	s_delay_alu instid0(VALU_DEP_4) | instskip(SKIP_2) | instid1(VALU_DEP_2)
	v_cmp_gt_f64_e32 vcc_lo, 0, v[60:61]
	v_add_f64 v[60:61], v[58:59], -v[62:63]
	v_cndmask_b32_e64 v19, 0, 0x40100000, vcc_lo
	v_add_f64 v[68:69], v[58:59], -v[60:61]
	v_add_f64 v[46:47], v[46:47], -v[60:61]
	;; [unrolled: 1-line block ×3, first 2 shown]
	s_delay_alu instid0(VALU_DEP_4) | instskip(NEXT) | instid1(VALU_DEP_4)
	v_add_f64 v[50:51], v[50:51], v[18:19]
	v_add_f64 v[60:61], v[62:63], -v[68:69]
	s_delay_alu instid0(VALU_DEP_3) | instskip(NEXT) | instid1(VALU_DEP_3)
	v_add_f64 v[27:28], v[27:28], v[58:59]
	v_add_f64 v[66:67], v[54:55], v[50:51]
	s_delay_alu instid0(VALU_DEP_3) | instskip(NEXT) | instid1(VALU_DEP_2)
	v_add_f64 v[46:47], v[46:47], v[60:61]
	v_cvt_i32_f64_e32 v19, v[66:67]
	s_delay_alu instid0(VALU_DEP_2) | instskip(SKIP_1) | instid1(VALU_DEP_3)
	v_add_f64 v[27:28], v[46:47], v[27:28]
	v_add_f64 v[46:47], v[52:53], -v[48:49]
	v_cvt_f64_i32_e32 v[64:65], v19
	s_delay_alu instid0(VALU_DEP_3) | instskip(NEXT) | instid1(VALU_DEP_2)
	v_add_f64 v[25:26], v[25:26], v[27:28]
	v_add_f64 v[50:51], v[50:51], -v[64:65]
	s_delay_alu instid0(VALU_DEP_2) | instskip(NEXT) | instid1(VALU_DEP_2)
	v_add_f64 v[25:26], v[46:47], v[25:26]
	v_add_f64 v[56:57], v[54:55], v[50:51]
	s_delay_alu instid0(VALU_DEP_1) | instskip(SKIP_1) | instid1(VALU_DEP_2)
	v_add_f64 v[27:28], v[56:57], -v[50:51]
	v_cmp_le_f64_e32 vcc_lo, 0.5, v[56:57]
	v_add_f64 v[27:28], v[54:55], -v[27:28]
	v_add_co_ci_u32_e64 v46, s4, 0, v19, vcc_lo
	v_cndmask_b32_e64 v19, 0, 0x3ff00000, vcc_lo
	s_delay_alu instid0(VALU_DEP_3) | instskip(NEXT) | instid1(VALU_DEP_2)
	v_add_f64 v[25:26], v[25:26], v[27:28]
	v_add_f64 v[27:28], v[56:57], -v[18:19]
	s_delay_alu instid0(VALU_DEP_1) | instskip(NEXT) | instid1(VALU_DEP_1)
	v_add_f64 v[47:48], v[27:28], v[25:26]
	v_mul_f64 v[49:50], v[47:48], s[20:21]
	v_add_f64 v[27:28], v[47:48], -v[27:28]
	s_delay_alu instid0(VALU_DEP_2) | instskip(NEXT) | instid1(VALU_DEP_2)
	v_fma_f64 v[51:52], v[47:48], s[20:21], -v[49:50]
	v_add_f64 v[25:26], v[25:26], -v[27:28]
	s_delay_alu instid0(VALU_DEP_2) | instskip(NEXT) | instid1(VALU_DEP_1)
	v_fma_f64 v[27:28], v[47:48], s[26:27], v[51:52]
	v_fma_f64 v[27:28], v[25:26], s[20:21], v[27:28]
	s_delay_alu instid0(VALU_DEP_1) | instskip(NEXT) | instid1(VALU_DEP_1)
	v_add_f64 v[25:26], v[49:50], v[27:28]
	v_add_f64 v[47:48], v[25:26], -v[49:50]
	s_delay_alu instid0(VALU_DEP_1)
	v_add_f64 v[27:28], v[27:28], -v[47:48]
	s_and_not1_saveexec_b32 s4, s5
	s_cbranch_execnz .LBB248_350
	s_branch .LBB248_351
.LBB248_349:                            ;   in Loop: Header=BB248_217 Depth=1
	s_and_not1_saveexec_b32 s4, s5
	s_cbranch_execz .LBB248_351
.LBB248_350:                            ;   in Loop: Header=BB248_217 Depth=1
	v_mul_f64 v[25:26], |v[12:13]|, s[28:29]
	s_mov_b32 s24, s30
	s_delay_alu instid0(VALU_DEP_1) | instskip(NEXT) | instid1(VALU_DEP_1)
	v_rndne_f64_e32 v[46:47], v[25:26]
	v_fma_f64 v[25:26], v[46:47], s[22:23], |v[12:13]|
	v_mul_f64 v[27:28], v[46:47], s[30:31]
	s_delay_alu instid0(VALU_DEP_2) | instskip(NEXT) | instid1(VALU_DEP_2)
	v_fma_f64 v[50:51], v[46:47], s[30:31], v[25:26]
	v_add_f64 v[48:49], v[25:26], v[27:28]
	s_delay_alu instid0(VALU_DEP_1) | instskip(NEXT) | instid1(VALU_DEP_3)
	v_add_f64 v[25:26], v[25:26], -v[48:49]
	v_add_f64 v[48:49], v[48:49], -v[50:51]
	s_delay_alu instid0(VALU_DEP_2) | instskip(SKIP_1) | instid1(VALU_DEP_2)
	v_add_f64 v[25:26], v[25:26], v[27:28]
	v_fma_f64 v[27:28], v[46:47], s[24:25], v[27:28]
	v_add_f64 v[25:26], v[48:49], v[25:26]
	s_delay_alu instid0(VALU_DEP_1) | instskip(NEXT) | instid1(VALU_DEP_1)
	v_add_f64 v[25:26], v[25:26], -v[27:28]
	v_fma_f64 v[27:28], v[46:47], s[34:35], v[25:26]
	v_cvt_i32_f64_e32 v46, v[46:47]
	s_delay_alu instid0(VALU_DEP_2) | instskip(NEXT) | instid1(VALU_DEP_1)
	v_add_f64 v[25:26], v[50:51], v[27:28]
	v_add_f64 v[48:49], v[25:26], -v[50:51]
	s_delay_alu instid0(VALU_DEP_1)
	v_add_f64 v[27:28], v[27:28], -v[48:49]
.LBB248_351:                            ;   in Loop: Header=BB248_217 Depth=1
	s_or_b32 exec_lo, exec_lo, s4
	v_add_f64 v[10:11], -v[10:11], s[84:85]
	s_delay_alu instid0(VALU_DEP_4) | instskip(SKIP_3) | instid1(VALU_DEP_4)
	v_mul_f64 v[53:54], v[21:22], v[21:22]
	v_mul_f64 v[55:56], v[25:26], v[25:26]
	s_mov_b32 s59, s57
	s_mov_b32 s87, s61
	v_mul_f64 v[73:74], v[23:24], 0.5
	v_mul_f64 v[79:80], v[27:28], 0.5
	s_mov_b32 s88, s60
	v_cmp_class_f64_e64 s4, v[12:13], 0x1f8
	v_and_b32_e32 v13, 1, v46
	s_delay_alu instid0(VALU_DEP_1)
	v_cmp_eq_u32_e64 s7, 0, v13
	v_mul_f64 v[47:48], v[10:11], s[38:39]
	v_fma_f64 v[57:58], v[53:54], s[78:79], s[76:77]
	v_fma_f64 v[59:60], v[55:56], s[78:79], s[76:77]
	;; [unrolled: 1-line block ×3, first 2 shown]
	v_mul_f64 v[63:64], v[53:54], 0.5
	v_fma_f64 v[65:66], v[55:56], s[68:69], s[66:67]
	v_mul_f64 v[67:68], v[55:56], 0.5
	v_mul_f64 v[75:76], v[21:22], -v[53:54]
	v_mul_f64 v[81:82], v[25:26], -v[55:56]
	v_cmp_nlt_f64_e64 s5, 0x40900000, v[10:11]
	v_cmp_ngt_f64_e64 s6, 0xc090cc00, v[10:11]
	v_rndne_f64_e32 v[47:48], v[47:48]
	v_fma_f64 v[57:58], v[53:54], v[57:58], s[80:81]
	v_fma_f64 v[59:60], v[55:56], v[59:60], s[80:81]
	;; [unrolled: 1-line block ×3, first 2 shown]
	v_add_f64 v[69:70], -v[63:64], 1.0
	v_fma_f64 v[65:66], v[55:56], v[65:66], s[70:71]
	v_add_f64 v[71:72], -v[67:68], 1.0
	v_fma_f64 v[49:50], v[47:48], s[40:41], v[10:11]
	v_fma_f64 v[57:58], v[53:54], v[57:58], s[82:83]
	;; [unrolled: 1-line block ×4, first 2 shown]
	v_add_f64 v[77:78], -v[69:70], 1.0
	v_fma_f64 v[65:66], v[55:56], v[65:66], s[72:73]
	v_add_f64 v[83:84], -v[71:72], 1.0
	v_cvt_i32_f64_e32 v19, v[47:48]
	v_lshlrev_b32_e32 v11, 30, v45
	v_lshlrev_b32_e32 v10, 30, v46
	s_delay_alu instid0(VALU_DEP_2) | instskip(NEXT) | instid1(VALU_DEP_2)
	v_and_b32_e32 v11, 0x80000000, v11
	v_xor_b32_e32 v10, v10, v20
	s_delay_alu instid0(VALU_DEP_1)
	v_and_b32_e32 v20, 0x80000000, v10
	v_fma_f64 v[49:50], v[47:48], s[42:43], v[49:50]
	v_fma_f64 v[57:58], v[53:54], v[57:58], s[56:57]
	;; [unrolled: 1-line block ×4, first 2 shown]
	v_add_f64 v[63:64], v[77:78], -v[63:64]
	v_fma_f64 v[65:66], v[55:56], v[65:66], s[74:75]
	v_add_f64 v[67:68], v[83:84], -v[67:68]
	v_fma_f64 v[51:52], v[49:50], s[46:47], s[44:45]
	v_fma_f64 v[57:58], v[75:76], v[57:58], v[73:74]
	;; [unrolled: 1-line block ×3, first 2 shown]
	v_mul_f64 v[73:74], v[53:54], v[53:54]
	v_fma_f64 v[61:62], v[53:54], v[61:62], s[60:61]
	v_fma_f64 v[63:64], v[21:22], -v[23:24], v[63:64]
	v_fma_f64 v[51:52], v[49:50], v[51:52], s[48:49]
	v_fma_f64 v[23:24], v[53:54], v[57:58], -v[23:24]
	v_mul_f64 v[53:54], v[55:56], v[55:56]
	v_fma_f64 v[57:58], v[55:56], v[65:66], s[60:61]
	v_fma_f64 v[65:66], v[25:26], -v[27:28], v[67:68]
	v_fma_f64 v[27:28], v[55:56], v[59:60], -v[27:28]
	v_fma_f64 v[55:56], v[73:74], v[61:62], v[63:64]
	v_fma_f64 v[51:52], v[49:50], v[51:52], s[50:51]
	;; [unrolled: 1-line block ×3, first 2 shown]
	s_delay_alu instid0(VALU_DEP_4) | instskip(NEXT) | instid1(VALU_DEP_3)
	v_fma_f64 v[27:28], v[81:82], s[88:89], v[27:28]
	v_fma_f64 v[51:52], v[49:50], v[51:52], s[52:53]
	s_delay_alu instid0(VALU_DEP_3) | instskip(NEXT) | instid1(VALU_DEP_3)
	v_add_f64 v[21:22], v[21:22], -v[23:24]
	v_add_f64 v[25:26], v[25:26], -v[27:28]
	s_delay_alu instid0(VALU_DEP_3) | instskip(NEXT) | instid1(VALU_DEP_1)
	v_fma_f64 v[51:52], v[49:50], v[51:52], s[54:55]
	v_fma_f64 v[51:52], v[49:50], v[51:52], s[58:59]
	s_delay_alu instid0(VALU_DEP_1) | instskip(NEXT) | instid1(VALU_DEP_1)
	v_fma_f64 v[51:52], v[49:50], v[51:52], s[86:87]
	v_fma_f64 v[51:52], v[49:50], v[51:52], s[62:63]
	s_delay_alu instid0(VALU_DEP_1) | instskip(NEXT) | instid1(VALU_DEP_1)
	v_fma_f64 v[51:52], v[49:50], v[51:52], s[64:65]
	v_fma_f64 v[51:52], v[49:50], v[51:52], 1.0
	s_delay_alu instid0(VALU_DEP_1) | instskip(SKIP_2) | instid1(VALU_DEP_3)
	v_fma_f64 v[47:48], v[49:50], v[51:52], 1.0
	v_fma_f64 v[49:50], v[53:54], v[57:58], v[65:66]
	v_add_f64 v[51:52], v[69:70], v[55:56]
	v_ldexp_f64 v[23:24], v[47:48], v19
	s_delay_alu instid0(VALU_DEP_3) | instskip(SKIP_1) | instid1(VALU_DEP_1)
	v_add_f64 v[47:48], v[71:72], v[49:50]
	v_and_b32_e32 v19, 1, v45
	v_cmp_eq_u32_e32 vcc_lo, 0, v19
	v_cndmask_b32_e32 v19, v21, v51, vcc_lo
	v_xor_b32_e32 v21, 0x80000000, v22
	s_delay_alu instid0(VALU_DEP_2) | instskip(NEXT) | instid1(VALU_DEP_2)
	v_cndmask_b32_e64 v10, 0, v19, s4
	v_cndmask_b32_e32 v13, v21, v52, vcc_lo
	s_and_b32 vcc_lo, s6, s5
	s_delay_alu instid0(VALU_DEP_1) | instskip(NEXT) | instid1(VALU_DEP_1)
	v_xor_b32_e32 v11, v13, v11
	v_cndmask_b32_e64 v11, 0x7ff80000, v11, s4
	v_cndmask_b32_e64 v12, 0x7ff00000, v24, s5
	;; [unrolled: 1-line block ×4, first 2 shown]
	v_cndmask_b32_e32 v19, 0, v23, vcc_lo
	s_delay_alu instid0(VALU_DEP_4) | instskip(NEXT) | instid1(VALU_DEP_4)
	v_cndmask_b32_e64 v24, 0, v12, s6
	v_xor_b32_e32 v13, v22, v20
	s_delay_alu instid0(VALU_DEP_4) | instskip(NEXT) | instid1(VALU_DEP_3)
	v_cndmask_b32_e64 v12, 0, v21, s4
	v_and_or_b32 v20, v24, s95, 0x7fe00000
	s_delay_alu instid0(VALU_DEP_3) | instskip(NEXT) | instid1(VALU_DEP_2)
	v_cndmask_b32_e64 v13, 0x7ff80000, v13, s4
	v_mul_f64 v[10:11], v[19:20], v[10:11]
	s_delay_alu instid0(VALU_DEP_2) | instskip(SKIP_1) | instid1(VALU_DEP_1)
	v_mul_f64 v[12:13], v[19:20], v[12:13]
	v_lshrrev_b32_e32 v19, 20, v24
	v_add_nc_u32_e32 v20, 0xffffff09, v19
	s_delay_alu instid0(VALU_DEP_1) | instskip(NEXT) | instid1(VALU_DEP_1)
	v_lshrrev_b16 v19, 15, v20
	v_add_nc_u16 v19, v20, v19
	s_delay_alu instid0(VALU_DEP_1) | instskip(NEXT) | instid1(VALU_DEP_1)
	v_ashrrev_i16 v19, 1, v19
	v_bfe_i32 v21, v19, 0, 16
	s_delay_alu instid0(VALU_DEP_1) | instskip(NEXT) | instid1(VALU_DEP_1)
	v_lshl_add_u32 v19, v21, 20, 0x3ff00000
	v_mul_f64 v[10:11], v[10:11], v[18:19]
	v_mul_f64 v[12:13], v[12:13], v[18:19]
	v_mov_b32_e32 v19, v18
	v_sub_nc_u32_e32 v20, v20, v21
	s_delay_alu instid0(VALU_DEP_1) | instskip(NEXT) | instid1(VALU_DEP_1)
	v_lshl_add_u32 v20, v20, 20, 0x3ff00000
	v_mul_f64 v[21:22], v[10:11], v[19:20]
	v_mul_f64 v[19:20], v[12:13], v[19:20]
.LBB248_352:                            ;   in Loop: Header=BB248_217 Depth=1
	s_or_b32 exec_lo, exec_lo, s36
                                        ; implicit-def: $vgpr23_vgpr24
                                        ; implicit-def: $vgpr12_vgpr13
                                        ; implicit-def: $vgpr25
.LBB248_353:                            ;   in Loop: Header=BB248_217 Depth=1
	s_and_not1_saveexec_b32 s5, s97
	s_cbranch_execz .LBB248_359
; %bb.354:                              ;   in Loop: Header=BB248_217 Depth=1
	v_cmp_ne_u32_e32 vcc_lo, 0, v23
	v_cmp_ne_u32_e64 s4, 0x7ff00000, v25
                                        ; implicit-def: $vgpr19_vgpr20
	s_delay_alu instid0(VALU_DEP_1) | instskip(NEXT) | instid1(SALU_CYCLE_1)
	s_or_b32 s4, vcc_lo, s4
	s_and_saveexec_b32 s6, s4
	s_delay_alu instid0(SALU_CYCLE_1)
	s_xor_b32 s4, exec_lo, s6
; %bb.355:                              ;   in Loop: Header=BB248_217 Depth=1
	v_add_f64 v[19:20], v[12:13], -v[12:13]
                                        ; implicit-def: $vgpr23_vgpr24
                                        ; implicit-def: $vgpr12_vgpr13
; %bb.356:                              ;   in Loop: Header=BB248_217 Depth=1
	s_or_saveexec_b32 s4, s4
	s_delay_alu instid0(VALU_DEP_1)
	v_dual_mov_b32 v22, v20 :: v_dual_mov_b32 v21, v19
	s_xor_b32 exec_lo, exec_lo, s4
; %bb.357:                              ;   in Loop: Header=BB248_217 Depth=1
	v_add_f64 v[11:12], v[12:13], -v[12:13]
	v_cmp_lt_i64_e32 vcc_lo, -1, v[23:24]
	v_dual_cndmask_b32 v22, 0, v24 :: v_dual_cndmask_b32 v21, 0, v10
	s_delay_alu instid0(VALU_DEP_3)
	v_dual_cndmask_b32 v20, 0, v12 :: v_dual_cndmask_b32 v19, 0, v11
; %bb.358:                              ;   in Loop: Header=BB248_217 Depth=1
	s_or_b32 exec_lo, exec_lo, s4
.LBB248_359:                            ;   in Loop: Header=BB248_217 Depth=1
	s_delay_alu instid0(SALU_CYCLE_1)
	s_or_b32 exec_lo, exec_lo, s5
                                        ; implicit-def: $vgpr12_vgpr13
.LBB248_360:                            ;   in Loop: Header=BB248_217 Depth=1
	s_and_not1_saveexec_b32 s6, s96
	s_cbranch_execz .LBB248_370
; %bb.361:                              ;   in Loop: Header=BB248_217 Depth=1
	v_cmp_ngt_f64_e64 s5, 0x41d00000, |v[12:13]|
                                        ; implicit-def: $vgpr27
                                        ; implicit-def: $vgpr10_vgpr11
                                        ; implicit-def: $vgpr21_vgpr22
	s_delay_alu instid0(VALU_DEP_1) | instskip(NEXT) | instid1(SALU_CYCLE_1)
	s_and_saveexec_b32 s4, s5
	s_xor_b32 s7, exec_lo, s4
	s_cbranch_execz .LBB248_363
; %bb.362:                              ;   in Loop: Header=BB248_217 Depth=1
	v_ldexp_f64 v[10:11], |v[12:13]|, 0xffffff80
	v_cmp_le_f64_e64 vcc_lo, 0x7b000000, |v[12:13]|
	v_trig_preop_f64 v[21:22], |v[12:13]|, 0
	v_and_b32_e32 v19, 0x7fffffff, v13
	v_trig_preop_f64 v[23:24], |v[12:13]|, 1
	v_trig_preop_f64 v[49:50], |v[12:13]|, 2
	s_mov_b32 s20, s22
	s_mov_b32 s27, s25
	v_dual_cndmask_b32 v10, v12, v10 :: v_dual_cndmask_b32 v11, v19, v11
	s_delay_alu instid0(VALU_DEP_1) | instskip(NEXT) | instid1(VALU_DEP_4)
	v_mul_f64 v[25:26], v[21:22], v[10:11]
	v_mul_f64 v[27:28], v[23:24], v[10:11]
	s_delay_alu instid0(VALU_DEP_2) | instskip(NEXT) | instid1(VALU_DEP_2)
	v_fma_f64 v[21:22], v[21:22], v[10:11], -v[25:26]
	v_fma_f64 v[23:24], v[23:24], v[10:11], -v[27:28]
	s_delay_alu instid0(VALU_DEP_2) | instskip(NEXT) | instid1(VALU_DEP_1)
	v_add_f64 v[45:46], v[27:28], v[21:22]
	v_add_f64 v[47:48], v[45:46], -v[27:28]
	v_add_f64 v[53:54], v[25:26], v[45:46]
	s_delay_alu instid0(VALU_DEP_2) | instskip(SKIP_1) | instid1(VALU_DEP_3)
	v_add_f64 v[51:52], v[45:46], -v[47:48]
	v_add_f64 v[21:22], v[21:22], -v[47:48]
	v_ldexp_f64 v[47:48], v[53:54], -2
	v_add_f64 v[25:26], v[53:54], -v[25:26]
	s_delay_alu instid0(VALU_DEP_4) | instskip(NEXT) | instid1(VALU_DEP_3)
	v_add_f64 v[27:28], v[27:28], -v[51:52]
	v_cmp_neq_f64_e64 vcc_lo, 0x7ff00000, |v[47:48]|
	s_delay_alu instid0(VALU_DEP_3) | instskip(NEXT) | instid1(VALU_DEP_3)
	v_add_f64 v[25:26], v[45:46], -v[25:26]
	v_add_f64 v[21:22], v[21:22], v[27:28]
	v_fract_f64_e32 v[27:28], v[47:48]
	s_delay_alu instid0(VALU_DEP_1) | instskip(SKIP_1) | instid1(VALU_DEP_3)
	v_cndmask_b32_e32 v28, 0, v28, vcc_lo
	v_mul_f64 v[55:56], v[49:50], v[10:11]
	v_cndmask_b32_e32 v27, 0, v27, vcc_lo
	s_delay_alu instid0(VALU_DEP_1) | instskip(NEXT) | instid1(VALU_DEP_3)
	v_ldexp_f64 v[27:28], v[27:28], 2
	v_add_f64 v[51:52], v[55:56], v[23:24]
	v_fma_f64 v[10:11], v[49:50], v[10:11], -v[55:56]
	s_delay_alu instid0(VALU_DEP_2) | instskip(NEXT) | instid1(VALU_DEP_1)
	v_add_f64 v[45:46], v[51:52], v[21:22]
	v_add_f64 v[47:48], v[25:26], v[45:46]
	v_add_f64 v[57:58], v[45:46], -v[51:52]
	s_delay_alu instid0(VALU_DEP_2) | instskip(NEXT) | instid1(VALU_DEP_2)
	v_add_f64 v[53:54], v[47:48], v[27:28]
	v_add_f64 v[63:64], v[45:46], -v[57:58]
	v_add_f64 v[21:22], v[21:22], -v[57:58]
	v_add_f64 v[25:26], v[47:48], -v[25:26]
	s_delay_alu instid0(VALU_DEP_4) | instskip(SKIP_1) | instid1(VALU_DEP_3)
	v_cmp_gt_f64_e32 vcc_lo, 0, v[53:54]
	v_add_f64 v[53:54], v[51:52], -v[55:56]
	v_add_f64 v[25:26], v[45:46], -v[25:26]
	v_cndmask_b32_e64 v19, 0, 0x40100000, vcc_lo
	s_delay_alu instid0(VALU_DEP_3) | instskip(SKIP_2) | instid1(VALU_DEP_4)
	v_add_f64 v[61:62], v[51:52], -v[53:54]
	v_add_f64 v[23:24], v[23:24], -v[53:54]
	;; [unrolled: 1-line block ×3, first 2 shown]
	v_add_f64 v[27:28], v[27:28], v[18:19]
	s_delay_alu instid0(VALU_DEP_4) | instskip(NEXT) | instid1(VALU_DEP_3)
	v_add_f64 v[53:54], v[55:56], -v[61:62]
	v_add_f64 v[21:22], v[21:22], v[51:52]
	s_delay_alu instid0(VALU_DEP_3) | instskip(NEXT) | instid1(VALU_DEP_3)
	v_add_f64 v[59:60], v[47:48], v[27:28]
	v_add_f64 v[23:24], v[23:24], v[53:54]
	s_delay_alu instid0(VALU_DEP_2) | instskip(NEXT) | instid1(VALU_DEP_2)
	v_cvt_i32_f64_e32 v19, v[59:60]
	v_add_f64 v[21:22], v[23:24], v[21:22]
	s_delay_alu instid0(VALU_DEP_2) | instskip(NEXT) | instid1(VALU_DEP_2)
	v_cvt_f64_i32_e32 v[57:58], v19
	v_add_f64 v[10:11], v[10:11], v[21:22]
	s_delay_alu instid0(VALU_DEP_2) | instskip(NEXT) | instid1(VALU_DEP_2)
	v_add_f64 v[27:28], v[27:28], -v[57:58]
	v_add_f64 v[10:11], v[25:26], v[10:11]
	s_delay_alu instid0(VALU_DEP_2) | instskip(NEXT) | instid1(VALU_DEP_1)
	v_add_f64 v[23:24], v[47:48], v[27:28]
	v_add_f64 v[21:22], v[23:24], -v[27:28]
	v_cmp_le_f64_e32 vcc_lo, 0.5, v[23:24]
	s_delay_alu instid0(VALU_DEP_2) | instskip(SKIP_2) | instid1(VALU_DEP_3)
	v_add_f64 v[21:22], v[47:48], -v[21:22]
	v_add_co_ci_u32_e64 v27, s4, 0, v19, vcc_lo
	v_cndmask_b32_e64 v19, 0, 0x3ff00000, vcc_lo
	v_add_f64 v[10:11], v[10:11], v[21:22]
	s_delay_alu instid0(VALU_DEP_2) | instskip(NEXT) | instid1(VALU_DEP_1)
	v_add_f64 v[21:22], v[23:24], -v[18:19]
	v_add_f64 v[23:24], v[21:22], v[10:11]
	s_delay_alu instid0(VALU_DEP_1) | instskip(SKIP_1) | instid1(VALU_DEP_2)
	v_mul_f64 v[25:26], v[23:24], s[20:21]
	v_add_f64 v[21:22], v[23:24], -v[21:22]
	v_fma_f64 v[45:46], v[23:24], s[20:21], -v[25:26]
	s_delay_alu instid0(VALU_DEP_2) | instskip(NEXT) | instid1(VALU_DEP_2)
	v_add_f64 v[10:11], v[10:11], -v[21:22]
	v_fma_f64 v[21:22], v[23:24], s[26:27], v[45:46]
	s_delay_alu instid0(VALU_DEP_1) | instskip(NEXT) | instid1(VALU_DEP_1)
	v_fma_f64 v[21:22], v[10:11], s[20:21], v[21:22]
	v_add_f64 v[10:11], v[25:26], v[21:22]
	s_delay_alu instid0(VALU_DEP_1) | instskip(NEXT) | instid1(VALU_DEP_1)
	v_add_f64 v[23:24], v[10:11], -v[25:26]
	v_add_f64 v[21:22], v[21:22], -v[23:24]
	s_and_not1_saveexec_b32 s4, s7
	s_cbranch_execz .LBB248_365
	s_branch .LBB248_364
.LBB248_363:                            ;   in Loop: Header=BB248_217 Depth=1
	s_and_not1_saveexec_b32 s4, s7
	s_cbranch_execz .LBB248_365
.LBB248_364:                            ;   in Loop: Header=BB248_217 Depth=1
	v_mul_f64 v[10:11], |v[12:13]|, s[28:29]
	s_mov_b32 s24, s30
	s_delay_alu instid0(VALU_DEP_1) | instskip(NEXT) | instid1(VALU_DEP_1)
	v_rndne_f64_e32 v[23:24], v[10:11]
	v_fma_f64 v[10:11], v[23:24], s[22:23], |v[12:13]|
	v_mul_f64 v[21:22], v[23:24], s[30:31]
	s_delay_alu instid0(VALU_DEP_2) | instskip(NEXT) | instid1(VALU_DEP_2)
	v_fma_f64 v[27:28], v[23:24], s[30:31], v[10:11]
	v_add_f64 v[25:26], v[10:11], v[21:22]
	s_delay_alu instid0(VALU_DEP_1) | instskip(NEXT) | instid1(VALU_DEP_3)
	v_add_f64 v[10:11], v[10:11], -v[25:26]
	v_add_f64 v[25:26], v[25:26], -v[27:28]
	s_delay_alu instid0(VALU_DEP_2) | instskip(SKIP_1) | instid1(VALU_DEP_2)
	v_add_f64 v[10:11], v[10:11], v[21:22]
	v_fma_f64 v[21:22], v[23:24], s[24:25], v[21:22]
	v_add_f64 v[10:11], v[25:26], v[10:11]
	s_delay_alu instid0(VALU_DEP_1) | instskip(NEXT) | instid1(VALU_DEP_1)
	v_add_f64 v[10:11], v[10:11], -v[21:22]
	v_fma_f64 v[21:22], v[23:24], s[34:35], v[10:11]
	s_delay_alu instid0(VALU_DEP_1) | instskip(NEXT) | instid1(VALU_DEP_1)
	v_add_f64 v[10:11], v[27:28], v[21:22]
	v_add_f64 v[25:26], v[10:11], -v[27:28]
	v_cvt_i32_f64_e32 v27, v[23:24]
	s_delay_alu instid0(VALU_DEP_2)
	v_add_f64 v[21:22], v[21:22], -v[25:26]
.LBB248_365:                            ;   in Loop: Header=BB248_217 Depth=1
	s_or_b32 exec_lo, exec_lo, s4
                                        ; implicit-def: $vgpr28
                                        ; implicit-def: $vgpr23_vgpr24
                                        ; implicit-def: $vgpr25_vgpr26
	s_and_saveexec_b32 s4, s5
	s_delay_alu instid0(SALU_CYCLE_1)
	s_xor_b32 s5, exec_lo, s4
	s_cbranch_execz .LBB248_367
; %bb.366:                              ;   in Loop: Header=BB248_217 Depth=1
	v_ldexp_f64 v[23:24], |v[12:13]|, 0xffffff80
	v_cmp_le_f64_e64 vcc_lo, 0x7b000000, |v[12:13]|
	v_trig_preop_f64 v[25:26], |v[12:13]|, 0
	v_and_b32_e32 v19, 0x7fffffff, v13
	v_trig_preop_f64 v[45:46], |v[12:13]|, 1
	v_trig_preop_f64 v[55:56], |v[12:13]|, 2
	s_mov_b32 s20, s22
	s_mov_b32 s27, s25
	v_dual_cndmask_b32 v24, v19, v24 :: v_dual_cndmask_b32 v23, v12, v23
	s_delay_alu instid0(VALU_DEP_1) | instskip(NEXT) | instid1(VALU_DEP_4)
	v_mul_f64 v[47:48], v[25:26], v[23:24]
	v_mul_f64 v[49:50], v[45:46], v[23:24]
	s_delay_alu instid0(VALU_DEP_4) | instskip(NEXT) | instid1(VALU_DEP_3)
	v_mul_f64 v[61:62], v[55:56], v[23:24]
	v_fma_f64 v[25:26], v[25:26], v[23:24], -v[47:48]
	s_delay_alu instid0(VALU_DEP_3) | instskip(NEXT) | instid1(VALU_DEP_3)
	v_fma_f64 v[45:46], v[45:46], v[23:24], -v[49:50]
	v_fma_f64 v[23:24], v[55:56], v[23:24], -v[61:62]
	s_delay_alu instid0(VALU_DEP_3) | instskip(NEXT) | instid1(VALU_DEP_1)
	v_add_f64 v[51:52], v[49:50], v[25:26]
	v_add_f64 v[53:54], v[51:52], -v[49:50]
	v_add_f64 v[59:60], v[47:48], v[51:52]
	s_delay_alu instid0(VALU_DEP_2) | instskip(SKIP_1) | instid1(VALU_DEP_3)
	v_add_f64 v[57:58], v[51:52], -v[53:54]
	v_add_f64 v[25:26], v[25:26], -v[53:54]
	v_ldexp_f64 v[53:54], v[59:60], -2
	v_add_f64 v[47:48], v[59:60], -v[47:48]
	s_delay_alu instid0(VALU_DEP_4) | instskip(SKIP_1) | instid1(VALU_DEP_4)
	v_add_f64 v[49:50], v[49:50], -v[57:58]
	v_add_f64 v[57:58], v[61:62], v[45:46]
	v_cmp_neq_f64_e64 vcc_lo, 0x7ff00000, |v[53:54]|
	s_delay_alu instid0(VALU_DEP_4) | instskip(NEXT) | instid1(VALU_DEP_4)
	v_add_f64 v[47:48], v[51:52], -v[47:48]
	v_add_f64 v[25:26], v[25:26], v[49:50]
	v_fract_f64_e32 v[49:50], v[53:54]
	s_delay_alu instid0(VALU_DEP_2) | instskip(NEXT) | instid1(VALU_DEP_2)
	v_add_f64 v[51:52], v[57:58], v[25:26]
	v_dual_cndmask_b32 v50, 0, v50 :: v_dual_cndmask_b32 v49, 0, v49
	s_delay_alu instid0(VALU_DEP_1) | instskip(NEXT) | instid1(VALU_DEP_3)
	v_ldexp_f64 v[49:50], v[49:50], 2
	v_add_f64 v[53:54], v[47:48], v[51:52]
	v_add_f64 v[63:64], v[51:52], -v[57:58]
	s_delay_alu instid0(VALU_DEP_2) | instskip(NEXT) | instid1(VALU_DEP_2)
	v_add_f64 v[59:60], v[53:54], v[49:50]
	v_add_f64 v[69:70], v[51:52], -v[63:64]
	v_add_f64 v[25:26], v[25:26], -v[63:64]
	;; [unrolled: 1-line block ×3, first 2 shown]
	s_delay_alu instid0(VALU_DEP_4) | instskip(SKIP_1) | instid1(VALU_DEP_3)
	v_cmp_gt_f64_e32 vcc_lo, 0, v[59:60]
	v_add_f64 v[59:60], v[57:58], -v[61:62]
	v_add_f64 v[47:48], v[51:52], -v[47:48]
	v_cndmask_b32_e64 v19, 0, 0x40100000, vcc_lo
	s_delay_alu instid0(VALU_DEP_3) | instskip(SKIP_2) | instid1(VALU_DEP_4)
	v_add_f64 v[67:68], v[57:58], -v[59:60]
	v_add_f64 v[45:46], v[45:46], -v[59:60]
	;; [unrolled: 1-line block ×3, first 2 shown]
	v_add_f64 v[49:50], v[49:50], v[18:19]
	s_delay_alu instid0(VALU_DEP_4) | instskip(NEXT) | instid1(VALU_DEP_3)
	v_add_f64 v[59:60], v[61:62], -v[67:68]
	v_add_f64 v[25:26], v[25:26], v[57:58]
	s_delay_alu instid0(VALU_DEP_3) | instskip(NEXT) | instid1(VALU_DEP_3)
	v_add_f64 v[65:66], v[53:54], v[49:50]
	v_add_f64 v[45:46], v[45:46], v[59:60]
	s_delay_alu instid0(VALU_DEP_2) | instskip(NEXT) | instid1(VALU_DEP_2)
	v_cvt_i32_f64_e32 v19, v[65:66]
	v_add_f64 v[25:26], v[45:46], v[25:26]
	s_delay_alu instid0(VALU_DEP_2) | instskip(NEXT) | instid1(VALU_DEP_2)
	v_cvt_f64_i32_e32 v[63:64], v19
	v_add_f64 v[23:24], v[23:24], v[25:26]
	s_delay_alu instid0(VALU_DEP_2) | instskip(NEXT) | instid1(VALU_DEP_2)
	v_add_f64 v[49:50], v[49:50], -v[63:64]
	v_add_f64 v[23:24], v[47:48], v[23:24]
	s_delay_alu instid0(VALU_DEP_2) | instskip(NEXT) | instid1(VALU_DEP_1)
	v_add_f64 v[45:46], v[53:54], v[49:50]
	v_add_f64 v[25:26], v[45:46], -v[49:50]
	v_cmp_le_f64_e32 vcc_lo, 0.5, v[45:46]
	s_delay_alu instid0(VALU_DEP_2) | instskip(SKIP_2) | instid1(VALU_DEP_3)
	v_add_f64 v[25:26], v[53:54], -v[25:26]
	v_add_co_ci_u32_e64 v28, s4, 0, v19, vcc_lo
	v_cndmask_b32_e64 v19, 0, 0x3ff00000, vcc_lo
	v_add_f64 v[23:24], v[23:24], v[25:26]
	s_delay_alu instid0(VALU_DEP_2) | instskip(NEXT) | instid1(VALU_DEP_1)
	v_add_f64 v[25:26], v[45:46], -v[18:19]
	v_add_f64 v[45:46], v[25:26], v[23:24]
	s_delay_alu instid0(VALU_DEP_1) | instskip(SKIP_1) | instid1(VALU_DEP_2)
	v_mul_f64 v[47:48], v[45:46], s[20:21]
	v_add_f64 v[25:26], v[45:46], -v[25:26]
	v_fma_f64 v[49:50], v[45:46], s[20:21], -v[47:48]
	s_delay_alu instid0(VALU_DEP_2) | instskip(NEXT) | instid1(VALU_DEP_2)
	v_add_f64 v[23:24], v[23:24], -v[25:26]
	v_fma_f64 v[25:26], v[45:46], s[26:27], v[49:50]
	s_delay_alu instid0(VALU_DEP_1) | instskip(NEXT) | instid1(VALU_DEP_1)
	v_fma_f64 v[25:26], v[23:24], s[20:21], v[25:26]
	v_add_f64 v[23:24], v[47:48], v[25:26]
	s_delay_alu instid0(VALU_DEP_1) | instskip(NEXT) | instid1(VALU_DEP_1)
	v_add_f64 v[45:46], v[23:24], -v[47:48]
	v_add_f64 v[25:26], v[25:26], -v[45:46]
	s_and_not1_saveexec_b32 s4, s5
	s_cbranch_execnz .LBB248_368
	s_branch .LBB248_369
.LBB248_367:                            ;   in Loop: Header=BB248_217 Depth=1
	s_and_not1_saveexec_b32 s4, s5
	s_cbranch_execz .LBB248_369
.LBB248_368:                            ;   in Loop: Header=BB248_217 Depth=1
	v_mul_f64 v[23:24], |v[12:13]|, s[28:29]
	s_mov_b32 s24, s30
	s_delay_alu instid0(VALU_DEP_1) | instskip(NEXT) | instid1(VALU_DEP_1)
	v_rndne_f64_e32 v[45:46], v[23:24]
	v_fma_f64 v[23:24], v[45:46], s[22:23], |v[12:13]|
	v_mul_f64 v[25:26], v[45:46], s[30:31]
	v_cvt_i32_f64_e32 v28, v[45:46]
	s_delay_alu instid0(VALU_DEP_3) | instskip(NEXT) | instid1(VALU_DEP_3)
	v_fma_f64 v[49:50], v[45:46], s[30:31], v[23:24]
	v_add_f64 v[47:48], v[23:24], v[25:26]
	s_delay_alu instid0(VALU_DEP_1) | instskip(NEXT) | instid1(VALU_DEP_3)
	v_add_f64 v[23:24], v[23:24], -v[47:48]
	v_add_f64 v[47:48], v[47:48], -v[49:50]
	s_delay_alu instid0(VALU_DEP_2) | instskip(SKIP_1) | instid1(VALU_DEP_2)
	v_add_f64 v[23:24], v[23:24], v[25:26]
	v_fma_f64 v[25:26], v[45:46], s[24:25], v[25:26]
	v_add_f64 v[23:24], v[47:48], v[23:24]
	s_delay_alu instid0(VALU_DEP_1) | instskip(NEXT) | instid1(VALU_DEP_1)
	v_add_f64 v[23:24], v[23:24], -v[25:26]
	v_fma_f64 v[25:26], v[45:46], s[34:35], v[23:24]
	s_delay_alu instid0(VALU_DEP_1) | instskip(NEXT) | instid1(VALU_DEP_1)
	v_add_f64 v[23:24], v[49:50], v[25:26]
	v_add_f64 v[47:48], v[23:24], -v[49:50]
	s_delay_alu instid0(VALU_DEP_1)
	v_add_f64 v[25:26], v[25:26], -v[47:48]
.LBB248_369:                            ;   in Loop: Header=BB248_217 Depth=1
	s_or_b32 exec_lo, exec_lo, s4
	v_mul_f64 v[45:46], v[10:11], v[10:11]
	v_mul_f64 v[47:48], v[23:24], v[23:24]
	s_delay_alu instid0(VALU_DEP_3) | instskip(NEXT) | instid1(VALU_DEP_4)
	v_mul_f64 v[65:66], v[21:22], 0.5
	v_mul_f64 v[71:72], v[25:26], 0.5
	s_mov_b32 s88, s60
	v_cmp_class_f64_e64 s4, v[12:13], 0x1f8
	v_and_b32_e32 v19, 1, v27
	v_lshlrev_b32_e32 v12, 30, v28
	v_and_b32_e32 v13, 1, v28
	s_delay_alu instid0(VALU_DEP_3) | instskip(SKIP_1) | instid1(VALU_DEP_4)
	v_cmp_eq_u32_e32 vcc_lo, 0, v19
	v_lshlrev_b32_e32 v19, 30, v27
	v_xor_b32_e32 v12, v12, v20
	s_delay_alu instid0(VALU_DEP_4) | instskip(NEXT) | instid1(VALU_DEP_3)
	v_cmp_eq_u32_e64 s5, 0, v13
	v_and_b32_e32 v13, 0x80000000, v19
	s_delay_alu instid0(VALU_DEP_3)
	v_and_b32_e32 v12, 0x80000000, v12
	v_fma_f64 v[49:50], v[45:46], s[78:79], s[76:77]
	v_fma_f64 v[51:52], v[47:48], s[78:79], s[76:77]
	;; [unrolled: 1-line block ×3, first 2 shown]
	v_mul_f64 v[55:56], v[45:46], 0.5
	v_fma_f64 v[57:58], v[47:48], s[68:69], s[66:67]
	v_mul_f64 v[59:60], v[47:48], 0.5
	v_mul_f64 v[67:68], v[10:11], -v[45:46]
	v_mul_f64 v[73:74], v[23:24], -v[47:48]
	v_fma_f64 v[49:50], v[45:46], v[49:50], s[80:81]
	v_fma_f64 v[51:52], v[47:48], v[51:52], s[80:81]
	;; [unrolled: 1-line block ×3, first 2 shown]
	v_add_f64 v[61:62], -v[55:56], 1.0
	v_fma_f64 v[57:58], v[47:48], v[57:58], s[70:71]
	v_add_f64 v[63:64], -v[59:60], 1.0
	v_fma_f64 v[49:50], v[45:46], v[49:50], s[82:83]
	v_fma_f64 v[51:52], v[47:48], v[51:52], s[82:83]
	;; [unrolled: 1-line block ×3, first 2 shown]
	v_add_f64 v[69:70], -v[61:62], 1.0
	v_fma_f64 v[57:58], v[47:48], v[57:58], s[72:73]
	v_add_f64 v[75:76], -v[63:64], 1.0
	v_fma_f64 v[49:50], v[45:46], v[49:50], s[56:57]
	v_fma_f64 v[51:52], v[47:48], v[51:52], s[56:57]
	;; [unrolled: 1-line block ×3, first 2 shown]
	v_add_f64 v[55:56], v[69:70], -v[55:56]
	v_fma_f64 v[57:58], v[47:48], v[57:58], s[74:75]
	v_add_f64 v[59:60], v[75:76], -v[59:60]
	v_fma_f64 v[49:50], v[67:68], v[49:50], v[65:66]
	v_fma_f64 v[51:52], v[73:74], v[51:52], v[71:72]
	v_mul_f64 v[65:66], v[45:46], v[45:46]
	v_fma_f64 v[53:54], v[45:46], v[53:54], s[60:61]
	v_fma_f64 v[55:56], v[10:11], -v[21:22], v[55:56]
	v_fma_f64 v[21:22], v[45:46], v[49:50], -v[21:22]
	v_mul_f64 v[45:46], v[47:48], v[47:48]
	v_fma_f64 v[49:50], v[47:48], v[57:58], s[60:61]
	v_fma_f64 v[57:58], v[23:24], -v[25:26], v[59:60]
	v_fma_f64 v[25:26], v[47:48], v[51:52], -v[25:26]
	v_fma_f64 v[47:48], v[65:66], v[53:54], v[55:56]
	v_fma_f64 v[21:22], v[67:68], s[88:89], v[21:22]
	s_delay_alu instid0(VALU_DEP_4) | instskip(NEXT) | instid1(VALU_DEP_4)
	v_fma_f64 v[45:46], v[45:46], v[49:50], v[57:58]
	v_fma_f64 v[25:26], v[73:74], s[88:89], v[25:26]
	s_delay_alu instid0(VALU_DEP_4) | instskip(NEXT) | instid1(VALU_DEP_4)
	v_add_f64 v[47:48], v[61:62], v[47:48]
	v_add_f64 v[10:11], v[10:11], -v[21:22]
	s_delay_alu instid0(VALU_DEP_4) | instskip(NEXT) | instid1(VALU_DEP_4)
	v_add_f64 v[21:22], v[63:64], v[45:46]
	v_add_f64 v[23:24], v[23:24], -v[25:26]
	s_delay_alu instid0(VALU_DEP_3) | instskip(NEXT) | instid1(VALU_DEP_4)
	v_cndmask_b32_e32 v10, v10, v47, vcc_lo
	v_xor_b32_e32 v11, 0x80000000, v11
	s_delay_alu instid0(VALU_DEP_3) | instskip(NEXT) | instid1(VALU_DEP_4)
	v_cndmask_b32_e64 v20, v22, v24, s5
	v_cndmask_b32_e64 v19, v21, v23, s5
	s_delay_alu instid0(VALU_DEP_3) | instskip(SKIP_1) | instid1(VALU_DEP_4)
	v_cndmask_b32_e32 v11, v11, v48, vcc_lo
	v_cndmask_b32_e64 v21, 0, v10, s4
	v_xor_b32_e32 v12, v20, v12
	s_delay_alu instid0(VALU_DEP_4) | instskip(NEXT) | instid1(VALU_DEP_4)
	v_cndmask_b32_e64 v19, 0, v19, s4
	v_xor_b32_e32 v11, v11, v13
	s_delay_alu instid0(VALU_DEP_3) | instskip(NEXT) | instid1(VALU_DEP_2)
	v_cndmask_b32_e64 v20, 0x7ff80000, v12, s4
	v_cndmask_b32_e64 v22, 0x7ff80000, v11, s4
.LBB248_370:                            ;   in Loop: Header=BB248_217 Depth=1
	s_or_b32 exec_lo, exec_lo, s6
                                        ; implicit-def: $vgpr10_vgpr11
.LBB248_371:                            ;   in Loop: Header=BB248_217 Depth=1
	s_and_not1_saveexec_b32 s5, s17
	s_cbranch_execz .LBB248_373
; %bb.372:                              ;   in Loop: Header=BB248_217 Depth=1
	s_mov_b32 s36, s38
	s_mov_b32 s59, s57
	v_mul_f64 v[12:13], v[10:11], s[36:37]
	s_mov_b32 s87, s61
	v_cmp_ngt_f64_e32 vcc_lo, 0xc0900000, v[10:11]
	v_cmp_nlt_f64_e64 s4, 0x4090cc00, v[10:11]
	s_delay_alu instid0(VALU_DEP_3) | instskip(NEXT) | instid1(VALU_DEP_1)
	v_rndne_f64_e32 v[12:13], v[12:13]
	v_fma_f64 v[21:22], v[12:13], s[40:41], -v[10:11]
	v_cvt_i32_f64_e32 v25, v[12:13]
	s_delay_alu instid0(VALU_DEP_2) | instskip(NEXT) | instid1(VALU_DEP_1)
	v_fma_f64 v[21:22], v[12:13], s[42:43], v[21:22]
	v_fma_f64 v[23:24], v[21:22], s[46:47], s[44:45]
	s_delay_alu instid0(VALU_DEP_1) | instskip(NEXT) | instid1(VALU_DEP_1)
	v_fma_f64 v[23:24], v[21:22], v[23:24], s[48:49]
	v_fma_f64 v[23:24], v[21:22], v[23:24], s[50:51]
	s_delay_alu instid0(VALU_DEP_1) | instskip(NEXT) | instid1(VALU_DEP_1)
	;; [unrolled: 3-line block ×5, first 2 shown]
	v_fma_f64 v[23:24], v[21:22], v[23:24], 1.0
	v_fma_f64 v[12:13], v[21:22], v[23:24], 1.0
	s_delay_alu instid0(VALU_DEP_1) | instskip(NEXT) | instid1(VALU_DEP_1)
	v_ldexp_f64 v[12:13], v[12:13], v25
	v_cndmask_b32_e32 v13, 0x7ff00000, v13, vcc_lo
	s_and_b32 vcc_lo, s4, vcc_lo
	s_delay_alu instid0(VALU_DEP_2) | instskip(NEXT) | instid1(VALU_DEP_2)
	v_cndmask_b32_e32 v21, 0, v12, vcc_lo
	v_cndmask_b32_e64 v22, 0, v13, s4
.LBB248_373:                            ;   in Loop: Header=BB248_217 Depth=1
	s_or_b32 exec_lo, exec_lo, s5
	s_delay_alu instid0(VALU_DEP_1) | instskip(NEXT) | instid1(VALU_DEP_2)
	v_add_f64 v[21:22], s[8:9], v[21:22]
	v_add_f64 v[19:20], s[10:11], v[19:20]
                                        ; implicit-def: $vgpr12_vgpr13
	s_delay_alu instid0(VALU_DEP_2) | instskip(NEXT) | instid1(VALU_DEP_2)
	v_cmp_gt_f64_e32 vcc_lo, 0, v[21:22]
	v_cmp_gt_f64_e64 s4, 0, v[19:20]
	v_xor_b32_e32 v10, 0x80000000, v22
	v_xor_b32_e32 v11, 0x80000000, v20
	s_delay_alu instid0(VALU_DEP_2) | instskip(NEXT) | instid1(VALU_DEP_2)
	v_dual_cndmask_b32 v24, v22, v10 :: v_dual_cndmask_b32 v23, v21, v21
	v_cndmask_b32_e64 v26, v20, v11, s4
	v_cndmask_b32_e64 v25, v19, v19, s4
	s_mov_b32 s4, exec_lo
	s_delay_alu instid0(VALU_DEP_1)
	v_cmpx_ge_f64_e32 v[23:24], v[25:26]
	s_xor_b32 s5, exec_lo, s4
	s_cbranch_execz .LBB248_379
; %bb.374:                              ;   in Loop: Header=BB248_217 Depth=1
	v_cmp_neq_f64_e32 vcc_lo, 0, v[21:22]
	v_cmp_neq_f64_e64 s4, 0, v[19:20]
                                        ; implicit-def: $vgpr12_vgpr13
	s_delay_alu instid0(VALU_DEP_1) | instskip(NEXT) | instid1(SALU_CYCLE_1)
	s_or_b32 s4, vcc_lo, s4
	s_and_saveexec_b32 s6, s4
	s_delay_alu instid0(SALU_CYCLE_1)
	s_xor_b32 s4, exec_lo, s6
	s_cbranch_execz .LBB248_376
; %bb.375:                              ;   in Loop: Header=BB248_217 Depth=1
	v_div_scale_f64 v[10:11], null, v[21:22], v[21:22], v[19:20]
	v_div_scale_f64 v[25:26], vcc_lo, v[19:20], v[21:22], v[19:20]
	s_delay_alu instid0(VALU_DEP_2) | instskip(SKIP_2) | instid1(VALU_DEP_1)
	v_rcp_f64_e32 v[12:13], v[10:11]
	s_waitcnt_depctr 0xfff
	v_fma_f64 v[23:24], -v[10:11], v[12:13], 1.0
	v_fma_f64 v[12:13], v[12:13], v[23:24], v[12:13]
	s_delay_alu instid0(VALU_DEP_1) | instskip(NEXT) | instid1(VALU_DEP_1)
	v_fma_f64 v[23:24], -v[10:11], v[12:13], 1.0
	v_fma_f64 v[12:13], v[12:13], v[23:24], v[12:13]
	s_delay_alu instid0(VALU_DEP_1) | instskip(NEXT) | instid1(VALU_DEP_1)
	v_mul_f64 v[23:24], v[25:26], v[12:13]
	v_fma_f64 v[10:11], -v[10:11], v[23:24], v[25:26]
	s_delay_alu instid0(VALU_DEP_1) | instskip(NEXT) | instid1(VALU_DEP_1)
	v_div_fmas_f64 v[10:11], v[10:11], v[12:13], v[23:24]
	v_div_fixup_f64 v[10:11], v[10:11], v[21:22], v[19:20]
	s_delay_alu instid0(VALU_DEP_1) | instskip(NEXT) | instid1(VALU_DEP_1)
	v_fma_f64 v[12:13], v[19:20], v[10:11], v[21:22]
	v_div_scale_f64 v[19:20], null, v[12:13], v[12:13], 1.0
	v_div_scale_f64 v[25:26], vcc_lo, 1.0, v[12:13], 1.0
	s_delay_alu instid0(VALU_DEP_2) | instskip(SKIP_2) | instid1(VALU_DEP_1)
	v_rcp_f64_e32 v[21:22], v[19:20]
	s_waitcnt_depctr 0xfff
	v_fma_f64 v[23:24], -v[19:20], v[21:22], 1.0
	v_fma_f64 v[21:22], v[21:22], v[23:24], v[21:22]
	s_delay_alu instid0(VALU_DEP_1) | instskip(NEXT) | instid1(VALU_DEP_1)
	v_fma_f64 v[23:24], -v[19:20], v[21:22], 1.0
	v_fma_f64 v[21:22], v[21:22], v[23:24], v[21:22]
	s_delay_alu instid0(VALU_DEP_1) | instskip(NEXT) | instid1(VALU_DEP_1)
	v_mul_f64 v[23:24], v[25:26], v[21:22]
	v_fma_f64 v[19:20], -v[19:20], v[23:24], v[25:26]
                                        ; implicit-def: $vgpr25_vgpr26
	s_delay_alu instid0(VALU_DEP_1) | instskip(SKIP_1) | instid1(VALU_DEP_2)
	v_div_fmas_f64 v[19:20], v[19:20], v[21:22], v[23:24]
	v_fma_f64 v[21:22], s[10:11], v[10:11], s[8:9]
                                        ; implicit-def: $vgpr23_vgpr24
	v_div_fixup_f64 v[12:13], v[19:20], v[12:13], 1.0
	v_fma_f64 v[19:20], -s[8:9], v[10:11], s[10:11]
	s_delay_alu instid0(VALU_DEP_2) | instskip(NEXT) | instid1(VALU_DEP_2)
	v_mul_f64 v[10:11], v[21:22], v[12:13]
	v_mul_f64 v[12:13], v[19:20], v[12:13]
.LBB248_376:                            ;   in Loop: Header=BB248_217 Depth=1
	s_and_not1_saveexec_b32 s6, s4
	s_cbranch_execz .LBB248_378
; %bb.377:                              ;   in Loop: Header=BB248_217 Depth=1
	v_div_scale_f64 v[10:11], null, v[23:24], v[23:24], s[8:9]
	v_div_scale_f64 v[12:13], null, v[25:26], v[25:26], s[10:11]
	v_div_scale_f64 v[47:48], vcc_lo, s[8:9], v[23:24], s[8:9]
	s_delay_alu instid0(VALU_DEP_3) | instskip(NEXT) | instid1(VALU_DEP_2)
	v_rcp_f64_e32 v[19:20], v[10:11]
	v_rcp_f64_e32 v[21:22], v[12:13]
	s_waitcnt_depctr 0xfff
	v_fma_f64 v[27:28], -v[10:11], v[19:20], 1.0
	v_fma_f64 v[45:46], -v[12:13], v[21:22], 1.0
	s_delay_alu instid0(VALU_DEP_2) | instskip(NEXT) | instid1(VALU_DEP_2)
	v_fma_f64 v[19:20], v[19:20], v[27:28], v[19:20]
	v_fma_f64 v[21:22], v[21:22], v[45:46], v[21:22]
	s_delay_alu instid0(VALU_DEP_2) | instskip(NEXT) | instid1(VALU_DEP_2)
	v_fma_f64 v[27:28], -v[10:11], v[19:20], 1.0
	v_fma_f64 v[45:46], -v[12:13], v[21:22], 1.0
	s_delay_alu instid0(VALU_DEP_2) | instskip(SKIP_1) | instid1(VALU_DEP_3)
	v_fma_f64 v[19:20], v[19:20], v[27:28], v[19:20]
	v_div_scale_f64 v[27:28], s4, s[10:11], v[25:26], s[10:11]
	v_fma_f64 v[21:22], v[21:22], v[45:46], v[21:22]
	s_delay_alu instid0(VALU_DEP_3) | instskip(NEXT) | instid1(VALU_DEP_2)
	v_mul_f64 v[45:46], v[47:48], v[19:20]
	v_mul_f64 v[49:50], v[27:28], v[21:22]
	s_delay_alu instid0(VALU_DEP_2) | instskip(NEXT) | instid1(VALU_DEP_2)
	v_fma_f64 v[10:11], -v[10:11], v[45:46], v[47:48]
	v_fma_f64 v[12:13], -v[12:13], v[49:50], v[27:28]
	s_delay_alu instid0(VALU_DEP_2) | instskip(SKIP_1) | instid1(VALU_DEP_2)
	v_div_fmas_f64 v[10:11], v[10:11], v[19:20], v[45:46]
	s_mov_b32 vcc_lo, s4
	v_div_fmas_f64 v[12:13], v[12:13], v[21:22], v[49:50]
	s_delay_alu instid0(VALU_DEP_2) | instskip(NEXT) | instid1(VALU_DEP_2)
	v_div_fixup_f64 v[10:11], v[10:11], v[23:24], s[8:9]
	v_div_fixup_f64 v[12:13], v[12:13], v[25:26], s[10:11]
.LBB248_378:                            ;   in Loop: Header=BB248_217 Depth=1
	s_or_b32 exec_lo, exec_lo, s6
                                        ; implicit-def: $vgpr19_vgpr20
                                        ; implicit-def: $vgpr21_vgpr22
.LBB248_379:                            ;   in Loop: Header=BB248_217 Depth=1
	s_and_not1_saveexec_b32 s4, s5
	s_cbranch_execz .LBB248_381
; %bb.380:                              ;   in Loop: Header=BB248_217 Depth=1
	v_div_scale_f64 v[10:11], null, v[19:20], v[19:20], v[21:22]
	v_div_scale_f64 v[25:26], vcc_lo, v[21:22], v[19:20], v[21:22]
	s_delay_alu instid0(VALU_DEP_2) | instskip(SKIP_2) | instid1(VALU_DEP_1)
	v_rcp_f64_e32 v[12:13], v[10:11]
	s_waitcnt_depctr 0xfff
	v_fma_f64 v[23:24], -v[10:11], v[12:13], 1.0
	v_fma_f64 v[12:13], v[12:13], v[23:24], v[12:13]
	s_delay_alu instid0(VALU_DEP_1) | instskip(NEXT) | instid1(VALU_DEP_1)
	v_fma_f64 v[23:24], -v[10:11], v[12:13], 1.0
	v_fma_f64 v[12:13], v[12:13], v[23:24], v[12:13]
	s_delay_alu instid0(VALU_DEP_1) | instskip(NEXT) | instid1(VALU_DEP_1)
	v_mul_f64 v[23:24], v[25:26], v[12:13]
	v_fma_f64 v[10:11], -v[10:11], v[23:24], v[25:26]
	s_delay_alu instid0(VALU_DEP_1) | instskip(NEXT) | instid1(VALU_DEP_1)
	v_div_fmas_f64 v[10:11], v[10:11], v[12:13], v[23:24]
	v_div_fixup_f64 v[10:11], v[10:11], v[19:20], v[21:22]
	s_delay_alu instid0(VALU_DEP_1) | instskip(NEXT) | instid1(VALU_DEP_1)
	v_fma_f64 v[12:13], v[21:22], v[10:11], v[19:20]
	v_div_scale_f64 v[19:20], null, v[12:13], v[12:13], 1.0
	v_div_scale_f64 v[25:26], vcc_lo, 1.0, v[12:13], 1.0
	s_delay_alu instid0(VALU_DEP_2) | instskip(SKIP_2) | instid1(VALU_DEP_1)
	v_rcp_f64_e32 v[21:22], v[19:20]
	s_waitcnt_depctr 0xfff
	v_fma_f64 v[23:24], -v[19:20], v[21:22], 1.0
	v_fma_f64 v[21:22], v[21:22], v[23:24], v[21:22]
	s_delay_alu instid0(VALU_DEP_1) | instskip(NEXT) | instid1(VALU_DEP_1)
	v_fma_f64 v[23:24], -v[19:20], v[21:22], 1.0
	v_fma_f64 v[21:22], v[21:22], v[23:24], v[21:22]
	s_delay_alu instid0(VALU_DEP_1) | instskip(NEXT) | instid1(VALU_DEP_1)
	v_mul_f64 v[23:24], v[25:26], v[21:22]
	v_fma_f64 v[19:20], -v[19:20], v[23:24], v[25:26]
	s_delay_alu instid0(VALU_DEP_1) | instskip(SKIP_1) | instid1(VALU_DEP_2)
	v_div_fmas_f64 v[19:20], v[19:20], v[21:22], v[23:24]
	v_fma_f64 v[21:22], s[8:9], v[10:11], s[10:11]
	v_div_fixup_f64 v[12:13], v[19:20], v[12:13], 1.0
	v_fma_f64 v[19:20], s[10:11], v[10:11], -s[8:9]
	s_delay_alu instid0(VALU_DEP_2) | instskip(NEXT) | instid1(VALU_DEP_2)
	v_mul_f64 v[10:11], v[21:22], v[12:13]
	v_mul_f64 v[12:13], v[19:20], v[12:13]
.LBB248_381:                            ;   in Loop: Header=BB248_217 Depth=1
	s_or_b32 exec_lo, exec_lo, s4
	v_xor_b32_e32 v20, 0x80000000, v5
	s_delay_alu instid0(VALU_DEP_1) | instskip(NEXT) | instid1(VALU_DEP_1)
	v_dual_mov_b32 v19, v4 :: v_dual_and_b32 v26, 0x7fffffff, v20
	v_or_b32_e32 v21, v26, v19
	s_delay_alu instid0(VALU_DEP_1) | instskip(SKIP_1) | instid1(SALU_CYCLE_1)
	v_cmp_ne_u32_e32 vcc_lo, 0, v21
                                        ; implicit-def: $vgpr21_vgpr22
	s_and_saveexec_b32 s4, vcc_lo
	s_xor_b32 s17, exec_lo, s4
	s_cbranch_execz .LBB248_423
; %bb.382:                              ;   in Loop: Header=BB248_217 Depth=1
	v_xor_b32_e32 v24, 0x80000000, v3
	v_mov_b32_e32 v23, v2
                                        ; implicit-def: $vgpr21_vgpr22
	s_mov_b32 s4, exec_lo
	s_delay_alu instid0(VALU_DEP_2) | instskip(NEXT) | instid1(VALU_DEP_1)
	v_and_b32_e32 v25, 0x7fffffff, v24
	v_or_b32_e32 v19, v25, v23
	s_delay_alu instid0(VALU_DEP_1)
	v_cmpx_ne_u32_e32 0, v19
	s_xor_b32 s96, exec_lo, s4
	s_cbranch_execz .LBB248_412
; %bb.383:                              ;   in Loop: Header=BB248_217 Depth=1
                                        ; implicit-def: $vgpr21_vgpr22
	s_mov_b32 s4, exec_lo
	v_cmpx_gt_u32_e32 0x7ff00000, v26
	s_xor_b32 s97, exec_lo, s4
	s_cbranch_execz .LBB248_405
; %bb.384:                              ;   in Loop: Header=BB248_217 Depth=1
	v_add_nc_u32_e32 v19, 0xbf79d1be, v24
                                        ; implicit-def: $vgpr21_vgpr22
	s_mov_b32 s4, exec_lo
	s_delay_alu instid0(VALU_DEP_1)
	v_cmpx_lt_u32_e32 0x108aa2, v19
	s_xor_b32 s98, exec_lo, s4
	s_cbranch_execz .LBB248_394
; %bb.385:                              ;   in Loop: Header=BB248_217 Depth=1
	v_cmp_ngt_f64_e64 s5, 0x41d00000, |v[4:5]|
                                        ; implicit-def: $vgpr45
                                        ; implicit-def: $vgpr21_vgpr22
                                        ; implicit-def: $vgpr23_vgpr24
	s_delay_alu instid0(VALU_DEP_1) | instskip(NEXT) | instid1(SALU_CYCLE_1)
	s_and_saveexec_b32 s4, s5
	s_xor_b32 s6, exec_lo, s4
	s_cbranch_execz .LBB248_387
; %bb.386:                              ;   in Loop: Header=BB248_217 Depth=1
	v_ldexp_f64 v[21:22], |v[4:5]|, 0xffffff80
	v_cmp_le_f64_e64 vcc_lo, 0x7b000000, |v[4:5]|
	v_trig_preop_f64 v[23:24], |v[4:5]|, 0
	v_and_b32_e32 v19, 0x7fffffff, v5
	v_trig_preop_f64 v[25:26], |v[4:5]|, 1
	v_trig_preop_f64 v[51:52], |v[4:5]|, 2
	s_mov_b32 s20, s22
	s_mov_b32 s27, s25
	v_dual_cndmask_b32 v22, v19, v22 :: v_dual_cndmask_b32 v21, v4, v21
	s_delay_alu instid0(VALU_DEP_1) | instskip(NEXT) | instid1(VALU_DEP_4)
	v_mul_f64 v[27:28], v[23:24], v[21:22]
	v_mul_f64 v[45:46], v[25:26], v[21:22]
	s_delay_alu instid0(VALU_DEP_4) | instskip(NEXT) | instid1(VALU_DEP_3)
	v_mul_f64 v[57:58], v[51:52], v[21:22]
	v_fma_f64 v[23:24], v[23:24], v[21:22], -v[27:28]
	s_delay_alu instid0(VALU_DEP_3) | instskip(NEXT) | instid1(VALU_DEP_3)
	v_fma_f64 v[25:26], v[25:26], v[21:22], -v[45:46]
	v_fma_f64 v[21:22], v[51:52], v[21:22], -v[57:58]
	s_delay_alu instid0(VALU_DEP_3) | instskip(NEXT) | instid1(VALU_DEP_1)
	v_add_f64 v[47:48], v[45:46], v[23:24]
	v_add_f64 v[49:50], v[47:48], -v[45:46]
	v_add_f64 v[55:56], v[27:28], v[47:48]
	s_delay_alu instid0(VALU_DEP_2) | instskip(SKIP_1) | instid1(VALU_DEP_3)
	v_add_f64 v[53:54], v[47:48], -v[49:50]
	v_add_f64 v[23:24], v[23:24], -v[49:50]
	v_ldexp_f64 v[49:50], v[55:56], -2
	v_add_f64 v[27:28], v[55:56], -v[27:28]
	s_delay_alu instid0(VALU_DEP_4) | instskip(SKIP_1) | instid1(VALU_DEP_4)
	v_add_f64 v[45:46], v[45:46], -v[53:54]
	v_add_f64 v[53:54], v[57:58], v[25:26]
	v_cmp_neq_f64_e64 vcc_lo, 0x7ff00000, |v[49:50]|
	s_delay_alu instid0(VALU_DEP_4) | instskip(NEXT) | instid1(VALU_DEP_4)
	v_add_f64 v[27:28], v[47:48], -v[27:28]
	v_add_f64 v[23:24], v[23:24], v[45:46]
	v_fract_f64_e32 v[45:46], v[49:50]
	s_delay_alu instid0(VALU_DEP_2) | instskip(NEXT) | instid1(VALU_DEP_2)
	v_add_f64 v[47:48], v[53:54], v[23:24]
	v_dual_cndmask_b32 v46, 0, v46 :: v_dual_cndmask_b32 v45, 0, v45
	s_delay_alu instid0(VALU_DEP_1) | instskip(NEXT) | instid1(VALU_DEP_3)
	v_ldexp_f64 v[45:46], v[45:46], 2
	v_add_f64 v[49:50], v[27:28], v[47:48]
	v_add_f64 v[59:60], v[47:48], -v[53:54]
	s_delay_alu instid0(VALU_DEP_2) | instskip(NEXT) | instid1(VALU_DEP_2)
	v_add_f64 v[55:56], v[49:50], v[45:46]
	v_add_f64 v[65:66], v[47:48], -v[59:60]
	v_add_f64 v[23:24], v[23:24], -v[59:60]
	;; [unrolled: 1-line block ×3, first 2 shown]
	s_delay_alu instid0(VALU_DEP_4) | instskip(SKIP_1) | instid1(VALU_DEP_3)
	v_cmp_gt_f64_e32 vcc_lo, 0, v[55:56]
	v_add_f64 v[55:56], v[53:54], -v[57:58]
	v_add_f64 v[27:28], v[47:48], -v[27:28]
	v_cndmask_b32_e64 v19, 0, 0x40100000, vcc_lo
	s_delay_alu instid0(VALU_DEP_3) | instskip(SKIP_2) | instid1(VALU_DEP_4)
	v_add_f64 v[63:64], v[53:54], -v[55:56]
	v_add_f64 v[25:26], v[25:26], -v[55:56]
	;; [unrolled: 1-line block ×3, first 2 shown]
	v_add_f64 v[45:46], v[45:46], v[18:19]
	s_delay_alu instid0(VALU_DEP_4) | instskip(NEXT) | instid1(VALU_DEP_3)
	v_add_f64 v[55:56], v[57:58], -v[63:64]
	v_add_f64 v[23:24], v[23:24], v[53:54]
	s_delay_alu instid0(VALU_DEP_3) | instskip(NEXT) | instid1(VALU_DEP_3)
	v_add_f64 v[61:62], v[49:50], v[45:46]
	v_add_f64 v[25:26], v[25:26], v[55:56]
	s_delay_alu instid0(VALU_DEP_2) | instskip(NEXT) | instid1(VALU_DEP_2)
	v_cvt_i32_f64_e32 v19, v[61:62]
	v_add_f64 v[23:24], v[25:26], v[23:24]
	s_delay_alu instid0(VALU_DEP_2) | instskip(NEXT) | instid1(VALU_DEP_2)
	v_cvt_f64_i32_e32 v[59:60], v19
	v_add_f64 v[21:22], v[21:22], v[23:24]
	s_delay_alu instid0(VALU_DEP_2) | instskip(NEXT) | instid1(VALU_DEP_2)
	v_add_f64 v[45:46], v[45:46], -v[59:60]
	v_add_f64 v[21:22], v[27:28], v[21:22]
	s_delay_alu instid0(VALU_DEP_2) | instskip(NEXT) | instid1(VALU_DEP_1)
	v_add_f64 v[25:26], v[49:50], v[45:46]
	v_add_f64 v[23:24], v[25:26], -v[45:46]
	v_cmp_le_f64_e32 vcc_lo, 0.5, v[25:26]
	s_delay_alu instid0(VALU_DEP_2) | instskip(SKIP_2) | instid1(VALU_DEP_3)
	v_add_f64 v[23:24], v[49:50], -v[23:24]
	v_add_co_ci_u32_e64 v45, s4, 0, v19, vcc_lo
	v_cndmask_b32_e64 v19, 0, 0x3ff00000, vcc_lo
	v_add_f64 v[21:22], v[21:22], v[23:24]
	s_delay_alu instid0(VALU_DEP_2) | instskip(NEXT) | instid1(VALU_DEP_1)
	v_add_f64 v[23:24], v[25:26], -v[18:19]
	v_add_f64 v[25:26], v[23:24], v[21:22]
	s_delay_alu instid0(VALU_DEP_1) | instskip(SKIP_1) | instid1(VALU_DEP_2)
	v_mul_f64 v[27:28], v[25:26], s[20:21]
	v_add_f64 v[23:24], v[25:26], -v[23:24]
	v_fma_f64 v[46:47], v[25:26], s[20:21], -v[27:28]
	s_delay_alu instid0(VALU_DEP_2) | instskip(NEXT) | instid1(VALU_DEP_2)
	v_add_f64 v[21:22], v[21:22], -v[23:24]
	v_fma_f64 v[23:24], v[25:26], s[26:27], v[46:47]
	s_delay_alu instid0(VALU_DEP_1) | instskip(NEXT) | instid1(VALU_DEP_1)
	v_fma_f64 v[23:24], v[21:22], s[20:21], v[23:24]
	v_add_f64 v[21:22], v[27:28], v[23:24]
	s_delay_alu instid0(VALU_DEP_1) | instskip(NEXT) | instid1(VALU_DEP_1)
	v_add_f64 v[25:26], v[21:22], -v[27:28]
	v_add_f64 v[23:24], v[23:24], -v[25:26]
	s_and_not1_saveexec_b32 s4, s6
	s_cbranch_execz .LBB248_389
	s_branch .LBB248_388
.LBB248_387:                            ;   in Loop: Header=BB248_217 Depth=1
	s_and_not1_saveexec_b32 s4, s6
	s_cbranch_execz .LBB248_389
.LBB248_388:                            ;   in Loop: Header=BB248_217 Depth=1
	v_mul_f64 v[21:22], |v[4:5]|, s[28:29]
	s_mov_b32 s24, s30
	s_delay_alu instid0(VALU_DEP_1) | instskip(NEXT) | instid1(VALU_DEP_1)
	v_rndne_f64_e32 v[25:26], v[21:22]
	v_fma_f64 v[21:22], v[25:26], s[22:23], |v[4:5]|
	v_mul_f64 v[23:24], v[25:26], s[30:31]
	s_delay_alu instid0(VALU_DEP_2) | instskip(NEXT) | instid1(VALU_DEP_2)
	v_fma_f64 v[45:46], v[25:26], s[30:31], v[21:22]
	v_add_f64 v[27:28], v[21:22], v[23:24]
	s_delay_alu instid0(VALU_DEP_1) | instskip(NEXT) | instid1(VALU_DEP_3)
	v_add_f64 v[21:22], v[21:22], -v[27:28]
	v_add_f64 v[27:28], v[27:28], -v[45:46]
	s_delay_alu instid0(VALU_DEP_2) | instskip(SKIP_1) | instid1(VALU_DEP_2)
	v_add_f64 v[21:22], v[21:22], v[23:24]
	v_fma_f64 v[23:24], v[25:26], s[24:25], v[23:24]
	v_add_f64 v[21:22], v[27:28], v[21:22]
	s_delay_alu instid0(VALU_DEP_1) | instskip(NEXT) | instid1(VALU_DEP_1)
	v_add_f64 v[21:22], v[21:22], -v[23:24]
	v_fma_f64 v[23:24], v[25:26], s[34:35], v[21:22]
	s_delay_alu instid0(VALU_DEP_1) | instskip(NEXT) | instid1(VALU_DEP_1)
	v_add_f64 v[21:22], v[45:46], v[23:24]
	v_add_f64 v[27:28], v[21:22], -v[45:46]
	v_cvt_i32_f64_e32 v45, v[25:26]
	s_delay_alu instid0(VALU_DEP_2)
	v_add_f64 v[23:24], v[23:24], -v[27:28]
.LBB248_389:                            ;   in Loop: Header=BB248_217 Depth=1
	s_or_b32 exec_lo, exec_lo, s4
                                        ; implicit-def: $vgpr46
                                        ; implicit-def: $vgpr25_vgpr26
                                        ; implicit-def: $vgpr27_vgpr28
	s_and_saveexec_b32 s4, s5
	s_delay_alu instid0(SALU_CYCLE_1)
	s_xor_b32 s5, exec_lo, s4
	s_cbranch_execz .LBB248_391
; %bb.390:                              ;   in Loop: Header=BB248_217 Depth=1
	v_ldexp_f64 v[25:26], |v[4:5]|, 0xffffff80
	v_cmp_le_f64_e64 vcc_lo, 0x7b000000, |v[4:5]|
	v_trig_preop_f64 v[27:28], |v[4:5]|, 0
	v_and_b32_e32 v19, 0x7fffffff, v5
	v_trig_preop_f64 v[46:47], |v[4:5]|, 1
	v_trig_preop_f64 v[56:57], |v[4:5]|, 2
	s_mov_b32 s20, s22
	s_mov_b32 s27, s25
	v_dual_cndmask_b32 v26, v19, v26 :: v_dual_cndmask_b32 v25, v4, v25
	s_delay_alu instid0(VALU_DEP_1) | instskip(NEXT) | instid1(VALU_DEP_4)
	v_mul_f64 v[48:49], v[27:28], v[25:26]
	v_mul_f64 v[50:51], v[46:47], v[25:26]
	s_delay_alu instid0(VALU_DEP_4) | instskip(NEXT) | instid1(VALU_DEP_3)
	v_mul_f64 v[62:63], v[56:57], v[25:26]
	v_fma_f64 v[27:28], v[27:28], v[25:26], -v[48:49]
	s_delay_alu instid0(VALU_DEP_3) | instskip(NEXT) | instid1(VALU_DEP_3)
	v_fma_f64 v[46:47], v[46:47], v[25:26], -v[50:51]
	v_fma_f64 v[25:26], v[56:57], v[25:26], -v[62:63]
	s_delay_alu instid0(VALU_DEP_3) | instskip(NEXT) | instid1(VALU_DEP_1)
	v_add_f64 v[52:53], v[50:51], v[27:28]
	v_add_f64 v[54:55], v[52:53], -v[50:51]
	v_add_f64 v[60:61], v[48:49], v[52:53]
	s_delay_alu instid0(VALU_DEP_2) | instskip(SKIP_1) | instid1(VALU_DEP_3)
	v_add_f64 v[58:59], v[52:53], -v[54:55]
	v_add_f64 v[27:28], v[27:28], -v[54:55]
	v_ldexp_f64 v[54:55], v[60:61], -2
	v_add_f64 v[48:49], v[60:61], -v[48:49]
	s_delay_alu instid0(VALU_DEP_4) | instskip(SKIP_1) | instid1(VALU_DEP_4)
	v_add_f64 v[50:51], v[50:51], -v[58:59]
	v_add_f64 v[58:59], v[62:63], v[46:47]
	v_cmp_neq_f64_e64 vcc_lo, 0x7ff00000, |v[54:55]|
	s_delay_alu instid0(VALU_DEP_4) | instskip(NEXT) | instid1(VALU_DEP_4)
	v_add_f64 v[48:49], v[52:53], -v[48:49]
	v_add_f64 v[27:28], v[27:28], v[50:51]
	v_fract_f64_e32 v[50:51], v[54:55]
	s_delay_alu instid0(VALU_DEP_2) | instskip(NEXT) | instid1(VALU_DEP_2)
	v_add_f64 v[52:53], v[58:59], v[27:28]
	v_dual_cndmask_b32 v51, 0, v51 :: v_dual_cndmask_b32 v50, 0, v50
	s_delay_alu instid0(VALU_DEP_1) | instskip(NEXT) | instid1(VALU_DEP_3)
	v_ldexp_f64 v[50:51], v[50:51], 2
	v_add_f64 v[54:55], v[48:49], v[52:53]
	v_add_f64 v[64:65], v[52:53], -v[58:59]
	s_delay_alu instid0(VALU_DEP_2) | instskip(NEXT) | instid1(VALU_DEP_2)
	v_add_f64 v[60:61], v[54:55], v[50:51]
	v_add_f64 v[70:71], v[52:53], -v[64:65]
	v_add_f64 v[27:28], v[27:28], -v[64:65]
	;; [unrolled: 1-line block ×3, first 2 shown]
	s_delay_alu instid0(VALU_DEP_4) | instskip(SKIP_2) | instid1(VALU_DEP_2)
	v_cmp_gt_f64_e32 vcc_lo, 0, v[60:61]
	v_add_f64 v[60:61], v[58:59], -v[62:63]
	v_cndmask_b32_e64 v19, 0, 0x40100000, vcc_lo
	v_add_f64 v[68:69], v[58:59], -v[60:61]
	v_add_f64 v[46:47], v[46:47], -v[60:61]
	v_add_f64 v[58:59], v[58:59], -v[70:71]
	s_delay_alu instid0(VALU_DEP_4) | instskip(NEXT) | instid1(VALU_DEP_4)
	v_add_f64 v[50:51], v[50:51], v[18:19]
	v_add_f64 v[60:61], v[62:63], -v[68:69]
	s_delay_alu instid0(VALU_DEP_3) | instskip(NEXT) | instid1(VALU_DEP_3)
	v_add_f64 v[27:28], v[27:28], v[58:59]
	v_add_f64 v[66:67], v[54:55], v[50:51]
	s_delay_alu instid0(VALU_DEP_3) | instskip(NEXT) | instid1(VALU_DEP_2)
	v_add_f64 v[46:47], v[46:47], v[60:61]
	v_cvt_i32_f64_e32 v19, v[66:67]
	s_delay_alu instid0(VALU_DEP_2) | instskip(SKIP_1) | instid1(VALU_DEP_3)
	v_add_f64 v[27:28], v[46:47], v[27:28]
	v_add_f64 v[46:47], v[52:53], -v[48:49]
	v_cvt_f64_i32_e32 v[64:65], v19
	s_delay_alu instid0(VALU_DEP_3) | instskip(NEXT) | instid1(VALU_DEP_2)
	v_add_f64 v[25:26], v[25:26], v[27:28]
	v_add_f64 v[50:51], v[50:51], -v[64:65]
	s_delay_alu instid0(VALU_DEP_2) | instskip(NEXT) | instid1(VALU_DEP_2)
	v_add_f64 v[25:26], v[46:47], v[25:26]
	v_add_f64 v[56:57], v[54:55], v[50:51]
	s_delay_alu instid0(VALU_DEP_1) | instskip(SKIP_1) | instid1(VALU_DEP_2)
	v_add_f64 v[27:28], v[56:57], -v[50:51]
	v_cmp_le_f64_e32 vcc_lo, 0.5, v[56:57]
	v_add_f64 v[27:28], v[54:55], -v[27:28]
	v_add_co_ci_u32_e64 v46, s4, 0, v19, vcc_lo
	v_cndmask_b32_e64 v19, 0, 0x3ff00000, vcc_lo
	s_delay_alu instid0(VALU_DEP_3) | instskip(NEXT) | instid1(VALU_DEP_2)
	v_add_f64 v[25:26], v[25:26], v[27:28]
	v_add_f64 v[27:28], v[56:57], -v[18:19]
	s_delay_alu instid0(VALU_DEP_1) | instskip(NEXT) | instid1(VALU_DEP_1)
	v_add_f64 v[47:48], v[27:28], v[25:26]
	v_mul_f64 v[49:50], v[47:48], s[20:21]
	v_add_f64 v[27:28], v[47:48], -v[27:28]
	s_delay_alu instid0(VALU_DEP_2) | instskip(NEXT) | instid1(VALU_DEP_2)
	v_fma_f64 v[51:52], v[47:48], s[20:21], -v[49:50]
	v_add_f64 v[25:26], v[25:26], -v[27:28]
	s_delay_alu instid0(VALU_DEP_2) | instskip(NEXT) | instid1(VALU_DEP_1)
	v_fma_f64 v[27:28], v[47:48], s[26:27], v[51:52]
	v_fma_f64 v[27:28], v[25:26], s[20:21], v[27:28]
	s_delay_alu instid0(VALU_DEP_1) | instskip(NEXT) | instid1(VALU_DEP_1)
	v_add_f64 v[25:26], v[49:50], v[27:28]
	v_add_f64 v[47:48], v[25:26], -v[49:50]
	s_delay_alu instid0(VALU_DEP_1)
	v_add_f64 v[27:28], v[27:28], -v[47:48]
	s_and_not1_saveexec_b32 s4, s5
	s_cbranch_execnz .LBB248_392
	s_branch .LBB248_393
.LBB248_391:                            ;   in Loop: Header=BB248_217 Depth=1
	s_and_not1_saveexec_b32 s4, s5
	s_cbranch_execz .LBB248_393
.LBB248_392:                            ;   in Loop: Header=BB248_217 Depth=1
	v_mul_f64 v[25:26], |v[4:5]|, s[28:29]
	s_mov_b32 s24, s30
	s_delay_alu instid0(VALU_DEP_1) | instskip(NEXT) | instid1(VALU_DEP_1)
	v_rndne_f64_e32 v[46:47], v[25:26]
	v_fma_f64 v[25:26], v[46:47], s[22:23], |v[4:5]|
	v_mul_f64 v[27:28], v[46:47], s[30:31]
	s_delay_alu instid0(VALU_DEP_2) | instskip(NEXT) | instid1(VALU_DEP_2)
	v_fma_f64 v[50:51], v[46:47], s[30:31], v[25:26]
	v_add_f64 v[48:49], v[25:26], v[27:28]
	s_delay_alu instid0(VALU_DEP_1) | instskip(NEXT) | instid1(VALU_DEP_3)
	v_add_f64 v[25:26], v[25:26], -v[48:49]
	v_add_f64 v[48:49], v[48:49], -v[50:51]
	s_delay_alu instid0(VALU_DEP_2) | instskip(SKIP_1) | instid1(VALU_DEP_2)
	v_add_f64 v[25:26], v[25:26], v[27:28]
	v_fma_f64 v[27:28], v[46:47], s[24:25], v[27:28]
	v_add_f64 v[25:26], v[48:49], v[25:26]
	s_delay_alu instid0(VALU_DEP_1) | instskip(NEXT) | instid1(VALU_DEP_1)
	v_add_f64 v[25:26], v[25:26], -v[27:28]
	v_fma_f64 v[27:28], v[46:47], s[34:35], v[25:26]
	v_cvt_i32_f64_e32 v46, v[46:47]
	s_delay_alu instid0(VALU_DEP_2) | instskip(NEXT) | instid1(VALU_DEP_1)
	v_add_f64 v[25:26], v[50:51], v[27:28]
	v_add_f64 v[48:49], v[25:26], -v[50:51]
	s_delay_alu instid0(VALU_DEP_1)
	v_add_f64 v[27:28], v[27:28], -v[48:49]
.LBB248_393:                            ;   in Loop: Header=BB248_217 Depth=1
	s_or_b32 exec_lo, exec_lo, s4
	s_mov_b32 s36, s38
	v_mul_f64 v[53:54], v[21:22], v[21:22]
	v_mul_f64 v[47:48], v[2:3], s[36:37]
	;; [unrolled: 1-line block ×3, first 2 shown]
	s_mov_b32 s59, s57
	s_mov_b32 s87, s61
	s_delay_alu instid0(VALU_DEP_4)
	v_mul_f64 v[73:74], v[23:24], 0.5
	v_mul_f64 v[79:80], v[27:28], 0.5
	s_mov_b32 s88, s60
	v_cmp_ngt_f64_e64 s5, 0xc0900000, v[2:3]
	v_cmp_nlt_f64_e64 s6, 0x4090cc00, v[2:3]
	v_cmp_class_f64_e64 s4, v[4:5], 0x1f8
	v_fma_f64 v[57:58], v[53:54], s[78:79], s[76:77]
	v_rndne_f64_e32 v[47:48], v[47:48]
	v_fma_f64 v[59:60], v[55:56], s[78:79], s[76:77]
	v_fma_f64 v[61:62], v[53:54], s[68:69], s[66:67]
	v_mul_f64 v[63:64], v[53:54], 0.5
	v_fma_f64 v[65:66], v[55:56], s[68:69], s[66:67]
	v_mul_f64 v[67:68], v[55:56], 0.5
	v_mul_f64 v[75:76], v[21:22], -v[53:54]
	v_mul_f64 v[81:82], v[25:26], -v[55:56]
	v_fma_f64 v[57:58], v[53:54], v[57:58], s[80:81]
	v_fma_f64 v[49:50], v[47:48], s[40:41], -v[2:3]
	v_fma_f64 v[59:60], v[55:56], v[59:60], s[80:81]
	v_fma_f64 v[61:62], v[53:54], v[61:62], s[70:71]
	v_add_f64 v[69:70], -v[63:64], 1.0
	v_fma_f64 v[65:66], v[55:56], v[65:66], s[70:71]
	v_add_f64 v[71:72], -v[67:68], 1.0
	v_cvt_i32_f64_e32 v19, v[47:48]
	v_lshlrev_b32_e32 v3, 30, v45
	v_lshlrev_b32_e32 v2, 30, v46
	s_delay_alu instid0(VALU_DEP_2) | instskip(NEXT) | instid1(VALU_DEP_2)
	v_and_b32_e32 v3, 0x80000000, v3
	v_xor_b32_e32 v2, v2, v20
	s_delay_alu instid0(VALU_DEP_1)
	v_and_b32_e32 v20, 0x80000000, v2
	v_fma_f64 v[57:58], v[53:54], v[57:58], s[82:83]
	v_fma_f64 v[49:50], v[47:48], s[42:43], v[49:50]
	;; [unrolled: 1-line block ×4, first 2 shown]
	v_add_f64 v[77:78], -v[69:70], 1.0
	v_fma_f64 v[65:66], v[55:56], v[65:66], s[72:73]
	v_add_f64 v[83:84], -v[71:72], 1.0
	v_fma_f64 v[57:58], v[53:54], v[57:58], s[56:57]
	v_fma_f64 v[51:52], v[49:50], s[46:47], s[44:45]
	;; [unrolled: 1-line block ×4, first 2 shown]
	v_add_f64 v[63:64], v[77:78], -v[63:64]
	v_fma_f64 v[65:66], v[55:56], v[65:66], s[74:75]
	v_add_f64 v[67:68], v[83:84], -v[67:68]
	v_fma_f64 v[57:58], v[75:76], v[57:58], v[73:74]
	v_fma_f64 v[51:52], v[49:50], v[51:52], s[48:49]
	v_fma_f64 v[59:60], v[81:82], v[59:60], v[79:80]
	v_mul_f64 v[73:74], v[53:54], v[53:54]
	v_fma_f64 v[61:62], v[53:54], v[61:62], s[60:61]
	v_fma_f64 v[63:64], v[21:22], -v[23:24], v[63:64]
	v_fma_f64 v[23:24], v[53:54], v[57:58], -v[23:24]
	v_fma_f64 v[51:52], v[49:50], v[51:52], s[50:51]
	v_mul_f64 v[53:54], v[55:56], v[55:56]
	v_fma_f64 v[57:58], v[55:56], v[65:66], s[60:61]
	v_fma_f64 v[65:66], v[25:26], -v[27:28], v[67:68]
	v_fma_f64 v[27:28], v[55:56], v[59:60], -v[27:28]
	v_fma_f64 v[55:56], v[73:74], v[61:62], v[63:64]
	v_fma_f64 v[23:24], v[75:76], s[88:89], v[23:24]
	;; [unrolled: 1-line block ×3, first 2 shown]
	s_delay_alu instid0(VALU_DEP_4) | instskip(NEXT) | instid1(VALU_DEP_3)
	v_fma_f64 v[27:28], v[81:82], s[88:89], v[27:28]
	v_add_f64 v[21:22], v[21:22], -v[23:24]
	s_delay_alu instid0(VALU_DEP_3) | instskip(NEXT) | instid1(VALU_DEP_3)
	v_fma_f64 v[51:52], v[49:50], v[51:52], s[54:55]
	v_add_f64 v[25:26], v[25:26], -v[27:28]
	s_delay_alu instid0(VALU_DEP_2) | instskip(NEXT) | instid1(VALU_DEP_1)
	v_fma_f64 v[51:52], v[49:50], v[51:52], s[58:59]
	v_fma_f64 v[51:52], v[49:50], v[51:52], s[86:87]
	s_delay_alu instid0(VALU_DEP_1) | instskip(NEXT) | instid1(VALU_DEP_1)
	v_fma_f64 v[51:52], v[49:50], v[51:52], s[62:63]
	v_fma_f64 v[51:52], v[49:50], v[51:52], s[64:65]
	s_delay_alu instid0(VALU_DEP_1) | instskip(NEXT) | instid1(VALU_DEP_1)
	v_fma_f64 v[51:52], v[49:50], v[51:52], 1.0
	v_fma_f64 v[47:48], v[49:50], v[51:52], 1.0
	v_fma_f64 v[49:50], v[53:54], v[57:58], v[65:66]
	v_add_f64 v[51:52], v[69:70], v[55:56]
	s_delay_alu instid0(VALU_DEP_3) | instskip(NEXT) | instid1(VALU_DEP_3)
	v_ldexp_f64 v[23:24], v[47:48], v19
	v_add_f64 v[47:48], v[71:72], v[49:50]
	v_and_b32_e32 v19, 1, v45
	v_and_b32_e32 v4, 1, v46
	s_delay_alu instid0(VALU_DEP_2) | instskip(NEXT) | instid1(VALU_DEP_2)
	v_cmp_eq_u32_e32 vcc_lo, 0, v19
	v_cmp_eq_u32_e64 s7, 0, v4
	v_cndmask_b32_e32 v19, v21, v51, vcc_lo
	v_xor_b32_e32 v21, 0x80000000, v22
	s_delay_alu instid0(VALU_DEP_2) | instskip(NEXT) | instid1(VALU_DEP_2)
	v_cndmask_b32_e64 v2, 0, v19, s4
	v_cndmask_b32_e32 v4, v21, v52, vcc_lo
	s_and_b32 vcc_lo, s6, s5
	s_delay_alu instid0(VALU_DEP_1) | instskip(NEXT) | instid1(VALU_DEP_1)
	v_xor_b32_e32 v3, v4, v3
	v_cndmask_b32_e64 v3, 0x7ff80000, v3, s4
	v_cndmask_b32_e64 v5, 0x7ff00000, v24, s5
	;; [unrolled: 1-line block ×4, first 2 shown]
	v_cndmask_b32_e32 v19, 0, v23, vcc_lo
	s_delay_alu instid0(VALU_DEP_3) | instskip(NEXT) | instid1(VALU_DEP_3)
	v_xor_b32_e32 v22, v22, v20
	v_cndmask_b32_e64 v4, 0, v21, s4
	v_cndmask_b32_e64 v20, 0, v5, s6
	s_delay_alu instid0(VALU_DEP_3) | instskip(NEXT) | instid1(VALU_DEP_2)
	v_cndmask_b32_e64 v5, 0x7ff80000, v22, s4
	v_mul_f64 v[21:22], v[19:20], v[2:3]
	s_delay_alu instid0(VALU_DEP_2)
	v_mul_f64 v[19:20], v[19:20], v[4:5]
                                        ; implicit-def: $vgpr4_vgpr5
.LBB248_394:                            ;   in Loop: Header=BB248_217 Depth=1
	s_and_not1_saveexec_b32 s36, s98
	s_cbranch_execz .LBB248_404
; %bb.395:                              ;   in Loop: Header=BB248_217 Depth=1
	v_cmp_ngt_f64_e64 s5, 0x41d00000, |v[4:5]|
                                        ; implicit-def: $vgpr45
                                        ; implicit-def: $vgpr21_vgpr22
                                        ; implicit-def: $vgpr23_vgpr24
	s_delay_alu instid0(VALU_DEP_1) | instskip(NEXT) | instid1(SALU_CYCLE_1)
	s_and_saveexec_b32 s4, s5
	s_xor_b32 s6, exec_lo, s4
	s_cbranch_execz .LBB248_397
; %bb.396:                              ;   in Loop: Header=BB248_217 Depth=1
	v_ldexp_f64 v[21:22], |v[4:5]|, 0xffffff80
	v_cmp_le_f64_e64 vcc_lo, 0x7b000000, |v[4:5]|
	v_trig_preop_f64 v[23:24], |v[4:5]|, 0
	v_and_b32_e32 v19, 0x7fffffff, v5
	v_trig_preop_f64 v[25:26], |v[4:5]|, 1
	v_trig_preop_f64 v[51:52], |v[4:5]|, 2
	s_mov_b32 s20, s22
	s_mov_b32 s27, s25
	v_dual_cndmask_b32 v22, v19, v22 :: v_dual_cndmask_b32 v21, v4, v21
	s_delay_alu instid0(VALU_DEP_1) | instskip(NEXT) | instid1(VALU_DEP_4)
	v_mul_f64 v[27:28], v[23:24], v[21:22]
	v_mul_f64 v[45:46], v[25:26], v[21:22]
	s_delay_alu instid0(VALU_DEP_4) | instskip(NEXT) | instid1(VALU_DEP_3)
	v_mul_f64 v[57:58], v[51:52], v[21:22]
	v_fma_f64 v[23:24], v[23:24], v[21:22], -v[27:28]
	s_delay_alu instid0(VALU_DEP_3) | instskip(NEXT) | instid1(VALU_DEP_3)
	v_fma_f64 v[25:26], v[25:26], v[21:22], -v[45:46]
	v_fma_f64 v[21:22], v[51:52], v[21:22], -v[57:58]
	s_delay_alu instid0(VALU_DEP_3) | instskip(NEXT) | instid1(VALU_DEP_1)
	v_add_f64 v[47:48], v[45:46], v[23:24]
	v_add_f64 v[49:50], v[47:48], -v[45:46]
	v_add_f64 v[55:56], v[27:28], v[47:48]
	s_delay_alu instid0(VALU_DEP_2) | instskip(SKIP_1) | instid1(VALU_DEP_3)
	v_add_f64 v[53:54], v[47:48], -v[49:50]
	v_add_f64 v[23:24], v[23:24], -v[49:50]
	v_ldexp_f64 v[49:50], v[55:56], -2
	v_add_f64 v[27:28], v[55:56], -v[27:28]
	s_delay_alu instid0(VALU_DEP_4) | instskip(SKIP_1) | instid1(VALU_DEP_4)
	v_add_f64 v[45:46], v[45:46], -v[53:54]
	v_add_f64 v[53:54], v[57:58], v[25:26]
	v_cmp_neq_f64_e64 vcc_lo, 0x7ff00000, |v[49:50]|
	s_delay_alu instid0(VALU_DEP_4) | instskip(NEXT) | instid1(VALU_DEP_4)
	v_add_f64 v[27:28], v[47:48], -v[27:28]
	v_add_f64 v[23:24], v[23:24], v[45:46]
	v_fract_f64_e32 v[45:46], v[49:50]
	s_delay_alu instid0(VALU_DEP_2) | instskip(NEXT) | instid1(VALU_DEP_2)
	v_add_f64 v[47:48], v[53:54], v[23:24]
	v_dual_cndmask_b32 v46, 0, v46 :: v_dual_cndmask_b32 v45, 0, v45
	s_delay_alu instid0(VALU_DEP_1) | instskip(NEXT) | instid1(VALU_DEP_3)
	v_ldexp_f64 v[45:46], v[45:46], 2
	v_add_f64 v[49:50], v[27:28], v[47:48]
	v_add_f64 v[59:60], v[47:48], -v[53:54]
	s_delay_alu instid0(VALU_DEP_2) | instskip(NEXT) | instid1(VALU_DEP_2)
	v_add_f64 v[55:56], v[49:50], v[45:46]
	v_add_f64 v[65:66], v[47:48], -v[59:60]
	v_add_f64 v[23:24], v[23:24], -v[59:60]
	;; [unrolled: 1-line block ×3, first 2 shown]
	s_delay_alu instid0(VALU_DEP_4) | instskip(SKIP_1) | instid1(VALU_DEP_3)
	v_cmp_gt_f64_e32 vcc_lo, 0, v[55:56]
	v_add_f64 v[55:56], v[53:54], -v[57:58]
	v_add_f64 v[27:28], v[47:48], -v[27:28]
	v_cndmask_b32_e64 v19, 0, 0x40100000, vcc_lo
	s_delay_alu instid0(VALU_DEP_3) | instskip(SKIP_2) | instid1(VALU_DEP_4)
	v_add_f64 v[63:64], v[53:54], -v[55:56]
	v_add_f64 v[25:26], v[25:26], -v[55:56]
	;; [unrolled: 1-line block ×3, first 2 shown]
	v_add_f64 v[45:46], v[45:46], v[18:19]
	s_delay_alu instid0(VALU_DEP_4) | instskip(NEXT) | instid1(VALU_DEP_3)
	v_add_f64 v[55:56], v[57:58], -v[63:64]
	v_add_f64 v[23:24], v[23:24], v[53:54]
	s_delay_alu instid0(VALU_DEP_3) | instskip(NEXT) | instid1(VALU_DEP_3)
	v_add_f64 v[61:62], v[49:50], v[45:46]
	v_add_f64 v[25:26], v[25:26], v[55:56]
	s_delay_alu instid0(VALU_DEP_2) | instskip(NEXT) | instid1(VALU_DEP_2)
	v_cvt_i32_f64_e32 v19, v[61:62]
	v_add_f64 v[23:24], v[25:26], v[23:24]
	s_delay_alu instid0(VALU_DEP_2) | instskip(NEXT) | instid1(VALU_DEP_2)
	v_cvt_f64_i32_e32 v[59:60], v19
	v_add_f64 v[21:22], v[21:22], v[23:24]
	s_delay_alu instid0(VALU_DEP_2) | instskip(NEXT) | instid1(VALU_DEP_2)
	v_add_f64 v[45:46], v[45:46], -v[59:60]
	v_add_f64 v[21:22], v[27:28], v[21:22]
	s_delay_alu instid0(VALU_DEP_2) | instskip(NEXT) | instid1(VALU_DEP_1)
	v_add_f64 v[25:26], v[49:50], v[45:46]
	v_add_f64 v[23:24], v[25:26], -v[45:46]
	v_cmp_le_f64_e32 vcc_lo, 0.5, v[25:26]
	s_delay_alu instid0(VALU_DEP_2) | instskip(SKIP_2) | instid1(VALU_DEP_3)
	v_add_f64 v[23:24], v[49:50], -v[23:24]
	v_add_co_ci_u32_e64 v45, s4, 0, v19, vcc_lo
	v_cndmask_b32_e64 v19, 0, 0x3ff00000, vcc_lo
	v_add_f64 v[21:22], v[21:22], v[23:24]
	s_delay_alu instid0(VALU_DEP_2) | instskip(NEXT) | instid1(VALU_DEP_1)
	v_add_f64 v[23:24], v[25:26], -v[18:19]
	v_add_f64 v[25:26], v[23:24], v[21:22]
	s_delay_alu instid0(VALU_DEP_1) | instskip(SKIP_1) | instid1(VALU_DEP_2)
	v_mul_f64 v[27:28], v[25:26], s[20:21]
	v_add_f64 v[23:24], v[25:26], -v[23:24]
	v_fma_f64 v[46:47], v[25:26], s[20:21], -v[27:28]
	s_delay_alu instid0(VALU_DEP_2) | instskip(NEXT) | instid1(VALU_DEP_2)
	v_add_f64 v[21:22], v[21:22], -v[23:24]
	v_fma_f64 v[23:24], v[25:26], s[26:27], v[46:47]
	s_delay_alu instid0(VALU_DEP_1) | instskip(NEXT) | instid1(VALU_DEP_1)
	v_fma_f64 v[23:24], v[21:22], s[20:21], v[23:24]
	v_add_f64 v[21:22], v[27:28], v[23:24]
	s_delay_alu instid0(VALU_DEP_1) | instskip(NEXT) | instid1(VALU_DEP_1)
	v_add_f64 v[25:26], v[21:22], -v[27:28]
	v_add_f64 v[23:24], v[23:24], -v[25:26]
	s_and_not1_saveexec_b32 s4, s6
	s_cbranch_execz .LBB248_399
	s_branch .LBB248_398
.LBB248_397:                            ;   in Loop: Header=BB248_217 Depth=1
	s_and_not1_saveexec_b32 s4, s6
	s_cbranch_execz .LBB248_399
.LBB248_398:                            ;   in Loop: Header=BB248_217 Depth=1
	v_mul_f64 v[21:22], |v[4:5]|, s[28:29]
	s_mov_b32 s24, s30
	s_delay_alu instid0(VALU_DEP_1) | instskip(NEXT) | instid1(VALU_DEP_1)
	v_rndne_f64_e32 v[25:26], v[21:22]
	v_fma_f64 v[21:22], v[25:26], s[22:23], |v[4:5]|
	v_mul_f64 v[23:24], v[25:26], s[30:31]
	s_delay_alu instid0(VALU_DEP_2) | instskip(NEXT) | instid1(VALU_DEP_2)
	v_fma_f64 v[45:46], v[25:26], s[30:31], v[21:22]
	v_add_f64 v[27:28], v[21:22], v[23:24]
	s_delay_alu instid0(VALU_DEP_1) | instskip(NEXT) | instid1(VALU_DEP_3)
	v_add_f64 v[21:22], v[21:22], -v[27:28]
	v_add_f64 v[27:28], v[27:28], -v[45:46]
	s_delay_alu instid0(VALU_DEP_2) | instskip(SKIP_1) | instid1(VALU_DEP_2)
	v_add_f64 v[21:22], v[21:22], v[23:24]
	v_fma_f64 v[23:24], v[25:26], s[24:25], v[23:24]
	v_add_f64 v[21:22], v[27:28], v[21:22]
	s_delay_alu instid0(VALU_DEP_1) | instskip(NEXT) | instid1(VALU_DEP_1)
	v_add_f64 v[21:22], v[21:22], -v[23:24]
	v_fma_f64 v[23:24], v[25:26], s[34:35], v[21:22]
	s_delay_alu instid0(VALU_DEP_1) | instskip(NEXT) | instid1(VALU_DEP_1)
	v_add_f64 v[21:22], v[45:46], v[23:24]
	v_add_f64 v[27:28], v[21:22], -v[45:46]
	v_cvt_i32_f64_e32 v45, v[25:26]
	s_delay_alu instid0(VALU_DEP_2)
	v_add_f64 v[23:24], v[23:24], -v[27:28]
.LBB248_399:                            ;   in Loop: Header=BB248_217 Depth=1
	s_or_b32 exec_lo, exec_lo, s4
                                        ; implicit-def: $vgpr46
                                        ; implicit-def: $vgpr25_vgpr26
                                        ; implicit-def: $vgpr27_vgpr28
	s_and_saveexec_b32 s4, s5
	s_delay_alu instid0(SALU_CYCLE_1)
	s_xor_b32 s5, exec_lo, s4
	s_cbranch_execz .LBB248_401
; %bb.400:                              ;   in Loop: Header=BB248_217 Depth=1
	v_ldexp_f64 v[25:26], |v[4:5]|, 0xffffff80
	v_cmp_le_f64_e64 vcc_lo, 0x7b000000, |v[4:5]|
	v_trig_preop_f64 v[27:28], |v[4:5]|, 0
	v_and_b32_e32 v19, 0x7fffffff, v5
	v_trig_preop_f64 v[46:47], |v[4:5]|, 1
	v_trig_preop_f64 v[56:57], |v[4:5]|, 2
	s_mov_b32 s20, s22
	s_mov_b32 s27, s25
	v_dual_cndmask_b32 v26, v19, v26 :: v_dual_cndmask_b32 v25, v4, v25
	s_delay_alu instid0(VALU_DEP_1) | instskip(NEXT) | instid1(VALU_DEP_4)
	v_mul_f64 v[48:49], v[27:28], v[25:26]
	v_mul_f64 v[50:51], v[46:47], v[25:26]
	s_delay_alu instid0(VALU_DEP_4) | instskip(NEXT) | instid1(VALU_DEP_3)
	v_mul_f64 v[62:63], v[56:57], v[25:26]
	v_fma_f64 v[27:28], v[27:28], v[25:26], -v[48:49]
	s_delay_alu instid0(VALU_DEP_3) | instskip(NEXT) | instid1(VALU_DEP_3)
	v_fma_f64 v[46:47], v[46:47], v[25:26], -v[50:51]
	v_fma_f64 v[25:26], v[56:57], v[25:26], -v[62:63]
	s_delay_alu instid0(VALU_DEP_3) | instskip(NEXT) | instid1(VALU_DEP_1)
	v_add_f64 v[52:53], v[50:51], v[27:28]
	v_add_f64 v[54:55], v[52:53], -v[50:51]
	v_add_f64 v[60:61], v[48:49], v[52:53]
	s_delay_alu instid0(VALU_DEP_2) | instskip(SKIP_1) | instid1(VALU_DEP_3)
	v_add_f64 v[58:59], v[52:53], -v[54:55]
	v_add_f64 v[27:28], v[27:28], -v[54:55]
	v_ldexp_f64 v[54:55], v[60:61], -2
	v_add_f64 v[48:49], v[60:61], -v[48:49]
	s_delay_alu instid0(VALU_DEP_4) | instskip(SKIP_1) | instid1(VALU_DEP_4)
	v_add_f64 v[50:51], v[50:51], -v[58:59]
	v_add_f64 v[58:59], v[62:63], v[46:47]
	v_cmp_neq_f64_e64 vcc_lo, 0x7ff00000, |v[54:55]|
	s_delay_alu instid0(VALU_DEP_4) | instskip(NEXT) | instid1(VALU_DEP_4)
	v_add_f64 v[48:49], v[52:53], -v[48:49]
	v_add_f64 v[27:28], v[27:28], v[50:51]
	v_fract_f64_e32 v[50:51], v[54:55]
	s_delay_alu instid0(VALU_DEP_2) | instskip(NEXT) | instid1(VALU_DEP_2)
	v_add_f64 v[52:53], v[58:59], v[27:28]
	v_dual_cndmask_b32 v51, 0, v51 :: v_dual_cndmask_b32 v50, 0, v50
	s_delay_alu instid0(VALU_DEP_1) | instskip(NEXT) | instid1(VALU_DEP_3)
	v_ldexp_f64 v[50:51], v[50:51], 2
	v_add_f64 v[54:55], v[48:49], v[52:53]
	v_add_f64 v[64:65], v[52:53], -v[58:59]
	s_delay_alu instid0(VALU_DEP_2) | instskip(NEXT) | instid1(VALU_DEP_2)
	v_add_f64 v[60:61], v[54:55], v[50:51]
	v_add_f64 v[70:71], v[52:53], -v[64:65]
	v_add_f64 v[27:28], v[27:28], -v[64:65]
	;; [unrolled: 1-line block ×3, first 2 shown]
	s_delay_alu instid0(VALU_DEP_4) | instskip(SKIP_2) | instid1(VALU_DEP_2)
	v_cmp_gt_f64_e32 vcc_lo, 0, v[60:61]
	v_add_f64 v[60:61], v[58:59], -v[62:63]
	v_cndmask_b32_e64 v19, 0, 0x40100000, vcc_lo
	v_add_f64 v[68:69], v[58:59], -v[60:61]
	v_add_f64 v[46:47], v[46:47], -v[60:61]
	;; [unrolled: 1-line block ×3, first 2 shown]
	s_delay_alu instid0(VALU_DEP_4) | instskip(NEXT) | instid1(VALU_DEP_4)
	v_add_f64 v[50:51], v[50:51], v[18:19]
	v_add_f64 v[60:61], v[62:63], -v[68:69]
	s_delay_alu instid0(VALU_DEP_3) | instskip(NEXT) | instid1(VALU_DEP_3)
	v_add_f64 v[27:28], v[27:28], v[58:59]
	v_add_f64 v[66:67], v[54:55], v[50:51]
	s_delay_alu instid0(VALU_DEP_3) | instskip(NEXT) | instid1(VALU_DEP_2)
	v_add_f64 v[46:47], v[46:47], v[60:61]
	v_cvt_i32_f64_e32 v19, v[66:67]
	s_delay_alu instid0(VALU_DEP_2) | instskip(SKIP_1) | instid1(VALU_DEP_3)
	v_add_f64 v[27:28], v[46:47], v[27:28]
	v_add_f64 v[46:47], v[52:53], -v[48:49]
	v_cvt_f64_i32_e32 v[64:65], v19
	s_delay_alu instid0(VALU_DEP_3) | instskip(NEXT) | instid1(VALU_DEP_2)
	v_add_f64 v[25:26], v[25:26], v[27:28]
	v_add_f64 v[50:51], v[50:51], -v[64:65]
	s_delay_alu instid0(VALU_DEP_2) | instskip(NEXT) | instid1(VALU_DEP_2)
	v_add_f64 v[25:26], v[46:47], v[25:26]
	v_add_f64 v[56:57], v[54:55], v[50:51]
	s_delay_alu instid0(VALU_DEP_1) | instskip(SKIP_1) | instid1(VALU_DEP_2)
	v_add_f64 v[27:28], v[56:57], -v[50:51]
	v_cmp_le_f64_e32 vcc_lo, 0.5, v[56:57]
	v_add_f64 v[27:28], v[54:55], -v[27:28]
	v_add_co_ci_u32_e64 v46, s4, 0, v19, vcc_lo
	v_cndmask_b32_e64 v19, 0, 0x3ff00000, vcc_lo
	s_delay_alu instid0(VALU_DEP_3) | instskip(NEXT) | instid1(VALU_DEP_2)
	v_add_f64 v[25:26], v[25:26], v[27:28]
	v_add_f64 v[27:28], v[56:57], -v[18:19]
	s_delay_alu instid0(VALU_DEP_1) | instskip(NEXT) | instid1(VALU_DEP_1)
	v_add_f64 v[47:48], v[27:28], v[25:26]
	v_mul_f64 v[49:50], v[47:48], s[20:21]
	v_add_f64 v[27:28], v[47:48], -v[27:28]
	s_delay_alu instid0(VALU_DEP_2) | instskip(NEXT) | instid1(VALU_DEP_2)
	v_fma_f64 v[51:52], v[47:48], s[20:21], -v[49:50]
	v_add_f64 v[25:26], v[25:26], -v[27:28]
	s_delay_alu instid0(VALU_DEP_2) | instskip(NEXT) | instid1(VALU_DEP_1)
	v_fma_f64 v[27:28], v[47:48], s[26:27], v[51:52]
	v_fma_f64 v[27:28], v[25:26], s[20:21], v[27:28]
	s_delay_alu instid0(VALU_DEP_1) | instskip(NEXT) | instid1(VALU_DEP_1)
	v_add_f64 v[25:26], v[49:50], v[27:28]
	v_add_f64 v[47:48], v[25:26], -v[49:50]
	s_delay_alu instid0(VALU_DEP_1)
	v_add_f64 v[27:28], v[27:28], -v[47:48]
	s_and_not1_saveexec_b32 s4, s5
	s_cbranch_execnz .LBB248_402
	s_branch .LBB248_403
.LBB248_401:                            ;   in Loop: Header=BB248_217 Depth=1
	s_and_not1_saveexec_b32 s4, s5
	s_cbranch_execz .LBB248_403
.LBB248_402:                            ;   in Loop: Header=BB248_217 Depth=1
	v_mul_f64 v[25:26], |v[4:5]|, s[28:29]
	s_mov_b32 s24, s30
	s_delay_alu instid0(VALU_DEP_1) | instskip(NEXT) | instid1(VALU_DEP_1)
	v_rndne_f64_e32 v[46:47], v[25:26]
	v_fma_f64 v[25:26], v[46:47], s[22:23], |v[4:5]|
	v_mul_f64 v[27:28], v[46:47], s[30:31]
	s_delay_alu instid0(VALU_DEP_2) | instskip(NEXT) | instid1(VALU_DEP_2)
	v_fma_f64 v[50:51], v[46:47], s[30:31], v[25:26]
	v_add_f64 v[48:49], v[25:26], v[27:28]
	s_delay_alu instid0(VALU_DEP_1) | instskip(NEXT) | instid1(VALU_DEP_3)
	v_add_f64 v[25:26], v[25:26], -v[48:49]
	v_add_f64 v[48:49], v[48:49], -v[50:51]
	s_delay_alu instid0(VALU_DEP_2) | instskip(SKIP_1) | instid1(VALU_DEP_2)
	v_add_f64 v[25:26], v[25:26], v[27:28]
	v_fma_f64 v[27:28], v[46:47], s[24:25], v[27:28]
	v_add_f64 v[25:26], v[48:49], v[25:26]
	s_delay_alu instid0(VALU_DEP_1) | instskip(NEXT) | instid1(VALU_DEP_1)
	v_add_f64 v[25:26], v[25:26], -v[27:28]
	v_fma_f64 v[27:28], v[46:47], s[34:35], v[25:26]
	v_cvt_i32_f64_e32 v46, v[46:47]
	s_delay_alu instid0(VALU_DEP_2) | instskip(NEXT) | instid1(VALU_DEP_1)
	v_add_f64 v[25:26], v[50:51], v[27:28]
	v_add_f64 v[48:49], v[25:26], -v[50:51]
	s_delay_alu instid0(VALU_DEP_1)
	v_add_f64 v[27:28], v[27:28], -v[48:49]
.LBB248_403:                            ;   in Loop: Header=BB248_217 Depth=1
	s_or_b32 exec_lo, exec_lo, s4
	v_add_f64 v[2:3], -v[2:3], s[84:85]
	s_delay_alu instid0(VALU_DEP_4) | instskip(SKIP_3) | instid1(VALU_DEP_4)
	v_mul_f64 v[53:54], v[21:22], v[21:22]
	v_mul_f64 v[55:56], v[25:26], v[25:26]
	s_mov_b32 s59, s57
	s_mov_b32 s87, s61
	v_mul_f64 v[73:74], v[23:24], 0.5
	v_mul_f64 v[79:80], v[27:28], 0.5
	s_mov_b32 s88, s60
	v_cmp_class_f64_e64 s4, v[4:5], 0x1f8
	v_and_b32_e32 v5, 1, v46
	s_delay_alu instid0(VALU_DEP_1)
	v_cmp_eq_u32_e64 s7, 0, v5
	v_mul_f64 v[47:48], v[2:3], s[38:39]
	v_fma_f64 v[57:58], v[53:54], s[78:79], s[76:77]
	v_fma_f64 v[59:60], v[55:56], s[78:79], s[76:77]
	;; [unrolled: 1-line block ×3, first 2 shown]
	v_mul_f64 v[63:64], v[53:54], 0.5
	v_fma_f64 v[65:66], v[55:56], s[68:69], s[66:67]
	v_mul_f64 v[67:68], v[55:56], 0.5
	v_mul_f64 v[75:76], v[21:22], -v[53:54]
	v_mul_f64 v[81:82], v[25:26], -v[55:56]
	v_cmp_nlt_f64_e64 s5, 0x40900000, v[2:3]
	v_cmp_ngt_f64_e64 s6, 0xc090cc00, v[2:3]
	v_rndne_f64_e32 v[47:48], v[47:48]
	v_fma_f64 v[57:58], v[53:54], v[57:58], s[80:81]
	v_fma_f64 v[59:60], v[55:56], v[59:60], s[80:81]
	;; [unrolled: 1-line block ×3, first 2 shown]
	v_add_f64 v[69:70], -v[63:64], 1.0
	v_fma_f64 v[65:66], v[55:56], v[65:66], s[70:71]
	v_add_f64 v[71:72], -v[67:68], 1.0
	v_fma_f64 v[49:50], v[47:48], s[40:41], v[2:3]
	v_fma_f64 v[57:58], v[53:54], v[57:58], s[82:83]
	;; [unrolled: 1-line block ×4, first 2 shown]
	v_add_f64 v[77:78], -v[69:70], 1.0
	v_fma_f64 v[65:66], v[55:56], v[65:66], s[72:73]
	v_add_f64 v[83:84], -v[71:72], 1.0
	v_cvt_i32_f64_e32 v19, v[47:48]
	v_lshlrev_b32_e32 v3, 30, v45
	v_lshlrev_b32_e32 v2, 30, v46
	s_delay_alu instid0(VALU_DEP_2) | instskip(NEXT) | instid1(VALU_DEP_2)
	v_and_b32_e32 v3, 0x80000000, v3
	v_xor_b32_e32 v2, v2, v20
	s_delay_alu instid0(VALU_DEP_1)
	v_and_b32_e32 v20, 0x80000000, v2
	v_fma_f64 v[49:50], v[47:48], s[42:43], v[49:50]
	v_fma_f64 v[57:58], v[53:54], v[57:58], s[56:57]
	;; [unrolled: 1-line block ×4, first 2 shown]
	v_add_f64 v[63:64], v[77:78], -v[63:64]
	v_fma_f64 v[65:66], v[55:56], v[65:66], s[74:75]
	v_add_f64 v[67:68], v[83:84], -v[67:68]
	v_fma_f64 v[51:52], v[49:50], s[46:47], s[44:45]
	v_fma_f64 v[57:58], v[75:76], v[57:58], v[73:74]
	;; [unrolled: 1-line block ×3, first 2 shown]
	v_mul_f64 v[73:74], v[53:54], v[53:54]
	v_fma_f64 v[61:62], v[53:54], v[61:62], s[60:61]
	v_fma_f64 v[63:64], v[21:22], -v[23:24], v[63:64]
	v_fma_f64 v[51:52], v[49:50], v[51:52], s[48:49]
	v_fma_f64 v[23:24], v[53:54], v[57:58], -v[23:24]
	v_mul_f64 v[53:54], v[55:56], v[55:56]
	v_fma_f64 v[57:58], v[55:56], v[65:66], s[60:61]
	v_fma_f64 v[65:66], v[25:26], -v[27:28], v[67:68]
	v_fma_f64 v[27:28], v[55:56], v[59:60], -v[27:28]
	v_fma_f64 v[55:56], v[73:74], v[61:62], v[63:64]
	v_fma_f64 v[51:52], v[49:50], v[51:52], s[50:51]
	;; [unrolled: 1-line block ×3, first 2 shown]
	s_delay_alu instid0(VALU_DEP_4) | instskip(NEXT) | instid1(VALU_DEP_3)
	v_fma_f64 v[27:28], v[81:82], s[88:89], v[27:28]
	v_fma_f64 v[51:52], v[49:50], v[51:52], s[52:53]
	s_delay_alu instid0(VALU_DEP_3) | instskip(NEXT) | instid1(VALU_DEP_3)
	v_add_f64 v[21:22], v[21:22], -v[23:24]
	v_add_f64 v[25:26], v[25:26], -v[27:28]
	s_delay_alu instid0(VALU_DEP_3) | instskip(NEXT) | instid1(VALU_DEP_1)
	v_fma_f64 v[51:52], v[49:50], v[51:52], s[54:55]
	v_fma_f64 v[51:52], v[49:50], v[51:52], s[58:59]
	s_delay_alu instid0(VALU_DEP_1) | instskip(NEXT) | instid1(VALU_DEP_1)
	v_fma_f64 v[51:52], v[49:50], v[51:52], s[86:87]
	v_fma_f64 v[51:52], v[49:50], v[51:52], s[62:63]
	s_delay_alu instid0(VALU_DEP_1) | instskip(NEXT) | instid1(VALU_DEP_1)
	v_fma_f64 v[51:52], v[49:50], v[51:52], s[64:65]
	v_fma_f64 v[51:52], v[49:50], v[51:52], 1.0
	s_delay_alu instid0(VALU_DEP_1) | instskip(SKIP_2) | instid1(VALU_DEP_3)
	v_fma_f64 v[47:48], v[49:50], v[51:52], 1.0
	v_fma_f64 v[49:50], v[53:54], v[57:58], v[65:66]
	v_add_f64 v[51:52], v[69:70], v[55:56]
	v_ldexp_f64 v[23:24], v[47:48], v19
	s_delay_alu instid0(VALU_DEP_3) | instskip(SKIP_1) | instid1(VALU_DEP_1)
	v_add_f64 v[47:48], v[71:72], v[49:50]
	v_and_b32_e32 v19, 1, v45
	v_cmp_eq_u32_e32 vcc_lo, 0, v19
	v_cndmask_b32_e32 v19, v21, v51, vcc_lo
	v_xor_b32_e32 v21, 0x80000000, v22
	s_delay_alu instid0(VALU_DEP_2) | instskip(NEXT) | instid1(VALU_DEP_2)
	v_cndmask_b32_e64 v2, 0, v19, s4
	v_cndmask_b32_e32 v5, v21, v52, vcc_lo
	s_and_b32 vcc_lo, s6, s5
	s_delay_alu instid0(VALU_DEP_1) | instskip(NEXT) | instid1(VALU_DEP_1)
	v_xor_b32_e32 v3, v5, v3
	v_cndmask_b32_e64 v3, 0x7ff80000, v3, s4
	v_cndmask_b32_e64 v4, 0x7ff00000, v24, s5
	;; [unrolled: 1-line block ×4, first 2 shown]
	v_cndmask_b32_e32 v19, 0, v23, vcc_lo
	s_delay_alu instid0(VALU_DEP_4) | instskip(NEXT) | instid1(VALU_DEP_4)
	v_cndmask_b32_e64 v24, 0, v4, s6
	v_xor_b32_e32 v5, v22, v20
	s_delay_alu instid0(VALU_DEP_4) | instskip(NEXT) | instid1(VALU_DEP_3)
	v_cndmask_b32_e64 v4, 0, v21, s4
	v_and_or_b32 v20, v24, s95, 0x7fe00000
	s_delay_alu instid0(VALU_DEP_3) | instskip(NEXT) | instid1(VALU_DEP_2)
	v_cndmask_b32_e64 v5, 0x7ff80000, v5, s4
	v_mul_f64 v[2:3], v[19:20], v[2:3]
	s_delay_alu instid0(VALU_DEP_2) | instskip(SKIP_1) | instid1(VALU_DEP_1)
	v_mul_f64 v[4:5], v[19:20], v[4:5]
	v_lshrrev_b32_e32 v19, 20, v24
	v_add_nc_u32_e32 v20, 0xffffff09, v19
	s_delay_alu instid0(VALU_DEP_1) | instskip(NEXT) | instid1(VALU_DEP_1)
	v_lshrrev_b16 v19, 15, v20
	v_add_nc_u16 v19, v20, v19
	s_delay_alu instid0(VALU_DEP_1) | instskip(NEXT) | instid1(VALU_DEP_1)
	v_ashrrev_i16 v19, 1, v19
	v_bfe_i32 v21, v19, 0, 16
	s_delay_alu instid0(VALU_DEP_1) | instskip(NEXT) | instid1(VALU_DEP_1)
	v_lshl_add_u32 v19, v21, 20, 0x3ff00000
	v_mul_f64 v[2:3], v[2:3], v[18:19]
	v_mul_f64 v[4:5], v[4:5], v[18:19]
	v_mov_b32_e32 v19, v18
	v_sub_nc_u32_e32 v20, v20, v21
	s_delay_alu instid0(VALU_DEP_1) | instskip(NEXT) | instid1(VALU_DEP_1)
	v_lshl_add_u32 v20, v20, 20, 0x3ff00000
	v_mul_f64 v[21:22], v[2:3], v[19:20]
	v_mul_f64 v[19:20], v[4:5], v[19:20]
.LBB248_404:                            ;   in Loop: Header=BB248_217 Depth=1
	s_or_b32 exec_lo, exec_lo, s36
                                        ; implicit-def: $vgpr23_vgpr24
                                        ; implicit-def: $vgpr4_vgpr5
                                        ; implicit-def: $vgpr25
.LBB248_405:                            ;   in Loop: Header=BB248_217 Depth=1
	s_and_not1_saveexec_b32 s5, s97
	s_cbranch_execz .LBB248_411
; %bb.406:                              ;   in Loop: Header=BB248_217 Depth=1
	v_cmp_ne_u32_e32 vcc_lo, 0, v23
	v_cmp_ne_u32_e64 s4, 0x7ff00000, v25
                                        ; implicit-def: $vgpr19_vgpr20
	s_delay_alu instid0(VALU_DEP_1) | instskip(NEXT) | instid1(SALU_CYCLE_1)
	s_or_b32 s4, vcc_lo, s4
	s_and_saveexec_b32 s6, s4
	s_delay_alu instid0(SALU_CYCLE_1)
	s_xor_b32 s4, exec_lo, s6
; %bb.407:                              ;   in Loop: Header=BB248_217 Depth=1
	v_add_f64 v[19:20], v[4:5], -v[4:5]
                                        ; implicit-def: $vgpr23_vgpr24
                                        ; implicit-def: $vgpr4_vgpr5
; %bb.408:                              ;   in Loop: Header=BB248_217 Depth=1
	s_or_saveexec_b32 s4, s4
	s_delay_alu instid0(VALU_DEP_1)
	v_dual_mov_b32 v22, v20 :: v_dual_mov_b32 v21, v19
	s_xor_b32 exec_lo, exec_lo, s4
; %bb.409:                              ;   in Loop: Header=BB248_217 Depth=1
	v_add_f64 v[3:4], v[4:5], -v[4:5]
	v_cmp_lt_i64_e32 vcc_lo, -1, v[23:24]
	v_dual_cndmask_b32 v22, 0, v24 :: v_dual_cndmask_b32 v21, 0, v2
	s_delay_alu instid0(VALU_DEP_3)
	v_dual_cndmask_b32 v20, 0, v4 :: v_dual_cndmask_b32 v19, 0, v3
; %bb.410:                              ;   in Loop: Header=BB248_217 Depth=1
	s_or_b32 exec_lo, exec_lo, s4
.LBB248_411:                            ;   in Loop: Header=BB248_217 Depth=1
	s_delay_alu instid0(SALU_CYCLE_1)
	s_or_b32 exec_lo, exec_lo, s5
                                        ; implicit-def: $vgpr4_vgpr5
.LBB248_412:                            ;   in Loop: Header=BB248_217 Depth=1
	s_and_not1_saveexec_b32 s6, s96
	s_cbranch_execz .LBB248_422
; %bb.413:                              ;   in Loop: Header=BB248_217 Depth=1
	v_cmp_ngt_f64_e64 s5, 0x41d00000, |v[4:5]|
                                        ; implicit-def: $vgpr27
                                        ; implicit-def: $vgpr2_vgpr3
                                        ; implicit-def: $vgpr21_vgpr22
	s_delay_alu instid0(VALU_DEP_1) | instskip(NEXT) | instid1(SALU_CYCLE_1)
	s_and_saveexec_b32 s4, s5
	s_xor_b32 s7, exec_lo, s4
	s_cbranch_execz .LBB248_415
; %bb.414:                              ;   in Loop: Header=BB248_217 Depth=1
	v_ldexp_f64 v[2:3], |v[4:5]|, 0xffffff80
	v_cmp_le_f64_e64 vcc_lo, 0x7b000000, |v[4:5]|
	v_trig_preop_f64 v[21:22], |v[4:5]|, 0
	v_and_b32_e32 v19, 0x7fffffff, v5
	v_trig_preop_f64 v[23:24], |v[4:5]|, 1
	v_trig_preop_f64 v[49:50], |v[4:5]|, 2
	s_mov_b32 s20, s22
	s_mov_b32 s27, s25
	v_dual_cndmask_b32 v2, v4, v2 :: v_dual_cndmask_b32 v3, v19, v3
	s_delay_alu instid0(VALU_DEP_1) | instskip(NEXT) | instid1(VALU_DEP_4)
	v_mul_f64 v[25:26], v[21:22], v[2:3]
	v_mul_f64 v[27:28], v[23:24], v[2:3]
	s_delay_alu instid0(VALU_DEP_2) | instskip(NEXT) | instid1(VALU_DEP_2)
	v_fma_f64 v[21:22], v[21:22], v[2:3], -v[25:26]
	v_fma_f64 v[23:24], v[23:24], v[2:3], -v[27:28]
	s_delay_alu instid0(VALU_DEP_2) | instskip(NEXT) | instid1(VALU_DEP_1)
	v_add_f64 v[45:46], v[27:28], v[21:22]
	v_add_f64 v[47:48], v[45:46], -v[27:28]
	v_add_f64 v[53:54], v[25:26], v[45:46]
	s_delay_alu instid0(VALU_DEP_2) | instskip(SKIP_1) | instid1(VALU_DEP_3)
	v_add_f64 v[51:52], v[45:46], -v[47:48]
	v_add_f64 v[21:22], v[21:22], -v[47:48]
	v_ldexp_f64 v[47:48], v[53:54], -2
	v_add_f64 v[25:26], v[53:54], -v[25:26]
	s_delay_alu instid0(VALU_DEP_4) | instskip(NEXT) | instid1(VALU_DEP_3)
	v_add_f64 v[27:28], v[27:28], -v[51:52]
	v_cmp_neq_f64_e64 vcc_lo, 0x7ff00000, |v[47:48]|
	s_delay_alu instid0(VALU_DEP_3) | instskip(NEXT) | instid1(VALU_DEP_3)
	v_add_f64 v[25:26], v[45:46], -v[25:26]
	v_add_f64 v[21:22], v[21:22], v[27:28]
	v_fract_f64_e32 v[27:28], v[47:48]
	s_delay_alu instid0(VALU_DEP_1) | instskip(SKIP_1) | instid1(VALU_DEP_3)
	v_cndmask_b32_e32 v28, 0, v28, vcc_lo
	v_mul_f64 v[55:56], v[49:50], v[2:3]
	v_cndmask_b32_e32 v27, 0, v27, vcc_lo
	s_delay_alu instid0(VALU_DEP_1) | instskip(NEXT) | instid1(VALU_DEP_3)
	v_ldexp_f64 v[27:28], v[27:28], 2
	v_add_f64 v[51:52], v[55:56], v[23:24]
	v_fma_f64 v[2:3], v[49:50], v[2:3], -v[55:56]
	s_delay_alu instid0(VALU_DEP_2) | instskip(NEXT) | instid1(VALU_DEP_1)
	v_add_f64 v[45:46], v[51:52], v[21:22]
	v_add_f64 v[47:48], v[25:26], v[45:46]
	v_add_f64 v[57:58], v[45:46], -v[51:52]
	s_delay_alu instid0(VALU_DEP_2) | instskip(NEXT) | instid1(VALU_DEP_2)
	v_add_f64 v[53:54], v[47:48], v[27:28]
	v_add_f64 v[63:64], v[45:46], -v[57:58]
	v_add_f64 v[21:22], v[21:22], -v[57:58]
	;; [unrolled: 1-line block ×3, first 2 shown]
	s_delay_alu instid0(VALU_DEP_4) | instskip(SKIP_1) | instid1(VALU_DEP_3)
	v_cmp_gt_f64_e32 vcc_lo, 0, v[53:54]
	v_add_f64 v[53:54], v[51:52], -v[55:56]
	v_add_f64 v[25:26], v[45:46], -v[25:26]
	v_cndmask_b32_e64 v19, 0, 0x40100000, vcc_lo
	s_delay_alu instid0(VALU_DEP_3) | instskip(SKIP_2) | instid1(VALU_DEP_4)
	v_add_f64 v[61:62], v[51:52], -v[53:54]
	v_add_f64 v[23:24], v[23:24], -v[53:54]
	;; [unrolled: 1-line block ×3, first 2 shown]
	v_add_f64 v[27:28], v[27:28], v[18:19]
	s_delay_alu instid0(VALU_DEP_4) | instskip(NEXT) | instid1(VALU_DEP_3)
	v_add_f64 v[53:54], v[55:56], -v[61:62]
	v_add_f64 v[21:22], v[21:22], v[51:52]
	s_delay_alu instid0(VALU_DEP_3) | instskip(NEXT) | instid1(VALU_DEP_3)
	v_add_f64 v[59:60], v[47:48], v[27:28]
	v_add_f64 v[23:24], v[23:24], v[53:54]
	s_delay_alu instid0(VALU_DEP_2) | instskip(NEXT) | instid1(VALU_DEP_2)
	v_cvt_i32_f64_e32 v19, v[59:60]
	v_add_f64 v[21:22], v[23:24], v[21:22]
	s_delay_alu instid0(VALU_DEP_2) | instskip(NEXT) | instid1(VALU_DEP_2)
	v_cvt_f64_i32_e32 v[57:58], v19
	v_add_f64 v[2:3], v[2:3], v[21:22]
	s_delay_alu instid0(VALU_DEP_2) | instskip(NEXT) | instid1(VALU_DEP_2)
	v_add_f64 v[27:28], v[27:28], -v[57:58]
	v_add_f64 v[2:3], v[25:26], v[2:3]
	s_delay_alu instid0(VALU_DEP_2) | instskip(NEXT) | instid1(VALU_DEP_1)
	v_add_f64 v[23:24], v[47:48], v[27:28]
	v_add_f64 v[21:22], v[23:24], -v[27:28]
	v_cmp_le_f64_e32 vcc_lo, 0.5, v[23:24]
	s_delay_alu instid0(VALU_DEP_2) | instskip(SKIP_2) | instid1(VALU_DEP_3)
	v_add_f64 v[21:22], v[47:48], -v[21:22]
	v_add_co_ci_u32_e64 v27, s4, 0, v19, vcc_lo
	v_cndmask_b32_e64 v19, 0, 0x3ff00000, vcc_lo
	v_add_f64 v[2:3], v[2:3], v[21:22]
	s_delay_alu instid0(VALU_DEP_2) | instskip(NEXT) | instid1(VALU_DEP_1)
	v_add_f64 v[21:22], v[23:24], -v[18:19]
	v_add_f64 v[23:24], v[21:22], v[2:3]
	s_delay_alu instid0(VALU_DEP_1) | instskip(SKIP_1) | instid1(VALU_DEP_2)
	v_mul_f64 v[25:26], v[23:24], s[20:21]
	v_add_f64 v[21:22], v[23:24], -v[21:22]
	v_fma_f64 v[45:46], v[23:24], s[20:21], -v[25:26]
	s_delay_alu instid0(VALU_DEP_2) | instskip(NEXT) | instid1(VALU_DEP_2)
	v_add_f64 v[2:3], v[2:3], -v[21:22]
	v_fma_f64 v[21:22], v[23:24], s[26:27], v[45:46]
	s_delay_alu instid0(VALU_DEP_1) | instskip(NEXT) | instid1(VALU_DEP_1)
	v_fma_f64 v[21:22], v[2:3], s[20:21], v[21:22]
	v_add_f64 v[2:3], v[25:26], v[21:22]
	s_delay_alu instid0(VALU_DEP_1) | instskip(NEXT) | instid1(VALU_DEP_1)
	v_add_f64 v[23:24], v[2:3], -v[25:26]
	v_add_f64 v[21:22], v[21:22], -v[23:24]
	s_and_not1_saveexec_b32 s4, s7
	s_cbranch_execz .LBB248_417
	s_branch .LBB248_416
.LBB248_415:                            ;   in Loop: Header=BB248_217 Depth=1
	s_and_not1_saveexec_b32 s4, s7
	s_cbranch_execz .LBB248_417
.LBB248_416:                            ;   in Loop: Header=BB248_217 Depth=1
	v_mul_f64 v[2:3], |v[4:5]|, s[28:29]
	s_mov_b32 s24, s30
	s_delay_alu instid0(VALU_DEP_1) | instskip(NEXT) | instid1(VALU_DEP_1)
	v_rndne_f64_e32 v[23:24], v[2:3]
	v_fma_f64 v[2:3], v[23:24], s[22:23], |v[4:5]|
	v_mul_f64 v[21:22], v[23:24], s[30:31]
	s_delay_alu instid0(VALU_DEP_2) | instskip(NEXT) | instid1(VALU_DEP_2)
	v_fma_f64 v[27:28], v[23:24], s[30:31], v[2:3]
	v_add_f64 v[25:26], v[2:3], v[21:22]
	s_delay_alu instid0(VALU_DEP_1) | instskip(NEXT) | instid1(VALU_DEP_3)
	v_add_f64 v[2:3], v[2:3], -v[25:26]
	v_add_f64 v[25:26], v[25:26], -v[27:28]
	s_delay_alu instid0(VALU_DEP_2) | instskip(SKIP_1) | instid1(VALU_DEP_2)
	v_add_f64 v[2:3], v[2:3], v[21:22]
	v_fma_f64 v[21:22], v[23:24], s[24:25], v[21:22]
	v_add_f64 v[2:3], v[25:26], v[2:3]
	s_delay_alu instid0(VALU_DEP_1) | instskip(NEXT) | instid1(VALU_DEP_1)
	v_add_f64 v[2:3], v[2:3], -v[21:22]
	v_fma_f64 v[21:22], v[23:24], s[34:35], v[2:3]
	s_delay_alu instid0(VALU_DEP_1) | instskip(NEXT) | instid1(VALU_DEP_1)
	v_add_f64 v[2:3], v[27:28], v[21:22]
	v_add_f64 v[25:26], v[2:3], -v[27:28]
	v_cvt_i32_f64_e32 v27, v[23:24]
	s_delay_alu instid0(VALU_DEP_2)
	v_add_f64 v[21:22], v[21:22], -v[25:26]
.LBB248_417:                            ;   in Loop: Header=BB248_217 Depth=1
	s_or_b32 exec_lo, exec_lo, s4
                                        ; implicit-def: $vgpr28
                                        ; implicit-def: $vgpr23_vgpr24
                                        ; implicit-def: $vgpr25_vgpr26
	s_and_saveexec_b32 s4, s5
	s_delay_alu instid0(SALU_CYCLE_1)
	s_xor_b32 s5, exec_lo, s4
	s_cbranch_execz .LBB248_419
; %bb.418:                              ;   in Loop: Header=BB248_217 Depth=1
	v_ldexp_f64 v[23:24], |v[4:5]|, 0xffffff80
	v_cmp_le_f64_e64 vcc_lo, 0x7b000000, |v[4:5]|
	v_trig_preop_f64 v[25:26], |v[4:5]|, 0
	v_and_b32_e32 v19, 0x7fffffff, v5
	v_trig_preop_f64 v[45:46], |v[4:5]|, 1
	v_trig_preop_f64 v[55:56], |v[4:5]|, 2
	s_mov_b32 s20, s22
	s_mov_b32 s27, s25
	v_dual_cndmask_b32 v24, v19, v24 :: v_dual_cndmask_b32 v23, v4, v23
	s_delay_alu instid0(VALU_DEP_1) | instskip(NEXT) | instid1(VALU_DEP_4)
	v_mul_f64 v[47:48], v[25:26], v[23:24]
	v_mul_f64 v[49:50], v[45:46], v[23:24]
	s_delay_alu instid0(VALU_DEP_4) | instskip(NEXT) | instid1(VALU_DEP_3)
	v_mul_f64 v[61:62], v[55:56], v[23:24]
	v_fma_f64 v[25:26], v[25:26], v[23:24], -v[47:48]
	s_delay_alu instid0(VALU_DEP_3) | instskip(NEXT) | instid1(VALU_DEP_3)
	v_fma_f64 v[45:46], v[45:46], v[23:24], -v[49:50]
	v_fma_f64 v[23:24], v[55:56], v[23:24], -v[61:62]
	s_delay_alu instid0(VALU_DEP_3) | instskip(NEXT) | instid1(VALU_DEP_1)
	v_add_f64 v[51:52], v[49:50], v[25:26]
	v_add_f64 v[53:54], v[51:52], -v[49:50]
	v_add_f64 v[59:60], v[47:48], v[51:52]
	s_delay_alu instid0(VALU_DEP_2) | instskip(SKIP_1) | instid1(VALU_DEP_3)
	v_add_f64 v[57:58], v[51:52], -v[53:54]
	v_add_f64 v[25:26], v[25:26], -v[53:54]
	v_ldexp_f64 v[53:54], v[59:60], -2
	v_add_f64 v[47:48], v[59:60], -v[47:48]
	s_delay_alu instid0(VALU_DEP_4) | instskip(SKIP_1) | instid1(VALU_DEP_4)
	v_add_f64 v[49:50], v[49:50], -v[57:58]
	v_add_f64 v[57:58], v[61:62], v[45:46]
	v_cmp_neq_f64_e64 vcc_lo, 0x7ff00000, |v[53:54]|
	s_delay_alu instid0(VALU_DEP_4) | instskip(NEXT) | instid1(VALU_DEP_4)
	v_add_f64 v[47:48], v[51:52], -v[47:48]
	v_add_f64 v[25:26], v[25:26], v[49:50]
	v_fract_f64_e32 v[49:50], v[53:54]
	s_delay_alu instid0(VALU_DEP_2) | instskip(NEXT) | instid1(VALU_DEP_2)
	v_add_f64 v[51:52], v[57:58], v[25:26]
	v_dual_cndmask_b32 v50, 0, v50 :: v_dual_cndmask_b32 v49, 0, v49
	s_delay_alu instid0(VALU_DEP_1) | instskip(NEXT) | instid1(VALU_DEP_3)
	v_ldexp_f64 v[49:50], v[49:50], 2
	v_add_f64 v[53:54], v[47:48], v[51:52]
	v_add_f64 v[63:64], v[51:52], -v[57:58]
	s_delay_alu instid0(VALU_DEP_2) | instskip(NEXT) | instid1(VALU_DEP_2)
	v_add_f64 v[59:60], v[53:54], v[49:50]
	v_add_f64 v[69:70], v[51:52], -v[63:64]
	v_add_f64 v[25:26], v[25:26], -v[63:64]
	v_add_f64 v[47:48], v[53:54], -v[47:48]
	s_delay_alu instid0(VALU_DEP_4) | instskip(SKIP_1) | instid1(VALU_DEP_3)
	v_cmp_gt_f64_e32 vcc_lo, 0, v[59:60]
	v_add_f64 v[59:60], v[57:58], -v[61:62]
	v_add_f64 v[47:48], v[51:52], -v[47:48]
	v_cndmask_b32_e64 v19, 0, 0x40100000, vcc_lo
	s_delay_alu instid0(VALU_DEP_3) | instskip(SKIP_2) | instid1(VALU_DEP_4)
	v_add_f64 v[67:68], v[57:58], -v[59:60]
	v_add_f64 v[45:46], v[45:46], -v[59:60]
	;; [unrolled: 1-line block ×3, first 2 shown]
	v_add_f64 v[49:50], v[49:50], v[18:19]
	s_delay_alu instid0(VALU_DEP_4) | instskip(NEXT) | instid1(VALU_DEP_3)
	v_add_f64 v[59:60], v[61:62], -v[67:68]
	v_add_f64 v[25:26], v[25:26], v[57:58]
	s_delay_alu instid0(VALU_DEP_3) | instskip(NEXT) | instid1(VALU_DEP_3)
	v_add_f64 v[65:66], v[53:54], v[49:50]
	v_add_f64 v[45:46], v[45:46], v[59:60]
	s_delay_alu instid0(VALU_DEP_2) | instskip(NEXT) | instid1(VALU_DEP_2)
	v_cvt_i32_f64_e32 v19, v[65:66]
	v_add_f64 v[25:26], v[45:46], v[25:26]
	s_delay_alu instid0(VALU_DEP_2) | instskip(NEXT) | instid1(VALU_DEP_2)
	v_cvt_f64_i32_e32 v[63:64], v19
	v_add_f64 v[23:24], v[23:24], v[25:26]
	s_delay_alu instid0(VALU_DEP_2) | instskip(NEXT) | instid1(VALU_DEP_2)
	v_add_f64 v[49:50], v[49:50], -v[63:64]
	v_add_f64 v[23:24], v[47:48], v[23:24]
	s_delay_alu instid0(VALU_DEP_2) | instskip(NEXT) | instid1(VALU_DEP_1)
	v_add_f64 v[45:46], v[53:54], v[49:50]
	v_add_f64 v[25:26], v[45:46], -v[49:50]
	v_cmp_le_f64_e32 vcc_lo, 0.5, v[45:46]
	s_delay_alu instid0(VALU_DEP_2) | instskip(SKIP_2) | instid1(VALU_DEP_3)
	v_add_f64 v[25:26], v[53:54], -v[25:26]
	v_add_co_ci_u32_e64 v28, s4, 0, v19, vcc_lo
	v_cndmask_b32_e64 v19, 0, 0x3ff00000, vcc_lo
	v_add_f64 v[23:24], v[23:24], v[25:26]
	s_delay_alu instid0(VALU_DEP_2) | instskip(NEXT) | instid1(VALU_DEP_1)
	v_add_f64 v[25:26], v[45:46], -v[18:19]
	v_add_f64 v[45:46], v[25:26], v[23:24]
	s_delay_alu instid0(VALU_DEP_1) | instskip(SKIP_1) | instid1(VALU_DEP_2)
	v_mul_f64 v[47:48], v[45:46], s[20:21]
	v_add_f64 v[25:26], v[45:46], -v[25:26]
	v_fma_f64 v[49:50], v[45:46], s[20:21], -v[47:48]
	s_delay_alu instid0(VALU_DEP_2) | instskip(NEXT) | instid1(VALU_DEP_2)
	v_add_f64 v[23:24], v[23:24], -v[25:26]
	v_fma_f64 v[25:26], v[45:46], s[26:27], v[49:50]
	s_delay_alu instid0(VALU_DEP_1) | instskip(NEXT) | instid1(VALU_DEP_1)
	v_fma_f64 v[25:26], v[23:24], s[20:21], v[25:26]
	v_add_f64 v[23:24], v[47:48], v[25:26]
	s_delay_alu instid0(VALU_DEP_1) | instskip(NEXT) | instid1(VALU_DEP_1)
	v_add_f64 v[45:46], v[23:24], -v[47:48]
	v_add_f64 v[25:26], v[25:26], -v[45:46]
	s_and_not1_saveexec_b32 s4, s5
	s_cbranch_execnz .LBB248_420
	s_branch .LBB248_421
.LBB248_419:                            ;   in Loop: Header=BB248_217 Depth=1
	s_and_not1_saveexec_b32 s4, s5
	s_cbranch_execz .LBB248_421
.LBB248_420:                            ;   in Loop: Header=BB248_217 Depth=1
	v_mul_f64 v[23:24], |v[4:5]|, s[28:29]
	s_mov_b32 s24, s30
	s_delay_alu instid0(VALU_DEP_1) | instskip(NEXT) | instid1(VALU_DEP_1)
	v_rndne_f64_e32 v[45:46], v[23:24]
	v_fma_f64 v[23:24], v[45:46], s[22:23], |v[4:5]|
	v_mul_f64 v[25:26], v[45:46], s[30:31]
	v_cvt_i32_f64_e32 v28, v[45:46]
	s_delay_alu instid0(VALU_DEP_3) | instskip(NEXT) | instid1(VALU_DEP_3)
	v_fma_f64 v[49:50], v[45:46], s[30:31], v[23:24]
	v_add_f64 v[47:48], v[23:24], v[25:26]
	s_delay_alu instid0(VALU_DEP_1) | instskip(NEXT) | instid1(VALU_DEP_3)
	v_add_f64 v[23:24], v[23:24], -v[47:48]
	v_add_f64 v[47:48], v[47:48], -v[49:50]
	s_delay_alu instid0(VALU_DEP_2) | instskip(SKIP_1) | instid1(VALU_DEP_2)
	v_add_f64 v[23:24], v[23:24], v[25:26]
	v_fma_f64 v[25:26], v[45:46], s[24:25], v[25:26]
	v_add_f64 v[23:24], v[47:48], v[23:24]
	s_delay_alu instid0(VALU_DEP_1) | instskip(NEXT) | instid1(VALU_DEP_1)
	v_add_f64 v[23:24], v[23:24], -v[25:26]
	v_fma_f64 v[25:26], v[45:46], s[34:35], v[23:24]
	s_delay_alu instid0(VALU_DEP_1) | instskip(NEXT) | instid1(VALU_DEP_1)
	v_add_f64 v[23:24], v[49:50], v[25:26]
	v_add_f64 v[47:48], v[23:24], -v[49:50]
	s_delay_alu instid0(VALU_DEP_1)
	v_add_f64 v[25:26], v[25:26], -v[47:48]
.LBB248_421:                            ;   in Loop: Header=BB248_217 Depth=1
	s_or_b32 exec_lo, exec_lo, s4
	v_mul_f64 v[45:46], v[2:3], v[2:3]
	v_mul_f64 v[47:48], v[23:24], v[23:24]
	s_delay_alu instid0(VALU_DEP_3) | instskip(NEXT) | instid1(VALU_DEP_4)
	v_mul_f64 v[65:66], v[21:22], 0.5
	v_mul_f64 v[71:72], v[25:26], 0.5
	s_mov_b32 s88, s60
	v_cmp_class_f64_e64 s4, v[4:5], 0x1f8
	v_and_b32_e32 v19, 1, v27
	v_lshlrev_b32_e32 v4, 30, v28
	v_and_b32_e32 v5, 1, v28
	s_delay_alu instid0(VALU_DEP_3) | instskip(SKIP_1) | instid1(VALU_DEP_4)
	v_cmp_eq_u32_e32 vcc_lo, 0, v19
	v_lshlrev_b32_e32 v19, 30, v27
	v_xor_b32_e32 v4, v4, v20
	s_delay_alu instid0(VALU_DEP_4) | instskip(NEXT) | instid1(VALU_DEP_3)
	v_cmp_eq_u32_e64 s5, 0, v5
	v_and_b32_e32 v5, 0x80000000, v19
	s_delay_alu instid0(VALU_DEP_3)
	v_and_b32_e32 v4, 0x80000000, v4
	v_fma_f64 v[49:50], v[45:46], s[78:79], s[76:77]
	v_fma_f64 v[51:52], v[47:48], s[78:79], s[76:77]
	;; [unrolled: 1-line block ×3, first 2 shown]
	v_mul_f64 v[55:56], v[45:46], 0.5
	v_fma_f64 v[57:58], v[47:48], s[68:69], s[66:67]
	v_mul_f64 v[59:60], v[47:48], 0.5
	v_mul_f64 v[67:68], v[2:3], -v[45:46]
	v_mul_f64 v[73:74], v[23:24], -v[47:48]
	v_fma_f64 v[49:50], v[45:46], v[49:50], s[80:81]
	v_fma_f64 v[51:52], v[47:48], v[51:52], s[80:81]
	;; [unrolled: 1-line block ×3, first 2 shown]
	v_add_f64 v[61:62], -v[55:56], 1.0
	v_fma_f64 v[57:58], v[47:48], v[57:58], s[70:71]
	v_add_f64 v[63:64], -v[59:60], 1.0
	v_fma_f64 v[49:50], v[45:46], v[49:50], s[82:83]
	v_fma_f64 v[51:52], v[47:48], v[51:52], s[82:83]
	;; [unrolled: 1-line block ×3, first 2 shown]
	v_add_f64 v[69:70], -v[61:62], 1.0
	v_fma_f64 v[57:58], v[47:48], v[57:58], s[72:73]
	v_add_f64 v[75:76], -v[63:64], 1.0
	v_fma_f64 v[49:50], v[45:46], v[49:50], s[56:57]
	v_fma_f64 v[51:52], v[47:48], v[51:52], s[56:57]
	;; [unrolled: 1-line block ×3, first 2 shown]
	v_add_f64 v[55:56], v[69:70], -v[55:56]
	v_fma_f64 v[57:58], v[47:48], v[57:58], s[74:75]
	v_add_f64 v[59:60], v[75:76], -v[59:60]
	v_fma_f64 v[49:50], v[67:68], v[49:50], v[65:66]
	v_fma_f64 v[51:52], v[73:74], v[51:52], v[71:72]
	v_mul_f64 v[65:66], v[45:46], v[45:46]
	v_fma_f64 v[53:54], v[45:46], v[53:54], s[60:61]
	v_fma_f64 v[55:56], v[2:3], -v[21:22], v[55:56]
	v_fma_f64 v[21:22], v[45:46], v[49:50], -v[21:22]
	v_mul_f64 v[45:46], v[47:48], v[47:48]
	v_fma_f64 v[49:50], v[47:48], v[57:58], s[60:61]
	v_fma_f64 v[57:58], v[23:24], -v[25:26], v[59:60]
	v_fma_f64 v[25:26], v[47:48], v[51:52], -v[25:26]
	v_fma_f64 v[47:48], v[65:66], v[53:54], v[55:56]
	v_fma_f64 v[21:22], v[67:68], s[88:89], v[21:22]
	s_delay_alu instid0(VALU_DEP_4) | instskip(NEXT) | instid1(VALU_DEP_4)
	v_fma_f64 v[45:46], v[45:46], v[49:50], v[57:58]
	v_fma_f64 v[25:26], v[73:74], s[88:89], v[25:26]
	s_delay_alu instid0(VALU_DEP_4) | instskip(NEXT) | instid1(VALU_DEP_4)
	v_add_f64 v[47:48], v[61:62], v[47:48]
	v_add_f64 v[2:3], v[2:3], -v[21:22]
	s_delay_alu instid0(VALU_DEP_4) | instskip(NEXT) | instid1(VALU_DEP_4)
	v_add_f64 v[21:22], v[63:64], v[45:46]
	v_add_f64 v[23:24], v[23:24], -v[25:26]
	s_delay_alu instid0(VALU_DEP_3) | instskip(NEXT) | instid1(VALU_DEP_4)
	v_cndmask_b32_e32 v2, v2, v47, vcc_lo
	v_xor_b32_e32 v3, 0x80000000, v3
	s_delay_alu instid0(VALU_DEP_3) | instskip(NEXT) | instid1(VALU_DEP_4)
	v_cndmask_b32_e64 v20, v22, v24, s5
	v_cndmask_b32_e64 v19, v21, v23, s5
	s_delay_alu instid0(VALU_DEP_3) | instskip(SKIP_1) | instid1(VALU_DEP_4)
	v_cndmask_b32_e32 v3, v3, v48, vcc_lo
	v_cndmask_b32_e64 v21, 0, v2, s4
	v_xor_b32_e32 v4, v20, v4
	s_delay_alu instid0(VALU_DEP_4) | instskip(NEXT) | instid1(VALU_DEP_4)
	v_cndmask_b32_e64 v19, 0, v19, s4
	v_xor_b32_e32 v3, v3, v5
	s_delay_alu instid0(VALU_DEP_3) | instskip(NEXT) | instid1(VALU_DEP_2)
	v_cndmask_b32_e64 v20, 0x7ff80000, v4, s4
	v_cndmask_b32_e64 v22, 0x7ff80000, v3, s4
.LBB248_422:                            ;   in Loop: Header=BB248_217 Depth=1
	s_or_b32 exec_lo, exec_lo, s6
                                        ; implicit-def: $vgpr2_vgpr3
.LBB248_423:                            ;   in Loop: Header=BB248_217 Depth=1
	s_and_not1_saveexec_b32 s5, s17
	s_cbranch_execz .LBB248_425
; %bb.424:                              ;   in Loop: Header=BB248_217 Depth=1
	s_mov_b32 s36, s38
	s_mov_b32 s59, s57
	v_mul_f64 v[4:5], v[2:3], s[36:37]
	s_mov_b32 s87, s61
	v_cmp_ngt_f64_e32 vcc_lo, 0xc0900000, v[2:3]
	v_cmp_nlt_f64_e64 s4, 0x4090cc00, v[2:3]
	s_delay_alu instid0(VALU_DEP_3) | instskip(NEXT) | instid1(VALU_DEP_1)
	v_rndne_f64_e32 v[4:5], v[4:5]
	v_fma_f64 v[21:22], v[4:5], s[40:41], -v[2:3]
	v_cvt_i32_f64_e32 v25, v[4:5]
	s_delay_alu instid0(VALU_DEP_2) | instskip(NEXT) | instid1(VALU_DEP_1)
	v_fma_f64 v[21:22], v[4:5], s[42:43], v[21:22]
	v_fma_f64 v[23:24], v[21:22], s[46:47], s[44:45]
	s_delay_alu instid0(VALU_DEP_1) | instskip(NEXT) | instid1(VALU_DEP_1)
	v_fma_f64 v[23:24], v[21:22], v[23:24], s[48:49]
	v_fma_f64 v[23:24], v[21:22], v[23:24], s[50:51]
	s_delay_alu instid0(VALU_DEP_1) | instskip(NEXT) | instid1(VALU_DEP_1)
	;; [unrolled: 3-line block ×5, first 2 shown]
	v_fma_f64 v[23:24], v[21:22], v[23:24], 1.0
	v_fma_f64 v[4:5], v[21:22], v[23:24], 1.0
	s_delay_alu instid0(VALU_DEP_1) | instskip(NEXT) | instid1(VALU_DEP_1)
	v_ldexp_f64 v[4:5], v[4:5], v25
	v_cndmask_b32_e32 v5, 0x7ff00000, v5, vcc_lo
	s_and_b32 vcc_lo, s4, vcc_lo
	s_delay_alu instid0(VALU_DEP_2) | instskip(NEXT) | instid1(VALU_DEP_2)
	v_cndmask_b32_e32 v21, 0, v4, vcc_lo
	v_cndmask_b32_e64 v22, 0, v5, s4
.LBB248_425:                            ;   in Loop: Header=BB248_217 Depth=1
	s_or_b32 exec_lo, exec_lo, s5
	s_delay_alu instid0(VALU_DEP_1) | instskip(NEXT) | instid1(VALU_DEP_2)
	v_add_f64 v[21:22], s[8:9], v[21:22]
	v_add_f64 v[19:20], s[10:11], v[19:20]
                                        ; implicit-def: $vgpr4_vgpr5
	s_delay_alu instid0(VALU_DEP_2) | instskip(NEXT) | instid1(VALU_DEP_2)
	v_cmp_gt_f64_e32 vcc_lo, 0, v[21:22]
	v_cmp_gt_f64_e64 s4, 0, v[19:20]
	v_xor_b32_e32 v2, 0x80000000, v22
	v_xor_b32_e32 v3, 0x80000000, v20
	s_delay_alu instid0(VALU_DEP_2) | instskip(NEXT) | instid1(VALU_DEP_2)
	v_dual_cndmask_b32 v24, v22, v2 :: v_dual_cndmask_b32 v23, v21, v21
	v_cndmask_b32_e64 v26, v20, v3, s4
	v_cndmask_b32_e64 v25, v19, v19, s4
	s_mov_b32 s4, exec_lo
	s_delay_alu instid0(VALU_DEP_1)
	v_cmpx_ge_f64_e32 v[23:24], v[25:26]
	s_xor_b32 s5, exec_lo, s4
	s_cbranch_execz .LBB248_435
; %bb.426:                              ;   in Loop: Header=BB248_217 Depth=1
	v_cmp_neq_f64_e32 vcc_lo, 0, v[21:22]
	v_cmp_neq_f64_e64 s4, 0, v[19:20]
                                        ; implicit-def: $vgpr4_vgpr5
	s_delay_alu instid0(VALU_DEP_1) | instskip(NEXT) | instid1(SALU_CYCLE_1)
	s_or_b32 s4, vcc_lo, s4
	s_and_saveexec_b32 s6, s4
	s_delay_alu instid0(SALU_CYCLE_1)
	s_xor_b32 s4, exec_lo, s6
	s_cbranch_execz .LBB248_428
; %bb.427:                              ;   in Loop: Header=BB248_217 Depth=1
	v_div_scale_f64 v[2:3], null, v[21:22], v[21:22], v[19:20]
	v_div_scale_f64 v[25:26], vcc_lo, v[19:20], v[21:22], v[19:20]
	s_delay_alu instid0(VALU_DEP_2) | instskip(SKIP_2) | instid1(VALU_DEP_1)
	v_rcp_f64_e32 v[4:5], v[2:3]
	s_waitcnt_depctr 0xfff
	v_fma_f64 v[23:24], -v[2:3], v[4:5], 1.0
	v_fma_f64 v[4:5], v[4:5], v[23:24], v[4:5]
	s_delay_alu instid0(VALU_DEP_1) | instskip(NEXT) | instid1(VALU_DEP_1)
	v_fma_f64 v[23:24], -v[2:3], v[4:5], 1.0
	v_fma_f64 v[4:5], v[4:5], v[23:24], v[4:5]
	s_delay_alu instid0(VALU_DEP_1) | instskip(NEXT) | instid1(VALU_DEP_1)
	v_mul_f64 v[23:24], v[25:26], v[4:5]
	v_fma_f64 v[2:3], -v[2:3], v[23:24], v[25:26]
	s_delay_alu instid0(VALU_DEP_1) | instskip(NEXT) | instid1(VALU_DEP_1)
	v_div_fmas_f64 v[2:3], v[2:3], v[4:5], v[23:24]
	v_div_fixup_f64 v[2:3], v[2:3], v[21:22], v[19:20]
	s_delay_alu instid0(VALU_DEP_1) | instskip(NEXT) | instid1(VALU_DEP_1)
	v_fma_f64 v[4:5], v[19:20], v[2:3], v[21:22]
	v_div_scale_f64 v[19:20], null, v[4:5], v[4:5], 1.0
	v_div_scale_f64 v[25:26], vcc_lo, 1.0, v[4:5], 1.0
	s_delay_alu instid0(VALU_DEP_2) | instskip(SKIP_2) | instid1(VALU_DEP_1)
	v_rcp_f64_e32 v[21:22], v[19:20]
	s_waitcnt_depctr 0xfff
	v_fma_f64 v[23:24], -v[19:20], v[21:22], 1.0
	v_fma_f64 v[21:22], v[21:22], v[23:24], v[21:22]
	s_delay_alu instid0(VALU_DEP_1) | instskip(NEXT) | instid1(VALU_DEP_1)
	v_fma_f64 v[23:24], -v[19:20], v[21:22], 1.0
	v_fma_f64 v[21:22], v[21:22], v[23:24], v[21:22]
	s_delay_alu instid0(VALU_DEP_1) | instskip(NEXT) | instid1(VALU_DEP_1)
	v_mul_f64 v[23:24], v[25:26], v[21:22]
	v_fma_f64 v[19:20], -v[19:20], v[23:24], v[25:26]
                                        ; implicit-def: $vgpr25_vgpr26
	s_delay_alu instid0(VALU_DEP_1) | instskip(SKIP_1) | instid1(VALU_DEP_2)
	v_div_fmas_f64 v[19:20], v[19:20], v[21:22], v[23:24]
	v_fma_f64 v[21:22], s[10:11], v[2:3], s[8:9]
                                        ; implicit-def: $vgpr23_vgpr24
	v_div_fixup_f64 v[4:5], v[19:20], v[4:5], 1.0
	v_fma_f64 v[19:20], -s[8:9], v[2:3], s[10:11]
	s_delay_alu instid0(VALU_DEP_2) | instskip(NEXT) | instid1(VALU_DEP_2)
	v_mul_f64 v[2:3], v[21:22], v[4:5]
	v_mul_f64 v[4:5], v[19:20], v[4:5]
.LBB248_428:                            ;   in Loop: Header=BB248_217 Depth=1
	s_and_not1_saveexec_b32 s6, s4
	s_cbranch_execz .LBB248_430
; %bb.429:                              ;   in Loop: Header=BB248_217 Depth=1
	v_div_scale_f64 v[2:3], null, v[23:24], v[23:24], s[8:9]
	v_div_scale_f64 v[4:5], null, v[25:26], v[25:26], s[10:11]
	v_div_scale_f64 v[47:48], vcc_lo, s[8:9], v[23:24], s[8:9]
	s_delay_alu instid0(VALU_DEP_3) | instskip(NEXT) | instid1(VALU_DEP_2)
	v_rcp_f64_e32 v[19:20], v[2:3]
	v_rcp_f64_e32 v[21:22], v[4:5]
	s_waitcnt_depctr 0xfff
	v_fma_f64 v[27:28], -v[2:3], v[19:20], 1.0
	v_fma_f64 v[45:46], -v[4:5], v[21:22], 1.0
	s_delay_alu instid0(VALU_DEP_2) | instskip(NEXT) | instid1(VALU_DEP_2)
	v_fma_f64 v[19:20], v[19:20], v[27:28], v[19:20]
	v_fma_f64 v[21:22], v[21:22], v[45:46], v[21:22]
	s_delay_alu instid0(VALU_DEP_2) | instskip(NEXT) | instid1(VALU_DEP_2)
	v_fma_f64 v[27:28], -v[2:3], v[19:20], 1.0
	v_fma_f64 v[45:46], -v[4:5], v[21:22], 1.0
	s_delay_alu instid0(VALU_DEP_2) | instskip(SKIP_1) | instid1(VALU_DEP_3)
	v_fma_f64 v[19:20], v[19:20], v[27:28], v[19:20]
	v_div_scale_f64 v[27:28], s4, s[10:11], v[25:26], s[10:11]
	v_fma_f64 v[21:22], v[21:22], v[45:46], v[21:22]
	s_delay_alu instid0(VALU_DEP_3) | instskip(NEXT) | instid1(VALU_DEP_2)
	v_mul_f64 v[45:46], v[47:48], v[19:20]
	v_mul_f64 v[49:50], v[27:28], v[21:22]
	s_delay_alu instid0(VALU_DEP_2) | instskip(NEXT) | instid1(VALU_DEP_2)
	v_fma_f64 v[2:3], -v[2:3], v[45:46], v[47:48]
	v_fma_f64 v[4:5], -v[4:5], v[49:50], v[27:28]
	s_delay_alu instid0(VALU_DEP_2) | instskip(SKIP_1) | instid1(VALU_DEP_2)
	v_div_fmas_f64 v[2:3], v[2:3], v[19:20], v[45:46]
	s_mov_b32 vcc_lo, s4
	v_div_fmas_f64 v[4:5], v[4:5], v[21:22], v[49:50]
	s_delay_alu instid0(VALU_DEP_2) | instskip(NEXT) | instid1(VALU_DEP_2)
	v_div_fixup_f64 v[2:3], v[2:3], v[23:24], s[8:9]
	v_div_fixup_f64 v[4:5], v[4:5], v[25:26], s[10:11]
.LBB248_430:                            ;   in Loop: Header=BB248_217 Depth=1
	s_or_b32 exec_lo, exec_lo, s6
                                        ; implicit-def: $vgpr19_vgpr20
                                        ; implicit-def: $vgpr21_vgpr22
	s_and_not1_saveexec_b32 s4, s5
	s_cbranch_execnz .LBB248_436
.LBB248_431:                            ;   in Loop: Header=BB248_217 Depth=1
	s_or_b32 exec_lo, exec_lo, s4
	s_and_saveexec_b32 s4, s0
	s_delay_alu instid0(SALU_CYCLE_1)
	s_xor_b32 s0, exec_lo, s4
	s_cbranch_execz .LBB248_437
.LBB248_432:                            ;   in Loop: Header=BB248_217 Depth=1
	v_add_co_u32 v19, vcc_lo, v31, s12
	v_add_co_ci_u32_e32 v20, vcc_lo, s13, v32, vcc_lo
	global_store_b128 v[19:20], v[6:9], off offset:-8
	s_or_b32 exec_lo, exec_lo, s0
	s_and_saveexec_b32 s0, s1
	s_cbranch_execnz .LBB248_438
.LBB248_433:                            ;   in Loop: Header=BB248_217 Depth=1
	s_or_b32 exec_lo, exec_lo, s0
	s_and_saveexec_b32 s0, s2
	s_cbranch_execz .LBB248_439
.LBB248_434:                            ;   in Loop: Header=BB248_217 Depth=1
	v_add_co_u32 v6, vcc_lo, v43, s12
	v_add_co_ci_u32_e32 v7, vcc_lo, s13, v44, vcc_lo
	global_store_b128 v[6:7], v[10:13], off offset:-8
	s_or_b32 exec_lo, exec_lo, s0
	s_and_saveexec_b32 s0, s3
	s_cbranch_execz .LBB248_216
	s_branch .LBB248_440
.LBB248_435:                            ;   in Loop: Header=BB248_217 Depth=1
	s_and_not1_saveexec_b32 s4, s5
	s_cbranch_execz .LBB248_431
.LBB248_436:                            ;   in Loop: Header=BB248_217 Depth=1
	v_div_scale_f64 v[2:3], null, v[19:20], v[19:20], v[21:22]
	v_div_scale_f64 v[25:26], vcc_lo, v[21:22], v[19:20], v[21:22]
	s_delay_alu instid0(VALU_DEP_2) | instskip(SKIP_2) | instid1(VALU_DEP_1)
	v_rcp_f64_e32 v[4:5], v[2:3]
	s_waitcnt_depctr 0xfff
	v_fma_f64 v[23:24], -v[2:3], v[4:5], 1.0
	v_fma_f64 v[4:5], v[4:5], v[23:24], v[4:5]
	s_delay_alu instid0(VALU_DEP_1) | instskip(NEXT) | instid1(VALU_DEP_1)
	v_fma_f64 v[23:24], -v[2:3], v[4:5], 1.0
	v_fma_f64 v[4:5], v[4:5], v[23:24], v[4:5]
	s_delay_alu instid0(VALU_DEP_1) | instskip(NEXT) | instid1(VALU_DEP_1)
	v_mul_f64 v[23:24], v[25:26], v[4:5]
	v_fma_f64 v[2:3], -v[2:3], v[23:24], v[25:26]
	s_delay_alu instid0(VALU_DEP_1) | instskip(NEXT) | instid1(VALU_DEP_1)
	v_div_fmas_f64 v[2:3], v[2:3], v[4:5], v[23:24]
	v_div_fixup_f64 v[2:3], v[2:3], v[19:20], v[21:22]
	s_delay_alu instid0(VALU_DEP_1) | instskip(NEXT) | instid1(VALU_DEP_1)
	v_fma_f64 v[4:5], v[21:22], v[2:3], v[19:20]
	v_div_scale_f64 v[19:20], null, v[4:5], v[4:5], 1.0
	v_div_scale_f64 v[25:26], vcc_lo, 1.0, v[4:5], 1.0
	s_delay_alu instid0(VALU_DEP_2) | instskip(SKIP_2) | instid1(VALU_DEP_1)
	v_rcp_f64_e32 v[21:22], v[19:20]
	s_waitcnt_depctr 0xfff
	v_fma_f64 v[23:24], -v[19:20], v[21:22], 1.0
	v_fma_f64 v[21:22], v[21:22], v[23:24], v[21:22]
	s_delay_alu instid0(VALU_DEP_1) | instskip(NEXT) | instid1(VALU_DEP_1)
	v_fma_f64 v[23:24], -v[19:20], v[21:22], 1.0
	v_fma_f64 v[21:22], v[21:22], v[23:24], v[21:22]
	s_delay_alu instid0(VALU_DEP_1) | instskip(NEXT) | instid1(VALU_DEP_1)
	v_mul_f64 v[23:24], v[25:26], v[21:22]
	v_fma_f64 v[19:20], -v[19:20], v[23:24], v[25:26]
	s_delay_alu instid0(VALU_DEP_1) | instskip(SKIP_1) | instid1(VALU_DEP_2)
	v_div_fmas_f64 v[19:20], v[19:20], v[21:22], v[23:24]
	v_fma_f64 v[21:22], s[8:9], v[2:3], s[10:11]
	v_div_fixup_f64 v[4:5], v[19:20], v[4:5], 1.0
	v_fma_f64 v[19:20], s[10:11], v[2:3], -s[8:9]
	s_delay_alu instid0(VALU_DEP_2) | instskip(NEXT) | instid1(VALU_DEP_2)
	v_mul_f64 v[2:3], v[21:22], v[4:5]
	v_mul_f64 v[4:5], v[19:20], v[4:5]
	s_or_b32 exec_lo, exec_lo, s4
	s_and_saveexec_b32 s4, s0
	s_delay_alu instid0(SALU_CYCLE_1)
	s_xor_b32 s0, exec_lo, s4
	s_cbranch_execnz .LBB248_432
.LBB248_437:                            ;   in Loop: Header=BB248_217 Depth=1
	s_or_b32 exec_lo, exec_lo, s0
	s_and_saveexec_b32 s0, s1
	s_cbranch_execz .LBB248_433
.LBB248_438:                            ;   in Loop: Header=BB248_217 Depth=1
	v_add_co_u32 v6, vcc_lo, v33, s12
	v_add_co_ci_u32_e32 v7, vcc_lo, s13, v34, vcc_lo
	global_store_b128 v[6:7], v[14:17], off
	s_or_b32 exec_lo, exec_lo, s0
	s_and_saveexec_b32 s0, s2
	s_cbranch_execnz .LBB248_434
.LBB248_439:                            ;   in Loop: Header=BB248_217 Depth=1
	s_or_b32 exec_lo, exec_lo, s0
	s_and_saveexec_b32 s0, s3
	s_cbranch_execz .LBB248_216
.LBB248_440:                            ;   in Loop: Header=BB248_217 Depth=1
	v_add_co_u32 v6, vcc_lo, v39, s12
	v_add_co_ci_u32_e32 v7, vcc_lo, s13, v40, vcc_lo
	global_store_b128 v[6:7], v[2:5], off offset:-8
	s_branch .LBB248_216
.LBB248_441:
	s_nop 0
	s_sendmsg sendmsg(MSG_DEALLOC_VGPRS)
	s_endpgm
	.section	.rodata,"a",@progbits
	.p2align	6, 0x0
	.amdhsa_kernel _ZN2at6native12_GLOBAL__N_125multi_tensor_apply_kernelINS1_18TensorListMetadataILi2EEENS1_14UnaryOpFunctorIN3c107complexIdEELi2ELi1ELi1EEEJNS0_7SigmoidIS8_EEEEEvT_T0_DpT1_
		.amdhsa_group_segment_fixed_size 0
		.amdhsa_private_segment_fixed_size 0
		.amdhsa_kernarg_size 3424
		.amdhsa_user_sgpr_count 15
		.amdhsa_user_sgpr_dispatch_ptr 0
		.amdhsa_user_sgpr_queue_ptr 0
		.amdhsa_user_sgpr_kernarg_segment_ptr 1
		.amdhsa_user_sgpr_dispatch_id 0
		.amdhsa_user_sgpr_private_segment_size 0
		.amdhsa_wavefront_size32 1
		.amdhsa_uses_dynamic_stack 0
		.amdhsa_enable_private_segment 0
		.amdhsa_system_sgpr_workgroup_id_x 1
		.amdhsa_system_sgpr_workgroup_id_y 0
		.amdhsa_system_sgpr_workgroup_id_z 0
		.amdhsa_system_sgpr_workgroup_info 0
		.amdhsa_system_vgpr_workitem_id 0
		.amdhsa_next_free_vgpr 85
		.amdhsa_next_free_sgpr 100
		.amdhsa_reserve_vcc 1
		.amdhsa_float_round_mode_32 0
		.amdhsa_float_round_mode_16_64 0
		.amdhsa_float_denorm_mode_32 3
		.amdhsa_float_denorm_mode_16_64 3
		.amdhsa_dx10_clamp 1
		.amdhsa_ieee_mode 1
		.amdhsa_fp16_overflow 0
		.amdhsa_workgroup_processor_mode 1
		.amdhsa_memory_ordered 1
		.amdhsa_forward_progress 0
		.amdhsa_shared_vgpr_count 0
		.amdhsa_exception_fp_ieee_invalid_op 0
		.amdhsa_exception_fp_denorm_src 0
		.amdhsa_exception_fp_ieee_div_zero 0
		.amdhsa_exception_fp_ieee_overflow 0
		.amdhsa_exception_fp_ieee_underflow 0
		.amdhsa_exception_fp_ieee_inexact 0
		.amdhsa_exception_int_div_zero 0
	.end_amdhsa_kernel
	.section	.text._ZN2at6native12_GLOBAL__N_125multi_tensor_apply_kernelINS1_18TensorListMetadataILi2EEENS1_14UnaryOpFunctorIN3c107complexIdEELi2ELi1ELi1EEEJNS0_7SigmoidIS8_EEEEEvT_T0_DpT1_,"axG",@progbits,_ZN2at6native12_GLOBAL__N_125multi_tensor_apply_kernelINS1_18TensorListMetadataILi2EEENS1_14UnaryOpFunctorIN3c107complexIdEELi2ELi1ELi1EEEJNS0_7SigmoidIS8_EEEEEvT_T0_DpT1_,comdat
.Lfunc_end248:
	.size	_ZN2at6native12_GLOBAL__N_125multi_tensor_apply_kernelINS1_18TensorListMetadataILi2EEENS1_14UnaryOpFunctorIN3c107complexIdEELi2ELi1ELi1EEEJNS0_7SigmoidIS8_EEEEEvT_T0_DpT1_, .Lfunc_end248-_ZN2at6native12_GLOBAL__N_125multi_tensor_apply_kernelINS1_18TensorListMetadataILi2EEENS1_14UnaryOpFunctorIN3c107complexIdEELi2ELi1ELi1EEEJNS0_7SigmoidIS8_EEEEEvT_T0_DpT1_
                                        ; -- End function
	.section	.AMDGPU.csdata,"",@progbits
; Kernel info:
; codeLenInByte = 74024
; NumSgprs: 102
; NumVgprs: 85
; ScratchSize: 0
; MemoryBound: 1
; FloatMode: 240
; IeeeMode: 1
; LDSByteSize: 0 bytes/workgroup (compile time only)
; SGPRBlocks: 12
; VGPRBlocks: 10
; NumSGPRsForWavesPerEU: 102
; NumVGPRsForWavesPerEU: 85
; Occupancy: 16
; WaveLimiterHint : 0
; COMPUTE_PGM_RSRC2:SCRATCH_EN: 0
; COMPUTE_PGM_RSRC2:USER_SGPR: 15
; COMPUTE_PGM_RSRC2:TRAP_HANDLER: 0
; COMPUTE_PGM_RSRC2:TGID_X_EN: 1
; COMPUTE_PGM_RSRC2:TGID_Y_EN: 0
; COMPUTE_PGM_RSRC2:TGID_Z_EN: 0
; COMPUTE_PGM_RSRC2:TIDIG_COMP_CNT: 0
	.section	.text._ZN2at6native12_GLOBAL__N_125multi_tensor_apply_kernelINS1_18TensorListMetadataILi2EEENS1_14UnaryOpFunctorIN3c107complexIfEELi2ELi1ELi1EEEJNS0_7SigmoidIS8_EEEEEvT_T0_DpT1_,"axG",@progbits,_ZN2at6native12_GLOBAL__N_125multi_tensor_apply_kernelINS1_18TensorListMetadataILi2EEENS1_14UnaryOpFunctorIN3c107complexIfEELi2ELi1ELi1EEEJNS0_7SigmoidIS8_EEEEEvT_T0_DpT1_,comdat
	.globl	_ZN2at6native12_GLOBAL__N_125multi_tensor_apply_kernelINS1_18TensorListMetadataILi2EEENS1_14UnaryOpFunctorIN3c107complexIfEELi2ELi1ELi1EEEJNS0_7SigmoidIS8_EEEEEvT_T0_DpT1_ ; -- Begin function _ZN2at6native12_GLOBAL__N_125multi_tensor_apply_kernelINS1_18TensorListMetadataILi2EEENS1_14UnaryOpFunctorIN3c107complexIfEELi2ELi1ELi1EEEJNS0_7SigmoidIS8_EEEEEvT_T0_DpT1_
	.p2align	8
	.type	_ZN2at6native12_GLOBAL__N_125multi_tensor_apply_kernelINS1_18TensorListMetadataILi2EEENS1_14UnaryOpFunctorIN3c107complexIfEELi2ELi1ELi1EEEJNS0_7SigmoidIS8_EEEEEvT_T0_DpT1_,@function
_ZN2at6native12_GLOBAL__N_125multi_tensor_apply_kernelINS1_18TensorListMetadataILi2EEENS1_14UnaryOpFunctorIN3c107complexIfEELi2ELi1ELi1EEEJNS0_7SigmoidIS8_EEEEEvT_T0_DpT1_: ; @_ZN2at6native12_GLOBAL__N_125multi_tensor_apply_kernelINS1_18TensorListMetadataILi2EEENS1_14UnaryOpFunctorIN3c107complexIfEELi2ELi1ELi1EEEJNS0_7SigmoidIS8_EEEEEvT_T0_DpT1_
; %bb.0:
	v_mov_b32_e32 v1, s15
	s_add_u32 s2, s0, s15
	s_mul_hi_u32 s3, s15, 3
	s_mul_i32 s15, s15, 3
	s_addc_u32 s4, s1, 0
	global_load_u8 v1, v1, s[0:1] offset:1536
	s_add_u32 s2, s2, s15
	s_addc_u32 s3, s4, s3
	s_mov_b32 s21, 0
	s_load_b32 s2, s[2:3], 0x740
	s_mov_b32 s23, s21
	s_mov_b32 s25, s21
	s_waitcnt vmcnt(0)
	v_readfirstlane_b32 s3, v1
	s_delay_alu instid0(VALU_DEP_1)
	s_lshl_b32 s3, s3, 3
	s_clause 0x3
	s_load_b64 s[6:7], s[0:1], s3 offset:0x0
	s_load_b64 s[18:19], s[0:1], s3 offset:0x200
	;; [unrolled: 1-line block ×3, first 2 shown]
	s_load_b64 s[8:9], s[0:1], 0xc50
	s_waitcnt lgkmcnt(0)
	s_ashr_i32 s3, s2, 31
	s_delay_alu instid0(SALU_CYCLE_1) | instskip(NEXT) | instid1(SALU_CYCLE_1)
	s_lshl_b64 s[10:11], s[2:3], 19
	s_add_u32 s5, s6, s10
	s_addc_u32 s14, s7, s11
	s_add_u32 s15, s18, s10
	s_addc_u32 s16, s19, s11
	s_and_b32 s22, s5, 31
	s_and_b32 s24, s12, 3
	;; [unrolled: 1-line block ×3, first 2 shown]
	s_or_b64 s[22:23], s[22:23], s[24:25]
	s_lshl_b64 s[2:3], s[2:3], 16
	s_or_b64 s[20:21], s[20:21], s[22:23]
	s_sub_u32 s12, s12, s2
	s_subb_u32 s13, s13, s3
	s_cmp_eq_u64 s[20:21], 0
	s_mov_b32 s2, -1
	s_cbranch_scc0 .LBB249_213
; %bb.1:
	v_dual_mov_b32 v13, 0 :: v_dual_lshlrev_b32 v12, 2, v0
	s_mov_b32 s17, exec_lo
	s_delay_alu instid0(VALU_DEP_1)
	v_cmpx_gt_i64_e64 s[12:13], v[12:13]
	s_cbranch_execz .LBB249_212
; %bb.2:
	s_load_b32 s2, s[0:1], 0xc64
	s_mov_b32 s20, 0
	s_mov_b32 s23, 0x7fffff
	s_mov_b32 s24, 0xb94c1982
	s_mov_b32 s25, 0x37d75334
	s_mov_b32 s26, 0x7f000000
	s_waitcnt lgkmcnt(0)
	s_and_b32 s2, s2, 0xffff
	s_delay_alu instid0(SALU_CYCLE_1) | instskip(SKIP_3) | instid1(VALU_DEP_2)
	v_add_lshl_u32 v12, v0, s2, 2
	v_dual_mov_b32 v15, v13 :: v_dual_lshlrev_b32 v16, 5, v0
	s_lshl_b32 s21, s2, 2
	s_lshl_b32 s22, s2, 5
	v_mov_b32_e32 v14, v12
	s_branch .LBB249_4
.LBB249_3:                              ;   in Loop: Header=BB249_4 Depth=1
	s_or_b32 exec_lo, exec_lo, s2
	v_cmp_le_i64_e32 vcc_lo, s[12:13], v[14:15]
	v_cmp_lt_u64_e64 s2, 0xffff, v[14:15]
	v_add_co_u32 v1, s3, s15, v16
	s_delay_alu instid0(VALU_DEP_1)
	v_add_co_ci_u32_e64 v2, null, s16, 0, s3
	s_clause 0x1
	global_store_b128 v[1:2], v[5:8], off
	global_store_b128 v[1:2], v[9:12], off offset:16
	s_or_b32 s2, vcc_lo, s2
	s_add_u32 s5, s5, s22
	v_add_co_u32 v14, vcc_lo, v14, s21
	s_addc_u32 s14, s14, 0
	s_add_u32 s15, s15, s22
	v_add_co_ci_u32_e32 v15, vcc_lo, 0, v15, vcc_lo
	s_addc_u32 s16, s16, 0
	s_and_b32 s2, exec_lo, s2
	s_delay_alu instid0(SALU_CYCLE_1) | instskip(NEXT) | instid1(SALU_CYCLE_1)
	s_or_b32 s20, s2, s20
	s_and_not1_b32 exec_lo, exec_lo, s20
	s_cbranch_execz .LBB249_212
.LBB249_4:                              ; =>This Inner Loop Header: Depth=1
	v_add_co_u32 v1, s2, s5, v16
	s_delay_alu instid0(VALU_DEP_1)
	v_add_co_ci_u32_e64 v2, null, s14, 0, s2
                                        ; implicit-def: $vgpr11
	s_mov_b32 s2, exec_lo
	s_clause 0x1
	global_load_b128 v[7:10], v[1:2], off
	global_load_b128 v[1:4], v[1:2], off offset:16
	s_waitcnt vmcnt(1)
	v_and_b32_e32 v6, 0x7fffffff, v8
	v_xor_b32_e32 v5, 0x80000000, v8
	s_delay_alu instid0(VALU_DEP_2)
	v_cmpx_ne_u32_e32 0, v6
	s_xor_b32 s27, exec_lo, s2
	s_cbranch_execz .LBB249_46
; %bb.5:                                ;   in Loop: Header=BB249_4 Depth=1
	v_and_b32_e32 v17, 0x7fffffff, v7
                                        ; implicit-def: $vgpr11
	s_mov_b32 s2, exec_lo
	s_delay_alu instid0(VALU_DEP_1)
	v_cmpx_ne_u32_e32 0, v17
	s_xor_b32 s28, exec_lo, s2
	s_cbranch_execz .LBB249_35
; %bb.6:                                ;   in Loop: Header=BB249_4 Depth=1
	v_xor_b32_e32 v12, 0x80000000, v7
                                        ; implicit-def: $vgpr11
	s_mov_b32 s2, exec_lo
	v_cmpx_gt_u32_e32 0x7f800000, v6
	s_xor_b32 s29, exec_lo, s2
	s_cbranch_execz .LBB249_28
; %bb.7:                                ;   in Loop: Header=BB249_4 Depth=1
	v_add_nc_u32_e32 v11, 0xbd4e8de8, v12
	s_delay_alu instid0(VALU_DEP_1) | instskip(SKIP_1) | instid1(SALU_CYCLE_1)
	v_cmp_lt_u32_e32 vcc_lo, 0x8e8e5c, v11
                                        ; implicit-def: $vgpr11
	s_and_saveexec_b32 s2, vcc_lo
	s_xor_b32 s30, exec_lo, s2
	s_cbranch_execz .LBB249_17
; %bb.8:                                ;   in Loop: Header=BB249_4 Depth=1
	v_cmp_ngt_f32_e64 s31, 0x48000000, |v8|
                                        ; implicit-def: $vgpr17
                                        ; implicit-def: $vgpr11
	s_delay_alu instid0(VALU_DEP_1) | instskip(NEXT) | instid1(SALU_CYCLE_1)
	s_and_saveexec_b32 s2, s31
	s_xor_b32 s33, exec_lo, s2
	s_cbranch_execz .LBB249_10
; %bb.9:                                ;   in Loop: Header=BB249_4 Depth=1
	v_and_or_b32 v24, v6, s23, 0x800000
	v_lshrrev_b32_e32 v21, 23, v6
	s_delay_alu instid0(VALU_DEP_2) | instskip(NEXT) | instid1(VALU_DEP_2)
	v_mad_u64_u32 v[11:12], null, 0xfe5163ab, v24, 0
	v_add_nc_u32_e32 v22, 0xffffff88, v21
	s_delay_alu instid0(VALU_DEP_1) | instskip(NEXT) | instid1(VALU_DEP_3)
	v_cmp_lt_u32_e32 vcc_lo, 63, v22
	v_mad_u64_u32 v[17:18], null, 0x3c439041, v24, v[12:13]
	v_cndmask_b32_e64 v23, 0, 0xffffffc0, vcc_lo
	s_delay_alu instid0(VALU_DEP_1) | instskip(NEXT) | instid1(VALU_DEP_1)
	v_dual_mov_b32 v12, v18 :: v_dual_add_nc_u32 v23, v23, v22
	v_mad_u64_u32 v[18:19], null, 0xdb629599, v24, v[12:13]
	s_delay_alu instid0(VALU_DEP_2) | instskip(NEXT) | instid1(VALU_DEP_1)
	v_cmp_lt_u32_e64 s2, 31, v23
	v_cndmask_b32_e64 v25, 0, 0xffffffe0, s2
	s_delay_alu instid0(VALU_DEP_3) | instskip(NEXT) | instid1(VALU_DEP_2)
	v_dual_mov_b32 v12, v19 :: v_dual_cndmask_b32 v11, v18, v11
	v_add_nc_u32_e32 v25, v25, v23
	s_delay_alu instid0(VALU_DEP_2) | instskip(NEXT) | instid1(VALU_DEP_2)
	v_mad_u64_u32 v[19:20], null, 0xf534ddc0, v24, v[12:13]
	v_cmp_lt_u32_e64 s3, 31, v25
	s_delay_alu instid0(VALU_DEP_2) | instskip(NEXT) | instid1(VALU_DEP_1)
	v_dual_mov_b32 v12, v20 :: v_dual_cndmask_b32 v17, v19, v17
	v_mad_u64_u32 v[20:21], null, 0xfc2757d1, v24, v[12:13]
	s_delay_alu instid0(VALU_DEP_2) | instskip(NEXT) | instid1(VALU_DEP_2)
	v_cndmask_b32_e64 v11, v17, v11, s2
	v_mov_b32_e32 v12, v21
	s_delay_alu instid0(VALU_DEP_1) | instskip(NEXT) | instid1(VALU_DEP_1)
	v_mad_u64_u32 v[21:22], null, 0x4e441529, v24, v[12:13]
	v_mov_b32_e32 v12, v22
	s_delay_alu instid0(VALU_DEP_1) | instskip(SKIP_1) | instid1(VALU_DEP_4)
	v_mad_u64_u32 v[22:23], null, 0xa2f9836e, v24, v[12:13]
	v_cndmask_b32_e64 v12, 0, 0xffffffe0, s3
	v_cndmask_b32_e32 v24, v21, v19, vcc_lo
	s_delay_alu instid0(VALU_DEP_2) | instskip(NEXT) | instid1(VALU_DEP_4)
	v_add_nc_u32_e32 v12, v12, v25
	v_dual_cndmask_b32 v22, v22, v20 :: v_dual_cndmask_b32 v21, v23, v21
	v_cndmask_b32_e32 v20, v20, v18, vcc_lo
	s_delay_alu instid0(VALU_DEP_3) | instskip(NEXT) | instid1(VALU_DEP_3)
	v_sub_nc_u32_e32 v23, 32, v12
	v_cndmask_b32_e64 v19, v22, v24, s2
	s_delay_alu instid0(VALU_DEP_4) | instskip(NEXT) | instid1(VALU_DEP_4)
	v_cndmask_b32_e64 v21, v21, v22, s2
	v_cndmask_b32_e64 v22, v24, v20, s2
	;; [unrolled: 1-line block ×3, first 2 shown]
	v_cmp_eq_u32_e64 s4, 0, v12
	s_delay_alu instid0(VALU_DEP_4) | instskip(NEXT) | instid1(VALU_DEP_4)
	v_cndmask_b32_e64 v21, v21, v19, s3
	v_cndmask_b32_e64 v19, v19, v22, s3
	s_delay_alu instid0(VALU_DEP_4) | instskip(SKIP_1) | instid1(VALU_DEP_3)
	v_cndmask_b32_e64 v22, v22, v20, s3
	v_cndmask_b32_e64 v11, v20, v11, s3
	v_alignbit_b32 v24, v21, v19, v23
	s_delay_alu instid0(VALU_DEP_3) | instskip(NEXT) | instid1(VALU_DEP_3)
	v_alignbit_b32 v25, v19, v22, v23
	v_alignbit_b32 v23, v22, v11, v23
	s_delay_alu instid0(VALU_DEP_3) | instskip(NEXT) | instid1(VALU_DEP_3)
	v_cndmask_b32_e64 v12, v24, v21, s4
	v_cndmask_b32_e64 v18, v25, v19, s4
	s_delay_alu instid0(VALU_DEP_3) | instskip(NEXT) | instid1(VALU_DEP_3)
	v_cndmask_b32_e64 v22, v23, v22, s4
	v_bfe_u32 v19, v12, 29, 1
	s_delay_alu instid0(VALU_DEP_3) | instskip(NEXT) | instid1(VALU_DEP_3)
	v_alignbit_b32 v17, v12, v18, 30
	v_alignbit_b32 v18, v18, v22, 30
	v_alignbit_b32 v11, v22, v11, 30
	s_delay_alu instid0(VALU_DEP_4) | instskip(NEXT) | instid1(VALU_DEP_1)
	v_sub_nc_u32_e32 v21, 0, v19
	v_xor_b32_e32 v20, v17, v21
	v_cmp_ne_u32_e32 vcc_lo, v17, v21
	v_xor_b32_e32 v18, v18, v21
	v_xor_b32_e32 v11, v11, v21
	s_delay_alu instid0(VALU_DEP_4) | instskip(NEXT) | instid1(VALU_DEP_1)
	v_clz_i32_u32_e32 v24, v20
	v_add_nc_u32_e32 v23, 1, v24
	s_delay_alu instid0(VALU_DEP_1) | instskip(NEXT) | instid1(VALU_DEP_1)
	v_cndmask_b32_e32 v17, 33, v23, vcc_lo
	v_sub_nc_u32_e32 v22, 32, v17
	s_delay_alu instid0(VALU_DEP_1) | instskip(SKIP_3) | instid1(VALU_DEP_3)
	v_alignbit_b32 v20, v20, v18, v22
	v_alignbit_b32 v11, v18, v11, v22
	v_lshrrev_b32_e32 v18, 29, v12
	v_lshrrev_b32_e32 v12, 30, v12
	v_alignbit_b32 v21, v20, v11, 9
	s_delay_alu instid0(VALU_DEP_3) | instskip(SKIP_1) | instid1(VALU_DEP_3)
	v_lshlrev_b32_e32 v18, 31, v18
	v_alignbit_b32 v20, v17, v20, 9
	v_clz_i32_u32_e32 v22, v21
	s_delay_alu instid0(VALU_DEP_2) | instskip(SKIP_1) | instid1(VALU_DEP_3)
	v_or_b32_e32 v20, v20, v18
	v_or_b32_e32 v18, 0x33800000, v18
	v_min_u32_e32 v22, 32, v22
	s_delay_alu instid0(VALU_DEP_3) | instskip(NEXT) | instid1(VALU_DEP_2)
	v_xor_b32_e32 v20, 1.0, v20
	v_sub_nc_u32_e32 v23, 31, v22
	v_add_lshl_u32 v17, v22, v17, 23
	s_delay_alu instid0(VALU_DEP_3) | instskip(NEXT) | instid1(VALU_DEP_3)
	v_mul_f32_e32 v22, 0x3fc90fda, v20
	v_alignbit_b32 v11, v21, v11, v23
	s_delay_alu instid0(VALU_DEP_3) | instskip(NEXT) | instid1(VALU_DEP_3)
	v_sub_nc_u32_e32 v17, v18, v17
	v_fma_f32 v18, 0x3fc90fda, v20, -v22
	s_delay_alu instid0(VALU_DEP_3) | instskip(NEXT) | instid1(VALU_DEP_2)
	v_lshrrev_b32_e32 v11, 9, v11
	v_fmac_f32_e32 v18, 0x33a22168, v20
	s_delay_alu instid0(VALU_DEP_2) | instskip(NEXT) | instid1(VALU_DEP_1)
	v_or_b32_e32 v11, v17, v11
	v_dual_fmac_f32 v18, 0x3fc90fda, v11 :: v_dual_add_nc_u32 v17, v19, v12
	s_delay_alu instid0(VALU_DEP_1)
	v_add_f32_e32 v11, v22, v18
	s_and_not1_saveexec_b32 s2, s33
	s_branch .LBB249_11
.LBB249_10:                             ;   in Loop: Header=BB249_4 Depth=1
	s_and_not1_saveexec_b32 s2, s33
.LBB249_11:                             ;   in Loop: Header=BB249_4 Depth=1
	v_mul_f32_e64 v11, 0x3f22f983, |v8|
	s_delay_alu instid0(VALU_DEP_1) | instskip(NEXT) | instid1(VALU_DEP_1)
	v_rndne_f32_e32 v12, v11
	v_fma_f32 v11, 0xbfc90fda, v12, |v8|
	v_cvt_i32_f32_e32 v17, v12
	s_delay_alu instid0(VALU_DEP_2) | instskip(NEXT) | instid1(VALU_DEP_1)
	v_fmac_f32_e32 v11, 0xb3a22168, v12
	v_fmac_f32_e32 v11, 0xa7c234c4, v12
; %bb.12:                               ;   in Loop: Header=BB249_4 Depth=1
	s_or_b32 exec_lo, exec_lo, s2
                                        ; implicit-def: $vgpr18
                                        ; implicit-def: $vgpr12
	s_and_saveexec_b32 s2, s31
	s_delay_alu instid0(SALU_CYCLE_1)
	s_xor_b32 s31, exec_lo, s2
	s_cbranch_execz .LBB249_14
; %bb.13:                               ;   in Loop: Header=BB249_4 Depth=1
	v_lshrrev_b32_e32 v23, 23, v6
	v_and_or_b32 v26, v6, s23, 0x800000
	s_delay_alu instid0(VALU_DEP_2) | instskip(NEXT) | instid1(VALU_DEP_2)
	v_add_nc_u32_e32 v24, 0xffffff88, v23
	v_mad_u64_u32 v[18:19], null, 0xfe5163ab, v26, 0
	s_delay_alu instid0(VALU_DEP_2) | instskip(SKIP_1) | instid1(VALU_DEP_1)
	v_cmp_lt_u32_e32 vcc_lo, 63, v24
	v_cndmask_b32_e64 v25, 0, 0xffffffc0, vcc_lo
	v_dual_mov_b32 v12, v19 :: v_dual_add_nc_u32 v25, v25, v24
	s_delay_alu instid0(VALU_DEP_1) | instskip(NEXT) | instid1(VALU_DEP_2)
	v_mad_u64_u32 v[19:20], null, 0x3c439041, v26, v[12:13]
	v_cmp_lt_u32_e64 s2, 31, v25
	s_delay_alu instid0(VALU_DEP_1) | instskip(NEXT) | instid1(VALU_DEP_1)
	v_cndmask_b32_e64 v27, 0, 0xffffffe0, s2
	v_dual_mov_b32 v12, v20 :: v_dual_add_nc_u32 v27, v27, v25
	s_delay_alu instid0(VALU_DEP_1) | instskip(NEXT) | instid1(VALU_DEP_2)
	v_mad_u64_u32 v[20:21], null, 0xdb629599, v26, v[12:13]
	v_cmp_lt_u32_e64 s3, 31, v27
	s_delay_alu instid0(VALU_DEP_2) | instskip(NEXT) | instid1(VALU_DEP_3)
	v_mov_b32_e32 v12, v21
	v_cndmask_b32_e32 v18, v20, v18, vcc_lo
	s_delay_alu instid0(VALU_DEP_2) | instskip(NEXT) | instid1(VALU_DEP_1)
	v_mad_u64_u32 v[21:22], null, 0xf534ddc0, v26, v[12:13]
	v_dual_mov_b32 v12, v22 :: v_dual_cndmask_b32 v19, v21, v19
	s_delay_alu instid0(VALU_DEP_1) | instskip(NEXT) | instid1(VALU_DEP_2)
	v_mad_u64_u32 v[22:23], null, 0xfc2757d1, v26, v[12:13]
	v_cndmask_b32_e64 v18, v19, v18, s2
	s_delay_alu instid0(VALU_DEP_2) | instskip(NEXT) | instid1(VALU_DEP_1)
	v_mov_b32_e32 v12, v23
	v_mad_u64_u32 v[23:24], null, 0x4e441529, v26, v[12:13]
	s_delay_alu instid0(VALU_DEP_1) | instskip(NEXT) | instid1(VALU_DEP_1)
	v_mov_b32_e32 v12, v24
	v_mad_u64_u32 v[24:25], null, 0xa2f9836e, v26, v[12:13]
	v_cndmask_b32_e64 v12, 0, 0xffffffe0, s3
	s_delay_alu instid0(VALU_DEP_4) | instskip(NEXT) | instid1(VALU_DEP_2)
	v_cndmask_b32_e32 v26, v23, v21, vcc_lo
	v_add_nc_u32_e32 v12, v12, v27
	s_delay_alu instid0(VALU_DEP_4) | instskip(SKIP_1) | instid1(VALU_DEP_3)
	v_dual_cndmask_b32 v24, v24, v22 :: v_dual_cndmask_b32 v23, v25, v23
	v_cndmask_b32_e32 v22, v22, v20, vcc_lo
	v_sub_nc_u32_e32 v25, 32, v12
	s_delay_alu instid0(VALU_DEP_3) | instskip(NEXT) | instid1(VALU_DEP_4)
	v_cndmask_b32_e64 v21, v24, v26, s2
	v_cndmask_b32_e64 v23, v23, v24, s2
	s_delay_alu instid0(VALU_DEP_4) | instskip(SKIP_2) | instid1(VALU_DEP_4)
	v_cndmask_b32_e64 v24, v26, v22, s2
	v_cndmask_b32_e64 v22, v22, v19, s2
	v_cmp_eq_u32_e64 s4, 0, v12
	v_cndmask_b32_e64 v23, v23, v21, s3
	s_delay_alu instid0(VALU_DEP_4) | instskip(NEXT) | instid1(VALU_DEP_4)
	v_cndmask_b32_e64 v21, v21, v24, s3
	v_cndmask_b32_e64 v24, v24, v22, s3
	;; [unrolled: 1-line block ×3, first 2 shown]
	s_delay_alu instid0(VALU_DEP_3) | instskip(NEXT) | instid1(VALU_DEP_3)
	v_alignbit_b32 v26, v23, v21, v25
	v_alignbit_b32 v27, v21, v24, v25
	s_delay_alu instid0(VALU_DEP_3) | instskip(NEXT) | instid1(VALU_DEP_3)
	v_alignbit_b32 v25, v24, v18, v25
	v_cndmask_b32_e64 v12, v26, v23, s4
	s_delay_alu instid0(VALU_DEP_3) | instskip(NEXT) | instid1(VALU_DEP_3)
	v_cndmask_b32_e64 v20, v27, v21, s4
	v_cndmask_b32_e64 v24, v25, v24, s4
	s_delay_alu instid0(VALU_DEP_3) | instskip(NEXT) | instid1(VALU_DEP_3)
	v_bfe_u32 v21, v12, 29, 1
	v_alignbit_b32 v19, v12, v20, 30
	s_delay_alu instid0(VALU_DEP_3) | instskip(SKIP_1) | instid1(VALU_DEP_4)
	v_alignbit_b32 v20, v20, v24, 30
	v_alignbit_b32 v18, v24, v18, 30
	v_sub_nc_u32_e32 v23, 0, v21
	s_delay_alu instid0(VALU_DEP_1) | instskip(SKIP_3) | instid1(VALU_DEP_4)
	v_xor_b32_e32 v22, v19, v23
	v_cmp_ne_u32_e32 vcc_lo, v19, v23
	v_xor_b32_e32 v20, v20, v23
	v_xor_b32_e32 v18, v18, v23
	v_clz_i32_u32_e32 v26, v22
	s_delay_alu instid0(VALU_DEP_1) | instskip(NEXT) | instid1(VALU_DEP_1)
	v_add_nc_u32_e32 v25, 1, v26
	v_cndmask_b32_e32 v19, 33, v25, vcc_lo
	s_delay_alu instid0(VALU_DEP_1) | instskip(NEXT) | instid1(VALU_DEP_1)
	v_sub_nc_u32_e32 v24, 32, v19
	v_alignbit_b32 v22, v22, v20, v24
	v_alignbit_b32 v18, v20, v18, v24
	v_lshrrev_b32_e32 v20, 29, v12
	s_delay_alu instid0(VALU_DEP_2) | instskip(NEXT) | instid1(VALU_DEP_2)
	v_alignbit_b32 v23, v22, v18, 9
	v_lshlrev_b32_e32 v20, 31, v20
	v_alignbit_b32 v22, v19, v22, 9
	s_delay_alu instid0(VALU_DEP_3) | instskip(NEXT) | instid1(VALU_DEP_2)
	v_clz_i32_u32_e32 v24, v23
	v_or_b32_e32 v22, v22, v20
	v_or_b32_e32 v20, 0x33800000, v20
	s_delay_alu instid0(VALU_DEP_3) | instskip(NEXT) | instid1(VALU_DEP_3)
	v_min_u32_e32 v24, 32, v24
	v_xor_b32_e32 v22, 1.0, v22
	s_delay_alu instid0(VALU_DEP_2) | instskip(SKIP_1) | instid1(VALU_DEP_3)
	v_sub_nc_u32_e32 v25, 31, v24
	v_add_lshl_u32 v19, v24, v19, 23
	v_mul_f32_e32 v24, 0x3fc90fda, v22
	s_delay_alu instid0(VALU_DEP_3) | instskip(NEXT) | instid1(VALU_DEP_3)
	v_alignbit_b32 v18, v23, v18, v25
	v_sub_nc_u32_e32 v19, v20, v19
	s_delay_alu instid0(VALU_DEP_3) | instskip(NEXT) | instid1(VALU_DEP_3)
	v_fma_f32 v20, 0x3fc90fda, v22, -v24
	v_lshrrev_b32_e32 v18, 9, v18
	s_delay_alu instid0(VALU_DEP_2) | instskip(NEXT) | instid1(VALU_DEP_2)
	v_fmac_f32_e32 v20, 0x33a22168, v22
	v_or_b32_e32 v18, v19, v18
	s_delay_alu instid0(VALU_DEP_1) | instskip(SKIP_1) | instid1(VALU_DEP_2)
	v_fmac_f32_e32 v20, 0x3fc90fda, v18
	v_lshrrev_b32_e32 v18, 30, v12
	v_add_f32_e32 v12, v24, v20
	s_delay_alu instid0(VALU_DEP_2)
	v_add_nc_u32_e32 v18, v21, v18
	s_and_not1_saveexec_b32 s2, s31
	s_cbranch_execnz .LBB249_15
	s_branch .LBB249_16
.LBB249_14:                             ;   in Loop: Header=BB249_4 Depth=1
	s_and_not1_saveexec_b32 s2, s31
.LBB249_15:                             ;   in Loop: Header=BB249_4 Depth=1
	v_mul_f32_e64 v12, 0x3f22f983, |v8|
	s_delay_alu instid0(VALU_DEP_1) | instskip(NEXT) | instid1(VALU_DEP_1)
	v_rndne_f32_e32 v18, v12
	v_fma_f32 v12, 0xbfc90fda, v18, |v8|
	s_delay_alu instid0(VALU_DEP_1) | instskip(NEXT) | instid1(VALU_DEP_1)
	v_fmac_f32_e32 v12, 0xb3a22168, v18
	v_fmac_f32_e32 v12, 0xa7c234c4, v18
	v_cvt_i32_f32_e32 v18, v18
.LBB249_16:                             ;   in Loop: Header=BB249_4 Depth=1
	s_or_b32 exec_lo, exec_lo, s2
	s_delay_alu instid0(VALU_DEP_2) | instskip(SKIP_2) | instid1(VALU_DEP_3)
	v_dual_mul_f32 v19, 0xbfb8aa3b, v7 :: v_dual_mul_f32 v24, v12, v12
	v_dual_mul_f32 v20, v11, v11 :: v_dual_and_b32 v21, 1, v17
	v_lshlrev_b32_e32 v17, 30, v17
	v_rndne_f32_e32 v22, v19
	v_fma_f32 v23, 0xbfb8aa3b, v7, -v19
	s_delay_alu instid0(VALU_DEP_4) | instskip(SKIP_1) | instid1(VALU_DEP_3)
	v_dual_fmaak_f32 v26, s24, v20, 0x3c0881c4 :: v_dual_and_b32 v25, 1, v18
	v_fmaak_f32 v28, s24, v24, 0x3c0881c4
	v_dual_fmac_f32 v23, 0xb2a5705f, v7 :: v_dual_lshlrev_b32 v18, 30, v18
	v_fmaak_f32 v27, s25, v20, 0xbab64f3b
	v_sub_f32_e32 v19, v19, v22
	v_cmp_eq_u32_e32 vcc_lo, 0, v21
	v_cvt_i32_f32_e32 v22, v22
	v_and_b32_e32 v17, 0x80000000, v17
	v_and_or_b32 v6, 0x80000000, v18, v6
	v_add_f32_e32 v19, v19, v23
	v_fmaak_f32 v23, v20, v26, 0xbe2aaa9d
	v_fmaak_f32 v26, v20, v27, 0x3d2aabf7
	;; [unrolled: 1-line block ×3, first 2 shown]
	v_cmp_ngt_f32_e64 s2, 0xc2b17218, v7
	s_delay_alu instid0(VALU_DEP_4) | instskip(NEXT) | instid1(VALU_DEP_1)
	v_mul_f32_e32 v23, v20, v23
	v_dual_fmaak_f32 v26, v20, v26, 0xbf000004 :: v_dual_fmac_f32 v11, v11, v23
	s_delay_alu instid0(VALU_DEP_1) | instskip(NEXT) | instid1(VALU_DEP_1)
	v_fma_f32 v20, v20, v26, 1.0
	v_cndmask_b32_e64 v11, -v11, v20, vcc_lo
	v_cmp_eq_u32_e32 vcc_lo, 0, v25
	v_mul_f32_e32 v27, v24, v27
	v_fmaak_f32 v29, s25, v24, 0xbab64f3b
	s_delay_alu instid0(VALU_DEP_4) | instskip(NEXT) | instid1(VALU_DEP_3)
	v_xor_b32_e32 v11, v17, v11
	v_fmac_f32_e32 v12, v12, v27
	s_delay_alu instid0(VALU_DEP_3) | instskip(SKIP_1) | instid1(VALU_DEP_1)
	v_fmaak_f32 v28, v24, v29, 0x3d2aabf7
	v_exp_f32_e32 v19, v19
	v_fmaak_f32 v28, v24, v28, 0xbf000004
	s_delay_alu instid0(VALU_DEP_1) | instskip(SKIP_4) | instid1(VALU_DEP_2)
	v_fma_f32 v23, v24, v28, 1.0
	s_waitcnt_depctr 0xfff
	v_ldexp_f32 v19, v19, v22
	v_cndmask_b32_e32 v12, v23, v12, vcc_lo
	v_cmp_nlt_f32_e32 vcc_lo, 0x42ce8ed0, v7
	v_xor3_b32 v5, v6, v12, v5
	s_delay_alu instid0(VALU_DEP_4) | instskip(SKIP_1) | instid1(VALU_DEP_2)
	v_cndmask_b32_e32 v18, 0, v19, vcc_lo
	v_cmp_class_f32_e64 vcc_lo, v8, 0x1f8
	v_cndmask_b32_e64 v6, 0x7f800000, v18, s2
	v_cndmask_b32_e32 v11, 0x7fc00000, v11, vcc_lo
	v_cndmask_b32_e32 v5, 0x7fc00000, v5, vcc_lo
	s_delay_alu instid0(VALU_DEP_2) | instskip(NEXT) | instid1(VALU_DEP_2)
	v_mul_f32_e32 v11, v6, v11
	v_mul_f32_e32 v5, v6, v5
                                        ; implicit-def: $vgpr6
.LBB249_17:                             ;   in Loop: Header=BB249_4 Depth=1
	s_and_not1_saveexec_b32 s30, s30
	s_cbranch_execz .LBB249_20
; %bb.18:                               ;   in Loop: Header=BB249_4 Depth=1
	v_cmp_ngt_f32_e64 s31, 0x48000000, |v8|
                                        ; implicit-def: $vgpr17
                                        ; implicit-def: $vgpr11
	s_delay_alu instid0(VALU_DEP_1) | instskip(NEXT) | instid1(SALU_CYCLE_1)
	s_and_saveexec_b32 s2, s31
	s_xor_b32 s33, exec_lo, s2
	s_cbranch_execz .LBB249_21
; %bb.19:                               ;   in Loop: Header=BB249_4 Depth=1
	v_and_or_b32 v24, v6, s23, 0x800000
	v_lshrrev_b32_e32 v21, 23, v6
	s_delay_alu instid0(VALU_DEP_2) | instskip(NEXT) | instid1(VALU_DEP_2)
	v_mad_u64_u32 v[11:12], null, 0xfe5163ab, v24, 0
	v_add_nc_u32_e32 v22, 0xffffff88, v21
	s_delay_alu instid0(VALU_DEP_1) | instskip(NEXT) | instid1(VALU_DEP_3)
	v_cmp_lt_u32_e32 vcc_lo, 63, v22
	v_mad_u64_u32 v[17:18], null, 0x3c439041, v24, v[12:13]
	v_cndmask_b32_e64 v23, 0, 0xffffffc0, vcc_lo
	s_delay_alu instid0(VALU_DEP_1) | instskip(NEXT) | instid1(VALU_DEP_1)
	v_dual_mov_b32 v12, v18 :: v_dual_add_nc_u32 v23, v23, v22
	v_mad_u64_u32 v[18:19], null, 0xdb629599, v24, v[12:13]
	s_delay_alu instid0(VALU_DEP_2) | instskip(NEXT) | instid1(VALU_DEP_1)
	v_cmp_lt_u32_e64 s2, 31, v23
	v_cndmask_b32_e64 v25, 0, 0xffffffe0, s2
	s_delay_alu instid0(VALU_DEP_3) | instskip(NEXT) | instid1(VALU_DEP_2)
	v_dual_mov_b32 v12, v19 :: v_dual_cndmask_b32 v11, v18, v11
	v_add_nc_u32_e32 v25, v25, v23
	s_delay_alu instid0(VALU_DEP_2) | instskip(NEXT) | instid1(VALU_DEP_2)
	v_mad_u64_u32 v[19:20], null, 0xf534ddc0, v24, v[12:13]
	v_cmp_lt_u32_e64 s3, 31, v25
	s_delay_alu instid0(VALU_DEP_2) | instskip(NEXT) | instid1(VALU_DEP_1)
	v_dual_mov_b32 v12, v20 :: v_dual_cndmask_b32 v17, v19, v17
	v_mad_u64_u32 v[20:21], null, 0xfc2757d1, v24, v[12:13]
	s_delay_alu instid0(VALU_DEP_2) | instskip(NEXT) | instid1(VALU_DEP_2)
	v_cndmask_b32_e64 v11, v17, v11, s2
	v_mov_b32_e32 v12, v21
	s_delay_alu instid0(VALU_DEP_1) | instskip(NEXT) | instid1(VALU_DEP_1)
	v_mad_u64_u32 v[21:22], null, 0x4e441529, v24, v[12:13]
	v_mov_b32_e32 v12, v22
	s_delay_alu instid0(VALU_DEP_1) | instskip(SKIP_1) | instid1(VALU_DEP_4)
	v_mad_u64_u32 v[22:23], null, 0xa2f9836e, v24, v[12:13]
	v_cndmask_b32_e64 v12, 0, 0xffffffe0, s3
	v_cndmask_b32_e32 v24, v21, v19, vcc_lo
	s_delay_alu instid0(VALU_DEP_2) | instskip(NEXT) | instid1(VALU_DEP_4)
	v_add_nc_u32_e32 v12, v12, v25
	v_dual_cndmask_b32 v22, v22, v20 :: v_dual_cndmask_b32 v21, v23, v21
	v_cndmask_b32_e32 v20, v20, v18, vcc_lo
	s_delay_alu instid0(VALU_DEP_3) | instskip(NEXT) | instid1(VALU_DEP_3)
	v_sub_nc_u32_e32 v23, 32, v12
	v_cndmask_b32_e64 v19, v22, v24, s2
	s_delay_alu instid0(VALU_DEP_4) | instskip(NEXT) | instid1(VALU_DEP_4)
	v_cndmask_b32_e64 v21, v21, v22, s2
	v_cndmask_b32_e64 v22, v24, v20, s2
	;; [unrolled: 1-line block ×3, first 2 shown]
	v_cmp_eq_u32_e64 s4, 0, v12
	s_delay_alu instid0(VALU_DEP_4) | instskip(NEXT) | instid1(VALU_DEP_4)
	v_cndmask_b32_e64 v21, v21, v19, s3
	v_cndmask_b32_e64 v19, v19, v22, s3
	s_delay_alu instid0(VALU_DEP_4) | instskip(SKIP_1) | instid1(VALU_DEP_3)
	v_cndmask_b32_e64 v22, v22, v20, s3
	v_cndmask_b32_e64 v11, v20, v11, s3
	v_alignbit_b32 v24, v21, v19, v23
	s_delay_alu instid0(VALU_DEP_3) | instskip(NEXT) | instid1(VALU_DEP_3)
	v_alignbit_b32 v25, v19, v22, v23
	v_alignbit_b32 v23, v22, v11, v23
	s_delay_alu instid0(VALU_DEP_3) | instskip(NEXT) | instid1(VALU_DEP_3)
	v_cndmask_b32_e64 v12, v24, v21, s4
	v_cndmask_b32_e64 v18, v25, v19, s4
	s_delay_alu instid0(VALU_DEP_3) | instskip(NEXT) | instid1(VALU_DEP_3)
	v_cndmask_b32_e64 v22, v23, v22, s4
	v_bfe_u32 v19, v12, 29, 1
	s_delay_alu instid0(VALU_DEP_3) | instskip(NEXT) | instid1(VALU_DEP_3)
	v_alignbit_b32 v17, v12, v18, 30
	v_alignbit_b32 v18, v18, v22, 30
	;; [unrolled: 1-line block ×3, first 2 shown]
	s_delay_alu instid0(VALU_DEP_4) | instskip(NEXT) | instid1(VALU_DEP_1)
	v_sub_nc_u32_e32 v21, 0, v19
	v_xor_b32_e32 v20, v17, v21
	v_cmp_ne_u32_e32 vcc_lo, v17, v21
	v_xor_b32_e32 v18, v18, v21
	v_xor_b32_e32 v11, v11, v21
	s_delay_alu instid0(VALU_DEP_4) | instskip(NEXT) | instid1(VALU_DEP_1)
	v_clz_i32_u32_e32 v24, v20
	v_add_nc_u32_e32 v23, 1, v24
	s_delay_alu instid0(VALU_DEP_1) | instskip(NEXT) | instid1(VALU_DEP_1)
	v_cndmask_b32_e32 v17, 33, v23, vcc_lo
	v_sub_nc_u32_e32 v22, 32, v17
	s_delay_alu instid0(VALU_DEP_1) | instskip(SKIP_3) | instid1(VALU_DEP_3)
	v_alignbit_b32 v20, v20, v18, v22
	v_alignbit_b32 v11, v18, v11, v22
	v_lshrrev_b32_e32 v18, 29, v12
	v_lshrrev_b32_e32 v12, 30, v12
	v_alignbit_b32 v21, v20, v11, 9
	s_delay_alu instid0(VALU_DEP_3) | instskip(SKIP_1) | instid1(VALU_DEP_3)
	v_lshlrev_b32_e32 v18, 31, v18
	v_alignbit_b32 v20, v17, v20, 9
	v_clz_i32_u32_e32 v22, v21
	s_delay_alu instid0(VALU_DEP_2) | instskip(SKIP_1) | instid1(VALU_DEP_3)
	v_or_b32_e32 v20, v20, v18
	v_or_b32_e32 v18, 0x33800000, v18
	v_min_u32_e32 v22, 32, v22
	s_delay_alu instid0(VALU_DEP_3) | instskip(NEXT) | instid1(VALU_DEP_2)
	v_xor_b32_e32 v20, 1.0, v20
	v_sub_nc_u32_e32 v23, 31, v22
	v_add_lshl_u32 v17, v22, v17, 23
	s_delay_alu instid0(VALU_DEP_3) | instskip(NEXT) | instid1(VALU_DEP_3)
	v_mul_f32_e32 v22, 0x3fc90fda, v20
	v_alignbit_b32 v11, v21, v11, v23
	s_delay_alu instid0(VALU_DEP_3) | instskip(NEXT) | instid1(VALU_DEP_3)
	v_sub_nc_u32_e32 v17, v18, v17
	v_fma_f32 v18, 0x3fc90fda, v20, -v22
	s_delay_alu instid0(VALU_DEP_3) | instskip(NEXT) | instid1(VALU_DEP_2)
	v_lshrrev_b32_e32 v11, 9, v11
	v_fmac_f32_e32 v18, 0x33a22168, v20
	s_delay_alu instid0(VALU_DEP_2) | instskip(NEXT) | instid1(VALU_DEP_1)
	v_or_b32_e32 v11, v17, v11
	v_dual_fmac_f32 v18, 0x3fc90fda, v11 :: v_dual_add_nc_u32 v17, v19, v12
	s_delay_alu instid0(VALU_DEP_1)
	v_add_f32_e32 v11, v22, v18
	s_and_not1_saveexec_b32 s2, s33
	s_branch .LBB249_22
.LBB249_20:                             ;   in Loop: Header=BB249_4 Depth=1
	s_or_b32 exec_lo, exec_lo, s30
                                        ; implicit-def: $vgpr12
                                        ; implicit-def: $vgpr17
	s_and_not1_saveexec_b32 s2, s29
	s_cbranch_execnz .LBB249_29
	s_branch .LBB249_34
.LBB249_21:                             ;   in Loop: Header=BB249_4 Depth=1
	s_and_not1_saveexec_b32 s2, s33
.LBB249_22:                             ;   in Loop: Header=BB249_4 Depth=1
	v_mul_f32_e64 v11, 0x3f22f983, |v8|
	s_delay_alu instid0(VALU_DEP_1) | instskip(NEXT) | instid1(VALU_DEP_1)
	v_rndne_f32_e32 v12, v11
	v_fma_f32 v11, 0xbfc90fda, v12, |v8|
	v_cvt_i32_f32_e32 v17, v12
	s_delay_alu instid0(VALU_DEP_2) | instskip(NEXT) | instid1(VALU_DEP_1)
	v_fmac_f32_e32 v11, 0xb3a22168, v12
	v_fmac_f32_e32 v11, 0xa7c234c4, v12
; %bb.23:                               ;   in Loop: Header=BB249_4 Depth=1
	s_or_b32 exec_lo, exec_lo, s2
                                        ; implicit-def: $vgpr18
                                        ; implicit-def: $vgpr12
	s_and_saveexec_b32 s2, s31
	s_delay_alu instid0(SALU_CYCLE_1)
	s_xor_b32 s31, exec_lo, s2
	s_cbranch_execz .LBB249_25
; %bb.24:                               ;   in Loop: Header=BB249_4 Depth=1
	v_lshrrev_b32_e32 v23, 23, v6
	v_and_or_b32 v26, v6, s23, 0x800000
	s_delay_alu instid0(VALU_DEP_2) | instskip(NEXT) | instid1(VALU_DEP_2)
	v_add_nc_u32_e32 v24, 0xffffff88, v23
	v_mad_u64_u32 v[18:19], null, 0xfe5163ab, v26, 0
	s_delay_alu instid0(VALU_DEP_2) | instskip(SKIP_1) | instid1(VALU_DEP_1)
	v_cmp_lt_u32_e32 vcc_lo, 63, v24
	v_cndmask_b32_e64 v25, 0, 0xffffffc0, vcc_lo
	v_dual_mov_b32 v12, v19 :: v_dual_add_nc_u32 v25, v25, v24
	s_delay_alu instid0(VALU_DEP_1) | instskip(NEXT) | instid1(VALU_DEP_2)
	v_mad_u64_u32 v[19:20], null, 0x3c439041, v26, v[12:13]
	v_cmp_lt_u32_e64 s2, 31, v25
	s_delay_alu instid0(VALU_DEP_1) | instskip(NEXT) | instid1(VALU_DEP_1)
	v_cndmask_b32_e64 v27, 0, 0xffffffe0, s2
	v_dual_mov_b32 v12, v20 :: v_dual_add_nc_u32 v27, v27, v25
	s_delay_alu instid0(VALU_DEP_1) | instskip(NEXT) | instid1(VALU_DEP_2)
	v_mad_u64_u32 v[20:21], null, 0xdb629599, v26, v[12:13]
	v_cmp_lt_u32_e64 s3, 31, v27
	s_delay_alu instid0(VALU_DEP_2) | instskip(NEXT) | instid1(VALU_DEP_3)
	v_mov_b32_e32 v12, v21
	v_cndmask_b32_e32 v18, v20, v18, vcc_lo
	s_delay_alu instid0(VALU_DEP_2) | instskip(NEXT) | instid1(VALU_DEP_1)
	v_mad_u64_u32 v[21:22], null, 0xf534ddc0, v26, v[12:13]
	v_dual_mov_b32 v12, v22 :: v_dual_cndmask_b32 v19, v21, v19
	s_delay_alu instid0(VALU_DEP_1) | instskip(NEXT) | instid1(VALU_DEP_2)
	v_mad_u64_u32 v[22:23], null, 0xfc2757d1, v26, v[12:13]
	v_cndmask_b32_e64 v18, v19, v18, s2
	s_delay_alu instid0(VALU_DEP_2) | instskip(NEXT) | instid1(VALU_DEP_1)
	v_mov_b32_e32 v12, v23
	v_mad_u64_u32 v[23:24], null, 0x4e441529, v26, v[12:13]
	s_delay_alu instid0(VALU_DEP_1) | instskip(NEXT) | instid1(VALU_DEP_1)
	v_mov_b32_e32 v12, v24
	v_mad_u64_u32 v[24:25], null, 0xa2f9836e, v26, v[12:13]
	v_cndmask_b32_e64 v12, 0, 0xffffffe0, s3
	s_delay_alu instid0(VALU_DEP_4) | instskip(NEXT) | instid1(VALU_DEP_2)
	v_cndmask_b32_e32 v26, v23, v21, vcc_lo
	v_add_nc_u32_e32 v12, v12, v27
	s_delay_alu instid0(VALU_DEP_4) | instskip(SKIP_1) | instid1(VALU_DEP_3)
	v_dual_cndmask_b32 v24, v24, v22 :: v_dual_cndmask_b32 v23, v25, v23
	v_cndmask_b32_e32 v22, v22, v20, vcc_lo
	v_sub_nc_u32_e32 v25, 32, v12
	s_delay_alu instid0(VALU_DEP_3) | instskip(NEXT) | instid1(VALU_DEP_4)
	v_cndmask_b32_e64 v21, v24, v26, s2
	v_cndmask_b32_e64 v23, v23, v24, s2
	s_delay_alu instid0(VALU_DEP_4) | instskip(SKIP_2) | instid1(VALU_DEP_4)
	v_cndmask_b32_e64 v24, v26, v22, s2
	v_cndmask_b32_e64 v22, v22, v19, s2
	v_cmp_eq_u32_e64 s4, 0, v12
	v_cndmask_b32_e64 v23, v23, v21, s3
	s_delay_alu instid0(VALU_DEP_4) | instskip(NEXT) | instid1(VALU_DEP_4)
	v_cndmask_b32_e64 v21, v21, v24, s3
	v_cndmask_b32_e64 v24, v24, v22, s3
	;; [unrolled: 1-line block ×3, first 2 shown]
	s_delay_alu instid0(VALU_DEP_3) | instskip(NEXT) | instid1(VALU_DEP_3)
	v_alignbit_b32 v26, v23, v21, v25
	v_alignbit_b32 v27, v21, v24, v25
	s_delay_alu instid0(VALU_DEP_3) | instskip(NEXT) | instid1(VALU_DEP_3)
	v_alignbit_b32 v25, v24, v18, v25
	v_cndmask_b32_e64 v12, v26, v23, s4
	s_delay_alu instid0(VALU_DEP_3) | instskip(NEXT) | instid1(VALU_DEP_3)
	v_cndmask_b32_e64 v20, v27, v21, s4
	v_cndmask_b32_e64 v24, v25, v24, s4
	s_delay_alu instid0(VALU_DEP_3) | instskip(NEXT) | instid1(VALU_DEP_3)
	v_bfe_u32 v21, v12, 29, 1
	v_alignbit_b32 v19, v12, v20, 30
	s_delay_alu instid0(VALU_DEP_3) | instskip(SKIP_1) | instid1(VALU_DEP_4)
	v_alignbit_b32 v20, v20, v24, 30
	v_alignbit_b32 v18, v24, v18, 30
	v_sub_nc_u32_e32 v23, 0, v21
	s_delay_alu instid0(VALU_DEP_1) | instskip(SKIP_3) | instid1(VALU_DEP_4)
	v_xor_b32_e32 v22, v19, v23
	v_cmp_ne_u32_e32 vcc_lo, v19, v23
	v_xor_b32_e32 v20, v20, v23
	v_xor_b32_e32 v18, v18, v23
	v_clz_i32_u32_e32 v26, v22
	s_delay_alu instid0(VALU_DEP_1) | instskip(NEXT) | instid1(VALU_DEP_1)
	v_add_nc_u32_e32 v25, 1, v26
	v_cndmask_b32_e32 v19, 33, v25, vcc_lo
	s_delay_alu instid0(VALU_DEP_1) | instskip(NEXT) | instid1(VALU_DEP_1)
	v_sub_nc_u32_e32 v24, 32, v19
	v_alignbit_b32 v22, v22, v20, v24
	v_alignbit_b32 v18, v20, v18, v24
	v_lshrrev_b32_e32 v20, 29, v12
	s_delay_alu instid0(VALU_DEP_2) | instskip(NEXT) | instid1(VALU_DEP_2)
	v_alignbit_b32 v23, v22, v18, 9
	v_lshlrev_b32_e32 v20, 31, v20
	v_alignbit_b32 v22, v19, v22, 9
	s_delay_alu instid0(VALU_DEP_3) | instskip(NEXT) | instid1(VALU_DEP_2)
	v_clz_i32_u32_e32 v24, v23
	v_or_b32_e32 v22, v22, v20
	v_or_b32_e32 v20, 0x33800000, v20
	s_delay_alu instid0(VALU_DEP_3) | instskip(NEXT) | instid1(VALU_DEP_3)
	v_min_u32_e32 v24, 32, v24
	v_xor_b32_e32 v22, 1.0, v22
	s_delay_alu instid0(VALU_DEP_2) | instskip(SKIP_1) | instid1(VALU_DEP_3)
	v_sub_nc_u32_e32 v25, 31, v24
	v_add_lshl_u32 v19, v24, v19, 23
	v_mul_f32_e32 v24, 0x3fc90fda, v22
	s_delay_alu instid0(VALU_DEP_3) | instskip(NEXT) | instid1(VALU_DEP_3)
	v_alignbit_b32 v18, v23, v18, v25
	v_sub_nc_u32_e32 v19, v20, v19
	s_delay_alu instid0(VALU_DEP_3) | instskip(NEXT) | instid1(VALU_DEP_3)
	v_fma_f32 v20, 0x3fc90fda, v22, -v24
	v_lshrrev_b32_e32 v18, 9, v18
	s_delay_alu instid0(VALU_DEP_2) | instskip(NEXT) | instid1(VALU_DEP_2)
	v_fmac_f32_e32 v20, 0x33a22168, v22
	v_or_b32_e32 v18, v19, v18
	s_delay_alu instid0(VALU_DEP_1) | instskip(SKIP_1) | instid1(VALU_DEP_2)
	v_fmac_f32_e32 v20, 0x3fc90fda, v18
	v_lshrrev_b32_e32 v18, 30, v12
	v_add_f32_e32 v12, v24, v20
	s_delay_alu instid0(VALU_DEP_2)
	v_add_nc_u32_e32 v18, v21, v18
	s_and_not1_saveexec_b32 s2, s31
	s_cbranch_execnz .LBB249_26
	s_branch .LBB249_27
.LBB249_25:                             ;   in Loop: Header=BB249_4 Depth=1
	s_and_not1_saveexec_b32 s2, s31
.LBB249_26:                             ;   in Loop: Header=BB249_4 Depth=1
	v_mul_f32_e64 v12, 0x3f22f983, |v8|
	s_delay_alu instid0(VALU_DEP_1) | instskip(NEXT) | instid1(VALU_DEP_1)
	v_rndne_f32_e32 v18, v12
	v_fma_f32 v12, 0xbfc90fda, v18, |v8|
	s_delay_alu instid0(VALU_DEP_1) | instskip(NEXT) | instid1(VALU_DEP_1)
	v_fmac_f32_e32 v12, 0xb3a22168, v18
	v_fmac_f32_e32 v12, 0xa7c234c4, v18
	v_cvt_i32_f32_e32 v18, v18
.LBB249_27:                             ;   in Loop: Header=BB249_4 Depth=1
	s_or_b32 exec_lo, exec_lo, s2
	s_delay_alu instid0(VALU_DEP_2) | instskip(SKIP_1) | instid1(VALU_DEP_2)
	v_dual_sub_f32 v19, 0xc322e3bc, v7 :: v_dual_mul_f32 v24, v12, v12
	v_mul_f32_e32 v23, v11, v11
	v_mul_f32_e32 v20, 0x3fb8aa3b, v19
	s_delay_alu instid0(VALU_DEP_2) | instskip(NEXT) | instid1(VALU_DEP_2)
	v_fmaak_f32 v25, s25, v23, 0xbab64f3b
	v_fma_f32 v21, 0x3fb8aa3b, v19, -v20
	v_rndne_f32_e32 v22, v20
	s_delay_alu instid0(VALU_DEP_1) | instskip(SKIP_1) | instid1(VALU_DEP_2)
	v_dual_sub_f32 v20, v20, v22 :: v_dual_fmac_f32 v21, 0x32a5705f, v19
	v_cmp_ngt_f32_e32 vcc_lo, 0xc2ce8ed0, v19
	v_add_f32_e32 v20, v20, v21
	v_cvt_i32_f32_e32 v21, v22
	v_lshlrev_b32_e32 v22, 30, v17
	v_and_b32_e32 v17, 1, v17
	s_delay_alu instid0(VALU_DEP_4) | instskip(SKIP_4) | instid1(VALU_DEP_3)
	v_exp_f32_e32 v20, v20
	s_waitcnt_depctr 0xfff
	v_ldexp_f32 v20, v20, v21
	v_dual_fmaak_f32 v26, s24, v23, 0x3c0881c4 :: v_dual_and_b32 v21, 1, v18
	v_dual_fmaak_f32 v27, s24, v24, 0x3c0881c4 :: v_dual_lshlrev_b32 v18, 30, v18
	v_cndmask_b32_e32 v20, 0, v20, vcc_lo
	v_cmp_nlt_f32_e32 vcc_lo, 0x42b17218, v19
	s_delay_alu instid0(VALU_DEP_3) | instskip(NEXT) | instid1(VALU_DEP_4)
	v_fmaak_f32 v27, v24, v27, 0xbe2aaa9d
	v_and_or_b32 v6, 0x80000000, v18, v6
	v_fmaak_f32 v18, v23, v25, 0x3d2aabf7
	v_fmaak_f32 v25, v23, v26, 0xbe2aaa9d
	s_delay_alu instid0(VALU_DEP_4) | instskip(SKIP_1) | instid1(VALU_DEP_4)
	v_dual_mul_f32 v27, v24, v27 :: v_dual_and_b32 v22, 0x80000000, v22
	v_cndmask_b32_e32 v19, 0x7f800000, v20, vcc_lo
	v_fmaak_f32 v18, v23, v18, 0xbf000004
	s_delay_alu instid0(VALU_DEP_4) | instskip(NEXT) | instid1(VALU_DEP_4)
	v_dual_mul_f32 v25, v23, v25 :: v_dual_fmaak_f32 v20, s25, v24, 0xbab64f3b
	v_fmac_f32_e32 v12, v12, v27
	s_delay_alu instid0(VALU_DEP_4) | instskip(NEXT) | instid1(VALU_DEP_4)
	v_lshrrev_b32_e32 v26, 23, v19
	v_fma_f32 v18, v23, v18, 1.0
	s_delay_alu instid0(VALU_DEP_4) | instskip(SKIP_1) | instid1(VALU_DEP_4)
	v_dual_fmac_f32 v11, v11, v25 :: v_dual_fmaak_f32 v20, v24, v20, 0x3d2aabf7
	v_cmp_eq_u32_e32 vcc_lo, 0, v17
	v_subrev_nc_u32_e32 v26, 19, v26
	s_delay_alu instid0(VALU_DEP_3) | instskip(NEXT) | instid1(VALU_DEP_4)
	v_fmaak_f32 v20, v24, v20, 0xbf000004
	v_cndmask_b32_e64 v11, -v11, v18, vcc_lo
	s_delay_alu instid0(VALU_DEP_3) | instskip(SKIP_1) | instid1(VALU_DEP_4)
	v_lshrrev_b16 v23, 15, v26
	v_cmp_eq_u32_e32 vcc_lo, 0, v21
	v_fma_f32 v20, v24, v20, 1.0
	s_delay_alu instid0(VALU_DEP_4) | instskip(NEXT) | instid1(VALU_DEP_4)
	v_xor_b32_e32 v11, v22, v11
	v_add_nc_u16 v17, v26, v23
	s_delay_alu instid0(VALU_DEP_3) | instskip(SKIP_1) | instid1(VALU_DEP_3)
	v_cndmask_b32_e32 v12, v20, v12, vcc_lo
	v_cmp_class_f32_e64 vcc_lo, v8, 0x1f8
	v_ashrrev_i16 v17, 1, v17
	s_delay_alu instid0(VALU_DEP_3) | instskip(NEXT) | instid1(VALU_DEP_2)
	v_xor3_b32 v5, v6, v12, v5
	v_bfe_i32 v12, v17, 0, 16
	s_delay_alu instid0(VALU_DEP_1) | instskip(SKIP_1) | instid1(VALU_DEP_1)
	v_lshl_add_u32 v17, v12, 23, 1.0
	v_sub_nc_u32_e32 v12, v26, v12
	v_lshl_add_u32 v12, v12, 23, 1.0
	v_cndmask_b32_e32 v6, 0x7fc00000, v11, vcc_lo
	v_and_or_b32 v11, 0x7fffff, v19, s26
	v_cndmask_b32_e32 v5, 0x7fc00000, v5, vcc_lo
	s_delay_alu instid0(VALU_DEP_1) | instskip(NEXT) | instid1(VALU_DEP_1)
	v_mul_f32_e32 v5, v5, v11
	v_mul_f32_e32 v5, v5, v17
	s_delay_alu instid0(VALU_DEP_1) | instskip(NEXT) | instid1(VALU_DEP_1)
	v_dual_mul_f32 v5, v5, v12 :: v_dual_mul_f32 v6, v6, v11
	v_mul_f32_e32 v6, v6, v17
	s_delay_alu instid0(VALU_DEP_1)
	v_mul_f32_e32 v11, v6, v12
	s_or_b32 exec_lo, exec_lo, s30
                                        ; implicit-def: $vgpr12
                                        ; implicit-def: $vgpr17
.LBB249_28:                             ;   in Loop: Header=BB249_4 Depth=1
	s_and_not1_saveexec_b32 s2, s29
	s_cbranch_execz .LBB249_34
.LBB249_29:                             ;   in Loop: Header=BB249_4 Depth=1
	v_sub_f32_e32 v5, v8, v8
	s_mov_b32 s3, exec_lo
	v_cmpx_ne_u32_e32 0x7f800000, v17
	s_xor_b32 s3, exec_lo, s3
; %bb.30:                               ;   in Loop: Header=BB249_4 Depth=1
                                        ; implicit-def: $vgpr12
; %bb.31:                               ;   in Loop: Header=BB249_4 Depth=1
	s_delay_alu instid0(SALU_CYCLE_1)
	s_or_saveexec_b32 s3, s3
	v_mov_b32_e32 v11, v5
	s_xor_b32 exec_lo, exec_lo, s3
; %bb.32:                               ;   in Loop: Header=BB249_4 Depth=1
	v_cmp_lt_i32_e32 vcc_lo, -1, v12
	v_cndmask_b32_e64 v11, 0, -v7, vcc_lo
	v_cndmask_b32_e32 v5, 0, v5, vcc_lo
; %bb.33:                               ;   in Loop: Header=BB249_4 Depth=1
	s_or_b32 exec_lo, exec_lo, s3
.LBB249_34:                             ;   in Loop: Header=BB249_4 Depth=1
	s_delay_alu instid0(SALU_CYCLE_1)
	s_or_b32 exec_lo, exec_lo, s2
                                        ; implicit-def: $vgpr6
.LBB249_35:                             ;   in Loop: Header=BB249_4 Depth=1
	s_and_not1_saveexec_b32 s28, s28
	s_cbranch_execz .LBB249_45
; %bb.36:                               ;   in Loop: Header=BB249_4 Depth=1
	v_lshrrev_b32_e32 v11, 23, v6
	v_cmp_ngt_f32_e64 s29, 0x48000000, |v8|
	v_and_or_b32 v18, v6, s23, 0x800000
                                        ; implicit-def: $vgpr17
	s_delay_alu instid0(VALU_DEP_3) | instskip(NEXT) | instid1(VALU_DEP_3)
	v_add_nc_u32_e32 v19, 0xffffff88, v11
                                        ; implicit-def: $vgpr11
	s_and_saveexec_b32 s2, s29
	s_delay_alu instid0(SALU_CYCLE_1)
	s_xor_b32 s30, exec_lo, s2
	s_cbranch_execz .LBB249_38
; %bb.37:                               ;   in Loop: Header=BB249_4 Depth=1
	s_delay_alu instid0(VALU_DEP_1) | instskip(SKIP_2) | instid1(VALU_DEP_2)
	v_cmp_lt_u32_e32 vcc_lo, 63, v19
	v_mad_u64_u32 v[11:12], null, 0xfe5163ab, v18, 0
	v_cndmask_b32_e64 v17, 0, 0xffffffc0, vcc_lo
	v_mad_u64_u32 v[20:21], null, 0x3c439041, v18, v[12:13]
	s_delay_alu instid0(VALU_DEP_2) | instskip(NEXT) | instid1(VALU_DEP_1)
	v_add_nc_u32_e32 v17, v17, v19
	v_cmp_lt_u32_e64 s2, 31, v17
	s_delay_alu instid0(VALU_DEP_1) | instskip(NEXT) | instid1(VALU_DEP_1)
	v_cndmask_b32_e64 v26, 0, 0xffffffe0, s2
	v_dual_mov_b32 v12, v21 :: v_dual_add_nc_u32 v17, v26, v17
	s_delay_alu instid0(VALU_DEP_1) | instskip(NEXT) | instid1(VALU_DEP_2)
	v_mad_u64_u32 v[21:22], null, 0xdb629599, v18, v[12:13]
	v_cmp_lt_u32_e64 s3, 31, v17
	s_delay_alu instid0(VALU_DEP_2) | instskip(NEXT) | instid1(VALU_DEP_1)
	v_dual_mov_b32 v12, v22 :: v_dual_cndmask_b32 v11, v21, v11
	v_mad_u64_u32 v[22:23], null, 0xf534ddc0, v18, v[12:13]
	s_delay_alu instid0(VALU_DEP_1) | instskip(NEXT) | instid1(VALU_DEP_1)
	v_mov_b32_e32 v12, v23
	v_mad_u64_u32 v[23:24], null, 0xfc2757d1, v18, v[12:13]
	s_delay_alu instid0(VALU_DEP_1) | instskip(NEXT) | instid1(VALU_DEP_1)
	v_mov_b32_e32 v12, v24
	v_mad_u64_u32 v[24:25], null, 0x4e441529, v18, v[12:13]
	s_delay_alu instid0(VALU_DEP_1) | instskip(NEXT) | instid1(VALU_DEP_1)
	v_dual_mov_b32 v12, v25 :: v_dual_cndmask_b32 v27, v24, v22
	v_mad_u64_u32 v[25:26], null, 0xa2f9836e, v18, v[12:13]
	v_cndmask_b32_e64 v12, 0, 0xffffffe0, s3
	s_delay_alu instid0(VALU_DEP_1) | instskip(NEXT) | instid1(VALU_DEP_3)
	v_dual_cndmask_b32 v25, v25, v23 :: v_dual_add_nc_u32 v12, v12, v17
	v_dual_cndmask_b32 v24, v26, v24 :: v_dual_cndmask_b32 v23, v23, v21
	v_cndmask_b32_e32 v17, v22, v20, vcc_lo
	s_delay_alu instid0(VALU_DEP_3) | instskip(NEXT) | instid1(VALU_DEP_4)
	v_cmp_eq_u32_e64 s4, 0, v12
	v_cndmask_b32_e64 v20, v25, v27, s2
	s_delay_alu instid0(VALU_DEP_4)
	v_cndmask_b32_e64 v22, v24, v25, s2
	v_cndmask_b32_e64 v24, v27, v23, s2
	v_sub_nc_u32_e32 v25, 32, v12
	v_cndmask_b32_e64 v23, v23, v17, s2
	v_cndmask_b32_e64 v11, v17, v11, s2
	v_cndmask_b32_e64 v22, v22, v20, s3
	v_cndmask_b32_e64 v20, v20, v24, s3
	s_delay_alu instid0(VALU_DEP_4) | instskip(NEXT) | instid1(VALU_DEP_4)
	v_cndmask_b32_e64 v24, v24, v23, s3
	v_cndmask_b32_e64 v11, v23, v11, s3
	s_delay_alu instid0(VALU_DEP_3) | instskip(NEXT) | instid1(VALU_DEP_3)
	v_alignbit_b32 v26, v22, v20, v25
	v_alignbit_b32 v27, v20, v24, v25
	s_delay_alu instid0(VALU_DEP_3) | instskip(NEXT) | instid1(VALU_DEP_3)
	v_alignbit_b32 v25, v24, v11, v25
	v_cndmask_b32_e64 v12, v26, v22, s4
	s_delay_alu instid0(VALU_DEP_3) | instskip(NEXT) | instid1(VALU_DEP_3)
	v_cndmask_b32_e64 v20, v27, v20, s4
	v_cndmask_b32_e64 v24, v25, v24, s4
	s_delay_alu instid0(VALU_DEP_3) | instskip(NEXT) | instid1(VALU_DEP_3)
	v_bfe_u32 v21, v12, 29, 1
	v_alignbit_b32 v17, v12, v20, 30
	s_delay_alu instid0(VALU_DEP_3) | instskip(SKIP_1) | instid1(VALU_DEP_4)
	v_alignbit_b32 v20, v20, v24, 30
	v_alignbit_b32 v11, v24, v11, 30
	v_sub_nc_u32_e32 v22, 0, v21
	s_delay_alu instid0(VALU_DEP_1) | instskip(SKIP_3) | instid1(VALU_DEP_4)
	v_xor_b32_e32 v23, v17, v22
	v_cmp_ne_u32_e32 vcc_lo, v17, v22
	v_xor_b32_e32 v20, v20, v22
	v_xor_b32_e32 v11, v11, v22
	v_clz_i32_u32_e32 v26, v23
	s_delay_alu instid0(VALU_DEP_1) | instskip(NEXT) | instid1(VALU_DEP_1)
	v_add_nc_u32_e32 v25, 1, v26
	v_cndmask_b32_e32 v17, 33, v25, vcc_lo
	s_delay_alu instid0(VALU_DEP_1) | instskip(NEXT) | instid1(VALU_DEP_1)
	v_sub_nc_u32_e32 v24, 32, v17
	v_alignbit_b32 v22, v23, v20, v24
	v_alignbit_b32 v11, v20, v11, v24
	v_lshrrev_b32_e32 v20, 29, v12
	v_lshrrev_b32_e32 v12, 30, v12
	s_delay_alu instid0(VALU_DEP_3) | instskip(NEXT) | instid1(VALU_DEP_3)
	v_alignbit_b32 v23, v22, v11, 9
	v_lshlrev_b32_e32 v20, 31, v20
	v_alignbit_b32 v22, v17, v22, 9
	s_delay_alu instid0(VALU_DEP_3) | instskip(NEXT) | instid1(VALU_DEP_2)
	v_clz_i32_u32_e32 v24, v23
	v_or_b32_e32 v22, v22, v20
	v_or_b32_e32 v20, 0x33800000, v20
	s_delay_alu instid0(VALU_DEP_3) | instskip(NEXT) | instid1(VALU_DEP_3)
	v_min_u32_e32 v24, 32, v24
	v_xor_b32_e32 v22, 1.0, v22
	s_delay_alu instid0(VALU_DEP_2) | instskip(SKIP_1) | instid1(VALU_DEP_3)
	v_sub_nc_u32_e32 v25, 31, v24
	v_add_lshl_u32 v17, v24, v17, 23
	v_mul_f32_e32 v24, 0x3fc90fda, v22
	s_delay_alu instid0(VALU_DEP_3) | instskip(NEXT) | instid1(VALU_DEP_3)
	v_alignbit_b32 v11, v23, v11, v25
	v_sub_nc_u32_e32 v17, v20, v17
	s_delay_alu instid0(VALU_DEP_2) | instskip(NEXT) | instid1(VALU_DEP_1)
	v_lshrrev_b32_e32 v11, 9, v11
	v_or_b32_e32 v11, v17, v11
	v_add_nc_u32_e32 v17, v21, v12
	v_fma_f32 v20, 0x3fc90fda, v22, -v24
	s_delay_alu instid0(VALU_DEP_1) | instskip(NEXT) | instid1(VALU_DEP_1)
	v_fmac_f32_e32 v20, 0x33a22168, v22
	v_fmac_f32_e32 v20, 0x3fc90fda, v11
	s_delay_alu instid0(VALU_DEP_1)
	v_add_f32_e32 v11, v24, v20
.LBB249_38:                             ;   in Loop: Header=BB249_4 Depth=1
	s_or_saveexec_b32 s2, s30
	v_mul_f32_e64 v12, 0x3f22f983, |v8|
	s_delay_alu instid0(VALU_DEP_1)
	v_rndne_f32_e32 v21, v12
	s_xor_b32 exec_lo, exec_lo, s2
; %bb.39:                               ;   in Loop: Header=BB249_4 Depth=1
	s_delay_alu instid0(VALU_DEP_1) | instskip(SKIP_1) | instid1(VALU_DEP_2)
	v_fma_f32 v11, 0xbfc90fda, v21, |v8|
	v_cvt_i32_f32_e32 v17, v21
	v_fmac_f32_e32 v11, 0xb3a22168, v21
	s_delay_alu instid0(VALU_DEP_1)
	v_fmac_f32_e32 v11, 0xa7c234c4, v21
; %bb.40:                               ;   in Loop: Header=BB249_4 Depth=1
	s_or_b32 exec_lo, exec_lo, s2
                                        ; implicit-def: $vgpr20
                                        ; implicit-def: $vgpr12
	s_and_saveexec_b32 s2, s29
	s_delay_alu instid0(SALU_CYCLE_1)
	s_xor_b32 s29, exec_lo, s2
	s_cbranch_execz .LBB249_42
; %bb.41:                               ;   in Loop: Header=BB249_4 Depth=1
	v_mad_u64_u32 v[20:21], null, 0xfe5163ab, v18, 0
	v_cmp_lt_u32_e32 vcc_lo, 63, v19
	v_cndmask_b32_e64 v26, 0, 0xffffffc0, vcc_lo
	s_delay_alu instid0(VALU_DEP_1) | instskip(NEXT) | instid1(VALU_DEP_1)
	v_dual_mov_b32 v12, v21 :: v_dual_add_nc_u32 v19, v26, v19
	v_mad_u64_u32 v[21:22], null, 0x3c439041, v18, v[12:13]
	s_delay_alu instid0(VALU_DEP_2) | instskip(NEXT) | instid1(VALU_DEP_1)
	v_cmp_lt_u32_e64 s2, 31, v19
	v_cndmask_b32_e64 v27, 0, 0xffffffe0, s2
	s_delay_alu instid0(VALU_DEP_1) | instskip(NEXT) | instid1(VALU_DEP_1)
	v_dual_mov_b32 v12, v22 :: v_dual_add_nc_u32 v19, v27, v19
	v_mad_u64_u32 v[22:23], null, 0xdb629599, v18, v[12:13]
	s_delay_alu instid0(VALU_DEP_2) | instskip(NEXT) | instid1(VALU_DEP_2)
	v_cmp_lt_u32_e64 s3, 31, v19
	v_mov_b32_e32 v12, v23
	s_delay_alu instid0(VALU_DEP_3) | instskip(NEXT) | instid1(VALU_DEP_2)
	v_cndmask_b32_e32 v20, v22, v20, vcc_lo
	v_mad_u64_u32 v[23:24], null, 0xf534ddc0, v18, v[12:13]
	s_delay_alu instid0(VALU_DEP_1) | instskip(NEXT) | instid1(VALU_DEP_1)
	v_mov_b32_e32 v12, v24
	v_mad_u64_u32 v[24:25], null, 0xfc2757d1, v18, v[12:13]
	s_delay_alu instid0(VALU_DEP_1) | instskip(NEXT) | instid1(VALU_DEP_1)
	v_mov_b32_e32 v12, v25
	v_mad_u64_u32 v[25:26], null, 0x4e441529, v18, v[12:13]
	s_delay_alu instid0(VALU_DEP_1) | instskip(NEXT) | instid1(VALU_DEP_1)
	v_mov_b32_e32 v12, v26
	v_mad_u64_u32 v[26:27], null, 0xa2f9836e, v18, v[12:13]
	v_cndmask_b32_e64 v12, 0, 0xffffffe0, s3
	s_delay_alu instid0(VALU_DEP_4) | instskip(NEXT) | instid1(VALU_DEP_2)
	v_cndmask_b32_e32 v18, v25, v23, vcc_lo
	v_add_nc_u32_e32 v12, v12, v19
	s_delay_alu instid0(VALU_DEP_4) | instskip(SKIP_1) | instid1(VALU_DEP_3)
	v_dual_cndmask_b32 v26, v26, v24 :: v_dual_cndmask_b32 v25, v27, v25
	v_dual_cndmask_b32 v24, v24, v22 :: v_dual_cndmask_b32 v19, v23, v21
	v_cmp_eq_u32_e64 s4, 0, v12
	s_delay_alu instid0(VALU_DEP_3) | instskip(NEXT) | instid1(VALU_DEP_4)
	v_cndmask_b32_e64 v21, v26, v18, s2
	v_cndmask_b32_e64 v23, v25, v26, s2
	s_delay_alu instid0(VALU_DEP_4)
	v_cndmask_b32_e64 v18, v18, v24, s2
	v_sub_nc_u32_e32 v25, 32, v12
	v_cndmask_b32_e64 v24, v24, v19, s2
	v_cndmask_b32_e64 v19, v19, v20, s2
	;; [unrolled: 1-line block ×4, first 2 shown]
	s_delay_alu instid0(VALU_DEP_4) | instskip(NEXT) | instid1(VALU_DEP_4)
	v_cndmask_b32_e64 v18, v18, v24, s3
	v_cndmask_b32_e64 v19, v24, v19, s3
	s_delay_alu instid0(VALU_DEP_3) | instskip(NEXT) | instid1(VALU_DEP_3)
	v_alignbit_b32 v26, v23, v21, v25
	v_alignbit_b32 v27, v21, v18, v25
	s_delay_alu instid0(VALU_DEP_3) | instskip(NEXT) | instid1(VALU_DEP_3)
	v_alignbit_b32 v25, v18, v19, v25
	v_cndmask_b32_e64 v12, v26, v23, s4
	s_delay_alu instid0(VALU_DEP_3) | instskip(NEXT) | instid1(VALU_DEP_3)
	v_cndmask_b32_e64 v21, v27, v21, s4
	v_cndmask_b32_e64 v18, v25, v18, s4
	s_delay_alu instid0(VALU_DEP_3) | instskip(NEXT) | instid1(VALU_DEP_3)
	v_bfe_u32 v22, v12, 29, 1
	v_alignbit_b32 v20, v12, v21, 30
	s_delay_alu instid0(VALU_DEP_3) | instskip(SKIP_1) | instid1(VALU_DEP_4)
	v_alignbit_b32 v21, v21, v18, 30
	v_alignbit_b32 v18, v18, v19, 30
	v_sub_nc_u32_e32 v23, 0, v22
	s_delay_alu instid0(VALU_DEP_1) | instskip(SKIP_3) | instid1(VALU_DEP_4)
	v_xor_b32_e32 v24, v20, v23
	v_cmp_ne_u32_e32 vcc_lo, v20, v23
	v_xor_b32_e32 v19, v21, v23
	v_xor_b32_e32 v18, v18, v23
	v_clz_i32_u32_e32 v26, v24
	s_delay_alu instid0(VALU_DEP_1) | instskip(NEXT) | instid1(VALU_DEP_1)
	v_add_nc_u32_e32 v25, 1, v26
	v_cndmask_b32_e32 v20, 33, v25, vcc_lo
	s_delay_alu instid0(VALU_DEP_1) | instskip(NEXT) | instid1(VALU_DEP_1)
	v_sub_nc_u32_e32 v21, 32, v20
	v_alignbit_b32 v23, v24, v19, v21
	v_alignbit_b32 v18, v19, v18, v21
	v_lshrrev_b32_e32 v19, 29, v12
	s_delay_alu instid0(VALU_DEP_2) | instskip(NEXT) | instid1(VALU_DEP_2)
	v_alignbit_b32 v21, v23, v18, 9
	v_lshlrev_b32_e32 v19, 31, v19
	v_alignbit_b32 v23, v20, v23, 9
	s_delay_alu instid0(VALU_DEP_3) | instskip(NEXT) | instid1(VALU_DEP_2)
	v_clz_i32_u32_e32 v24, v21
	v_or_b32_e32 v23, v23, v19
	v_or_b32_e32 v19, 0x33800000, v19
	s_delay_alu instid0(VALU_DEP_3) | instskip(NEXT) | instid1(VALU_DEP_3)
	v_min_u32_e32 v24, 32, v24
	v_xor_b32_e32 v23, 1.0, v23
	s_delay_alu instid0(VALU_DEP_2) | instskip(SKIP_1) | instid1(VALU_DEP_3)
	v_sub_nc_u32_e32 v25, 31, v24
	v_add_lshl_u32 v20, v24, v20, 23
	v_mul_f32_e32 v24, 0x3fc90fda, v23
	s_delay_alu instid0(VALU_DEP_3) | instskip(NEXT) | instid1(VALU_DEP_3)
	v_alignbit_b32 v18, v21, v18, v25
	v_sub_nc_u32_e32 v19, v19, v20
	s_delay_alu instid0(VALU_DEP_3) | instskip(NEXT) | instid1(VALU_DEP_3)
	v_fma_f32 v20, 0x3fc90fda, v23, -v24
                                        ; implicit-def: $vgpr21
	v_lshrrev_b32_e32 v18, 9, v18
	s_delay_alu instid0(VALU_DEP_2) | instskip(NEXT) | instid1(VALU_DEP_2)
	v_fmac_f32_e32 v20, 0x33a22168, v23
	v_or_b32_e32 v18, v19, v18
	s_delay_alu instid0(VALU_DEP_1) | instskip(SKIP_1) | instid1(VALU_DEP_2)
	v_fmac_f32_e32 v20, 0x3fc90fda, v18
	v_lshrrev_b32_e32 v18, 30, v12
	v_add_f32_e32 v12, v24, v20
	s_delay_alu instid0(VALU_DEP_2)
	v_add_nc_u32_e32 v20, v22, v18
	s_and_not1_saveexec_b32 s2, s29
	s_cbranch_execnz .LBB249_43
	s_branch .LBB249_44
.LBB249_42:                             ;   in Loop: Header=BB249_4 Depth=1
	s_and_not1_saveexec_b32 s2, s29
.LBB249_43:                             ;   in Loop: Header=BB249_4 Depth=1
	v_fma_f32 v12, 0xbfc90fda, v21, |v8|
	v_cvt_i32_f32_e32 v20, v21
	s_delay_alu instid0(VALU_DEP_2) | instskip(NEXT) | instid1(VALU_DEP_1)
	v_fmac_f32_e32 v12, 0xb3a22168, v21
	v_fmac_f32_e32 v12, 0xa7c234c4, v21
.LBB249_44:                             ;   in Loop: Header=BB249_4 Depth=1
	s_or_b32 exec_lo, exec_lo, s2
	s_delay_alu instid0(VALU_DEP_1) | instskip(SKIP_3) | instid1(VALU_DEP_4)
	v_dual_mul_f32 v18, v11, v11 :: v_dual_mul_f32 v19, v12, v12
	v_and_b32_e32 v21, 1, v17
	v_lshlrev_b32_e32 v17, 30, v17
	v_and_b32_e32 v26, 1, v20
	v_fmaak_f32 v22, s24, v18, 0x3c0881c4
	v_fmaak_f32 v24, s24, v19, 0x3c0881c4
	;; [unrolled: 1-line block ×3, first 2 shown]
	v_dual_fmaak_f32 v25, s25, v19, 0xbab64f3b :: v_dual_lshlrev_b32 v20, 30, v20
	s_delay_alu instid0(VALU_DEP_4) | instskip(NEXT) | instid1(VALU_DEP_4)
	v_fmaak_f32 v22, v18, v22, 0xbe2aaa9d
	v_fmaak_f32 v24, v19, v24, 0xbe2aaa9d
	s_delay_alu instid0(VALU_DEP_4) | instskip(NEXT) | instid1(VALU_DEP_4)
	v_fmaak_f32 v23, v18, v23, 0x3d2aabf7
	v_fmaak_f32 v25, v19, v25, 0x3d2aabf7
	v_cmp_eq_u32_e32 vcc_lo, 0, v21
	v_mul_f32_e32 v22, v18, v22
	s_delay_alu instid0(VALU_DEP_4) | instskip(NEXT) | instid1(VALU_DEP_4)
	v_dual_mul_f32 v24, v19, v24 :: v_dual_fmaak_f32 v23, v18, v23, 0xbf000004
	v_fmaak_f32 v25, v19, v25, 0xbf000004
	v_and_or_b32 v6, 0x80000000, v20, v6
	s_delay_alu instid0(VALU_DEP_3) | instskip(NEXT) | instid1(VALU_DEP_4)
	v_dual_fmac_f32 v11, v11, v22 :: v_dual_fmac_f32 v12, v12, v24
	v_fma_f32 v18, v18, v23, 1.0
	s_delay_alu instid0(VALU_DEP_4) | instskip(NEXT) | instid1(VALU_DEP_2)
	v_fma_f32 v19, v19, v25, 1.0
	v_cndmask_b32_e64 v11, -v11, v18, vcc_lo
	v_cmp_eq_u32_e32 vcc_lo, 0, v26
	s_delay_alu instid0(VALU_DEP_3) | instskip(NEXT) | instid1(VALU_DEP_1)
	v_dual_cndmask_b32 v12, v19, v12 :: v_dual_and_b32 v17, 0x80000000, v17
	v_xor_b32_e32 v11, v17, v11
	v_cmp_class_f32_e64 vcc_lo, v8, 0x1f8
	s_delay_alu instid0(VALU_DEP_3) | instskip(NEXT) | instid1(VALU_DEP_3)
	v_xor3_b32 v5, v6, v12, v5
	v_cndmask_b32_e32 v11, 0x7fc00000, v11, vcc_lo
	s_delay_alu instid0(VALU_DEP_2)
	v_cndmask_b32_e32 v5, 0x7fc00000, v5, vcc_lo
.LBB249_45:                             ;   in Loop: Header=BB249_4 Depth=1
	s_or_b32 exec_lo, exec_lo, s28
.LBB249_46:                             ;   in Loop: Header=BB249_4 Depth=1
	s_and_not1_saveexec_b32 s2, s27
	s_cbranch_execz .LBB249_48
; %bb.47:                               ;   in Loop: Header=BB249_4 Depth=1
	v_mul_f32_e32 v6, 0xbfb8aa3b, v7
	v_cmp_nlt_f32_e32 vcc_lo, 0x42ce8ed0, v7
	s_delay_alu instid0(VALU_DEP_2) | instskip(SKIP_1) | instid1(VALU_DEP_1)
	v_rndne_f32_e32 v8, v6
	v_fma_f32 v11, 0xbfb8aa3b, v7, -v6
	v_dual_sub_f32 v6, v6, v8 :: v_dual_fmac_f32 v11, 0xb2a5705f, v7
	v_cvt_i32_f32_e32 v8, v8
	s_delay_alu instid0(VALU_DEP_2) | instskip(NEXT) | instid1(VALU_DEP_1)
	v_add_f32_e32 v6, v6, v11
	v_exp_f32_e32 v6, v6
	s_waitcnt_depctr 0xfff
	v_ldexp_f32 v6, v6, v8
	s_delay_alu instid0(VALU_DEP_1) | instskip(SKIP_1) | instid1(VALU_DEP_2)
	v_cndmask_b32_e32 v6, 0, v6, vcc_lo
	v_cmp_ngt_f32_e32 vcc_lo, 0xc2b17218, v7
	v_cndmask_b32_e32 v11, 0x7f800000, v6, vcc_lo
.LBB249_48:                             ;   in Loop: Header=BB249_4 Depth=1
	s_or_b32 exec_lo, exec_lo, s2
	s_delay_alu instid0(VALU_DEP_1) | instskip(SKIP_1) | instid1(VALU_DEP_1)
	v_dual_add_f32 v8, s8, v11 :: v_dual_add_f32 v7, s9, v5
                                        ; implicit-def: $vgpr6
	s_mov_b32 s2, exec_lo
	v_cmp_gt_f32_e32 vcc_lo, 0, v8
	v_cndmask_b32_e64 v11, v8, -v8, vcc_lo
	s_delay_alu instid0(VALU_DEP_3) | instskip(SKIP_1) | instid1(VALU_DEP_1)
	v_cmp_gt_f32_e32 vcc_lo, 0, v7
	v_cndmask_b32_e64 v12, v7, -v7, vcc_lo
	v_cmpx_ge_f32_e32 v11, v12
	s_xor_b32 s3, exec_lo, s2
	s_cbranch_execz .LBB249_54
; %bb.49:                               ;   in Loop: Header=BB249_4 Depth=1
	v_cmp_neq_f32_e32 vcc_lo, 0, v8
	v_cmp_neq_f32_e64 s2, 0, v7
                                        ; implicit-def: $vgpr6
	s_delay_alu instid0(VALU_DEP_1) | instskip(NEXT) | instid1(SALU_CYCLE_1)
	s_or_b32 s2, vcc_lo, s2
	s_and_saveexec_b32 s4, s2
	s_delay_alu instid0(SALU_CYCLE_1)
	s_xor_b32 s2, exec_lo, s4
	s_cbranch_execz .LBB249_51
; %bb.50:                               ;   in Loop: Header=BB249_4 Depth=1
	v_div_scale_f32 v5, null, v8, v8, v7
	v_div_scale_f32 v12, vcc_lo, v7, v8, v7
	s_delay_alu instid0(VALU_DEP_2) | instskip(SKIP_2) | instid1(VALU_DEP_1)
	v_rcp_f32_e32 v6, v5
	s_waitcnt_depctr 0xfff
	v_fma_f32 v11, -v5, v6, 1.0
	v_fmac_f32_e32 v6, v11, v6
	s_delay_alu instid0(VALU_DEP_1) | instskip(NEXT) | instid1(VALU_DEP_1)
	v_mul_f32_e32 v11, v12, v6
	v_fma_f32 v17, -v5, v11, v12
	s_delay_alu instid0(VALU_DEP_1) | instskip(NEXT) | instid1(VALU_DEP_1)
	v_fmac_f32_e32 v11, v17, v6
	v_fma_f32 v5, -v5, v11, v12
	s_delay_alu instid0(VALU_DEP_1) | instskip(NEXT) | instid1(VALU_DEP_1)
	v_div_fmas_f32 v5, v5, v6, v11
	v_div_fixup_f32 v5, v5, v8, v7
	s_delay_alu instid0(VALU_DEP_1) | instskip(NEXT) | instid1(VALU_DEP_1)
	v_fmac_f32_e32 v8, v7, v5
	v_div_scale_f32 v6, null, v8, v8, 1.0
	v_div_scale_f32 v12, vcc_lo, 1.0, v8, 1.0
	s_delay_alu instid0(VALU_DEP_2) | instskip(SKIP_2) | instid1(VALU_DEP_1)
	v_rcp_f32_e32 v7, v6
	s_waitcnt_depctr 0xfff
	v_fma_f32 v11, -v6, v7, 1.0
	v_fmac_f32_e32 v7, v11, v7
	s_delay_alu instid0(VALU_DEP_1) | instskip(NEXT) | instid1(VALU_DEP_1)
	v_mul_f32_e32 v11, v12, v7
	v_fma_f32 v17, -v6, v11, v12
	s_delay_alu instid0(VALU_DEP_1) | instskip(NEXT) | instid1(VALU_DEP_1)
	v_fmac_f32_e32 v11, v17, v7
	v_fma_f32 v6, -v6, v11, v12
                                        ; implicit-def: $vgpr12
	s_delay_alu instid0(VALU_DEP_1) | instskip(SKIP_1) | instid1(VALU_DEP_2)
	v_div_fmas_f32 v6, v6, v7, v11
	v_fma_f32 v7, v5, s9, s8
                                        ; implicit-def: $vgpr11
	v_div_fixup_f32 v6, v6, v8, 1.0
	v_fma_f32 v8, -v5, s8, s9
	s_delay_alu instid0(VALU_DEP_2) | instskip(NEXT) | instid1(VALU_DEP_2)
	v_mul_f32_e32 v5, v7, v6
	v_mul_f32_e32 v6, v8, v6
.LBB249_51:                             ;   in Loop: Header=BB249_4 Depth=1
	s_and_not1_saveexec_b32 s4, s2
	s_cbranch_execz .LBB249_53
; %bb.52:                               ;   in Loop: Header=BB249_4 Depth=1
	v_div_scale_f32 v5, null, v11, v11, s8
	v_div_scale_f32 v6, null, v12, v12, s9
	v_div_scale_f32 v19, vcc_lo, s8, v11, s8
	s_delay_alu instid0(VALU_DEP_3) | instskip(NEXT) | instid1(VALU_DEP_2)
	v_rcp_f32_e32 v7, v5
	v_rcp_f32_e32 v8, v6
	s_waitcnt_depctr 0xfff
	v_fma_f32 v17, -v5, v7, 1.0
	v_fma_f32 v18, -v6, v8, 1.0
	s_delay_alu instid0(VALU_DEP_1) | instskip(SKIP_1) | instid1(VALU_DEP_2)
	v_dual_fmac_f32 v7, v17, v7 :: v_dual_fmac_f32 v8, v18, v8
	v_div_scale_f32 v17, s2, s9, v12, s9
	v_mul_f32_e32 v18, v19, v7
	s_delay_alu instid0(VALU_DEP_2) | instskip(NEXT) | instid1(VALU_DEP_2)
	v_mul_f32_e32 v20, v17, v8
	v_fma_f32 v21, -v5, v18, v19
	s_delay_alu instid0(VALU_DEP_2) | instskip(NEXT) | instid1(VALU_DEP_2)
	v_fma_f32 v22, -v6, v20, v17
	v_fmac_f32_e32 v18, v21, v7
	s_delay_alu instid0(VALU_DEP_2) | instskip(NEXT) | instid1(VALU_DEP_2)
	v_fmac_f32_e32 v20, v22, v8
	v_fma_f32 v5, -v5, v18, v19
	s_delay_alu instid0(VALU_DEP_2) | instskip(NEXT) | instid1(VALU_DEP_2)
	v_fma_f32 v6, -v6, v20, v17
	v_div_fmas_f32 v5, v5, v7, v18
	s_mov_b32 vcc_lo, s2
	s_delay_alu instid0(VALU_DEP_2) | instskip(NEXT) | instid1(VALU_DEP_2)
	v_div_fmas_f32 v6, v6, v8, v20
	v_div_fixup_f32 v5, v5, v11, s8
	s_delay_alu instid0(VALU_DEP_2)
	v_div_fixup_f32 v6, v6, v12, s9
.LBB249_53:                             ;   in Loop: Header=BB249_4 Depth=1
	s_or_b32 exec_lo, exec_lo, s4
                                        ; implicit-def: $vgpr7
                                        ; implicit-def: $vgpr8
.LBB249_54:                             ;   in Loop: Header=BB249_4 Depth=1
	s_and_not1_saveexec_b32 s2, s3
	s_cbranch_execz .LBB249_56
; %bb.55:                               ;   in Loop: Header=BB249_4 Depth=1
	v_div_scale_f32 v5, null, v7, v7, v8
	v_div_scale_f32 v12, vcc_lo, v8, v7, v8
	s_delay_alu instid0(VALU_DEP_2) | instskip(SKIP_2) | instid1(VALU_DEP_1)
	v_rcp_f32_e32 v6, v5
	s_waitcnt_depctr 0xfff
	v_fma_f32 v11, -v5, v6, 1.0
	v_fmac_f32_e32 v6, v11, v6
	s_delay_alu instid0(VALU_DEP_1) | instskip(NEXT) | instid1(VALU_DEP_1)
	v_mul_f32_e32 v11, v12, v6
	v_fma_f32 v17, -v5, v11, v12
	s_delay_alu instid0(VALU_DEP_1) | instskip(NEXT) | instid1(VALU_DEP_1)
	v_fmac_f32_e32 v11, v17, v6
	v_fma_f32 v5, -v5, v11, v12
	s_delay_alu instid0(VALU_DEP_1) | instskip(NEXT) | instid1(VALU_DEP_1)
	v_div_fmas_f32 v5, v5, v6, v11
	v_div_fixup_f32 v5, v5, v7, v8
	s_delay_alu instid0(VALU_DEP_1) | instskip(NEXT) | instid1(VALU_DEP_1)
	v_fmac_f32_e32 v7, v8, v5
	v_div_scale_f32 v6, null, v7, v7, 1.0
	v_div_scale_f32 v12, vcc_lo, 1.0, v7, 1.0
	s_delay_alu instid0(VALU_DEP_2) | instskip(SKIP_2) | instid1(VALU_DEP_1)
	v_rcp_f32_e32 v8, v6
	s_waitcnt_depctr 0xfff
	v_fma_f32 v11, -v6, v8, 1.0
	v_fmac_f32_e32 v8, v11, v8
	s_delay_alu instid0(VALU_DEP_1) | instskip(NEXT) | instid1(VALU_DEP_1)
	v_mul_f32_e32 v11, v12, v8
	v_fma_f32 v17, -v6, v11, v12
	s_delay_alu instid0(VALU_DEP_1) | instskip(NEXT) | instid1(VALU_DEP_1)
	v_fmac_f32_e32 v11, v17, v8
	v_fma_f32 v6, -v6, v11, v12
	s_delay_alu instid0(VALU_DEP_1) | instskip(SKIP_1) | instid1(VALU_DEP_2)
	v_div_fmas_f32 v6, v6, v8, v11
	v_fma_f32 v8, v5, s8, s9
	v_div_fixup_f32 v6, v6, v7, 1.0
	v_fma_f32 v7, v5, s9, -s8
	s_delay_alu instid0(VALU_DEP_2) | instskip(NEXT) | instid1(VALU_DEP_2)
	v_mul_f32_e32 v5, v8, v6
	v_mul_f32_e32 v6, v7, v6
.LBB249_56:                             ;   in Loop: Header=BB249_4 Depth=1
	s_or_b32 exec_lo, exec_lo, s2
	v_and_b32_e32 v7, 0x7fffffff, v10
	v_xor_b32_e32 v11, 0x80000000, v10
                                        ; implicit-def: $vgpr12
	s_mov_b32 s2, exec_lo
	s_delay_alu instid0(VALU_DEP_2)
	v_cmpx_ne_u32_e32 0, v7
	s_xor_b32 s27, exec_lo, s2
	s_cbranch_execz .LBB249_98
; %bb.57:                               ;   in Loop: Header=BB249_4 Depth=1
	v_and_b32_e32 v8, 0x7fffffff, v9
                                        ; implicit-def: $vgpr12
	s_mov_b32 s2, exec_lo
	s_delay_alu instid0(VALU_DEP_1)
	v_cmpx_ne_u32_e32 0, v8
	s_xor_b32 s28, exec_lo, s2
	s_cbranch_execz .LBB249_87
; %bb.58:                               ;   in Loop: Header=BB249_4 Depth=1
	v_xor_b32_e32 v17, 0x80000000, v9
                                        ; implicit-def: $vgpr12
	s_mov_b32 s2, exec_lo
	v_cmpx_gt_u32_e32 0x7f800000, v7
	s_xor_b32 s29, exec_lo, s2
	s_cbranch_execz .LBB249_80
; %bb.59:                               ;   in Loop: Header=BB249_4 Depth=1
	v_add_nc_u32_e32 v8, 0xbd4e8de8, v17
                                        ; implicit-def: $vgpr12
	s_mov_b32 s2, exec_lo
	s_delay_alu instid0(VALU_DEP_1)
	v_cmpx_lt_u32_e32 0x8e8e5c, v8
	s_xor_b32 s30, exec_lo, s2
	s_cbranch_execz .LBB249_69
; %bb.60:                               ;   in Loop: Header=BB249_4 Depth=1
	v_cmp_ngt_f32_e64 s31, 0x48000000, |v10|
                                        ; implicit-def: $vgpr17
                                        ; implicit-def: $vgpr8
	s_delay_alu instid0(VALU_DEP_1) | instskip(NEXT) | instid1(SALU_CYCLE_1)
	s_and_saveexec_b32 s2, s31
	s_xor_b32 s33, exec_lo, s2
	s_cbranch_execz .LBB249_62
; %bb.61:                               ;   in Loop: Header=BB249_4 Depth=1
	v_and_or_b32 v8, v7, s23, 0x800000
	v_lshrrev_b32_e32 v22, 23, v7
	s_delay_alu instid0(VALU_DEP_2) | instskip(NEXT) | instid1(VALU_DEP_2)
	v_mad_u64_u32 v[17:18], null, 0xfe5163ab, v8, 0
	v_add_nc_u32_e32 v23, 0xffffff88, v22
	s_delay_alu instid0(VALU_DEP_1) | instskip(NEXT) | instid1(VALU_DEP_3)
	v_cmp_lt_u32_e32 vcc_lo, 63, v23
	v_mov_b32_e32 v12, v18
	v_cndmask_b32_e64 v24, 0, 0xffffffc0, vcc_lo
	s_delay_alu instid0(VALU_DEP_2) | instskip(NEXT) | instid1(VALU_DEP_2)
	v_mad_u64_u32 v[18:19], null, 0x3c439041, v8, v[12:13]
	v_add_nc_u32_e32 v24, v24, v23
	s_delay_alu instid0(VALU_DEP_1) | instskip(NEXT) | instid1(VALU_DEP_1)
	v_cmp_lt_u32_e64 s2, 31, v24
	v_cndmask_b32_e64 v25, 0, 0xffffffe0, s2
	s_delay_alu instid0(VALU_DEP_1) | instskip(NEXT) | instid1(VALU_DEP_1)
	v_dual_mov_b32 v12, v19 :: v_dual_add_nc_u32 v25, v25, v24
	v_mad_u64_u32 v[19:20], null, 0xdb629599, v8, v[12:13]
	s_delay_alu instid0(VALU_DEP_2) | instskip(NEXT) | instid1(VALU_DEP_2)
	v_cmp_lt_u32_e64 s3, 31, v25
	v_dual_mov_b32 v12, v20 :: v_dual_cndmask_b32 v17, v19, v17
	s_delay_alu instid0(VALU_DEP_1) | instskip(NEXT) | instid1(VALU_DEP_1)
	v_mad_u64_u32 v[20:21], null, 0xf534ddc0, v8, v[12:13]
	v_mov_b32_e32 v12, v21
	s_delay_alu instid0(VALU_DEP_2) | instskip(NEXT) | instid1(VALU_DEP_2)
	v_cndmask_b32_e32 v18, v20, v18, vcc_lo
	v_mad_u64_u32 v[21:22], null, 0xfc2757d1, v8, v[12:13]
	s_delay_alu instid0(VALU_DEP_2) | instskip(NEXT) | instid1(VALU_DEP_2)
	v_cndmask_b32_e64 v17, v18, v17, s2
	v_mov_b32_e32 v12, v22
	s_delay_alu instid0(VALU_DEP_1) | instskip(NEXT) | instid1(VALU_DEP_1)
	v_mad_u64_u32 v[22:23], null, 0x4e441529, v8, v[12:13]
	v_mov_b32_e32 v12, v23
	s_delay_alu instid0(VALU_DEP_1) | instskip(SKIP_1) | instid1(VALU_DEP_4)
	v_mad_u64_u32 v[23:24], null, 0xa2f9836e, v8, v[12:13]
	v_cndmask_b32_e64 v8, 0, 0xffffffe0, s3
	v_cndmask_b32_e32 v12, v22, v20, vcc_lo
	s_delay_alu instid0(VALU_DEP_2) | instskip(NEXT) | instid1(VALU_DEP_4)
	v_add_nc_u32_e32 v8, v8, v25
	v_dual_cndmask_b32 v23, v23, v21 :: v_dual_cndmask_b32 v22, v24, v22
	v_cndmask_b32_e32 v21, v21, v19, vcc_lo
	s_delay_alu instid0(VALU_DEP_3) | instskip(NEXT) | instid1(VALU_DEP_3)
	v_cmp_eq_u32_e64 s4, 0, v8
	v_cndmask_b32_e64 v20, v23, v12, s2
	s_delay_alu instid0(VALU_DEP_4) | instskip(NEXT) | instid1(VALU_DEP_4)
	v_cndmask_b32_e64 v22, v22, v23, s2
	v_cndmask_b32_e64 v12, v12, v21, s2
	v_sub_nc_u32_e32 v23, 32, v8
	v_cndmask_b32_e64 v21, v21, v18, s2
	s_delay_alu instid0(VALU_DEP_4) | instskip(NEXT) | instid1(VALU_DEP_4)
	v_cndmask_b32_e64 v22, v22, v20, s3
	v_cndmask_b32_e64 v20, v20, v12, s3
	s_delay_alu instid0(VALU_DEP_3) | instskip(SKIP_1) | instid1(VALU_DEP_3)
	v_cndmask_b32_e64 v12, v12, v21, s3
	v_cndmask_b32_e64 v17, v21, v17, s3
	v_alignbit_b32 v24, v22, v20, v23
	s_delay_alu instid0(VALU_DEP_3) | instskip(NEXT) | instid1(VALU_DEP_3)
	v_alignbit_b32 v25, v20, v12, v23
	v_alignbit_b32 v23, v12, v17, v23
	s_delay_alu instid0(VALU_DEP_3) | instskip(NEXT) | instid1(VALU_DEP_3)
	v_cndmask_b32_e64 v8, v24, v22, s4
	v_cndmask_b32_e64 v19, v25, v20, s4
	s_delay_alu instid0(VALU_DEP_3) | instskip(NEXT) | instid1(VALU_DEP_3)
	v_cndmask_b32_e64 v12, v23, v12, s4
	v_bfe_u32 v20, v8, 29, 1
	s_delay_alu instid0(VALU_DEP_3) | instskip(NEXT) | instid1(VALU_DEP_3)
	v_alignbit_b32 v18, v8, v19, 30
	v_alignbit_b32 v19, v19, v12, 30
	;; [unrolled: 1-line block ×3, first 2 shown]
	s_delay_alu instid0(VALU_DEP_4) | instskip(NEXT) | instid1(VALU_DEP_1)
	v_sub_nc_u32_e32 v22, 0, v20
	v_xor_b32_e32 v21, v18, v22
	v_cmp_ne_u32_e32 vcc_lo, v18, v22
	v_xor_b32_e32 v17, v19, v22
	v_xor_b32_e32 v12, v12, v22
	s_delay_alu instid0(VALU_DEP_4) | instskip(NEXT) | instid1(VALU_DEP_1)
	v_clz_i32_u32_e32 v24, v21
	v_add_nc_u32_e32 v23, 1, v24
	s_delay_alu instid0(VALU_DEP_1) | instskip(NEXT) | instid1(VALU_DEP_1)
	v_cndmask_b32_e32 v18, 33, v23, vcc_lo
	v_sub_nc_u32_e32 v19, 32, v18
	s_delay_alu instid0(VALU_DEP_1) | instskip(SKIP_2) | instid1(VALU_DEP_2)
	v_alignbit_b32 v21, v21, v17, v19
	v_alignbit_b32 v12, v17, v12, v19
	v_lshrrev_b32_e32 v17, 29, v8
	v_alignbit_b32 v19, v21, v12, 9
	s_delay_alu instid0(VALU_DEP_2) | instskip(SKIP_1) | instid1(VALU_DEP_3)
	v_lshlrev_b32_e32 v17, 31, v17
	v_alignbit_b32 v21, v18, v21, 9
	v_clz_i32_u32_e32 v22, v19
	s_delay_alu instid0(VALU_DEP_2) | instskip(SKIP_1) | instid1(VALU_DEP_3)
	v_or_b32_e32 v21, v21, v17
	v_or_b32_e32 v17, 0x33800000, v17
	v_min_u32_e32 v22, 32, v22
	s_delay_alu instid0(VALU_DEP_3) | instskip(NEXT) | instid1(VALU_DEP_2)
	v_xor_b32_e32 v21, 1.0, v21
	v_sub_nc_u32_e32 v23, 31, v22
	v_add_lshl_u32 v18, v22, v18, 23
	s_delay_alu instid0(VALU_DEP_3) | instskip(NEXT) | instid1(VALU_DEP_3)
	v_mul_f32_e32 v22, 0x3fc90fda, v21
	v_alignbit_b32 v12, v19, v12, v23
	s_delay_alu instid0(VALU_DEP_3) | instskip(NEXT) | instid1(VALU_DEP_3)
	v_sub_nc_u32_e32 v17, v17, v18
	v_fma_f32 v18, 0x3fc90fda, v21, -v22
	s_delay_alu instid0(VALU_DEP_3) | instskip(NEXT) | instid1(VALU_DEP_2)
	v_lshrrev_b32_e32 v12, 9, v12
	v_fmac_f32_e32 v18, 0x33a22168, v21
	s_delay_alu instid0(VALU_DEP_2) | instskip(NEXT) | instid1(VALU_DEP_1)
	v_or_b32_e32 v12, v17, v12
	v_fmac_f32_e32 v18, 0x3fc90fda, v12
	v_lshrrev_b32_e32 v12, 30, v8
	s_delay_alu instid0(VALU_DEP_1)
	v_dual_add_f32 v8, v22, v18 :: v_dual_add_nc_u32 v17, v20, v12
	s_and_not1_saveexec_b32 s2, s33
	s_branch .LBB249_63
.LBB249_62:                             ;   in Loop: Header=BB249_4 Depth=1
	s_and_not1_saveexec_b32 s2, s33
.LBB249_63:                             ;   in Loop: Header=BB249_4 Depth=1
	v_mul_f32_e64 v8, 0x3f22f983, |v10|
	s_delay_alu instid0(VALU_DEP_1) | instskip(NEXT) | instid1(VALU_DEP_1)
	v_rndne_f32_e32 v12, v8
	v_fma_f32 v8, 0xbfc90fda, v12, |v10|
	v_cvt_i32_f32_e32 v17, v12
	s_delay_alu instid0(VALU_DEP_2) | instskip(NEXT) | instid1(VALU_DEP_1)
	v_fmac_f32_e32 v8, 0xb3a22168, v12
	v_fmac_f32_e32 v8, 0xa7c234c4, v12
; %bb.64:                               ;   in Loop: Header=BB249_4 Depth=1
	s_or_b32 exec_lo, exec_lo, s2
                                        ; implicit-def: $vgpr18
                                        ; implicit-def: $vgpr12
	s_and_saveexec_b32 s2, s31
	s_delay_alu instid0(SALU_CYCLE_1)
	s_xor_b32 s31, exec_lo, s2
	s_cbranch_execz .LBB249_66
; %bb.65:                               ;   in Loop: Header=BB249_4 Depth=1
	v_lshrrev_b32_e32 v23, 23, v7
	v_and_or_b32 v26, v7, s23, 0x800000
	s_delay_alu instid0(VALU_DEP_2) | instskip(NEXT) | instid1(VALU_DEP_2)
	v_add_nc_u32_e32 v24, 0xffffff88, v23
	v_mad_u64_u32 v[18:19], null, 0xfe5163ab, v26, 0
	s_delay_alu instid0(VALU_DEP_2) | instskip(SKIP_1) | instid1(VALU_DEP_1)
	v_cmp_lt_u32_e32 vcc_lo, 63, v24
	v_cndmask_b32_e64 v25, 0, 0xffffffc0, vcc_lo
	v_dual_mov_b32 v12, v19 :: v_dual_add_nc_u32 v25, v25, v24
	s_delay_alu instid0(VALU_DEP_1) | instskip(NEXT) | instid1(VALU_DEP_2)
	v_mad_u64_u32 v[19:20], null, 0x3c439041, v26, v[12:13]
	v_cmp_lt_u32_e64 s2, 31, v25
	s_delay_alu instid0(VALU_DEP_1) | instskip(NEXT) | instid1(VALU_DEP_1)
	v_cndmask_b32_e64 v27, 0, 0xffffffe0, s2
	v_dual_mov_b32 v12, v20 :: v_dual_add_nc_u32 v27, v27, v25
	s_delay_alu instid0(VALU_DEP_1) | instskip(NEXT) | instid1(VALU_DEP_2)
	v_mad_u64_u32 v[20:21], null, 0xdb629599, v26, v[12:13]
	v_cmp_lt_u32_e64 s3, 31, v27
	s_delay_alu instid0(VALU_DEP_2) | instskip(NEXT) | instid1(VALU_DEP_3)
	v_mov_b32_e32 v12, v21
	v_cndmask_b32_e32 v18, v20, v18, vcc_lo
	s_delay_alu instid0(VALU_DEP_2) | instskip(NEXT) | instid1(VALU_DEP_1)
	v_mad_u64_u32 v[21:22], null, 0xf534ddc0, v26, v[12:13]
	v_dual_mov_b32 v12, v22 :: v_dual_cndmask_b32 v19, v21, v19
	s_delay_alu instid0(VALU_DEP_1) | instskip(NEXT) | instid1(VALU_DEP_2)
	v_mad_u64_u32 v[22:23], null, 0xfc2757d1, v26, v[12:13]
	v_cndmask_b32_e64 v18, v19, v18, s2
	s_delay_alu instid0(VALU_DEP_2) | instskip(NEXT) | instid1(VALU_DEP_1)
	v_mov_b32_e32 v12, v23
	v_mad_u64_u32 v[23:24], null, 0x4e441529, v26, v[12:13]
	s_delay_alu instid0(VALU_DEP_1) | instskip(NEXT) | instid1(VALU_DEP_1)
	v_mov_b32_e32 v12, v24
	v_mad_u64_u32 v[24:25], null, 0xa2f9836e, v26, v[12:13]
	v_cndmask_b32_e64 v12, 0, 0xffffffe0, s3
	s_delay_alu instid0(VALU_DEP_4) | instskip(NEXT) | instid1(VALU_DEP_2)
	v_cndmask_b32_e32 v26, v23, v21, vcc_lo
	v_add_nc_u32_e32 v12, v12, v27
	s_delay_alu instid0(VALU_DEP_4) | instskip(SKIP_1) | instid1(VALU_DEP_3)
	v_dual_cndmask_b32 v24, v24, v22 :: v_dual_cndmask_b32 v23, v25, v23
	v_cndmask_b32_e32 v22, v22, v20, vcc_lo
	v_sub_nc_u32_e32 v25, 32, v12
	s_delay_alu instid0(VALU_DEP_3) | instskip(NEXT) | instid1(VALU_DEP_4)
	v_cndmask_b32_e64 v21, v24, v26, s2
	v_cndmask_b32_e64 v23, v23, v24, s2
	s_delay_alu instid0(VALU_DEP_4) | instskip(SKIP_2) | instid1(VALU_DEP_4)
	v_cndmask_b32_e64 v24, v26, v22, s2
	v_cndmask_b32_e64 v22, v22, v19, s2
	v_cmp_eq_u32_e64 s4, 0, v12
	v_cndmask_b32_e64 v23, v23, v21, s3
	s_delay_alu instid0(VALU_DEP_4) | instskip(NEXT) | instid1(VALU_DEP_4)
	v_cndmask_b32_e64 v21, v21, v24, s3
	v_cndmask_b32_e64 v24, v24, v22, s3
	;; [unrolled: 1-line block ×3, first 2 shown]
	s_delay_alu instid0(VALU_DEP_3) | instskip(NEXT) | instid1(VALU_DEP_3)
	v_alignbit_b32 v26, v23, v21, v25
	v_alignbit_b32 v27, v21, v24, v25
	s_delay_alu instid0(VALU_DEP_3) | instskip(NEXT) | instid1(VALU_DEP_3)
	v_alignbit_b32 v25, v24, v18, v25
	v_cndmask_b32_e64 v12, v26, v23, s4
	s_delay_alu instid0(VALU_DEP_3) | instskip(NEXT) | instid1(VALU_DEP_3)
	v_cndmask_b32_e64 v20, v27, v21, s4
	v_cndmask_b32_e64 v24, v25, v24, s4
	s_delay_alu instid0(VALU_DEP_3) | instskip(NEXT) | instid1(VALU_DEP_3)
	v_bfe_u32 v21, v12, 29, 1
	v_alignbit_b32 v19, v12, v20, 30
	s_delay_alu instid0(VALU_DEP_3) | instskip(SKIP_1) | instid1(VALU_DEP_4)
	v_alignbit_b32 v20, v20, v24, 30
	v_alignbit_b32 v18, v24, v18, 30
	v_sub_nc_u32_e32 v23, 0, v21
	s_delay_alu instid0(VALU_DEP_1) | instskip(SKIP_3) | instid1(VALU_DEP_4)
	v_xor_b32_e32 v22, v19, v23
	v_cmp_ne_u32_e32 vcc_lo, v19, v23
	v_xor_b32_e32 v20, v20, v23
	v_xor_b32_e32 v18, v18, v23
	v_clz_i32_u32_e32 v26, v22
	s_delay_alu instid0(VALU_DEP_1) | instskip(NEXT) | instid1(VALU_DEP_1)
	v_add_nc_u32_e32 v25, 1, v26
	v_cndmask_b32_e32 v19, 33, v25, vcc_lo
	s_delay_alu instid0(VALU_DEP_1) | instskip(NEXT) | instid1(VALU_DEP_1)
	v_sub_nc_u32_e32 v24, 32, v19
	v_alignbit_b32 v22, v22, v20, v24
	v_alignbit_b32 v18, v20, v18, v24
	v_lshrrev_b32_e32 v20, 29, v12
	s_delay_alu instid0(VALU_DEP_2) | instskip(NEXT) | instid1(VALU_DEP_2)
	v_alignbit_b32 v23, v22, v18, 9
	v_lshlrev_b32_e32 v20, 31, v20
	v_alignbit_b32 v22, v19, v22, 9
	s_delay_alu instid0(VALU_DEP_3) | instskip(NEXT) | instid1(VALU_DEP_2)
	v_clz_i32_u32_e32 v24, v23
	v_or_b32_e32 v22, v22, v20
	v_or_b32_e32 v20, 0x33800000, v20
	s_delay_alu instid0(VALU_DEP_3) | instskip(NEXT) | instid1(VALU_DEP_3)
	v_min_u32_e32 v24, 32, v24
	v_xor_b32_e32 v22, 1.0, v22
	s_delay_alu instid0(VALU_DEP_2) | instskip(SKIP_1) | instid1(VALU_DEP_3)
	v_sub_nc_u32_e32 v25, 31, v24
	v_add_lshl_u32 v19, v24, v19, 23
	v_mul_f32_e32 v24, 0x3fc90fda, v22
	s_delay_alu instid0(VALU_DEP_3) | instskip(NEXT) | instid1(VALU_DEP_3)
	v_alignbit_b32 v18, v23, v18, v25
	v_sub_nc_u32_e32 v19, v20, v19
	s_delay_alu instid0(VALU_DEP_3) | instskip(NEXT) | instid1(VALU_DEP_3)
	v_fma_f32 v20, 0x3fc90fda, v22, -v24
	v_lshrrev_b32_e32 v18, 9, v18
	s_delay_alu instid0(VALU_DEP_2) | instskip(NEXT) | instid1(VALU_DEP_2)
	v_fmac_f32_e32 v20, 0x33a22168, v22
	v_or_b32_e32 v18, v19, v18
	s_delay_alu instid0(VALU_DEP_1) | instskip(SKIP_1) | instid1(VALU_DEP_2)
	v_fmac_f32_e32 v20, 0x3fc90fda, v18
	v_lshrrev_b32_e32 v18, 30, v12
	v_add_f32_e32 v12, v24, v20
	s_delay_alu instid0(VALU_DEP_2)
	v_add_nc_u32_e32 v18, v21, v18
	s_and_not1_saveexec_b32 s2, s31
	s_cbranch_execnz .LBB249_67
	s_branch .LBB249_68
.LBB249_66:                             ;   in Loop: Header=BB249_4 Depth=1
	s_and_not1_saveexec_b32 s2, s31
.LBB249_67:                             ;   in Loop: Header=BB249_4 Depth=1
	v_mul_f32_e64 v12, 0x3f22f983, |v10|
	s_delay_alu instid0(VALU_DEP_1) | instskip(NEXT) | instid1(VALU_DEP_1)
	v_rndne_f32_e32 v18, v12
	v_fma_f32 v12, 0xbfc90fda, v18, |v10|
	s_delay_alu instid0(VALU_DEP_1) | instskip(NEXT) | instid1(VALU_DEP_1)
	v_fmac_f32_e32 v12, 0xb3a22168, v18
	v_fmac_f32_e32 v12, 0xa7c234c4, v18
	v_cvt_i32_f32_e32 v18, v18
.LBB249_68:                             ;   in Loop: Header=BB249_4 Depth=1
	s_or_b32 exec_lo, exec_lo, s2
	v_dual_mul_f32 v19, 0xbfb8aa3b, v9 :: v_dual_mul_f32 v20, v8, v8
	s_delay_alu instid0(VALU_DEP_3) | instskip(SKIP_1) | instid1(VALU_DEP_3)
	v_dual_mul_f32 v24, v12, v12 :: v_dual_and_b32 v21, 1, v17
	v_lshlrev_b32_e32 v17, 30, v17
	v_rndne_f32_e32 v22, v19
	s_delay_alu instid0(VALU_DEP_4) | instskip(SKIP_4) | instid1(VALU_DEP_4)
	v_fmaak_f32 v26, s24, v20, 0x3c0881c4
	v_fma_f32 v23, 0xbfb8aa3b, v9, -v19
	v_dual_fmaak_f32 v28, s24, v24, 0x3c0881c4 :: v_dual_and_b32 v25, 1, v18
	v_dual_fmaak_f32 v27, s25, v20, 0xbab64f3b :: v_dual_lshlrev_b32 v18, 30, v18
	v_sub_f32_e32 v19, v19, v22
	v_fmac_f32_e32 v23, 0xb2a5705f, v9
	v_cmp_eq_u32_e32 vcc_lo, 0, v21
	v_cvt_i32_f32_e32 v22, v22
	v_and_or_b32 v7, 0x80000000, v18, v7
	v_cmp_ngt_f32_e64 s2, 0xc2b17218, v9
	v_add_f32_e32 v19, v19, v23
	v_fmaak_f32 v23, v20, v26, 0xbe2aaa9d
	s_delay_alu instid0(VALU_DEP_1) | instskip(NEXT) | instid1(VALU_DEP_1)
	v_mul_f32_e32 v23, v20, v23
	v_fmac_f32_e32 v8, v8, v23
	v_fmaak_f32 v26, v20, v27, 0x3d2aabf7
	v_fmaak_f32 v27, v24, v28, 0xbe2aaa9d
	s_delay_alu instid0(VALU_DEP_2) | instskip(NEXT) | instid1(VALU_DEP_1)
	v_fmaak_f32 v26, v20, v26, 0xbf000004
	v_fma_f32 v20, v20, v26, 1.0
	s_delay_alu instid0(VALU_DEP_1) | instskip(SKIP_2) | instid1(VALU_DEP_1)
	v_cndmask_b32_e64 v8, -v8, v20, vcc_lo
	v_cmp_eq_u32_e32 vcc_lo, 0, v25
	v_mul_f32_e32 v27, v24, v27
	v_dual_fmaak_f32 v29, s25, v24, 0xbab64f3b :: v_dual_fmac_f32 v12, v12, v27
	s_delay_alu instid0(VALU_DEP_1) | instskip(SKIP_1) | instid1(VALU_DEP_1)
	v_fmaak_f32 v28, v24, v29, 0x3d2aabf7
	v_exp_f32_e32 v19, v19
	v_fmaak_f32 v28, v24, v28, 0xbf000004
	s_delay_alu instid0(VALU_DEP_1) | instskip(SKIP_4) | instid1(VALU_DEP_2)
	v_fma_f32 v23, v24, v28, 1.0
	s_waitcnt_depctr 0xfff
	v_ldexp_f32 v19, v19, v22
	v_cndmask_b32_e32 v12, v23, v12, vcc_lo
	v_cmp_nlt_f32_e32 vcc_lo, 0x42ce8ed0, v9
	v_xor3_b32 v7, v7, v12, v11
	s_delay_alu instid0(VALU_DEP_4) | instskip(SKIP_1) | instid1(VALU_DEP_2)
	v_cndmask_b32_e32 v18, 0, v19, vcc_lo
	v_cmp_class_f32_e64 vcc_lo, v10, 0x1f8
	v_cndmask_b32_e64 v9, 0x7f800000, v18, s2
	v_and_b32_e32 v17, 0x80000000, v17
	v_cndmask_b32_e32 v7, 0x7fc00000, v7, vcc_lo
	s_delay_alu instid0(VALU_DEP_2) | instskip(NEXT) | instid1(VALU_DEP_1)
	v_xor_b32_e32 v8, v17, v8
	v_dual_mul_f32 v11, v9, v7 :: v_dual_cndmask_b32 v8, 0x7fc00000, v8
	s_delay_alu instid0(VALU_DEP_1)
	v_mul_f32_e32 v12, v9, v8
                                        ; implicit-def: $vgpr7_vgpr8_vgpr9_vgpr10
                                        ; implicit-def: $vgpr7
.LBB249_69:                             ;   in Loop: Header=BB249_4 Depth=1
	s_and_not1_saveexec_b32 s30, s30
	s_cbranch_execz .LBB249_79
; %bb.70:                               ;   in Loop: Header=BB249_4 Depth=1
	v_cmp_ngt_f32_e64 s31, 0x48000000, |v10|
                                        ; implicit-def: $vgpr17
                                        ; implicit-def: $vgpr8
	s_delay_alu instid0(VALU_DEP_1) | instskip(NEXT) | instid1(SALU_CYCLE_1)
	s_and_saveexec_b32 s2, s31
	s_xor_b32 s33, exec_lo, s2
	s_cbranch_execz .LBB249_72
; %bb.71:                               ;   in Loop: Header=BB249_4 Depth=1
	v_and_or_b32 v8, v7, s23, 0x800000
	v_lshrrev_b32_e32 v22, 23, v7
	s_delay_alu instid0(VALU_DEP_2) | instskip(NEXT) | instid1(VALU_DEP_2)
	v_mad_u64_u32 v[17:18], null, 0xfe5163ab, v8, 0
	v_add_nc_u32_e32 v23, 0xffffff88, v22
	s_delay_alu instid0(VALU_DEP_1) | instskip(NEXT) | instid1(VALU_DEP_3)
	v_cmp_lt_u32_e32 vcc_lo, 63, v23
	v_mov_b32_e32 v12, v18
	v_cndmask_b32_e64 v24, 0, 0xffffffc0, vcc_lo
	s_delay_alu instid0(VALU_DEP_2) | instskip(NEXT) | instid1(VALU_DEP_2)
	v_mad_u64_u32 v[18:19], null, 0x3c439041, v8, v[12:13]
	v_add_nc_u32_e32 v24, v24, v23
	s_delay_alu instid0(VALU_DEP_1) | instskip(NEXT) | instid1(VALU_DEP_1)
	v_cmp_lt_u32_e64 s2, 31, v24
	v_cndmask_b32_e64 v25, 0, 0xffffffe0, s2
	s_delay_alu instid0(VALU_DEP_1) | instskip(NEXT) | instid1(VALU_DEP_1)
	v_dual_mov_b32 v12, v19 :: v_dual_add_nc_u32 v25, v25, v24
	v_mad_u64_u32 v[19:20], null, 0xdb629599, v8, v[12:13]
	s_delay_alu instid0(VALU_DEP_2) | instskip(NEXT) | instid1(VALU_DEP_2)
	v_cmp_lt_u32_e64 s3, 31, v25
	v_dual_mov_b32 v12, v20 :: v_dual_cndmask_b32 v17, v19, v17
	s_delay_alu instid0(VALU_DEP_1) | instskip(NEXT) | instid1(VALU_DEP_1)
	v_mad_u64_u32 v[20:21], null, 0xf534ddc0, v8, v[12:13]
	v_mov_b32_e32 v12, v21
	s_delay_alu instid0(VALU_DEP_2) | instskip(NEXT) | instid1(VALU_DEP_2)
	v_cndmask_b32_e32 v18, v20, v18, vcc_lo
	v_mad_u64_u32 v[21:22], null, 0xfc2757d1, v8, v[12:13]
	s_delay_alu instid0(VALU_DEP_2) | instskip(NEXT) | instid1(VALU_DEP_2)
	v_cndmask_b32_e64 v17, v18, v17, s2
	v_mov_b32_e32 v12, v22
	s_delay_alu instid0(VALU_DEP_1) | instskip(NEXT) | instid1(VALU_DEP_1)
	v_mad_u64_u32 v[22:23], null, 0x4e441529, v8, v[12:13]
	v_mov_b32_e32 v12, v23
	s_delay_alu instid0(VALU_DEP_1) | instskip(SKIP_1) | instid1(VALU_DEP_4)
	v_mad_u64_u32 v[23:24], null, 0xa2f9836e, v8, v[12:13]
	v_cndmask_b32_e64 v8, 0, 0xffffffe0, s3
	v_cndmask_b32_e32 v12, v22, v20, vcc_lo
	s_delay_alu instid0(VALU_DEP_2) | instskip(NEXT) | instid1(VALU_DEP_4)
	v_add_nc_u32_e32 v8, v8, v25
	v_dual_cndmask_b32 v23, v23, v21 :: v_dual_cndmask_b32 v22, v24, v22
	v_cndmask_b32_e32 v21, v21, v19, vcc_lo
	s_delay_alu instid0(VALU_DEP_3) | instskip(NEXT) | instid1(VALU_DEP_3)
	v_cmp_eq_u32_e64 s4, 0, v8
	v_cndmask_b32_e64 v20, v23, v12, s2
	s_delay_alu instid0(VALU_DEP_4) | instskip(NEXT) | instid1(VALU_DEP_4)
	v_cndmask_b32_e64 v22, v22, v23, s2
	v_cndmask_b32_e64 v12, v12, v21, s2
	v_sub_nc_u32_e32 v23, 32, v8
	v_cndmask_b32_e64 v21, v21, v18, s2
	s_delay_alu instid0(VALU_DEP_4) | instskip(NEXT) | instid1(VALU_DEP_4)
	v_cndmask_b32_e64 v22, v22, v20, s3
	v_cndmask_b32_e64 v20, v20, v12, s3
	s_delay_alu instid0(VALU_DEP_3) | instskip(SKIP_1) | instid1(VALU_DEP_3)
	v_cndmask_b32_e64 v12, v12, v21, s3
	v_cndmask_b32_e64 v17, v21, v17, s3
	v_alignbit_b32 v24, v22, v20, v23
	s_delay_alu instid0(VALU_DEP_3) | instskip(NEXT) | instid1(VALU_DEP_3)
	v_alignbit_b32 v25, v20, v12, v23
	v_alignbit_b32 v23, v12, v17, v23
	s_delay_alu instid0(VALU_DEP_3) | instskip(NEXT) | instid1(VALU_DEP_3)
	v_cndmask_b32_e64 v8, v24, v22, s4
	v_cndmask_b32_e64 v19, v25, v20, s4
	s_delay_alu instid0(VALU_DEP_3) | instskip(NEXT) | instid1(VALU_DEP_3)
	v_cndmask_b32_e64 v12, v23, v12, s4
	v_bfe_u32 v20, v8, 29, 1
	s_delay_alu instid0(VALU_DEP_3) | instskip(NEXT) | instid1(VALU_DEP_3)
	v_alignbit_b32 v18, v8, v19, 30
	v_alignbit_b32 v19, v19, v12, 30
	v_alignbit_b32 v12, v12, v17, 30
	s_delay_alu instid0(VALU_DEP_4) | instskip(NEXT) | instid1(VALU_DEP_1)
	v_sub_nc_u32_e32 v22, 0, v20
	v_xor_b32_e32 v21, v18, v22
	v_cmp_ne_u32_e32 vcc_lo, v18, v22
	v_xor_b32_e32 v17, v19, v22
	v_xor_b32_e32 v12, v12, v22
	s_delay_alu instid0(VALU_DEP_4) | instskip(NEXT) | instid1(VALU_DEP_1)
	v_clz_i32_u32_e32 v24, v21
	v_add_nc_u32_e32 v23, 1, v24
	s_delay_alu instid0(VALU_DEP_1) | instskip(NEXT) | instid1(VALU_DEP_1)
	v_cndmask_b32_e32 v18, 33, v23, vcc_lo
	v_sub_nc_u32_e32 v19, 32, v18
	s_delay_alu instid0(VALU_DEP_1) | instskip(SKIP_2) | instid1(VALU_DEP_2)
	v_alignbit_b32 v21, v21, v17, v19
	v_alignbit_b32 v12, v17, v12, v19
	v_lshrrev_b32_e32 v17, 29, v8
	v_alignbit_b32 v19, v21, v12, 9
	s_delay_alu instid0(VALU_DEP_2) | instskip(SKIP_1) | instid1(VALU_DEP_3)
	v_lshlrev_b32_e32 v17, 31, v17
	v_alignbit_b32 v21, v18, v21, 9
	v_clz_i32_u32_e32 v22, v19
	s_delay_alu instid0(VALU_DEP_2) | instskip(SKIP_1) | instid1(VALU_DEP_3)
	v_or_b32_e32 v21, v21, v17
	v_or_b32_e32 v17, 0x33800000, v17
	v_min_u32_e32 v22, 32, v22
	s_delay_alu instid0(VALU_DEP_3) | instskip(NEXT) | instid1(VALU_DEP_2)
	v_xor_b32_e32 v21, 1.0, v21
	v_sub_nc_u32_e32 v23, 31, v22
	v_add_lshl_u32 v18, v22, v18, 23
	s_delay_alu instid0(VALU_DEP_3) | instskip(NEXT) | instid1(VALU_DEP_3)
	v_mul_f32_e32 v22, 0x3fc90fda, v21
	v_alignbit_b32 v12, v19, v12, v23
	s_delay_alu instid0(VALU_DEP_3) | instskip(NEXT) | instid1(VALU_DEP_3)
	v_sub_nc_u32_e32 v17, v17, v18
	v_fma_f32 v18, 0x3fc90fda, v21, -v22
	s_delay_alu instid0(VALU_DEP_3) | instskip(NEXT) | instid1(VALU_DEP_2)
	v_lshrrev_b32_e32 v12, 9, v12
	v_fmac_f32_e32 v18, 0x33a22168, v21
	s_delay_alu instid0(VALU_DEP_2) | instskip(NEXT) | instid1(VALU_DEP_1)
	v_or_b32_e32 v12, v17, v12
	v_fmac_f32_e32 v18, 0x3fc90fda, v12
	v_lshrrev_b32_e32 v12, 30, v8
	s_delay_alu instid0(VALU_DEP_1)
	v_dual_add_f32 v8, v22, v18 :: v_dual_add_nc_u32 v17, v20, v12
	s_and_not1_saveexec_b32 s2, s33
	s_branch .LBB249_73
.LBB249_72:                             ;   in Loop: Header=BB249_4 Depth=1
	s_and_not1_saveexec_b32 s2, s33
.LBB249_73:                             ;   in Loop: Header=BB249_4 Depth=1
	v_mul_f32_e64 v8, 0x3f22f983, |v10|
	s_delay_alu instid0(VALU_DEP_1) | instskip(NEXT) | instid1(VALU_DEP_1)
	v_rndne_f32_e32 v12, v8
	v_fma_f32 v8, 0xbfc90fda, v12, |v10|
	v_cvt_i32_f32_e32 v17, v12
	s_delay_alu instid0(VALU_DEP_2) | instskip(NEXT) | instid1(VALU_DEP_1)
	v_fmac_f32_e32 v8, 0xb3a22168, v12
	v_fmac_f32_e32 v8, 0xa7c234c4, v12
; %bb.74:                               ;   in Loop: Header=BB249_4 Depth=1
	s_or_b32 exec_lo, exec_lo, s2
                                        ; implicit-def: $vgpr18
                                        ; implicit-def: $vgpr12
	s_and_saveexec_b32 s2, s31
	s_delay_alu instid0(SALU_CYCLE_1)
	s_xor_b32 s31, exec_lo, s2
	s_cbranch_execz .LBB249_76
; %bb.75:                               ;   in Loop: Header=BB249_4 Depth=1
	v_lshrrev_b32_e32 v23, 23, v7
	v_and_or_b32 v26, v7, s23, 0x800000
	s_delay_alu instid0(VALU_DEP_2) | instskip(NEXT) | instid1(VALU_DEP_2)
	v_add_nc_u32_e32 v24, 0xffffff88, v23
	v_mad_u64_u32 v[18:19], null, 0xfe5163ab, v26, 0
	s_delay_alu instid0(VALU_DEP_2) | instskip(SKIP_1) | instid1(VALU_DEP_1)
	v_cmp_lt_u32_e32 vcc_lo, 63, v24
	v_cndmask_b32_e64 v25, 0, 0xffffffc0, vcc_lo
	v_dual_mov_b32 v12, v19 :: v_dual_add_nc_u32 v25, v25, v24
	s_delay_alu instid0(VALU_DEP_1) | instskip(NEXT) | instid1(VALU_DEP_2)
	v_mad_u64_u32 v[19:20], null, 0x3c439041, v26, v[12:13]
	v_cmp_lt_u32_e64 s2, 31, v25
	s_delay_alu instid0(VALU_DEP_1) | instskip(NEXT) | instid1(VALU_DEP_1)
	v_cndmask_b32_e64 v27, 0, 0xffffffe0, s2
	v_dual_mov_b32 v12, v20 :: v_dual_add_nc_u32 v27, v27, v25
	s_delay_alu instid0(VALU_DEP_1) | instskip(NEXT) | instid1(VALU_DEP_2)
	v_mad_u64_u32 v[20:21], null, 0xdb629599, v26, v[12:13]
	v_cmp_lt_u32_e64 s3, 31, v27
	s_delay_alu instid0(VALU_DEP_2) | instskip(NEXT) | instid1(VALU_DEP_3)
	v_mov_b32_e32 v12, v21
	v_cndmask_b32_e32 v18, v20, v18, vcc_lo
	s_delay_alu instid0(VALU_DEP_2) | instskip(NEXT) | instid1(VALU_DEP_1)
	v_mad_u64_u32 v[21:22], null, 0xf534ddc0, v26, v[12:13]
	v_dual_mov_b32 v12, v22 :: v_dual_cndmask_b32 v19, v21, v19
	s_delay_alu instid0(VALU_DEP_1) | instskip(NEXT) | instid1(VALU_DEP_2)
	v_mad_u64_u32 v[22:23], null, 0xfc2757d1, v26, v[12:13]
	v_cndmask_b32_e64 v18, v19, v18, s2
	s_delay_alu instid0(VALU_DEP_2) | instskip(NEXT) | instid1(VALU_DEP_1)
	v_mov_b32_e32 v12, v23
	v_mad_u64_u32 v[23:24], null, 0x4e441529, v26, v[12:13]
	s_delay_alu instid0(VALU_DEP_1) | instskip(NEXT) | instid1(VALU_DEP_1)
	v_mov_b32_e32 v12, v24
	v_mad_u64_u32 v[24:25], null, 0xa2f9836e, v26, v[12:13]
	v_cndmask_b32_e64 v12, 0, 0xffffffe0, s3
	s_delay_alu instid0(VALU_DEP_4) | instskip(NEXT) | instid1(VALU_DEP_2)
	v_cndmask_b32_e32 v26, v23, v21, vcc_lo
	v_add_nc_u32_e32 v12, v12, v27
	s_delay_alu instid0(VALU_DEP_4) | instskip(SKIP_1) | instid1(VALU_DEP_3)
	v_dual_cndmask_b32 v24, v24, v22 :: v_dual_cndmask_b32 v23, v25, v23
	v_cndmask_b32_e32 v22, v22, v20, vcc_lo
	v_sub_nc_u32_e32 v25, 32, v12
	s_delay_alu instid0(VALU_DEP_3) | instskip(NEXT) | instid1(VALU_DEP_4)
	v_cndmask_b32_e64 v21, v24, v26, s2
	v_cndmask_b32_e64 v23, v23, v24, s2
	s_delay_alu instid0(VALU_DEP_4) | instskip(SKIP_2) | instid1(VALU_DEP_4)
	v_cndmask_b32_e64 v24, v26, v22, s2
	v_cndmask_b32_e64 v22, v22, v19, s2
	v_cmp_eq_u32_e64 s4, 0, v12
	v_cndmask_b32_e64 v23, v23, v21, s3
	s_delay_alu instid0(VALU_DEP_4) | instskip(NEXT) | instid1(VALU_DEP_4)
	v_cndmask_b32_e64 v21, v21, v24, s3
	v_cndmask_b32_e64 v24, v24, v22, s3
	;; [unrolled: 1-line block ×3, first 2 shown]
	s_delay_alu instid0(VALU_DEP_3) | instskip(NEXT) | instid1(VALU_DEP_3)
	v_alignbit_b32 v26, v23, v21, v25
	v_alignbit_b32 v27, v21, v24, v25
	s_delay_alu instid0(VALU_DEP_3) | instskip(NEXT) | instid1(VALU_DEP_3)
	v_alignbit_b32 v25, v24, v18, v25
	v_cndmask_b32_e64 v12, v26, v23, s4
	s_delay_alu instid0(VALU_DEP_3) | instskip(NEXT) | instid1(VALU_DEP_3)
	v_cndmask_b32_e64 v20, v27, v21, s4
	v_cndmask_b32_e64 v24, v25, v24, s4
	s_delay_alu instid0(VALU_DEP_3) | instskip(NEXT) | instid1(VALU_DEP_3)
	v_bfe_u32 v21, v12, 29, 1
	v_alignbit_b32 v19, v12, v20, 30
	s_delay_alu instid0(VALU_DEP_3) | instskip(SKIP_1) | instid1(VALU_DEP_4)
	v_alignbit_b32 v20, v20, v24, 30
	v_alignbit_b32 v18, v24, v18, 30
	v_sub_nc_u32_e32 v23, 0, v21
	s_delay_alu instid0(VALU_DEP_1) | instskip(SKIP_3) | instid1(VALU_DEP_4)
	v_xor_b32_e32 v22, v19, v23
	v_cmp_ne_u32_e32 vcc_lo, v19, v23
	v_xor_b32_e32 v20, v20, v23
	v_xor_b32_e32 v18, v18, v23
	v_clz_i32_u32_e32 v26, v22
	s_delay_alu instid0(VALU_DEP_1) | instskip(NEXT) | instid1(VALU_DEP_1)
	v_add_nc_u32_e32 v25, 1, v26
	v_cndmask_b32_e32 v19, 33, v25, vcc_lo
	s_delay_alu instid0(VALU_DEP_1) | instskip(NEXT) | instid1(VALU_DEP_1)
	v_sub_nc_u32_e32 v24, 32, v19
	v_alignbit_b32 v22, v22, v20, v24
	v_alignbit_b32 v18, v20, v18, v24
	v_lshrrev_b32_e32 v20, 29, v12
	s_delay_alu instid0(VALU_DEP_2) | instskip(NEXT) | instid1(VALU_DEP_2)
	v_alignbit_b32 v23, v22, v18, 9
	v_lshlrev_b32_e32 v20, 31, v20
	v_alignbit_b32 v22, v19, v22, 9
	s_delay_alu instid0(VALU_DEP_3) | instskip(NEXT) | instid1(VALU_DEP_2)
	v_clz_i32_u32_e32 v24, v23
	v_or_b32_e32 v22, v22, v20
	v_or_b32_e32 v20, 0x33800000, v20
	s_delay_alu instid0(VALU_DEP_3) | instskip(NEXT) | instid1(VALU_DEP_3)
	v_min_u32_e32 v24, 32, v24
	v_xor_b32_e32 v22, 1.0, v22
	s_delay_alu instid0(VALU_DEP_2) | instskip(SKIP_1) | instid1(VALU_DEP_3)
	v_sub_nc_u32_e32 v25, 31, v24
	v_add_lshl_u32 v19, v24, v19, 23
	v_mul_f32_e32 v24, 0x3fc90fda, v22
	s_delay_alu instid0(VALU_DEP_3) | instskip(NEXT) | instid1(VALU_DEP_3)
	v_alignbit_b32 v18, v23, v18, v25
	v_sub_nc_u32_e32 v19, v20, v19
	s_delay_alu instid0(VALU_DEP_3) | instskip(NEXT) | instid1(VALU_DEP_3)
	v_fma_f32 v20, 0x3fc90fda, v22, -v24
	v_lshrrev_b32_e32 v18, 9, v18
	s_delay_alu instid0(VALU_DEP_2) | instskip(NEXT) | instid1(VALU_DEP_2)
	v_fmac_f32_e32 v20, 0x33a22168, v22
	v_or_b32_e32 v18, v19, v18
	s_delay_alu instid0(VALU_DEP_1) | instskip(SKIP_1) | instid1(VALU_DEP_2)
	v_fmac_f32_e32 v20, 0x3fc90fda, v18
	v_lshrrev_b32_e32 v18, 30, v12
	v_add_f32_e32 v12, v24, v20
	s_delay_alu instid0(VALU_DEP_2)
	v_add_nc_u32_e32 v18, v21, v18
	s_and_not1_saveexec_b32 s2, s31
	s_cbranch_execnz .LBB249_77
	s_branch .LBB249_78
.LBB249_76:                             ;   in Loop: Header=BB249_4 Depth=1
	s_and_not1_saveexec_b32 s2, s31
.LBB249_77:                             ;   in Loop: Header=BB249_4 Depth=1
	v_mul_f32_e64 v12, 0x3f22f983, |v10|
	s_delay_alu instid0(VALU_DEP_1) | instskip(NEXT) | instid1(VALU_DEP_1)
	v_rndne_f32_e32 v18, v12
	v_fma_f32 v12, 0xbfc90fda, v18, |v10|
	s_delay_alu instid0(VALU_DEP_1) | instskip(NEXT) | instid1(VALU_DEP_1)
	v_fmac_f32_e32 v12, 0xb3a22168, v18
	v_fmac_f32_e32 v12, 0xa7c234c4, v18
	v_cvt_i32_f32_e32 v18, v18
.LBB249_78:                             ;   in Loop: Header=BB249_4 Depth=1
	s_or_b32 exec_lo, exec_lo, s2
	v_dual_sub_f32 v9, 0xc322e3bc, v9 :: v_dual_mul_f32 v22, v8, v8
	s_delay_alu instid0(VALU_DEP_3) | instskip(NEXT) | instid1(VALU_DEP_2)
	v_mul_f32_e32 v23, v12, v12
	v_mul_f32_e32 v19, 0x3fb8aa3b, v9
	v_cmp_ngt_f32_e32 vcc_lo, 0xc2ce8ed0, v9
	s_delay_alu instid0(VALU_DEP_4) | instskip(SKIP_4) | instid1(VALU_DEP_3)
	v_fmaak_f32 v25, s24, v22, 0x3c0881c4
	v_fmaak_f32 v24, s25, v22, 0xbab64f3b
	v_fmaak_f32 v26, s24, v23, 0x3c0881c4
	v_fma_f32 v20, 0x3fb8aa3b, v9, -v19
	v_rndne_f32_e32 v21, v19
	v_fmaak_f32 v26, v23, v26, 0xbe2aaa9d
	s_delay_alu instid0(VALU_DEP_3) | instskip(NEXT) | instid1(VALU_DEP_3)
	v_fmac_f32_e32 v20, 0x32a5705f, v9
	v_sub_f32_e32 v19, v19, v21
	s_delay_alu instid0(VALU_DEP_3) | instskip(NEXT) | instid1(VALU_DEP_2)
	v_mul_f32_e32 v26, v23, v26
	v_add_f32_e32 v19, v19, v20
	v_cvt_i32_f32_e32 v20, v21
	v_lshlrev_b32_e32 v21, 30, v17
	s_delay_alu instid0(VALU_DEP_4) | instskip(NEXT) | instid1(VALU_DEP_4)
	v_dual_fmac_f32 v12, v12, v26 :: v_dual_and_b32 v17, 1, v17
	v_exp_f32_e32 v19, v19
	s_waitcnt_depctr 0xfff
	v_ldexp_f32 v19, v19, v20
	v_and_b32_e32 v20, 1, v18
	s_delay_alu instid0(VALU_DEP_2) | instskip(SKIP_1) | instid1(VALU_DEP_2)
	v_dual_cndmask_b32 v19, 0, v19 :: v_dual_lshlrev_b32 v18, 30, v18
	v_cmp_nlt_f32_e32 vcc_lo, 0x42b17218, v9
	v_and_or_b32 v7, 0x80000000, v18, v7
	v_fmaak_f32 v18, v22, v24, 0x3d2aabf7
	v_fmaak_f32 v24, v22, v25, 0xbe2aaa9d
	v_and_b32_e32 v21, 0x80000000, v21
	v_cndmask_b32_e32 v9, 0x7f800000, v19, vcc_lo
	v_fmaak_f32 v19, s25, v23, 0xbab64f3b
	v_cmp_eq_u32_e32 vcc_lo, 0, v17
	v_mul_f32_e32 v24, v22, v24
	s_delay_alu instid0(VALU_DEP_4)
	v_lshrrev_b32_e32 v25, 23, v9
	v_and_or_b32 v9, 0x7fffff, v9, s26
	v_fmaak_f32 v19, v23, v19, 0x3d2aabf7
	v_fmaak_f32 v18, v22, v18, 0xbf000004
	v_fmac_f32_e32 v8, v8, v24
	v_subrev_nc_u32_e32 v25, 19, v25
	s_delay_alu instid0(VALU_DEP_4) | instskip(NEXT) | instid1(VALU_DEP_4)
	v_fmaak_f32 v19, v23, v19, 0xbf000004
	v_fma_f32 v18, v22, v18, 1.0
	s_delay_alu instid0(VALU_DEP_3) | instskip(NEXT) | instid1(VALU_DEP_3)
	v_lshrrev_b16 v22, 15, v25
	v_fma_f32 v19, v23, v19, 1.0
	s_delay_alu instid0(VALU_DEP_3) | instskip(SKIP_1) | instid1(VALU_DEP_4)
	v_cndmask_b32_e64 v8, -v8, v18, vcc_lo
	v_cmp_eq_u32_e32 vcc_lo, 0, v20
	v_add_nc_u16 v17, v25, v22
	s_delay_alu instid0(VALU_DEP_3) | instskip(SKIP_1) | instid1(VALU_DEP_3)
	v_xor_b32_e32 v8, v21, v8
	v_cndmask_b32_e32 v12, v19, v12, vcc_lo
	v_ashrrev_i16 v17, 1, v17
	v_cmp_class_f32_e64 vcc_lo, v10, 0x1f8
	s_delay_alu instid0(VALU_DEP_3) | instskip(NEXT) | instid1(VALU_DEP_3)
	v_xor3_b32 v7, v7, v12, v11
	v_bfe_i32 v10, v17, 0, 16
	s_delay_alu instid0(VALU_DEP_2) | instskip(SKIP_1) | instid1(VALU_DEP_3)
	v_cndmask_b32_e32 v7, 0x7fc00000, v7, vcc_lo
	v_cndmask_b32_e32 v8, 0x7fc00000, v8, vcc_lo
	v_lshl_add_u32 v11, v10, 23, 1.0
	v_sub_nc_u32_e32 v10, v25, v10
	s_delay_alu instid0(VALU_DEP_4) | instskip(NEXT) | instid1(VALU_DEP_4)
	v_mul_f32_e32 v7, v7, v9
	v_mul_f32_e32 v8, v8, v9
	s_delay_alu instid0(VALU_DEP_3) | instskip(NEXT) | instid1(VALU_DEP_3)
	v_lshl_add_u32 v9, v10, 23, 1.0
	v_mul_f32_e32 v7, v7, v11
	s_delay_alu instid0(VALU_DEP_1) | instskip(NEXT) | instid1(VALU_DEP_1)
	v_dual_mul_f32 v8, v8, v11 :: v_dual_mul_f32 v11, v7, v9
	v_mul_f32_e32 v12, v8, v9
.LBB249_79:                             ;   in Loop: Header=BB249_4 Depth=1
	s_or_b32 exec_lo, exec_lo, s30
                                        ; implicit-def: $vgpr7_vgpr8_vgpr9_vgpr10
                                        ; implicit-def: $vgpr17
                                        ; implicit-def: $vgpr8
.LBB249_80:                             ;   in Loop: Header=BB249_4 Depth=1
	s_and_not1_saveexec_b32 s2, s29
	s_cbranch_execz .LBB249_86
; %bb.81:                               ;   in Loop: Header=BB249_4 Depth=1
	v_sub_f32_e32 v11, v10, v10
	s_mov_b32 s3, exec_lo
	v_cmpx_ne_u32_e32 0x7f800000, v8
	s_xor_b32 s3, exec_lo, s3
; %bb.82:                               ;   in Loop: Header=BB249_4 Depth=1
                                        ; implicit-def: $vgpr17
                                        ; implicit-def: $vgpr7_vgpr8_vgpr9_vgpr10
; %bb.83:                               ;   in Loop: Header=BB249_4 Depth=1
	s_delay_alu instid0(SALU_CYCLE_1)
	s_or_saveexec_b32 s3, s3
	v_mov_b32_e32 v12, v11
	s_xor_b32 exec_lo, exec_lo, s3
; %bb.84:                               ;   in Loop: Header=BB249_4 Depth=1
	v_cmp_lt_i32_e32 vcc_lo, -1, v17
	v_cndmask_b32_e64 v12, 0, -v9, vcc_lo
	v_cndmask_b32_e32 v11, 0, v11, vcc_lo
; %bb.85:                               ;   in Loop: Header=BB249_4 Depth=1
	s_or_b32 exec_lo, exec_lo, s3
.LBB249_86:                             ;   in Loop: Header=BB249_4 Depth=1
	s_delay_alu instid0(SALU_CYCLE_1)
	s_or_b32 exec_lo, exec_lo, s2
                                        ; implicit-def: $vgpr7_vgpr8_vgpr9_vgpr10
                                        ; implicit-def: $vgpr7
.LBB249_87:                             ;   in Loop: Header=BB249_4 Depth=1
	s_and_not1_saveexec_b32 s28, s28
	s_cbranch_execz .LBB249_97
; %bb.88:                               ;   in Loop: Header=BB249_4 Depth=1
	v_lshrrev_b32_e32 v8, 23, v7
	v_cmp_ngt_f32_e64 s29, 0x48000000, |v10|
	v_and_or_b32 v17, v7, s23, 0x800000
                                        ; implicit-def: $vgpr9
	s_delay_alu instid0(VALU_DEP_3) | instskip(NEXT) | instid1(VALU_DEP_3)
	v_add_nc_u32_e32 v18, 0xffffff88, v8
                                        ; implicit-def: $vgpr8
	s_and_saveexec_b32 s2, s29
	s_delay_alu instid0(SALU_CYCLE_1)
	s_xor_b32 s30, exec_lo, s2
	s_cbranch_execz .LBB249_90
; %bb.89:                               ;   in Loop: Header=BB249_4 Depth=1
	v_mad_u64_u32 v[8:9], null, 0xfe5163ab, v17, 0
	v_cmp_lt_u32_e32 vcc_lo, 63, v18
	s_delay_alu instid0(VALU_DEP_2) | instskip(SKIP_1) | instid1(VALU_DEP_2)
	v_mov_b32_e32 v12, v9
	v_cndmask_b32_e64 v9, 0, 0xffffffc0, vcc_lo
	v_mad_u64_u32 v[19:20], null, 0x3c439041, v17, v[12:13]
	s_delay_alu instid0(VALU_DEP_2) | instskip(NEXT) | instid1(VALU_DEP_1)
	v_add_nc_u32_e32 v9, v9, v18
	v_cmp_lt_u32_e64 s2, 31, v9
	s_delay_alu instid0(VALU_DEP_3) | instskip(NEXT) | instid1(VALU_DEP_2)
	v_mov_b32_e32 v12, v20
	v_cndmask_b32_e64 v25, 0, 0xffffffe0, s2
	s_delay_alu instid0(VALU_DEP_2) | instskip(NEXT) | instid1(VALU_DEP_2)
	v_mad_u64_u32 v[20:21], null, 0xdb629599, v17, v[12:13]
	v_add_nc_u32_e32 v9, v25, v9
	s_delay_alu instid0(VALU_DEP_2) | instskip(NEXT) | instid1(VALU_DEP_3)
	v_mov_b32_e32 v12, v21
	v_cndmask_b32_e32 v8, v20, v8, vcc_lo
	s_delay_alu instid0(VALU_DEP_3) | instskip(NEXT) | instid1(VALU_DEP_3)
	v_cmp_lt_u32_e64 s3, 31, v9
	v_mad_u64_u32 v[21:22], null, 0xf534ddc0, v17, v[12:13]
	s_delay_alu instid0(VALU_DEP_1) | instskip(NEXT) | instid1(VALU_DEP_1)
	v_mov_b32_e32 v12, v22
	v_mad_u64_u32 v[22:23], null, 0xfc2757d1, v17, v[12:13]
	s_delay_alu instid0(VALU_DEP_1) | instskip(NEXT) | instid1(VALU_DEP_1)
	v_mov_b32_e32 v12, v23
	v_mad_u64_u32 v[23:24], null, 0x4e441529, v17, v[12:13]
	s_delay_alu instid0(VALU_DEP_1) | instskip(NEXT) | instid1(VALU_DEP_2)
	v_mov_b32_e32 v12, v24
	v_cndmask_b32_e32 v26, v23, v21, vcc_lo
	s_delay_alu instid0(VALU_DEP_2) | instskip(SKIP_1) | instid1(VALU_DEP_1)
	v_mad_u64_u32 v[24:25], null, 0xa2f9836e, v17, v[12:13]
	v_cndmask_b32_e64 v12, 0, 0xffffffe0, s3
	v_add_nc_u32_e32 v9, v12, v9
	s_delay_alu instid0(VALU_DEP_3) | instskip(SKIP_2) | instid1(VALU_DEP_4)
	v_dual_cndmask_b32 v24, v24, v22 :: v_dual_cndmask_b32 v23, v25, v23
	v_cndmask_b32_e32 v22, v22, v20, vcc_lo
	v_cndmask_b32_e32 v12, v21, v19, vcc_lo
	v_cmp_eq_u32_e64 s4, 0, v9
	s_delay_alu instid0(VALU_DEP_4)
	v_cndmask_b32_e64 v19, v24, v26, s2
	v_cndmask_b32_e64 v21, v23, v24, s2
	;; [unrolled: 1-line block ×3, first 2 shown]
	v_sub_nc_u32_e32 v24, 32, v9
	v_cndmask_b32_e64 v22, v22, v12, s2
	v_cndmask_b32_e64 v8, v12, v8, s2
	;; [unrolled: 1-line block ×4, first 2 shown]
	s_delay_alu instid0(VALU_DEP_4) | instskip(NEXT) | instid1(VALU_DEP_4)
	v_cndmask_b32_e64 v23, v23, v22, s3
	v_cndmask_b32_e64 v8, v22, v8, s3
	s_delay_alu instid0(VALU_DEP_3) | instskip(NEXT) | instid1(VALU_DEP_3)
	v_alignbit_b32 v25, v21, v19, v24
	v_alignbit_b32 v26, v19, v23, v24
	s_delay_alu instid0(VALU_DEP_3) | instskip(NEXT) | instid1(VALU_DEP_3)
	v_alignbit_b32 v24, v23, v8, v24
	v_cndmask_b32_e64 v9, v25, v21, s4
	s_delay_alu instid0(VALU_DEP_3) | instskip(NEXT) | instid1(VALU_DEP_3)
	v_cndmask_b32_e64 v19, v26, v19, s4
	v_cndmask_b32_e64 v23, v24, v23, s4
	s_delay_alu instid0(VALU_DEP_3) | instskip(NEXT) | instid1(VALU_DEP_3)
	v_bfe_u32 v20, v9, 29, 1
	v_alignbit_b32 v12, v9, v19, 30
	s_delay_alu instid0(VALU_DEP_3) | instskip(SKIP_1) | instid1(VALU_DEP_4)
	v_alignbit_b32 v19, v19, v23, 30
	v_alignbit_b32 v8, v23, v8, 30
	v_sub_nc_u32_e32 v21, 0, v20
	s_delay_alu instid0(VALU_DEP_1) | instskip(SKIP_3) | instid1(VALU_DEP_4)
	v_xor_b32_e32 v22, v12, v21
	v_cmp_ne_u32_e32 vcc_lo, v12, v21
	v_xor_b32_e32 v19, v19, v21
	v_xor_b32_e32 v8, v8, v21
	v_clz_i32_u32_e32 v25, v22
	s_delay_alu instid0(VALU_DEP_1) | instskip(NEXT) | instid1(VALU_DEP_1)
	v_add_nc_u32_e32 v24, 1, v25
	v_cndmask_b32_e32 v12, 33, v24, vcc_lo
	s_delay_alu instid0(VALU_DEP_1) | instskip(NEXT) | instid1(VALU_DEP_1)
	v_sub_nc_u32_e32 v23, 32, v12
	v_alignbit_b32 v21, v22, v19, v23
	v_alignbit_b32 v8, v19, v8, v23
	v_lshrrev_b32_e32 v19, 29, v9
	v_lshrrev_b32_e32 v9, 30, v9
	s_delay_alu instid0(VALU_DEP_3) | instskip(NEXT) | instid1(VALU_DEP_3)
	v_alignbit_b32 v22, v21, v8, 9
	v_lshlrev_b32_e32 v19, 31, v19
	s_delay_alu instid0(VALU_DEP_3) | instskip(SKIP_1) | instid1(VALU_DEP_4)
	v_add_nc_u32_e32 v9, v20, v9
	v_alignbit_b32 v21, v12, v21, 9
	v_clz_i32_u32_e32 v23, v22
	s_delay_alu instid0(VALU_DEP_2) | instskip(SKIP_1) | instid1(VALU_DEP_3)
	v_or_b32_e32 v21, v21, v19
	v_or_b32_e32 v19, 0x33800000, v19
	v_min_u32_e32 v23, 32, v23
	s_delay_alu instid0(VALU_DEP_3) | instskip(NEXT) | instid1(VALU_DEP_2)
	v_xor_b32_e32 v21, 1.0, v21
	v_sub_nc_u32_e32 v24, 31, v23
	v_add_lshl_u32 v12, v23, v12, 23
	s_delay_alu instid0(VALU_DEP_3) | instskip(NEXT) | instid1(VALU_DEP_3)
	v_mul_f32_e32 v23, 0x3fc90fda, v21
	v_alignbit_b32 v8, v22, v8, v24
	s_delay_alu instid0(VALU_DEP_3) | instskip(NEXT) | instid1(VALU_DEP_3)
	v_sub_nc_u32_e32 v12, v19, v12
	v_fma_f32 v19, 0x3fc90fda, v21, -v23
	s_delay_alu instid0(VALU_DEP_3) | instskip(NEXT) | instid1(VALU_DEP_2)
	v_lshrrev_b32_e32 v8, 9, v8
	v_fmac_f32_e32 v19, 0x33a22168, v21
	s_delay_alu instid0(VALU_DEP_2) | instskip(NEXT) | instid1(VALU_DEP_1)
	v_or_b32_e32 v8, v12, v8
	v_fmac_f32_e32 v19, 0x3fc90fda, v8
	s_delay_alu instid0(VALU_DEP_1)
	v_add_f32_e32 v8, v23, v19
.LBB249_90:                             ;   in Loop: Header=BB249_4 Depth=1
	s_or_saveexec_b32 s2, s30
	v_mul_f32_e64 v12, 0x3f22f983, |v10|
	s_delay_alu instid0(VALU_DEP_1)
	v_rndne_f32_e32 v20, v12
	s_xor_b32 exec_lo, exec_lo, s2
; %bb.91:                               ;   in Loop: Header=BB249_4 Depth=1
	s_delay_alu instid0(VALU_DEP_1) | instskip(SKIP_1) | instid1(VALU_DEP_2)
	v_fma_f32 v8, 0xbfc90fda, v20, |v10|
	v_cvt_i32_f32_e32 v9, v20
	v_fmac_f32_e32 v8, 0xb3a22168, v20
	s_delay_alu instid0(VALU_DEP_1)
	v_fmac_f32_e32 v8, 0xa7c234c4, v20
; %bb.92:                               ;   in Loop: Header=BB249_4 Depth=1
	s_or_b32 exec_lo, exec_lo, s2
                                        ; implicit-def: $vgpr19
                                        ; implicit-def: $vgpr12
	s_and_saveexec_b32 s2, s29
	s_delay_alu instid0(SALU_CYCLE_1)
	s_xor_b32 s29, exec_lo, s2
	s_cbranch_execz .LBB249_94
; %bb.93:                               ;   in Loop: Header=BB249_4 Depth=1
	v_mad_u64_u32 v[19:20], null, 0xfe5163ab, v17, 0
	v_cmp_lt_u32_e32 vcc_lo, 63, v18
	v_cndmask_b32_e64 v25, 0, 0xffffffc0, vcc_lo
	s_delay_alu instid0(VALU_DEP_3) | instskip(NEXT) | instid1(VALU_DEP_2)
	v_mov_b32_e32 v12, v20
	v_add_nc_u32_e32 v18, v25, v18
	s_delay_alu instid0(VALU_DEP_2) | instskip(NEXT) | instid1(VALU_DEP_2)
	v_mad_u64_u32 v[20:21], null, 0x3c439041, v17, v[12:13]
	v_cmp_lt_u32_e64 s2, 31, v18
	s_delay_alu instid0(VALU_DEP_2) | instskip(NEXT) | instid1(VALU_DEP_2)
	v_mov_b32_e32 v12, v21
	v_cndmask_b32_e64 v26, 0, 0xffffffe0, s2
	s_delay_alu instid0(VALU_DEP_2) | instskip(NEXT) | instid1(VALU_DEP_2)
	v_mad_u64_u32 v[21:22], null, 0xdb629599, v17, v[12:13]
	v_add_nc_u32_e32 v18, v26, v18
	s_delay_alu instid0(VALU_DEP_1) | instskip(NEXT) | instid1(VALU_DEP_3)
	v_cmp_lt_u32_e64 s3, 31, v18
	v_dual_mov_b32 v12, v22 :: v_dual_cndmask_b32 v19, v21, v19
	s_delay_alu instid0(VALU_DEP_1) | instskip(NEXT) | instid1(VALU_DEP_1)
	v_mad_u64_u32 v[22:23], null, 0xf534ddc0, v17, v[12:13]
	v_mov_b32_e32 v12, v23
	s_delay_alu instid0(VALU_DEP_1) | instskip(NEXT) | instid1(VALU_DEP_1)
	v_mad_u64_u32 v[23:24], null, 0xfc2757d1, v17, v[12:13]
	v_mov_b32_e32 v12, v24
	;; [unrolled: 3-line block ×3, first 2 shown]
	s_delay_alu instid0(VALU_DEP_1) | instskip(SKIP_1) | instid1(VALU_DEP_4)
	v_mad_u64_u32 v[25:26], null, 0xa2f9836e, v17, v[12:13]
	v_cndmask_b32_e64 v12, 0, 0xffffffe0, s3
	v_cndmask_b32_e32 v17, v24, v22, vcc_lo
	s_delay_alu instid0(VALU_DEP_2) | instskip(NEXT) | instid1(VALU_DEP_4)
	v_dual_cndmask_b32 v25, v25, v23 :: v_dual_add_nc_u32 v12, v12, v18
	v_dual_cndmask_b32 v24, v26, v24 :: v_dual_cndmask_b32 v23, v23, v21
	v_cndmask_b32_e32 v18, v22, v20, vcc_lo
	s_delay_alu instid0(VALU_DEP_3) | instskip(NEXT) | instid1(VALU_DEP_4)
	v_cmp_eq_u32_e64 s4, 0, v12
	v_cndmask_b32_e64 v20, v25, v17, s2
	s_delay_alu instid0(VALU_DEP_4)
	v_cndmask_b32_e64 v22, v24, v25, s2
	v_cndmask_b32_e64 v17, v17, v23, s2
	v_sub_nc_u32_e32 v24, 32, v12
	v_cndmask_b32_e64 v23, v23, v18, s2
	v_cndmask_b32_e64 v18, v18, v19, s2
	;; [unrolled: 1-line block ×4, first 2 shown]
	s_delay_alu instid0(VALU_DEP_4) | instskip(NEXT) | instid1(VALU_DEP_4)
	v_cndmask_b32_e64 v17, v17, v23, s3
	v_cndmask_b32_e64 v18, v23, v18, s3
	s_delay_alu instid0(VALU_DEP_3) | instskip(NEXT) | instid1(VALU_DEP_3)
	v_alignbit_b32 v25, v22, v20, v24
	v_alignbit_b32 v26, v20, v17, v24
	s_delay_alu instid0(VALU_DEP_3) | instskip(NEXT) | instid1(VALU_DEP_3)
	v_alignbit_b32 v24, v17, v18, v24
	v_cndmask_b32_e64 v12, v25, v22, s4
	s_delay_alu instid0(VALU_DEP_3) | instskip(NEXT) | instid1(VALU_DEP_3)
	v_cndmask_b32_e64 v20, v26, v20, s4
	v_cndmask_b32_e64 v17, v24, v17, s4
	s_delay_alu instid0(VALU_DEP_3) | instskip(NEXT) | instid1(VALU_DEP_3)
	v_bfe_u32 v21, v12, 29, 1
	v_alignbit_b32 v19, v12, v20, 30
	s_delay_alu instid0(VALU_DEP_3) | instskip(SKIP_1) | instid1(VALU_DEP_4)
	v_alignbit_b32 v20, v20, v17, 30
	v_alignbit_b32 v17, v17, v18, 30
	v_sub_nc_u32_e32 v22, 0, v21
	s_delay_alu instid0(VALU_DEP_1) | instskip(SKIP_3) | instid1(VALU_DEP_4)
	v_xor_b32_e32 v23, v19, v22
	v_cmp_ne_u32_e32 vcc_lo, v19, v22
	v_xor_b32_e32 v18, v20, v22
	v_xor_b32_e32 v17, v17, v22
	v_clz_i32_u32_e32 v25, v23
	s_delay_alu instid0(VALU_DEP_1) | instskip(NEXT) | instid1(VALU_DEP_1)
	v_add_nc_u32_e32 v24, 1, v25
	v_cndmask_b32_e32 v19, 33, v24, vcc_lo
	s_delay_alu instid0(VALU_DEP_1) | instskip(NEXT) | instid1(VALU_DEP_1)
	v_sub_nc_u32_e32 v20, 32, v19
	v_alignbit_b32 v22, v23, v18, v20
	v_alignbit_b32 v17, v18, v17, v20
	v_lshrrev_b32_e32 v18, 29, v12
	s_delay_alu instid0(VALU_DEP_2) | instskip(NEXT) | instid1(VALU_DEP_2)
	v_alignbit_b32 v20, v22, v17, 9
	v_lshlrev_b32_e32 v18, 31, v18
	v_alignbit_b32 v22, v19, v22, 9
	s_delay_alu instid0(VALU_DEP_3) | instskip(NEXT) | instid1(VALU_DEP_2)
	v_clz_i32_u32_e32 v23, v20
	v_or_b32_e32 v22, v22, v18
	v_or_b32_e32 v18, 0x33800000, v18
	s_delay_alu instid0(VALU_DEP_3) | instskip(NEXT) | instid1(VALU_DEP_3)
	v_min_u32_e32 v23, 32, v23
	v_xor_b32_e32 v22, 1.0, v22
	s_delay_alu instid0(VALU_DEP_2) | instskip(SKIP_1) | instid1(VALU_DEP_3)
	v_sub_nc_u32_e32 v24, 31, v23
	v_add_lshl_u32 v19, v23, v19, 23
	v_mul_f32_e32 v23, 0x3fc90fda, v22
	s_delay_alu instid0(VALU_DEP_3) | instskip(NEXT) | instid1(VALU_DEP_3)
	v_alignbit_b32 v17, v20, v17, v24
	v_sub_nc_u32_e32 v18, v18, v19
	s_delay_alu instid0(VALU_DEP_3) | instskip(NEXT) | instid1(VALU_DEP_3)
	v_fma_f32 v19, 0x3fc90fda, v22, -v23
                                        ; implicit-def: $vgpr20
	v_lshrrev_b32_e32 v17, 9, v17
	s_delay_alu instid0(VALU_DEP_2) | instskip(NEXT) | instid1(VALU_DEP_2)
	v_fmac_f32_e32 v19, 0x33a22168, v22
	v_or_b32_e32 v17, v18, v17
	s_delay_alu instid0(VALU_DEP_1) | instskip(SKIP_1) | instid1(VALU_DEP_1)
	v_fmac_f32_e32 v19, 0x3fc90fda, v17
	v_lshrrev_b32_e32 v17, 30, v12
	v_dual_add_f32 v12, v23, v19 :: v_dual_add_nc_u32 v19, v21, v17
	s_and_not1_saveexec_b32 s2, s29
	s_cbranch_execnz .LBB249_95
	s_branch .LBB249_96
.LBB249_94:                             ;   in Loop: Header=BB249_4 Depth=1
	s_and_not1_saveexec_b32 s2, s29
.LBB249_95:                             ;   in Loop: Header=BB249_4 Depth=1
	v_fma_f32 v12, 0xbfc90fda, v20, |v10|
	v_cvt_i32_f32_e32 v19, v20
	s_delay_alu instid0(VALU_DEP_2) | instskip(NEXT) | instid1(VALU_DEP_1)
	v_fmac_f32_e32 v12, 0xb3a22168, v20
	v_fmac_f32_e32 v12, 0xa7c234c4, v20
.LBB249_96:                             ;   in Loop: Header=BB249_4 Depth=1
	s_or_b32 exec_lo, exec_lo, s2
	s_delay_alu instid0(VALU_DEP_1) | instskip(SKIP_3) | instid1(VALU_DEP_4)
	v_mul_f32_e32 v18, v12, v12
	v_dual_mul_f32 v17, v8, v8 :: v_dual_and_b32 v20, 1, v9
	v_lshlrev_b32_e32 v9, 30, v9
	v_and_b32_e32 v25, 1, v19
	v_fmaak_f32 v23, s24, v18, 0x3c0881c4
	v_dual_fmaak_f32 v24, s25, v18, 0xbab64f3b :: v_dual_lshlrev_b32 v19, 30, v19
	v_fmaak_f32 v22, s25, v17, 0xbab64f3b
	v_cmp_eq_u32_e32 vcc_lo, 0, v20
	s_delay_alu instid0(VALU_DEP_4) | instskip(NEXT) | instid1(VALU_DEP_4)
	v_fmaak_f32 v23, v18, v23, 0xbe2aaa9d
	v_fmaak_f32 v24, v18, v24, 0x3d2aabf7
	v_and_b32_e32 v9, 0x80000000, v9
	v_fmaak_f32 v22, v17, v22, 0x3d2aabf7
	v_and_or_b32 v7, 0x80000000, v19, v7
	v_mul_f32_e32 v23, v18, v23
	v_fmaak_f32 v21, s24, v17, 0x3c0881c4
	v_fmaak_f32 v24, v18, v24, 0xbf000004
	;; [unrolled: 1-line block ×3, first 2 shown]
	s_delay_alu instid0(VALU_DEP_4) | instskip(NEXT) | instid1(VALU_DEP_3)
	v_fmac_f32_e32 v12, v12, v23
	v_fma_f32 v18, v18, v24, 1.0
	v_fmaak_f32 v21, v17, v21, 0xbe2aaa9d
	s_delay_alu instid0(VALU_DEP_1) | instskip(SKIP_1) | instid1(VALU_DEP_2)
	v_mul_f32_e32 v21, v17, v21
	v_fma_f32 v17, v17, v22, 1.0
	v_fmac_f32_e32 v8, v8, v21
	s_delay_alu instid0(VALU_DEP_1) | instskip(SKIP_1) | instid1(VALU_DEP_2)
	v_cndmask_b32_e64 v8, -v8, v17, vcc_lo
	v_cmp_eq_u32_e32 vcc_lo, 0, v25
	v_xor_b32_e32 v8, v9, v8
	v_cndmask_b32_e32 v12, v18, v12, vcc_lo
	v_cmp_class_f32_e64 vcc_lo, v10, 0x1f8
	s_delay_alu instid0(VALU_DEP_2) | instskip(NEXT) | instid1(VALU_DEP_4)
	v_xor3_b32 v7, v7, v12, v11
	v_cndmask_b32_e32 v12, 0x7fc00000, v8, vcc_lo
	s_delay_alu instid0(VALU_DEP_2)
	v_cndmask_b32_e32 v11, 0x7fc00000, v7, vcc_lo
.LBB249_97:                             ;   in Loop: Header=BB249_4 Depth=1
	s_or_b32 exec_lo, exec_lo, s28
                                        ; implicit-def: $vgpr7_vgpr8_vgpr9_vgpr10
.LBB249_98:                             ;   in Loop: Header=BB249_4 Depth=1
	s_and_not1_saveexec_b32 s2, s27
	s_cbranch_execz .LBB249_100
; %bb.99:                               ;   in Loop: Header=BB249_4 Depth=1
	v_mul_f32_e32 v7, 0xbfb8aa3b, v9
	v_cmp_nlt_f32_e32 vcc_lo, 0x42ce8ed0, v9
	s_delay_alu instid0(VALU_DEP_2) | instskip(SKIP_1) | instid1(VALU_DEP_1)
	v_rndne_f32_e32 v8, v7
	v_fma_f32 v10, 0xbfb8aa3b, v9, -v7
	v_dual_sub_f32 v7, v7, v8 :: v_dual_fmac_f32 v10, 0xb2a5705f, v9
	v_cvt_i32_f32_e32 v8, v8
	s_delay_alu instid0(VALU_DEP_2) | instskip(NEXT) | instid1(VALU_DEP_1)
	v_add_f32_e32 v7, v7, v10
	v_exp_f32_e32 v7, v7
	s_waitcnt_depctr 0xfff
	v_ldexp_f32 v7, v7, v8
	s_delay_alu instid0(VALU_DEP_1) | instskip(SKIP_1) | instid1(VALU_DEP_2)
	v_cndmask_b32_e32 v7, 0, v7, vcc_lo
	v_cmp_ngt_f32_e32 vcc_lo, 0xc2b17218, v9
	v_cndmask_b32_e32 v12, 0x7f800000, v7, vcc_lo
.LBB249_100:                            ;   in Loop: Header=BB249_4 Depth=1
	s_or_b32 exec_lo, exec_lo, s2
	s_delay_alu instid0(VALU_DEP_1) | instskip(SKIP_1) | instid1(VALU_DEP_1)
	v_dual_add_f32 v10, s8, v12 :: v_dual_add_f32 v9, s9, v11
	s_mov_b32 s2, exec_lo
	v_cmp_gt_f32_e32 vcc_lo, 0, v10
	v_cndmask_b32_e64 v11, v10, -v10, vcc_lo
	s_delay_alu instid0(VALU_DEP_3) | instskip(SKIP_1) | instid1(VALU_DEP_1)
	v_cmp_gt_f32_e32 vcc_lo, 0, v9
	v_cndmask_b32_e64 v12, v9, -v9, vcc_lo
	v_cmpx_ge_f32_e32 v11, v12
	s_xor_b32 s3, exec_lo, s2
	s_cbranch_execz .LBB249_106
; %bb.101:                              ;   in Loop: Header=BB249_4 Depth=1
	v_cmp_neq_f32_e32 vcc_lo, 0, v10
	v_cmp_neq_f32_e64 s2, 0, v9
	s_delay_alu instid0(VALU_DEP_1) | instskip(NEXT) | instid1(SALU_CYCLE_1)
	s_or_b32 s2, vcc_lo, s2
	s_and_saveexec_b32 s4, s2
	s_delay_alu instid0(SALU_CYCLE_1)
	s_xor_b32 s2, exec_lo, s4
	s_cbranch_execz .LBB249_103
; %bb.102:                              ;   in Loop: Header=BB249_4 Depth=1
	v_div_scale_f32 v7, null, v10, v10, v9
	v_div_scale_f32 v12, vcc_lo, v9, v10, v9
	s_delay_alu instid0(VALU_DEP_2) | instskip(SKIP_2) | instid1(VALU_DEP_1)
	v_rcp_f32_e32 v8, v7
	s_waitcnt_depctr 0xfff
	v_fma_f32 v11, -v7, v8, 1.0
	v_fmac_f32_e32 v8, v11, v8
	s_delay_alu instid0(VALU_DEP_1) | instskip(NEXT) | instid1(VALU_DEP_1)
	v_mul_f32_e32 v11, v12, v8
	v_fma_f32 v17, -v7, v11, v12
	s_delay_alu instid0(VALU_DEP_1) | instskip(NEXT) | instid1(VALU_DEP_1)
	v_fmac_f32_e32 v11, v17, v8
	v_fma_f32 v7, -v7, v11, v12
	s_delay_alu instid0(VALU_DEP_1) | instskip(NEXT) | instid1(VALU_DEP_1)
	v_div_fmas_f32 v7, v7, v8, v11
	v_div_fixup_f32 v7, v7, v10, v9
	s_delay_alu instid0(VALU_DEP_1) | instskip(NEXT) | instid1(VALU_DEP_1)
	v_fmac_f32_e32 v10, v9, v7
	v_div_scale_f32 v8, null, v10, v10, 1.0
	v_div_scale_f32 v12, vcc_lo, 1.0, v10, 1.0
	s_delay_alu instid0(VALU_DEP_2) | instskip(SKIP_2) | instid1(VALU_DEP_1)
	v_rcp_f32_e32 v9, v8
	s_waitcnt_depctr 0xfff
	v_fma_f32 v11, -v8, v9, 1.0
	v_fmac_f32_e32 v9, v11, v9
	s_delay_alu instid0(VALU_DEP_1) | instskip(NEXT) | instid1(VALU_DEP_1)
	v_mul_f32_e32 v11, v12, v9
	v_fma_f32 v17, -v8, v11, v12
	s_delay_alu instid0(VALU_DEP_1) | instskip(NEXT) | instid1(VALU_DEP_1)
	v_fmac_f32_e32 v11, v17, v9
	v_fma_f32 v8, -v8, v11, v12
                                        ; implicit-def: $vgpr12
	s_delay_alu instid0(VALU_DEP_1) | instskip(SKIP_1) | instid1(VALU_DEP_2)
	v_div_fmas_f32 v8, v8, v9, v11
	v_fma_f32 v9, v7, s9, s8
                                        ; implicit-def: $vgpr11
	v_div_fixup_f32 v8, v8, v10, 1.0
	v_fma_f32 v10, -v7, s8, s9
	s_delay_alu instid0(VALU_DEP_2) | instskip(NEXT) | instid1(VALU_DEP_2)
	v_mul_f32_e32 v7, v9, v8
	v_mul_f32_e32 v8, v10, v8
.LBB249_103:                            ;   in Loop: Header=BB249_4 Depth=1
	s_and_not1_saveexec_b32 s4, s2
	s_cbranch_execz .LBB249_105
; %bb.104:                              ;   in Loop: Header=BB249_4 Depth=1
	v_div_scale_f32 v7, null, v11, v11, s8
	v_div_scale_f32 v8, null, v12, v12, s9
	v_div_scale_f32 v19, vcc_lo, s8, v11, s8
	s_delay_alu instid0(VALU_DEP_3) | instskip(NEXT) | instid1(VALU_DEP_2)
	v_rcp_f32_e32 v9, v7
	v_rcp_f32_e32 v10, v8
	s_waitcnt_depctr 0xfff
	v_fma_f32 v17, -v7, v9, 1.0
	v_fma_f32 v18, -v8, v10, 1.0
	s_delay_alu instid0(VALU_DEP_1) | instskip(SKIP_1) | instid1(VALU_DEP_2)
	v_dual_fmac_f32 v9, v17, v9 :: v_dual_fmac_f32 v10, v18, v10
	v_div_scale_f32 v17, s2, s9, v12, s9
	v_mul_f32_e32 v18, v19, v9
	s_delay_alu instid0(VALU_DEP_2) | instskip(NEXT) | instid1(VALU_DEP_2)
	v_mul_f32_e32 v20, v17, v10
	v_fma_f32 v21, -v7, v18, v19
	s_delay_alu instid0(VALU_DEP_2) | instskip(NEXT) | instid1(VALU_DEP_2)
	v_fma_f32 v22, -v8, v20, v17
	v_fmac_f32_e32 v18, v21, v9
	s_delay_alu instid0(VALU_DEP_2) | instskip(NEXT) | instid1(VALU_DEP_2)
	v_fmac_f32_e32 v20, v22, v10
	v_fma_f32 v7, -v7, v18, v19
	s_delay_alu instid0(VALU_DEP_2) | instskip(NEXT) | instid1(VALU_DEP_2)
	v_fma_f32 v8, -v8, v20, v17
	v_div_fmas_f32 v7, v7, v9, v18
	s_mov_b32 vcc_lo, s2
	s_delay_alu instid0(VALU_DEP_2) | instskip(NEXT) | instid1(VALU_DEP_2)
	v_div_fmas_f32 v8, v8, v10, v20
	v_div_fixup_f32 v7, v7, v11, s8
	s_delay_alu instid0(VALU_DEP_2)
	v_div_fixup_f32 v8, v8, v12, s9
.LBB249_105:                            ;   in Loop: Header=BB249_4 Depth=1
	s_or_b32 exec_lo, exec_lo, s4
                                        ; implicit-def: $vgpr9
                                        ; implicit-def: $vgpr10
.LBB249_106:                            ;   in Loop: Header=BB249_4 Depth=1
	s_and_not1_saveexec_b32 s2, s3
	s_cbranch_execz .LBB249_108
; %bb.107:                              ;   in Loop: Header=BB249_4 Depth=1
	v_div_scale_f32 v7, null, v9, v9, v10
	v_div_scale_f32 v12, vcc_lo, v10, v9, v10
	s_delay_alu instid0(VALU_DEP_2) | instskip(SKIP_2) | instid1(VALU_DEP_1)
	v_rcp_f32_e32 v8, v7
	s_waitcnt_depctr 0xfff
	v_fma_f32 v11, -v7, v8, 1.0
	v_fmac_f32_e32 v8, v11, v8
	s_delay_alu instid0(VALU_DEP_1) | instskip(NEXT) | instid1(VALU_DEP_1)
	v_mul_f32_e32 v11, v12, v8
	v_fma_f32 v17, -v7, v11, v12
	s_delay_alu instid0(VALU_DEP_1) | instskip(NEXT) | instid1(VALU_DEP_1)
	v_fmac_f32_e32 v11, v17, v8
	v_fma_f32 v7, -v7, v11, v12
	s_delay_alu instid0(VALU_DEP_1) | instskip(NEXT) | instid1(VALU_DEP_1)
	v_div_fmas_f32 v7, v7, v8, v11
	v_div_fixup_f32 v7, v7, v9, v10
	s_delay_alu instid0(VALU_DEP_1) | instskip(NEXT) | instid1(VALU_DEP_1)
	v_fmac_f32_e32 v9, v10, v7
	v_div_scale_f32 v8, null, v9, v9, 1.0
	v_div_scale_f32 v12, vcc_lo, 1.0, v9, 1.0
	s_delay_alu instid0(VALU_DEP_2) | instskip(SKIP_2) | instid1(VALU_DEP_1)
	v_rcp_f32_e32 v10, v8
	s_waitcnt_depctr 0xfff
	v_fma_f32 v11, -v8, v10, 1.0
	v_fmac_f32_e32 v10, v11, v10
	s_delay_alu instid0(VALU_DEP_1) | instskip(NEXT) | instid1(VALU_DEP_1)
	v_mul_f32_e32 v11, v12, v10
	v_fma_f32 v17, -v8, v11, v12
	s_delay_alu instid0(VALU_DEP_1) | instskip(NEXT) | instid1(VALU_DEP_1)
	v_fmac_f32_e32 v11, v17, v10
	v_fma_f32 v8, -v8, v11, v12
	s_delay_alu instid0(VALU_DEP_1) | instskip(SKIP_1) | instid1(VALU_DEP_2)
	v_div_fmas_f32 v8, v8, v10, v11
	v_fma_f32 v10, v7, s8, s9
	v_div_fixup_f32 v8, v8, v9, 1.0
	v_fma_f32 v9, v7, s9, -s8
	s_delay_alu instid0(VALU_DEP_2) | instskip(NEXT) | instid1(VALU_DEP_2)
	v_mul_f32_e32 v7, v10, v8
	v_mul_f32_e32 v8, v9, v8
.LBB249_108:                            ;   in Loop: Header=BB249_4 Depth=1
	s_or_b32 exec_lo, exec_lo, s2
	s_waitcnt vmcnt(0)
	v_and_b32_e32 v10, 0x7fffffff, v2
	v_xor_b32_e32 v9, 0x80000000, v2
                                        ; implicit-def: $vgpr11
	s_mov_b32 s2, exec_lo
	s_delay_alu instid0(VALU_DEP_2)
	v_cmpx_ne_u32_e32 0, v10
	s_xor_b32 s27, exec_lo, s2
	s_cbranch_execz .LBB249_150
; %bb.109:                              ;   in Loop: Header=BB249_4 Depth=1
	v_and_b32_e32 v17, 0x7fffffff, v1
                                        ; implicit-def: $vgpr11
	s_mov_b32 s2, exec_lo
	s_delay_alu instid0(VALU_DEP_1)
	v_cmpx_ne_u32_e32 0, v17
	s_xor_b32 s28, exec_lo, s2
	s_cbranch_execz .LBB249_139
; %bb.110:                              ;   in Loop: Header=BB249_4 Depth=1
	v_xor_b32_e32 v12, 0x80000000, v1
                                        ; implicit-def: $vgpr11
	s_mov_b32 s2, exec_lo
	v_cmpx_gt_u32_e32 0x7f800000, v10
	s_xor_b32 s29, exec_lo, s2
	s_cbranch_execz .LBB249_132
; %bb.111:                              ;   in Loop: Header=BB249_4 Depth=1
	v_add_nc_u32_e32 v11, 0xbd4e8de8, v12
	s_delay_alu instid0(VALU_DEP_1) | instskip(SKIP_1) | instid1(SALU_CYCLE_1)
	v_cmp_lt_u32_e32 vcc_lo, 0x8e8e5c, v11
                                        ; implicit-def: $vgpr11
	s_and_saveexec_b32 s2, vcc_lo
	s_xor_b32 s30, exec_lo, s2
	s_cbranch_execz .LBB249_121
; %bb.112:                              ;   in Loop: Header=BB249_4 Depth=1
	v_cmp_ngt_f32_e64 s31, 0x48000000, |v2|
                                        ; implicit-def: $vgpr17
                                        ; implicit-def: $vgpr11
	s_delay_alu instid0(VALU_DEP_1) | instskip(NEXT) | instid1(SALU_CYCLE_1)
	s_and_saveexec_b32 s2, s31
	s_xor_b32 s33, exec_lo, s2
	s_cbranch_execz .LBB249_114
; %bb.113:                              ;   in Loop: Header=BB249_4 Depth=1
	v_and_or_b32 v24, v10, s23, 0x800000
	v_lshrrev_b32_e32 v21, 23, v10
	s_delay_alu instid0(VALU_DEP_2) | instskip(NEXT) | instid1(VALU_DEP_2)
	v_mad_u64_u32 v[11:12], null, 0xfe5163ab, v24, 0
	v_add_nc_u32_e32 v22, 0xffffff88, v21
	s_delay_alu instid0(VALU_DEP_1) | instskip(NEXT) | instid1(VALU_DEP_3)
	v_cmp_lt_u32_e32 vcc_lo, 63, v22
	v_mad_u64_u32 v[17:18], null, 0x3c439041, v24, v[12:13]
	v_cndmask_b32_e64 v23, 0, 0xffffffc0, vcc_lo
	s_delay_alu instid0(VALU_DEP_1) | instskip(NEXT) | instid1(VALU_DEP_1)
	v_dual_mov_b32 v12, v18 :: v_dual_add_nc_u32 v23, v23, v22
	v_mad_u64_u32 v[18:19], null, 0xdb629599, v24, v[12:13]
	s_delay_alu instid0(VALU_DEP_2) | instskip(NEXT) | instid1(VALU_DEP_1)
	v_cmp_lt_u32_e64 s2, 31, v23
	v_cndmask_b32_e64 v25, 0, 0xffffffe0, s2
	s_delay_alu instid0(VALU_DEP_3) | instskip(NEXT) | instid1(VALU_DEP_2)
	v_dual_mov_b32 v12, v19 :: v_dual_cndmask_b32 v11, v18, v11
	v_add_nc_u32_e32 v25, v25, v23
	s_delay_alu instid0(VALU_DEP_2) | instskip(NEXT) | instid1(VALU_DEP_2)
	v_mad_u64_u32 v[19:20], null, 0xf534ddc0, v24, v[12:13]
	v_cmp_lt_u32_e64 s3, 31, v25
	s_delay_alu instid0(VALU_DEP_2) | instskip(NEXT) | instid1(VALU_DEP_1)
	v_dual_mov_b32 v12, v20 :: v_dual_cndmask_b32 v17, v19, v17
	v_mad_u64_u32 v[20:21], null, 0xfc2757d1, v24, v[12:13]
	s_delay_alu instid0(VALU_DEP_2) | instskip(NEXT) | instid1(VALU_DEP_2)
	v_cndmask_b32_e64 v11, v17, v11, s2
	v_mov_b32_e32 v12, v21
	s_delay_alu instid0(VALU_DEP_1) | instskip(NEXT) | instid1(VALU_DEP_1)
	v_mad_u64_u32 v[21:22], null, 0x4e441529, v24, v[12:13]
	v_mov_b32_e32 v12, v22
	s_delay_alu instid0(VALU_DEP_1) | instskip(SKIP_1) | instid1(VALU_DEP_4)
	v_mad_u64_u32 v[22:23], null, 0xa2f9836e, v24, v[12:13]
	v_cndmask_b32_e64 v12, 0, 0xffffffe0, s3
	v_cndmask_b32_e32 v24, v21, v19, vcc_lo
	s_delay_alu instid0(VALU_DEP_2) | instskip(NEXT) | instid1(VALU_DEP_4)
	v_add_nc_u32_e32 v12, v12, v25
	v_dual_cndmask_b32 v22, v22, v20 :: v_dual_cndmask_b32 v21, v23, v21
	v_cndmask_b32_e32 v20, v20, v18, vcc_lo
	s_delay_alu instid0(VALU_DEP_3) | instskip(NEXT) | instid1(VALU_DEP_3)
	v_sub_nc_u32_e32 v23, 32, v12
	v_cndmask_b32_e64 v19, v22, v24, s2
	s_delay_alu instid0(VALU_DEP_4) | instskip(NEXT) | instid1(VALU_DEP_4)
	v_cndmask_b32_e64 v21, v21, v22, s2
	v_cndmask_b32_e64 v22, v24, v20, s2
	;; [unrolled: 1-line block ×3, first 2 shown]
	v_cmp_eq_u32_e64 s4, 0, v12
	s_delay_alu instid0(VALU_DEP_4) | instskip(NEXT) | instid1(VALU_DEP_4)
	v_cndmask_b32_e64 v21, v21, v19, s3
	v_cndmask_b32_e64 v19, v19, v22, s3
	s_delay_alu instid0(VALU_DEP_4) | instskip(SKIP_1) | instid1(VALU_DEP_3)
	v_cndmask_b32_e64 v22, v22, v20, s3
	v_cndmask_b32_e64 v11, v20, v11, s3
	v_alignbit_b32 v24, v21, v19, v23
	s_delay_alu instid0(VALU_DEP_3) | instskip(NEXT) | instid1(VALU_DEP_3)
	v_alignbit_b32 v25, v19, v22, v23
	v_alignbit_b32 v23, v22, v11, v23
	s_delay_alu instid0(VALU_DEP_3) | instskip(NEXT) | instid1(VALU_DEP_3)
	v_cndmask_b32_e64 v12, v24, v21, s4
	v_cndmask_b32_e64 v18, v25, v19, s4
	s_delay_alu instid0(VALU_DEP_3) | instskip(NEXT) | instid1(VALU_DEP_3)
	v_cndmask_b32_e64 v22, v23, v22, s4
	v_bfe_u32 v19, v12, 29, 1
	s_delay_alu instid0(VALU_DEP_3) | instskip(NEXT) | instid1(VALU_DEP_3)
	v_alignbit_b32 v17, v12, v18, 30
	v_alignbit_b32 v18, v18, v22, 30
	;; [unrolled: 1-line block ×3, first 2 shown]
	s_delay_alu instid0(VALU_DEP_4) | instskip(NEXT) | instid1(VALU_DEP_1)
	v_sub_nc_u32_e32 v21, 0, v19
	v_xor_b32_e32 v20, v17, v21
	v_cmp_ne_u32_e32 vcc_lo, v17, v21
	v_xor_b32_e32 v18, v18, v21
	v_xor_b32_e32 v11, v11, v21
	s_delay_alu instid0(VALU_DEP_4) | instskip(NEXT) | instid1(VALU_DEP_1)
	v_clz_i32_u32_e32 v24, v20
	v_add_nc_u32_e32 v23, 1, v24
	s_delay_alu instid0(VALU_DEP_1) | instskip(NEXT) | instid1(VALU_DEP_1)
	v_cndmask_b32_e32 v17, 33, v23, vcc_lo
	v_sub_nc_u32_e32 v22, 32, v17
	s_delay_alu instid0(VALU_DEP_1) | instskip(SKIP_3) | instid1(VALU_DEP_3)
	v_alignbit_b32 v20, v20, v18, v22
	v_alignbit_b32 v11, v18, v11, v22
	v_lshrrev_b32_e32 v18, 29, v12
	v_lshrrev_b32_e32 v12, 30, v12
	v_alignbit_b32 v21, v20, v11, 9
	s_delay_alu instid0(VALU_DEP_3) | instskip(SKIP_1) | instid1(VALU_DEP_3)
	v_lshlrev_b32_e32 v18, 31, v18
	v_alignbit_b32 v20, v17, v20, 9
	v_clz_i32_u32_e32 v22, v21
	s_delay_alu instid0(VALU_DEP_2) | instskip(SKIP_1) | instid1(VALU_DEP_3)
	v_or_b32_e32 v20, v20, v18
	v_or_b32_e32 v18, 0x33800000, v18
	v_min_u32_e32 v22, 32, v22
	s_delay_alu instid0(VALU_DEP_3) | instskip(NEXT) | instid1(VALU_DEP_2)
	v_xor_b32_e32 v20, 1.0, v20
	v_sub_nc_u32_e32 v23, 31, v22
	v_add_lshl_u32 v17, v22, v17, 23
	s_delay_alu instid0(VALU_DEP_3) | instskip(NEXT) | instid1(VALU_DEP_3)
	v_mul_f32_e32 v22, 0x3fc90fda, v20
	v_alignbit_b32 v11, v21, v11, v23
	s_delay_alu instid0(VALU_DEP_3) | instskip(NEXT) | instid1(VALU_DEP_3)
	v_sub_nc_u32_e32 v17, v18, v17
	v_fma_f32 v18, 0x3fc90fda, v20, -v22
	s_delay_alu instid0(VALU_DEP_3) | instskip(NEXT) | instid1(VALU_DEP_2)
	v_lshrrev_b32_e32 v11, 9, v11
	v_fmac_f32_e32 v18, 0x33a22168, v20
	s_delay_alu instid0(VALU_DEP_2) | instskip(NEXT) | instid1(VALU_DEP_1)
	v_or_b32_e32 v11, v17, v11
	v_dual_fmac_f32 v18, 0x3fc90fda, v11 :: v_dual_add_nc_u32 v17, v19, v12
	s_delay_alu instid0(VALU_DEP_1)
	v_add_f32_e32 v11, v22, v18
	s_and_not1_saveexec_b32 s2, s33
	s_branch .LBB249_115
.LBB249_114:                            ;   in Loop: Header=BB249_4 Depth=1
	s_and_not1_saveexec_b32 s2, s33
.LBB249_115:                            ;   in Loop: Header=BB249_4 Depth=1
	v_mul_f32_e64 v11, 0x3f22f983, |v2|
	s_delay_alu instid0(VALU_DEP_1) | instskip(NEXT) | instid1(VALU_DEP_1)
	v_rndne_f32_e32 v12, v11
	v_fma_f32 v11, 0xbfc90fda, v12, |v2|
	v_cvt_i32_f32_e32 v17, v12
	s_delay_alu instid0(VALU_DEP_2) | instskip(NEXT) | instid1(VALU_DEP_1)
	v_fmac_f32_e32 v11, 0xb3a22168, v12
	v_fmac_f32_e32 v11, 0xa7c234c4, v12
; %bb.116:                              ;   in Loop: Header=BB249_4 Depth=1
	s_or_b32 exec_lo, exec_lo, s2
                                        ; implicit-def: $vgpr18
                                        ; implicit-def: $vgpr12
	s_and_saveexec_b32 s2, s31
	s_delay_alu instid0(SALU_CYCLE_1)
	s_xor_b32 s31, exec_lo, s2
	s_cbranch_execz .LBB249_118
; %bb.117:                              ;   in Loop: Header=BB249_4 Depth=1
	v_lshrrev_b32_e32 v23, 23, v10
	v_and_or_b32 v26, v10, s23, 0x800000
	s_delay_alu instid0(VALU_DEP_2) | instskip(NEXT) | instid1(VALU_DEP_2)
	v_add_nc_u32_e32 v24, 0xffffff88, v23
	v_mad_u64_u32 v[18:19], null, 0xfe5163ab, v26, 0
	s_delay_alu instid0(VALU_DEP_2) | instskip(SKIP_1) | instid1(VALU_DEP_1)
	v_cmp_lt_u32_e32 vcc_lo, 63, v24
	v_cndmask_b32_e64 v25, 0, 0xffffffc0, vcc_lo
	v_dual_mov_b32 v12, v19 :: v_dual_add_nc_u32 v25, v25, v24
	s_delay_alu instid0(VALU_DEP_1) | instskip(NEXT) | instid1(VALU_DEP_2)
	v_mad_u64_u32 v[19:20], null, 0x3c439041, v26, v[12:13]
	v_cmp_lt_u32_e64 s2, 31, v25
	s_delay_alu instid0(VALU_DEP_1) | instskip(NEXT) | instid1(VALU_DEP_1)
	v_cndmask_b32_e64 v27, 0, 0xffffffe0, s2
	v_dual_mov_b32 v12, v20 :: v_dual_add_nc_u32 v27, v27, v25
	s_delay_alu instid0(VALU_DEP_1) | instskip(NEXT) | instid1(VALU_DEP_2)
	v_mad_u64_u32 v[20:21], null, 0xdb629599, v26, v[12:13]
	v_cmp_lt_u32_e64 s3, 31, v27
	s_delay_alu instid0(VALU_DEP_2) | instskip(NEXT) | instid1(VALU_DEP_3)
	v_mov_b32_e32 v12, v21
	v_cndmask_b32_e32 v18, v20, v18, vcc_lo
	s_delay_alu instid0(VALU_DEP_2) | instskip(NEXT) | instid1(VALU_DEP_1)
	v_mad_u64_u32 v[21:22], null, 0xf534ddc0, v26, v[12:13]
	v_dual_mov_b32 v12, v22 :: v_dual_cndmask_b32 v19, v21, v19
	s_delay_alu instid0(VALU_DEP_1) | instskip(NEXT) | instid1(VALU_DEP_2)
	v_mad_u64_u32 v[22:23], null, 0xfc2757d1, v26, v[12:13]
	v_cndmask_b32_e64 v18, v19, v18, s2
	s_delay_alu instid0(VALU_DEP_2) | instskip(NEXT) | instid1(VALU_DEP_1)
	v_mov_b32_e32 v12, v23
	v_mad_u64_u32 v[23:24], null, 0x4e441529, v26, v[12:13]
	s_delay_alu instid0(VALU_DEP_1) | instskip(NEXT) | instid1(VALU_DEP_1)
	v_mov_b32_e32 v12, v24
	v_mad_u64_u32 v[24:25], null, 0xa2f9836e, v26, v[12:13]
	v_cndmask_b32_e64 v12, 0, 0xffffffe0, s3
	s_delay_alu instid0(VALU_DEP_4) | instskip(NEXT) | instid1(VALU_DEP_2)
	v_cndmask_b32_e32 v26, v23, v21, vcc_lo
	v_add_nc_u32_e32 v12, v12, v27
	s_delay_alu instid0(VALU_DEP_4) | instskip(SKIP_1) | instid1(VALU_DEP_3)
	v_dual_cndmask_b32 v24, v24, v22 :: v_dual_cndmask_b32 v23, v25, v23
	v_cndmask_b32_e32 v22, v22, v20, vcc_lo
	v_sub_nc_u32_e32 v25, 32, v12
	s_delay_alu instid0(VALU_DEP_3) | instskip(NEXT) | instid1(VALU_DEP_4)
	v_cndmask_b32_e64 v21, v24, v26, s2
	v_cndmask_b32_e64 v23, v23, v24, s2
	s_delay_alu instid0(VALU_DEP_4) | instskip(SKIP_2) | instid1(VALU_DEP_4)
	v_cndmask_b32_e64 v24, v26, v22, s2
	v_cndmask_b32_e64 v22, v22, v19, s2
	v_cmp_eq_u32_e64 s4, 0, v12
	v_cndmask_b32_e64 v23, v23, v21, s3
	s_delay_alu instid0(VALU_DEP_4) | instskip(NEXT) | instid1(VALU_DEP_4)
	v_cndmask_b32_e64 v21, v21, v24, s3
	v_cndmask_b32_e64 v24, v24, v22, s3
	v_cndmask_b32_e64 v18, v22, v18, s3
	s_delay_alu instid0(VALU_DEP_3) | instskip(NEXT) | instid1(VALU_DEP_3)
	v_alignbit_b32 v26, v23, v21, v25
	v_alignbit_b32 v27, v21, v24, v25
	s_delay_alu instid0(VALU_DEP_3) | instskip(NEXT) | instid1(VALU_DEP_3)
	v_alignbit_b32 v25, v24, v18, v25
	v_cndmask_b32_e64 v12, v26, v23, s4
	s_delay_alu instid0(VALU_DEP_3) | instskip(NEXT) | instid1(VALU_DEP_3)
	v_cndmask_b32_e64 v20, v27, v21, s4
	v_cndmask_b32_e64 v24, v25, v24, s4
	s_delay_alu instid0(VALU_DEP_3) | instskip(NEXT) | instid1(VALU_DEP_3)
	v_bfe_u32 v21, v12, 29, 1
	v_alignbit_b32 v19, v12, v20, 30
	s_delay_alu instid0(VALU_DEP_3) | instskip(SKIP_1) | instid1(VALU_DEP_4)
	v_alignbit_b32 v20, v20, v24, 30
	v_alignbit_b32 v18, v24, v18, 30
	v_sub_nc_u32_e32 v23, 0, v21
	s_delay_alu instid0(VALU_DEP_1) | instskip(SKIP_3) | instid1(VALU_DEP_4)
	v_xor_b32_e32 v22, v19, v23
	v_cmp_ne_u32_e32 vcc_lo, v19, v23
	v_xor_b32_e32 v20, v20, v23
	v_xor_b32_e32 v18, v18, v23
	v_clz_i32_u32_e32 v26, v22
	s_delay_alu instid0(VALU_DEP_1) | instskip(NEXT) | instid1(VALU_DEP_1)
	v_add_nc_u32_e32 v25, 1, v26
	v_cndmask_b32_e32 v19, 33, v25, vcc_lo
	s_delay_alu instid0(VALU_DEP_1) | instskip(NEXT) | instid1(VALU_DEP_1)
	v_sub_nc_u32_e32 v24, 32, v19
	v_alignbit_b32 v22, v22, v20, v24
	v_alignbit_b32 v18, v20, v18, v24
	v_lshrrev_b32_e32 v20, 29, v12
	s_delay_alu instid0(VALU_DEP_2) | instskip(NEXT) | instid1(VALU_DEP_2)
	v_alignbit_b32 v23, v22, v18, 9
	v_lshlrev_b32_e32 v20, 31, v20
	v_alignbit_b32 v22, v19, v22, 9
	s_delay_alu instid0(VALU_DEP_3) | instskip(NEXT) | instid1(VALU_DEP_2)
	v_clz_i32_u32_e32 v24, v23
	v_or_b32_e32 v22, v22, v20
	v_or_b32_e32 v20, 0x33800000, v20
	s_delay_alu instid0(VALU_DEP_3) | instskip(NEXT) | instid1(VALU_DEP_3)
	v_min_u32_e32 v24, 32, v24
	v_xor_b32_e32 v22, 1.0, v22
	s_delay_alu instid0(VALU_DEP_2) | instskip(SKIP_1) | instid1(VALU_DEP_3)
	v_sub_nc_u32_e32 v25, 31, v24
	v_add_lshl_u32 v19, v24, v19, 23
	v_mul_f32_e32 v24, 0x3fc90fda, v22
	s_delay_alu instid0(VALU_DEP_3) | instskip(NEXT) | instid1(VALU_DEP_3)
	v_alignbit_b32 v18, v23, v18, v25
	v_sub_nc_u32_e32 v19, v20, v19
	s_delay_alu instid0(VALU_DEP_3) | instskip(NEXT) | instid1(VALU_DEP_3)
	v_fma_f32 v20, 0x3fc90fda, v22, -v24
	v_lshrrev_b32_e32 v18, 9, v18
	s_delay_alu instid0(VALU_DEP_2) | instskip(NEXT) | instid1(VALU_DEP_2)
	v_fmac_f32_e32 v20, 0x33a22168, v22
	v_or_b32_e32 v18, v19, v18
	s_delay_alu instid0(VALU_DEP_1) | instskip(SKIP_1) | instid1(VALU_DEP_2)
	v_fmac_f32_e32 v20, 0x3fc90fda, v18
	v_lshrrev_b32_e32 v18, 30, v12
	v_add_f32_e32 v12, v24, v20
	s_delay_alu instid0(VALU_DEP_2)
	v_add_nc_u32_e32 v18, v21, v18
	s_and_not1_saveexec_b32 s2, s31
	s_cbranch_execnz .LBB249_119
	s_branch .LBB249_120
.LBB249_118:                            ;   in Loop: Header=BB249_4 Depth=1
	s_and_not1_saveexec_b32 s2, s31
.LBB249_119:                            ;   in Loop: Header=BB249_4 Depth=1
	v_mul_f32_e64 v12, 0x3f22f983, |v2|
	s_delay_alu instid0(VALU_DEP_1) | instskip(NEXT) | instid1(VALU_DEP_1)
	v_rndne_f32_e32 v18, v12
	v_fma_f32 v12, 0xbfc90fda, v18, |v2|
	s_delay_alu instid0(VALU_DEP_1) | instskip(NEXT) | instid1(VALU_DEP_1)
	v_fmac_f32_e32 v12, 0xb3a22168, v18
	v_fmac_f32_e32 v12, 0xa7c234c4, v18
	v_cvt_i32_f32_e32 v18, v18
.LBB249_120:                            ;   in Loop: Header=BB249_4 Depth=1
	s_or_b32 exec_lo, exec_lo, s2
	v_dual_mul_f32 v19, 0xbfb8aa3b, v1 :: v_dual_mul_f32 v20, v11, v11
	s_delay_alu instid0(VALU_DEP_3) | instskip(SKIP_1) | instid1(VALU_DEP_3)
	v_dual_mul_f32 v24, v12, v12 :: v_dual_and_b32 v21, 1, v17
	v_lshlrev_b32_e32 v17, 30, v17
	v_rndne_f32_e32 v22, v19
	s_delay_alu instid0(VALU_DEP_4) | instskip(SKIP_3) | instid1(VALU_DEP_3)
	v_fmaak_f32 v26, s24, v20, 0x3c0881c4
	v_fma_f32 v23, 0xbfb8aa3b, v1, -v19
	v_dual_fmaak_f32 v28, s24, v24, 0x3c0881c4 :: v_dual_and_b32 v25, 1, v18
	v_dual_fmaak_f32 v27, s25, v20, 0xbab64f3b :: v_dual_lshlrev_b32 v18, 30, v18
	v_fmac_f32_e32 v23, 0xb2a5705f, v1
	v_sub_f32_e32 v19, v19, v22
	v_cmp_eq_u32_e32 vcc_lo, 0, v21
	v_cvt_i32_f32_e32 v22, v22
	v_and_b32_e32 v17, 0x80000000, v17
	v_and_or_b32 v10, 0x80000000, v18, v10
	v_add_f32_e32 v19, v19, v23
	v_fmaak_f32 v23, v20, v26, 0xbe2aaa9d
	v_fmaak_f32 v26, v20, v27, 0x3d2aabf7
	v_fmaak_f32 v27, v24, v28, 0xbe2aaa9d
	v_cmp_ngt_f32_e64 s2, 0xc2b17218, v1
	s_delay_alu instid0(VALU_DEP_4) | instskip(NEXT) | instid1(VALU_DEP_1)
	v_mul_f32_e32 v23, v20, v23
	v_dual_fmaak_f32 v26, v20, v26, 0xbf000004 :: v_dual_fmac_f32 v11, v11, v23
	s_delay_alu instid0(VALU_DEP_1) | instskip(NEXT) | instid1(VALU_DEP_1)
	v_fma_f32 v20, v20, v26, 1.0
	v_cndmask_b32_e64 v11, -v11, v20, vcc_lo
	v_cmp_eq_u32_e32 vcc_lo, 0, v25
	v_mul_f32_e32 v27, v24, v27
	v_fmaak_f32 v29, s25, v24, 0xbab64f3b
	s_delay_alu instid0(VALU_DEP_4) | instskip(NEXT) | instid1(VALU_DEP_3)
	v_xor_b32_e32 v11, v17, v11
	v_fmac_f32_e32 v12, v12, v27
	s_delay_alu instid0(VALU_DEP_3) | instskip(SKIP_1) | instid1(VALU_DEP_1)
	v_fmaak_f32 v28, v24, v29, 0x3d2aabf7
	v_exp_f32_e32 v19, v19
	v_fmaak_f32 v28, v24, v28, 0xbf000004
	s_delay_alu instid0(VALU_DEP_1) | instskip(SKIP_4) | instid1(VALU_DEP_2)
	v_fma_f32 v23, v24, v28, 1.0
	s_waitcnt_depctr 0xfff
	v_ldexp_f32 v19, v19, v22
	v_cndmask_b32_e32 v12, v23, v12, vcc_lo
	v_cmp_nlt_f32_e32 vcc_lo, 0x42ce8ed0, v1
	v_xor3_b32 v9, v10, v12, v9
	s_delay_alu instid0(VALU_DEP_4) | instskip(SKIP_1) | instid1(VALU_DEP_2)
	v_cndmask_b32_e32 v18, 0, v19, vcc_lo
	v_cmp_class_f32_e64 vcc_lo, v2, 0x1f8
	v_cndmask_b32_e64 v10, 0x7f800000, v18, s2
	v_cndmask_b32_e32 v11, 0x7fc00000, v11, vcc_lo
	v_cndmask_b32_e32 v9, 0x7fc00000, v9, vcc_lo
	s_delay_alu instid0(VALU_DEP_2) | instskip(NEXT) | instid1(VALU_DEP_2)
	v_mul_f32_e32 v11, v10, v11
	v_mul_f32_e32 v9, v10, v9
                                        ; implicit-def: $vgpr10
.LBB249_121:                            ;   in Loop: Header=BB249_4 Depth=1
	s_and_not1_saveexec_b32 s30, s30
	s_cbranch_execz .LBB249_131
; %bb.122:                              ;   in Loop: Header=BB249_4 Depth=1
	v_cmp_ngt_f32_e64 s31, 0x48000000, |v2|
                                        ; implicit-def: $vgpr17
                                        ; implicit-def: $vgpr11
	s_delay_alu instid0(VALU_DEP_1) | instskip(NEXT) | instid1(SALU_CYCLE_1)
	s_and_saveexec_b32 s2, s31
	s_xor_b32 s33, exec_lo, s2
	s_cbranch_execz .LBB249_124
; %bb.123:                              ;   in Loop: Header=BB249_4 Depth=1
	v_and_or_b32 v24, v10, s23, 0x800000
	v_lshrrev_b32_e32 v21, 23, v10
	s_delay_alu instid0(VALU_DEP_2) | instskip(NEXT) | instid1(VALU_DEP_2)
	v_mad_u64_u32 v[11:12], null, 0xfe5163ab, v24, 0
	v_add_nc_u32_e32 v22, 0xffffff88, v21
	s_delay_alu instid0(VALU_DEP_1) | instskip(NEXT) | instid1(VALU_DEP_3)
	v_cmp_lt_u32_e32 vcc_lo, 63, v22
	v_mad_u64_u32 v[17:18], null, 0x3c439041, v24, v[12:13]
	v_cndmask_b32_e64 v23, 0, 0xffffffc0, vcc_lo
	s_delay_alu instid0(VALU_DEP_1) | instskip(NEXT) | instid1(VALU_DEP_1)
	v_dual_mov_b32 v12, v18 :: v_dual_add_nc_u32 v23, v23, v22
	v_mad_u64_u32 v[18:19], null, 0xdb629599, v24, v[12:13]
	s_delay_alu instid0(VALU_DEP_2) | instskip(NEXT) | instid1(VALU_DEP_1)
	v_cmp_lt_u32_e64 s2, 31, v23
	v_cndmask_b32_e64 v25, 0, 0xffffffe0, s2
	s_delay_alu instid0(VALU_DEP_3) | instskip(NEXT) | instid1(VALU_DEP_2)
	v_dual_mov_b32 v12, v19 :: v_dual_cndmask_b32 v11, v18, v11
	v_add_nc_u32_e32 v25, v25, v23
	s_delay_alu instid0(VALU_DEP_2) | instskip(NEXT) | instid1(VALU_DEP_2)
	v_mad_u64_u32 v[19:20], null, 0xf534ddc0, v24, v[12:13]
	v_cmp_lt_u32_e64 s3, 31, v25
	s_delay_alu instid0(VALU_DEP_2) | instskip(NEXT) | instid1(VALU_DEP_1)
	v_dual_mov_b32 v12, v20 :: v_dual_cndmask_b32 v17, v19, v17
	v_mad_u64_u32 v[20:21], null, 0xfc2757d1, v24, v[12:13]
	s_delay_alu instid0(VALU_DEP_2) | instskip(NEXT) | instid1(VALU_DEP_2)
	v_cndmask_b32_e64 v11, v17, v11, s2
	v_mov_b32_e32 v12, v21
	s_delay_alu instid0(VALU_DEP_1) | instskip(NEXT) | instid1(VALU_DEP_1)
	v_mad_u64_u32 v[21:22], null, 0x4e441529, v24, v[12:13]
	v_mov_b32_e32 v12, v22
	s_delay_alu instid0(VALU_DEP_1) | instskip(SKIP_1) | instid1(VALU_DEP_4)
	v_mad_u64_u32 v[22:23], null, 0xa2f9836e, v24, v[12:13]
	v_cndmask_b32_e64 v12, 0, 0xffffffe0, s3
	v_cndmask_b32_e32 v24, v21, v19, vcc_lo
	s_delay_alu instid0(VALU_DEP_2) | instskip(NEXT) | instid1(VALU_DEP_4)
	v_add_nc_u32_e32 v12, v12, v25
	v_dual_cndmask_b32 v22, v22, v20 :: v_dual_cndmask_b32 v21, v23, v21
	v_cndmask_b32_e32 v20, v20, v18, vcc_lo
	s_delay_alu instid0(VALU_DEP_3) | instskip(NEXT) | instid1(VALU_DEP_3)
	v_sub_nc_u32_e32 v23, 32, v12
	v_cndmask_b32_e64 v19, v22, v24, s2
	s_delay_alu instid0(VALU_DEP_4) | instskip(NEXT) | instid1(VALU_DEP_4)
	v_cndmask_b32_e64 v21, v21, v22, s2
	v_cndmask_b32_e64 v22, v24, v20, s2
	;; [unrolled: 1-line block ×3, first 2 shown]
	v_cmp_eq_u32_e64 s4, 0, v12
	s_delay_alu instid0(VALU_DEP_4) | instskip(NEXT) | instid1(VALU_DEP_4)
	v_cndmask_b32_e64 v21, v21, v19, s3
	v_cndmask_b32_e64 v19, v19, v22, s3
	s_delay_alu instid0(VALU_DEP_4) | instskip(SKIP_1) | instid1(VALU_DEP_3)
	v_cndmask_b32_e64 v22, v22, v20, s3
	v_cndmask_b32_e64 v11, v20, v11, s3
	v_alignbit_b32 v24, v21, v19, v23
	s_delay_alu instid0(VALU_DEP_3) | instskip(NEXT) | instid1(VALU_DEP_3)
	v_alignbit_b32 v25, v19, v22, v23
	v_alignbit_b32 v23, v22, v11, v23
	s_delay_alu instid0(VALU_DEP_3) | instskip(NEXT) | instid1(VALU_DEP_3)
	v_cndmask_b32_e64 v12, v24, v21, s4
	v_cndmask_b32_e64 v18, v25, v19, s4
	s_delay_alu instid0(VALU_DEP_3) | instskip(NEXT) | instid1(VALU_DEP_3)
	v_cndmask_b32_e64 v22, v23, v22, s4
	v_bfe_u32 v19, v12, 29, 1
	s_delay_alu instid0(VALU_DEP_3) | instskip(NEXT) | instid1(VALU_DEP_3)
	v_alignbit_b32 v17, v12, v18, 30
	v_alignbit_b32 v18, v18, v22, 30
	;; [unrolled: 1-line block ×3, first 2 shown]
	s_delay_alu instid0(VALU_DEP_4) | instskip(NEXT) | instid1(VALU_DEP_1)
	v_sub_nc_u32_e32 v21, 0, v19
	v_xor_b32_e32 v20, v17, v21
	v_cmp_ne_u32_e32 vcc_lo, v17, v21
	v_xor_b32_e32 v18, v18, v21
	v_xor_b32_e32 v11, v11, v21
	s_delay_alu instid0(VALU_DEP_4) | instskip(NEXT) | instid1(VALU_DEP_1)
	v_clz_i32_u32_e32 v24, v20
	v_add_nc_u32_e32 v23, 1, v24
	s_delay_alu instid0(VALU_DEP_1) | instskip(NEXT) | instid1(VALU_DEP_1)
	v_cndmask_b32_e32 v17, 33, v23, vcc_lo
	v_sub_nc_u32_e32 v22, 32, v17
	s_delay_alu instid0(VALU_DEP_1) | instskip(SKIP_3) | instid1(VALU_DEP_3)
	v_alignbit_b32 v20, v20, v18, v22
	v_alignbit_b32 v11, v18, v11, v22
	v_lshrrev_b32_e32 v18, 29, v12
	v_lshrrev_b32_e32 v12, 30, v12
	v_alignbit_b32 v21, v20, v11, 9
	s_delay_alu instid0(VALU_DEP_3) | instskip(SKIP_1) | instid1(VALU_DEP_3)
	v_lshlrev_b32_e32 v18, 31, v18
	v_alignbit_b32 v20, v17, v20, 9
	v_clz_i32_u32_e32 v22, v21
	s_delay_alu instid0(VALU_DEP_2) | instskip(SKIP_1) | instid1(VALU_DEP_3)
	v_or_b32_e32 v20, v20, v18
	v_or_b32_e32 v18, 0x33800000, v18
	v_min_u32_e32 v22, 32, v22
	s_delay_alu instid0(VALU_DEP_3) | instskip(NEXT) | instid1(VALU_DEP_2)
	v_xor_b32_e32 v20, 1.0, v20
	v_sub_nc_u32_e32 v23, 31, v22
	v_add_lshl_u32 v17, v22, v17, 23
	s_delay_alu instid0(VALU_DEP_3) | instskip(NEXT) | instid1(VALU_DEP_3)
	v_mul_f32_e32 v22, 0x3fc90fda, v20
	v_alignbit_b32 v11, v21, v11, v23
	s_delay_alu instid0(VALU_DEP_3) | instskip(NEXT) | instid1(VALU_DEP_3)
	v_sub_nc_u32_e32 v17, v18, v17
	v_fma_f32 v18, 0x3fc90fda, v20, -v22
	s_delay_alu instid0(VALU_DEP_3) | instskip(NEXT) | instid1(VALU_DEP_2)
	v_lshrrev_b32_e32 v11, 9, v11
	v_fmac_f32_e32 v18, 0x33a22168, v20
	s_delay_alu instid0(VALU_DEP_2) | instskip(NEXT) | instid1(VALU_DEP_1)
	v_or_b32_e32 v11, v17, v11
	v_dual_fmac_f32 v18, 0x3fc90fda, v11 :: v_dual_add_nc_u32 v17, v19, v12
	s_delay_alu instid0(VALU_DEP_1)
	v_add_f32_e32 v11, v22, v18
	s_and_not1_saveexec_b32 s2, s33
	s_branch .LBB249_125
.LBB249_124:                            ;   in Loop: Header=BB249_4 Depth=1
	s_and_not1_saveexec_b32 s2, s33
.LBB249_125:                            ;   in Loop: Header=BB249_4 Depth=1
	v_mul_f32_e64 v11, 0x3f22f983, |v2|
	s_delay_alu instid0(VALU_DEP_1) | instskip(NEXT) | instid1(VALU_DEP_1)
	v_rndne_f32_e32 v12, v11
	v_fma_f32 v11, 0xbfc90fda, v12, |v2|
	v_cvt_i32_f32_e32 v17, v12
	s_delay_alu instid0(VALU_DEP_2) | instskip(NEXT) | instid1(VALU_DEP_1)
	v_fmac_f32_e32 v11, 0xb3a22168, v12
	v_fmac_f32_e32 v11, 0xa7c234c4, v12
; %bb.126:                              ;   in Loop: Header=BB249_4 Depth=1
	s_or_b32 exec_lo, exec_lo, s2
                                        ; implicit-def: $vgpr18
                                        ; implicit-def: $vgpr12
	s_and_saveexec_b32 s2, s31
	s_delay_alu instid0(SALU_CYCLE_1)
	s_xor_b32 s31, exec_lo, s2
	s_cbranch_execz .LBB249_128
; %bb.127:                              ;   in Loop: Header=BB249_4 Depth=1
	v_lshrrev_b32_e32 v23, 23, v10
	v_and_or_b32 v26, v10, s23, 0x800000
	s_delay_alu instid0(VALU_DEP_2) | instskip(NEXT) | instid1(VALU_DEP_2)
	v_add_nc_u32_e32 v24, 0xffffff88, v23
	v_mad_u64_u32 v[18:19], null, 0xfe5163ab, v26, 0
	s_delay_alu instid0(VALU_DEP_2) | instskip(SKIP_1) | instid1(VALU_DEP_1)
	v_cmp_lt_u32_e32 vcc_lo, 63, v24
	v_cndmask_b32_e64 v25, 0, 0xffffffc0, vcc_lo
	v_dual_mov_b32 v12, v19 :: v_dual_add_nc_u32 v25, v25, v24
	s_delay_alu instid0(VALU_DEP_1) | instskip(NEXT) | instid1(VALU_DEP_2)
	v_mad_u64_u32 v[19:20], null, 0x3c439041, v26, v[12:13]
	v_cmp_lt_u32_e64 s2, 31, v25
	s_delay_alu instid0(VALU_DEP_1) | instskip(NEXT) | instid1(VALU_DEP_1)
	v_cndmask_b32_e64 v27, 0, 0xffffffe0, s2
	v_dual_mov_b32 v12, v20 :: v_dual_add_nc_u32 v27, v27, v25
	s_delay_alu instid0(VALU_DEP_1) | instskip(NEXT) | instid1(VALU_DEP_2)
	v_mad_u64_u32 v[20:21], null, 0xdb629599, v26, v[12:13]
	v_cmp_lt_u32_e64 s3, 31, v27
	s_delay_alu instid0(VALU_DEP_2) | instskip(NEXT) | instid1(VALU_DEP_3)
	v_mov_b32_e32 v12, v21
	v_cndmask_b32_e32 v18, v20, v18, vcc_lo
	s_delay_alu instid0(VALU_DEP_2) | instskip(NEXT) | instid1(VALU_DEP_1)
	v_mad_u64_u32 v[21:22], null, 0xf534ddc0, v26, v[12:13]
	v_dual_mov_b32 v12, v22 :: v_dual_cndmask_b32 v19, v21, v19
	s_delay_alu instid0(VALU_DEP_1) | instskip(NEXT) | instid1(VALU_DEP_2)
	v_mad_u64_u32 v[22:23], null, 0xfc2757d1, v26, v[12:13]
	v_cndmask_b32_e64 v18, v19, v18, s2
	s_delay_alu instid0(VALU_DEP_2) | instskip(NEXT) | instid1(VALU_DEP_1)
	v_mov_b32_e32 v12, v23
	v_mad_u64_u32 v[23:24], null, 0x4e441529, v26, v[12:13]
	s_delay_alu instid0(VALU_DEP_1) | instskip(NEXT) | instid1(VALU_DEP_1)
	v_mov_b32_e32 v12, v24
	v_mad_u64_u32 v[24:25], null, 0xa2f9836e, v26, v[12:13]
	v_cndmask_b32_e64 v12, 0, 0xffffffe0, s3
	s_delay_alu instid0(VALU_DEP_4) | instskip(NEXT) | instid1(VALU_DEP_2)
	v_cndmask_b32_e32 v26, v23, v21, vcc_lo
	v_add_nc_u32_e32 v12, v12, v27
	s_delay_alu instid0(VALU_DEP_4) | instskip(SKIP_1) | instid1(VALU_DEP_3)
	v_dual_cndmask_b32 v24, v24, v22 :: v_dual_cndmask_b32 v23, v25, v23
	v_cndmask_b32_e32 v22, v22, v20, vcc_lo
	v_sub_nc_u32_e32 v25, 32, v12
	s_delay_alu instid0(VALU_DEP_3) | instskip(NEXT) | instid1(VALU_DEP_4)
	v_cndmask_b32_e64 v21, v24, v26, s2
	v_cndmask_b32_e64 v23, v23, v24, s2
	s_delay_alu instid0(VALU_DEP_4) | instskip(SKIP_2) | instid1(VALU_DEP_4)
	v_cndmask_b32_e64 v24, v26, v22, s2
	v_cndmask_b32_e64 v22, v22, v19, s2
	v_cmp_eq_u32_e64 s4, 0, v12
	v_cndmask_b32_e64 v23, v23, v21, s3
	s_delay_alu instid0(VALU_DEP_4) | instskip(NEXT) | instid1(VALU_DEP_4)
	v_cndmask_b32_e64 v21, v21, v24, s3
	v_cndmask_b32_e64 v24, v24, v22, s3
	;; [unrolled: 1-line block ×3, first 2 shown]
	s_delay_alu instid0(VALU_DEP_3) | instskip(NEXT) | instid1(VALU_DEP_3)
	v_alignbit_b32 v26, v23, v21, v25
	v_alignbit_b32 v27, v21, v24, v25
	s_delay_alu instid0(VALU_DEP_3) | instskip(NEXT) | instid1(VALU_DEP_3)
	v_alignbit_b32 v25, v24, v18, v25
	v_cndmask_b32_e64 v12, v26, v23, s4
	s_delay_alu instid0(VALU_DEP_3) | instskip(NEXT) | instid1(VALU_DEP_3)
	v_cndmask_b32_e64 v20, v27, v21, s4
	v_cndmask_b32_e64 v24, v25, v24, s4
	s_delay_alu instid0(VALU_DEP_3) | instskip(NEXT) | instid1(VALU_DEP_3)
	v_bfe_u32 v21, v12, 29, 1
	v_alignbit_b32 v19, v12, v20, 30
	s_delay_alu instid0(VALU_DEP_3) | instskip(SKIP_1) | instid1(VALU_DEP_4)
	v_alignbit_b32 v20, v20, v24, 30
	v_alignbit_b32 v18, v24, v18, 30
	v_sub_nc_u32_e32 v23, 0, v21
	s_delay_alu instid0(VALU_DEP_1) | instskip(SKIP_3) | instid1(VALU_DEP_4)
	v_xor_b32_e32 v22, v19, v23
	v_cmp_ne_u32_e32 vcc_lo, v19, v23
	v_xor_b32_e32 v20, v20, v23
	v_xor_b32_e32 v18, v18, v23
	v_clz_i32_u32_e32 v26, v22
	s_delay_alu instid0(VALU_DEP_1) | instskip(NEXT) | instid1(VALU_DEP_1)
	v_add_nc_u32_e32 v25, 1, v26
	v_cndmask_b32_e32 v19, 33, v25, vcc_lo
	s_delay_alu instid0(VALU_DEP_1) | instskip(NEXT) | instid1(VALU_DEP_1)
	v_sub_nc_u32_e32 v24, 32, v19
	v_alignbit_b32 v22, v22, v20, v24
	v_alignbit_b32 v18, v20, v18, v24
	v_lshrrev_b32_e32 v20, 29, v12
	s_delay_alu instid0(VALU_DEP_2) | instskip(NEXT) | instid1(VALU_DEP_2)
	v_alignbit_b32 v23, v22, v18, 9
	v_lshlrev_b32_e32 v20, 31, v20
	v_alignbit_b32 v22, v19, v22, 9
	s_delay_alu instid0(VALU_DEP_3) | instskip(NEXT) | instid1(VALU_DEP_2)
	v_clz_i32_u32_e32 v24, v23
	v_or_b32_e32 v22, v22, v20
	v_or_b32_e32 v20, 0x33800000, v20
	s_delay_alu instid0(VALU_DEP_3) | instskip(NEXT) | instid1(VALU_DEP_3)
	v_min_u32_e32 v24, 32, v24
	v_xor_b32_e32 v22, 1.0, v22
	s_delay_alu instid0(VALU_DEP_2) | instskip(SKIP_1) | instid1(VALU_DEP_3)
	v_sub_nc_u32_e32 v25, 31, v24
	v_add_lshl_u32 v19, v24, v19, 23
	v_mul_f32_e32 v24, 0x3fc90fda, v22
	s_delay_alu instid0(VALU_DEP_3) | instskip(NEXT) | instid1(VALU_DEP_3)
	v_alignbit_b32 v18, v23, v18, v25
	v_sub_nc_u32_e32 v19, v20, v19
	s_delay_alu instid0(VALU_DEP_3) | instskip(NEXT) | instid1(VALU_DEP_3)
	v_fma_f32 v20, 0x3fc90fda, v22, -v24
	v_lshrrev_b32_e32 v18, 9, v18
	s_delay_alu instid0(VALU_DEP_2) | instskip(NEXT) | instid1(VALU_DEP_2)
	v_fmac_f32_e32 v20, 0x33a22168, v22
	v_or_b32_e32 v18, v19, v18
	s_delay_alu instid0(VALU_DEP_1) | instskip(SKIP_1) | instid1(VALU_DEP_2)
	v_fmac_f32_e32 v20, 0x3fc90fda, v18
	v_lshrrev_b32_e32 v18, 30, v12
	v_add_f32_e32 v12, v24, v20
	s_delay_alu instid0(VALU_DEP_2)
	v_add_nc_u32_e32 v18, v21, v18
	s_and_not1_saveexec_b32 s2, s31
	s_cbranch_execnz .LBB249_129
	s_branch .LBB249_130
.LBB249_128:                            ;   in Loop: Header=BB249_4 Depth=1
	s_and_not1_saveexec_b32 s2, s31
.LBB249_129:                            ;   in Loop: Header=BB249_4 Depth=1
	v_mul_f32_e64 v12, 0x3f22f983, |v2|
	s_delay_alu instid0(VALU_DEP_1) | instskip(NEXT) | instid1(VALU_DEP_1)
	v_rndne_f32_e32 v18, v12
	v_fma_f32 v12, 0xbfc90fda, v18, |v2|
	s_delay_alu instid0(VALU_DEP_1) | instskip(NEXT) | instid1(VALU_DEP_1)
	v_fmac_f32_e32 v12, 0xb3a22168, v18
	v_fmac_f32_e32 v12, 0xa7c234c4, v18
	v_cvt_i32_f32_e32 v18, v18
.LBB249_130:                            ;   in Loop: Header=BB249_4 Depth=1
	s_or_b32 exec_lo, exec_lo, s2
	s_delay_alu instid0(VALU_DEP_2) | instskip(SKIP_1) | instid1(VALU_DEP_2)
	v_dual_sub_f32 v19, 0xc322e3bc, v1 :: v_dual_mul_f32 v24, v12, v12
	v_mul_f32_e32 v23, v11, v11
	v_mul_f32_e32 v20, 0x3fb8aa3b, v19
	s_delay_alu instid0(VALU_DEP_2) | instskip(NEXT) | instid1(VALU_DEP_2)
	v_fmaak_f32 v25, s25, v23, 0xbab64f3b
	v_fma_f32 v21, 0x3fb8aa3b, v19, -v20
	v_rndne_f32_e32 v22, v20
	s_delay_alu instid0(VALU_DEP_1) | instskip(SKIP_1) | instid1(VALU_DEP_2)
	v_dual_sub_f32 v20, v20, v22 :: v_dual_fmac_f32 v21, 0x32a5705f, v19
	v_cmp_ngt_f32_e32 vcc_lo, 0xc2ce8ed0, v19
	v_add_f32_e32 v20, v20, v21
	v_cvt_i32_f32_e32 v21, v22
	v_lshlrev_b32_e32 v22, 30, v17
	v_and_b32_e32 v17, 1, v17
	s_delay_alu instid0(VALU_DEP_4) | instskip(SKIP_4) | instid1(VALU_DEP_3)
	v_exp_f32_e32 v20, v20
	s_waitcnt_depctr 0xfff
	v_ldexp_f32 v20, v20, v21
	v_dual_fmaak_f32 v26, s24, v23, 0x3c0881c4 :: v_dual_and_b32 v21, 1, v18
	v_dual_fmaak_f32 v27, s24, v24, 0x3c0881c4 :: v_dual_lshlrev_b32 v18, 30, v18
	v_cndmask_b32_e32 v20, 0, v20, vcc_lo
	v_cmp_nlt_f32_e32 vcc_lo, 0x42b17218, v19
	s_delay_alu instid0(VALU_DEP_3) | instskip(NEXT) | instid1(VALU_DEP_4)
	v_fmaak_f32 v27, v24, v27, 0xbe2aaa9d
	v_and_or_b32 v10, 0x80000000, v18, v10
	v_fmaak_f32 v18, v23, v25, 0x3d2aabf7
	v_fmaak_f32 v25, v23, v26, 0xbe2aaa9d
	s_delay_alu instid0(VALU_DEP_4) | instskip(SKIP_1) | instid1(VALU_DEP_4)
	v_dual_mul_f32 v27, v24, v27 :: v_dual_and_b32 v22, 0x80000000, v22
	v_cndmask_b32_e32 v19, 0x7f800000, v20, vcc_lo
	v_fmaak_f32 v18, v23, v18, 0xbf000004
	s_delay_alu instid0(VALU_DEP_4) | instskip(NEXT) | instid1(VALU_DEP_4)
	v_dual_mul_f32 v25, v23, v25 :: v_dual_fmaak_f32 v20, s25, v24, 0xbab64f3b
	v_fmac_f32_e32 v12, v12, v27
	s_delay_alu instid0(VALU_DEP_4) | instskip(NEXT) | instid1(VALU_DEP_4)
	v_lshrrev_b32_e32 v26, 23, v19
	v_fma_f32 v18, v23, v18, 1.0
	s_delay_alu instid0(VALU_DEP_4) | instskip(SKIP_1) | instid1(VALU_DEP_4)
	v_dual_fmac_f32 v11, v11, v25 :: v_dual_fmaak_f32 v20, v24, v20, 0x3d2aabf7
	v_cmp_eq_u32_e32 vcc_lo, 0, v17
	v_subrev_nc_u32_e32 v26, 19, v26
	s_delay_alu instid0(VALU_DEP_3) | instskip(NEXT) | instid1(VALU_DEP_4)
	v_fmaak_f32 v20, v24, v20, 0xbf000004
	v_cndmask_b32_e64 v11, -v11, v18, vcc_lo
	s_delay_alu instid0(VALU_DEP_3) | instskip(SKIP_1) | instid1(VALU_DEP_4)
	v_lshrrev_b16 v23, 15, v26
	v_cmp_eq_u32_e32 vcc_lo, 0, v21
	v_fma_f32 v20, v24, v20, 1.0
	s_delay_alu instid0(VALU_DEP_4) | instskip(NEXT) | instid1(VALU_DEP_4)
	v_xor_b32_e32 v11, v22, v11
	v_add_nc_u16 v17, v26, v23
	s_delay_alu instid0(VALU_DEP_3) | instskip(SKIP_1) | instid1(VALU_DEP_3)
	v_cndmask_b32_e32 v12, v20, v12, vcc_lo
	v_cmp_class_f32_e64 vcc_lo, v2, 0x1f8
	v_ashrrev_i16 v17, 1, v17
	s_delay_alu instid0(VALU_DEP_3) | instskip(NEXT) | instid1(VALU_DEP_2)
	v_xor3_b32 v9, v10, v12, v9
	v_bfe_i32 v12, v17, 0, 16
	s_delay_alu instid0(VALU_DEP_1) | instskip(SKIP_1) | instid1(VALU_DEP_1)
	v_lshl_add_u32 v17, v12, 23, 1.0
	v_sub_nc_u32_e32 v12, v26, v12
	v_lshl_add_u32 v12, v12, 23, 1.0
	v_cndmask_b32_e32 v10, 0x7fc00000, v11, vcc_lo
	v_and_or_b32 v11, 0x7fffff, v19, s26
	v_cndmask_b32_e32 v9, 0x7fc00000, v9, vcc_lo
	s_delay_alu instid0(VALU_DEP_1) | instskip(NEXT) | instid1(VALU_DEP_1)
	v_mul_f32_e32 v9, v9, v11
	v_mul_f32_e32 v9, v9, v17
	s_delay_alu instid0(VALU_DEP_1) | instskip(NEXT) | instid1(VALU_DEP_1)
	v_dual_mul_f32 v9, v9, v12 :: v_dual_mul_f32 v10, v10, v11
	v_mul_f32_e32 v10, v10, v17
	s_delay_alu instid0(VALU_DEP_1)
	v_mul_f32_e32 v11, v10, v12
.LBB249_131:                            ;   in Loop: Header=BB249_4 Depth=1
	s_or_b32 exec_lo, exec_lo, s30
                                        ; implicit-def: $vgpr12
                                        ; implicit-def: $vgpr17
.LBB249_132:                            ;   in Loop: Header=BB249_4 Depth=1
	s_and_not1_saveexec_b32 s2, s29
	s_cbranch_execz .LBB249_138
; %bb.133:                              ;   in Loop: Header=BB249_4 Depth=1
	v_sub_f32_e32 v9, v2, v2
	s_mov_b32 s3, exec_lo
	v_cmpx_ne_u32_e32 0x7f800000, v17
	s_xor_b32 s3, exec_lo, s3
; %bb.134:                              ;   in Loop: Header=BB249_4 Depth=1
                                        ; implicit-def: $vgpr12
; %bb.135:                              ;   in Loop: Header=BB249_4 Depth=1
	s_delay_alu instid0(SALU_CYCLE_1)
	s_or_saveexec_b32 s3, s3
	v_mov_b32_e32 v11, v9
	s_xor_b32 exec_lo, exec_lo, s3
; %bb.136:                              ;   in Loop: Header=BB249_4 Depth=1
	v_cmp_lt_i32_e32 vcc_lo, -1, v12
	v_cndmask_b32_e64 v11, 0, -v1, vcc_lo
	v_cndmask_b32_e32 v9, 0, v9, vcc_lo
; %bb.137:                              ;   in Loop: Header=BB249_4 Depth=1
	s_or_b32 exec_lo, exec_lo, s3
.LBB249_138:                            ;   in Loop: Header=BB249_4 Depth=1
	s_delay_alu instid0(SALU_CYCLE_1)
	s_or_b32 exec_lo, exec_lo, s2
                                        ; implicit-def: $vgpr10
.LBB249_139:                            ;   in Loop: Header=BB249_4 Depth=1
	s_and_not1_saveexec_b32 s28, s28
	s_cbranch_execz .LBB249_149
; %bb.140:                              ;   in Loop: Header=BB249_4 Depth=1
	v_lshrrev_b32_e32 v11, 23, v10
	v_cmp_ngt_f32_e64 s29, 0x48000000, |v2|
	v_and_or_b32 v18, v10, s23, 0x800000
                                        ; implicit-def: $vgpr17
	s_delay_alu instid0(VALU_DEP_3) | instskip(NEXT) | instid1(VALU_DEP_3)
	v_add_nc_u32_e32 v19, 0xffffff88, v11
                                        ; implicit-def: $vgpr11
	s_and_saveexec_b32 s2, s29
	s_delay_alu instid0(SALU_CYCLE_1)
	s_xor_b32 s30, exec_lo, s2
	s_cbranch_execz .LBB249_142
; %bb.141:                              ;   in Loop: Header=BB249_4 Depth=1
	s_delay_alu instid0(VALU_DEP_1) | instskip(SKIP_2) | instid1(VALU_DEP_2)
	v_cmp_lt_u32_e32 vcc_lo, 63, v19
	v_mad_u64_u32 v[11:12], null, 0xfe5163ab, v18, 0
	v_cndmask_b32_e64 v17, 0, 0xffffffc0, vcc_lo
	v_mad_u64_u32 v[20:21], null, 0x3c439041, v18, v[12:13]
	s_delay_alu instid0(VALU_DEP_2) | instskip(NEXT) | instid1(VALU_DEP_1)
	v_add_nc_u32_e32 v17, v17, v19
	v_cmp_lt_u32_e64 s2, 31, v17
	s_delay_alu instid0(VALU_DEP_1) | instskip(NEXT) | instid1(VALU_DEP_1)
	v_cndmask_b32_e64 v26, 0, 0xffffffe0, s2
	v_dual_mov_b32 v12, v21 :: v_dual_add_nc_u32 v17, v26, v17
	s_delay_alu instid0(VALU_DEP_1) | instskip(NEXT) | instid1(VALU_DEP_2)
	v_mad_u64_u32 v[21:22], null, 0xdb629599, v18, v[12:13]
	v_cmp_lt_u32_e64 s3, 31, v17
	s_delay_alu instid0(VALU_DEP_2) | instskip(NEXT) | instid1(VALU_DEP_1)
	v_dual_mov_b32 v12, v22 :: v_dual_cndmask_b32 v11, v21, v11
	v_mad_u64_u32 v[22:23], null, 0xf534ddc0, v18, v[12:13]
	s_delay_alu instid0(VALU_DEP_1) | instskip(NEXT) | instid1(VALU_DEP_1)
	v_mov_b32_e32 v12, v23
	v_mad_u64_u32 v[23:24], null, 0xfc2757d1, v18, v[12:13]
	s_delay_alu instid0(VALU_DEP_1) | instskip(NEXT) | instid1(VALU_DEP_1)
	v_mov_b32_e32 v12, v24
	v_mad_u64_u32 v[24:25], null, 0x4e441529, v18, v[12:13]
	s_delay_alu instid0(VALU_DEP_1) | instskip(NEXT) | instid1(VALU_DEP_1)
	v_dual_mov_b32 v12, v25 :: v_dual_cndmask_b32 v27, v24, v22
	v_mad_u64_u32 v[25:26], null, 0xa2f9836e, v18, v[12:13]
	v_cndmask_b32_e64 v12, 0, 0xffffffe0, s3
	s_delay_alu instid0(VALU_DEP_1) | instskip(NEXT) | instid1(VALU_DEP_3)
	v_dual_cndmask_b32 v25, v25, v23 :: v_dual_add_nc_u32 v12, v12, v17
	v_dual_cndmask_b32 v24, v26, v24 :: v_dual_cndmask_b32 v23, v23, v21
	v_cndmask_b32_e32 v17, v22, v20, vcc_lo
	s_delay_alu instid0(VALU_DEP_3) | instskip(NEXT) | instid1(VALU_DEP_4)
	v_cmp_eq_u32_e64 s4, 0, v12
	v_cndmask_b32_e64 v20, v25, v27, s2
	s_delay_alu instid0(VALU_DEP_4)
	v_cndmask_b32_e64 v22, v24, v25, s2
	v_cndmask_b32_e64 v24, v27, v23, s2
	v_sub_nc_u32_e32 v25, 32, v12
	v_cndmask_b32_e64 v23, v23, v17, s2
	v_cndmask_b32_e64 v11, v17, v11, s2
	;; [unrolled: 1-line block ×4, first 2 shown]
	s_delay_alu instid0(VALU_DEP_4) | instskip(NEXT) | instid1(VALU_DEP_4)
	v_cndmask_b32_e64 v24, v24, v23, s3
	v_cndmask_b32_e64 v11, v23, v11, s3
	s_delay_alu instid0(VALU_DEP_3) | instskip(NEXT) | instid1(VALU_DEP_3)
	v_alignbit_b32 v26, v22, v20, v25
	v_alignbit_b32 v27, v20, v24, v25
	s_delay_alu instid0(VALU_DEP_3) | instskip(NEXT) | instid1(VALU_DEP_3)
	v_alignbit_b32 v25, v24, v11, v25
	v_cndmask_b32_e64 v12, v26, v22, s4
	s_delay_alu instid0(VALU_DEP_3) | instskip(NEXT) | instid1(VALU_DEP_3)
	v_cndmask_b32_e64 v20, v27, v20, s4
	v_cndmask_b32_e64 v24, v25, v24, s4
	s_delay_alu instid0(VALU_DEP_3) | instskip(NEXT) | instid1(VALU_DEP_3)
	v_bfe_u32 v21, v12, 29, 1
	v_alignbit_b32 v17, v12, v20, 30
	s_delay_alu instid0(VALU_DEP_3) | instskip(SKIP_1) | instid1(VALU_DEP_4)
	v_alignbit_b32 v20, v20, v24, 30
	v_alignbit_b32 v11, v24, v11, 30
	v_sub_nc_u32_e32 v22, 0, v21
	s_delay_alu instid0(VALU_DEP_1) | instskip(SKIP_3) | instid1(VALU_DEP_4)
	v_xor_b32_e32 v23, v17, v22
	v_cmp_ne_u32_e32 vcc_lo, v17, v22
	v_xor_b32_e32 v20, v20, v22
	v_xor_b32_e32 v11, v11, v22
	v_clz_i32_u32_e32 v26, v23
	s_delay_alu instid0(VALU_DEP_1) | instskip(NEXT) | instid1(VALU_DEP_1)
	v_add_nc_u32_e32 v25, 1, v26
	v_cndmask_b32_e32 v17, 33, v25, vcc_lo
	s_delay_alu instid0(VALU_DEP_1) | instskip(NEXT) | instid1(VALU_DEP_1)
	v_sub_nc_u32_e32 v24, 32, v17
	v_alignbit_b32 v22, v23, v20, v24
	v_alignbit_b32 v11, v20, v11, v24
	v_lshrrev_b32_e32 v20, 29, v12
	v_lshrrev_b32_e32 v12, 30, v12
	s_delay_alu instid0(VALU_DEP_3) | instskip(NEXT) | instid1(VALU_DEP_3)
	v_alignbit_b32 v23, v22, v11, 9
	v_lshlrev_b32_e32 v20, 31, v20
	v_alignbit_b32 v22, v17, v22, 9
	s_delay_alu instid0(VALU_DEP_3) | instskip(NEXT) | instid1(VALU_DEP_2)
	v_clz_i32_u32_e32 v24, v23
	v_or_b32_e32 v22, v22, v20
	v_or_b32_e32 v20, 0x33800000, v20
	s_delay_alu instid0(VALU_DEP_3) | instskip(NEXT) | instid1(VALU_DEP_3)
	v_min_u32_e32 v24, 32, v24
	v_xor_b32_e32 v22, 1.0, v22
	s_delay_alu instid0(VALU_DEP_2) | instskip(SKIP_1) | instid1(VALU_DEP_3)
	v_sub_nc_u32_e32 v25, 31, v24
	v_add_lshl_u32 v17, v24, v17, 23
	v_mul_f32_e32 v24, 0x3fc90fda, v22
	s_delay_alu instid0(VALU_DEP_3) | instskip(NEXT) | instid1(VALU_DEP_3)
	v_alignbit_b32 v11, v23, v11, v25
	v_sub_nc_u32_e32 v17, v20, v17
	s_delay_alu instid0(VALU_DEP_2) | instskip(NEXT) | instid1(VALU_DEP_1)
	v_lshrrev_b32_e32 v11, 9, v11
	v_or_b32_e32 v11, v17, v11
	v_add_nc_u32_e32 v17, v21, v12
	v_fma_f32 v20, 0x3fc90fda, v22, -v24
	s_delay_alu instid0(VALU_DEP_1) | instskip(NEXT) | instid1(VALU_DEP_1)
	v_fmac_f32_e32 v20, 0x33a22168, v22
	v_fmac_f32_e32 v20, 0x3fc90fda, v11
	s_delay_alu instid0(VALU_DEP_1)
	v_add_f32_e32 v11, v24, v20
.LBB249_142:                            ;   in Loop: Header=BB249_4 Depth=1
	s_or_saveexec_b32 s2, s30
	v_mul_f32_e64 v12, 0x3f22f983, |v2|
	s_delay_alu instid0(VALU_DEP_1)
	v_rndne_f32_e32 v21, v12
	s_xor_b32 exec_lo, exec_lo, s2
; %bb.143:                              ;   in Loop: Header=BB249_4 Depth=1
	s_delay_alu instid0(VALU_DEP_1) | instskip(SKIP_1) | instid1(VALU_DEP_2)
	v_fma_f32 v11, 0xbfc90fda, v21, |v2|
	v_cvt_i32_f32_e32 v17, v21
	v_fmac_f32_e32 v11, 0xb3a22168, v21
	s_delay_alu instid0(VALU_DEP_1)
	v_fmac_f32_e32 v11, 0xa7c234c4, v21
; %bb.144:                              ;   in Loop: Header=BB249_4 Depth=1
	s_or_b32 exec_lo, exec_lo, s2
                                        ; implicit-def: $vgpr20
                                        ; implicit-def: $vgpr12
	s_and_saveexec_b32 s2, s29
	s_delay_alu instid0(SALU_CYCLE_1)
	s_xor_b32 s29, exec_lo, s2
	s_cbranch_execz .LBB249_146
; %bb.145:                              ;   in Loop: Header=BB249_4 Depth=1
	v_mad_u64_u32 v[20:21], null, 0xfe5163ab, v18, 0
	v_cmp_lt_u32_e32 vcc_lo, 63, v19
	v_cndmask_b32_e64 v26, 0, 0xffffffc0, vcc_lo
	s_delay_alu instid0(VALU_DEP_1) | instskip(NEXT) | instid1(VALU_DEP_1)
	v_dual_mov_b32 v12, v21 :: v_dual_add_nc_u32 v19, v26, v19
	v_mad_u64_u32 v[21:22], null, 0x3c439041, v18, v[12:13]
	s_delay_alu instid0(VALU_DEP_2) | instskip(NEXT) | instid1(VALU_DEP_1)
	v_cmp_lt_u32_e64 s2, 31, v19
	v_cndmask_b32_e64 v27, 0, 0xffffffe0, s2
	s_delay_alu instid0(VALU_DEP_1) | instskip(NEXT) | instid1(VALU_DEP_1)
	v_dual_mov_b32 v12, v22 :: v_dual_add_nc_u32 v19, v27, v19
	v_mad_u64_u32 v[22:23], null, 0xdb629599, v18, v[12:13]
	s_delay_alu instid0(VALU_DEP_2) | instskip(NEXT) | instid1(VALU_DEP_2)
	v_cmp_lt_u32_e64 s3, 31, v19
	v_mov_b32_e32 v12, v23
	s_delay_alu instid0(VALU_DEP_3) | instskip(NEXT) | instid1(VALU_DEP_2)
	v_cndmask_b32_e32 v20, v22, v20, vcc_lo
	v_mad_u64_u32 v[23:24], null, 0xf534ddc0, v18, v[12:13]
	s_delay_alu instid0(VALU_DEP_1) | instskip(NEXT) | instid1(VALU_DEP_1)
	v_mov_b32_e32 v12, v24
	v_mad_u64_u32 v[24:25], null, 0xfc2757d1, v18, v[12:13]
	s_delay_alu instid0(VALU_DEP_1) | instskip(NEXT) | instid1(VALU_DEP_1)
	v_mov_b32_e32 v12, v25
	v_mad_u64_u32 v[25:26], null, 0x4e441529, v18, v[12:13]
	s_delay_alu instid0(VALU_DEP_1) | instskip(NEXT) | instid1(VALU_DEP_1)
	v_mov_b32_e32 v12, v26
	v_mad_u64_u32 v[26:27], null, 0xa2f9836e, v18, v[12:13]
	v_cndmask_b32_e64 v12, 0, 0xffffffe0, s3
	s_delay_alu instid0(VALU_DEP_4) | instskip(NEXT) | instid1(VALU_DEP_2)
	v_cndmask_b32_e32 v18, v25, v23, vcc_lo
	v_add_nc_u32_e32 v12, v12, v19
	s_delay_alu instid0(VALU_DEP_4) | instskip(SKIP_1) | instid1(VALU_DEP_3)
	v_dual_cndmask_b32 v26, v26, v24 :: v_dual_cndmask_b32 v25, v27, v25
	v_dual_cndmask_b32 v24, v24, v22 :: v_dual_cndmask_b32 v19, v23, v21
	v_cmp_eq_u32_e64 s4, 0, v12
	s_delay_alu instid0(VALU_DEP_3) | instskip(NEXT) | instid1(VALU_DEP_4)
	v_cndmask_b32_e64 v21, v26, v18, s2
	v_cndmask_b32_e64 v23, v25, v26, s2
	s_delay_alu instid0(VALU_DEP_4)
	v_cndmask_b32_e64 v18, v18, v24, s2
	v_sub_nc_u32_e32 v25, 32, v12
	v_cndmask_b32_e64 v24, v24, v19, s2
	v_cndmask_b32_e64 v19, v19, v20, s2
	;; [unrolled: 1-line block ×4, first 2 shown]
	s_delay_alu instid0(VALU_DEP_4) | instskip(NEXT) | instid1(VALU_DEP_4)
	v_cndmask_b32_e64 v18, v18, v24, s3
	v_cndmask_b32_e64 v19, v24, v19, s3
	s_delay_alu instid0(VALU_DEP_3) | instskip(NEXT) | instid1(VALU_DEP_3)
	v_alignbit_b32 v26, v23, v21, v25
	v_alignbit_b32 v27, v21, v18, v25
	s_delay_alu instid0(VALU_DEP_3) | instskip(NEXT) | instid1(VALU_DEP_3)
	v_alignbit_b32 v25, v18, v19, v25
	v_cndmask_b32_e64 v12, v26, v23, s4
	s_delay_alu instid0(VALU_DEP_3) | instskip(NEXT) | instid1(VALU_DEP_3)
	v_cndmask_b32_e64 v21, v27, v21, s4
	v_cndmask_b32_e64 v18, v25, v18, s4
	s_delay_alu instid0(VALU_DEP_3) | instskip(NEXT) | instid1(VALU_DEP_3)
	v_bfe_u32 v22, v12, 29, 1
	v_alignbit_b32 v20, v12, v21, 30
	s_delay_alu instid0(VALU_DEP_3) | instskip(SKIP_1) | instid1(VALU_DEP_4)
	v_alignbit_b32 v21, v21, v18, 30
	v_alignbit_b32 v18, v18, v19, 30
	v_sub_nc_u32_e32 v23, 0, v22
	s_delay_alu instid0(VALU_DEP_1) | instskip(SKIP_3) | instid1(VALU_DEP_4)
	v_xor_b32_e32 v24, v20, v23
	v_cmp_ne_u32_e32 vcc_lo, v20, v23
	v_xor_b32_e32 v19, v21, v23
	v_xor_b32_e32 v18, v18, v23
	v_clz_i32_u32_e32 v26, v24
	s_delay_alu instid0(VALU_DEP_1) | instskip(NEXT) | instid1(VALU_DEP_1)
	v_add_nc_u32_e32 v25, 1, v26
	v_cndmask_b32_e32 v20, 33, v25, vcc_lo
	s_delay_alu instid0(VALU_DEP_1) | instskip(NEXT) | instid1(VALU_DEP_1)
	v_sub_nc_u32_e32 v21, 32, v20
	v_alignbit_b32 v23, v24, v19, v21
	v_alignbit_b32 v18, v19, v18, v21
	v_lshrrev_b32_e32 v19, 29, v12
	s_delay_alu instid0(VALU_DEP_2) | instskip(NEXT) | instid1(VALU_DEP_2)
	v_alignbit_b32 v21, v23, v18, 9
	v_lshlrev_b32_e32 v19, 31, v19
	v_alignbit_b32 v23, v20, v23, 9
	s_delay_alu instid0(VALU_DEP_3) | instskip(NEXT) | instid1(VALU_DEP_2)
	v_clz_i32_u32_e32 v24, v21
	v_or_b32_e32 v23, v23, v19
	v_or_b32_e32 v19, 0x33800000, v19
	s_delay_alu instid0(VALU_DEP_3) | instskip(NEXT) | instid1(VALU_DEP_3)
	v_min_u32_e32 v24, 32, v24
	v_xor_b32_e32 v23, 1.0, v23
	s_delay_alu instid0(VALU_DEP_2) | instskip(SKIP_1) | instid1(VALU_DEP_3)
	v_sub_nc_u32_e32 v25, 31, v24
	v_add_lshl_u32 v20, v24, v20, 23
	v_mul_f32_e32 v24, 0x3fc90fda, v23
	s_delay_alu instid0(VALU_DEP_3) | instskip(NEXT) | instid1(VALU_DEP_3)
	v_alignbit_b32 v18, v21, v18, v25
	v_sub_nc_u32_e32 v19, v19, v20
	s_delay_alu instid0(VALU_DEP_3) | instskip(NEXT) | instid1(VALU_DEP_3)
	v_fma_f32 v20, 0x3fc90fda, v23, -v24
                                        ; implicit-def: $vgpr21
	v_lshrrev_b32_e32 v18, 9, v18
	s_delay_alu instid0(VALU_DEP_2) | instskip(NEXT) | instid1(VALU_DEP_2)
	v_fmac_f32_e32 v20, 0x33a22168, v23
	v_or_b32_e32 v18, v19, v18
	s_delay_alu instid0(VALU_DEP_1) | instskip(SKIP_1) | instid1(VALU_DEP_2)
	v_fmac_f32_e32 v20, 0x3fc90fda, v18
	v_lshrrev_b32_e32 v18, 30, v12
	v_add_f32_e32 v12, v24, v20
	s_delay_alu instid0(VALU_DEP_2)
	v_add_nc_u32_e32 v20, v22, v18
	s_and_not1_saveexec_b32 s2, s29
	s_cbranch_execnz .LBB249_147
	s_branch .LBB249_148
.LBB249_146:                            ;   in Loop: Header=BB249_4 Depth=1
	s_and_not1_saveexec_b32 s2, s29
.LBB249_147:                            ;   in Loop: Header=BB249_4 Depth=1
	v_fma_f32 v12, 0xbfc90fda, v21, |v2|
	v_cvt_i32_f32_e32 v20, v21
	s_delay_alu instid0(VALU_DEP_2) | instskip(NEXT) | instid1(VALU_DEP_1)
	v_fmac_f32_e32 v12, 0xb3a22168, v21
	v_fmac_f32_e32 v12, 0xa7c234c4, v21
.LBB249_148:                            ;   in Loop: Header=BB249_4 Depth=1
	s_or_b32 exec_lo, exec_lo, s2
	s_delay_alu instid0(VALU_DEP_1) | instskip(SKIP_3) | instid1(VALU_DEP_4)
	v_dual_mul_f32 v18, v11, v11 :: v_dual_mul_f32 v19, v12, v12
	v_and_b32_e32 v21, 1, v17
	v_lshlrev_b32_e32 v17, 30, v17
	v_and_b32_e32 v26, 1, v20
	v_fmaak_f32 v22, s24, v18, 0x3c0881c4
	v_fmaak_f32 v24, s24, v19, 0x3c0881c4
	;; [unrolled: 1-line block ×3, first 2 shown]
	v_dual_fmaak_f32 v25, s25, v19, 0xbab64f3b :: v_dual_lshlrev_b32 v20, 30, v20
	s_delay_alu instid0(VALU_DEP_4) | instskip(NEXT) | instid1(VALU_DEP_4)
	v_fmaak_f32 v22, v18, v22, 0xbe2aaa9d
	v_fmaak_f32 v24, v19, v24, 0xbe2aaa9d
	s_delay_alu instid0(VALU_DEP_4) | instskip(NEXT) | instid1(VALU_DEP_4)
	v_fmaak_f32 v23, v18, v23, 0x3d2aabf7
	v_fmaak_f32 v25, v19, v25, 0x3d2aabf7
	v_cmp_eq_u32_e32 vcc_lo, 0, v21
	v_mul_f32_e32 v22, v18, v22
	s_delay_alu instid0(VALU_DEP_4) | instskip(NEXT) | instid1(VALU_DEP_4)
	v_dual_mul_f32 v24, v19, v24 :: v_dual_fmaak_f32 v23, v18, v23, 0xbf000004
	v_fmaak_f32 v25, v19, v25, 0xbf000004
	v_and_or_b32 v10, 0x80000000, v20, v10
	s_delay_alu instid0(VALU_DEP_3) | instskip(NEXT) | instid1(VALU_DEP_4)
	v_dual_fmac_f32 v11, v11, v22 :: v_dual_fmac_f32 v12, v12, v24
	v_fma_f32 v18, v18, v23, 1.0
	s_delay_alu instid0(VALU_DEP_4) | instskip(NEXT) | instid1(VALU_DEP_2)
	v_fma_f32 v19, v19, v25, 1.0
	v_cndmask_b32_e64 v11, -v11, v18, vcc_lo
	v_cmp_eq_u32_e32 vcc_lo, 0, v26
	s_delay_alu instid0(VALU_DEP_3) | instskip(NEXT) | instid1(VALU_DEP_1)
	v_dual_cndmask_b32 v12, v19, v12 :: v_dual_and_b32 v17, 0x80000000, v17
	v_xor_b32_e32 v11, v17, v11
	v_cmp_class_f32_e64 vcc_lo, v2, 0x1f8
	s_delay_alu instid0(VALU_DEP_3) | instskip(NEXT) | instid1(VALU_DEP_3)
	v_xor3_b32 v9, v10, v12, v9
	v_cndmask_b32_e32 v11, 0x7fc00000, v11, vcc_lo
	s_delay_alu instid0(VALU_DEP_2)
	v_cndmask_b32_e32 v9, 0x7fc00000, v9, vcc_lo
.LBB249_149:                            ;   in Loop: Header=BB249_4 Depth=1
	s_or_b32 exec_lo, exec_lo, s28
.LBB249_150:                            ;   in Loop: Header=BB249_4 Depth=1
	s_and_not1_saveexec_b32 s2, s27
	s_cbranch_execz .LBB249_152
; %bb.151:                              ;   in Loop: Header=BB249_4 Depth=1
	v_mul_f32_e32 v2, 0xbfb8aa3b, v1
	v_cmp_nlt_f32_e32 vcc_lo, 0x42ce8ed0, v1
	s_delay_alu instid0(VALU_DEP_2) | instskip(SKIP_1) | instid1(VALU_DEP_1)
	v_rndne_f32_e32 v10, v2
	v_fma_f32 v11, 0xbfb8aa3b, v1, -v2
	v_dual_sub_f32 v2, v2, v10 :: v_dual_fmac_f32 v11, 0xb2a5705f, v1
	v_cvt_i32_f32_e32 v10, v10
	s_delay_alu instid0(VALU_DEP_2) | instskip(NEXT) | instid1(VALU_DEP_1)
	v_add_f32_e32 v2, v2, v11
	v_exp_f32_e32 v2, v2
	s_waitcnt_depctr 0xfff
	v_ldexp_f32 v2, v2, v10
	s_delay_alu instid0(VALU_DEP_1) | instskip(SKIP_1) | instid1(VALU_DEP_2)
	v_cndmask_b32_e32 v2, 0, v2, vcc_lo
	v_cmp_ngt_f32_e32 vcc_lo, 0xc2b17218, v1
	v_cndmask_b32_e32 v11, 0x7f800000, v2, vcc_lo
.LBB249_152:                            ;   in Loop: Header=BB249_4 Depth=1
	s_or_b32 exec_lo, exec_lo, s2
	s_delay_alu instid0(VALU_DEP_1) | instskip(SKIP_1) | instid1(VALU_DEP_1)
	v_dual_add_f32 v2, s8, v11 :: v_dual_add_f32 v1, s9, v9
                                        ; implicit-def: $vgpr10
	s_mov_b32 s2, exec_lo
	v_cmp_gt_f32_e32 vcc_lo, 0, v2
	v_cndmask_b32_e64 v11, v2, -v2, vcc_lo
	s_delay_alu instid0(VALU_DEP_3) | instskip(SKIP_1) | instid1(VALU_DEP_1)
	v_cmp_gt_f32_e32 vcc_lo, 0, v1
	v_cndmask_b32_e64 v12, v1, -v1, vcc_lo
	v_cmpx_ge_f32_e32 v11, v12
	s_xor_b32 s3, exec_lo, s2
	s_cbranch_execz .LBB249_158
; %bb.153:                              ;   in Loop: Header=BB249_4 Depth=1
	v_cmp_neq_f32_e32 vcc_lo, 0, v2
	v_cmp_neq_f32_e64 s2, 0, v1
                                        ; implicit-def: $vgpr10
	s_delay_alu instid0(VALU_DEP_1) | instskip(NEXT) | instid1(SALU_CYCLE_1)
	s_or_b32 s2, vcc_lo, s2
	s_and_saveexec_b32 s4, s2
	s_delay_alu instid0(SALU_CYCLE_1)
	s_xor_b32 s2, exec_lo, s4
	s_cbranch_execz .LBB249_155
; %bb.154:                              ;   in Loop: Header=BB249_4 Depth=1
	v_div_scale_f32 v9, null, v2, v2, v1
	v_div_scale_f32 v12, vcc_lo, v1, v2, v1
	s_delay_alu instid0(VALU_DEP_2) | instskip(SKIP_2) | instid1(VALU_DEP_1)
	v_rcp_f32_e32 v10, v9
	s_waitcnt_depctr 0xfff
	v_fma_f32 v11, -v9, v10, 1.0
	v_fmac_f32_e32 v10, v11, v10
	s_delay_alu instid0(VALU_DEP_1) | instskip(NEXT) | instid1(VALU_DEP_1)
	v_mul_f32_e32 v11, v12, v10
	v_fma_f32 v17, -v9, v11, v12
	s_delay_alu instid0(VALU_DEP_1) | instskip(NEXT) | instid1(VALU_DEP_1)
	v_fmac_f32_e32 v11, v17, v10
	v_fma_f32 v9, -v9, v11, v12
	s_delay_alu instid0(VALU_DEP_1) | instskip(NEXT) | instid1(VALU_DEP_1)
	v_div_fmas_f32 v9, v9, v10, v11
	v_div_fixup_f32 v9, v9, v2, v1
	s_delay_alu instid0(VALU_DEP_1) | instskip(NEXT) | instid1(VALU_DEP_1)
	v_fmac_f32_e32 v2, v1, v9
	v_div_scale_f32 v1, null, v2, v2, 1.0
	v_div_scale_f32 v12, vcc_lo, 1.0, v2, 1.0
	s_delay_alu instid0(VALU_DEP_2) | instskip(SKIP_2) | instid1(VALU_DEP_1)
	v_rcp_f32_e32 v10, v1
	s_waitcnt_depctr 0xfff
	v_fma_f32 v11, -v1, v10, 1.0
	v_fmac_f32_e32 v10, v11, v10
	s_delay_alu instid0(VALU_DEP_1) | instskip(NEXT) | instid1(VALU_DEP_1)
	v_mul_f32_e32 v11, v12, v10
	v_fma_f32 v17, -v1, v11, v12
	s_delay_alu instid0(VALU_DEP_1) | instskip(NEXT) | instid1(VALU_DEP_1)
	v_fmac_f32_e32 v11, v17, v10
	v_fma_f32 v1, -v1, v11, v12
                                        ; implicit-def: $vgpr12
	s_delay_alu instid0(VALU_DEP_1) | instskip(SKIP_1) | instid1(VALU_DEP_2)
	v_div_fmas_f32 v1, v1, v10, v11
	v_fma_f32 v10, v9, s9, s8
                                        ; implicit-def: $vgpr11
	v_div_fixup_f32 v1, v1, v2, 1.0
	v_fma_f32 v2, -v9, s8, s9
	s_delay_alu instid0(VALU_DEP_2) | instskip(NEXT) | instid1(VALU_DEP_2)
	v_mul_f32_e32 v9, v10, v1
	v_mul_f32_e32 v10, v2, v1
.LBB249_155:                            ;   in Loop: Header=BB249_4 Depth=1
	s_and_not1_saveexec_b32 s4, s2
	s_cbranch_execz .LBB249_157
; %bb.156:                              ;   in Loop: Header=BB249_4 Depth=1
	v_div_scale_f32 v1, null, v11, v11, s8
	v_div_scale_f32 v2, null, v12, v12, s9
	v_div_scale_f32 v19, vcc_lo, s8, v11, s8
	s_delay_alu instid0(VALU_DEP_3) | instskip(NEXT) | instid1(VALU_DEP_2)
	v_rcp_f32_e32 v9, v1
	v_rcp_f32_e32 v10, v2
	s_waitcnt_depctr 0xfff
	v_fma_f32 v17, -v1, v9, 1.0
	v_fma_f32 v18, -v2, v10, 1.0
	s_delay_alu instid0(VALU_DEP_1) | instskip(SKIP_1) | instid1(VALU_DEP_2)
	v_dual_fmac_f32 v9, v17, v9 :: v_dual_fmac_f32 v10, v18, v10
	v_div_scale_f32 v17, s2, s9, v12, s9
	v_mul_f32_e32 v18, v19, v9
	s_delay_alu instid0(VALU_DEP_2) | instskip(NEXT) | instid1(VALU_DEP_2)
	v_mul_f32_e32 v20, v17, v10
	v_fma_f32 v21, -v1, v18, v19
	s_delay_alu instid0(VALU_DEP_2) | instskip(NEXT) | instid1(VALU_DEP_2)
	v_fma_f32 v22, -v2, v20, v17
	v_fmac_f32_e32 v18, v21, v9
	s_delay_alu instid0(VALU_DEP_2) | instskip(NEXT) | instid1(VALU_DEP_2)
	v_fmac_f32_e32 v20, v22, v10
	v_fma_f32 v1, -v1, v18, v19
	s_delay_alu instid0(VALU_DEP_2) | instskip(NEXT) | instid1(VALU_DEP_2)
	v_fma_f32 v2, -v2, v20, v17
	v_div_fmas_f32 v1, v1, v9, v18
	s_mov_b32 vcc_lo, s2
	s_delay_alu instid0(VALU_DEP_2) | instskip(NEXT) | instid1(VALU_DEP_2)
	v_div_fmas_f32 v2, v2, v10, v20
	v_div_fixup_f32 v9, v1, v11, s8
	s_delay_alu instid0(VALU_DEP_2)
	v_div_fixup_f32 v10, v2, v12, s9
.LBB249_157:                            ;   in Loop: Header=BB249_4 Depth=1
	s_or_b32 exec_lo, exec_lo, s4
                                        ; implicit-def: $vgpr1
                                        ; implicit-def: $vgpr2
.LBB249_158:                            ;   in Loop: Header=BB249_4 Depth=1
	s_and_not1_saveexec_b32 s2, s3
	s_cbranch_execz .LBB249_160
; %bb.159:                              ;   in Loop: Header=BB249_4 Depth=1
	v_div_scale_f32 v9, null, v1, v1, v2
	v_div_scale_f32 v12, vcc_lo, v2, v1, v2
	s_delay_alu instid0(VALU_DEP_2) | instskip(SKIP_2) | instid1(VALU_DEP_1)
	v_rcp_f32_e32 v10, v9
	s_waitcnt_depctr 0xfff
	v_fma_f32 v11, -v9, v10, 1.0
	v_fmac_f32_e32 v10, v11, v10
	s_delay_alu instid0(VALU_DEP_1) | instskip(NEXT) | instid1(VALU_DEP_1)
	v_mul_f32_e32 v11, v12, v10
	v_fma_f32 v17, -v9, v11, v12
	s_delay_alu instid0(VALU_DEP_1) | instskip(NEXT) | instid1(VALU_DEP_1)
	v_fmac_f32_e32 v11, v17, v10
	v_fma_f32 v9, -v9, v11, v12
	s_delay_alu instid0(VALU_DEP_1) | instskip(NEXT) | instid1(VALU_DEP_1)
	v_div_fmas_f32 v9, v9, v10, v11
	v_div_fixup_f32 v9, v9, v1, v2
	s_delay_alu instid0(VALU_DEP_1) | instskip(NEXT) | instid1(VALU_DEP_1)
	v_fmac_f32_e32 v1, v2, v9
	v_div_scale_f32 v2, null, v1, v1, 1.0
	v_div_scale_f32 v12, vcc_lo, 1.0, v1, 1.0
	s_delay_alu instid0(VALU_DEP_2) | instskip(SKIP_2) | instid1(VALU_DEP_1)
	v_rcp_f32_e32 v10, v2
	s_waitcnt_depctr 0xfff
	v_fma_f32 v11, -v2, v10, 1.0
	v_fmac_f32_e32 v10, v11, v10
	s_delay_alu instid0(VALU_DEP_1) | instskip(NEXT) | instid1(VALU_DEP_1)
	v_mul_f32_e32 v11, v12, v10
	v_fma_f32 v17, -v2, v11, v12
	s_delay_alu instid0(VALU_DEP_1) | instskip(NEXT) | instid1(VALU_DEP_1)
	v_fmac_f32_e32 v11, v17, v10
	v_fma_f32 v2, -v2, v11, v12
	s_delay_alu instid0(VALU_DEP_1) | instskip(SKIP_1) | instid1(VALU_DEP_2)
	v_div_fmas_f32 v2, v2, v10, v11
	v_fma_f32 v10, v9, s8, s9
	v_div_fixup_f32 v1, v2, v1, 1.0
	v_fma_f32 v2, v9, s9, -s8
	s_delay_alu instid0(VALU_DEP_2) | instskip(NEXT) | instid1(VALU_DEP_2)
	v_mul_f32_e32 v9, v10, v1
	v_mul_f32_e32 v10, v2, v1
.LBB249_160:                            ;   in Loop: Header=BB249_4 Depth=1
	s_or_b32 exec_lo, exec_lo, s2
	v_and_b32_e32 v1, 0x7fffffff, v4
	v_xor_b32_e32 v11, 0x80000000, v4
                                        ; implicit-def: $vgpr12
	s_mov_b32 s2, exec_lo
	s_delay_alu instid0(VALU_DEP_2)
	v_cmpx_ne_u32_e32 0, v1
	s_xor_b32 s27, exec_lo, s2
	s_cbranch_execz .LBB249_202
; %bb.161:                              ;   in Loop: Header=BB249_4 Depth=1
	v_and_b32_e32 v2, 0x7fffffff, v3
                                        ; implicit-def: $vgpr12
	s_mov_b32 s2, exec_lo
	s_delay_alu instid0(VALU_DEP_1)
	v_cmpx_ne_u32_e32 0, v2
	s_xor_b32 s28, exec_lo, s2
	s_cbranch_execz .LBB249_191
; %bb.162:                              ;   in Loop: Header=BB249_4 Depth=1
	v_xor_b32_e32 v17, 0x80000000, v3
                                        ; implicit-def: $vgpr12
	s_mov_b32 s2, exec_lo
	v_cmpx_gt_u32_e32 0x7f800000, v1
	s_xor_b32 s29, exec_lo, s2
	s_cbranch_execz .LBB249_184
; %bb.163:                              ;   in Loop: Header=BB249_4 Depth=1
	v_add_nc_u32_e32 v2, 0xbd4e8de8, v17
                                        ; implicit-def: $vgpr12
	s_mov_b32 s2, exec_lo
	s_delay_alu instid0(VALU_DEP_1)
	v_cmpx_lt_u32_e32 0x8e8e5c, v2
	s_xor_b32 s30, exec_lo, s2
	s_cbranch_execz .LBB249_173
; %bb.164:                              ;   in Loop: Header=BB249_4 Depth=1
	v_cmp_ngt_f32_e64 s31, 0x48000000, |v4|
                                        ; implicit-def: $vgpr17
                                        ; implicit-def: $vgpr2
	s_delay_alu instid0(VALU_DEP_1) | instskip(NEXT) | instid1(SALU_CYCLE_1)
	s_and_saveexec_b32 s2, s31
	s_xor_b32 s33, exec_lo, s2
	s_cbranch_execz .LBB249_166
; %bb.165:                              ;   in Loop: Header=BB249_4 Depth=1
	v_and_or_b32 v2, v1, s23, 0x800000
	v_lshrrev_b32_e32 v22, 23, v1
	s_delay_alu instid0(VALU_DEP_2) | instskip(NEXT) | instid1(VALU_DEP_2)
	v_mad_u64_u32 v[17:18], null, 0xfe5163ab, v2, 0
	v_add_nc_u32_e32 v23, 0xffffff88, v22
	s_delay_alu instid0(VALU_DEP_1) | instskip(NEXT) | instid1(VALU_DEP_3)
	v_cmp_lt_u32_e32 vcc_lo, 63, v23
	v_mov_b32_e32 v12, v18
	v_cndmask_b32_e64 v24, 0, 0xffffffc0, vcc_lo
	s_delay_alu instid0(VALU_DEP_2) | instskip(NEXT) | instid1(VALU_DEP_2)
	v_mad_u64_u32 v[18:19], null, 0x3c439041, v2, v[12:13]
	v_add_nc_u32_e32 v24, v24, v23
	s_delay_alu instid0(VALU_DEP_1) | instskip(NEXT) | instid1(VALU_DEP_1)
	v_cmp_lt_u32_e64 s2, 31, v24
	v_cndmask_b32_e64 v25, 0, 0xffffffe0, s2
	s_delay_alu instid0(VALU_DEP_1) | instskip(NEXT) | instid1(VALU_DEP_1)
	v_dual_mov_b32 v12, v19 :: v_dual_add_nc_u32 v25, v25, v24
	v_mad_u64_u32 v[19:20], null, 0xdb629599, v2, v[12:13]
	s_delay_alu instid0(VALU_DEP_2) | instskip(NEXT) | instid1(VALU_DEP_2)
	v_cmp_lt_u32_e64 s3, 31, v25
	v_dual_mov_b32 v12, v20 :: v_dual_cndmask_b32 v17, v19, v17
	s_delay_alu instid0(VALU_DEP_1) | instskip(NEXT) | instid1(VALU_DEP_1)
	v_mad_u64_u32 v[20:21], null, 0xf534ddc0, v2, v[12:13]
	v_mov_b32_e32 v12, v21
	s_delay_alu instid0(VALU_DEP_2) | instskip(NEXT) | instid1(VALU_DEP_2)
	v_cndmask_b32_e32 v18, v20, v18, vcc_lo
	v_mad_u64_u32 v[21:22], null, 0xfc2757d1, v2, v[12:13]
	s_delay_alu instid0(VALU_DEP_2) | instskip(NEXT) | instid1(VALU_DEP_2)
	v_cndmask_b32_e64 v17, v18, v17, s2
	v_mov_b32_e32 v12, v22
	s_delay_alu instid0(VALU_DEP_1) | instskip(NEXT) | instid1(VALU_DEP_1)
	v_mad_u64_u32 v[22:23], null, 0x4e441529, v2, v[12:13]
	v_mov_b32_e32 v12, v23
	s_delay_alu instid0(VALU_DEP_1) | instskip(SKIP_1) | instid1(VALU_DEP_4)
	v_mad_u64_u32 v[23:24], null, 0xa2f9836e, v2, v[12:13]
	v_cndmask_b32_e64 v2, 0, 0xffffffe0, s3
	v_cndmask_b32_e32 v12, v22, v20, vcc_lo
	s_delay_alu instid0(VALU_DEP_2) | instskip(NEXT) | instid1(VALU_DEP_4)
	v_add_nc_u32_e32 v2, v2, v25
	v_dual_cndmask_b32 v23, v23, v21 :: v_dual_cndmask_b32 v22, v24, v22
	v_cndmask_b32_e32 v21, v21, v19, vcc_lo
	s_delay_alu instid0(VALU_DEP_3) | instskip(NEXT) | instid1(VALU_DEP_3)
	v_cmp_eq_u32_e64 s4, 0, v2
	v_cndmask_b32_e64 v20, v23, v12, s2
	s_delay_alu instid0(VALU_DEP_4) | instskip(NEXT) | instid1(VALU_DEP_4)
	v_cndmask_b32_e64 v22, v22, v23, s2
	v_cndmask_b32_e64 v12, v12, v21, s2
	v_sub_nc_u32_e32 v23, 32, v2
	v_cndmask_b32_e64 v21, v21, v18, s2
	s_delay_alu instid0(VALU_DEP_4) | instskip(NEXT) | instid1(VALU_DEP_4)
	v_cndmask_b32_e64 v22, v22, v20, s3
	v_cndmask_b32_e64 v20, v20, v12, s3
	s_delay_alu instid0(VALU_DEP_3) | instskip(SKIP_1) | instid1(VALU_DEP_3)
	v_cndmask_b32_e64 v12, v12, v21, s3
	v_cndmask_b32_e64 v17, v21, v17, s3
	v_alignbit_b32 v24, v22, v20, v23
	s_delay_alu instid0(VALU_DEP_3) | instskip(NEXT) | instid1(VALU_DEP_3)
	v_alignbit_b32 v25, v20, v12, v23
	v_alignbit_b32 v23, v12, v17, v23
	s_delay_alu instid0(VALU_DEP_3) | instskip(NEXT) | instid1(VALU_DEP_3)
	v_cndmask_b32_e64 v2, v24, v22, s4
	v_cndmask_b32_e64 v19, v25, v20, s4
	s_delay_alu instid0(VALU_DEP_3) | instskip(NEXT) | instid1(VALU_DEP_3)
	v_cndmask_b32_e64 v12, v23, v12, s4
	v_bfe_u32 v20, v2, 29, 1
	s_delay_alu instid0(VALU_DEP_3) | instskip(NEXT) | instid1(VALU_DEP_3)
	v_alignbit_b32 v18, v2, v19, 30
	v_alignbit_b32 v19, v19, v12, 30
	;; [unrolled: 1-line block ×3, first 2 shown]
	s_delay_alu instid0(VALU_DEP_4) | instskip(NEXT) | instid1(VALU_DEP_1)
	v_sub_nc_u32_e32 v22, 0, v20
	v_xor_b32_e32 v21, v18, v22
	v_cmp_ne_u32_e32 vcc_lo, v18, v22
	v_xor_b32_e32 v17, v19, v22
	v_xor_b32_e32 v12, v12, v22
	s_delay_alu instid0(VALU_DEP_4) | instskip(NEXT) | instid1(VALU_DEP_1)
	v_clz_i32_u32_e32 v24, v21
	v_add_nc_u32_e32 v23, 1, v24
	s_delay_alu instid0(VALU_DEP_1) | instskip(NEXT) | instid1(VALU_DEP_1)
	v_cndmask_b32_e32 v18, 33, v23, vcc_lo
	v_sub_nc_u32_e32 v19, 32, v18
	s_delay_alu instid0(VALU_DEP_1) | instskip(SKIP_2) | instid1(VALU_DEP_2)
	v_alignbit_b32 v21, v21, v17, v19
	v_alignbit_b32 v12, v17, v12, v19
	v_lshrrev_b32_e32 v17, 29, v2
	v_alignbit_b32 v19, v21, v12, 9
	s_delay_alu instid0(VALU_DEP_2) | instskip(SKIP_1) | instid1(VALU_DEP_3)
	v_lshlrev_b32_e32 v17, 31, v17
	v_alignbit_b32 v21, v18, v21, 9
	v_clz_i32_u32_e32 v22, v19
	s_delay_alu instid0(VALU_DEP_2) | instskip(SKIP_1) | instid1(VALU_DEP_3)
	v_or_b32_e32 v21, v21, v17
	v_or_b32_e32 v17, 0x33800000, v17
	v_min_u32_e32 v22, 32, v22
	s_delay_alu instid0(VALU_DEP_3) | instskip(NEXT) | instid1(VALU_DEP_2)
	v_xor_b32_e32 v21, 1.0, v21
	v_sub_nc_u32_e32 v23, 31, v22
	v_add_lshl_u32 v18, v22, v18, 23
	s_delay_alu instid0(VALU_DEP_3) | instskip(NEXT) | instid1(VALU_DEP_3)
	v_mul_f32_e32 v22, 0x3fc90fda, v21
	v_alignbit_b32 v12, v19, v12, v23
	s_delay_alu instid0(VALU_DEP_3) | instskip(NEXT) | instid1(VALU_DEP_3)
	v_sub_nc_u32_e32 v17, v17, v18
	v_fma_f32 v18, 0x3fc90fda, v21, -v22
	s_delay_alu instid0(VALU_DEP_3) | instskip(NEXT) | instid1(VALU_DEP_2)
	v_lshrrev_b32_e32 v12, 9, v12
	v_fmac_f32_e32 v18, 0x33a22168, v21
	s_delay_alu instid0(VALU_DEP_2) | instskip(NEXT) | instid1(VALU_DEP_1)
	v_or_b32_e32 v12, v17, v12
	v_fmac_f32_e32 v18, 0x3fc90fda, v12
	v_lshrrev_b32_e32 v12, 30, v2
	s_delay_alu instid0(VALU_DEP_1)
	v_dual_add_f32 v2, v22, v18 :: v_dual_add_nc_u32 v17, v20, v12
	s_and_not1_saveexec_b32 s2, s33
	s_branch .LBB249_167
.LBB249_166:                            ;   in Loop: Header=BB249_4 Depth=1
	s_and_not1_saveexec_b32 s2, s33
.LBB249_167:                            ;   in Loop: Header=BB249_4 Depth=1
	v_mul_f32_e64 v2, 0x3f22f983, |v4|
	s_delay_alu instid0(VALU_DEP_1) | instskip(NEXT) | instid1(VALU_DEP_1)
	v_rndne_f32_e32 v12, v2
	v_fma_f32 v2, 0xbfc90fda, v12, |v4|
	v_cvt_i32_f32_e32 v17, v12
	s_delay_alu instid0(VALU_DEP_2) | instskip(NEXT) | instid1(VALU_DEP_1)
	v_fmac_f32_e32 v2, 0xb3a22168, v12
	v_fmac_f32_e32 v2, 0xa7c234c4, v12
; %bb.168:                              ;   in Loop: Header=BB249_4 Depth=1
	s_or_b32 exec_lo, exec_lo, s2
                                        ; implicit-def: $vgpr18
                                        ; implicit-def: $vgpr12
	s_and_saveexec_b32 s2, s31
	s_delay_alu instid0(SALU_CYCLE_1)
	s_xor_b32 s31, exec_lo, s2
	s_cbranch_execz .LBB249_170
; %bb.169:                              ;   in Loop: Header=BB249_4 Depth=1
	v_lshrrev_b32_e32 v23, 23, v1
	v_and_or_b32 v26, v1, s23, 0x800000
	s_delay_alu instid0(VALU_DEP_2) | instskip(NEXT) | instid1(VALU_DEP_2)
	v_add_nc_u32_e32 v24, 0xffffff88, v23
	v_mad_u64_u32 v[18:19], null, 0xfe5163ab, v26, 0
	s_delay_alu instid0(VALU_DEP_2) | instskip(SKIP_1) | instid1(VALU_DEP_1)
	v_cmp_lt_u32_e32 vcc_lo, 63, v24
	v_cndmask_b32_e64 v25, 0, 0xffffffc0, vcc_lo
	v_dual_mov_b32 v12, v19 :: v_dual_add_nc_u32 v25, v25, v24
	s_delay_alu instid0(VALU_DEP_1) | instskip(NEXT) | instid1(VALU_DEP_2)
	v_mad_u64_u32 v[19:20], null, 0x3c439041, v26, v[12:13]
	v_cmp_lt_u32_e64 s2, 31, v25
	s_delay_alu instid0(VALU_DEP_1) | instskip(NEXT) | instid1(VALU_DEP_1)
	v_cndmask_b32_e64 v27, 0, 0xffffffe0, s2
	v_dual_mov_b32 v12, v20 :: v_dual_add_nc_u32 v27, v27, v25
	s_delay_alu instid0(VALU_DEP_1) | instskip(NEXT) | instid1(VALU_DEP_2)
	v_mad_u64_u32 v[20:21], null, 0xdb629599, v26, v[12:13]
	v_cmp_lt_u32_e64 s3, 31, v27
	s_delay_alu instid0(VALU_DEP_2) | instskip(NEXT) | instid1(VALU_DEP_3)
	v_mov_b32_e32 v12, v21
	v_cndmask_b32_e32 v18, v20, v18, vcc_lo
	s_delay_alu instid0(VALU_DEP_2) | instskip(NEXT) | instid1(VALU_DEP_1)
	v_mad_u64_u32 v[21:22], null, 0xf534ddc0, v26, v[12:13]
	v_dual_mov_b32 v12, v22 :: v_dual_cndmask_b32 v19, v21, v19
	s_delay_alu instid0(VALU_DEP_1) | instskip(NEXT) | instid1(VALU_DEP_2)
	v_mad_u64_u32 v[22:23], null, 0xfc2757d1, v26, v[12:13]
	v_cndmask_b32_e64 v18, v19, v18, s2
	s_delay_alu instid0(VALU_DEP_2) | instskip(NEXT) | instid1(VALU_DEP_1)
	v_mov_b32_e32 v12, v23
	v_mad_u64_u32 v[23:24], null, 0x4e441529, v26, v[12:13]
	s_delay_alu instid0(VALU_DEP_1) | instskip(NEXT) | instid1(VALU_DEP_1)
	v_mov_b32_e32 v12, v24
	v_mad_u64_u32 v[24:25], null, 0xa2f9836e, v26, v[12:13]
	v_cndmask_b32_e64 v12, 0, 0xffffffe0, s3
	s_delay_alu instid0(VALU_DEP_4) | instskip(NEXT) | instid1(VALU_DEP_2)
	v_cndmask_b32_e32 v26, v23, v21, vcc_lo
	v_add_nc_u32_e32 v12, v12, v27
	s_delay_alu instid0(VALU_DEP_4) | instskip(SKIP_1) | instid1(VALU_DEP_3)
	v_dual_cndmask_b32 v24, v24, v22 :: v_dual_cndmask_b32 v23, v25, v23
	v_cndmask_b32_e32 v22, v22, v20, vcc_lo
	v_sub_nc_u32_e32 v25, 32, v12
	s_delay_alu instid0(VALU_DEP_3) | instskip(NEXT) | instid1(VALU_DEP_4)
	v_cndmask_b32_e64 v21, v24, v26, s2
	v_cndmask_b32_e64 v23, v23, v24, s2
	s_delay_alu instid0(VALU_DEP_4) | instskip(SKIP_2) | instid1(VALU_DEP_4)
	v_cndmask_b32_e64 v24, v26, v22, s2
	v_cndmask_b32_e64 v22, v22, v19, s2
	v_cmp_eq_u32_e64 s4, 0, v12
	v_cndmask_b32_e64 v23, v23, v21, s3
	s_delay_alu instid0(VALU_DEP_4) | instskip(NEXT) | instid1(VALU_DEP_4)
	v_cndmask_b32_e64 v21, v21, v24, s3
	v_cndmask_b32_e64 v24, v24, v22, s3
	;; [unrolled: 1-line block ×3, first 2 shown]
	s_delay_alu instid0(VALU_DEP_3) | instskip(NEXT) | instid1(VALU_DEP_3)
	v_alignbit_b32 v26, v23, v21, v25
	v_alignbit_b32 v27, v21, v24, v25
	s_delay_alu instid0(VALU_DEP_3) | instskip(NEXT) | instid1(VALU_DEP_3)
	v_alignbit_b32 v25, v24, v18, v25
	v_cndmask_b32_e64 v12, v26, v23, s4
	s_delay_alu instid0(VALU_DEP_3) | instskip(NEXT) | instid1(VALU_DEP_3)
	v_cndmask_b32_e64 v20, v27, v21, s4
	v_cndmask_b32_e64 v24, v25, v24, s4
	s_delay_alu instid0(VALU_DEP_3) | instskip(NEXT) | instid1(VALU_DEP_3)
	v_bfe_u32 v21, v12, 29, 1
	v_alignbit_b32 v19, v12, v20, 30
	s_delay_alu instid0(VALU_DEP_3) | instskip(SKIP_1) | instid1(VALU_DEP_4)
	v_alignbit_b32 v20, v20, v24, 30
	v_alignbit_b32 v18, v24, v18, 30
	v_sub_nc_u32_e32 v23, 0, v21
	s_delay_alu instid0(VALU_DEP_1) | instskip(SKIP_3) | instid1(VALU_DEP_4)
	v_xor_b32_e32 v22, v19, v23
	v_cmp_ne_u32_e32 vcc_lo, v19, v23
	v_xor_b32_e32 v20, v20, v23
	v_xor_b32_e32 v18, v18, v23
	v_clz_i32_u32_e32 v26, v22
	s_delay_alu instid0(VALU_DEP_1) | instskip(NEXT) | instid1(VALU_DEP_1)
	v_add_nc_u32_e32 v25, 1, v26
	v_cndmask_b32_e32 v19, 33, v25, vcc_lo
	s_delay_alu instid0(VALU_DEP_1) | instskip(NEXT) | instid1(VALU_DEP_1)
	v_sub_nc_u32_e32 v24, 32, v19
	v_alignbit_b32 v22, v22, v20, v24
	v_alignbit_b32 v18, v20, v18, v24
	v_lshrrev_b32_e32 v20, 29, v12
	s_delay_alu instid0(VALU_DEP_2) | instskip(NEXT) | instid1(VALU_DEP_2)
	v_alignbit_b32 v23, v22, v18, 9
	v_lshlrev_b32_e32 v20, 31, v20
	v_alignbit_b32 v22, v19, v22, 9
	s_delay_alu instid0(VALU_DEP_3) | instskip(NEXT) | instid1(VALU_DEP_2)
	v_clz_i32_u32_e32 v24, v23
	v_or_b32_e32 v22, v22, v20
	v_or_b32_e32 v20, 0x33800000, v20
	s_delay_alu instid0(VALU_DEP_3) | instskip(NEXT) | instid1(VALU_DEP_3)
	v_min_u32_e32 v24, 32, v24
	v_xor_b32_e32 v22, 1.0, v22
	s_delay_alu instid0(VALU_DEP_2) | instskip(SKIP_1) | instid1(VALU_DEP_3)
	v_sub_nc_u32_e32 v25, 31, v24
	v_add_lshl_u32 v19, v24, v19, 23
	v_mul_f32_e32 v24, 0x3fc90fda, v22
	s_delay_alu instid0(VALU_DEP_3) | instskip(NEXT) | instid1(VALU_DEP_3)
	v_alignbit_b32 v18, v23, v18, v25
	v_sub_nc_u32_e32 v19, v20, v19
	s_delay_alu instid0(VALU_DEP_3) | instskip(NEXT) | instid1(VALU_DEP_3)
	v_fma_f32 v20, 0x3fc90fda, v22, -v24
	v_lshrrev_b32_e32 v18, 9, v18
	s_delay_alu instid0(VALU_DEP_2) | instskip(NEXT) | instid1(VALU_DEP_2)
	v_fmac_f32_e32 v20, 0x33a22168, v22
	v_or_b32_e32 v18, v19, v18
	s_delay_alu instid0(VALU_DEP_1) | instskip(SKIP_1) | instid1(VALU_DEP_2)
	v_fmac_f32_e32 v20, 0x3fc90fda, v18
	v_lshrrev_b32_e32 v18, 30, v12
	v_add_f32_e32 v12, v24, v20
	s_delay_alu instid0(VALU_DEP_2)
	v_add_nc_u32_e32 v18, v21, v18
	s_and_not1_saveexec_b32 s2, s31
	s_cbranch_execnz .LBB249_171
	s_branch .LBB249_172
.LBB249_170:                            ;   in Loop: Header=BB249_4 Depth=1
	s_and_not1_saveexec_b32 s2, s31
.LBB249_171:                            ;   in Loop: Header=BB249_4 Depth=1
	v_mul_f32_e64 v12, 0x3f22f983, |v4|
	s_delay_alu instid0(VALU_DEP_1) | instskip(NEXT) | instid1(VALU_DEP_1)
	v_rndne_f32_e32 v18, v12
	v_fma_f32 v12, 0xbfc90fda, v18, |v4|
	s_delay_alu instid0(VALU_DEP_1) | instskip(NEXT) | instid1(VALU_DEP_1)
	v_fmac_f32_e32 v12, 0xb3a22168, v18
	v_fmac_f32_e32 v12, 0xa7c234c4, v18
	v_cvt_i32_f32_e32 v18, v18
.LBB249_172:                            ;   in Loop: Header=BB249_4 Depth=1
	s_or_b32 exec_lo, exec_lo, s2
	v_dual_mul_f32 v19, 0xbfb8aa3b, v3 :: v_dual_mul_f32 v20, v2, v2
	s_delay_alu instid0(VALU_DEP_3) | instskip(SKIP_1) | instid1(VALU_DEP_3)
	v_dual_mul_f32 v24, v12, v12 :: v_dual_and_b32 v21, 1, v17
	v_lshlrev_b32_e32 v17, 30, v17
	v_rndne_f32_e32 v22, v19
	s_delay_alu instid0(VALU_DEP_4) | instskip(SKIP_4) | instid1(VALU_DEP_4)
	v_fmaak_f32 v26, s24, v20, 0x3c0881c4
	v_fma_f32 v23, 0xbfb8aa3b, v3, -v19
	v_dual_fmaak_f32 v28, s24, v24, 0x3c0881c4 :: v_dual_and_b32 v25, 1, v18
	v_dual_fmaak_f32 v27, s25, v20, 0xbab64f3b :: v_dual_lshlrev_b32 v18, 30, v18
	v_sub_f32_e32 v19, v19, v22
	v_fmac_f32_e32 v23, 0xb2a5705f, v3
	v_cmp_eq_u32_e32 vcc_lo, 0, v21
	v_cvt_i32_f32_e32 v22, v22
	v_and_b32_e32 v17, 0x80000000, v17
	v_and_or_b32 v1, 0x80000000, v18, v1
	v_add_f32_e32 v19, v19, v23
	v_fmaak_f32 v23, v20, v26, 0xbe2aaa9d
	v_cmp_ngt_f32_e64 s2, 0xc2b17218, v3
	s_delay_alu instid0(VALU_DEP_2) | instskip(NEXT) | instid1(VALU_DEP_1)
	v_mul_f32_e32 v23, v20, v23
	v_fmac_f32_e32 v2, v2, v23
	v_fmaak_f32 v26, v20, v27, 0x3d2aabf7
	v_fmaak_f32 v27, v24, v28, 0xbe2aaa9d
	s_delay_alu instid0(VALU_DEP_2) | instskip(NEXT) | instid1(VALU_DEP_1)
	v_fmaak_f32 v26, v20, v26, 0xbf000004
	v_fma_f32 v20, v20, v26, 1.0
	s_delay_alu instid0(VALU_DEP_1) | instskip(SKIP_3) | instid1(VALU_DEP_4)
	v_cndmask_b32_e64 v2, -v2, v20, vcc_lo
	v_cmp_eq_u32_e32 vcc_lo, 0, v25
	v_mul_f32_e32 v27, v24, v27
	v_fmaak_f32 v29, s25, v24, 0xbab64f3b
	v_xor_b32_e32 v2, v17, v2
	s_delay_alu instid0(VALU_DEP_3) | instskip(NEXT) | instid1(VALU_DEP_3)
	v_fmac_f32_e32 v12, v12, v27
	v_fmaak_f32 v28, v24, v29, 0x3d2aabf7
	v_exp_f32_e32 v19, v19
	s_delay_alu instid0(VALU_DEP_1) | instskip(NEXT) | instid1(VALU_DEP_1)
	v_fmaak_f32 v28, v24, v28, 0xbf000004
	v_fma_f32 v23, v24, v28, 1.0
	s_waitcnt_depctr 0xfff
	v_ldexp_f32 v19, v19, v22
	v_cndmask_b32_e32 v12, v23, v12, vcc_lo
	v_cmp_nlt_f32_e32 vcc_lo, 0x42ce8ed0, v3
	s_delay_alu instid0(VALU_DEP_2) | instskip(NEXT) | instid1(VALU_DEP_4)
	v_xor3_b32 v1, v1, v12, v11
	v_cndmask_b32_e32 v18, 0, v19, vcc_lo
	v_cmp_class_f32_e64 vcc_lo, v4, 0x1f8
	s_delay_alu instid0(VALU_DEP_2) | instskip(SKIP_1) | instid1(VALU_DEP_1)
	v_cndmask_b32_e64 v3, 0x7f800000, v18, s2
	v_cndmask_b32_e32 v2, 0x7fc00000, v2, vcc_lo
	v_dual_cndmask_b32 v1, 0x7fc00000, v1 :: v_dual_mul_f32 v12, v3, v2
	s_delay_alu instid0(VALU_DEP_1)
	v_mul_f32_e32 v11, v3, v1
                                        ; implicit-def: $vgpr1_vgpr2_vgpr3_vgpr4
                                        ; implicit-def: $vgpr1
.LBB249_173:                            ;   in Loop: Header=BB249_4 Depth=1
	s_and_not1_saveexec_b32 s30, s30
	s_cbranch_execz .LBB249_183
; %bb.174:                              ;   in Loop: Header=BB249_4 Depth=1
	v_cmp_ngt_f32_e64 s31, 0x48000000, |v4|
                                        ; implicit-def: $vgpr17
                                        ; implicit-def: $vgpr2
	s_delay_alu instid0(VALU_DEP_1) | instskip(NEXT) | instid1(SALU_CYCLE_1)
	s_and_saveexec_b32 s2, s31
	s_xor_b32 s33, exec_lo, s2
	s_cbranch_execz .LBB249_176
; %bb.175:                              ;   in Loop: Header=BB249_4 Depth=1
	v_and_or_b32 v2, v1, s23, 0x800000
	v_lshrrev_b32_e32 v22, 23, v1
	s_delay_alu instid0(VALU_DEP_2) | instskip(NEXT) | instid1(VALU_DEP_2)
	v_mad_u64_u32 v[17:18], null, 0xfe5163ab, v2, 0
	v_add_nc_u32_e32 v23, 0xffffff88, v22
	s_delay_alu instid0(VALU_DEP_1) | instskip(NEXT) | instid1(VALU_DEP_3)
	v_cmp_lt_u32_e32 vcc_lo, 63, v23
	v_mov_b32_e32 v12, v18
	v_cndmask_b32_e64 v24, 0, 0xffffffc0, vcc_lo
	s_delay_alu instid0(VALU_DEP_2) | instskip(NEXT) | instid1(VALU_DEP_2)
	v_mad_u64_u32 v[18:19], null, 0x3c439041, v2, v[12:13]
	v_add_nc_u32_e32 v24, v24, v23
	s_delay_alu instid0(VALU_DEP_1) | instskip(NEXT) | instid1(VALU_DEP_1)
	v_cmp_lt_u32_e64 s2, 31, v24
	v_cndmask_b32_e64 v25, 0, 0xffffffe0, s2
	s_delay_alu instid0(VALU_DEP_1) | instskip(NEXT) | instid1(VALU_DEP_1)
	v_dual_mov_b32 v12, v19 :: v_dual_add_nc_u32 v25, v25, v24
	v_mad_u64_u32 v[19:20], null, 0xdb629599, v2, v[12:13]
	s_delay_alu instid0(VALU_DEP_2) | instskip(NEXT) | instid1(VALU_DEP_2)
	v_cmp_lt_u32_e64 s3, 31, v25
	v_dual_mov_b32 v12, v20 :: v_dual_cndmask_b32 v17, v19, v17
	s_delay_alu instid0(VALU_DEP_1) | instskip(NEXT) | instid1(VALU_DEP_1)
	v_mad_u64_u32 v[20:21], null, 0xf534ddc0, v2, v[12:13]
	v_mov_b32_e32 v12, v21
	s_delay_alu instid0(VALU_DEP_2) | instskip(NEXT) | instid1(VALU_DEP_2)
	v_cndmask_b32_e32 v18, v20, v18, vcc_lo
	v_mad_u64_u32 v[21:22], null, 0xfc2757d1, v2, v[12:13]
	s_delay_alu instid0(VALU_DEP_2) | instskip(NEXT) | instid1(VALU_DEP_2)
	v_cndmask_b32_e64 v17, v18, v17, s2
	v_mov_b32_e32 v12, v22
	s_delay_alu instid0(VALU_DEP_1) | instskip(NEXT) | instid1(VALU_DEP_1)
	v_mad_u64_u32 v[22:23], null, 0x4e441529, v2, v[12:13]
	v_mov_b32_e32 v12, v23
	s_delay_alu instid0(VALU_DEP_1) | instskip(SKIP_1) | instid1(VALU_DEP_4)
	v_mad_u64_u32 v[23:24], null, 0xa2f9836e, v2, v[12:13]
	v_cndmask_b32_e64 v2, 0, 0xffffffe0, s3
	v_cndmask_b32_e32 v12, v22, v20, vcc_lo
	s_delay_alu instid0(VALU_DEP_2) | instskip(NEXT) | instid1(VALU_DEP_4)
	v_add_nc_u32_e32 v2, v2, v25
	v_dual_cndmask_b32 v23, v23, v21 :: v_dual_cndmask_b32 v22, v24, v22
	v_cndmask_b32_e32 v21, v21, v19, vcc_lo
	s_delay_alu instid0(VALU_DEP_3) | instskip(NEXT) | instid1(VALU_DEP_3)
	v_cmp_eq_u32_e64 s4, 0, v2
	v_cndmask_b32_e64 v20, v23, v12, s2
	s_delay_alu instid0(VALU_DEP_4) | instskip(NEXT) | instid1(VALU_DEP_4)
	v_cndmask_b32_e64 v22, v22, v23, s2
	v_cndmask_b32_e64 v12, v12, v21, s2
	v_sub_nc_u32_e32 v23, 32, v2
	v_cndmask_b32_e64 v21, v21, v18, s2
	s_delay_alu instid0(VALU_DEP_4) | instskip(NEXT) | instid1(VALU_DEP_4)
	v_cndmask_b32_e64 v22, v22, v20, s3
	v_cndmask_b32_e64 v20, v20, v12, s3
	s_delay_alu instid0(VALU_DEP_3) | instskip(SKIP_1) | instid1(VALU_DEP_3)
	v_cndmask_b32_e64 v12, v12, v21, s3
	v_cndmask_b32_e64 v17, v21, v17, s3
	v_alignbit_b32 v24, v22, v20, v23
	s_delay_alu instid0(VALU_DEP_3) | instskip(NEXT) | instid1(VALU_DEP_3)
	v_alignbit_b32 v25, v20, v12, v23
	v_alignbit_b32 v23, v12, v17, v23
	s_delay_alu instid0(VALU_DEP_3) | instskip(NEXT) | instid1(VALU_DEP_3)
	v_cndmask_b32_e64 v2, v24, v22, s4
	v_cndmask_b32_e64 v19, v25, v20, s4
	s_delay_alu instid0(VALU_DEP_3) | instskip(NEXT) | instid1(VALU_DEP_3)
	v_cndmask_b32_e64 v12, v23, v12, s4
	v_bfe_u32 v20, v2, 29, 1
	s_delay_alu instid0(VALU_DEP_3) | instskip(NEXT) | instid1(VALU_DEP_3)
	v_alignbit_b32 v18, v2, v19, 30
	v_alignbit_b32 v19, v19, v12, 30
	;; [unrolled: 1-line block ×3, first 2 shown]
	s_delay_alu instid0(VALU_DEP_4) | instskip(NEXT) | instid1(VALU_DEP_1)
	v_sub_nc_u32_e32 v22, 0, v20
	v_xor_b32_e32 v21, v18, v22
	v_cmp_ne_u32_e32 vcc_lo, v18, v22
	v_xor_b32_e32 v17, v19, v22
	v_xor_b32_e32 v12, v12, v22
	s_delay_alu instid0(VALU_DEP_4) | instskip(NEXT) | instid1(VALU_DEP_1)
	v_clz_i32_u32_e32 v24, v21
	v_add_nc_u32_e32 v23, 1, v24
	s_delay_alu instid0(VALU_DEP_1) | instskip(NEXT) | instid1(VALU_DEP_1)
	v_cndmask_b32_e32 v18, 33, v23, vcc_lo
	v_sub_nc_u32_e32 v19, 32, v18
	s_delay_alu instid0(VALU_DEP_1) | instskip(SKIP_2) | instid1(VALU_DEP_2)
	v_alignbit_b32 v21, v21, v17, v19
	v_alignbit_b32 v12, v17, v12, v19
	v_lshrrev_b32_e32 v17, 29, v2
	v_alignbit_b32 v19, v21, v12, 9
	s_delay_alu instid0(VALU_DEP_2) | instskip(SKIP_1) | instid1(VALU_DEP_3)
	v_lshlrev_b32_e32 v17, 31, v17
	v_alignbit_b32 v21, v18, v21, 9
	v_clz_i32_u32_e32 v22, v19
	s_delay_alu instid0(VALU_DEP_2) | instskip(SKIP_1) | instid1(VALU_DEP_3)
	v_or_b32_e32 v21, v21, v17
	v_or_b32_e32 v17, 0x33800000, v17
	v_min_u32_e32 v22, 32, v22
	s_delay_alu instid0(VALU_DEP_3) | instskip(NEXT) | instid1(VALU_DEP_2)
	v_xor_b32_e32 v21, 1.0, v21
	v_sub_nc_u32_e32 v23, 31, v22
	v_add_lshl_u32 v18, v22, v18, 23
	s_delay_alu instid0(VALU_DEP_3) | instskip(NEXT) | instid1(VALU_DEP_3)
	v_mul_f32_e32 v22, 0x3fc90fda, v21
	v_alignbit_b32 v12, v19, v12, v23
	s_delay_alu instid0(VALU_DEP_3) | instskip(NEXT) | instid1(VALU_DEP_3)
	v_sub_nc_u32_e32 v17, v17, v18
	v_fma_f32 v18, 0x3fc90fda, v21, -v22
	s_delay_alu instid0(VALU_DEP_3) | instskip(NEXT) | instid1(VALU_DEP_2)
	v_lshrrev_b32_e32 v12, 9, v12
	v_fmac_f32_e32 v18, 0x33a22168, v21
	s_delay_alu instid0(VALU_DEP_2) | instskip(NEXT) | instid1(VALU_DEP_1)
	v_or_b32_e32 v12, v17, v12
	v_fmac_f32_e32 v18, 0x3fc90fda, v12
	v_lshrrev_b32_e32 v12, 30, v2
	s_delay_alu instid0(VALU_DEP_1)
	v_dual_add_f32 v2, v22, v18 :: v_dual_add_nc_u32 v17, v20, v12
	s_and_not1_saveexec_b32 s2, s33
	s_branch .LBB249_177
.LBB249_176:                            ;   in Loop: Header=BB249_4 Depth=1
	s_and_not1_saveexec_b32 s2, s33
.LBB249_177:                            ;   in Loop: Header=BB249_4 Depth=1
	v_mul_f32_e64 v2, 0x3f22f983, |v4|
	s_delay_alu instid0(VALU_DEP_1) | instskip(NEXT) | instid1(VALU_DEP_1)
	v_rndne_f32_e32 v12, v2
	v_fma_f32 v2, 0xbfc90fda, v12, |v4|
	v_cvt_i32_f32_e32 v17, v12
	s_delay_alu instid0(VALU_DEP_2) | instskip(NEXT) | instid1(VALU_DEP_1)
	v_fmac_f32_e32 v2, 0xb3a22168, v12
	v_fmac_f32_e32 v2, 0xa7c234c4, v12
; %bb.178:                              ;   in Loop: Header=BB249_4 Depth=1
	s_or_b32 exec_lo, exec_lo, s2
                                        ; implicit-def: $vgpr18
                                        ; implicit-def: $vgpr12
	s_and_saveexec_b32 s2, s31
	s_delay_alu instid0(SALU_CYCLE_1)
	s_xor_b32 s31, exec_lo, s2
	s_cbranch_execz .LBB249_180
; %bb.179:                              ;   in Loop: Header=BB249_4 Depth=1
	v_lshrrev_b32_e32 v23, 23, v1
	v_and_or_b32 v26, v1, s23, 0x800000
	s_delay_alu instid0(VALU_DEP_2) | instskip(NEXT) | instid1(VALU_DEP_2)
	v_add_nc_u32_e32 v24, 0xffffff88, v23
	v_mad_u64_u32 v[18:19], null, 0xfe5163ab, v26, 0
	s_delay_alu instid0(VALU_DEP_2) | instskip(SKIP_1) | instid1(VALU_DEP_1)
	v_cmp_lt_u32_e32 vcc_lo, 63, v24
	v_cndmask_b32_e64 v25, 0, 0xffffffc0, vcc_lo
	v_dual_mov_b32 v12, v19 :: v_dual_add_nc_u32 v25, v25, v24
	s_delay_alu instid0(VALU_DEP_1) | instskip(NEXT) | instid1(VALU_DEP_2)
	v_mad_u64_u32 v[19:20], null, 0x3c439041, v26, v[12:13]
	v_cmp_lt_u32_e64 s2, 31, v25
	s_delay_alu instid0(VALU_DEP_1) | instskip(NEXT) | instid1(VALU_DEP_1)
	v_cndmask_b32_e64 v27, 0, 0xffffffe0, s2
	v_dual_mov_b32 v12, v20 :: v_dual_add_nc_u32 v27, v27, v25
	s_delay_alu instid0(VALU_DEP_1) | instskip(NEXT) | instid1(VALU_DEP_2)
	v_mad_u64_u32 v[20:21], null, 0xdb629599, v26, v[12:13]
	v_cmp_lt_u32_e64 s3, 31, v27
	s_delay_alu instid0(VALU_DEP_2) | instskip(NEXT) | instid1(VALU_DEP_3)
	v_mov_b32_e32 v12, v21
	v_cndmask_b32_e32 v18, v20, v18, vcc_lo
	s_delay_alu instid0(VALU_DEP_2) | instskip(NEXT) | instid1(VALU_DEP_1)
	v_mad_u64_u32 v[21:22], null, 0xf534ddc0, v26, v[12:13]
	v_dual_mov_b32 v12, v22 :: v_dual_cndmask_b32 v19, v21, v19
	s_delay_alu instid0(VALU_DEP_1) | instskip(NEXT) | instid1(VALU_DEP_2)
	v_mad_u64_u32 v[22:23], null, 0xfc2757d1, v26, v[12:13]
	v_cndmask_b32_e64 v18, v19, v18, s2
	s_delay_alu instid0(VALU_DEP_2) | instskip(NEXT) | instid1(VALU_DEP_1)
	v_mov_b32_e32 v12, v23
	v_mad_u64_u32 v[23:24], null, 0x4e441529, v26, v[12:13]
	s_delay_alu instid0(VALU_DEP_1) | instskip(NEXT) | instid1(VALU_DEP_1)
	v_mov_b32_e32 v12, v24
	v_mad_u64_u32 v[24:25], null, 0xa2f9836e, v26, v[12:13]
	v_cndmask_b32_e64 v12, 0, 0xffffffe0, s3
	s_delay_alu instid0(VALU_DEP_4) | instskip(NEXT) | instid1(VALU_DEP_2)
	v_cndmask_b32_e32 v26, v23, v21, vcc_lo
	v_add_nc_u32_e32 v12, v12, v27
	s_delay_alu instid0(VALU_DEP_4) | instskip(SKIP_1) | instid1(VALU_DEP_3)
	v_dual_cndmask_b32 v24, v24, v22 :: v_dual_cndmask_b32 v23, v25, v23
	v_cndmask_b32_e32 v22, v22, v20, vcc_lo
	v_sub_nc_u32_e32 v25, 32, v12
	s_delay_alu instid0(VALU_DEP_3) | instskip(NEXT) | instid1(VALU_DEP_4)
	v_cndmask_b32_e64 v21, v24, v26, s2
	v_cndmask_b32_e64 v23, v23, v24, s2
	s_delay_alu instid0(VALU_DEP_4) | instskip(SKIP_2) | instid1(VALU_DEP_4)
	v_cndmask_b32_e64 v24, v26, v22, s2
	v_cndmask_b32_e64 v22, v22, v19, s2
	v_cmp_eq_u32_e64 s4, 0, v12
	v_cndmask_b32_e64 v23, v23, v21, s3
	s_delay_alu instid0(VALU_DEP_4) | instskip(NEXT) | instid1(VALU_DEP_4)
	v_cndmask_b32_e64 v21, v21, v24, s3
	v_cndmask_b32_e64 v24, v24, v22, s3
	;; [unrolled: 1-line block ×3, first 2 shown]
	s_delay_alu instid0(VALU_DEP_3) | instskip(NEXT) | instid1(VALU_DEP_3)
	v_alignbit_b32 v26, v23, v21, v25
	v_alignbit_b32 v27, v21, v24, v25
	s_delay_alu instid0(VALU_DEP_3) | instskip(NEXT) | instid1(VALU_DEP_3)
	v_alignbit_b32 v25, v24, v18, v25
	v_cndmask_b32_e64 v12, v26, v23, s4
	s_delay_alu instid0(VALU_DEP_3) | instskip(NEXT) | instid1(VALU_DEP_3)
	v_cndmask_b32_e64 v20, v27, v21, s4
	v_cndmask_b32_e64 v24, v25, v24, s4
	s_delay_alu instid0(VALU_DEP_3) | instskip(NEXT) | instid1(VALU_DEP_3)
	v_bfe_u32 v21, v12, 29, 1
	v_alignbit_b32 v19, v12, v20, 30
	s_delay_alu instid0(VALU_DEP_3) | instskip(SKIP_1) | instid1(VALU_DEP_4)
	v_alignbit_b32 v20, v20, v24, 30
	v_alignbit_b32 v18, v24, v18, 30
	v_sub_nc_u32_e32 v23, 0, v21
	s_delay_alu instid0(VALU_DEP_1) | instskip(SKIP_3) | instid1(VALU_DEP_4)
	v_xor_b32_e32 v22, v19, v23
	v_cmp_ne_u32_e32 vcc_lo, v19, v23
	v_xor_b32_e32 v20, v20, v23
	v_xor_b32_e32 v18, v18, v23
	v_clz_i32_u32_e32 v26, v22
	s_delay_alu instid0(VALU_DEP_1) | instskip(NEXT) | instid1(VALU_DEP_1)
	v_add_nc_u32_e32 v25, 1, v26
	v_cndmask_b32_e32 v19, 33, v25, vcc_lo
	s_delay_alu instid0(VALU_DEP_1) | instskip(NEXT) | instid1(VALU_DEP_1)
	v_sub_nc_u32_e32 v24, 32, v19
	v_alignbit_b32 v22, v22, v20, v24
	v_alignbit_b32 v18, v20, v18, v24
	v_lshrrev_b32_e32 v20, 29, v12
	s_delay_alu instid0(VALU_DEP_2) | instskip(NEXT) | instid1(VALU_DEP_2)
	v_alignbit_b32 v23, v22, v18, 9
	v_lshlrev_b32_e32 v20, 31, v20
	v_alignbit_b32 v22, v19, v22, 9
	s_delay_alu instid0(VALU_DEP_3) | instskip(NEXT) | instid1(VALU_DEP_2)
	v_clz_i32_u32_e32 v24, v23
	v_or_b32_e32 v22, v22, v20
	v_or_b32_e32 v20, 0x33800000, v20
	s_delay_alu instid0(VALU_DEP_3) | instskip(NEXT) | instid1(VALU_DEP_3)
	v_min_u32_e32 v24, 32, v24
	v_xor_b32_e32 v22, 1.0, v22
	s_delay_alu instid0(VALU_DEP_2) | instskip(SKIP_1) | instid1(VALU_DEP_3)
	v_sub_nc_u32_e32 v25, 31, v24
	v_add_lshl_u32 v19, v24, v19, 23
	v_mul_f32_e32 v24, 0x3fc90fda, v22
	s_delay_alu instid0(VALU_DEP_3) | instskip(NEXT) | instid1(VALU_DEP_3)
	v_alignbit_b32 v18, v23, v18, v25
	v_sub_nc_u32_e32 v19, v20, v19
	s_delay_alu instid0(VALU_DEP_3) | instskip(NEXT) | instid1(VALU_DEP_3)
	v_fma_f32 v20, 0x3fc90fda, v22, -v24
	v_lshrrev_b32_e32 v18, 9, v18
	s_delay_alu instid0(VALU_DEP_2) | instskip(NEXT) | instid1(VALU_DEP_2)
	v_fmac_f32_e32 v20, 0x33a22168, v22
	v_or_b32_e32 v18, v19, v18
	s_delay_alu instid0(VALU_DEP_1) | instskip(SKIP_1) | instid1(VALU_DEP_2)
	v_fmac_f32_e32 v20, 0x3fc90fda, v18
	v_lshrrev_b32_e32 v18, 30, v12
	v_add_f32_e32 v12, v24, v20
	s_delay_alu instid0(VALU_DEP_2)
	v_add_nc_u32_e32 v18, v21, v18
	s_and_not1_saveexec_b32 s2, s31
	s_cbranch_execnz .LBB249_181
	s_branch .LBB249_182
.LBB249_180:                            ;   in Loop: Header=BB249_4 Depth=1
	s_and_not1_saveexec_b32 s2, s31
.LBB249_181:                            ;   in Loop: Header=BB249_4 Depth=1
	v_mul_f32_e64 v12, 0x3f22f983, |v4|
	s_delay_alu instid0(VALU_DEP_1) | instskip(NEXT) | instid1(VALU_DEP_1)
	v_rndne_f32_e32 v18, v12
	v_fma_f32 v12, 0xbfc90fda, v18, |v4|
	s_delay_alu instid0(VALU_DEP_1) | instskip(NEXT) | instid1(VALU_DEP_1)
	v_fmac_f32_e32 v12, 0xb3a22168, v18
	v_fmac_f32_e32 v12, 0xa7c234c4, v18
	v_cvt_i32_f32_e32 v18, v18
.LBB249_182:                            ;   in Loop: Header=BB249_4 Depth=1
	s_or_b32 exec_lo, exec_lo, s2
	v_dual_sub_f32 v3, 0xc322e3bc, v3 :: v_dual_mul_f32 v22, v2, v2
	s_delay_alu instid0(VALU_DEP_1) | instskip(SKIP_1) | instid1(VALU_DEP_3)
	v_mul_f32_e32 v19, 0x3fb8aa3b, v3
	v_cmp_ngt_f32_e32 vcc_lo, 0xc2ce8ed0, v3
	v_fmaak_f32 v25, s24, v22, 0x3c0881c4
	v_dual_mul_f32 v23, v12, v12 :: v_dual_fmaak_f32 v24, s25, v22, 0xbab64f3b
	s_delay_alu instid0(VALU_DEP_4) | instskip(SKIP_1) | instid1(VALU_DEP_1)
	v_fma_f32 v20, 0x3fb8aa3b, v3, -v19
	v_rndne_f32_e32 v21, v19
	v_dual_fmac_f32 v20, 0x32a5705f, v3 :: v_dual_sub_f32 v19, v19, v21
	s_delay_alu instid0(VALU_DEP_1) | instskip(SKIP_2) | instid1(VALU_DEP_3)
	v_add_f32_e32 v19, v19, v20
	v_cvt_i32_f32_e32 v20, v21
	v_lshlrev_b32_e32 v21, 30, v17
	v_exp_f32_e32 v19, v19
	s_waitcnt_depctr 0xfff
	v_ldexp_f32 v19, v19, v20
	v_and_b32_e32 v20, 1, v18
	s_delay_alu instid0(VALU_DEP_2) | instskip(SKIP_1) | instid1(VALU_DEP_2)
	v_dual_cndmask_b32 v19, 0, v19 :: v_dual_lshlrev_b32 v18, 30, v18
	v_cmp_nlt_f32_e32 vcc_lo, 0x42b17218, v3
	v_and_or_b32 v1, 0x80000000, v18, v1
	v_fmaak_f32 v18, v22, v24, 0x3d2aabf7
	v_fmaak_f32 v24, v22, v25, 0xbe2aaa9d
	v_dual_fmaak_f32 v26, s24, v23, 0x3c0881c4 :: v_dual_and_b32 v17, 1, v17
	s_delay_alu instid0(VALU_DEP_2) | instskip(NEXT) | instid1(VALU_DEP_2)
	v_dual_mul_f32 v24, v22, v24 :: v_dual_and_b32 v21, 0x80000000, v21
	v_fmaak_f32 v26, v23, v26, 0xbe2aaa9d
	v_cndmask_b32_e32 v3, 0x7f800000, v19, vcc_lo
	s_delay_alu instid0(VALU_DEP_4) | instskip(NEXT) | instid1(VALU_DEP_4)
	v_cmp_eq_u32_e32 vcc_lo, 0, v17
	v_fmac_f32_e32 v2, v2, v24
	s_delay_alu instid0(VALU_DEP_4) | instskip(NEXT) | instid1(VALU_DEP_4)
	v_dual_mul_f32 v26, v23, v26 :: v_dual_fmaak_f32 v19, s25, v23, 0xbab64f3b
	v_lshrrev_b32_e32 v25, 23, v3
	v_and_or_b32 v3, 0x7fffff, v3, s26
	s_delay_alu instid0(VALU_DEP_3) | instskip(SKIP_1) | instid1(VALU_DEP_4)
	v_dual_fmac_f32 v12, v12, v26 :: v_dual_fmaak_f32 v19, v23, v19, 0x3d2aabf7
	v_fmaak_f32 v18, v22, v18, 0xbf000004
	v_subrev_nc_u32_e32 v25, 19, v25
	s_delay_alu instid0(VALU_DEP_3) | instskip(NEXT) | instid1(VALU_DEP_3)
	v_fmaak_f32 v19, v23, v19, 0xbf000004
	v_fma_f32 v18, v22, v18, 1.0
	s_delay_alu instid0(VALU_DEP_3) | instskip(NEXT) | instid1(VALU_DEP_3)
	v_lshrrev_b16 v22, 15, v25
	v_fma_f32 v19, v23, v19, 1.0
	s_delay_alu instid0(VALU_DEP_3) | instskip(SKIP_1) | instid1(VALU_DEP_4)
	v_cndmask_b32_e64 v2, -v2, v18, vcc_lo
	v_cmp_eq_u32_e32 vcc_lo, 0, v20
	v_add_nc_u16 v17, v25, v22
	s_delay_alu instid0(VALU_DEP_3) | instskip(SKIP_1) | instid1(VALU_DEP_3)
	v_xor_b32_e32 v2, v21, v2
	v_cndmask_b32_e32 v12, v19, v12, vcc_lo
	v_ashrrev_i16 v17, 1, v17
	v_cmp_class_f32_e64 vcc_lo, v4, 0x1f8
	s_delay_alu instid0(VALU_DEP_3) | instskip(NEXT) | instid1(VALU_DEP_3)
	v_xor3_b32 v1, v1, v12, v11
	v_bfe_i32 v4, v17, 0, 16
	s_delay_alu instid0(VALU_DEP_2) | instskip(NEXT) | instid1(VALU_DEP_2)
	v_cndmask_b32_e32 v1, 0x7fc00000, v1, vcc_lo
	v_lshl_add_u32 v11, v4, 23, 1.0
	v_sub_nc_u32_e32 v4, v25, v4
	s_delay_alu instid0(VALU_DEP_3) | instskip(NEXT) | instid1(VALU_DEP_1)
	v_mul_f32_e32 v1, v1, v3
	v_dual_mul_f32 v1, v1, v11 :: v_dual_cndmask_b32 v2, 0x7fc00000, v2
	s_delay_alu instid0(VALU_DEP_1) | instskip(NEXT) | instid1(VALU_DEP_4)
	v_mul_f32_e32 v2, v2, v3
	v_lshl_add_u32 v3, v4, 23, 1.0
	s_delay_alu instid0(VALU_DEP_2) | instskip(NEXT) | instid1(VALU_DEP_2)
	v_mul_f32_e32 v2, v2, v11
	v_mul_f32_e32 v11, v1, v3
	s_delay_alu instid0(VALU_DEP_2)
	v_mul_f32_e32 v12, v2, v3
.LBB249_183:                            ;   in Loop: Header=BB249_4 Depth=1
	s_or_b32 exec_lo, exec_lo, s30
                                        ; implicit-def: $vgpr1_vgpr2_vgpr3_vgpr4
                                        ; implicit-def: $vgpr17
                                        ; implicit-def: $vgpr2
.LBB249_184:                            ;   in Loop: Header=BB249_4 Depth=1
	s_and_not1_saveexec_b32 s2, s29
	s_cbranch_execz .LBB249_190
; %bb.185:                              ;   in Loop: Header=BB249_4 Depth=1
	v_sub_f32_e32 v11, v4, v4
	s_mov_b32 s3, exec_lo
	v_cmpx_ne_u32_e32 0x7f800000, v2
	s_xor_b32 s3, exec_lo, s3
; %bb.186:                              ;   in Loop: Header=BB249_4 Depth=1
                                        ; implicit-def: $vgpr17
                                        ; implicit-def: $vgpr1_vgpr2_vgpr3_vgpr4
; %bb.187:                              ;   in Loop: Header=BB249_4 Depth=1
	s_delay_alu instid0(SALU_CYCLE_1)
	s_or_saveexec_b32 s3, s3
	v_mov_b32_e32 v12, v11
	s_xor_b32 exec_lo, exec_lo, s3
; %bb.188:                              ;   in Loop: Header=BB249_4 Depth=1
	v_cmp_lt_i32_e32 vcc_lo, -1, v17
	v_cndmask_b32_e64 v12, 0, -v3, vcc_lo
	v_cndmask_b32_e32 v11, 0, v11, vcc_lo
; %bb.189:                              ;   in Loop: Header=BB249_4 Depth=1
	s_or_b32 exec_lo, exec_lo, s3
.LBB249_190:                            ;   in Loop: Header=BB249_4 Depth=1
	s_delay_alu instid0(SALU_CYCLE_1)
	s_or_b32 exec_lo, exec_lo, s2
                                        ; implicit-def: $vgpr1_vgpr2_vgpr3_vgpr4
                                        ; implicit-def: $vgpr1
.LBB249_191:                            ;   in Loop: Header=BB249_4 Depth=1
	s_and_not1_saveexec_b32 s28, s28
	s_cbranch_execz .LBB249_201
; %bb.192:                              ;   in Loop: Header=BB249_4 Depth=1
	v_lshrrev_b32_e32 v2, 23, v1
	v_cmp_ngt_f32_e64 s29, 0x48000000, |v4|
	v_and_or_b32 v17, v1, s23, 0x800000
                                        ; implicit-def: $vgpr3
	s_delay_alu instid0(VALU_DEP_3) | instskip(NEXT) | instid1(VALU_DEP_3)
	v_add_nc_u32_e32 v18, 0xffffff88, v2
                                        ; implicit-def: $vgpr2
	s_and_saveexec_b32 s2, s29
	s_delay_alu instid0(SALU_CYCLE_1)
	s_xor_b32 s30, exec_lo, s2
	s_cbranch_execz .LBB249_194
; %bb.193:                              ;   in Loop: Header=BB249_4 Depth=1
	v_mad_u64_u32 v[2:3], null, 0xfe5163ab, v17, 0
	v_cmp_lt_u32_e32 vcc_lo, 63, v18
	s_delay_alu instid0(VALU_DEP_2) | instskip(SKIP_1) | instid1(VALU_DEP_1)
	v_mov_b32_e32 v12, v3
	v_cndmask_b32_e64 v3, 0, 0xffffffc0, vcc_lo
	v_add_nc_u32_e32 v3, v3, v18
	s_delay_alu instid0(VALU_DEP_1) | instskip(NEXT) | instid1(VALU_DEP_1)
	v_cmp_lt_u32_e64 s2, 31, v3
	v_cndmask_b32_e64 v25, 0, 0xffffffe0, s2
	s_delay_alu instid0(VALU_DEP_1) | instskip(SKIP_1) | instid1(VALU_DEP_2)
	v_add_nc_u32_e32 v3, v25, v3
	v_mad_u64_u32 v[19:20], null, 0x3c439041, v17, v[12:13]
	v_cmp_lt_u32_e64 s3, 31, v3
	s_delay_alu instid0(VALU_DEP_2) | instskip(NEXT) | instid1(VALU_DEP_1)
	v_mov_b32_e32 v12, v20
	v_mad_u64_u32 v[20:21], null, 0xdb629599, v17, v[12:13]
	s_delay_alu instid0(VALU_DEP_1) | instskip(NEXT) | instid1(VALU_DEP_2)
	v_mov_b32_e32 v12, v21
	v_cndmask_b32_e32 v2, v20, v2, vcc_lo
	s_delay_alu instid0(VALU_DEP_2) | instskip(NEXT) | instid1(VALU_DEP_1)
	v_mad_u64_u32 v[21:22], null, 0xf534ddc0, v17, v[12:13]
	v_mov_b32_e32 v12, v22
	s_delay_alu instid0(VALU_DEP_1) | instskip(NEXT) | instid1(VALU_DEP_1)
	v_mad_u64_u32 v[22:23], null, 0xfc2757d1, v17, v[12:13]
	v_mov_b32_e32 v12, v23
	s_delay_alu instid0(VALU_DEP_1) | instskip(NEXT) | instid1(VALU_DEP_1)
	v_mad_u64_u32 v[23:24], null, 0x4e441529, v17, v[12:13]
	v_mov_b32_e32 v12, v24
	s_delay_alu instid0(VALU_DEP_1) | instskip(SKIP_1) | instid1(VALU_DEP_1)
	v_mad_u64_u32 v[24:25], null, 0xa2f9836e, v17, v[12:13]
	v_cndmask_b32_e64 v12, 0, 0xffffffe0, s3
	v_dual_cndmask_b32 v26, v23, v21 :: v_dual_add_nc_u32 v3, v12, v3
	s_delay_alu instid0(VALU_DEP_3) | instskip(SKIP_2) | instid1(VALU_DEP_4)
	v_dual_cndmask_b32 v24, v24, v22 :: v_dual_cndmask_b32 v23, v25, v23
	v_cndmask_b32_e32 v22, v22, v20, vcc_lo
	v_cndmask_b32_e32 v12, v21, v19, vcc_lo
	v_cmp_eq_u32_e64 s4, 0, v3
	s_delay_alu instid0(VALU_DEP_4)
	v_cndmask_b32_e64 v19, v24, v26, s2
	v_cndmask_b32_e64 v21, v23, v24, s2
	;; [unrolled: 1-line block ×3, first 2 shown]
	v_sub_nc_u32_e32 v24, 32, v3
	v_cndmask_b32_e64 v22, v22, v12, s2
	v_cndmask_b32_e64 v2, v12, v2, s2
	;; [unrolled: 1-line block ×4, first 2 shown]
	s_delay_alu instid0(VALU_DEP_4) | instskip(NEXT) | instid1(VALU_DEP_4)
	v_cndmask_b32_e64 v23, v23, v22, s3
	v_cndmask_b32_e64 v2, v22, v2, s3
	s_delay_alu instid0(VALU_DEP_3) | instskip(NEXT) | instid1(VALU_DEP_3)
	v_alignbit_b32 v25, v21, v19, v24
	v_alignbit_b32 v26, v19, v23, v24
	s_delay_alu instid0(VALU_DEP_3) | instskip(NEXT) | instid1(VALU_DEP_3)
	v_alignbit_b32 v24, v23, v2, v24
	v_cndmask_b32_e64 v3, v25, v21, s4
	s_delay_alu instid0(VALU_DEP_3) | instskip(NEXT) | instid1(VALU_DEP_3)
	v_cndmask_b32_e64 v19, v26, v19, s4
	v_cndmask_b32_e64 v23, v24, v23, s4
	s_delay_alu instid0(VALU_DEP_3) | instskip(NEXT) | instid1(VALU_DEP_3)
	v_bfe_u32 v20, v3, 29, 1
	v_alignbit_b32 v12, v3, v19, 30
	s_delay_alu instid0(VALU_DEP_3) | instskip(SKIP_1) | instid1(VALU_DEP_4)
	v_alignbit_b32 v19, v19, v23, 30
	v_alignbit_b32 v2, v23, v2, 30
	v_sub_nc_u32_e32 v21, 0, v20
	s_delay_alu instid0(VALU_DEP_1) | instskip(SKIP_3) | instid1(VALU_DEP_4)
	v_xor_b32_e32 v22, v12, v21
	v_cmp_ne_u32_e32 vcc_lo, v12, v21
	v_xor_b32_e32 v19, v19, v21
	v_xor_b32_e32 v2, v2, v21
	v_clz_i32_u32_e32 v25, v22
	s_delay_alu instid0(VALU_DEP_1) | instskip(NEXT) | instid1(VALU_DEP_1)
	v_add_nc_u32_e32 v24, 1, v25
	v_cndmask_b32_e32 v12, 33, v24, vcc_lo
	s_delay_alu instid0(VALU_DEP_1) | instskip(NEXT) | instid1(VALU_DEP_1)
	v_sub_nc_u32_e32 v23, 32, v12
	v_alignbit_b32 v21, v22, v19, v23
	v_alignbit_b32 v2, v19, v2, v23
	v_lshrrev_b32_e32 v19, 29, v3
	v_lshrrev_b32_e32 v3, 30, v3
	s_delay_alu instid0(VALU_DEP_3) | instskip(NEXT) | instid1(VALU_DEP_3)
	v_alignbit_b32 v22, v21, v2, 9
	v_lshlrev_b32_e32 v19, 31, v19
	s_delay_alu instid0(VALU_DEP_3) | instskip(SKIP_1) | instid1(VALU_DEP_4)
	v_add_nc_u32_e32 v3, v20, v3
	v_alignbit_b32 v21, v12, v21, 9
	v_clz_i32_u32_e32 v23, v22
	s_delay_alu instid0(VALU_DEP_2) | instskip(SKIP_1) | instid1(VALU_DEP_3)
	v_or_b32_e32 v21, v21, v19
	v_or_b32_e32 v19, 0x33800000, v19
	v_min_u32_e32 v23, 32, v23
	s_delay_alu instid0(VALU_DEP_3) | instskip(NEXT) | instid1(VALU_DEP_2)
	v_xor_b32_e32 v21, 1.0, v21
	v_sub_nc_u32_e32 v24, 31, v23
	v_add_lshl_u32 v12, v23, v12, 23
	s_delay_alu instid0(VALU_DEP_3) | instskip(NEXT) | instid1(VALU_DEP_3)
	v_mul_f32_e32 v23, 0x3fc90fda, v21
	v_alignbit_b32 v2, v22, v2, v24
	s_delay_alu instid0(VALU_DEP_3) | instskip(NEXT) | instid1(VALU_DEP_3)
	v_sub_nc_u32_e32 v12, v19, v12
	v_fma_f32 v19, 0x3fc90fda, v21, -v23
	s_delay_alu instid0(VALU_DEP_3) | instskip(NEXT) | instid1(VALU_DEP_2)
	v_lshrrev_b32_e32 v2, 9, v2
	v_fmac_f32_e32 v19, 0x33a22168, v21
	s_delay_alu instid0(VALU_DEP_2) | instskip(NEXT) | instid1(VALU_DEP_1)
	v_or_b32_e32 v2, v12, v2
	v_fmac_f32_e32 v19, 0x3fc90fda, v2
	s_delay_alu instid0(VALU_DEP_1)
	v_add_f32_e32 v2, v23, v19
.LBB249_194:                            ;   in Loop: Header=BB249_4 Depth=1
	s_or_saveexec_b32 s2, s30
	v_mul_f32_e64 v12, 0x3f22f983, |v4|
	s_delay_alu instid0(VALU_DEP_1)
	v_rndne_f32_e32 v20, v12
	s_xor_b32 exec_lo, exec_lo, s2
; %bb.195:                              ;   in Loop: Header=BB249_4 Depth=1
	s_delay_alu instid0(VALU_DEP_1) | instskip(SKIP_1) | instid1(VALU_DEP_2)
	v_fma_f32 v2, 0xbfc90fda, v20, |v4|
	v_cvt_i32_f32_e32 v3, v20
	v_fmac_f32_e32 v2, 0xb3a22168, v20
	s_delay_alu instid0(VALU_DEP_1)
	v_fmac_f32_e32 v2, 0xa7c234c4, v20
; %bb.196:                              ;   in Loop: Header=BB249_4 Depth=1
	s_or_b32 exec_lo, exec_lo, s2
                                        ; implicit-def: $vgpr19
                                        ; implicit-def: $vgpr12
	s_and_saveexec_b32 s2, s29
	s_delay_alu instid0(SALU_CYCLE_1)
	s_xor_b32 s29, exec_lo, s2
	s_cbranch_execz .LBB249_198
; %bb.197:                              ;   in Loop: Header=BB249_4 Depth=1
	v_mad_u64_u32 v[19:20], null, 0xfe5163ab, v17, 0
	v_cmp_lt_u32_e32 vcc_lo, 63, v18
	v_cndmask_b32_e64 v25, 0, 0xffffffc0, vcc_lo
	s_delay_alu instid0(VALU_DEP_3) | instskip(NEXT) | instid1(VALU_DEP_2)
	v_mov_b32_e32 v12, v20
	v_add_nc_u32_e32 v18, v25, v18
	s_delay_alu instid0(VALU_DEP_2) | instskip(NEXT) | instid1(VALU_DEP_2)
	v_mad_u64_u32 v[20:21], null, 0x3c439041, v17, v[12:13]
	v_cmp_lt_u32_e64 s2, 31, v18
	s_delay_alu instid0(VALU_DEP_2) | instskip(NEXT) | instid1(VALU_DEP_2)
	v_mov_b32_e32 v12, v21
	v_cndmask_b32_e64 v26, 0, 0xffffffe0, s2
	s_delay_alu instid0(VALU_DEP_2) | instskip(NEXT) | instid1(VALU_DEP_2)
	v_mad_u64_u32 v[21:22], null, 0xdb629599, v17, v[12:13]
	v_add_nc_u32_e32 v18, v26, v18
	s_delay_alu instid0(VALU_DEP_1) | instskip(NEXT) | instid1(VALU_DEP_3)
	v_cmp_lt_u32_e64 s3, 31, v18
	v_dual_mov_b32 v12, v22 :: v_dual_cndmask_b32 v19, v21, v19
	s_delay_alu instid0(VALU_DEP_1) | instskip(NEXT) | instid1(VALU_DEP_1)
	v_mad_u64_u32 v[22:23], null, 0xf534ddc0, v17, v[12:13]
	v_mov_b32_e32 v12, v23
	s_delay_alu instid0(VALU_DEP_1) | instskip(NEXT) | instid1(VALU_DEP_1)
	v_mad_u64_u32 v[23:24], null, 0xfc2757d1, v17, v[12:13]
	v_mov_b32_e32 v12, v24
	s_delay_alu instid0(VALU_DEP_1) | instskip(NEXT) | instid1(VALU_DEP_1)
	v_mad_u64_u32 v[24:25], null, 0x4e441529, v17, v[12:13]
	v_mov_b32_e32 v12, v25
	s_delay_alu instid0(VALU_DEP_1) | instskip(SKIP_1) | instid1(VALU_DEP_4)
	v_mad_u64_u32 v[25:26], null, 0xa2f9836e, v17, v[12:13]
	v_cndmask_b32_e64 v12, 0, 0xffffffe0, s3
	v_cndmask_b32_e32 v17, v24, v22, vcc_lo
	s_delay_alu instid0(VALU_DEP_2) | instskip(NEXT) | instid1(VALU_DEP_4)
	v_dual_cndmask_b32 v25, v25, v23 :: v_dual_add_nc_u32 v12, v12, v18
	v_dual_cndmask_b32 v24, v26, v24 :: v_dual_cndmask_b32 v23, v23, v21
	v_cndmask_b32_e32 v18, v22, v20, vcc_lo
	s_delay_alu instid0(VALU_DEP_3) | instskip(NEXT) | instid1(VALU_DEP_4)
	v_cmp_eq_u32_e64 s4, 0, v12
	v_cndmask_b32_e64 v20, v25, v17, s2
	s_delay_alu instid0(VALU_DEP_4)
	v_cndmask_b32_e64 v22, v24, v25, s2
	v_cndmask_b32_e64 v17, v17, v23, s2
	v_sub_nc_u32_e32 v24, 32, v12
	v_cndmask_b32_e64 v23, v23, v18, s2
	v_cndmask_b32_e64 v18, v18, v19, s2
	;; [unrolled: 1-line block ×4, first 2 shown]
	s_delay_alu instid0(VALU_DEP_4) | instskip(NEXT) | instid1(VALU_DEP_4)
	v_cndmask_b32_e64 v17, v17, v23, s3
	v_cndmask_b32_e64 v18, v23, v18, s3
	s_delay_alu instid0(VALU_DEP_3) | instskip(NEXT) | instid1(VALU_DEP_3)
	v_alignbit_b32 v25, v22, v20, v24
	v_alignbit_b32 v26, v20, v17, v24
	s_delay_alu instid0(VALU_DEP_3) | instskip(NEXT) | instid1(VALU_DEP_3)
	v_alignbit_b32 v24, v17, v18, v24
	v_cndmask_b32_e64 v12, v25, v22, s4
	s_delay_alu instid0(VALU_DEP_3) | instskip(NEXT) | instid1(VALU_DEP_3)
	v_cndmask_b32_e64 v20, v26, v20, s4
	v_cndmask_b32_e64 v17, v24, v17, s4
	s_delay_alu instid0(VALU_DEP_3) | instskip(NEXT) | instid1(VALU_DEP_3)
	v_bfe_u32 v21, v12, 29, 1
	v_alignbit_b32 v19, v12, v20, 30
	s_delay_alu instid0(VALU_DEP_3) | instskip(SKIP_1) | instid1(VALU_DEP_4)
	v_alignbit_b32 v20, v20, v17, 30
	v_alignbit_b32 v17, v17, v18, 30
	v_sub_nc_u32_e32 v22, 0, v21
	s_delay_alu instid0(VALU_DEP_1) | instskip(SKIP_3) | instid1(VALU_DEP_4)
	v_xor_b32_e32 v23, v19, v22
	v_cmp_ne_u32_e32 vcc_lo, v19, v22
	v_xor_b32_e32 v18, v20, v22
	v_xor_b32_e32 v17, v17, v22
	v_clz_i32_u32_e32 v25, v23
	s_delay_alu instid0(VALU_DEP_1) | instskip(NEXT) | instid1(VALU_DEP_1)
	v_add_nc_u32_e32 v24, 1, v25
	v_cndmask_b32_e32 v19, 33, v24, vcc_lo
	s_delay_alu instid0(VALU_DEP_1) | instskip(NEXT) | instid1(VALU_DEP_1)
	v_sub_nc_u32_e32 v20, 32, v19
	v_alignbit_b32 v22, v23, v18, v20
	v_alignbit_b32 v17, v18, v17, v20
	v_lshrrev_b32_e32 v18, 29, v12
	s_delay_alu instid0(VALU_DEP_2) | instskip(NEXT) | instid1(VALU_DEP_2)
	v_alignbit_b32 v20, v22, v17, 9
	v_lshlrev_b32_e32 v18, 31, v18
	v_alignbit_b32 v22, v19, v22, 9
	s_delay_alu instid0(VALU_DEP_3) | instskip(NEXT) | instid1(VALU_DEP_2)
	v_clz_i32_u32_e32 v23, v20
	v_or_b32_e32 v22, v22, v18
	v_or_b32_e32 v18, 0x33800000, v18
	s_delay_alu instid0(VALU_DEP_3) | instskip(NEXT) | instid1(VALU_DEP_3)
	v_min_u32_e32 v23, 32, v23
	v_xor_b32_e32 v22, 1.0, v22
	s_delay_alu instid0(VALU_DEP_2) | instskip(SKIP_1) | instid1(VALU_DEP_3)
	v_sub_nc_u32_e32 v24, 31, v23
	v_add_lshl_u32 v19, v23, v19, 23
	v_mul_f32_e32 v23, 0x3fc90fda, v22
	s_delay_alu instid0(VALU_DEP_3) | instskip(NEXT) | instid1(VALU_DEP_3)
	v_alignbit_b32 v17, v20, v17, v24
	v_sub_nc_u32_e32 v18, v18, v19
	s_delay_alu instid0(VALU_DEP_3) | instskip(NEXT) | instid1(VALU_DEP_3)
	v_fma_f32 v19, 0x3fc90fda, v22, -v23
                                        ; implicit-def: $vgpr20
	v_lshrrev_b32_e32 v17, 9, v17
	s_delay_alu instid0(VALU_DEP_2) | instskip(NEXT) | instid1(VALU_DEP_2)
	v_fmac_f32_e32 v19, 0x33a22168, v22
	v_or_b32_e32 v17, v18, v17
	s_delay_alu instid0(VALU_DEP_1) | instskip(SKIP_1) | instid1(VALU_DEP_1)
	v_fmac_f32_e32 v19, 0x3fc90fda, v17
	v_lshrrev_b32_e32 v17, 30, v12
	v_dual_add_f32 v12, v23, v19 :: v_dual_add_nc_u32 v19, v21, v17
	s_and_not1_saveexec_b32 s2, s29
	s_cbranch_execnz .LBB249_199
	s_branch .LBB249_200
.LBB249_198:                            ;   in Loop: Header=BB249_4 Depth=1
	s_and_not1_saveexec_b32 s2, s29
.LBB249_199:                            ;   in Loop: Header=BB249_4 Depth=1
	v_fma_f32 v12, 0xbfc90fda, v20, |v4|
	v_cvt_i32_f32_e32 v19, v20
	s_delay_alu instid0(VALU_DEP_2) | instskip(NEXT) | instid1(VALU_DEP_1)
	v_fmac_f32_e32 v12, 0xb3a22168, v20
	v_fmac_f32_e32 v12, 0xa7c234c4, v20
.LBB249_200:                            ;   in Loop: Header=BB249_4 Depth=1
	s_or_b32 exec_lo, exec_lo, s2
	s_delay_alu instid0(VALU_DEP_1) | instskip(SKIP_2) | instid1(VALU_DEP_3)
	v_dual_mul_f32 v17, v2, v2 :: v_dual_mul_f32 v18, v12, v12
	v_and_b32_e32 v20, 1, v3
	v_lshlrev_b32_e32 v3, 30, v3
	v_dual_fmaak_f32 v22, s25, v17, 0xbab64f3b :: v_dual_and_b32 v25, 1, v19
	v_fmaak_f32 v21, s24, v17, 0x3c0881c4
	v_fmaak_f32 v24, s25, v18, 0xbab64f3b
	v_cmp_eq_u32_e32 vcc_lo, 0, v20
	s_delay_alu instid0(VALU_DEP_4) | instskip(NEXT) | instid1(VALU_DEP_4)
	v_dual_fmaak_f32 v22, v17, v22, 0x3d2aabf7 :: v_dual_lshlrev_b32 v19, 30, v19
	v_fmaak_f32 v21, v17, v21, 0xbe2aaa9d
	s_delay_alu instid0(VALU_DEP_4) | instskip(NEXT) | instid1(VALU_DEP_3)
	v_fmaak_f32 v24, v18, v24, 0x3d2aabf7
	v_and_or_b32 v1, 0x80000000, v19, v1
	s_delay_alu instid0(VALU_DEP_3) | instskip(SKIP_1) | instid1(VALU_DEP_4)
	v_mul_f32_e32 v21, v17, v21
	v_fmaak_f32 v23, s24, v18, 0x3c0881c4
	v_fmaak_f32 v24, v18, v24, 0xbf000004
	s_delay_alu instid0(VALU_DEP_3) | instskip(NEXT) | instid1(VALU_DEP_3)
	v_fmac_f32_e32 v2, v2, v21
	v_fmaak_f32 v23, v18, v23, 0xbe2aaa9d
	s_delay_alu instid0(VALU_DEP_1) | instskip(NEXT) | instid1(VALU_DEP_1)
	v_dual_fmaak_f32 v22, v17, v22, 0xbf000004 :: v_dual_mul_f32 v23, v18, v23
	v_fma_f32 v17, v17, v22, 1.0
	v_fma_f32 v18, v18, v24, 1.0
	s_delay_alu instid0(VALU_DEP_3) | instskip(NEXT) | instid1(VALU_DEP_3)
	v_fmac_f32_e32 v12, v12, v23
	v_cndmask_b32_e64 v2, -v2, v17, vcc_lo
	v_cmp_eq_u32_e32 vcc_lo, 0, v25
	s_delay_alu instid0(VALU_DEP_3) | instskip(NEXT) | instid1(VALU_DEP_1)
	v_dual_cndmask_b32 v12, v18, v12 :: v_dual_and_b32 v3, 0x80000000, v3
	v_xor_b32_e32 v2, v3, v2
	v_cmp_class_f32_e64 vcc_lo, v4, 0x1f8
	s_delay_alu instid0(VALU_DEP_3) | instskip(NEXT) | instid1(VALU_DEP_3)
	v_xor3_b32 v1, v1, v12, v11
	v_cndmask_b32_e32 v12, 0x7fc00000, v2, vcc_lo
	s_delay_alu instid0(VALU_DEP_2)
	v_cndmask_b32_e32 v11, 0x7fc00000, v1, vcc_lo
.LBB249_201:                            ;   in Loop: Header=BB249_4 Depth=1
	s_or_b32 exec_lo, exec_lo, s28
                                        ; implicit-def: $vgpr1_vgpr2_vgpr3_vgpr4
.LBB249_202:                            ;   in Loop: Header=BB249_4 Depth=1
	s_and_not1_saveexec_b32 s2, s27
	s_cbranch_execz .LBB249_204
; %bb.203:                              ;   in Loop: Header=BB249_4 Depth=1
	v_mul_f32_e32 v1, 0xbfb8aa3b, v3
	v_cmp_nlt_f32_e32 vcc_lo, 0x42ce8ed0, v3
	s_delay_alu instid0(VALU_DEP_2) | instskip(SKIP_1) | instid1(VALU_DEP_1)
	v_rndne_f32_e32 v2, v1
	v_fma_f32 v4, 0xbfb8aa3b, v3, -v1
	v_dual_sub_f32 v1, v1, v2 :: v_dual_fmac_f32 v4, 0xb2a5705f, v3
	v_cvt_i32_f32_e32 v2, v2
	s_delay_alu instid0(VALU_DEP_2) | instskip(NEXT) | instid1(VALU_DEP_1)
	v_add_f32_e32 v1, v1, v4
	v_exp_f32_e32 v1, v1
	s_waitcnt_depctr 0xfff
	v_ldexp_f32 v1, v1, v2
	s_delay_alu instid0(VALU_DEP_1) | instskip(SKIP_1) | instid1(VALU_DEP_2)
	v_cndmask_b32_e32 v1, 0, v1, vcc_lo
	v_cmp_ngt_f32_e32 vcc_lo, 0xc2b17218, v3
	v_cndmask_b32_e32 v12, 0x7f800000, v1, vcc_lo
.LBB249_204:                            ;   in Loop: Header=BB249_4 Depth=1
	s_or_b32 exec_lo, exec_lo, s2
	s_delay_alu instid0(VALU_DEP_1) | instskip(SKIP_1) | instid1(VALU_DEP_1)
	v_dual_add_f32 v2, s8, v12 :: v_dual_add_f32 v1, s9, v11
	s_mov_b32 s2, exec_lo
	v_cmp_gt_f32_e32 vcc_lo, 0, v2
	v_cndmask_b32_e64 v3, v2, -v2, vcc_lo
	s_delay_alu instid0(VALU_DEP_3) | instskip(SKIP_1) | instid1(VALU_DEP_1)
	v_cmp_gt_f32_e32 vcc_lo, 0, v1
	v_cndmask_b32_e64 v4, v1, -v1, vcc_lo
	v_cmpx_ge_f32_e32 v3, v4
	s_xor_b32 s3, exec_lo, s2
	s_cbranch_execz .LBB249_210
; %bb.205:                              ;   in Loop: Header=BB249_4 Depth=1
	v_cmp_neq_f32_e32 vcc_lo, 0, v2
	v_cmp_neq_f32_e64 s2, 0, v1
	s_delay_alu instid0(VALU_DEP_1) | instskip(NEXT) | instid1(SALU_CYCLE_1)
	s_or_b32 s2, vcc_lo, s2
	s_and_saveexec_b32 s4, s2
	s_delay_alu instid0(SALU_CYCLE_1)
	s_xor_b32 s2, exec_lo, s4
	s_cbranch_execz .LBB249_207
; %bb.206:                              ;   in Loop: Header=BB249_4 Depth=1
	v_div_scale_f32 v3, null, v2, v2, v1
	v_div_scale_f32 v12, vcc_lo, v1, v2, v1
	s_delay_alu instid0(VALU_DEP_2) | instskip(SKIP_2) | instid1(VALU_DEP_1)
	v_rcp_f32_e32 v4, v3
	s_waitcnt_depctr 0xfff
	v_fma_f32 v11, -v3, v4, 1.0
	v_fmac_f32_e32 v4, v11, v4
	s_delay_alu instid0(VALU_DEP_1) | instskip(NEXT) | instid1(VALU_DEP_1)
	v_mul_f32_e32 v11, v12, v4
	v_fma_f32 v17, -v3, v11, v12
	s_delay_alu instid0(VALU_DEP_1) | instskip(NEXT) | instid1(VALU_DEP_1)
	v_fmac_f32_e32 v11, v17, v4
	v_fma_f32 v3, -v3, v11, v12
	s_delay_alu instid0(VALU_DEP_1) | instskip(NEXT) | instid1(VALU_DEP_1)
	v_div_fmas_f32 v3, v3, v4, v11
	v_div_fixup_f32 v3, v3, v2, v1
	s_delay_alu instid0(VALU_DEP_1) | instskip(NEXT) | instid1(VALU_DEP_1)
	v_fmac_f32_e32 v2, v1, v3
	v_div_scale_f32 v1, null, v2, v2, 1.0
	v_div_scale_f32 v12, vcc_lo, 1.0, v2, 1.0
	s_delay_alu instid0(VALU_DEP_2) | instskip(SKIP_2) | instid1(VALU_DEP_1)
	v_rcp_f32_e32 v4, v1
	s_waitcnt_depctr 0xfff
	v_fma_f32 v11, -v1, v4, 1.0
	v_fmac_f32_e32 v4, v11, v4
	s_delay_alu instid0(VALU_DEP_1) | instskip(NEXT) | instid1(VALU_DEP_1)
	v_mul_f32_e32 v11, v12, v4
	v_fma_f32 v17, -v1, v11, v12
	s_delay_alu instid0(VALU_DEP_1) | instskip(NEXT) | instid1(VALU_DEP_1)
	v_fmac_f32_e32 v11, v17, v4
	v_fma_f32 v1, -v1, v11, v12
	s_delay_alu instid0(VALU_DEP_1) | instskip(SKIP_1) | instid1(VALU_DEP_2)
	v_div_fmas_f32 v1, v1, v4, v11
	v_fma_f32 v4, v3, s9, s8
	v_div_fixup_f32 v1, v1, v2, 1.0
	v_fma_f32 v2, -v3, s8, s9
                                        ; implicit-def: $vgpr3
	s_delay_alu instid0(VALU_DEP_2) | instskip(NEXT) | instid1(VALU_DEP_2)
	v_mul_f32_e32 v11, v4, v1
	v_mul_f32_e32 v12, v2, v1
                                        ; implicit-def: $vgpr4
.LBB249_207:                            ;   in Loop: Header=BB249_4 Depth=1
	s_and_not1_saveexec_b32 s4, s2
	s_cbranch_execz .LBB249_209
; %bb.208:                              ;   in Loop: Header=BB249_4 Depth=1
	v_div_scale_f32 v1, null, v3, v3, s8
	v_div_scale_f32 v2, null, v4, v4, s9
	v_div_scale_f32 v19, vcc_lo, s8, v3, s8
	s_delay_alu instid0(VALU_DEP_3) | instskip(NEXT) | instid1(VALU_DEP_2)
	v_rcp_f32_e32 v11, v1
	v_rcp_f32_e32 v12, v2
	s_waitcnt_depctr 0xfff
	v_fma_f32 v17, -v1, v11, 1.0
	v_fma_f32 v18, -v2, v12, 1.0
	s_delay_alu instid0(VALU_DEP_1) | instskip(SKIP_1) | instid1(VALU_DEP_2)
	v_dual_fmac_f32 v11, v17, v11 :: v_dual_fmac_f32 v12, v18, v12
	v_div_scale_f32 v17, s2, s9, v4, s9
	v_mul_f32_e32 v18, v19, v11
	s_delay_alu instid0(VALU_DEP_2) | instskip(NEXT) | instid1(VALU_DEP_2)
	v_mul_f32_e32 v20, v17, v12
	v_fma_f32 v21, -v1, v18, v19
	s_delay_alu instid0(VALU_DEP_2) | instskip(NEXT) | instid1(VALU_DEP_2)
	v_fma_f32 v22, -v2, v20, v17
	v_fmac_f32_e32 v18, v21, v11
	s_delay_alu instid0(VALU_DEP_2) | instskip(NEXT) | instid1(VALU_DEP_2)
	v_fmac_f32_e32 v20, v22, v12
	v_fma_f32 v1, -v1, v18, v19
	s_delay_alu instid0(VALU_DEP_2) | instskip(NEXT) | instid1(VALU_DEP_2)
	v_fma_f32 v2, -v2, v20, v17
	v_div_fmas_f32 v1, v1, v11, v18
	s_mov_b32 vcc_lo, s2
	s_delay_alu instid0(VALU_DEP_2) | instskip(NEXT) | instid1(VALU_DEP_2)
	v_div_fmas_f32 v2, v2, v12, v20
	v_div_fixup_f32 v11, v1, v3, s8
	s_delay_alu instid0(VALU_DEP_2)
	v_div_fixup_f32 v12, v2, v4, s9
.LBB249_209:                            ;   in Loop: Header=BB249_4 Depth=1
	s_or_b32 exec_lo, exec_lo, s4
                                        ; implicit-def: $vgpr1
                                        ; implicit-def: $vgpr2
.LBB249_210:                            ;   in Loop: Header=BB249_4 Depth=1
	s_and_not1_saveexec_b32 s2, s3
	s_cbranch_execz .LBB249_3
; %bb.211:                              ;   in Loop: Header=BB249_4 Depth=1
	v_div_scale_f32 v3, null, v1, v1, v2
	v_div_scale_f32 v12, vcc_lo, v2, v1, v2
	s_delay_alu instid0(VALU_DEP_2) | instskip(SKIP_2) | instid1(VALU_DEP_1)
	v_rcp_f32_e32 v4, v3
	s_waitcnt_depctr 0xfff
	v_fma_f32 v11, -v3, v4, 1.0
	v_fmac_f32_e32 v4, v11, v4
	s_delay_alu instid0(VALU_DEP_1) | instskip(NEXT) | instid1(VALU_DEP_1)
	v_mul_f32_e32 v11, v12, v4
	v_fma_f32 v17, -v3, v11, v12
	s_delay_alu instid0(VALU_DEP_1) | instskip(NEXT) | instid1(VALU_DEP_1)
	v_fmac_f32_e32 v11, v17, v4
	v_fma_f32 v3, -v3, v11, v12
	s_delay_alu instid0(VALU_DEP_1) | instskip(NEXT) | instid1(VALU_DEP_1)
	v_div_fmas_f32 v3, v3, v4, v11
	v_div_fixup_f32 v3, v3, v1, v2
	s_delay_alu instid0(VALU_DEP_1) | instskip(NEXT) | instid1(VALU_DEP_1)
	v_fmac_f32_e32 v1, v2, v3
	v_div_scale_f32 v2, null, v1, v1, 1.0
	v_div_scale_f32 v12, vcc_lo, 1.0, v1, 1.0
	s_delay_alu instid0(VALU_DEP_2) | instskip(SKIP_2) | instid1(VALU_DEP_1)
	v_rcp_f32_e32 v4, v2
	s_waitcnt_depctr 0xfff
	v_fma_f32 v11, -v2, v4, 1.0
	v_fmac_f32_e32 v4, v11, v4
	s_delay_alu instid0(VALU_DEP_1) | instskip(NEXT) | instid1(VALU_DEP_1)
	v_mul_f32_e32 v11, v12, v4
	v_fma_f32 v17, -v2, v11, v12
	s_delay_alu instid0(VALU_DEP_1) | instskip(NEXT) | instid1(VALU_DEP_1)
	v_fmac_f32_e32 v11, v17, v4
	v_fma_f32 v2, -v2, v11, v12
	s_delay_alu instid0(VALU_DEP_1) | instskip(SKIP_1) | instid1(VALU_DEP_2)
	v_div_fmas_f32 v2, v2, v4, v11
	v_fma_f32 v4, v3, s8, s9
	v_div_fixup_f32 v1, v2, v1, 1.0
	v_fma_f32 v2, v3, s9, -s8
	s_delay_alu instid0(VALU_DEP_2) | instskip(NEXT) | instid1(VALU_DEP_2)
	v_mul_f32_e32 v11, v4, v1
	v_mul_f32_e32 v12, v2, v1
	s_branch .LBB249_3
.LBB249_212:
	s_or_b32 exec_lo, exec_lo, s17
	s_mov_b32 s2, 0
.LBB249_213:
	s_delay_alu instid0(SALU_CYCLE_1)
	s_and_not1_b32 vcc_lo, exec_lo, s2
	s_cbranch_vccnz .LBB249_441
; %bb.214:
	v_cmp_lt_i64_e64 s2, s[12:13], 1
	s_delay_alu instid0(VALU_DEP_1)
	s_and_b32 vcc_lo, exec_lo, s2
	s_cbranch_vccnz .LBB249_441
; %bb.215:
	s_load_b32 s0, s[0:1], 0xc64
	v_mov_b32_e32 v1, 0
	v_lshl_or_b32 v2, v0, 3, 4
	v_cmp_gt_u64_e64 s1, 0x10000, s[12:13]
	s_mov_b32 s15, 0
	s_mov_b32 s24, 0xb94c1982
	v_mov_b32_e32 v3, v1
	v_add_co_u32 v12, s2, s6, v2
	s_delay_alu instid0(VALU_DEP_1) | instskip(SKIP_1) | instid1(VALU_DEP_1)
	v_add_co_ci_u32_e64 v13, null, s7, 0, s2
	v_add_co_u32 v14, s2, s18, v2
	v_add_co_ci_u32_e64 v15, null, s19, 0, s2
	s_mov_b32 s25, 0x37d75334
	s_mov_b32 s26, 0x7f000000
	s_waitcnt lgkmcnt(0)
	s_and_b32 s20, s0, 0xffff
	s_and_b32 s0, s1, exec_lo
	v_add_lshl_u32 v6, v0, s20, 3
	v_mad_u64_u32 v[4:5], null, s20, 24, v[2:3]
	s_cselect_b32 s17, s13, 0
	s_cselect_b32 s16, s12, 0x10000
	s_delay_alu instid0(VALU_DEP_2) | instskip(NEXT) | instid1(VALU_DEP_1)
	v_add_co_u32 v16, s0, s18, v6
	v_add_co_ci_u32_e64 v17, null, s19, 0, s0
	v_add_co_u32 v20, s0, s6, v6
	s_delay_alu instid0(VALU_DEP_1)
	v_add_co_ci_u32_e64 v21, null, s7, 0, s0
	s_lshl_b32 s0, s20, 4
	v_add_co_u32 v18, vcc_lo, s6, v4
	v_add_co_u32 v2, s0, v2, s0
	v_add_co_ci_u32_e32 v19, vcc_lo, s7, v5, vcc_lo
	v_add_co_ci_u32_e64 v3, null, 0, 0, s0
	v_add_co_u32 v22, vcc_lo, s18, v4
	v_add_co_ci_u32_e32 v23, vcc_lo, s19, v5, vcc_lo
	v_add_co_u32 v24, vcc_lo, s6, v2
	s_delay_alu instid0(VALU_DEP_4)
	v_add_co_ci_u32_e32 v25, vcc_lo, s7, v3, vcc_lo
	v_add_co_u32 v26, vcc_lo, s18, v2
	v_add_co_ci_u32_e32 v27, vcc_lo, s19, v3, vcc_lo
	v_dual_mov_b32 v3, v1 :: v_dual_mov_b32 v2, v0
	s_lshl_b32 s14, s20, 2
	s_lshl_b32 s21, s20, 1
	s_mul_i32 s22, s20, 3
	s_lshl_b32 s23, s20, 5
	s_mov_b32 s7, 0x7fffff
	s_mov_b64 s[18:19], s[14:15]
	s_branch .LBB249_217
.LBB249_216:                            ;   in Loop: Header=BB249_217 Depth=1
	s_or_b32 exec_lo, exec_lo, s0
	v_add_co_u32 v2, vcc_lo, v2, s14
	v_add_co_ci_u32_e32 v3, vcc_lo, 0, v3, vcc_lo
	v_add_co_u32 v12, vcc_lo, v12, s23
	v_add_co_ci_u32_e32 v13, vcc_lo, 0, v13, vcc_lo
	;; [unrolled: 2-line block ×7, first 2 shown]
	v_cmp_ge_i64_e64 s0, s[18:19], s[12:13]
	v_cmp_lt_u64_e64 s1, 0xffff, s[18:19]
	v_add_co_u32 v24, vcc_lo, v24, s23
	v_add_co_ci_u32_e32 v25, vcc_lo, 0, v25, vcc_lo
	v_add_co_u32 v26, vcc_lo, v26, s23
	v_add_co_ci_u32_e32 v27, vcc_lo, 0, v27, vcc_lo
	s_or_b32 s0, s0, s1
	s_add_u32 s18, s18, s14
	s_addc_u32 s19, s19, 0
	s_and_b32 vcc_lo, exec_lo, s0
	s_cbranch_vccnz .LBB249_441
.LBB249_217:                            ; =>This Inner Loop Header: Depth=1
	v_cmp_gt_u64_e64 s0, s[16:17], v[2:3]
	v_dual_mov_b32 v7, 0 :: v_dual_mov_b32 v6, 0
	s_delay_alu instid0(VALU_DEP_2)
	s_and_saveexec_b32 s1, s0
	s_cbranch_execz .LBB249_219
; %bb.218:                              ;   in Loop: Header=BB249_217 Depth=1
	v_add_co_u32 v4, vcc_lo, v12, s10
	v_add_co_ci_u32_e32 v5, vcc_lo, s11, v13, vcc_lo
	global_load_b64 v[6:7], v[4:5], off offset:-4
.LBB249_219:                            ;   in Loop: Header=BB249_217 Depth=1
	s_or_b32 exec_lo, exec_lo, s1
	v_add_co_u32 v4, vcc_lo, s20, v2
	v_add_co_ci_u32_e32 v5, vcc_lo, 0, v3, vcc_lo
	v_dual_mov_b32 v9, 0 :: v_dual_mov_b32 v10, 0
	v_mov_b32_e32 v11, 0
	s_delay_alu instid0(VALU_DEP_3) | instskip(NEXT) | instid1(VALU_DEP_1)
	v_cmp_gt_u64_e64 s1, s[16:17], v[4:5]
	s_and_saveexec_b32 s2, s1
	s_cbranch_execz .LBB249_221
; %bb.220:                              ;   in Loop: Header=BB249_217 Depth=1
	v_add_co_u32 v4, vcc_lo, v20, s10
	v_add_co_ci_u32_e32 v5, vcc_lo, s11, v21, vcc_lo
	global_load_b64 v[10:11], v[4:5], off
.LBB249_221:                            ;   in Loop: Header=BB249_217 Depth=1
	s_or_b32 exec_lo, exec_lo, s2
	v_add_co_u32 v4, vcc_lo, s21, v2
	v_add_co_ci_u32_e32 v5, vcc_lo, 0, v3, vcc_lo
	v_mov_b32_e32 v8, 0
	s_delay_alu instid0(VALU_DEP_2) | instskip(NEXT) | instid1(VALU_DEP_1)
	v_cmp_gt_u64_e64 s2, s[16:17], v[4:5]
	s_and_saveexec_b32 s3, s2
	s_cbranch_execz .LBB249_223
; %bb.222:                              ;   in Loop: Header=BB249_217 Depth=1
	v_add_co_u32 v4, vcc_lo, v24, s10
	v_add_co_ci_u32_e32 v5, vcc_lo, s11, v25, vcc_lo
	global_load_b64 v[8:9], v[4:5], off offset:-4
.LBB249_223:                            ;   in Loop: Header=BB249_217 Depth=1
	s_or_b32 exec_lo, exec_lo, s3
	v_add_co_u32 v4, vcc_lo, s22, v2
	v_add_co_ci_u32_e32 v5, vcc_lo, 0, v3, vcc_lo
	s_delay_alu instid0(VALU_DEP_1) | instskip(SKIP_1) | instid1(VALU_DEP_2)
	v_cmp_gt_u64_e64 s3, s[16:17], v[4:5]
	v_dual_mov_b32 v5, 0 :: v_dual_mov_b32 v4, 0
	s_and_saveexec_b32 s4, s3
	s_cbranch_execz .LBB249_225
; %bb.224:                              ;   in Loop: Header=BB249_217 Depth=1
	v_add_co_u32 v4, vcc_lo, v18, s10
	v_add_co_ci_u32_e32 v5, vcc_lo, s11, v19, vcc_lo
	global_load_b64 v[4:5], v[4:5], off offset:-4
.LBB249_225:                            ;   in Loop: Header=BB249_217 Depth=1
	s_or_b32 exec_lo, exec_lo, s4
	s_waitcnt vmcnt(0)
	v_and_b32_e32 v29, 0x7fffffff, v7
	v_xor_b32_e32 v28, 0x80000000, v7
                                        ; implicit-def: $vgpr0
	s_mov_b32 s4, exec_lo
	s_delay_alu instid0(VALU_DEP_2)
	v_cmpx_ne_u32_e32 0, v29
	s_xor_b32 s15, exec_lo, s4
	s_cbranch_execz .LBB249_266
; %bb.226:                              ;   in Loop: Header=BB249_217 Depth=1
	v_and_b32_e32 v31, 0x7fffffff, v6
                                        ; implicit-def: $vgpr0
	s_mov_b32 s4, exec_lo
	s_delay_alu instid0(VALU_DEP_1)
	v_cmpx_ne_u32_e32 0, v31
	s_xor_b32 s27, exec_lo, s4
	s_cbranch_execz .LBB249_255
; %bb.227:                              ;   in Loop: Header=BB249_217 Depth=1
	v_xor_b32_e32 v30, 0x80000000, v6
                                        ; implicit-def: $vgpr0
	s_mov_b32 s4, exec_lo
	v_cmpx_gt_u32_e32 0x7f800000, v29
	s_xor_b32 s28, exec_lo, s4
	s_cbranch_execz .LBB249_248
; %bb.228:                              ;   in Loop: Header=BB249_217 Depth=1
	v_add_nc_u32_e32 v0, 0xbd4e8de8, v30
	s_delay_alu instid0(VALU_DEP_1) | instskip(SKIP_1) | instid1(SALU_CYCLE_1)
	v_cmp_lt_u32_e32 vcc_lo, 0x8e8e5c, v0
                                        ; implicit-def: $vgpr0
	s_and_saveexec_b32 s4, vcc_lo
	s_xor_b32 s29, exec_lo, s4
	s_cbranch_execz .LBB249_238
; %bb.229:                              ;   in Loop: Header=BB249_217 Depth=1
	v_cmp_ngt_f32_e64 s30, 0x48000000, |v7|
                                        ; implicit-def: $vgpr31
                                        ; implicit-def: $vgpr30
	s_delay_alu instid0(VALU_DEP_1) | instskip(NEXT) | instid1(SALU_CYCLE_1)
	s_and_saveexec_b32 s4, s30
	s_xor_b32 s31, exec_lo, s4
	s_cbranch_execz .LBB249_231
; %bb.230:                              ;   in Loop: Header=BB249_217 Depth=1
	v_lshrrev_b32_e32 v35, 23, v29
	v_and_or_b32 v38, v29, s7, 0x800000
	s_delay_alu instid0(VALU_DEP_2) | instskip(NEXT) | instid1(VALU_DEP_2)
	v_add_nc_u32_e32 v36, 0xffffff88, v35
	v_mad_u64_u32 v[30:31], null, 0xfe5163ab, v38, 0
	s_delay_alu instid0(VALU_DEP_2) | instskip(SKIP_1) | instid1(VALU_DEP_1)
	v_cmp_lt_u32_e32 vcc_lo, 63, v36
	v_cndmask_b32_e64 v37, 0, 0xffffffc0, vcc_lo
	v_dual_mov_b32 v0, v31 :: v_dual_add_nc_u32 v37, v37, v36
	s_delay_alu instid0(VALU_DEP_1) | instskip(NEXT) | instid1(VALU_DEP_2)
	v_mad_u64_u32 v[31:32], null, 0x3c439041, v38, v[0:1]
	v_cmp_lt_u32_e64 s4, 31, v37
	s_delay_alu instid0(VALU_DEP_1) | instskip(NEXT) | instid1(VALU_DEP_1)
	v_cndmask_b32_e64 v39, 0, 0xffffffe0, s4
	v_dual_mov_b32 v0, v32 :: v_dual_add_nc_u32 v39, v39, v37
	s_delay_alu instid0(VALU_DEP_1) | instskip(NEXT) | instid1(VALU_DEP_2)
	v_mad_u64_u32 v[32:33], null, 0xdb629599, v38, v[0:1]
	v_cmp_lt_u32_e64 s5, 31, v39
	s_delay_alu instid0(VALU_DEP_2) | instskip(NEXT) | instid1(VALU_DEP_3)
	v_mov_b32_e32 v0, v33
	v_cndmask_b32_e32 v30, v32, v30, vcc_lo
	s_delay_alu instid0(VALU_DEP_2) | instskip(NEXT) | instid1(VALU_DEP_1)
	v_mad_u64_u32 v[33:34], null, 0xf534ddc0, v38, v[0:1]
	v_dual_mov_b32 v0, v34 :: v_dual_cndmask_b32 v31, v33, v31
	s_delay_alu instid0(VALU_DEP_1) | instskip(NEXT) | instid1(VALU_DEP_2)
	v_mad_u64_u32 v[34:35], null, 0xfc2757d1, v38, v[0:1]
	v_cndmask_b32_e64 v30, v31, v30, s4
	s_delay_alu instid0(VALU_DEP_2) | instskip(NEXT) | instid1(VALU_DEP_1)
	v_mov_b32_e32 v0, v35
	v_mad_u64_u32 v[35:36], null, 0x4e441529, v38, v[0:1]
	s_delay_alu instid0(VALU_DEP_1) | instskip(NEXT) | instid1(VALU_DEP_1)
	v_mov_b32_e32 v0, v36
	v_mad_u64_u32 v[36:37], null, 0xa2f9836e, v38, v[0:1]
	v_cndmask_b32_e64 v0, 0, 0xffffffe0, s5
	s_delay_alu instid0(VALU_DEP_4) | instskip(NEXT) | instid1(VALU_DEP_2)
	v_cndmask_b32_e32 v38, v35, v33, vcc_lo
	v_add_nc_u32_e32 v0, v0, v39
	s_delay_alu instid0(VALU_DEP_4) | instskip(SKIP_1) | instid1(VALU_DEP_3)
	v_dual_cndmask_b32 v36, v36, v34 :: v_dual_cndmask_b32 v35, v37, v35
	v_cndmask_b32_e32 v34, v34, v32, vcc_lo
	v_sub_nc_u32_e32 v37, 32, v0
	s_delay_alu instid0(VALU_DEP_3) | instskip(NEXT) | instid1(VALU_DEP_4)
	v_cndmask_b32_e64 v33, v36, v38, s4
	v_cndmask_b32_e64 v35, v35, v36, s4
	s_delay_alu instid0(VALU_DEP_4) | instskip(SKIP_2) | instid1(VALU_DEP_4)
	v_cndmask_b32_e64 v36, v38, v34, s4
	v_cndmask_b32_e64 v34, v34, v31, s4
	v_cmp_eq_u32_e64 s6, 0, v0
	v_cndmask_b32_e64 v35, v35, v33, s5
	s_delay_alu instid0(VALU_DEP_4) | instskip(NEXT) | instid1(VALU_DEP_4)
	v_cndmask_b32_e64 v33, v33, v36, s5
	v_cndmask_b32_e64 v36, v36, v34, s5
	;; [unrolled: 1-line block ×3, first 2 shown]
	s_delay_alu instid0(VALU_DEP_3) | instskip(NEXT) | instid1(VALU_DEP_3)
	v_alignbit_b32 v38, v35, v33, v37
	v_alignbit_b32 v39, v33, v36, v37
	s_delay_alu instid0(VALU_DEP_3) | instskip(NEXT) | instid1(VALU_DEP_3)
	v_alignbit_b32 v37, v36, v30, v37
	v_cndmask_b32_e64 v0, v38, v35, s6
	s_delay_alu instid0(VALU_DEP_3) | instskip(NEXT) | instid1(VALU_DEP_3)
	v_cndmask_b32_e64 v32, v39, v33, s6
	v_cndmask_b32_e64 v36, v37, v36, s6
	s_delay_alu instid0(VALU_DEP_3) | instskip(NEXT) | instid1(VALU_DEP_3)
	v_bfe_u32 v33, v0, 29, 1
	v_alignbit_b32 v31, v0, v32, 30
	s_delay_alu instid0(VALU_DEP_3) | instskip(SKIP_1) | instid1(VALU_DEP_4)
	v_alignbit_b32 v32, v32, v36, 30
	v_alignbit_b32 v30, v36, v30, 30
	v_sub_nc_u32_e32 v35, 0, v33
	s_delay_alu instid0(VALU_DEP_1) | instskip(SKIP_3) | instid1(VALU_DEP_4)
	v_xor_b32_e32 v34, v31, v35
	v_cmp_ne_u32_e32 vcc_lo, v31, v35
	v_xor_b32_e32 v32, v32, v35
	v_xor_b32_e32 v30, v30, v35
	v_clz_i32_u32_e32 v38, v34
	s_delay_alu instid0(VALU_DEP_1) | instskip(NEXT) | instid1(VALU_DEP_1)
	v_add_nc_u32_e32 v37, 1, v38
	v_cndmask_b32_e32 v31, 33, v37, vcc_lo
	s_delay_alu instid0(VALU_DEP_1) | instskip(NEXT) | instid1(VALU_DEP_1)
	v_sub_nc_u32_e32 v36, 32, v31
	v_alignbit_b32 v34, v34, v32, v36
	v_alignbit_b32 v30, v32, v30, v36
	v_lshrrev_b32_e32 v32, 29, v0
	v_lshrrev_b32_e32 v0, 30, v0
	s_delay_alu instid0(VALU_DEP_3) | instskip(NEXT) | instid1(VALU_DEP_3)
	v_alignbit_b32 v35, v34, v30, 9
	v_lshlrev_b32_e32 v32, 31, v32
	v_alignbit_b32 v34, v31, v34, 9
	s_delay_alu instid0(VALU_DEP_3) | instskip(NEXT) | instid1(VALU_DEP_2)
	v_clz_i32_u32_e32 v36, v35
	v_or_b32_e32 v34, v34, v32
	v_or_b32_e32 v32, 0x33800000, v32
	s_delay_alu instid0(VALU_DEP_3) | instskip(NEXT) | instid1(VALU_DEP_3)
	v_min_u32_e32 v36, 32, v36
	v_xor_b32_e32 v34, 1.0, v34
	s_delay_alu instid0(VALU_DEP_2) | instskip(SKIP_1) | instid1(VALU_DEP_3)
	v_sub_nc_u32_e32 v37, 31, v36
	v_add_lshl_u32 v31, v36, v31, 23
	v_mul_f32_e32 v36, 0x3fc90fda, v34
	s_delay_alu instid0(VALU_DEP_3) | instskip(NEXT) | instid1(VALU_DEP_3)
	v_alignbit_b32 v30, v35, v30, v37
	v_sub_nc_u32_e32 v31, v32, v31
	s_delay_alu instid0(VALU_DEP_3) | instskip(NEXT) | instid1(VALU_DEP_3)
	v_fma_f32 v32, 0x3fc90fda, v34, -v36
	v_lshrrev_b32_e32 v30, 9, v30
	s_delay_alu instid0(VALU_DEP_2) | instskip(NEXT) | instid1(VALU_DEP_2)
	v_fmac_f32_e32 v32, 0x33a22168, v34
	v_or_b32_e32 v30, v31, v30
	s_delay_alu instid0(VALU_DEP_1) | instskip(NEXT) | instid1(VALU_DEP_1)
	v_dual_fmac_f32 v32, 0x3fc90fda, v30 :: v_dual_add_nc_u32 v31, v33, v0
	v_add_f32_e32 v30, v36, v32
	s_and_not1_saveexec_b32 s4, s31
	s_branch .LBB249_232
.LBB249_231:                            ;   in Loop: Header=BB249_217 Depth=1
	s_and_not1_saveexec_b32 s4, s31
.LBB249_232:                            ;   in Loop: Header=BB249_217 Depth=1
	v_mul_f32_e64 v0, 0x3f22f983, |v7|
	s_delay_alu instid0(VALU_DEP_1) | instskip(NEXT) | instid1(VALU_DEP_1)
	v_rndne_f32_e32 v0, v0
	v_fma_f32 v30, 0xbfc90fda, v0, |v7|
	v_cvt_i32_f32_e32 v31, v0
	s_delay_alu instid0(VALU_DEP_2) | instskip(NEXT) | instid1(VALU_DEP_1)
	v_fmac_f32_e32 v30, 0xb3a22168, v0
	v_fmac_f32_e32 v30, 0xa7c234c4, v0
; %bb.233:                              ;   in Loop: Header=BB249_217 Depth=1
	s_or_b32 exec_lo, exec_lo, s4
                                        ; implicit-def: $vgpr32
                                        ; implicit-def: $vgpr0
	s_and_saveexec_b32 s4, s30
	s_delay_alu instid0(SALU_CYCLE_1)
	s_xor_b32 s30, exec_lo, s4
	s_cbranch_execz .LBB249_235
; %bb.234:                              ;   in Loop: Header=BB249_217 Depth=1
	v_lshrrev_b32_e32 v37, 23, v29
	v_and_or_b32 v40, v29, s7, 0x800000
	s_delay_alu instid0(VALU_DEP_2) | instskip(NEXT) | instid1(VALU_DEP_2)
	v_add_nc_u32_e32 v38, 0xffffff88, v37
	v_mad_u64_u32 v[32:33], null, 0xfe5163ab, v40, 0
	s_delay_alu instid0(VALU_DEP_2) | instskip(SKIP_1) | instid1(VALU_DEP_1)
	v_cmp_lt_u32_e32 vcc_lo, 63, v38
	v_cndmask_b32_e64 v39, 0, 0xffffffc0, vcc_lo
	v_dual_mov_b32 v0, v33 :: v_dual_add_nc_u32 v39, v39, v38
	s_delay_alu instid0(VALU_DEP_1) | instskip(NEXT) | instid1(VALU_DEP_2)
	v_mad_u64_u32 v[33:34], null, 0x3c439041, v40, v[0:1]
	v_cmp_lt_u32_e64 s4, 31, v39
	s_delay_alu instid0(VALU_DEP_1) | instskip(NEXT) | instid1(VALU_DEP_1)
	v_cndmask_b32_e64 v41, 0, 0xffffffe0, s4
	v_dual_mov_b32 v0, v34 :: v_dual_add_nc_u32 v41, v41, v39
	s_delay_alu instid0(VALU_DEP_1) | instskip(NEXT) | instid1(VALU_DEP_2)
	v_mad_u64_u32 v[34:35], null, 0xdb629599, v40, v[0:1]
	v_cmp_lt_u32_e64 s5, 31, v41
	s_delay_alu instid0(VALU_DEP_2) | instskip(NEXT) | instid1(VALU_DEP_3)
	v_mov_b32_e32 v0, v35
	v_cndmask_b32_e32 v32, v34, v32, vcc_lo
	s_delay_alu instid0(VALU_DEP_2) | instskip(NEXT) | instid1(VALU_DEP_1)
	v_mad_u64_u32 v[35:36], null, 0xf534ddc0, v40, v[0:1]
	v_dual_mov_b32 v0, v36 :: v_dual_cndmask_b32 v33, v35, v33
	s_delay_alu instid0(VALU_DEP_1) | instskip(NEXT) | instid1(VALU_DEP_2)
	v_mad_u64_u32 v[36:37], null, 0xfc2757d1, v40, v[0:1]
	v_cndmask_b32_e64 v32, v33, v32, s4
	s_delay_alu instid0(VALU_DEP_2) | instskip(NEXT) | instid1(VALU_DEP_1)
	v_mov_b32_e32 v0, v37
	v_mad_u64_u32 v[37:38], null, 0x4e441529, v40, v[0:1]
	s_delay_alu instid0(VALU_DEP_1) | instskip(NEXT) | instid1(VALU_DEP_1)
	v_mov_b32_e32 v0, v38
	v_mad_u64_u32 v[38:39], null, 0xa2f9836e, v40, v[0:1]
	v_cndmask_b32_e64 v0, 0, 0xffffffe0, s5
	s_delay_alu instid0(VALU_DEP_4) | instskip(NEXT) | instid1(VALU_DEP_2)
	v_cndmask_b32_e32 v40, v37, v35, vcc_lo
	v_add_nc_u32_e32 v0, v0, v41
	s_delay_alu instid0(VALU_DEP_4) | instskip(SKIP_1) | instid1(VALU_DEP_3)
	v_dual_cndmask_b32 v38, v38, v36 :: v_dual_cndmask_b32 v37, v39, v37
	v_cndmask_b32_e32 v36, v36, v34, vcc_lo
	v_sub_nc_u32_e32 v39, 32, v0
	s_delay_alu instid0(VALU_DEP_3) | instskip(NEXT) | instid1(VALU_DEP_4)
	v_cndmask_b32_e64 v35, v38, v40, s4
	v_cndmask_b32_e64 v37, v37, v38, s4
	s_delay_alu instid0(VALU_DEP_4) | instskip(SKIP_2) | instid1(VALU_DEP_4)
	v_cndmask_b32_e64 v38, v40, v36, s4
	v_cndmask_b32_e64 v36, v36, v33, s4
	v_cmp_eq_u32_e64 s6, 0, v0
	v_cndmask_b32_e64 v37, v37, v35, s5
	s_delay_alu instid0(VALU_DEP_4) | instskip(NEXT) | instid1(VALU_DEP_4)
	v_cndmask_b32_e64 v35, v35, v38, s5
	v_cndmask_b32_e64 v38, v38, v36, s5
	;; [unrolled: 1-line block ×3, first 2 shown]
	s_delay_alu instid0(VALU_DEP_3) | instskip(NEXT) | instid1(VALU_DEP_3)
	v_alignbit_b32 v40, v37, v35, v39
	v_alignbit_b32 v41, v35, v38, v39
	s_delay_alu instid0(VALU_DEP_3) | instskip(NEXT) | instid1(VALU_DEP_3)
	v_alignbit_b32 v39, v38, v32, v39
	v_cndmask_b32_e64 v0, v40, v37, s6
	s_delay_alu instid0(VALU_DEP_3) | instskip(NEXT) | instid1(VALU_DEP_3)
	v_cndmask_b32_e64 v34, v41, v35, s6
	v_cndmask_b32_e64 v38, v39, v38, s6
	s_delay_alu instid0(VALU_DEP_3) | instskip(NEXT) | instid1(VALU_DEP_3)
	v_bfe_u32 v35, v0, 29, 1
	v_alignbit_b32 v33, v0, v34, 30
	s_delay_alu instid0(VALU_DEP_3) | instskip(SKIP_1) | instid1(VALU_DEP_4)
	v_alignbit_b32 v34, v34, v38, 30
	v_alignbit_b32 v32, v38, v32, 30
	v_sub_nc_u32_e32 v37, 0, v35
	s_delay_alu instid0(VALU_DEP_1) | instskip(SKIP_3) | instid1(VALU_DEP_4)
	v_xor_b32_e32 v36, v33, v37
	v_cmp_ne_u32_e32 vcc_lo, v33, v37
	v_xor_b32_e32 v34, v34, v37
	v_xor_b32_e32 v32, v32, v37
	v_clz_i32_u32_e32 v40, v36
	s_delay_alu instid0(VALU_DEP_1) | instskip(NEXT) | instid1(VALU_DEP_1)
	v_add_nc_u32_e32 v39, 1, v40
	v_cndmask_b32_e32 v33, 33, v39, vcc_lo
	s_delay_alu instid0(VALU_DEP_1) | instskip(NEXT) | instid1(VALU_DEP_1)
	v_sub_nc_u32_e32 v38, 32, v33
	v_alignbit_b32 v36, v36, v34, v38
	v_alignbit_b32 v32, v34, v32, v38
	v_lshrrev_b32_e32 v34, 29, v0
	s_delay_alu instid0(VALU_DEP_2) | instskip(NEXT) | instid1(VALU_DEP_2)
	v_alignbit_b32 v37, v36, v32, 9
	v_lshlrev_b32_e32 v34, 31, v34
	v_alignbit_b32 v36, v33, v36, 9
	s_delay_alu instid0(VALU_DEP_3) | instskip(NEXT) | instid1(VALU_DEP_2)
	v_clz_i32_u32_e32 v38, v37
	v_or_b32_e32 v36, v36, v34
	v_or_b32_e32 v34, 0x33800000, v34
	s_delay_alu instid0(VALU_DEP_3) | instskip(NEXT) | instid1(VALU_DEP_3)
	v_min_u32_e32 v38, 32, v38
	v_xor_b32_e32 v36, 1.0, v36
	s_delay_alu instid0(VALU_DEP_2) | instskip(SKIP_1) | instid1(VALU_DEP_3)
	v_sub_nc_u32_e32 v39, 31, v38
	v_add_lshl_u32 v33, v38, v33, 23
	v_mul_f32_e32 v38, 0x3fc90fda, v36
	s_delay_alu instid0(VALU_DEP_3) | instskip(NEXT) | instid1(VALU_DEP_3)
	v_alignbit_b32 v32, v37, v32, v39
	v_sub_nc_u32_e32 v33, v34, v33
	s_delay_alu instid0(VALU_DEP_3) | instskip(NEXT) | instid1(VALU_DEP_3)
	v_fma_f32 v34, 0x3fc90fda, v36, -v38
	v_lshrrev_b32_e32 v32, 9, v32
	s_delay_alu instid0(VALU_DEP_2) | instskip(NEXT) | instid1(VALU_DEP_2)
	v_fmac_f32_e32 v34, 0x33a22168, v36
	v_or_b32_e32 v32, v33, v32
	s_delay_alu instid0(VALU_DEP_1) | instskip(SKIP_1) | instid1(VALU_DEP_2)
	v_fmac_f32_e32 v34, 0x3fc90fda, v32
	v_lshrrev_b32_e32 v32, 30, v0
	v_add_f32_e32 v0, v38, v34
	s_delay_alu instid0(VALU_DEP_2)
	v_add_nc_u32_e32 v32, v35, v32
	s_and_not1_saveexec_b32 s4, s30
	s_cbranch_execnz .LBB249_236
	s_branch .LBB249_237
.LBB249_235:                            ;   in Loop: Header=BB249_217 Depth=1
	s_and_not1_saveexec_b32 s4, s30
.LBB249_236:                            ;   in Loop: Header=BB249_217 Depth=1
	v_mul_f32_e64 v0, 0x3f22f983, |v7|
	s_delay_alu instid0(VALU_DEP_1) | instskip(NEXT) | instid1(VALU_DEP_1)
	v_rndne_f32_e32 v32, v0
	v_fma_f32 v0, 0xbfc90fda, v32, |v7|
	s_delay_alu instid0(VALU_DEP_1) | instskip(NEXT) | instid1(VALU_DEP_1)
	v_fmac_f32_e32 v0, 0xb3a22168, v32
	v_fmac_f32_e32 v0, 0xa7c234c4, v32
	v_cvt_i32_f32_e32 v32, v32
.LBB249_237:                            ;   in Loop: Header=BB249_217 Depth=1
	s_or_b32 exec_lo, exec_lo, s4
	s_delay_alu instid0(VALU_DEP_2) | instskip(SKIP_2) | instid1(VALU_DEP_3)
	v_dual_mul_f32 v33, 0xbfb8aa3b, v6 :: v_dual_mul_f32 v38, v0, v0
	v_dual_mul_f32 v34, v30, v30 :: v_dual_and_b32 v35, 1, v31
	v_lshlrev_b32_e32 v31, 30, v31
	v_rndne_f32_e32 v36, v33
	v_fma_f32 v37, 0xbfb8aa3b, v6, -v33
	s_delay_alu instid0(VALU_DEP_4) | instskip(SKIP_1) | instid1(VALU_DEP_3)
	v_dual_fmaak_f32 v40, s24, v34, 0x3c0881c4 :: v_dual_and_b32 v39, 1, v32
	v_fmaak_f32 v42, s24, v38, 0x3c0881c4
	v_dual_fmac_f32 v37, 0xb2a5705f, v6 :: v_dual_lshlrev_b32 v32, 30, v32
	v_fmaak_f32 v41, s25, v34, 0xbab64f3b
	v_sub_f32_e32 v33, v33, v36
	v_cmp_eq_u32_e32 vcc_lo, 0, v35
	v_cvt_i32_f32_e32 v36, v36
	v_and_or_b32 v29, 0x80000000, v32, v29
	v_cmp_ngt_f32_e64 s4, 0xc2b17218, v6
	v_add_f32_e32 v33, v33, v37
	v_fmaak_f32 v37, v34, v40, 0xbe2aaa9d
	s_delay_alu instid0(VALU_DEP_1) | instskip(NEXT) | instid1(VALU_DEP_1)
	v_mul_f32_e32 v37, v34, v37
	v_fmac_f32_e32 v30, v30, v37
	v_fmaak_f32 v40, v34, v41, 0x3d2aabf7
	s_delay_alu instid0(VALU_DEP_1) | instskip(NEXT) | instid1(VALU_DEP_1)
	v_fmaak_f32 v40, v34, v40, 0xbf000004
	v_fma_f32 v34, v34, v40, 1.0
	s_delay_alu instid0(VALU_DEP_1) | instskip(SKIP_2) | instid1(VALU_DEP_1)
	v_cndmask_b32_e64 v30, -v30, v34, vcc_lo
	v_cmp_eq_u32_e32 vcc_lo, 0, v39
	v_fmaak_f32 v41, v38, v42, 0xbe2aaa9d
	v_mul_f32_e32 v41, v38, v41
	s_delay_alu instid0(VALU_DEP_1) | instskip(NEXT) | instid1(VALU_DEP_1)
	v_dual_fmaak_f32 v43, s25, v38, 0xbab64f3b :: v_dual_fmac_f32 v0, v0, v41
	v_fmaak_f32 v42, v38, v43, 0x3d2aabf7
	v_exp_f32_e32 v33, v33
	s_delay_alu instid0(VALU_DEP_1) | instskip(NEXT) | instid1(VALU_DEP_1)
	v_fmaak_f32 v42, v38, v42, 0xbf000004
	v_fma_f32 v37, v38, v42, 1.0
	s_waitcnt_depctr 0xfff
	v_ldexp_f32 v33, v33, v36
	v_cndmask_b32_e32 v0, v37, v0, vcc_lo
	v_cmp_nlt_f32_e32 vcc_lo, 0x42ce8ed0, v6
	s_delay_alu instid0(VALU_DEP_2) | instskip(NEXT) | instid1(VALU_DEP_4)
	v_xor3_b32 v0, v29, v0, v28
	v_cndmask_b32_e32 v32, 0, v33, vcc_lo
	v_cmp_class_f32_e64 vcc_lo, v7, 0x1f8
                                        ; implicit-def: $vgpr29
	s_delay_alu instid0(VALU_DEP_2) | instskip(NEXT) | instid1(VALU_DEP_4)
	v_cndmask_b32_e64 v6, 0x7f800000, v32, s4
	v_cndmask_b32_e32 v28, 0x7fc00000, v0, vcc_lo
	s_delay_alu instid0(VALU_DEP_1) | instskip(NEXT) | instid1(VALU_DEP_1)
	v_dual_mul_f32 v28, v6, v28 :: v_dual_and_b32 v31, 0x80000000, v31
	v_xor_b32_e32 v30, v31, v30
	s_delay_alu instid0(VALU_DEP_1) | instskip(NEXT) | instid1(VALU_DEP_1)
	v_cndmask_b32_e32 v7, 0x7fc00000, v30, vcc_lo
	v_mul_f32_e32 v0, v6, v7
                                        ; implicit-def: $vgpr7
.LBB249_238:                            ;   in Loop: Header=BB249_217 Depth=1
	s_and_not1_saveexec_b32 s29, s29
	s_cbranch_execz .LBB249_282
; %bb.239:                              ;   in Loop: Header=BB249_217 Depth=1
	v_cmp_ngt_f32_e64 s30, 0x48000000, |v7|
                                        ; implicit-def: $vgpr31
                                        ; implicit-def: $vgpr30
	s_delay_alu instid0(VALU_DEP_1) | instskip(NEXT) | instid1(SALU_CYCLE_1)
	s_and_saveexec_b32 s4, s30
	s_xor_b32 s31, exec_lo, s4
	s_cbranch_execz .LBB249_241
; %bb.240:                              ;   in Loop: Header=BB249_217 Depth=1
	v_lshrrev_b32_e32 v35, 23, v29
	v_and_or_b32 v38, v29, s7, 0x800000
	s_delay_alu instid0(VALU_DEP_2) | instskip(NEXT) | instid1(VALU_DEP_2)
	v_add_nc_u32_e32 v36, 0xffffff88, v35
	v_mad_u64_u32 v[30:31], null, 0xfe5163ab, v38, 0
	s_delay_alu instid0(VALU_DEP_2) | instskip(SKIP_1) | instid1(VALU_DEP_1)
	v_cmp_lt_u32_e32 vcc_lo, 63, v36
	v_cndmask_b32_e64 v37, 0, 0xffffffc0, vcc_lo
	v_dual_mov_b32 v0, v31 :: v_dual_add_nc_u32 v37, v37, v36
	s_delay_alu instid0(VALU_DEP_1) | instskip(NEXT) | instid1(VALU_DEP_2)
	v_mad_u64_u32 v[31:32], null, 0x3c439041, v38, v[0:1]
	v_cmp_lt_u32_e64 s4, 31, v37
	s_delay_alu instid0(VALU_DEP_1) | instskip(NEXT) | instid1(VALU_DEP_1)
	v_cndmask_b32_e64 v39, 0, 0xffffffe0, s4
	v_dual_mov_b32 v0, v32 :: v_dual_add_nc_u32 v39, v39, v37
	s_delay_alu instid0(VALU_DEP_1) | instskip(NEXT) | instid1(VALU_DEP_2)
	v_mad_u64_u32 v[32:33], null, 0xdb629599, v38, v[0:1]
	v_cmp_lt_u32_e64 s5, 31, v39
	s_delay_alu instid0(VALU_DEP_2) | instskip(NEXT) | instid1(VALU_DEP_3)
	v_mov_b32_e32 v0, v33
	v_cndmask_b32_e32 v30, v32, v30, vcc_lo
	s_delay_alu instid0(VALU_DEP_2) | instskip(NEXT) | instid1(VALU_DEP_1)
	v_mad_u64_u32 v[33:34], null, 0xf534ddc0, v38, v[0:1]
	v_dual_mov_b32 v0, v34 :: v_dual_cndmask_b32 v31, v33, v31
	s_delay_alu instid0(VALU_DEP_1) | instskip(NEXT) | instid1(VALU_DEP_2)
	v_mad_u64_u32 v[34:35], null, 0xfc2757d1, v38, v[0:1]
	v_cndmask_b32_e64 v30, v31, v30, s4
	s_delay_alu instid0(VALU_DEP_2) | instskip(NEXT) | instid1(VALU_DEP_1)
	v_mov_b32_e32 v0, v35
	v_mad_u64_u32 v[35:36], null, 0x4e441529, v38, v[0:1]
	s_delay_alu instid0(VALU_DEP_1) | instskip(NEXT) | instid1(VALU_DEP_1)
	v_mov_b32_e32 v0, v36
	v_mad_u64_u32 v[36:37], null, 0xa2f9836e, v38, v[0:1]
	v_cndmask_b32_e64 v0, 0, 0xffffffe0, s5
	s_delay_alu instid0(VALU_DEP_4) | instskip(NEXT) | instid1(VALU_DEP_2)
	v_cndmask_b32_e32 v38, v35, v33, vcc_lo
	v_add_nc_u32_e32 v0, v0, v39
	s_delay_alu instid0(VALU_DEP_4) | instskip(SKIP_1) | instid1(VALU_DEP_3)
	v_dual_cndmask_b32 v36, v36, v34 :: v_dual_cndmask_b32 v35, v37, v35
	v_cndmask_b32_e32 v34, v34, v32, vcc_lo
	v_sub_nc_u32_e32 v37, 32, v0
	s_delay_alu instid0(VALU_DEP_3) | instskip(NEXT) | instid1(VALU_DEP_4)
	v_cndmask_b32_e64 v33, v36, v38, s4
	v_cndmask_b32_e64 v35, v35, v36, s4
	s_delay_alu instid0(VALU_DEP_4) | instskip(SKIP_2) | instid1(VALU_DEP_4)
	v_cndmask_b32_e64 v36, v38, v34, s4
	v_cndmask_b32_e64 v34, v34, v31, s4
	v_cmp_eq_u32_e64 s6, 0, v0
	v_cndmask_b32_e64 v35, v35, v33, s5
	s_delay_alu instid0(VALU_DEP_4) | instskip(NEXT) | instid1(VALU_DEP_4)
	v_cndmask_b32_e64 v33, v33, v36, s5
	v_cndmask_b32_e64 v36, v36, v34, s5
	;; [unrolled: 1-line block ×3, first 2 shown]
	s_delay_alu instid0(VALU_DEP_3) | instskip(NEXT) | instid1(VALU_DEP_3)
	v_alignbit_b32 v38, v35, v33, v37
	v_alignbit_b32 v39, v33, v36, v37
	s_delay_alu instid0(VALU_DEP_3) | instskip(NEXT) | instid1(VALU_DEP_3)
	v_alignbit_b32 v37, v36, v30, v37
	v_cndmask_b32_e64 v0, v38, v35, s6
	s_delay_alu instid0(VALU_DEP_3) | instskip(NEXT) | instid1(VALU_DEP_3)
	v_cndmask_b32_e64 v32, v39, v33, s6
	v_cndmask_b32_e64 v36, v37, v36, s6
	s_delay_alu instid0(VALU_DEP_3) | instskip(NEXT) | instid1(VALU_DEP_3)
	v_bfe_u32 v33, v0, 29, 1
	v_alignbit_b32 v31, v0, v32, 30
	s_delay_alu instid0(VALU_DEP_3) | instskip(SKIP_1) | instid1(VALU_DEP_4)
	v_alignbit_b32 v32, v32, v36, 30
	v_alignbit_b32 v30, v36, v30, 30
	v_sub_nc_u32_e32 v35, 0, v33
	s_delay_alu instid0(VALU_DEP_1) | instskip(SKIP_3) | instid1(VALU_DEP_4)
	v_xor_b32_e32 v34, v31, v35
	v_cmp_ne_u32_e32 vcc_lo, v31, v35
	v_xor_b32_e32 v32, v32, v35
	v_xor_b32_e32 v30, v30, v35
	v_clz_i32_u32_e32 v38, v34
	s_delay_alu instid0(VALU_DEP_1) | instskip(NEXT) | instid1(VALU_DEP_1)
	v_add_nc_u32_e32 v37, 1, v38
	v_cndmask_b32_e32 v31, 33, v37, vcc_lo
	s_delay_alu instid0(VALU_DEP_1) | instskip(NEXT) | instid1(VALU_DEP_1)
	v_sub_nc_u32_e32 v36, 32, v31
	v_alignbit_b32 v34, v34, v32, v36
	v_alignbit_b32 v30, v32, v30, v36
	v_lshrrev_b32_e32 v32, 29, v0
	v_lshrrev_b32_e32 v0, 30, v0
	s_delay_alu instid0(VALU_DEP_3) | instskip(NEXT) | instid1(VALU_DEP_3)
	v_alignbit_b32 v35, v34, v30, 9
	v_lshlrev_b32_e32 v32, 31, v32
	v_alignbit_b32 v34, v31, v34, 9
	s_delay_alu instid0(VALU_DEP_3) | instskip(NEXT) | instid1(VALU_DEP_2)
	v_clz_i32_u32_e32 v36, v35
	v_or_b32_e32 v34, v34, v32
	v_or_b32_e32 v32, 0x33800000, v32
	s_delay_alu instid0(VALU_DEP_3) | instskip(NEXT) | instid1(VALU_DEP_3)
	v_min_u32_e32 v36, 32, v36
	v_xor_b32_e32 v34, 1.0, v34
	s_delay_alu instid0(VALU_DEP_2) | instskip(SKIP_1) | instid1(VALU_DEP_3)
	v_sub_nc_u32_e32 v37, 31, v36
	v_add_lshl_u32 v31, v36, v31, 23
	v_mul_f32_e32 v36, 0x3fc90fda, v34
	s_delay_alu instid0(VALU_DEP_3) | instskip(NEXT) | instid1(VALU_DEP_3)
	v_alignbit_b32 v30, v35, v30, v37
	v_sub_nc_u32_e32 v31, v32, v31
	s_delay_alu instid0(VALU_DEP_3) | instskip(NEXT) | instid1(VALU_DEP_3)
	v_fma_f32 v32, 0x3fc90fda, v34, -v36
	v_lshrrev_b32_e32 v30, 9, v30
	s_delay_alu instid0(VALU_DEP_2) | instskip(NEXT) | instid1(VALU_DEP_2)
	v_fmac_f32_e32 v32, 0x33a22168, v34
	v_or_b32_e32 v30, v31, v30
	s_delay_alu instid0(VALU_DEP_1) | instskip(NEXT) | instid1(VALU_DEP_1)
	v_dual_fmac_f32 v32, 0x3fc90fda, v30 :: v_dual_add_nc_u32 v31, v33, v0
	v_add_f32_e32 v30, v36, v32
	s_and_not1_saveexec_b32 s4, s31
	s_branch .LBB249_242
.LBB249_241:                            ;   in Loop: Header=BB249_217 Depth=1
	s_and_not1_saveexec_b32 s4, s31
.LBB249_242:                            ;   in Loop: Header=BB249_217 Depth=1
	v_mul_f32_e64 v0, 0x3f22f983, |v7|
	s_delay_alu instid0(VALU_DEP_1) | instskip(NEXT) | instid1(VALU_DEP_1)
	v_rndne_f32_e32 v0, v0
	v_fma_f32 v30, 0xbfc90fda, v0, |v7|
	v_cvt_i32_f32_e32 v31, v0
	s_delay_alu instid0(VALU_DEP_2) | instskip(NEXT) | instid1(VALU_DEP_1)
	v_fmac_f32_e32 v30, 0xb3a22168, v0
	v_fmac_f32_e32 v30, 0xa7c234c4, v0
; %bb.243:                              ;   in Loop: Header=BB249_217 Depth=1
	s_or_b32 exec_lo, exec_lo, s4
                                        ; implicit-def: $vgpr32
                                        ; implicit-def: $vgpr0
	s_and_saveexec_b32 s4, s30
	s_delay_alu instid0(SALU_CYCLE_1)
	s_xor_b32 s30, exec_lo, s4
	s_cbranch_execz .LBB249_245
; %bb.244:                              ;   in Loop: Header=BB249_217 Depth=1
	v_lshrrev_b32_e32 v37, 23, v29
	v_and_or_b32 v40, v29, s7, 0x800000
	s_delay_alu instid0(VALU_DEP_2) | instskip(NEXT) | instid1(VALU_DEP_2)
	v_add_nc_u32_e32 v38, 0xffffff88, v37
	v_mad_u64_u32 v[32:33], null, 0xfe5163ab, v40, 0
	s_delay_alu instid0(VALU_DEP_2) | instskip(SKIP_1) | instid1(VALU_DEP_1)
	v_cmp_lt_u32_e32 vcc_lo, 63, v38
	v_cndmask_b32_e64 v39, 0, 0xffffffc0, vcc_lo
	v_dual_mov_b32 v0, v33 :: v_dual_add_nc_u32 v39, v39, v38
	s_delay_alu instid0(VALU_DEP_1) | instskip(NEXT) | instid1(VALU_DEP_2)
	v_mad_u64_u32 v[33:34], null, 0x3c439041, v40, v[0:1]
	v_cmp_lt_u32_e64 s4, 31, v39
	s_delay_alu instid0(VALU_DEP_1) | instskip(NEXT) | instid1(VALU_DEP_1)
	v_cndmask_b32_e64 v41, 0, 0xffffffe0, s4
	v_dual_mov_b32 v0, v34 :: v_dual_add_nc_u32 v41, v41, v39
	s_delay_alu instid0(VALU_DEP_1) | instskip(NEXT) | instid1(VALU_DEP_2)
	v_mad_u64_u32 v[34:35], null, 0xdb629599, v40, v[0:1]
	v_cmp_lt_u32_e64 s5, 31, v41
	s_delay_alu instid0(VALU_DEP_2) | instskip(NEXT) | instid1(VALU_DEP_3)
	v_mov_b32_e32 v0, v35
	v_cndmask_b32_e32 v32, v34, v32, vcc_lo
	s_delay_alu instid0(VALU_DEP_2) | instskip(NEXT) | instid1(VALU_DEP_1)
	v_mad_u64_u32 v[35:36], null, 0xf534ddc0, v40, v[0:1]
	v_dual_mov_b32 v0, v36 :: v_dual_cndmask_b32 v33, v35, v33
	s_delay_alu instid0(VALU_DEP_1) | instskip(NEXT) | instid1(VALU_DEP_2)
	v_mad_u64_u32 v[36:37], null, 0xfc2757d1, v40, v[0:1]
	v_cndmask_b32_e64 v32, v33, v32, s4
	s_delay_alu instid0(VALU_DEP_2) | instskip(NEXT) | instid1(VALU_DEP_1)
	v_mov_b32_e32 v0, v37
	v_mad_u64_u32 v[37:38], null, 0x4e441529, v40, v[0:1]
	s_delay_alu instid0(VALU_DEP_1) | instskip(NEXT) | instid1(VALU_DEP_1)
	v_mov_b32_e32 v0, v38
	v_mad_u64_u32 v[38:39], null, 0xa2f9836e, v40, v[0:1]
	v_cndmask_b32_e64 v0, 0, 0xffffffe0, s5
	s_delay_alu instid0(VALU_DEP_4) | instskip(NEXT) | instid1(VALU_DEP_2)
	v_cndmask_b32_e32 v40, v37, v35, vcc_lo
	v_add_nc_u32_e32 v0, v0, v41
	s_delay_alu instid0(VALU_DEP_4) | instskip(SKIP_1) | instid1(VALU_DEP_3)
	v_dual_cndmask_b32 v38, v38, v36 :: v_dual_cndmask_b32 v37, v39, v37
	v_cndmask_b32_e32 v36, v36, v34, vcc_lo
	v_sub_nc_u32_e32 v39, 32, v0
	s_delay_alu instid0(VALU_DEP_3) | instskip(NEXT) | instid1(VALU_DEP_4)
	v_cndmask_b32_e64 v35, v38, v40, s4
	v_cndmask_b32_e64 v37, v37, v38, s4
	s_delay_alu instid0(VALU_DEP_4) | instskip(SKIP_2) | instid1(VALU_DEP_4)
	v_cndmask_b32_e64 v38, v40, v36, s4
	v_cndmask_b32_e64 v36, v36, v33, s4
	v_cmp_eq_u32_e64 s6, 0, v0
	v_cndmask_b32_e64 v37, v37, v35, s5
	s_delay_alu instid0(VALU_DEP_4) | instskip(NEXT) | instid1(VALU_DEP_4)
	v_cndmask_b32_e64 v35, v35, v38, s5
	v_cndmask_b32_e64 v38, v38, v36, s5
	v_cndmask_b32_e64 v32, v36, v32, s5
	s_delay_alu instid0(VALU_DEP_3) | instskip(NEXT) | instid1(VALU_DEP_3)
	v_alignbit_b32 v40, v37, v35, v39
	v_alignbit_b32 v41, v35, v38, v39
	s_delay_alu instid0(VALU_DEP_3) | instskip(NEXT) | instid1(VALU_DEP_3)
	v_alignbit_b32 v39, v38, v32, v39
	v_cndmask_b32_e64 v0, v40, v37, s6
	s_delay_alu instid0(VALU_DEP_3) | instskip(NEXT) | instid1(VALU_DEP_3)
	v_cndmask_b32_e64 v34, v41, v35, s6
	v_cndmask_b32_e64 v38, v39, v38, s6
	s_delay_alu instid0(VALU_DEP_3) | instskip(NEXT) | instid1(VALU_DEP_3)
	v_bfe_u32 v35, v0, 29, 1
	v_alignbit_b32 v33, v0, v34, 30
	s_delay_alu instid0(VALU_DEP_3) | instskip(SKIP_1) | instid1(VALU_DEP_4)
	v_alignbit_b32 v34, v34, v38, 30
	v_alignbit_b32 v32, v38, v32, 30
	v_sub_nc_u32_e32 v37, 0, v35
	s_delay_alu instid0(VALU_DEP_1) | instskip(SKIP_3) | instid1(VALU_DEP_4)
	v_xor_b32_e32 v36, v33, v37
	v_cmp_ne_u32_e32 vcc_lo, v33, v37
	v_xor_b32_e32 v34, v34, v37
	v_xor_b32_e32 v32, v32, v37
	v_clz_i32_u32_e32 v40, v36
	s_delay_alu instid0(VALU_DEP_1) | instskip(NEXT) | instid1(VALU_DEP_1)
	v_add_nc_u32_e32 v39, 1, v40
	v_cndmask_b32_e32 v33, 33, v39, vcc_lo
	s_delay_alu instid0(VALU_DEP_1) | instskip(NEXT) | instid1(VALU_DEP_1)
	v_sub_nc_u32_e32 v38, 32, v33
	v_alignbit_b32 v36, v36, v34, v38
	v_alignbit_b32 v32, v34, v32, v38
	v_lshrrev_b32_e32 v34, 29, v0
	s_delay_alu instid0(VALU_DEP_2) | instskip(NEXT) | instid1(VALU_DEP_2)
	v_alignbit_b32 v37, v36, v32, 9
	v_lshlrev_b32_e32 v34, 31, v34
	v_alignbit_b32 v36, v33, v36, 9
	s_delay_alu instid0(VALU_DEP_3) | instskip(NEXT) | instid1(VALU_DEP_2)
	v_clz_i32_u32_e32 v38, v37
	v_or_b32_e32 v36, v36, v34
	v_or_b32_e32 v34, 0x33800000, v34
	s_delay_alu instid0(VALU_DEP_3) | instskip(NEXT) | instid1(VALU_DEP_3)
	v_min_u32_e32 v38, 32, v38
	v_xor_b32_e32 v36, 1.0, v36
	s_delay_alu instid0(VALU_DEP_2) | instskip(SKIP_1) | instid1(VALU_DEP_3)
	v_sub_nc_u32_e32 v39, 31, v38
	v_add_lshl_u32 v33, v38, v33, 23
	v_mul_f32_e32 v38, 0x3fc90fda, v36
	s_delay_alu instid0(VALU_DEP_3) | instskip(NEXT) | instid1(VALU_DEP_3)
	v_alignbit_b32 v32, v37, v32, v39
	v_sub_nc_u32_e32 v33, v34, v33
	s_delay_alu instid0(VALU_DEP_3) | instskip(NEXT) | instid1(VALU_DEP_3)
	v_fma_f32 v34, 0x3fc90fda, v36, -v38
	v_lshrrev_b32_e32 v32, 9, v32
	s_delay_alu instid0(VALU_DEP_2) | instskip(NEXT) | instid1(VALU_DEP_2)
	v_fmac_f32_e32 v34, 0x33a22168, v36
	v_or_b32_e32 v32, v33, v32
	s_delay_alu instid0(VALU_DEP_1) | instskip(SKIP_1) | instid1(VALU_DEP_2)
	v_fmac_f32_e32 v34, 0x3fc90fda, v32
	v_lshrrev_b32_e32 v32, 30, v0
	v_add_f32_e32 v0, v38, v34
	s_delay_alu instid0(VALU_DEP_2)
	v_add_nc_u32_e32 v32, v35, v32
	s_and_not1_saveexec_b32 s4, s30
	s_cbranch_execnz .LBB249_246
	s_branch .LBB249_247
.LBB249_245:                            ;   in Loop: Header=BB249_217 Depth=1
	s_and_not1_saveexec_b32 s4, s30
.LBB249_246:                            ;   in Loop: Header=BB249_217 Depth=1
	v_mul_f32_e64 v0, 0x3f22f983, |v7|
	s_delay_alu instid0(VALU_DEP_1) | instskip(NEXT) | instid1(VALU_DEP_1)
	v_rndne_f32_e32 v32, v0
	v_fma_f32 v0, 0xbfc90fda, v32, |v7|
	s_delay_alu instid0(VALU_DEP_1) | instskip(NEXT) | instid1(VALU_DEP_1)
	v_fmac_f32_e32 v0, 0xb3a22168, v32
	v_fmac_f32_e32 v0, 0xa7c234c4, v32
	v_cvt_i32_f32_e32 v32, v32
.LBB249_247:                            ;   in Loop: Header=BB249_217 Depth=1
	s_or_b32 exec_lo, exec_lo, s4
	v_sub_f32_e32 v6, 0xc322e3bc, v6
	v_mul_f32_e32 v36, v30, v30
	s_delay_alu instid0(VALU_DEP_2) | instskip(NEXT) | instid1(VALU_DEP_2)
	v_mul_f32_e32 v33, 0x3fb8aa3b, v6
	v_fmaak_f32 v38, s25, v36, 0xbab64f3b
	s_delay_alu instid0(VALU_DEP_2) | instskip(SKIP_1) | instid1(VALU_DEP_1)
	v_fma_f32 v34, 0x3fb8aa3b, v6, -v33
	v_rndne_f32_e32 v35, v33
	v_dual_sub_f32 v33, v33, v35 :: v_dual_fmac_f32 v34, 0x32a5705f, v6
	v_cmp_ngt_f32_e32 vcc_lo, 0xc2ce8ed0, v6
	s_delay_alu instid0(VALU_DEP_2) | instskip(SKIP_3) | instid1(VALU_DEP_4)
	v_add_f32_e32 v33, v33, v34
	v_cvt_i32_f32_e32 v34, v35
	v_lshlrev_b32_e32 v35, 30, v31
	v_and_b32_e32 v31, 1, v31
	v_exp_f32_e32 v33, v33
	s_waitcnt_depctr 0xfff
	v_ldexp_f32 v33, v33, v34
	v_and_b32_e32 v34, 1, v32
	s_delay_alu instid0(VALU_DEP_2) | instskip(SKIP_1) | instid1(VALU_DEP_2)
	v_dual_cndmask_b32 v33, 0, v33 :: v_dual_lshlrev_b32 v32, 30, v32
	v_cmp_nlt_f32_e32 vcc_lo, 0x42b17218, v6
	v_and_or_b32 v29, 0x80000000, v32, v29
	v_fmaak_f32 v32, v36, v38, 0x3d2aabf7
	s_delay_alu instid0(VALU_DEP_4) | instskip(SKIP_2) | instid1(VALU_DEP_3)
	v_dual_mul_f32 v37, v0, v0 :: v_dual_cndmask_b32 v6, 0x7f800000, v33
	v_fmaak_f32 v39, s24, v36, 0x3c0881c4
	v_cmp_eq_u32_e32 vcc_lo, 0, v31
	v_fmaak_f32 v40, s24, v37, 0x3c0881c4
	v_fmaak_f32 v33, s25, v37, 0xbab64f3b
	s_delay_alu instid0(VALU_DEP_4)
	v_fmaak_f32 v38, v36, v39, 0xbe2aaa9d
	v_and_b32_e32 v35, 0x80000000, v35
	v_lshrrev_b32_e32 v39, 23, v6
	v_fmaak_f32 v40, v37, v40, 0xbe2aaa9d
	v_and_or_b32 v6, 0x7fffff, v6, s26
	v_dual_mul_f32 v38, v36, v38 :: v_dual_fmaak_f32 v33, v37, v33, 0x3d2aabf7
	s_delay_alu instid0(VALU_DEP_4) | instskip(NEXT) | instid1(VALU_DEP_2)
	v_subrev_nc_u32_e32 v39, 19, v39
	v_fmac_f32_e32 v30, v30, v38
	s_delay_alu instid0(VALU_DEP_3) | instskip(NEXT) | instid1(VALU_DEP_1)
	v_dual_fmaak_f32 v32, v36, v32, 0xbf000004 :: v_dual_fmaak_f32 v33, v37, v33, 0xbf000004
	v_fma_f32 v32, v36, v32, 1.0
	s_delay_alu instid0(VALU_DEP_4) | instskip(NEXT) | instid1(VALU_DEP_3)
	v_lshrrev_b16 v36, 15, v39
	v_fma_f32 v33, v37, v33, 1.0
	s_delay_alu instid0(VALU_DEP_3) | instskip(SKIP_1) | instid1(VALU_DEP_4)
	v_cndmask_b32_e64 v30, -v30, v32, vcc_lo
	v_cmp_eq_u32_e32 vcc_lo, 0, v34
	v_add_nc_u16 v31, v39, v36
	s_delay_alu instid0(VALU_DEP_3) | instskip(SKIP_1) | instid1(VALU_DEP_3)
	v_xor_b32_e32 v30, v35, v30
	v_mul_f32_e32 v40, v37, v40
	v_ashrrev_i16 v31, 1, v31
	s_delay_alu instid0(VALU_DEP_2) | instskip(NEXT) | instid1(VALU_DEP_1)
	v_fmac_f32_e32 v0, v0, v40
	v_cndmask_b32_e32 v0, v33, v0, vcc_lo
	v_cmp_class_f32_e64 vcc_lo, v7, 0x1f8
	s_delay_alu instid0(VALU_DEP_2) | instskip(SKIP_2) | instid1(VALU_DEP_2)
	v_xor3_b32 v0, v29, v0, v28
	v_cndmask_b32_e32 v7, 0x7fc00000, v30, vcc_lo
	v_bfe_i32 v28, v31, 0, 16
	v_dual_cndmask_b32 v0, 0x7fc00000, v0 :: v_dual_mul_f32 v7, v7, v6
	s_delay_alu instid0(VALU_DEP_2) | instskip(SKIP_1) | instid1(VALU_DEP_3)
	v_lshl_add_u32 v29, v28, 23, 1.0
	v_sub_nc_u32_e32 v28, v39, v28
	v_mul_f32_e32 v0, v0, v6
	s_delay_alu instid0(VALU_DEP_3) | instskip(NEXT) | instid1(VALU_DEP_3)
	v_mul_f32_e32 v6, v7, v29
	v_lshl_add_u32 v7, v28, 23, 1.0
	s_delay_alu instid0(VALU_DEP_3) | instskip(NEXT) | instid1(VALU_DEP_2)
	v_mul_f32_e32 v28, v0, v29
	v_mul_f32_e32 v0, v6, v7
	s_delay_alu instid0(VALU_DEP_2)
	v_mul_f32_e32 v28, v28, v7
	s_or_b32 exec_lo, exec_lo, s29
                                        ; implicit-def: $vgpr30
                                        ; implicit-def: $vgpr7
                                        ; implicit-def: $vgpr31
.LBB249_248:                            ;   in Loop: Header=BB249_217 Depth=1
	s_and_not1_saveexec_b32 s4, s28
	s_cbranch_execz .LBB249_254
.LBB249_249:                            ;   in Loop: Header=BB249_217 Depth=1
	s_mov_b32 s5, exec_lo
                                        ; implicit-def: $vgpr28
	v_cmpx_ne_u32_e32 0x7f800000, v31
	s_xor_b32 s5, exec_lo, s5
; %bb.250:                              ;   in Loop: Header=BB249_217 Depth=1
	v_sub_f32_e32 v28, v7, v7
                                        ; implicit-def: $vgpr30
                                        ; implicit-def: $vgpr7
; %bb.251:                              ;   in Loop: Header=BB249_217 Depth=1
	s_or_saveexec_b32 s5, s5
	s_delay_alu instid0(VALU_DEP_1)
	v_mov_b32_e32 v0, v28
	s_xor_b32 exec_lo, exec_lo, s5
; %bb.252:                              ;   in Loop: Header=BB249_217 Depth=1
	v_sub_f32_e32 v7, v7, v7
	v_cmp_lt_i32_e32 vcc_lo, -1, v30
	v_cndmask_b32_e64 v0, 0, -v6, vcc_lo
	s_delay_alu instid0(VALU_DEP_3)
	v_cndmask_b32_e32 v28, 0, v7, vcc_lo
; %bb.253:                              ;   in Loop: Header=BB249_217 Depth=1
	s_or_b32 exec_lo, exec_lo, s5
.LBB249_254:                            ;   in Loop: Header=BB249_217 Depth=1
	s_delay_alu instid0(SALU_CYCLE_1)
	s_or_b32 exec_lo, exec_lo, s4
                                        ; implicit-def: $vgpr7
                                        ; implicit-def: $vgpr29
.LBB249_255:                            ;   in Loop: Header=BB249_217 Depth=1
	s_and_not1_saveexec_b32 s27, s27
	s_cbranch_execz .LBB249_265
; %bb.256:                              ;   in Loop: Header=BB249_217 Depth=1
	v_cmp_ngt_f32_e64 s28, 0x48000000, |v7|
                                        ; implicit-def: $vgpr30
                                        ; implicit-def: $vgpr6
	s_delay_alu instid0(VALU_DEP_1) | instskip(NEXT) | instid1(SALU_CYCLE_1)
	s_and_saveexec_b32 s4, s28
	s_xor_b32 s29, exec_lo, s4
	s_cbranch_execz .LBB249_258
; %bb.257:                              ;   in Loop: Header=BB249_217 Depth=1
	v_lshrrev_b32_e32 v35, 23, v29
	v_and_or_b32 v6, v29, s7, 0x800000
	s_delay_alu instid0(VALU_DEP_2) | instskip(NEXT) | instid1(VALU_DEP_2)
	v_add_nc_u32_e32 v36, 0xffffff88, v35
	v_mad_u64_u32 v[30:31], null, 0xfe5163ab, v6, 0
	s_delay_alu instid0(VALU_DEP_2) | instskip(SKIP_1) | instid1(VALU_DEP_1)
	v_cmp_lt_u32_e32 vcc_lo, 63, v36
	v_cndmask_b32_e64 v37, 0, 0xffffffc0, vcc_lo
	v_dual_mov_b32 v0, v31 :: v_dual_add_nc_u32 v37, v37, v36
	s_delay_alu instid0(VALU_DEP_1) | instskip(NEXT) | instid1(VALU_DEP_2)
	v_mad_u64_u32 v[31:32], null, 0x3c439041, v6, v[0:1]
	v_cmp_lt_u32_e64 s4, 31, v37
	s_delay_alu instid0(VALU_DEP_2) | instskip(NEXT) | instid1(VALU_DEP_2)
	v_mov_b32_e32 v0, v32
	v_cndmask_b32_e64 v38, 0, 0xffffffe0, s4
	s_delay_alu instid0(VALU_DEP_2) | instskip(NEXT) | instid1(VALU_DEP_2)
	v_mad_u64_u32 v[32:33], null, 0xdb629599, v6, v[0:1]
	v_add_nc_u32_e32 v38, v38, v37
	s_delay_alu instid0(VALU_DEP_1) | instskip(NEXT) | instid1(VALU_DEP_3)
	v_cmp_lt_u32_e64 s5, 31, v38
	v_mov_b32_e32 v0, v33
	s_delay_alu instid0(VALU_DEP_4) | instskip(NEXT) | instid1(VALU_DEP_2)
	v_cndmask_b32_e32 v30, v32, v30, vcc_lo
	v_mad_u64_u32 v[33:34], null, 0xf534ddc0, v6, v[0:1]
	s_delay_alu instid0(VALU_DEP_1) | instskip(NEXT) | instid1(VALU_DEP_1)
	v_dual_mov_b32 v0, v34 :: v_dual_cndmask_b32 v31, v33, v31
	v_mad_u64_u32 v[34:35], null, 0xfc2757d1, v6, v[0:1]
	s_delay_alu instid0(VALU_DEP_2) | instskip(NEXT) | instid1(VALU_DEP_2)
	v_cndmask_b32_e64 v30, v31, v30, s4
	v_mov_b32_e32 v0, v35
	s_delay_alu instid0(VALU_DEP_1) | instskip(NEXT) | instid1(VALU_DEP_1)
	v_mad_u64_u32 v[35:36], null, 0x4e441529, v6, v[0:1]
	v_mov_b32_e32 v0, v36
	s_delay_alu instid0(VALU_DEP_1) | instskip(SKIP_1) | instid1(VALU_DEP_4)
	v_mad_u64_u32 v[36:37], null, 0xa2f9836e, v6, v[0:1]
	v_cndmask_b32_e64 v0, 0, 0xffffffe0, s5
	v_cndmask_b32_e32 v6, v35, v33, vcc_lo
	s_delay_alu instid0(VALU_DEP_2) | instskip(NEXT) | instid1(VALU_DEP_4)
	v_add_nc_u32_e32 v0, v0, v38
	v_dual_cndmask_b32 v36, v36, v34 :: v_dual_cndmask_b32 v35, v37, v35
	v_cndmask_b32_e32 v34, v34, v32, vcc_lo
	s_delay_alu instid0(VALU_DEP_3) | instskip(NEXT) | instid1(VALU_DEP_3)
	v_cmp_eq_u32_e64 s6, 0, v0
	v_cndmask_b32_e64 v33, v36, v6, s4
	s_delay_alu instid0(VALU_DEP_4) | instskip(NEXT) | instid1(VALU_DEP_4)
	v_cndmask_b32_e64 v35, v35, v36, s4
	v_cndmask_b32_e64 v6, v6, v34, s4
	v_sub_nc_u32_e32 v36, 32, v0
	v_cndmask_b32_e64 v34, v34, v31, s4
	s_delay_alu instid0(VALU_DEP_4) | instskip(NEXT) | instid1(VALU_DEP_4)
	v_cndmask_b32_e64 v35, v35, v33, s5
	v_cndmask_b32_e64 v33, v33, v6, s5
	s_delay_alu instid0(VALU_DEP_3) | instskip(SKIP_1) | instid1(VALU_DEP_3)
	v_cndmask_b32_e64 v6, v6, v34, s5
	v_cndmask_b32_e64 v30, v34, v30, s5
	v_alignbit_b32 v37, v35, v33, v36
	s_delay_alu instid0(VALU_DEP_3) | instskip(NEXT) | instid1(VALU_DEP_3)
	v_alignbit_b32 v38, v33, v6, v36
	v_alignbit_b32 v36, v6, v30, v36
	s_delay_alu instid0(VALU_DEP_3) | instskip(NEXT) | instid1(VALU_DEP_3)
	v_cndmask_b32_e64 v0, v37, v35, s6
	v_cndmask_b32_e64 v32, v38, v33, s6
	s_delay_alu instid0(VALU_DEP_3) | instskip(NEXT) | instid1(VALU_DEP_3)
	v_cndmask_b32_e64 v6, v36, v6, s6
	v_bfe_u32 v33, v0, 29, 1
	s_delay_alu instid0(VALU_DEP_3) | instskip(NEXT) | instid1(VALU_DEP_3)
	v_alignbit_b32 v31, v0, v32, 30
	v_alignbit_b32 v32, v32, v6, 30
	;; [unrolled: 1-line block ×3, first 2 shown]
	s_delay_alu instid0(VALU_DEP_4) | instskip(NEXT) | instid1(VALU_DEP_1)
	v_sub_nc_u32_e32 v35, 0, v33
	v_xor_b32_e32 v34, v31, v35
	v_cmp_ne_u32_e32 vcc_lo, v31, v35
	v_xor_b32_e32 v30, v32, v35
	v_xor_b32_e32 v6, v6, v35
	s_delay_alu instid0(VALU_DEP_4) | instskip(NEXT) | instid1(VALU_DEP_1)
	v_clz_i32_u32_e32 v37, v34
	v_add_nc_u32_e32 v36, 1, v37
	s_delay_alu instid0(VALU_DEP_1) | instskip(NEXT) | instid1(VALU_DEP_1)
	v_cndmask_b32_e32 v31, 33, v36, vcc_lo
	v_sub_nc_u32_e32 v32, 32, v31
	s_delay_alu instid0(VALU_DEP_1) | instskip(SKIP_3) | instid1(VALU_DEP_3)
	v_alignbit_b32 v34, v34, v30, v32
	v_alignbit_b32 v6, v30, v6, v32
	v_lshrrev_b32_e32 v30, 29, v0
	v_lshrrev_b32_e32 v0, 30, v0
	v_alignbit_b32 v32, v34, v6, 9
	s_delay_alu instid0(VALU_DEP_3) | instskip(SKIP_1) | instid1(VALU_DEP_3)
	v_lshlrev_b32_e32 v30, 31, v30
	v_alignbit_b32 v34, v31, v34, 9
	v_clz_i32_u32_e32 v35, v32
	s_delay_alu instid0(VALU_DEP_2) | instskip(SKIP_1) | instid1(VALU_DEP_3)
	v_or_b32_e32 v34, v34, v30
	v_or_b32_e32 v30, 0x33800000, v30
	v_min_u32_e32 v35, 32, v35
	s_delay_alu instid0(VALU_DEP_3) | instskip(NEXT) | instid1(VALU_DEP_2)
	v_xor_b32_e32 v34, 1.0, v34
	v_sub_nc_u32_e32 v36, 31, v35
	v_add_lshl_u32 v31, v35, v31, 23
	s_delay_alu instid0(VALU_DEP_3) | instskip(NEXT) | instid1(VALU_DEP_3)
	v_mul_f32_e32 v35, 0x3fc90fda, v34
	v_alignbit_b32 v6, v32, v6, v36
	s_delay_alu instid0(VALU_DEP_3) | instskip(NEXT) | instid1(VALU_DEP_3)
	v_sub_nc_u32_e32 v30, v30, v31
	v_fma_f32 v31, 0x3fc90fda, v34, -v35
	s_delay_alu instid0(VALU_DEP_3) | instskip(NEXT) | instid1(VALU_DEP_2)
	v_lshrrev_b32_e32 v6, 9, v6
	v_fmac_f32_e32 v31, 0x33a22168, v34
	s_delay_alu instid0(VALU_DEP_2) | instskip(NEXT) | instid1(VALU_DEP_1)
	v_or_b32_e32 v6, v30, v6
	v_dual_fmac_f32 v31, 0x3fc90fda, v6 :: v_dual_add_nc_u32 v30, v33, v0
	s_delay_alu instid0(VALU_DEP_1)
	v_add_f32_e32 v6, v35, v31
	s_and_not1_saveexec_b32 s4, s29
	s_branch .LBB249_259
.LBB249_258:                            ;   in Loop: Header=BB249_217 Depth=1
	s_and_not1_saveexec_b32 s4, s29
.LBB249_259:                            ;   in Loop: Header=BB249_217 Depth=1
	v_mul_f32_e64 v0, 0x3f22f983, |v7|
	s_delay_alu instid0(VALU_DEP_1) | instskip(NEXT) | instid1(VALU_DEP_1)
	v_rndne_f32_e32 v0, v0
	v_fma_f32 v6, 0xbfc90fda, v0, |v7|
	v_cvt_i32_f32_e32 v30, v0
	s_delay_alu instid0(VALU_DEP_2) | instskip(NEXT) | instid1(VALU_DEP_1)
	v_fmac_f32_e32 v6, 0xb3a22168, v0
	v_fmac_f32_e32 v6, 0xa7c234c4, v0
; %bb.260:                              ;   in Loop: Header=BB249_217 Depth=1
	s_or_b32 exec_lo, exec_lo, s4
                                        ; implicit-def: $vgpr31
                                        ; implicit-def: $vgpr0
	s_and_saveexec_b32 s4, s28
	s_delay_alu instid0(SALU_CYCLE_1)
	s_xor_b32 s28, exec_lo, s4
	s_cbranch_execz .LBB249_262
; %bb.261:                              ;   in Loop: Header=BB249_217 Depth=1
	v_and_or_b32 v39, v29, s7, 0x800000
	v_lshrrev_b32_e32 v36, 23, v29
	s_delay_alu instid0(VALU_DEP_2) | instskip(NEXT) | instid1(VALU_DEP_2)
	v_mad_u64_u32 v[31:32], null, 0xfe5163ab, v39, 0
	v_add_nc_u32_e32 v37, 0xffffff88, v36
	s_delay_alu instid0(VALU_DEP_1) | instskip(NEXT) | instid1(VALU_DEP_3)
	v_cmp_lt_u32_e32 vcc_lo, 63, v37
	v_mov_b32_e32 v0, v32
	v_cndmask_b32_e64 v38, 0, 0xffffffc0, vcc_lo
	s_delay_alu instid0(VALU_DEP_2) | instskip(NEXT) | instid1(VALU_DEP_2)
	v_mad_u64_u32 v[32:33], null, 0x3c439041, v39, v[0:1]
	v_add_nc_u32_e32 v38, v38, v37
	s_delay_alu instid0(VALU_DEP_2) | instskip(NEXT) | instid1(VALU_DEP_2)
	v_mov_b32_e32 v0, v33
	v_cmp_lt_u32_e64 s4, 31, v38
	s_delay_alu instid0(VALU_DEP_2) | instskip(NEXT) | instid1(VALU_DEP_2)
	v_mad_u64_u32 v[33:34], null, 0xdb629599, v39, v[0:1]
	v_cndmask_b32_e64 v40, 0, 0xffffffe0, s4
	s_delay_alu instid0(VALU_DEP_1) | instskip(NEXT) | instid1(VALU_DEP_3)
	v_add_nc_u32_e32 v40, v40, v38
	v_dual_mov_b32 v0, v34 :: v_dual_cndmask_b32 v31, v33, v31
	s_delay_alu instid0(VALU_DEP_2) | instskip(NEXT) | instid1(VALU_DEP_2)
	v_cmp_lt_u32_e64 s5, 31, v40
	v_mad_u64_u32 v[34:35], null, 0xf534ddc0, v39, v[0:1]
	s_delay_alu instid0(VALU_DEP_1) | instskip(NEXT) | instid1(VALU_DEP_2)
	v_mov_b32_e32 v0, v35
	v_cndmask_b32_e32 v32, v34, v32, vcc_lo
	s_delay_alu instid0(VALU_DEP_2) | instskip(NEXT) | instid1(VALU_DEP_2)
	v_mad_u64_u32 v[35:36], null, 0xfc2757d1, v39, v[0:1]
	v_cndmask_b32_e64 v31, v32, v31, s4
	s_delay_alu instid0(VALU_DEP_2) | instskip(NEXT) | instid1(VALU_DEP_1)
	v_mov_b32_e32 v0, v36
	v_mad_u64_u32 v[36:37], null, 0x4e441529, v39, v[0:1]
	s_delay_alu instid0(VALU_DEP_1) | instskip(NEXT) | instid1(VALU_DEP_1)
	v_mov_b32_e32 v0, v37
	v_mad_u64_u32 v[37:38], null, 0xa2f9836e, v39, v[0:1]
	v_cndmask_b32_e64 v0, 0, 0xffffffe0, s5
	s_delay_alu instid0(VALU_DEP_4) | instskip(NEXT) | instid1(VALU_DEP_2)
	v_cndmask_b32_e32 v39, v36, v34, vcc_lo
	v_dual_cndmask_b32 v37, v37, v35 :: v_dual_add_nc_u32 v0, v0, v40
	s_delay_alu instid0(VALU_DEP_4) | instskip(NEXT) | instid1(VALU_DEP_2)
	v_dual_cndmask_b32 v36, v38, v36 :: v_dual_cndmask_b32 v35, v35, v33
	v_sub_nc_u32_e32 v38, 32, v0
	s_delay_alu instid0(VALU_DEP_3) | instskip(NEXT) | instid1(VALU_DEP_3)
	v_cndmask_b32_e64 v34, v37, v39, s4
	v_cndmask_b32_e64 v36, v36, v37, s4
	s_delay_alu instid0(VALU_DEP_4) | instskip(SKIP_2) | instid1(VALU_DEP_4)
	v_cndmask_b32_e64 v37, v39, v35, s4
	v_cndmask_b32_e64 v35, v35, v32, s4
	v_cmp_eq_u32_e64 s6, 0, v0
	v_cndmask_b32_e64 v36, v36, v34, s5
	s_delay_alu instid0(VALU_DEP_4) | instskip(NEXT) | instid1(VALU_DEP_4)
	v_cndmask_b32_e64 v34, v34, v37, s5
	v_cndmask_b32_e64 v37, v37, v35, s5
	;; [unrolled: 1-line block ×3, first 2 shown]
	s_delay_alu instid0(VALU_DEP_3) | instskip(NEXT) | instid1(VALU_DEP_3)
	v_alignbit_b32 v39, v36, v34, v38
	v_alignbit_b32 v40, v34, v37, v38
	s_delay_alu instid0(VALU_DEP_3) | instskip(NEXT) | instid1(VALU_DEP_3)
	v_alignbit_b32 v38, v37, v31, v38
	v_cndmask_b32_e64 v0, v39, v36, s6
	s_delay_alu instid0(VALU_DEP_3) | instskip(NEXT) | instid1(VALU_DEP_3)
	v_cndmask_b32_e64 v33, v40, v34, s6
	v_cndmask_b32_e64 v37, v38, v37, s6
	s_delay_alu instid0(VALU_DEP_3) | instskip(NEXT) | instid1(VALU_DEP_3)
	v_bfe_u32 v34, v0, 29, 1
	v_alignbit_b32 v32, v0, v33, 30
	s_delay_alu instid0(VALU_DEP_3) | instskip(SKIP_1) | instid1(VALU_DEP_4)
	v_alignbit_b32 v33, v33, v37, 30
	v_alignbit_b32 v31, v37, v31, 30
	v_sub_nc_u32_e32 v36, 0, v34
	s_delay_alu instid0(VALU_DEP_1) | instskip(SKIP_3) | instid1(VALU_DEP_4)
	v_xor_b32_e32 v35, v32, v36
	v_cmp_ne_u32_e32 vcc_lo, v32, v36
	v_xor_b32_e32 v33, v33, v36
	v_xor_b32_e32 v31, v31, v36
	v_clz_i32_u32_e32 v39, v35
	s_delay_alu instid0(VALU_DEP_1) | instskip(NEXT) | instid1(VALU_DEP_1)
	v_add_nc_u32_e32 v38, 1, v39
	v_cndmask_b32_e32 v32, 33, v38, vcc_lo
	s_delay_alu instid0(VALU_DEP_1) | instskip(NEXT) | instid1(VALU_DEP_1)
	v_sub_nc_u32_e32 v37, 32, v32
	v_alignbit_b32 v35, v35, v33, v37
	v_alignbit_b32 v31, v33, v31, v37
	v_lshrrev_b32_e32 v33, 29, v0
	s_delay_alu instid0(VALU_DEP_2) | instskip(NEXT) | instid1(VALU_DEP_2)
	v_alignbit_b32 v36, v35, v31, 9
	v_lshlrev_b32_e32 v33, 31, v33
	v_alignbit_b32 v35, v32, v35, 9
	s_delay_alu instid0(VALU_DEP_3) | instskip(NEXT) | instid1(VALU_DEP_2)
	v_clz_i32_u32_e32 v37, v36
	v_or_b32_e32 v35, v35, v33
	v_or_b32_e32 v33, 0x33800000, v33
	s_delay_alu instid0(VALU_DEP_3) | instskip(NEXT) | instid1(VALU_DEP_3)
	v_min_u32_e32 v37, 32, v37
	v_xor_b32_e32 v35, 1.0, v35
	s_delay_alu instid0(VALU_DEP_2) | instskip(SKIP_1) | instid1(VALU_DEP_3)
	v_sub_nc_u32_e32 v38, 31, v37
	v_add_lshl_u32 v32, v37, v32, 23
	v_mul_f32_e32 v37, 0x3fc90fda, v35
	s_delay_alu instid0(VALU_DEP_3) | instskip(NEXT) | instid1(VALU_DEP_3)
	v_alignbit_b32 v31, v36, v31, v38
	v_sub_nc_u32_e32 v32, v33, v32
	s_delay_alu instid0(VALU_DEP_3) | instskip(NEXT) | instid1(VALU_DEP_3)
	v_fma_f32 v33, 0x3fc90fda, v35, -v37
	v_lshrrev_b32_e32 v31, 9, v31
	s_delay_alu instid0(VALU_DEP_2) | instskip(NEXT) | instid1(VALU_DEP_2)
	v_fmac_f32_e32 v33, 0x33a22168, v35
	v_or_b32_e32 v31, v32, v31
	s_delay_alu instid0(VALU_DEP_1) | instskip(SKIP_1) | instid1(VALU_DEP_1)
	v_fmac_f32_e32 v33, 0x3fc90fda, v31
	v_lshrrev_b32_e32 v31, 30, v0
	v_dual_add_f32 v0, v37, v33 :: v_dual_add_nc_u32 v31, v34, v31
	s_and_not1_saveexec_b32 s4, s28
	s_cbranch_execnz .LBB249_263
	s_branch .LBB249_264
.LBB249_262:                            ;   in Loop: Header=BB249_217 Depth=1
	s_and_not1_saveexec_b32 s4, s28
.LBB249_263:                            ;   in Loop: Header=BB249_217 Depth=1
	v_mul_f32_e64 v0, 0x3f22f983, |v7|
	s_delay_alu instid0(VALU_DEP_1) | instskip(NEXT) | instid1(VALU_DEP_1)
	v_rndne_f32_e32 v31, v0
	v_fma_f32 v0, 0xbfc90fda, v31, |v7|
	s_delay_alu instid0(VALU_DEP_1) | instskip(NEXT) | instid1(VALU_DEP_1)
	v_fmac_f32_e32 v0, 0xb3a22168, v31
	v_fmac_f32_e32 v0, 0xa7c234c4, v31
	v_cvt_i32_f32_e32 v31, v31
.LBB249_264:                            ;   in Loop: Header=BB249_217 Depth=1
	s_or_b32 exec_lo, exec_lo, s4
	s_delay_alu instid0(VALU_DEP_1) | instskip(SKIP_2) | instid1(VALU_DEP_3)
	v_dual_mul_f32 v32, v6, v6 :: v_dual_mul_f32 v33, v0, v0
	v_and_b32_e32 v34, 1, v30
	v_lshlrev_b32_e32 v30, 30, v30
	v_dual_fmaak_f32 v36, s25, v32, 0xbab64f3b :: v_dual_and_b32 v39, 1, v31
	s_delay_alu instid0(VALU_DEP_4) | instskip(SKIP_3) | instid1(VALU_DEP_4)
	v_fmaak_f32 v37, s24, v33, 0x3c0881c4
	v_dual_fmaak_f32 v38, s25, v33, 0xbab64f3b :: v_dual_lshlrev_b32 v31, 30, v31
	v_fmaak_f32 v35, s24, v32, 0x3c0881c4
	v_cmp_eq_u32_e32 vcc_lo, 0, v34
	v_fmaak_f32 v37, v33, v37, 0xbe2aaa9d
	s_delay_alu instid0(VALU_DEP_4)
	v_fmaak_f32 v38, v33, v38, 0x3d2aabf7
	v_fmaak_f32 v36, v32, v36, 0x3d2aabf7
	v_and_b32_e32 v30, 0x80000000, v30
	v_and_or_b32 v29, 0x80000000, v31, v29
	v_mul_f32_e32 v37, v33, v37
	v_fmaak_f32 v38, v33, v38, 0xbf000004
	v_fmaak_f32 v36, v32, v36, 0xbf000004
	s_delay_alu instid0(VALU_DEP_3) | instskip(NEXT) | instid1(VALU_DEP_3)
	v_fmac_f32_e32 v0, v0, v37
	v_fma_f32 v33, v33, v38, 1.0
	v_fmaak_f32 v35, v32, v35, 0xbe2aaa9d
	s_delay_alu instid0(VALU_DEP_1) | instskip(SKIP_1) | instid1(VALU_DEP_2)
	v_mul_f32_e32 v35, v32, v35
	v_fma_f32 v32, v32, v36, 1.0
	v_fmac_f32_e32 v6, v6, v35
	s_delay_alu instid0(VALU_DEP_1) | instskip(SKIP_1) | instid1(VALU_DEP_2)
	v_cndmask_b32_e64 v6, -v6, v32, vcc_lo
	v_cmp_eq_u32_e32 vcc_lo, 0, v39
	v_xor_b32_e32 v6, v30, v6
	v_cndmask_b32_e32 v0, v33, v0, vcc_lo
	v_cmp_class_f32_e64 vcc_lo, v7, 0x1f8
	s_delay_alu instid0(VALU_DEP_2) | instskip(NEXT) | instid1(VALU_DEP_4)
	v_xor3_b32 v28, v29, v0, v28
	v_cndmask_b32_e32 v0, 0x7fc00000, v6, vcc_lo
	s_delay_alu instid0(VALU_DEP_2)
	v_cndmask_b32_e32 v28, 0x7fc00000, v28, vcc_lo
.LBB249_265:                            ;   in Loop: Header=BB249_217 Depth=1
	s_or_b32 exec_lo, exec_lo, s27
                                        ; implicit-def: $vgpr6
.LBB249_266:                            ;   in Loop: Header=BB249_217 Depth=1
	s_and_not1_saveexec_b32 s4, s15
	s_cbranch_execz .LBB249_268
; %bb.267:                              ;   in Loop: Header=BB249_217 Depth=1
	v_mul_f32_e32 v0, 0xbfb8aa3b, v6
	v_cmp_nlt_f32_e32 vcc_lo, 0x42ce8ed0, v6
	s_delay_alu instid0(VALU_DEP_2) | instskip(SKIP_1) | instid1(VALU_DEP_1)
	v_rndne_f32_e32 v7, v0
	v_fma_f32 v29, 0xbfb8aa3b, v6, -v0
	v_dual_sub_f32 v0, v0, v7 :: v_dual_fmac_f32 v29, 0xb2a5705f, v6
	v_cvt_i32_f32_e32 v7, v7
	s_delay_alu instid0(VALU_DEP_2) | instskip(NEXT) | instid1(VALU_DEP_1)
	v_add_f32_e32 v0, v0, v29
	v_exp_f32_e32 v0, v0
	s_waitcnt_depctr 0xfff
	v_ldexp_f32 v0, v0, v7
	s_delay_alu instid0(VALU_DEP_1) | instskip(SKIP_1) | instid1(VALU_DEP_2)
	v_cndmask_b32_e32 v0, 0, v0, vcc_lo
	v_cmp_ngt_f32_e32 vcc_lo, 0xc2b17218, v6
	v_cndmask_b32_e32 v0, 0x7f800000, v0, vcc_lo
.LBB249_268:                            ;   in Loop: Header=BB249_217 Depth=1
	s_or_b32 exec_lo, exec_lo, s4
	s_delay_alu instid0(VALU_DEP_1) | instskip(SKIP_2) | instid1(VALU_DEP_2)
	v_add_f32_e32 v29, s8, v0
	v_add_f32_e32 v0, s9, v28
                                        ; implicit-def: $vgpr7
	s_mov_b32 s4, exec_lo
	v_cmp_gt_f32_e32 vcc_lo, 0, v29
	v_cndmask_b32_e64 v28, v29, -v29, vcc_lo
	s_delay_alu instid0(VALU_DEP_3) | instskip(SKIP_1) | instid1(VALU_DEP_1)
	v_cmp_gt_f32_e32 vcc_lo, 0, v0
	v_cndmask_b32_e64 v30, v0, -v0, vcc_lo
	v_cmpx_ge_f32_e32 v28, v30
	s_xor_b32 s5, exec_lo, s4
	s_cbranch_execz .LBB249_274
; %bb.269:                              ;   in Loop: Header=BB249_217 Depth=1
	v_cmp_neq_f32_e32 vcc_lo, 0, v29
	v_cmp_neq_f32_e64 s4, 0, v0
                                        ; implicit-def: $vgpr7
	s_delay_alu instid0(VALU_DEP_1) | instskip(NEXT) | instid1(SALU_CYCLE_1)
	s_or_b32 s4, vcc_lo, s4
	s_and_saveexec_b32 s6, s4
	s_delay_alu instid0(SALU_CYCLE_1)
	s_xor_b32 s4, exec_lo, s6
	s_cbranch_execz .LBB249_271
; %bb.270:                              ;   in Loop: Header=BB249_217 Depth=1
	v_div_scale_f32 v6, null, v29, v29, v0
	v_div_scale_f32 v30, vcc_lo, v0, v29, v0
	s_delay_alu instid0(VALU_DEP_2) | instskip(SKIP_2) | instid1(VALU_DEP_1)
	v_rcp_f32_e32 v7, v6
	s_waitcnt_depctr 0xfff
	v_fma_f32 v28, -v6, v7, 1.0
	v_fmac_f32_e32 v7, v28, v7
	s_delay_alu instid0(VALU_DEP_1) | instskip(NEXT) | instid1(VALU_DEP_1)
	v_mul_f32_e32 v28, v30, v7
	v_fma_f32 v31, -v6, v28, v30
	s_delay_alu instid0(VALU_DEP_1) | instskip(NEXT) | instid1(VALU_DEP_1)
	v_fmac_f32_e32 v28, v31, v7
	v_fma_f32 v6, -v6, v28, v30
	s_delay_alu instid0(VALU_DEP_1) | instskip(NEXT) | instid1(VALU_DEP_1)
	v_div_fmas_f32 v6, v6, v7, v28
	v_div_fixup_f32 v6, v6, v29, v0
	s_delay_alu instid0(VALU_DEP_1) | instskip(NEXT) | instid1(VALU_DEP_1)
	v_fmac_f32_e32 v29, v0, v6
	v_div_scale_f32 v0, null, v29, v29, 1.0
	v_div_scale_f32 v30, vcc_lo, 1.0, v29, 1.0
	s_delay_alu instid0(VALU_DEP_2) | instskip(SKIP_2) | instid1(VALU_DEP_1)
	v_rcp_f32_e32 v7, v0
	s_waitcnt_depctr 0xfff
	v_fma_f32 v28, -v0, v7, 1.0
	v_fmac_f32_e32 v7, v28, v7
	s_delay_alu instid0(VALU_DEP_1) | instskip(NEXT) | instid1(VALU_DEP_1)
	v_mul_f32_e32 v28, v30, v7
	v_fma_f32 v31, -v0, v28, v30
	s_delay_alu instid0(VALU_DEP_1) | instskip(NEXT) | instid1(VALU_DEP_1)
	v_fmac_f32_e32 v28, v31, v7
	v_fma_f32 v0, -v0, v28, v30
                                        ; implicit-def: $vgpr30
	s_delay_alu instid0(VALU_DEP_1) | instskip(SKIP_2) | instid1(VALU_DEP_3)
	v_div_fmas_f32 v0, v0, v7, v28
	v_fma_f32 v7, v6, s9, s8
	v_fma_f32 v28, -v6, s8, s9
	v_div_fixup_f32 v0, v0, v29, 1.0
	s_delay_alu instid0(VALU_DEP_1) | instskip(NEXT) | instid1(VALU_DEP_3)
	v_mul_f32_e32 v6, v7, v0
	v_mul_f32_e32 v7, v28, v0
                                        ; implicit-def: $vgpr28
.LBB249_271:                            ;   in Loop: Header=BB249_217 Depth=1
	s_and_not1_saveexec_b32 s6, s4
	s_cbranch_execz .LBB249_273
; %bb.272:                              ;   in Loop: Header=BB249_217 Depth=1
	v_div_scale_f32 v0, null, v28, v28, s8
	v_div_scale_f32 v6, null, v30, v30, s9
	v_div_scale_f32 v33, vcc_lo, s8, v28, s8
	s_delay_alu instid0(VALU_DEP_3) | instskip(NEXT) | instid1(VALU_DEP_2)
	v_rcp_f32_e32 v7, v0
	v_rcp_f32_e32 v29, v6
	s_waitcnt_depctr 0xfff
	v_fma_f32 v31, -v0, v7, 1.0
	v_fma_f32 v32, -v6, v29, 1.0
	s_delay_alu instid0(VALU_DEP_1) | instskip(NEXT) | instid1(VALU_DEP_3)
	v_fmac_f32_e32 v29, v32, v29
	v_fmac_f32_e32 v7, v31, v7
	v_div_scale_f32 v31, s4, s9, v30, s9
	s_delay_alu instid0(VALU_DEP_1) | instskip(NEXT) | instid1(VALU_DEP_1)
	v_mul_f32_e32 v34, v31, v29
	v_fma_f32 v36, -v6, v34, v31
	s_delay_alu instid0(VALU_DEP_1) | instskip(SKIP_1) | instid1(VALU_DEP_2)
	v_fmac_f32_e32 v34, v36, v29
	v_mul_f32_e32 v32, v33, v7
	v_fma_f32 v6, -v6, v34, v31
	s_delay_alu instid0(VALU_DEP_2) | instskip(NEXT) | instid1(VALU_DEP_1)
	v_fma_f32 v35, -v0, v32, v33
	v_fmac_f32_e32 v32, v35, v7
	s_delay_alu instid0(VALU_DEP_1) | instskip(NEXT) | instid1(VALU_DEP_1)
	v_fma_f32 v0, -v0, v32, v33
	v_div_fmas_f32 v0, v0, v7, v32
	s_mov_b32 vcc_lo, s4
	v_div_fmas_f32 v7, v6, v29, v34
	s_delay_alu instid0(VALU_DEP_2) | instskip(NEXT) | instid1(VALU_DEP_2)
	v_div_fixup_f32 v6, v0, v28, s8
	v_div_fixup_f32 v7, v7, v30, s9
.LBB249_273:                            ;   in Loop: Header=BB249_217 Depth=1
	s_or_b32 exec_lo, exec_lo, s6
                                        ; implicit-def: $vgpr0
                                        ; implicit-def: $vgpr29
.LBB249_274:                            ;   in Loop: Header=BB249_217 Depth=1
	s_and_not1_saveexec_b32 s4, s5
	s_cbranch_execz .LBB249_276
; %bb.275:                              ;   in Loop: Header=BB249_217 Depth=1
	v_div_scale_f32 v6, null, v0, v0, v29
	v_div_scale_f32 v30, vcc_lo, v29, v0, v29
	s_delay_alu instid0(VALU_DEP_2) | instskip(SKIP_2) | instid1(VALU_DEP_1)
	v_rcp_f32_e32 v7, v6
	s_waitcnt_depctr 0xfff
	v_fma_f32 v28, -v6, v7, 1.0
	v_fmac_f32_e32 v7, v28, v7
	s_delay_alu instid0(VALU_DEP_1) | instskip(NEXT) | instid1(VALU_DEP_1)
	v_mul_f32_e32 v28, v30, v7
	v_fma_f32 v31, -v6, v28, v30
	s_delay_alu instid0(VALU_DEP_1) | instskip(NEXT) | instid1(VALU_DEP_1)
	v_fmac_f32_e32 v28, v31, v7
	v_fma_f32 v6, -v6, v28, v30
	s_delay_alu instid0(VALU_DEP_1) | instskip(NEXT) | instid1(VALU_DEP_1)
	v_div_fmas_f32 v6, v6, v7, v28
	v_div_fixup_f32 v6, v6, v0, v29
	s_delay_alu instid0(VALU_DEP_1) | instskip(NEXT) | instid1(VALU_DEP_1)
	v_fmac_f32_e32 v0, v29, v6
	v_div_scale_f32 v7, null, v0, v0, 1.0
	v_div_scale_f32 v30, vcc_lo, 1.0, v0, 1.0
	s_delay_alu instid0(VALU_DEP_2) | instskip(SKIP_2) | instid1(VALU_DEP_1)
	v_rcp_f32_e32 v28, v7
	s_waitcnt_depctr 0xfff
	v_fma_f32 v29, -v7, v28, 1.0
	v_fmac_f32_e32 v28, v29, v28
	s_delay_alu instid0(VALU_DEP_1) | instskip(NEXT) | instid1(VALU_DEP_1)
	v_mul_f32_e32 v29, v30, v28
	v_fma_f32 v31, -v7, v29, v30
	s_delay_alu instid0(VALU_DEP_1) | instskip(NEXT) | instid1(VALU_DEP_1)
	v_fmac_f32_e32 v29, v31, v28
	v_fma_f32 v7, -v7, v29, v30
	s_delay_alu instid0(VALU_DEP_1) | instskip(SKIP_1) | instid1(VALU_DEP_2)
	v_div_fmas_f32 v7, v7, v28, v29
	v_fma_f32 v28, v6, s8, s9
	v_div_fixup_f32 v0, v7, v0, 1.0
	v_fma_f32 v7, v6, s9, -s8
	s_delay_alu instid0(VALU_DEP_2) | instskip(NEXT) | instid1(VALU_DEP_2)
	v_mul_f32_e32 v6, v28, v0
	v_mul_f32_e32 v7, v7, v0
.LBB249_276:                            ;   in Loop: Header=BB249_217 Depth=1
	s_or_b32 exec_lo, exec_lo, s4
	v_and_b32_e32 v29, 0x7fffffff, v11
	v_xor_b32_e32 v28, 0x80000000, v11
                                        ; implicit-def: $vgpr0
	s_mov_b32 s4, exec_lo
	s_delay_alu instid0(VALU_DEP_2)
	v_cmpx_ne_u32_e32 0, v29
	s_xor_b32 s15, exec_lo, s4
	s_cbranch_execz .LBB249_319
; %bb.277:                              ;   in Loop: Header=BB249_217 Depth=1
	v_and_b32_e32 v31, 0x7fffffff, v10
                                        ; implicit-def: $vgpr0
	s_mov_b32 s4, exec_lo
	s_delay_alu instid0(VALU_DEP_1)
	v_cmpx_ne_u32_e32 0, v31
	s_xor_b32 s27, exec_lo, s4
	s_cbranch_execz .LBB249_308
; %bb.278:                              ;   in Loop: Header=BB249_217 Depth=1
	v_xor_b32_e32 v30, 0x80000000, v10
                                        ; implicit-def: $vgpr0
	s_mov_b32 s4, exec_lo
	v_cmpx_gt_u32_e32 0x7f800000, v29
	s_xor_b32 s28, exec_lo, s4
	s_cbranch_execz .LBB249_301
; %bb.279:                              ;   in Loop: Header=BB249_217 Depth=1
	v_add_nc_u32_e32 v0, 0xbd4e8de8, v30
	s_delay_alu instid0(VALU_DEP_1) | instskip(SKIP_1) | instid1(SALU_CYCLE_1)
	v_cmp_lt_u32_e32 vcc_lo, 0x8e8e5c, v0
                                        ; implicit-def: $vgpr0
	s_and_saveexec_b32 s4, vcc_lo
	s_xor_b32 s29, exec_lo, s4
	s_cbranch_execz .LBB249_290
; %bb.280:                              ;   in Loop: Header=BB249_217 Depth=1
	v_cmp_ngt_f32_e64 s30, 0x48000000, |v11|
                                        ; implicit-def: $vgpr31
                                        ; implicit-def: $vgpr30
	s_delay_alu instid0(VALU_DEP_1) | instskip(NEXT) | instid1(SALU_CYCLE_1)
	s_and_saveexec_b32 s4, s30
	s_xor_b32 s31, exec_lo, s4
	s_cbranch_execz .LBB249_283
; %bb.281:                              ;   in Loop: Header=BB249_217 Depth=1
	v_lshrrev_b32_e32 v35, 23, v29
	v_and_or_b32 v38, v29, s7, 0x800000
	s_delay_alu instid0(VALU_DEP_2) | instskip(NEXT) | instid1(VALU_DEP_2)
	v_add_nc_u32_e32 v36, 0xffffff88, v35
	v_mad_u64_u32 v[30:31], null, 0xfe5163ab, v38, 0
	s_delay_alu instid0(VALU_DEP_2) | instskip(SKIP_1) | instid1(VALU_DEP_1)
	v_cmp_lt_u32_e32 vcc_lo, 63, v36
	v_cndmask_b32_e64 v37, 0, 0xffffffc0, vcc_lo
	v_dual_mov_b32 v0, v31 :: v_dual_add_nc_u32 v37, v37, v36
	s_delay_alu instid0(VALU_DEP_1) | instskip(NEXT) | instid1(VALU_DEP_2)
	v_mad_u64_u32 v[31:32], null, 0x3c439041, v38, v[0:1]
	v_cmp_lt_u32_e64 s4, 31, v37
	s_delay_alu instid0(VALU_DEP_1) | instskip(NEXT) | instid1(VALU_DEP_1)
	v_cndmask_b32_e64 v39, 0, 0xffffffe0, s4
	v_dual_mov_b32 v0, v32 :: v_dual_add_nc_u32 v39, v39, v37
	s_delay_alu instid0(VALU_DEP_1) | instskip(NEXT) | instid1(VALU_DEP_2)
	v_mad_u64_u32 v[32:33], null, 0xdb629599, v38, v[0:1]
	v_cmp_lt_u32_e64 s5, 31, v39
	s_delay_alu instid0(VALU_DEP_2) | instskip(NEXT) | instid1(VALU_DEP_3)
	v_mov_b32_e32 v0, v33
	v_cndmask_b32_e32 v30, v32, v30, vcc_lo
	s_delay_alu instid0(VALU_DEP_2) | instskip(NEXT) | instid1(VALU_DEP_1)
	v_mad_u64_u32 v[33:34], null, 0xf534ddc0, v38, v[0:1]
	v_dual_mov_b32 v0, v34 :: v_dual_cndmask_b32 v31, v33, v31
	s_delay_alu instid0(VALU_DEP_1) | instskip(NEXT) | instid1(VALU_DEP_2)
	v_mad_u64_u32 v[34:35], null, 0xfc2757d1, v38, v[0:1]
	v_cndmask_b32_e64 v30, v31, v30, s4
	s_delay_alu instid0(VALU_DEP_2) | instskip(NEXT) | instid1(VALU_DEP_1)
	v_mov_b32_e32 v0, v35
	v_mad_u64_u32 v[35:36], null, 0x4e441529, v38, v[0:1]
	s_delay_alu instid0(VALU_DEP_1) | instskip(NEXT) | instid1(VALU_DEP_1)
	v_mov_b32_e32 v0, v36
	v_mad_u64_u32 v[36:37], null, 0xa2f9836e, v38, v[0:1]
	v_cndmask_b32_e64 v0, 0, 0xffffffe0, s5
	s_delay_alu instid0(VALU_DEP_4) | instskip(NEXT) | instid1(VALU_DEP_2)
	v_cndmask_b32_e32 v38, v35, v33, vcc_lo
	v_add_nc_u32_e32 v0, v0, v39
	s_delay_alu instid0(VALU_DEP_4) | instskip(SKIP_1) | instid1(VALU_DEP_3)
	v_dual_cndmask_b32 v36, v36, v34 :: v_dual_cndmask_b32 v35, v37, v35
	v_cndmask_b32_e32 v34, v34, v32, vcc_lo
	v_sub_nc_u32_e32 v37, 32, v0
	s_delay_alu instid0(VALU_DEP_3) | instskip(NEXT) | instid1(VALU_DEP_4)
	v_cndmask_b32_e64 v33, v36, v38, s4
	v_cndmask_b32_e64 v35, v35, v36, s4
	s_delay_alu instid0(VALU_DEP_4) | instskip(SKIP_2) | instid1(VALU_DEP_4)
	v_cndmask_b32_e64 v36, v38, v34, s4
	v_cndmask_b32_e64 v34, v34, v31, s4
	v_cmp_eq_u32_e64 s6, 0, v0
	v_cndmask_b32_e64 v35, v35, v33, s5
	s_delay_alu instid0(VALU_DEP_4) | instskip(NEXT) | instid1(VALU_DEP_4)
	v_cndmask_b32_e64 v33, v33, v36, s5
	v_cndmask_b32_e64 v36, v36, v34, s5
	;; [unrolled: 1-line block ×3, first 2 shown]
	s_delay_alu instid0(VALU_DEP_3) | instskip(NEXT) | instid1(VALU_DEP_3)
	v_alignbit_b32 v38, v35, v33, v37
	v_alignbit_b32 v39, v33, v36, v37
	s_delay_alu instid0(VALU_DEP_3) | instskip(NEXT) | instid1(VALU_DEP_3)
	v_alignbit_b32 v37, v36, v30, v37
	v_cndmask_b32_e64 v0, v38, v35, s6
	s_delay_alu instid0(VALU_DEP_3) | instskip(NEXT) | instid1(VALU_DEP_3)
	v_cndmask_b32_e64 v32, v39, v33, s6
	v_cndmask_b32_e64 v36, v37, v36, s6
	s_delay_alu instid0(VALU_DEP_3) | instskip(NEXT) | instid1(VALU_DEP_3)
	v_bfe_u32 v33, v0, 29, 1
	v_alignbit_b32 v31, v0, v32, 30
	s_delay_alu instid0(VALU_DEP_3) | instskip(SKIP_1) | instid1(VALU_DEP_4)
	v_alignbit_b32 v32, v32, v36, 30
	v_alignbit_b32 v30, v36, v30, 30
	v_sub_nc_u32_e32 v35, 0, v33
	s_delay_alu instid0(VALU_DEP_1) | instskip(SKIP_3) | instid1(VALU_DEP_4)
	v_xor_b32_e32 v34, v31, v35
	v_cmp_ne_u32_e32 vcc_lo, v31, v35
	v_xor_b32_e32 v32, v32, v35
	v_xor_b32_e32 v30, v30, v35
	v_clz_i32_u32_e32 v38, v34
	s_delay_alu instid0(VALU_DEP_1) | instskip(NEXT) | instid1(VALU_DEP_1)
	v_add_nc_u32_e32 v37, 1, v38
	v_cndmask_b32_e32 v31, 33, v37, vcc_lo
	s_delay_alu instid0(VALU_DEP_1) | instskip(NEXT) | instid1(VALU_DEP_1)
	v_sub_nc_u32_e32 v36, 32, v31
	v_alignbit_b32 v34, v34, v32, v36
	v_alignbit_b32 v30, v32, v30, v36
	v_lshrrev_b32_e32 v32, 29, v0
	v_lshrrev_b32_e32 v0, 30, v0
	s_delay_alu instid0(VALU_DEP_3) | instskip(NEXT) | instid1(VALU_DEP_3)
	v_alignbit_b32 v35, v34, v30, 9
	v_lshlrev_b32_e32 v32, 31, v32
	v_alignbit_b32 v34, v31, v34, 9
	s_delay_alu instid0(VALU_DEP_3) | instskip(NEXT) | instid1(VALU_DEP_2)
	v_clz_i32_u32_e32 v36, v35
	v_or_b32_e32 v34, v34, v32
	v_or_b32_e32 v32, 0x33800000, v32
	s_delay_alu instid0(VALU_DEP_3) | instskip(NEXT) | instid1(VALU_DEP_3)
	v_min_u32_e32 v36, 32, v36
	v_xor_b32_e32 v34, 1.0, v34
	s_delay_alu instid0(VALU_DEP_2) | instskip(SKIP_1) | instid1(VALU_DEP_3)
	v_sub_nc_u32_e32 v37, 31, v36
	v_add_lshl_u32 v31, v36, v31, 23
	v_mul_f32_e32 v36, 0x3fc90fda, v34
	s_delay_alu instid0(VALU_DEP_3) | instskip(NEXT) | instid1(VALU_DEP_3)
	v_alignbit_b32 v30, v35, v30, v37
	v_sub_nc_u32_e32 v31, v32, v31
	s_delay_alu instid0(VALU_DEP_3) | instskip(NEXT) | instid1(VALU_DEP_3)
	v_fma_f32 v32, 0x3fc90fda, v34, -v36
	v_lshrrev_b32_e32 v30, 9, v30
	s_delay_alu instid0(VALU_DEP_2) | instskip(NEXT) | instid1(VALU_DEP_2)
	v_fmac_f32_e32 v32, 0x33a22168, v34
	v_or_b32_e32 v30, v31, v30
	s_delay_alu instid0(VALU_DEP_1) | instskip(NEXT) | instid1(VALU_DEP_1)
	v_dual_fmac_f32 v32, 0x3fc90fda, v30 :: v_dual_add_nc_u32 v31, v33, v0
	v_add_f32_e32 v30, v36, v32
	s_and_not1_saveexec_b32 s4, s31
	s_branch .LBB249_284
.LBB249_282:                            ;   in Loop: Header=BB249_217 Depth=1
	s_or_b32 exec_lo, exec_lo, s29
                                        ; implicit-def: $vgpr30
                                        ; implicit-def: $vgpr7
                                        ; implicit-def: $vgpr31
	s_and_not1_saveexec_b32 s4, s28
	s_cbranch_execnz .LBB249_249
	s_branch .LBB249_254
.LBB249_283:                            ;   in Loop: Header=BB249_217 Depth=1
	s_and_not1_saveexec_b32 s4, s31
.LBB249_284:                            ;   in Loop: Header=BB249_217 Depth=1
	v_mul_f32_e64 v0, 0x3f22f983, |v11|
	s_delay_alu instid0(VALU_DEP_1) | instskip(NEXT) | instid1(VALU_DEP_1)
	v_rndne_f32_e32 v0, v0
	v_fma_f32 v30, 0xbfc90fda, v0, |v11|
	v_cvt_i32_f32_e32 v31, v0
	s_delay_alu instid0(VALU_DEP_2) | instskip(NEXT) | instid1(VALU_DEP_1)
	v_fmac_f32_e32 v30, 0xb3a22168, v0
	v_fmac_f32_e32 v30, 0xa7c234c4, v0
; %bb.285:                              ;   in Loop: Header=BB249_217 Depth=1
	s_or_b32 exec_lo, exec_lo, s4
                                        ; implicit-def: $vgpr32
                                        ; implicit-def: $vgpr0
	s_and_saveexec_b32 s4, s30
	s_delay_alu instid0(SALU_CYCLE_1)
	s_xor_b32 s30, exec_lo, s4
	s_cbranch_execz .LBB249_287
; %bb.286:                              ;   in Loop: Header=BB249_217 Depth=1
	v_lshrrev_b32_e32 v37, 23, v29
	v_and_or_b32 v40, v29, s7, 0x800000
	s_delay_alu instid0(VALU_DEP_2) | instskip(NEXT) | instid1(VALU_DEP_2)
	v_add_nc_u32_e32 v38, 0xffffff88, v37
	v_mad_u64_u32 v[32:33], null, 0xfe5163ab, v40, 0
	s_delay_alu instid0(VALU_DEP_2) | instskip(SKIP_1) | instid1(VALU_DEP_1)
	v_cmp_lt_u32_e32 vcc_lo, 63, v38
	v_cndmask_b32_e64 v39, 0, 0xffffffc0, vcc_lo
	v_dual_mov_b32 v0, v33 :: v_dual_add_nc_u32 v39, v39, v38
	s_delay_alu instid0(VALU_DEP_1) | instskip(NEXT) | instid1(VALU_DEP_2)
	v_mad_u64_u32 v[33:34], null, 0x3c439041, v40, v[0:1]
	v_cmp_lt_u32_e64 s4, 31, v39
	s_delay_alu instid0(VALU_DEP_1) | instskip(NEXT) | instid1(VALU_DEP_1)
	v_cndmask_b32_e64 v41, 0, 0xffffffe0, s4
	v_dual_mov_b32 v0, v34 :: v_dual_add_nc_u32 v41, v41, v39
	s_delay_alu instid0(VALU_DEP_1) | instskip(NEXT) | instid1(VALU_DEP_2)
	v_mad_u64_u32 v[34:35], null, 0xdb629599, v40, v[0:1]
	v_cmp_lt_u32_e64 s5, 31, v41
	s_delay_alu instid0(VALU_DEP_2) | instskip(NEXT) | instid1(VALU_DEP_3)
	v_mov_b32_e32 v0, v35
	v_cndmask_b32_e32 v32, v34, v32, vcc_lo
	s_delay_alu instid0(VALU_DEP_2) | instskip(NEXT) | instid1(VALU_DEP_1)
	v_mad_u64_u32 v[35:36], null, 0xf534ddc0, v40, v[0:1]
	v_dual_mov_b32 v0, v36 :: v_dual_cndmask_b32 v33, v35, v33
	s_delay_alu instid0(VALU_DEP_1) | instskip(NEXT) | instid1(VALU_DEP_2)
	v_mad_u64_u32 v[36:37], null, 0xfc2757d1, v40, v[0:1]
	v_cndmask_b32_e64 v32, v33, v32, s4
	s_delay_alu instid0(VALU_DEP_2) | instskip(NEXT) | instid1(VALU_DEP_1)
	v_mov_b32_e32 v0, v37
	v_mad_u64_u32 v[37:38], null, 0x4e441529, v40, v[0:1]
	s_delay_alu instid0(VALU_DEP_1) | instskip(NEXT) | instid1(VALU_DEP_1)
	v_mov_b32_e32 v0, v38
	v_mad_u64_u32 v[38:39], null, 0xa2f9836e, v40, v[0:1]
	v_cndmask_b32_e64 v0, 0, 0xffffffe0, s5
	s_delay_alu instid0(VALU_DEP_4) | instskip(NEXT) | instid1(VALU_DEP_2)
	v_cndmask_b32_e32 v40, v37, v35, vcc_lo
	v_add_nc_u32_e32 v0, v0, v41
	s_delay_alu instid0(VALU_DEP_4) | instskip(SKIP_1) | instid1(VALU_DEP_3)
	v_dual_cndmask_b32 v38, v38, v36 :: v_dual_cndmask_b32 v37, v39, v37
	v_cndmask_b32_e32 v36, v36, v34, vcc_lo
	v_sub_nc_u32_e32 v39, 32, v0
	s_delay_alu instid0(VALU_DEP_3) | instskip(NEXT) | instid1(VALU_DEP_4)
	v_cndmask_b32_e64 v35, v38, v40, s4
	v_cndmask_b32_e64 v37, v37, v38, s4
	s_delay_alu instid0(VALU_DEP_4) | instskip(SKIP_2) | instid1(VALU_DEP_4)
	v_cndmask_b32_e64 v38, v40, v36, s4
	v_cndmask_b32_e64 v36, v36, v33, s4
	v_cmp_eq_u32_e64 s6, 0, v0
	v_cndmask_b32_e64 v37, v37, v35, s5
	s_delay_alu instid0(VALU_DEP_4) | instskip(NEXT) | instid1(VALU_DEP_4)
	v_cndmask_b32_e64 v35, v35, v38, s5
	v_cndmask_b32_e64 v38, v38, v36, s5
	;; [unrolled: 1-line block ×3, first 2 shown]
	s_delay_alu instid0(VALU_DEP_3) | instskip(NEXT) | instid1(VALU_DEP_3)
	v_alignbit_b32 v40, v37, v35, v39
	v_alignbit_b32 v41, v35, v38, v39
	s_delay_alu instid0(VALU_DEP_3) | instskip(NEXT) | instid1(VALU_DEP_3)
	v_alignbit_b32 v39, v38, v32, v39
	v_cndmask_b32_e64 v0, v40, v37, s6
	s_delay_alu instid0(VALU_DEP_3) | instskip(NEXT) | instid1(VALU_DEP_3)
	v_cndmask_b32_e64 v34, v41, v35, s6
	v_cndmask_b32_e64 v38, v39, v38, s6
	s_delay_alu instid0(VALU_DEP_3) | instskip(NEXT) | instid1(VALU_DEP_3)
	v_bfe_u32 v35, v0, 29, 1
	v_alignbit_b32 v33, v0, v34, 30
	s_delay_alu instid0(VALU_DEP_3) | instskip(SKIP_1) | instid1(VALU_DEP_4)
	v_alignbit_b32 v34, v34, v38, 30
	v_alignbit_b32 v32, v38, v32, 30
	v_sub_nc_u32_e32 v37, 0, v35
	s_delay_alu instid0(VALU_DEP_1) | instskip(SKIP_3) | instid1(VALU_DEP_4)
	v_xor_b32_e32 v36, v33, v37
	v_cmp_ne_u32_e32 vcc_lo, v33, v37
	v_xor_b32_e32 v34, v34, v37
	v_xor_b32_e32 v32, v32, v37
	v_clz_i32_u32_e32 v40, v36
	s_delay_alu instid0(VALU_DEP_1) | instskip(NEXT) | instid1(VALU_DEP_1)
	v_add_nc_u32_e32 v39, 1, v40
	v_cndmask_b32_e32 v33, 33, v39, vcc_lo
	s_delay_alu instid0(VALU_DEP_1) | instskip(NEXT) | instid1(VALU_DEP_1)
	v_sub_nc_u32_e32 v38, 32, v33
	v_alignbit_b32 v36, v36, v34, v38
	v_alignbit_b32 v32, v34, v32, v38
	v_lshrrev_b32_e32 v34, 29, v0
	s_delay_alu instid0(VALU_DEP_2) | instskip(NEXT) | instid1(VALU_DEP_2)
	v_alignbit_b32 v37, v36, v32, 9
	v_lshlrev_b32_e32 v34, 31, v34
	v_alignbit_b32 v36, v33, v36, 9
	s_delay_alu instid0(VALU_DEP_3) | instskip(NEXT) | instid1(VALU_DEP_2)
	v_clz_i32_u32_e32 v38, v37
	v_or_b32_e32 v36, v36, v34
	v_or_b32_e32 v34, 0x33800000, v34
	s_delay_alu instid0(VALU_DEP_3) | instskip(NEXT) | instid1(VALU_DEP_3)
	v_min_u32_e32 v38, 32, v38
	v_xor_b32_e32 v36, 1.0, v36
	s_delay_alu instid0(VALU_DEP_2) | instskip(SKIP_1) | instid1(VALU_DEP_3)
	v_sub_nc_u32_e32 v39, 31, v38
	v_add_lshl_u32 v33, v38, v33, 23
	v_mul_f32_e32 v38, 0x3fc90fda, v36
	s_delay_alu instid0(VALU_DEP_3) | instskip(NEXT) | instid1(VALU_DEP_3)
	v_alignbit_b32 v32, v37, v32, v39
	v_sub_nc_u32_e32 v33, v34, v33
	s_delay_alu instid0(VALU_DEP_3) | instskip(NEXT) | instid1(VALU_DEP_3)
	v_fma_f32 v34, 0x3fc90fda, v36, -v38
	v_lshrrev_b32_e32 v32, 9, v32
	s_delay_alu instid0(VALU_DEP_2) | instskip(NEXT) | instid1(VALU_DEP_2)
	v_fmac_f32_e32 v34, 0x33a22168, v36
	v_or_b32_e32 v32, v33, v32
	s_delay_alu instid0(VALU_DEP_1) | instskip(SKIP_1) | instid1(VALU_DEP_2)
	v_fmac_f32_e32 v34, 0x3fc90fda, v32
	v_lshrrev_b32_e32 v32, 30, v0
	v_add_f32_e32 v0, v38, v34
	s_delay_alu instid0(VALU_DEP_2)
	v_add_nc_u32_e32 v32, v35, v32
	s_and_not1_saveexec_b32 s4, s30
	s_cbranch_execnz .LBB249_288
	s_branch .LBB249_289
.LBB249_287:                            ;   in Loop: Header=BB249_217 Depth=1
	s_and_not1_saveexec_b32 s4, s30
.LBB249_288:                            ;   in Loop: Header=BB249_217 Depth=1
	v_mul_f32_e64 v0, 0x3f22f983, |v11|
	s_delay_alu instid0(VALU_DEP_1) | instskip(NEXT) | instid1(VALU_DEP_1)
	v_rndne_f32_e32 v32, v0
	v_fma_f32 v0, 0xbfc90fda, v32, |v11|
	s_delay_alu instid0(VALU_DEP_1) | instskip(NEXT) | instid1(VALU_DEP_1)
	v_fmac_f32_e32 v0, 0xb3a22168, v32
	v_fmac_f32_e32 v0, 0xa7c234c4, v32
	v_cvt_i32_f32_e32 v32, v32
.LBB249_289:                            ;   in Loop: Header=BB249_217 Depth=1
	s_or_b32 exec_lo, exec_lo, s4
	s_delay_alu instid0(VALU_DEP_2) | instskip(SKIP_2) | instid1(VALU_DEP_3)
	v_dual_mul_f32 v33, 0xbfb8aa3b, v10 :: v_dual_mul_f32 v38, v0, v0
	v_dual_mul_f32 v34, v30, v30 :: v_dual_and_b32 v35, 1, v31
	v_lshlrev_b32_e32 v31, 30, v31
	v_rndne_f32_e32 v36, v33
	v_fma_f32 v37, 0xbfb8aa3b, v10, -v33
	s_delay_alu instid0(VALU_DEP_4) | instskip(SKIP_1) | instid1(VALU_DEP_3)
	v_dual_fmaak_f32 v40, s24, v34, 0x3c0881c4 :: v_dual_and_b32 v39, 1, v32
	v_fmaak_f32 v42, s24, v38, 0x3c0881c4
	v_dual_fmac_f32 v37, 0xb2a5705f, v10 :: v_dual_lshlrev_b32 v32, 30, v32
	v_fmaak_f32 v41, s25, v34, 0xbab64f3b
	v_sub_f32_e32 v33, v33, v36
	v_cmp_eq_u32_e32 vcc_lo, 0, v35
	v_cvt_i32_f32_e32 v36, v36
	v_and_or_b32 v29, 0x80000000, v32, v29
	v_cmp_ngt_f32_e64 s4, 0xc2b17218, v10
	v_add_f32_e32 v33, v33, v37
	v_fmaak_f32 v37, v34, v40, 0xbe2aaa9d
	s_delay_alu instid0(VALU_DEP_1) | instskip(NEXT) | instid1(VALU_DEP_1)
	v_mul_f32_e32 v37, v34, v37
	v_fmac_f32_e32 v30, v30, v37
	v_fmaak_f32 v40, v34, v41, 0x3d2aabf7
	s_delay_alu instid0(VALU_DEP_1) | instskip(NEXT) | instid1(VALU_DEP_1)
	v_fmaak_f32 v40, v34, v40, 0xbf000004
	v_fma_f32 v34, v34, v40, 1.0
	s_delay_alu instid0(VALU_DEP_1) | instskip(SKIP_2) | instid1(VALU_DEP_1)
	v_cndmask_b32_e64 v30, -v30, v34, vcc_lo
	v_cmp_eq_u32_e32 vcc_lo, 0, v39
	v_fmaak_f32 v41, v38, v42, 0xbe2aaa9d
	v_mul_f32_e32 v41, v38, v41
	s_delay_alu instid0(VALU_DEP_1) | instskip(NEXT) | instid1(VALU_DEP_1)
	v_dual_fmaak_f32 v43, s25, v38, 0xbab64f3b :: v_dual_fmac_f32 v0, v0, v41
	v_fmaak_f32 v42, v38, v43, 0x3d2aabf7
	v_exp_f32_e32 v33, v33
	s_delay_alu instid0(VALU_DEP_1) | instskip(NEXT) | instid1(VALU_DEP_1)
	v_fmaak_f32 v42, v38, v42, 0xbf000004
	v_fma_f32 v37, v38, v42, 1.0
	s_waitcnt_depctr 0xfff
	v_ldexp_f32 v33, v33, v36
	v_cndmask_b32_e32 v0, v37, v0, vcc_lo
	v_cmp_nlt_f32_e32 vcc_lo, 0x42ce8ed0, v10
	s_delay_alu instid0(VALU_DEP_2) | instskip(NEXT) | instid1(VALU_DEP_4)
	v_xor3_b32 v0, v29, v0, v28
	v_cndmask_b32_e32 v32, 0, v33, vcc_lo
	v_cmp_class_f32_e64 vcc_lo, v11, 0x1f8
                                        ; implicit-def: $vgpr29
	s_delay_alu instid0(VALU_DEP_2) | instskip(NEXT) | instid1(VALU_DEP_4)
	v_cndmask_b32_e64 v10, 0x7f800000, v32, s4
	v_cndmask_b32_e32 v28, 0x7fc00000, v0, vcc_lo
	s_delay_alu instid0(VALU_DEP_1) | instskip(NEXT) | instid1(VALU_DEP_1)
	v_dual_mul_f32 v28, v10, v28 :: v_dual_and_b32 v31, 0x80000000, v31
	v_xor_b32_e32 v30, v31, v30
	s_delay_alu instid0(VALU_DEP_1) | instskip(NEXT) | instid1(VALU_DEP_1)
	v_cndmask_b32_e32 v11, 0x7fc00000, v30, vcc_lo
	v_mul_f32_e32 v0, v10, v11
                                        ; implicit-def: $vgpr11
.LBB249_290:                            ;   in Loop: Header=BB249_217 Depth=1
	s_and_not1_saveexec_b32 s29, s29
	s_cbranch_execz .LBB249_300
; %bb.291:                              ;   in Loop: Header=BB249_217 Depth=1
	v_cmp_ngt_f32_e64 s30, 0x48000000, |v11|
                                        ; implicit-def: $vgpr31
                                        ; implicit-def: $vgpr30
	s_delay_alu instid0(VALU_DEP_1) | instskip(NEXT) | instid1(SALU_CYCLE_1)
	s_and_saveexec_b32 s4, s30
	s_xor_b32 s31, exec_lo, s4
	s_cbranch_execz .LBB249_293
; %bb.292:                              ;   in Loop: Header=BB249_217 Depth=1
	v_lshrrev_b32_e32 v35, 23, v29
	v_and_or_b32 v38, v29, s7, 0x800000
	s_delay_alu instid0(VALU_DEP_2) | instskip(NEXT) | instid1(VALU_DEP_2)
	v_add_nc_u32_e32 v36, 0xffffff88, v35
	v_mad_u64_u32 v[30:31], null, 0xfe5163ab, v38, 0
	s_delay_alu instid0(VALU_DEP_2) | instskip(SKIP_1) | instid1(VALU_DEP_1)
	v_cmp_lt_u32_e32 vcc_lo, 63, v36
	v_cndmask_b32_e64 v37, 0, 0xffffffc0, vcc_lo
	v_dual_mov_b32 v0, v31 :: v_dual_add_nc_u32 v37, v37, v36
	s_delay_alu instid0(VALU_DEP_1) | instskip(NEXT) | instid1(VALU_DEP_2)
	v_mad_u64_u32 v[31:32], null, 0x3c439041, v38, v[0:1]
	v_cmp_lt_u32_e64 s4, 31, v37
	s_delay_alu instid0(VALU_DEP_1) | instskip(NEXT) | instid1(VALU_DEP_1)
	v_cndmask_b32_e64 v39, 0, 0xffffffe0, s4
	v_dual_mov_b32 v0, v32 :: v_dual_add_nc_u32 v39, v39, v37
	s_delay_alu instid0(VALU_DEP_1) | instskip(NEXT) | instid1(VALU_DEP_2)
	v_mad_u64_u32 v[32:33], null, 0xdb629599, v38, v[0:1]
	v_cmp_lt_u32_e64 s5, 31, v39
	s_delay_alu instid0(VALU_DEP_2) | instskip(NEXT) | instid1(VALU_DEP_3)
	v_mov_b32_e32 v0, v33
	v_cndmask_b32_e32 v30, v32, v30, vcc_lo
	s_delay_alu instid0(VALU_DEP_2) | instskip(NEXT) | instid1(VALU_DEP_1)
	v_mad_u64_u32 v[33:34], null, 0xf534ddc0, v38, v[0:1]
	v_dual_mov_b32 v0, v34 :: v_dual_cndmask_b32 v31, v33, v31
	s_delay_alu instid0(VALU_DEP_1) | instskip(NEXT) | instid1(VALU_DEP_2)
	v_mad_u64_u32 v[34:35], null, 0xfc2757d1, v38, v[0:1]
	v_cndmask_b32_e64 v30, v31, v30, s4
	s_delay_alu instid0(VALU_DEP_2) | instskip(NEXT) | instid1(VALU_DEP_1)
	v_mov_b32_e32 v0, v35
	v_mad_u64_u32 v[35:36], null, 0x4e441529, v38, v[0:1]
	s_delay_alu instid0(VALU_DEP_1) | instskip(NEXT) | instid1(VALU_DEP_1)
	v_mov_b32_e32 v0, v36
	v_mad_u64_u32 v[36:37], null, 0xa2f9836e, v38, v[0:1]
	v_cndmask_b32_e64 v0, 0, 0xffffffe0, s5
	s_delay_alu instid0(VALU_DEP_4) | instskip(NEXT) | instid1(VALU_DEP_2)
	v_cndmask_b32_e32 v38, v35, v33, vcc_lo
	v_add_nc_u32_e32 v0, v0, v39
	s_delay_alu instid0(VALU_DEP_4) | instskip(SKIP_1) | instid1(VALU_DEP_3)
	v_dual_cndmask_b32 v36, v36, v34 :: v_dual_cndmask_b32 v35, v37, v35
	v_cndmask_b32_e32 v34, v34, v32, vcc_lo
	v_sub_nc_u32_e32 v37, 32, v0
	s_delay_alu instid0(VALU_DEP_3) | instskip(NEXT) | instid1(VALU_DEP_4)
	v_cndmask_b32_e64 v33, v36, v38, s4
	v_cndmask_b32_e64 v35, v35, v36, s4
	s_delay_alu instid0(VALU_DEP_4) | instskip(SKIP_2) | instid1(VALU_DEP_4)
	v_cndmask_b32_e64 v36, v38, v34, s4
	v_cndmask_b32_e64 v34, v34, v31, s4
	v_cmp_eq_u32_e64 s6, 0, v0
	v_cndmask_b32_e64 v35, v35, v33, s5
	s_delay_alu instid0(VALU_DEP_4) | instskip(NEXT) | instid1(VALU_DEP_4)
	v_cndmask_b32_e64 v33, v33, v36, s5
	v_cndmask_b32_e64 v36, v36, v34, s5
	;; [unrolled: 1-line block ×3, first 2 shown]
	s_delay_alu instid0(VALU_DEP_3) | instskip(NEXT) | instid1(VALU_DEP_3)
	v_alignbit_b32 v38, v35, v33, v37
	v_alignbit_b32 v39, v33, v36, v37
	s_delay_alu instid0(VALU_DEP_3) | instskip(NEXT) | instid1(VALU_DEP_3)
	v_alignbit_b32 v37, v36, v30, v37
	v_cndmask_b32_e64 v0, v38, v35, s6
	s_delay_alu instid0(VALU_DEP_3) | instskip(NEXT) | instid1(VALU_DEP_3)
	v_cndmask_b32_e64 v32, v39, v33, s6
	v_cndmask_b32_e64 v36, v37, v36, s6
	s_delay_alu instid0(VALU_DEP_3) | instskip(NEXT) | instid1(VALU_DEP_3)
	v_bfe_u32 v33, v0, 29, 1
	v_alignbit_b32 v31, v0, v32, 30
	s_delay_alu instid0(VALU_DEP_3) | instskip(SKIP_1) | instid1(VALU_DEP_4)
	v_alignbit_b32 v32, v32, v36, 30
	v_alignbit_b32 v30, v36, v30, 30
	v_sub_nc_u32_e32 v35, 0, v33
	s_delay_alu instid0(VALU_DEP_1) | instskip(SKIP_3) | instid1(VALU_DEP_4)
	v_xor_b32_e32 v34, v31, v35
	v_cmp_ne_u32_e32 vcc_lo, v31, v35
	v_xor_b32_e32 v32, v32, v35
	v_xor_b32_e32 v30, v30, v35
	v_clz_i32_u32_e32 v38, v34
	s_delay_alu instid0(VALU_DEP_1) | instskip(NEXT) | instid1(VALU_DEP_1)
	v_add_nc_u32_e32 v37, 1, v38
	v_cndmask_b32_e32 v31, 33, v37, vcc_lo
	s_delay_alu instid0(VALU_DEP_1) | instskip(NEXT) | instid1(VALU_DEP_1)
	v_sub_nc_u32_e32 v36, 32, v31
	v_alignbit_b32 v34, v34, v32, v36
	v_alignbit_b32 v30, v32, v30, v36
	v_lshrrev_b32_e32 v32, 29, v0
	v_lshrrev_b32_e32 v0, 30, v0
	s_delay_alu instid0(VALU_DEP_3) | instskip(NEXT) | instid1(VALU_DEP_3)
	v_alignbit_b32 v35, v34, v30, 9
	v_lshlrev_b32_e32 v32, 31, v32
	v_alignbit_b32 v34, v31, v34, 9
	s_delay_alu instid0(VALU_DEP_3) | instskip(NEXT) | instid1(VALU_DEP_2)
	v_clz_i32_u32_e32 v36, v35
	v_or_b32_e32 v34, v34, v32
	v_or_b32_e32 v32, 0x33800000, v32
	s_delay_alu instid0(VALU_DEP_3) | instskip(NEXT) | instid1(VALU_DEP_3)
	v_min_u32_e32 v36, 32, v36
	v_xor_b32_e32 v34, 1.0, v34
	s_delay_alu instid0(VALU_DEP_2) | instskip(SKIP_1) | instid1(VALU_DEP_3)
	v_sub_nc_u32_e32 v37, 31, v36
	v_add_lshl_u32 v31, v36, v31, 23
	v_mul_f32_e32 v36, 0x3fc90fda, v34
	s_delay_alu instid0(VALU_DEP_3) | instskip(NEXT) | instid1(VALU_DEP_3)
	v_alignbit_b32 v30, v35, v30, v37
	v_sub_nc_u32_e32 v31, v32, v31
	s_delay_alu instid0(VALU_DEP_3) | instskip(NEXT) | instid1(VALU_DEP_3)
	v_fma_f32 v32, 0x3fc90fda, v34, -v36
	v_lshrrev_b32_e32 v30, 9, v30
	s_delay_alu instid0(VALU_DEP_2) | instskip(NEXT) | instid1(VALU_DEP_2)
	v_fmac_f32_e32 v32, 0x33a22168, v34
	v_or_b32_e32 v30, v31, v30
	s_delay_alu instid0(VALU_DEP_1) | instskip(NEXT) | instid1(VALU_DEP_1)
	v_dual_fmac_f32 v32, 0x3fc90fda, v30 :: v_dual_add_nc_u32 v31, v33, v0
	v_add_f32_e32 v30, v36, v32
	s_and_not1_saveexec_b32 s4, s31
	s_branch .LBB249_294
.LBB249_293:                            ;   in Loop: Header=BB249_217 Depth=1
	s_and_not1_saveexec_b32 s4, s31
.LBB249_294:                            ;   in Loop: Header=BB249_217 Depth=1
	v_mul_f32_e64 v0, 0x3f22f983, |v11|
	s_delay_alu instid0(VALU_DEP_1) | instskip(NEXT) | instid1(VALU_DEP_1)
	v_rndne_f32_e32 v0, v0
	v_fma_f32 v30, 0xbfc90fda, v0, |v11|
	v_cvt_i32_f32_e32 v31, v0
	s_delay_alu instid0(VALU_DEP_2) | instskip(NEXT) | instid1(VALU_DEP_1)
	v_fmac_f32_e32 v30, 0xb3a22168, v0
	v_fmac_f32_e32 v30, 0xa7c234c4, v0
; %bb.295:                              ;   in Loop: Header=BB249_217 Depth=1
	s_or_b32 exec_lo, exec_lo, s4
                                        ; implicit-def: $vgpr32
                                        ; implicit-def: $vgpr0
	s_and_saveexec_b32 s4, s30
	s_delay_alu instid0(SALU_CYCLE_1)
	s_xor_b32 s30, exec_lo, s4
	s_cbranch_execz .LBB249_297
; %bb.296:                              ;   in Loop: Header=BB249_217 Depth=1
	v_lshrrev_b32_e32 v37, 23, v29
	v_and_or_b32 v40, v29, s7, 0x800000
	s_delay_alu instid0(VALU_DEP_2) | instskip(NEXT) | instid1(VALU_DEP_2)
	v_add_nc_u32_e32 v38, 0xffffff88, v37
	v_mad_u64_u32 v[32:33], null, 0xfe5163ab, v40, 0
	s_delay_alu instid0(VALU_DEP_2) | instskip(SKIP_1) | instid1(VALU_DEP_1)
	v_cmp_lt_u32_e32 vcc_lo, 63, v38
	v_cndmask_b32_e64 v39, 0, 0xffffffc0, vcc_lo
	v_dual_mov_b32 v0, v33 :: v_dual_add_nc_u32 v39, v39, v38
	s_delay_alu instid0(VALU_DEP_1) | instskip(NEXT) | instid1(VALU_DEP_2)
	v_mad_u64_u32 v[33:34], null, 0x3c439041, v40, v[0:1]
	v_cmp_lt_u32_e64 s4, 31, v39
	s_delay_alu instid0(VALU_DEP_1) | instskip(NEXT) | instid1(VALU_DEP_1)
	v_cndmask_b32_e64 v41, 0, 0xffffffe0, s4
	v_dual_mov_b32 v0, v34 :: v_dual_add_nc_u32 v41, v41, v39
	s_delay_alu instid0(VALU_DEP_1) | instskip(NEXT) | instid1(VALU_DEP_2)
	v_mad_u64_u32 v[34:35], null, 0xdb629599, v40, v[0:1]
	v_cmp_lt_u32_e64 s5, 31, v41
	s_delay_alu instid0(VALU_DEP_2) | instskip(NEXT) | instid1(VALU_DEP_3)
	v_mov_b32_e32 v0, v35
	v_cndmask_b32_e32 v32, v34, v32, vcc_lo
	s_delay_alu instid0(VALU_DEP_2) | instskip(NEXT) | instid1(VALU_DEP_1)
	v_mad_u64_u32 v[35:36], null, 0xf534ddc0, v40, v[0:1]
	v_dual_mov_b32 v0, v36 :: v_dual_cndmask_b32 v33, v35, v33
	s_delay_alu instid0(VALU_DEP_1) | instskip(NEXT) | instid1(VALU_DEP_2)
	v_mad_u64_u32 v[36:37], null, 0xfc2757d1, v40, v[0:1]
	v_cndmask_b32_e64 v32, v33, v32, s4
	s_delay_alu instid0(VALU_DEP_2) | instskip(NEXT) | instid1(VALU_DEP_1)
	v_mov_b32_e32 v0, v37
	v_mad_u64_u32 v[37:38], null, 0x4e441529, v40, v[0:1]
	s_delay_alu instid0(VALU_DEP_1) | instskip(NEXT) | instid1(VALU_DEP_1)
	v_mov_b32_e32 v0, v38
	v_mad_u64_u32 v[38:39], null, 0xa2f9836e, v40, v[0:1]
	v_cndmask_b32_e64 v0, 0, 0xffffffe0, s5
	s_delay_alu instid0(VALU_DEP_4) | instskip(NEXT) | instid1(VALU_DEP_2)
	v_cndmask_b32_e32 v40, v37, v35, vcc_lo
	v_add_nc_u32_e32 v0, v0, v41
	s_delay_alu instid0(VALU_DEP_4) | instskip(SKIP_1) | instid1(VALU_DEP_3)
	v_dual_cndmask_b32 v38, v38, v36 :: v_dual_cndmask_b32 v37, v39, v37
	v_cndmask_b32_e32 v36, v36, v34, vcc_lo
	v_sub_nc_u32_e32 v39, 32, v0
	s_delay_alu instid0(VALU_DEP_3) | instskip(NEXT) | instid1(VALU_DEP_4)
	v_cndmask_b32_e64 v35, v38, v40, s4
	v_cndmask_b32_e64 v37, v37, v38, s4
	s_delay_alu instid0(VALU_DEP_4) | instskip(SKIP_2) | instid1(VALU_DEP_4)
	v_cndmask_b32_e64 v38, v40, v36, s4
	v_cndmask_b32_e64 v36, v36, v33, s4
	v_cmp_eq_u32_e64 s6, 0, v0
	v_cndmask_b32_e64 v37, v37, v35, s5
	s_delay_alu instid0(VALU_DEP_4) | instskip(NEXT) | instid1(VALU_DEP_4)
	v_cndmask_b32_e64 v35, v35, v38, s5
	v_cndmask_b32_e64 v38, v38, v36, s5
	;; [unrolled: 1-line block ×3, first 2 shown]
	s_delay_alu instid0(VALU_DEP_3) | instskip(NEXT) | instid1(VALU_DEP_3)
	v_alignbit_b32 v40, v37, v35, v39
	v_alignbit_b32 v41, v35, v38, v39
	s_delay_alu instid0(VALU_DEP_3) | instskip(NEXT) | instid1(VALU_DEP_3)
	v_alignbit_b32 v39, v38, v32, v39
	v_cndmask_b32_e64 v0, v40, v37, s6
	s_delay_alu instid0(VALU_DEP_3) | instskip(NEXT) | instid1(VALU_DEP_3)
	v_cndmask_b32_e64 v34, v41, v35, s6
	v_cndmask_b32_e64 v38, v39, v38, s6
	s_delay_alu instid0(VALU_DEP_3) | instskip(NEXT) | instid1(VALU_DEP_3)
	v_bfe_u32 v35, v0, 29, 1
	v_alignbit_b32 v33, v0, v34, 30
	s_delay_alu instid0(VALU_DEP_3) | instskip(SKIP_1) | instid1(VALU_DEP_4)
	v_alignbit_b32 v34, v34, v38, 30
	v_alignbit_b32 v32, v38, v32, 30
	v_sub_nc_u32_e32 v37, 0, v35
	s_delay_alu instid0(VALU_DEP_1) | instskip(SKIP_3) | instid1(VALU_DEP_4)
	v_xor_b32_e32 v36, v33, v37
	v_cmp_ne_u32_e32 vcc_lo, v33, v37
	v_xor_b32_e32 v34, v34, v37
	v_xor_b32_e32 v32, v32, v37
	v_clz_i32_u32_e32 v40, v36
	s_delay_alu instid0(VALU_DEP_1) | instskip(NEXT) | instid1(VALU_DEP_1)
	v_add_nc_u32_e32 v39, 1, v40
	v_cndmask_b32_e32 v33, 33, v39, vcc_lo
	s_delay_alu instid0(VALU_DEP_1) | instskip(NEXT) | instid1(VALU_DEP_1)
	v_sub_nc_u32_e32 v38, 32, v33
	v_alignbit_b32 v36, v36, v34, v38
	v_alignbit_b32 v32, v34, v32, v38
	v_lshrrev_b32_e32 v34, 29, v0
	s_delay_alu instid0(VALU_DEP_2) | instskip(NEXT) | instid1(VALU_DEP_2)
	v_alignbit_b32 v37, v36, v32, 9
	v_lshlrev_b32_e32 v34, 31, v34
	v_alignbit_b32 v36, v33, v36, 9
	s_delay_alu instid0(VALU_DEP_3) | instskip(NEXT) | instid1(VALU_DEP_2)
	v_clz_i32_u32_e32 v38, v37
	v_or_b32_e32 v36, v36, v34
	v_or_b32_e32 v34, 0x33800000, v34
	s_delay_alu instid0(VALU_DEP_3) | instskip(NEXT) | instid1(VALU_DEP_3)
	v_min_u32_e32 v38, 32, v38
	v_xor_b32_e32 v36, 1.0, v36
	s_delay_alu instid0(VALU_DEP_2) | instskip(SKIP_1) | instid1(VALU_DEP_3)
	v_sub_nc_u32_e32 v39, 31, v38
	v_add_lshl_u32 v33, v38, v33, 23
	v_mul_f32_e32 v38, 0x3fc90fda, v36
	s_delay_alu instid0(VALU_DEP_3) | instskip(NEXT) | instid1(VALU_DEP_3)
	v_alignbit_b32 v32, v37, v32, v39
	v_sub_nc_u32_e32 v33, v34, v33
	s_delay_alu instid0(VALU_DEP_3) | instskip(NEXT) | instid1(VALU_DEP_3)
	v_fma_f32 v34, 0x3fc90fda, v36, -v38
	v_lshrrev_b32_e32 v32, 9, v32
	s_delay_alu instid0(VALU_DEP_2) | instskip(NEXT) | instid1(VALU_DEP_2)
	v_fmac_f32_e32 v34, 0x33a22168, v36
	v_or_b32_e32 v32, v33, v32
	s_delay_alu instid0(VALU_DEP_1) | instskip(SKIP_1) | instid1(VALU_DEP_2)
	v_fmac_f32_e32 v34, 0x3fc90fda, v32
	v_lshrrev_b32_e32 v32, 30, v0
	v_add_f32_e32 v0, v38, v34
	s_delay_alu instid0(VALU_DEP_2)
	v_add_nc_u32_e32 v32, v35, v32
	s_and_not1_saveexec_b32 s4, s30
	s_cbranch_execnz .LBB249_298
	s_branch .LBB249_299
.LBB249_297:                            ;   in Loop: Header=BB249_217 Depth=1
	s_and_not1_saveexec_b32 s4, s30
.LBB249_298:                            ;   in Loop: Header=BB249_217 Depth=1
	v_mul_f32_e64 v0, 0x3f22f983, |v11|
	s_delay_alu instid0(VALU_DEP_1) | instskip(NEXT) | instid1(VALU_DEP_1)
	v_rndne_f32_e32 v32, v0
	v_fma_f32 v0, 0xbfc90fda, v32, |v11|
	s_delay_alu instid0(VALU_DEP_1) | instskip(NEXT) | instid1(VALU_DEP_1)
	v_fmac_f32_e32 v0, 0xb3a22168, v32
	v_fmac_f32_e32 v0, 0xa7c234c4, v32
	v_cvt_i32_f32_e32 v32, v32
.LBB249_299:                            ;   in Loop: Header=BB249_217 Depth=1
	s_or_b32 exec_lo, exec_lo, s4
	v_sub_f32_e32 v10, 0xc322e3bc, v10
	v_mul_f32_e32 v36, v30, v30
	s_delay_alu instid0(VALU_DEP_2) | instskip(NEXT) | instid1(VALU_DEP_2)
	v_mul_f32_e32 v33, 0x3fb8aa3b, v10
	v_fmaak_f32 v38, s25, v36, 0xbab64f3b
	s_delay_alu instid0(VALU_DEP_2) | instskip(SKIP_1) | instid1(VALU_DEP_1)
	v_fma_f32 v34, 0x3fb8aa3b, v10, -v33
	v_rndne_f32_e32 v35, v33
	v_dual_sub_f32 v33, v33, v35 :: v_dual_fmac_f32 v34, 0x32a5705f, v10
	v_cmp_ngt_f32_e32 vcc_lo, 0xc2ce8ed0, v10
	s_delay_alu instid0(VALU_DEP_2) | instskip(SKIP_3) | instid1(VALU_DEP_4)
	v_add_f32_e32 v33, v33, v34
	v_cvt_i32_f32_e32 v34, v35
	v_lshlrev_b32_e32 v35, 30, v31
	v_and_b32_e32 v31, 1, v31
	v_exp_f32_e32 v33, v33
	s_waitcnt_depctr 0xfff
	v_ldexp_f32 v33, v33, v34
	v_and_b32_e32 v34, 1, v32
	s_delay_alu instid0(VALU_DEP_2) | instskip(SKIP_1) | instid1(VALU_DEP_2)
	v_dual_cndmask_b32 v33, 0, v33 :: v_dual_lshlrev_b32 v32, 30, v32
	v_cmp_nlt_f32_e32 vcc_lo, 0x42b17218, v10
	v_and_or_b32 v29, 0x80000000, v32, v29
	v_fmaak_f32 v32, v36, v38, 0x3d2aabf7
	s_delay_alu instid0(VALU_DEP_4) | instskip(SKIP_2) | instid1(VALU_DEP_3)
	v_dual_mul_f32 v37, v0, v0 :: v_dual_cndmask_b32 v10, 0x7f800000, v33
	v_fmaak_f32 v39, s24, v36, 0x3c0881c4
	v_cmp_eq_u32_e32 vcc_lo, 0, v31
	v_fmaak_f32 v40, s24, v37, 0x3c0881c4
	v_fmaak_f32 v33, s25, v37, 0xbab64f3b
	s_delay_alu instid0(VALU_DEP_4)
	v_fmaak_f32 v38, v36, v39, 0xbe2aaa9d
	v_and_b32_e32 v35, 0x80000000, v35
	v_lshrrev_b32_e32 v39, 23, v10
	v_fmaak_f32 v40, v37, v40, 0xbe2aaa9d
	v_and_or_b32 v10, 0x7fffff, v10, s26
	v_dual_mul_f32 v38, v36, v38 :: v_dual_fmaak_f32 v33, v37, v33, 0x3d2aabf7
	s_delay_alu instid0(VALU_DEP_4) | instskip(NEXT) | instid1(VALU_DEP_2)
	v_subrev_nc_u32_e32 v39, 19, v39
	v_fmac_f32_e32 v30, v30, v38
	s_delay_alu instid0(VALU_DEP_3) | instskip(NEXT) | instid1(VALU_DEP_1)
	v_dual_fmaak_f32 v32, v36, v32, 0xbf000004 :: v_dual_fmaak_f32 v33, v37, v33, 0xbf000004
	v_fma_f32 v32, v36, v32, 1.0
	s_delay_alu instid0(VALU_DEP_4) | instskip(NEXT) | instid1(VALU_DEP_3)
	v_lshrrev_b16 v36, 15, v39
	v_fma_f32 v33, v37, v33, 1.0
	s_delay_alu instid0(VALU_DEP_3) | instskip(SKIP_1) | instid1(VALU_DEP_4)
	v_cndmask_b32_e64 v30, -v30, v32, vcc_lo
	v_cmp_eq_u32_e32 vcc_lo, 0, v34
	v_add_nc_u16 v31, v39, v36
	s_delay_alu instid0(VALU_DEP_3) | instskip(SKIP_1) | instid1(VALU_DEP_3)
	v_xor_b32_e32 v30, v35, v30
	v_mul_f32_e32 v40, v37, v40
	v_ashrrev_i16 v31, 1, v31
	s_delay_alu instid0(VALU_DEP_2) | instskip(NEXT) | instid1(VALU_DEP_1)
	v_fmac_f32_e32 v0, v0, v40
	v_cndmask_b32_e32 v0, v33, v0, vcc_lo
	v_cmp_class_f32_e64 vcc_lo, v11, 0x1f8
	s_delay_alu instid0(VALU_DEP_2) | instskip(SKIP_2) | instid1(VALU_DEP_2)
	v_xor3_b32 v0, v29, v0, v28
	v_cndmask_b32_e32 v11, 0x7fc00000, v30, vcc_lo
	v_bfe_i32 v28, v31, 0, 16
	v_dual_cndmask_b32 v0, 0x7fc00000, v0 :: v_dual_mul_f32 v11, v11, v10
	s_delay_alu instid0(VALU_DEP_2) | instskip(SKIP_1) | instid1(VALU_DEP_3)
	v_lshl_add_u32 v29, v28, 23, 1.0
	v_sub_nc_u32_e32 v28, v39, v28
	v_mul_f32_e32 v0, v0, v10
	s_delay_alu instid0(VALU_DEP_3) | instskip(NEXT) | instid1(VALU_DEP_3)
	v_mul_f32_e32 v10, v11, v29
	v_lshl_add_u32 v11, v28, 23, 1.0
	s_delay_alu instid0(VALU_DEP_3) | instskip(NEXT) | instid1(VALU_DEP_2)
	v_mul_f32_e32 v28, v0, v29
	v_mul_f32_e32 v0, v10, v11
	s_delay_alu instid0(VALU_DEP_2)
	v_mul_f32_e32 v28, v28, v11
.LBB249_300:                            ;   in Loop: Header=BB249_217 Depth=1
	s_or_b32 exec_lo, exec_lo, s29
                                        ; implicit-def: $vgpr30
                                        ; implicit-def: $vgpr11
                                        ; implicit-def: $vgpr31
.LBB249_301:                            ;   in Loop: Header=BB249_217 Depth=1
	s_and_not1_saveexec_b32 s4, s28
	s_cbranch_execz .LBB249_307
; %bb.302:                              ;   in Loop: Header=BB249_217 Depth=1
	s_mov_b32 s5, exec_lo
                                        ; implicit-def: $vgpr28
	v_cmpx_ne_u32_e32 0x7f800000, v31
	s_xor_b32 s5, exec_lo, s5
; %bb.303:                              ;   in Loop: Header=BB249_217 Depth=1
	v_sub_f32_e32 v28, v11, v11
                                        ; implicit-def: $vgpr30
                                        ; implicit-def: $vgpr11
; %bb.304:                              ;   in Loop: Header=BB249_217 Depth=1
	s_or_saveexec_b32 s5, s5
	s_delay_alu instid0(VALU_DEP_1)
	v_mov_b32_e32 v0, v28
	s_xor_b32 exec_lo, exec_lo, s5
; %bb.305:                              ;   in Loop: Header=BB249_217 Depth=1
	v_sub_f32_e32 v11, v11, v11
	v_cmp_lt_i32_e32 vcc_lo, -1, v30
	v_cndmask_b32_e64 v0, 0, -v10, vcc_lo
	s_delay_alu instid0(VALU_DEP_3)
	v_cndmask_b32_e32 v28, 0, v11, vcc_lo
; %bb.306:                              ;   in Loop: Header=BB249_217 Depth=1
	s_or_b32 exec_lo, exec_lo, s5
.LBB249_307:                            ;   in Loop: Header=BB249_217 Depth=1
	s_delay_alu instid0(SALU_CYCLE_1)
	s_or_b32 exec_lo, exec_lo, s4
                                        ; implicit-def: $vgpr11
                                        ; implicit-def: $vgpr29
.LBB249_308:                            ;   in Loop: Header=BB249_217 Depth=1
	s_and_not1_saveexec_b32 s27, s27
	s_cbranch_execz .LBB249_318
; %bb.309:                              ;   in Loop: Header=BB249_217 Depth=1
	v_cmp_ngt_f32_e64 s28, 0x48000000, |v11|
                                        ; implicit-def: $vgpr30
                                        ; implicit-def: $vgpr10
	s_delay_alu instid0(VALU_DEP_1) | instskip(NEXT) | instid1(SALU_CYCLE_1)
	s_and_saveexec_b32 s4, s28
	s_xor_b32 s29, exec_lo, s4
	s_cbranch_execz .LBB249_311
; %bb.310:                              ;   in Loop: Header=BB249_217 Depth=1
	v_lshrrev_b32_e32 v35, 23, v29
	v_and_or_b32 v10, v29, s7, 0x800000
	s_delay_alu instid0(VALU_DEP_2) | instskip(NEXT) | instid1(VALU_DEP_2)
	v_add_nc_u32_e32 v36, 0xffffff88, v35
	v_mad_u64_u32 v[30:31], null, 0xfe5163ab, v10, 0
	s_delay_alu instid0(VALU_DEP_2) | instskip(SKIP_1) | instid1(VALU_DEP_1)
	v_cmp_lt_u32_e32 vcc_lo, 63, v36
	v_cndmask_b32_e64 v37, 0, 0xffffffc0, vcc_lo
	v_dual_mov_b32 v0, v31 :: v_dual_add_nc_u32 v37, v37, v36
	s_delay_alu instid0(VALU_DEP_1) | instskip(NEXT) | instid1(VALU_DEP_2)
	v_mad_u64_u32 v[31:32], null, 0x3c439041, v10, v[0:1]
	v_cmp_lt_u32_e64 s4, 31, v37
	s_delay_alu instid0(VALU_DEP_2) | instskip(NEXT) | instid1(VALU_DEP_2)
	v_mov_b32_e32 v0, v32
	v_cndmask_b32_e64 v38, 0, 0xffffffe0, s4
	s_delay_alu instid0(VALU_DEP_2) | instskip(NEXT) | instid1(VALU_DEP_2)
	v_mad_u64_u32 v[32:33], null, 0xdb629599, v10, v[0:1]
	v_add_nc_u32_e32 v38, v38, v37
	s_delay_alu instid0(VALU_DEP_1) | instskip(NEXT) | instid1(VALU_DEP_3)
	v_cmp_lt_u32_e64 s5, 31, v38
	v_mov_b32_e32 v0, v33
	s_delay_alu instid0(VALU_DEP_4) | instskip(NEXT) | instid1(VALU_DEP_2)
	v_cndmask_b32_e32 v30, v32, v30, vcc_lo
	v_mad_u64_u32 v[33:34], null, 0xf534ddc0, v10, v[0:1]
	s_delay_alu instid0(VALU_DEP_1) | instskip(NEXT) | instid1(VALU_DEP_1)
	v_dual_mov_b32 v0, v34 :: v_dual_cndmask_b32 v31, v33, v31
	v_mad_u64_u32 v[34:35], null, 0xfc2757d1, v10, v[0:1]
	s_delay_alu instid0(VALU_DEP_2) | instskip(NEXT) | instid1(VALU_DEP_2)
	v_cndmask_b32_e64 v30, v31, v30, s4
	v_mov_b32_e32 v0, v35
	s_delay_alu instid0(VALU_DEP_1) | instskip(NEXT) | instid1(VALU_DEP_1)
	v_mad_u64_u32 v[35:36], null, 0x4e441529, v10, v[0:1]
	v_mov_b32_e32 v0, v36
	s_delay_alu instid0(VALU_DEP_1) | instskip(SKIP_1) | instid1(VALU_DEP_4)
	v_mad_u64_u32 v[36:37], null, 0xa2f9836e, v10, v[0:1]
	v_cndmask_b32_e64 v0, 0, 0xffffffe0, s5
	v_cndmask_b32_e32 v10, v35, v33, vcc_lo
	s_delay_alu instid0(VALU_DEP_2) | instskip(NEXT) | instid1(VALU_DEP_4)
	v_add_nc_u32_e32 v0, v0, v38
	v_dual_cndmask_b32 v36, v36, v34 :: v_dual_cndmask_b32 v35, v37, v35
	v_cndmask_b32_e32 v34, v34, v32, vcc_lo
	s_delay_alu instid0(VALU_DEP_3) | instskip(NEXT) | instid1(VALU_DEP_3)
	v_cmp_eq_u32_e64 s6, 0, v0
	v_cndmask_b32_e64 v33, v36, v10, s4
	s_delay_alu instid0(VALU_DEP_4) | instskip(NEXT) | instid1(VALU_DEP_4)
	v_cndmask_b32_e64 v35, v35, v36, s4
	v_cndmask_b32_e64 v10, v10, v34, s4
	v_sub_nc_u32_e32 v36, 32, v0
	v_cndmask_b32_e64 v34, v34, v31, s4
	s_delay_alu instid0(VALU_DEP_4) | instskip(NEXT) | instid1(VALU_DEP_4)
	v_cndmask_b32_e64 v35, v35, v33, s5
	v_cndmask_b32_e64 v33, v33, v10, s5
	s_delay_alu instid0(VALU_DEP_3) | instskip(SKIP_1) | instid1(VALU_DEP_3)
	v_cndmask_b32_e64 v10, v10, v34, s5
	v_cndmask_b32_e64 v30, v34, v30, s5
	v_alignbit_b32 v37, v35, v33, v36
	s_delay_alu instid0(VALU_DEP_3) | instskip(NEXT) | instid1(VALU_DEP_3)
	v_alignbit_b32 v38, v33, v10, v36
	v_alignbit_b32 v36, v10, v30, v36
	s_delay_alu instid0(VALU_DEP_3) | instskip(NEXT) | instid1(VALU_DEP_3)
	v_cndmask_b32_e64 v0, v37, v35, s6
	v_cndmask_b32_e64 v32, v38, v33, s6
	s_delay_alu instid0(VALU_DEP_3) | instskip(NEXT) | instid1(VALU_DEP_3)
	v_cndmask_b32_e64 v10, v36, v10, s6
	v_bfe_u32 v33, v0, 29, 1
	s_delay_alu instid0(VALU_DEP_3) | instskip(NEXT) | instid1(VALU_DEP_3)
	v_alignbit_b32 v31, v0, v32, 30
	v_alignbit_b32 v32, v32, v10, 30
	;; [unrolled: 1-line block ×3, first 2 shown]
	s_delay_alu instid0(VALU_DEP_4) | instskip(NEXT) | instid1(VALU_DEP_1)
	v_sub_nc_u32_e32 v35, 0, v33
	v_xor_b32_e32 v34, v31, v35
	v_cmp_ne_u32_e32 vcc_lo, v31, v35
	v_xor_b32_e32 v30, v32, v35
	v_xor_b32_e32 v10, v10, v35
	s_delay_alu instid0(VALU_DEP_4) | instskip(NEXT) | instid1(VALU_DEP_1)
	v_clz_i32_u32_e32 v37, v34
	v_add_nc_u32_e32 v36, 1, v37
	s_delay_alu instid0(VALU_DEP_1) | instskip(NEXT) | instid1(VALU_DEP_1)
	v_cndmask_b32_e32 v31, 33, v36, vcc_lo
	v_sub_nc_u32_e32 v32, 32, v31
	s_delay_alu instid0(VALU_DEP_1) | instskip(SKIP_3) | instid1(VALU_DEP_3)
	v_alignbit_b32 v34, v34, v30, v32
	v_alignbit_b32 v10, v30, v10, v32
	v_lshrrev_b32_e32 v30, 29, v0
	v_lshrrev_b32_e32 v0, 30, v0
	v_alignbit_b32 v32, v34, v10, 9
	s_delay_alu instid0(VALU_DEP_3) | instskip(SKIP_1) | instid1(VALU_DEP_3)
	v_lshlrev_b32_e32 v30, 31, v30
	v_alignbit_b32 v34, v31, v34, 9
	v_clz_i32_u32_e32 v35, v32
	s_delay_alu instid0(VALU_DEP_2) | instskip(SKIP_1) | instid1(VALU_DEP_3)
	v_or_b32_e32 v34, v34, v30
	v_or_b32_e32 v30, 0x33800000, v30
	v_min_u32_e32 v35, 32, v35
	s_delay_alu instid0(VALU_DEP_3) | instskip(NEXT) | instid1(VALU_DEP_2)
	v_xor_b32_e32 v34, 1.0, v34
	v_sub_nc_u32_e32 v36, 31, v35
	v_add_lshl_u32 v31, v35, v31, 23
	s_delay_alu instid0(VALU_DEP_3) | instskip(NEXT) | instid1(VALU_DEP_3)
	v_mul_f32_e32 v35, 0x3fc90fda, v34
	v_alignbit_b32 v10, v32, v10, v36
	s_delay_alu instid0(VALU_DEP_3) | instskip(NEXT) | instid1(VALU_DEP_3)
	v_sub_nc_u32_e32 v30, v30, v31
	v_fma_f32 v31, 0x3fc90fda, v34, -v35
	s_delay_alu instid0(VALU_DEP_3) | instskip(NEXT) | instid1(VALU_DEP_2)
	v_lshrrev_b32_e32 v10, 9, v10
	v_fmac_f32_e32 v31, 0x33a22168, v34
	s_delay_alu instid0(VALU_DEP_2) | instskip(NEXT) | instid1(VALU_DEP_1)
	v_or_b32_e32 v10, v30, v10
	v_dual_fmac_f32 v31, 0x3fc90fda, v10 :: v_dual_add_nc_u32 v30, v33, v0
	s_delay_alu instid0(VALU_DEP_1)
	v_add_f32_e32 v10, v35, v31
	s_and_not1_saveexec_b32 s4, s29
	s_branch .LBB249_312
.LBB249_311:                            ;   in Loop: Header=BB249_217 Depth=1
	s_and_not1_saveexec_b32 s4, s29
.LBB249_312:                            ;   in Loop: Header=BB249_217 Depth=1
	v_mul_f32_e64 v0, 0x3f22f983, |v11|
	s_delay_alu instid0(VALU_DEP_1) | instskip(NEXT) | instid1(VALU_DEP_1)
	v_rndne_f32_e32 v0, v0
	v_fma_f32 v10, 0xbfc90fda, v0, |v11|
	v_cvt_i32_f32_e32 v30, v0
	s_delay_alu instid0(VALU_DEP_2) | instskip(NEXT) | instid1(VALU_DEP_1)
	v_fmac_f32_e32 v10, 0xb3a22168, v0
	v_fmac_f32_e32 v10, 0xa7c234c4, v0
; %bb.313:                              ;   in Loop: Header=BB249_217 Depth=1
	s_or_b32 exec_lo, exec_lo, s4
                                        ; implicit-def: $vgpr31
                                        ; implicit-def: $vgpr0
	s_and_saveexec_b32 s4, s28
	s_delay_alu instid0(SALU_CYCLE_1)
	s_xor_b32 s28, exec_lo, s4
	s_cbranch_execz .LBB249_315
; %bb.314:                              ;   in Loop: Header=BB249_217 Depth=1
	v_and_or_b32 v39, v29, s7, 0x800000
	v_lshrrev_b32_e32 v36, 23, v29
	s_delay_alu instid0(VALU_DEP_2) | instskip(NEXT) | instid1(VALU_DEP_2)
	v_mad_u64_u32 v[31:32], null, 0xfe5163ab, v39, 0
	v_add_nc_u32_e32 v37, 0xffffff88, v36
	s_delay_alu instid0(VALU_DEP_1) | instskip(NEXT) | instid1(VALU_DEP_3)
	v_cmp_lt_u32_e32 vcc_lo, 63, v37
	v_mov_b32_e32 v0, v32
	v_cndmask_b32_e64 v38, 0, 0xffffffc0, vcc_lo
	s_delay_alu instid0(VALU_DEP_2) | instskip(NEXT) | instid1(VALU_DEP_2)
	v_mad_u64_u32 v[32:33], null, 0x3c439041, v39, v[0:1]
	v_add_nc_u32_e32 v38, v38, v37
	s_delay_alu instid0(VALU_DEP_2) | instskip(NEXT) | instid1(VALU_DEP_2)
	v_mov_b32_e32 v0, v33
	v_cmp_lt_u32_e64 s4, 31, v38
	s_delay_alu instid0(VALU_DEP_2) | instskip(NEXT) | instid1(VALU_DEP_2)
	v_mad_u64_u32 v[33:34], null, 0xdb629599, v39, v[0:1]
	v_cndmask_b32_e64 v40, 0, 0xffffffe0, s4
	s_delay_alu instid0(VALU_DEP_1) | instskip(NEXT) | instid1(VALU_DEP_3)
	v_add_nc_u32_e32 v40, v40, v38
	v_dual_mov_b32 v0, v34 :: v_dual_cndmask_b32 v31, v33, v31
	s_delay_alu instid0(VALU_DEP_2) | instskip(NEXT) | instid1(VALU_DEP_2)
	v_cmp_lt_u32_e64 s5, 31, v40
	v_mad_u64_u32 v[34:35], null, 0xf534ddc0, v39, v[0:1]
	s_delay_alu instid0(VALU_DEP_1) | instskip(NEXT) | instid1(VALU_DEP_2)
	v_mov_b32_e32 v0, v35
	v_cndmask_b32_e32 v32, v34, v32, vcc_lo
	s_delay_alu instid0(VALU_DEP_2) | instskip(NEXT) | instid1(VALU_DEP_2)
	v_mad_u64_u32 v[35:36], null, 0xfc2757d1, v39, v[0:1]
	v_cndmask_b32_e64 v31, v32, v31, s4
	s_delay_alu instid0(VALU_DEP_2) | instskip(NEXT) | instid1(VALU_DEP_1)
	v_mov_b32_e32 v0, v36
	v_mad_u64_u32 v[36:37], null, 0x4e441529, v39, v[0:1]
	s_delay_alu instid0(VALU_DEP_1) | instskip(NEXT) | instid1(VALU_DEP_1)
	v_mov_b32_e32 v0, v37
	v_mad_u64_u32 v[37:38], null, 0xa2f9836e, v39, v[0:1]
	v_cndmask_b32_e64 v0, 0, 0xffffffe0, s5
	s_delay_alu instid0(VALU_DEP_4) | instskip(NEXT) | instid1(VALU_DEP_2)
	v_cndmask_b32_e32 v39, v36, v34, vcc_lo
	v_dual_cndmask_b32 v37, v37, v35 :: v_dual_add_nc_u32 v0, v0, v40
	s_delay_alu instid0(VALU_DEP_4) | instskip(NEXT) | instid1(VALU_DEP_2)
	v_dual_cndmask_b32 v36, v38, v36 :: v_dual_cndmask_b32 v35, v35, v33
	v_sub_nc_u32_e32 v38, 32, v0
	s_delay_alu instid0(VALU_DEP_3) | instskip(NEXT) | instid1(VALU_DEP_3)
	v_cndmask_b32_e64 v34, v37, v39, s4
	v_cndmask_b32_e64 v36, v36, v37, s4
	s_delay_alu instid0(VALU_DEP_4) | instskip(SKIP_2) | instid1(VALU_DEP_4)
	v_cndmask_b32_e64 v37, v39, v35, s4
	v_cndmask_b32_e64 v35, v35, v32, s4
	v_cmp_eq_u32_e64 s6, 0, v0
	v_cndmask_b32_e64 v36, v36, v34, s5
	s_delay_alu instid0(VALU_DEP_4) | instskip(NEXT) | instid1(VALU_DEP_4)
	v_cndmask_b32_e64 v34, v34, v37, s5
	v_cndmask_b32_e64 v37, v37, v35, s5
	;; [unrolled: 1-line block ×3, first 2 shown]
	s_delay_alu instid0(VALU_DEP_3) | instskip(NEXT) | instid1(VALU_DEP_3)
	v_alignbit_b32 v39, v36, v34, v38
	v_alignbit_b32 v40, v34, v37, v38
	s_delay_alu instid0(VALU_DEP_3) | instskip(NEXT) | instid1(VALU_DEP_3)
	v_alignbit_b32 v38, v37, v31, v38
	v_cndmask_b32_e64 v0, v39, v36, s6
	s_delay_alu instid0(VALU_DEP_3) | instskip(NEXT) | instid1(VALU_DEP_3)
	v_cndmask_b32_e64 v33, v40, v34, s6
	v_cndmask_b32_e64 v37, v38, v37, s6
	s_delay_alu instid0(VALU_DEP_3) | instskip(NEXT) | instid1(VALU_DEP_3)
	v_bfe_u32 v34, v0, 29, 1
	v_alignbit_b32 v32, v0, v33, 30
	s_delay_alu instid0(VALU_DEP_3) | instskip(SKIP_1) | instid1(VALU_DEP_4)
	v_alignbit_b32 v33, v33, v37, 30
	v_alignbit_b32 v31, v37, v31, 30
	v_sub_nc_u32_e32 v36, 0, v34
	s_delay_alu instid0(VALU_DEP_1) | instskip(SKIP_3) | instid1(VALU_DEP_4)
	v_xor_b32_e32 v35, v32, v36
	v_cmp_ne_u32_e32 vcc_lo, v32, v36
	v_xor_b32_e32 v33, v33, v36
	v_xor_b32_e32 v31, v31, v36
	v_clz_i32_u32_e32 v39, v35
	s_delay_alu instid0(VALU_DEP_1) | instskip(NEXT) | instid1(VALU_DEP_1)
	v_add_nc_u32_e32 v38, 1, v39
	v_cndmask_b32_e32 v32, 33, v38, vcc_lo
	s_delay_alu instid0(VALU_DEP_1) | instskip(NEXT) | instid1(VALU_DEP_1)
	v_sub_nc_u32_e32 v37, 32, v32
	v_alignbit_b32 v35, v35, v33, v37
	v_alignbit_b32 v31, v33, v31, v37
	v_lshrrev_b32_e32 v33, 29, v0
	s_delay_alu instid0(VALU_DEP_2) | instskip(NEXT) | instid1(VALU_DEP_2)
	v_alignbit_b32 v36, v35, v31, 9
	v_lshlrev_b32_e32 v33, 31, v33
	v_alignbit_b32 v35, v32, v35, 9
	s_delay_alu instid0(VALU_DEP_3) | instskip(NEXT) | instid1(VALU_DEP_2)
	v_clz_i32_u32_e32 v37, v36
	v_or_b32_e32 v35, v35, v33
	v_or_b32_e32 v33, 0x33800000, v33
	s_delay_alu instid0(VALU_DEP_3) | instskip(NEXT) | instid1(VALU_DEP_3)
	v_min_u32_e32 v37, 32, v37
	v_xor_b32_e32 v35, 1.0, v35
	s_delay_alu instid0(VALU_DEP_2) | instskip(SKIP_1) | instid1(VALU_DEP_3)
	v_sub_nc_u32_e32 v38, 31, v37
	v_add_lshl_u32 v32, v37, v32, 23
	v_mul_f32_e32 v37, 0x3fc90fda, v35
	s_delay_alu instid0(VALU_DEP_3) | instskip(NEXT) | instid1(VALU_DEP_3)
	v_alignbit_b32 v31, v36, v31, v38
	v_sub_nc_u32_e32 v32, v33, v32
	s_delay_alu instid0(VALU_DEP_3) | instskip(NEXT) | instid1(VALU_DEP_3)
	v_fma_f32 v33, 0x3fc90fda, v35, -v37
	v_lshrrev_b32_e32 v31, 9, v31
	s_delay_alu instid0(VALU_DEP_2) | instskip(NEXT) | instid1(VALU_DEP_2)
	v_fmac_f32_e32 v33, 0x33a22168, v35
	v_or_b32_e32 v31, v32, v31
	s_delay_alu instid0(VALU_DEP_1) | instskip(SKIP_1) | instid1(VALU_DEP_1)
	v_fmac_f32_e32 v33, 0x3fc90fda, v31
	v_lshrrev_b32_e32 v31, 30, v0
	v_dual_add_f32 v0, v37, v33 :: v_dual_add_nc_u32 v31, v34, v31
	s_and_not1_saveexec_b32 s4, s28
	s_cbranch_execnz .LBB249_316
	s_branch .LBB249_317
.LBB249_315:                            ;   in Loop: Header=BB249_217 Depth=1
	s_and_not1_saveexec_b32 s4, s28
.LBB249_316:                            ;   in Loop: Header=BB249_217 Depth=1
	v_mul_f32_e64 v0, 0x3f22f983, |v11|
	s_delay_alu instid0(VALU_DEP_1) | instskip(NEXT) | instid1(VALU_DEP_1)
	v_rndne_f32_e32 v31, v0
	v_fma_f32 v0, 0xbfc90fda, v31, |v11|
	s_delay_alu instid0(VALU_DEP_1) | instskip(NEXT) | instid1(VALU_DEP_1)
	v_fmac_f32_e32 v0, 0xb3a22168, v31
	v_fmac_f32_e32 v0, 0xa7c234c4, v31
	v_cvt_i32_f32_e32 v31, v31
.LBB249_317:                            ;   in Loop: Header=BB249_217 Depth=1
	s_or_b32 exec_lo, exec_lo, s4
	s_delay_alu instid0(VALU_DEP_1) | instskip(SKIP_2) | instid1(VALU_DEP_3)
	v_dual_mul_f32 v32, v10, v10 :: v_dual_mul_f32 v33, v0, v0
	v_and_b32_e32 v34, 1, v30
	v_lshlrev_b32_e32 v30, 30, v30
	v_dual_fmaak_f32 v36, s25, v32, 0xbab64f3b :: v_dual_and_b32 v39, 1, v31
	s_delay_alu instid0(VALU_DEP_4) | instskip(SKIP_3) | instid1(VALU_DEP_4)
	v_fmaak_f32 v37, s24, v33, 0x3c0881c4
	v_dual_fmaak_f32 v38, s25, v33, 0xbab64f3b :: v_dual_lshlrev_b32 v31, 30, v31
	v_fmaak_f32 v35, s24, v32, 0x3c0881c4
	v_cmp_eq_u32_e32 vcc_lo, 0, v34
	v_fmaak_f32 v37, v33, v37, 0xbe2aaa9d
	s_delay_alu instid0(VALU_DEP_4)
	v_fmaak_f32 v38, v33, v38, 0x3d2aabf7
	v_fmaak_f32 v36, v32, v36, 0x3d2aabf7
	v_and_b32_e32 v30, 0x80000000, v30
	v_and_or_b32 v29, 0x80000000, v31, v29
	v_mul_f32_e32 v37, v33, v37
	v_fmaak_f32 v38, v33, v38, 0xbf000004
	v_fmaak_f32 v36, v32, v36, 0xbf000004
	s_delay_alu instid0(VALU_DEP_3) | instskip(NEXT) | instid1(VALU_DEP_3)
	v_fmac_f32_e32 v0, v0, v37
	v_fma_f32 v33, v33, v38, 1.0
	v_fmaak_f32 v35, v32, v35, 0xbe2aaa9d
	s_delay_alu instid0(VALU_DEP_1) | instskip(SKIP_1) | instid1(VALU_DEP_2)
	v_mul_f32_e32 v35, v32, v35
	v_fma_f32 v32, v32, v36, 1.0
	v_fmac_f32_e32 v10, v10, v35
	s_delay_alu instid0(VALU_DEP_1) | instskip(SKIP_1) | instid1(VALU_DEP_2)
	v_cndmask_b32_e64 v10, -v10, v32, vcc_lo
	v_cmp_eq_u32_e32 vcc_lo, 0, v39
	v_xor_b32_e32 v10, v30, v10
	v_cndmask_b32_e32 v0, v33, v0, vcc_lo
	v_cmp_class_f32_e64 vcc_lo, v11, 0x1f8
	s_delay_alu instid0(VALU_DEP_2) | instskip(NEXT) | instid1(VALU_DEP_4)
	v_xor3_b32 v28, v29, v0, v28
	v_cndmask_b32_e32 v0, 0x7fc00000, v10, vcc_lo
	s_delay_alu instid0(VALU_DEP_2)
	v_cndmask_b32_e32 v28, 0x7fc00000, v28, vcc_lo
.LBB249_318:                            ;   in Loop: Header=BB249_217 Depth=1
	s_or_b32 exec_lo, exec_lo, s27
                                        ; implicit-def: $vgpr10
.LBB249_319:                            ;   in Loop: Header=BB249_217 Depth=1
	s_and_not1_saveexec_b32 s4, s15
	s_cbranch_execz .LBB249_321
; %bb.320:                              ;   in Loop: Header=BB249_217 Depth=1
	v_mul_f32_e32 v0, 0xbfb8aa3b, v10
	v_cmp_nlt_f32_e32 vcc_lo, 0x42ce8ed0, v10
	s_delay_alu instid0(VALU_DEP_2) | instskip(SKIP_1) | instid1(VALU_DEP_1)
	v_rndne_f32_e32 v11, v0
	v_fma_f32 v29, 0xbfb8aa3b, v10, -v0
	v_dual_sub_f32 v0, v0, v11 :: v_dual_fmac_f32 v29, 0xb2a5705f, v10
	v_cvt_i32_f32_e32 v11, v11
	s_delay_alu instid0(VALU_DEP_2) | instskip(NEXT) | instid1(VALU_DEP_1)
	v_add_f32_e32 v0, v0, v29
	v_exp_f32_e32 v0, v0
	s_waitcnt_depctr 0xfff
	v_ldexp_f32 v0, v0, v11
	s_delay_alu instid0(VALU_DEP_1) | instskip(SKIP_1) | instid1(VALU_DEP_2)
	v_cndmask_b32_e32 v0, 0, v0, vcc_lo
	v_cmp_ngt_f32_e32 vcc_lo, 0xc2b17218, v10
	v_cndmask_b32_e32 v0, 0x7f800000, v0, vcc_lo
.LBB249_321:                            ;   in Loop: Header=BB249_217 Depth=1
	s_or_b32 exec_lo, exec_lo, s4
	s_delay_alu instid0(VALU_DEP_1) | instskip(SKIP_2) | instid1(VALU_DEP_2)
	v_add_f32_e32 v29, s8, v0
	v_add_f32_e32 v0, s9, v28
                                        ; implicit-def: $vgpr11
	s_mov_b32 s4, exec_lo
	v_cmp_gt_f32_e32 vcc_lo, 0, v29
	v_cndmask_b32_e64 v28, v29, -v29, vcc_lo
	s_delay_alu instid0(VALU_DEP_3) | instskip(SKIP_1) | instid1(VALU_DEP_1)
	v_cmp_gt_f32_e32 vcc_lo, 0, v0
	v_cndmask_b32_e64 v30, v0, -v0, vcc_lo
	v_cmpx_ge_f32_e32 v28, v30
	s_xor_b32 s5, exec_lo, s4
	s_cbranch_execz .LBB249_327
; %bb.322:                              ;   in Loop: Header=BB249_217 Depth=1
	v_cmp_neq_f32_e32 vcc_lo, 0, v29
	v_cmp_neq_f32_e64 s4, 0, v0
                                        ; implicit-def: $vgpr11
	s_delay_alu instid0(VALU_DEP_1) | instskip(NEXT) | instid1(SALU_CYCLE_1)
	s_or_b32 s4, vcc_lo, s4
	s_and_saveexec_b32 s6, s4
	s_delay_alu instid0(SALU_CYCLE_1)
	s_xor_b32 s4, exec_lo, s6
	s_cbranch_execz .LBB249_324
; %bb.323:                              ;   in Loop: Header=BB249_217 Depth=1
	v_div_scale_f32 v10, null, v29, v29, v0
	v_div_scale_f32 v30, vcc_lo, v0, v29, v0
	s_delay_alu instid0(VALU_DEP_2) | instskip(SKIP_2) | instid1(VALU_DEP_1)
	v_rcp_f32_e32 v11, v10
	s_waitcnt_depctr 0xfff
	v_fma_f32 v28, -v10, v11, 1.0
	v_fmac_f32_e32 v11, v28, v11
	s_delay_alu instid0(VALU_DEP_1) | instskip(NEXT) | instid1(VALU_DEP_1)
	v_mul_f32_e32 v28, v30, v11
	v_fma_f32 v31, -v10, v28, v30
	s_delay_alu instid0(VALU_DEP_1) | instskip(NEXT) | instid1(VALU_DEP_1)
	v_fmac_f32_e32 v28, v31, v11
	v_fma_f32 v10, -v10, v28, v30
	s_delay_alu instid0(VALU_DEP_1) | instskip(NEXT) | instid1(VALU_DEP_1)
	v_div_fmas_f32 v10, v10, v11, v28
	v_div_fixup_f32 v10, v10, v29, v0
	s_delay_alu instid0(VALU_DEP_1) | instskip(NEXT) | instid1(VALU_DEP_1)
	v_fmac_f32_e32 v29, v0, v10
	v_div_scale_f32 v0, null, v29, v29, 1.0
	v_div_scale_f32 v30, vcc_lo, 1.0, v29, 1.0
	s_delay_alu instid0(VALU_DEP_2) | instskip(SKIP_2) | instid1(VALU_DEP_1)
	v_rcp_f32_e32 v11, v0
	s_waitcnt_depctr 0xfff
	v_fma_f32 v28, -v0, v11, 1.0
	v_fmac_f32_e32 v11, v28, v11
	s_delay_alu instid0(VALU_DEP_1) | instskip(NEXT) | instid1(VALU_DEP_1)
	v_mul_f32_e32 v28, v30, v11
	v_fma_f32 v31, -v0, v28, v30
	s_delay_alu instid0(VALU_DEP_1) | instskip(NEXT) | instid1(VALU_DEP_1)
	v_fmac_f32_e32 v28, v31, v11
	v_fma_f32 v0, -v0, v28, v30
                                        ; implicit-def: $vgpr30
	s_delay_alu instid0(VALU_DEP_1) | instskip(SKIP_2) | instid1(VALU_DEP_3)
	v_div_fmas_f32 v0, v0, v11, v28
	v_fma_f32 v11, v10, s9, s8
	v_fma_f32 v28, -v10, s8, s9
	v_div_fixup_f32 v0, v0, v29, 1.0
	s_delay_alu instid0(VALU_DEP_1) | instskip(NEXT) | instid1(VALU_DEP_3)
	v_mul_f32_e32 v10, v11, v0
	v_mul_f32_e32 v11, v28, v0
                                        ; implicit-def: $vgpr28
.LBB249_324:                            ;   in Loop: Header=BB249_217 Depth=1
	s_and_not1_saveexec_b32 s6, s4
	s_cbranch_execz .LBB249_326
; %bb.325:                              ;   in Loop: Header=BB249_217 Depth=1
	v_div_scale_f32 v0, null, v28, v28, s8
	v_div_scale_f32 v10, null, v30, v30, s9
	v_div_scale_f32 v33, vcc_lo, s8, v28, s8
	s_delay_alu instid0(VALU_DEP_3) | instskip(NEXT) | instid1(VALU_DEP_2)
	v_rcp_f32_e32 v11, v0
	v_rcp_f32_e32 v29, v10
	s_waitcnt_depctr 0xfff
	v_fma_f32 v31, -v0, v11, 1.0
	v_fma_f32 v32, -v10, v29, 1.0
	s_delay_alu instid0(VALU_DEP_1) | instskip(NEXT) | instid1(VALU_DEP_3)
	v_fmac_f32_e32 v29, v32, v29
	v_fmac_f32_e32 v11, v31, v11
	v_div_scale_f32 v31, s4, s9, v30, s9
	s_delay_alu instid0(VALU_DEP_1) | instskip(NEXT) | instid1(VALU_DEP_1)
	v_mul_f32_e32 v34, v31, v29
	v_fma_f32 v36, -v10, v34, v31
	s_delay_alu instid0(VALU_DEP_1) | instskip(SKIP_1) | instid1(VALU_DEP_2)
	v_fmac_f32_e32 v34, v36, v29
	v_mul_f32_e32 v32, v33, v11
	v_fma_f32 v10, -v10, v34, v31
	s_delay_alu instid0(VALU_DEP_2) | instskip(NEXT) | instid1(VALU_DEP_1)
	v_fma_f32 v35, -v0, v32, v33
	v_fmac_f32_e32 v32, v35, v11
	s_delay_alu instid0(VALU_DEP_1) | instskip(NEXT) | instid1(VALU_DEP_1)
	v_fma_f32 v0, -v0, v32, v33
	v_div_fmas_f32 v0, v0, v11, v32
	s_mov_b32 vcc_lo, s4
	v_div_fmas_f32 v11, v10, v29, v34
	s_delay_alu instid0(VALU_DEP_2) | instskip(NEXT) | instid1(VALU_DEP_2)
	v_div_fixup_f32 v10, v0, v28, s8
	v_div_fixup_f32 v11, v11, v30, s9
.LBB249_326:                            ;   in Loop: Header=BB249_217 Depth=1
	s_or_b32 exec_lo, exec_lo, s6
                                        ; implicit-def: $vgpr0
                                        ; implicit-def: $vgpr29
.LBB249_327:                            ;   in Loop: Header=BB249_217 Depth=1
	s_and_not1_saveexec_b32 s4, s5
	s_cbranch_execz .LBB249_329
; %bb.328:                              ;   in Loop: Header=BB249_217 Depth=1
	v_div_scale_f32 v10, null, v0, v0, v29
	v_div_scale_f32 v30, vcc_lo, v29, v0, v29
	s_delay_alu instid0(VALU_DEP_2) | instskip(SKIP_2) | instid1(VALU_DEP_1)
	v_rcp_f32_e32 v11, v10
	s_waitcnt_depctr 0xfff
	v_fma_f32 v28, -v10, v11, 1.0
	v_fmac_f32_e32 v11, v28, v11
	s_delay_alu instid0(VALU_DEP_1) | instskip(NEXT) | instid1(VALU_DEP_1)
	v_mul_f32_e32 v28, v30, v11
	v_fma_f32 v31, -v10, v28, v30
	s_delay_alu instid0(VALU_DEP_1) | instskip(NEXT) | instid1(VALU_DEP_1)
	v_fmac_f32_e32 v28, v31, v11
	v_fma_f32 v10, -v10, v28, v30
	s_delay_alu instid0(VALU_DEP_1) | instskip(NEXT) | instid1(VALU_DEP_1)
	v_div_fmas_f32 v10, v10, v11, v28
	v_div_fixup_f32 v10, v10, v0, v29
	s_delay_alu instid0(VALU_DEP_1) | instskip(NEXT) | instid1(VALU_DEP_1)
	v_fmac_f32_e32 v0, v29, v10
	v_div_scale_f32 v11, null, v0, v0, 1.0
	v_div_scale_f32 v30, vcc_lo, 1.0, v0, 1.0
	s_delay_alu instid0(VALU_DEP_2) | instskip(SKIP_2) | instid1(VALU_DEP_1)
	v_rcp_f32_e32 v28, v11
	s_waitcnt_depctr 0xfff
	v_fma_f32 v29, -v11, v28, 1.0
	v_fmac_f32_e32 v28, v29, v28
	s_delay_alu instid0(VALU_DEP_1) | instskip(NEXT) | instid1(VALU_DEP_1)
	v_mul_f32_e32 v29, v30, v28
	v_fma_f32 v31, -v11, v29, v30
	s_delay_alu instid0(VALU_DEP_1) | instskip(NEXT) | instid1(VALU_DEP_1)
	v_fmac_f32_e32 v29, v31, v28
	v_fma_f32 v11, -v11, v29, v30
	s_delay_alu instid0(VALU_DEP_1) | instskip(SKIP_1) | instid1(VALU_DEP_2)
	v_div_fmas_f32 v11, v11, v28, v29
	v_fma_f32 v28, v10, s8, s9
	v_div_fixup_f32 v0, v11, v0, 1.0
	v_fma_f32 v11, v10, s9, -s8
	s_delay_alu instid0(VALU_DEP_2) | instskip(NEXT) | instid1(VALU_DEP_2)
	v_mul_f32_e32 v10, v28, v0
	v_mul_f32_e32 v11, v11, v0
.LBB249_329:                            ;   in Loop: Header=BB249_217 Depth=1
	s_or_b32 exec_lo, exec_lo, s4
	v_and_b32_e32 v29, 0x7fffffff, v9
	v_xor_b32_e32 v28, 0x80000000, v9
                                        ; implicit-def: $vgpr0
	s_mov_b32 s4, exec_lo
	s_delay_alu instid0(VALU_DEP_2)
	v_cmpx_ne_u32_e32 0, v29
	s_xor_b32 s15, exec_lo, s4
	s_cbranch_execz .LBB249_371
; %bb.330:                              ;   in Loop: Header=BB249_217 Depth=1
	v_and_b32_e32 v31, 0x7fffffff, v8
                                        ; implicit-def: $vgpr0
	s_mov_b32 s4, exec_lo
	s_delay_alu instid0(VALU_DEP_1)
	v_cmpx_ne_u32_e32 0, v31
	s_xor_b32 s27, exec_lo, s4
	s_cbranch_execz .LBB249_360
; %bb.331:                              ;   in Loop: Header=BB249_217 Depth=1
	v_xor_b32_e32 v30, 0x80000000, v8
                                        ; implicit-def: $vgpr0
	s_mov_b32 s4, exec_lo
	v_cmpx_gt_u32_e32 0x7f800000, v29
	s_xor_b32 s28, exec_lo, s4
	s_cbranch_execz .LBB249_353
; %bb.332:                              ;   in Loop: Header=BB249_217 Depth=1
	v_add_nc_u32_e32 v0, 0xbd4e8de8, v30
	s_delay_alu instid0(VALU_DEP_1) | instskip(SKIP_1) | instid1(SALU_CYCLE_1)
	v_cmp_lt_u32_e32 vcc_lo, 0x8e8e5c, v0
                                        ; implicit-def: $vgpr0
	s_and_saveexec_b32 s4, vcc_lo
	s_xor_b32 s29, exec_lo, s4
	s_cbranch_execz .LBB249_342
; %bb.333:                              ;   in Loop: Header=BB249_217 Depth=1
	v_cmp_ngt_f32_e64 s30, 0x48000000, |v9|
                                        ; implicit-def: $vgpr31
                                        ; implicit-def: $vgpr30
	s_delay_alu instid0(VALU_DEP_1) | instskip(NEXT) | instid1(SALU_CYCLE_1)
	s_and_saveexec_b32 s4, s30
	s_xor_b32 s31, exec_lo, s4
	s_cbranch_execz .LBB249_335
; %bb.334:                              ;   in Loop: Header=BB249_217 Depth=1
	v_lshrrev_b32_e32 v35, 23, v29
	v_and_or_b32 v38, v29, s7, 0x800000
	s_delay_alu instid0(VALU_DEP_2) | instskip(NEXT) | instid1(VALU_DEP_2)
	v_add_nc_u32_e32 v36, 0xffffff88, v35
	v_mad_u64_u32 v[30:31], null, 0xfe5163ab, v38, 0
	s_delay_alu instid0(VALU_DEP_2) | instskip(SKIP_1) | instid1(VALU_DEP_1)
	v_cmp_lt_u32_e32 vcc_lo, 63, v36
	v_cndmask_b32_e64 v37, 0, 0xffffffc0, vcc_lo
	v_dual_mov_b32 v0, v31 :: v_dual_add_nc_u32 v37, v37, v36
	s_delay_alu instid0(VALU_DEP_1) | instskip(NEXT) | instid1(VALU_DEP_2)
	v_mad_u64_u32 v[31:32], null, 0x3c439041, v38, v[0:1]
	v_cmp_lt_u32_e64 s4, 31, v37
	s_delay_alu instid0(VALU_DEP_1) | instskip(NEXT) | instid1(VALU_DEP_1)
	v_cndmask_b32_e64 v39, 0, 0xffffffe0, s4
	v_dual_mov_b32 v0, v32 :: v_dual_add_nc_u32 v39, v39, v37
	s_delay_alu instid0(VALU_DEP_1) | instskip(NEXT) | instid1(VALU_DEP_2)
	v_mad_u64_u32 v[32:33], null, 0xdb629599, v38, v[0:1]
	v_cmp_lt_u32_e64 s5, 31, v39
	s_delay_alu instid0(VALU_DEP_2) | instskip(NEXT) | instid1(VALU_DEP_3)
	v_mov_b32_e32 v0, v33
	v_cndmask_b32_e32 v30, v32, v30, vcc_lo
	s_delay_alu instid0(VALU_DEP_2) | instskip(NEXT) | instid1(VALU_DEP_1)
	v_mad_u64_u32 v[33:34], null, 0xf534ddc0, v38, v[0:1]
	v_dual_mov_b32 v0, v34 :: v_dual_cndmask_b32 v31, v33, v31
	s_delay_alu instid0(VALU_DEP_1) | instskip(NEXT) | instid1(VALU_DEP_2)
	v_mad_u64_u32 v[34:35], null, 0xfc2757d1, v38, v[0:1]
	v_cndmask_b32_e64 v30, v31, v30, s4
	s_delay_alu instid0(VALU_DEP_2) | instskip(NEXT) | instid1(VALU_DEP_1)
	v_mov_b32_e32 v0, v35
	v_mad_u64_u32 v[35:36], null, 0x4e441529, v38, v[0:1]
	s_delay_alu instid0(VALU_DEP_1) | instskip(NEXT) | instid1(VALU_DEP_1)
	v_mov_b32_e32 v0, v36
	v_mad_u64_u32 v[36:37], null, 0xa2f9836e, v38, v[0:1]
	v_cndmask_b32_e64 v0, 0, 0xffffffe0, s5
	s_delay_alu instid0(VALU_DEP_4) | instskip(NEXT) | instid1(VALU_DEP_2)
	v_cndmask_b32_e32 v38, v35, v33, vcc_lo
	v_add_nc_u32_e32 v0, v0, v39
	s_delay_alu instid0(VALU_DEP_4) | instskip(SKIP_1) | instid1(VALU_DEP_3)
	v_dual_cndmask_b32 v36, v36, v34 :: v_dual_cndmask_b32 v35, v37, v35
	v_cndmask_b32_e32 v34, v34, v32, vcc_lo
	v_sub_nc_u32_e32 v37, 32, v0
	s_delay_alu instid0(VALU_DEP_3) | instskip(NEXT) | instid1(VALU_DEP_4)
	v_cndmask_b32_e64 v33, v36, v38, s4
	v_cndmask_b32_e64 v35, v35, v36, s4
	s_delay_alu instid0(VALU_DEP_4) | instskip(SKIP_2) | instid1(VALU_DEP_4)
	v_cndmask_b32_e64 v36, v38, v34, s4
	v_cndmask_b32_e64 v34, v34, v31, s4
	v_cmp_eq_u32_e64 s6, 0, v0
	v_cndmask_b32_e64 v35, v35, v33, s5
	s_delay_alu instid0(VALU_DEP_4) | instskip(NEXT) | instid1(VALU_DEP_4)
	v_cndmask_b32_e64 v33, v33, v36, s5
	v_cndmask_b32_e64 v36, v36, v34, s5
	;; [unrolled: 1-line block ×3, first 2 shown]
	s_delay_alu instid0(VALU_DEP_3) | instskip(NEXT) | instid1(VALU_DEP_3)
	v_alignbit_b32 v38, v35, v33, v37
	v_alignbit_b32 v39, v33, v36, v37
	s_delay_alu instid0(VALU_DEP_3) | instskip(NEXT) | instid1(VALU_DEP_3)
	v_alignbit_b32 v37, v36, v30, v37
	v_cndmask_b32_e64 v0, v38, v35, s6
	s_delay_alu instid0(VALU_DEP_3) | instskip(NEXT) | instid1(VALU_DEP_3)
	v_cndmask_b32_e64 v32, v39, v33, s6
	v_cndmask_b32_e64 v36, v37, v36, s6
	s_delay_alu instid0(VALU_DEP_3) | instskip(NEXT) | instid1(VALU_DEP_3)
	v_bfe_u32 v33, v0, 29, 1
	v_alignbit_b32 v31, v0, v32, 30
	s_delay_alu instid0(VALU_DEP_3) | instskip(SKIP_1) | instid1(VALU_DEP_4)
	v_alignbit_b32 v32, v32, v36, 30
	v_alignbit_b32 v30, v36, v30, 30
	v_sub_nc_u32_e32 v35, 0, v33
	s_delay_alu instid0(VALU_DEP_1) | instskip(SKIP_3) | instid1(VALU_DEP_4)
	v_xor_b32_e32 v34, v31, v35
	v_cmp_ne_u32_e32 vcc_lo, v31, v35
	v_xor_b32_e32 v32, v32, v35
	v_xor_b32_e32 v30, v30, v35
	v_clz_i32_u32_e32 v38, v34
	s_delay_alu instid0(VALU_DEP_1) | instskip(NEXT) | instid1(VALU_DEP_1)
	v_add_nc_u32_e32 v37, 1, v38
	v_cndmask_b32_e32 v31, 33, v37, vcc_lo
	s_delay_alu instid0(VALU_DEP_1) | instskip(NEXT) | instid1(VALU_DEP_1)
	v_sub_nc_u32_e32 v36, 32, v31
	v_alignbit_b32 v34, v34, v32, v36
	v_alignbit_b32 v30, v32, v30, v36
	v_lshrrev_b32_e32 v32, 29, v0
	v_lshrrev_b32_e32 v0, 30, v0
	s_delay_alu instid0(VALU_DEP_3) | instskip(NEXT) | instid1(VALU_DEP_3)
	v_alignbit_b32 v35, v34, v30, 9
	v_lshlrev_b32_e32 v32, 31, v32
	v_alignbit_b32 v34, v31, v34, 9
	s_delay_alu instid0(VALU_DEP_3) | instskip(NEXT) | instid1(VALU_DEP_2)
	v_clz_i32_u32_e32 v36, v35
	v_or_b32_e32 v34, v34, v32
	v_or_b32_e32 v32, 0x33800000, v32
	s_delay_alu instid0(VALU_DEP_3) | instskip(NEXT) | instid1(VALU_DEP_3)
	v_min_u32_e32 v36, 32, v36
	v_xor_b32_e32 v34, 1.0, v34
	s_delay_alu instid0(VALU_DEP_2) | instskip(SKIP_1) | instid1(VALU_DEP_3)
	v_sub_nc_u32_e32 v37, 31, v36
	v_add_lshl_u32 v31, v36, v31, 23
	v_mul_f32_e32 v36, 0x3fc90fda, v34
	s_delay_alu instid0(VALU_DEP_3) | instskip(NEXT) | instid1(VALU_DEP_3)
	v_alignbit_b32 v30, v35, v30, v37
	v_sub_nc_u32_e32 v31, v32, v31
	s_delay_alu instid0(VALU_DEP_3) | instskip(NEXT) | instid1(VALU_DEP_3)
	v_fma_f32 v32, 0x3fc90fda, v34, -v36
	v_lshrrev_b32_e32 v30, 9, v30
	s_delay_alu instid0(VALU_DEP_2) | instskip(NEXT) | instid1(VALU_DEP_2)
	v_fmac_f32_e32 v32, 0x33a22168, v34
	v_or_b32_e32 v30, v31, v30
	s_delay_alu instid0(VALU_DEP_1) | instskip(NEXT) | instid1(VALU_DEP_1)
	v_dual_fmac_f32 v32, 0x3fc90fda, v30 :: v_dual_add_nc_u32 v31, v33, v0
	v_add_f32_e32 v30, v36, v32
	s_and_not1_saveexec_b32 s4, s31
	s_branch .LBB249_336
.LBB249_335:                            ;   in Loop: Header=BB249_217 Depth=1
	s_and_not1_saveexec_b32 s4, s31
.LBB249_336:                            ;   in Loop: Header=BB249_217 Depth=1
	v_mul_f32_e64 v0, 0x3f22f983, |v9|
	s_delay_alu instid0(VALU_DEP_1) | instskip(NEXT) | instid1(VALU_DEP_1)
	v_rndne_f32_e32 v0, v0
	v_fma_f32 v30, 0xbfc90fda, v0, |v9|
	v_cvt_i32_f32_e32 v31, v0
	s_delay_alu instid0(VALU_DEP_2) | instskip(NEXT) | instid1(VALU_DEP_1)
	v_fmac_f32_e32 v30, 0xb3a22168, v0
	v_fmac_f32_e32 v30, 0xa7c234c4, v0
; %bb.337:                              ;   in Loop: Header=BB249_217 Depth=1
	s_or_b32 exec_lo, exec_lo, s4
                                        ; implicit-def: $vgpr32
                                        ; implicit-def: $vgpr0
	s_and_saveexec_b32 s4, s30
	s_delay_alu instid0(SALU_CYCLE_1)
	s_xor_b32 s30, exec_lo, s4
	s_cbranch_execz .LBB249_339
; %bb.338:                              ;   in Loop: Header=BB249_217 Depth=1
	v_lshrrev_b32_e32 v37, 23, v29
	v_and_or_b32 v40, v29, s7, 0x800000
	s_delay_alu instid0(VALU_DEP_2) | instskip(NEXT) | instid1(VALU_DEP_2)
	v_add_nc_u32_e32 v38, 0xffffff88, v37
	v_mad_u64_u32 v[32:33], null, 0xfe5163ab, v40, 0
	s_delay_alu instid0(VALU_DEP_2) | instskip(SKIP_1) | instid1(VALU_DEP_1)
	v_cmp_lt_u32_e32 vcc_lo, 63, v38
	v_cndmask_b32_e64 v39, 0, 0xffffffc0, vcc_lo
	v_dual_mov_b32 v0, v33 :: v_dual_add_nc_u32 v39, v39, v38
	s_delay_alu instid0(VALU_DEP_1) | instskip(NEXT) | instid1(VALU_DEP_2)
	v_mad_u64_u32 v[33:34], null, 0x3c439041, v40, v[0:1]
	v_cmp_lt_u32_e64 s4, 31, v39
	s_delay_alu instid0(VALU_DEP_1) | instskip(NEXT) | instid1(VALU_DEP_1)
	v_cndmask_b32_e64 v41, 0, 0xffffffe0, s4
	v_dual_mov_b32 v0, v34 :: v_dual_add_nc_u32 v41, v41, v39
	s_delay_alu instid0(VALU_DEP_1) | instskip(NEXT) | instid1(VALU_DEP_2)
	v_mad_u64_u32 v[34:35], null, 0xdb629599, v40, v[0:1]
	v_cmp_lt_u32_e64 s5, 31, v41
	s_delay_alu instid0(VALU_DEP_2) | instskip(NEXT) | instid1(VALU_DEP_3)
	v_mov_b32_e32 v0, v35
	v_cndmask_b32_e32 v32, v34, v32, vcc_lo
	s_delay_alu instid0(VALU_DEP_2) | instskip(NEXT) | instid1(VALU_DEP_1)
	v_mad_u64_u32 v[35:36], null, 0xf534ddc0, v40, v[0:1]
	v_dual_mov_b32 v0, v36 :: v_dual_cndmask_b32 v33, v35, v33
	s_delay_alu instid0(VALU_DEP_1) | instskip(NEXT) | instid1(VALU_DEP_2)
	v_mad_u64_u32 v[36:37], null, 0xfc2757d1, v40, v[0:1]
	v_cndmask_b32_e64 v32, v33, v32, s4
	s_delay_alu instid0(VALU_DEP_2) | instskip(NEXT) | instid1(VALU_DEP_1)
	v_mov_b32_e32 v0, v37
	v_mad_u64_u32 v[37:38], null, 0x4e441529, v40, v[0:1]
	s_delay_alu instid0(VALU_DEP_1) | instskip(NEXT) | instid1(VALU_DEP_1)
	v_mov_b32_e32 v0, v38
	v_mad_u64_u32 v[38:39], null, 0xa2f9836e, v40, v[0:1]
	v_cndmask_b32_e64 v0, 0, 0xffffffe0, s5
	s_delay_alu instid0(VALU_DEP_4) | instskip(NEXT) | instid1(VALU_DEP_2)
	v_cndmask_b32_e32 v40, v37, v35, vcc_lo
	v_add_nc_u32_e32 v0, v0, v41
	s_delay_alu instid0(VALU_DEP_4) | instskip(SKIP_1) | instid1(VALU_DEP_3)
	v_dual_cndmask_b32 v38, v38, v36 :: v_dual_cndmask_b32 v37, v39, v37
	v_cndmask_b32_e32 v36, v36, v34, vcc_lo
	v_sub_nc_u32_e32 v39, 32, v0
	s_delay_alu instid0(VALU_DEP_3) | instskip(NEXT) | instid1(VALU_DEP_4)
	v_cndmask_b32_e64 v35, v38, v40, s4
	v_cndmask_b32_e64 v37, v37, v38, s4
	s_delay_alu instid0(VALU_DEP_4) | instskip(SKIP_2) | instid1(VALU_DEP_4)
	v_cndmask_b32_e64 v38, v40, v36, s4
	v_cndmask_b32_e64 v36, v36, v33, s4
	v_cmp_eq_u32_e64 s6, 0, v0
	v_cndmask_b32_e64 v37, v37, v35, s5
	s_delay_alu instid0(VALU_DEP_4) | instskip(NEXT) | instid1(VALU_DEP_4)
	v_cndmask_b32_e64 v35, v35, v38, s5
	v_cndmask_b32_e64 v38, v38, v36, s5
	;; [unrolled: 1-line block ×3, first 2 shown]
	s_delay_alu instid0(VALU_DEP_3) | instskip(NEXT) | instid1(VALU_DEP_3)
	v_alignbit_b32 v40, v37, v35, v39
	v_alignbit_b32 v41, v35, v38, v39
	s_delay_alu instid0(VALU_DEP_3) | instskip(NEXT) | instid1(VALU_DEP_3)
	v_alignbit_b32 v39, v38, v32, v39
	v_cndmask_b32_e64 v0, v40, v37, s6
	s_delay_alu instid0(VALU_DEP_3) | instskip(NEXT) | instid1(VALU_DEP_3)
	v_cndmask_b32_e64 v34, v41, v35, s6
	v_cndmask_b32_e64 v38, v39, v38, s6
	s_delay_alu instid0(VALU_DEP_3) | instskip(NEXT) | instid1(VALU_DEP_3)
	v_bfe_u32 v35, v0, 29, 1
	v_alignbit_b32 v33, v0, v34, 30
	s_delay_alu instid0(VALU_DEP_3) | instskip(SKIP_1) | instid1(VALU_DEP_4)
	v_alignbit_b32 v34, v34, v38, 30
	v_alignbit_b32 v32, v38, v32, 30
	v_sub_nc_u32_e32 v37, 0, v35
	s_delay_alu instid0(VALU_DEP_1) | instskip(SKIP_3) | instid1(VALU_DEP_4)
	v_xor_b32_e32 v36, v33, v37
	v_cmp_ne_u32_e32 vcc_lo, v33, v37
	v_xor_b32_e32 v34, v34, v37
	v_xor_b32_e32 v32, v32, v37
	v_clz_i32_u32_e32 v40, v36
	s_delay_alu instid0(VALU_DEP_1) | instskip(NEXT) | instid1(VALU_DEP_1)
	v_add_nc_u32_e32 v39, 1, v40
	v_cndmask_b32_e32 v33, 33, v39, vcc_lo
	s_delay_alu instid0(VALU_DEP_1) | instskip(NEXT) | instid1(VALU_DEP_1)
	v_sub_nc_u32_e32 v38, 32, v33
	v_alignbit_b32 v36, v36, v34, v38
	v_alignbit_b32 v32, v34, v32, v38
	v_lshrrev_b32_e32 v34, 29, v0
	s_delay_alu instid0(VALU_DEP_2) | instskip(NEXT) | instid1(VALU_DEP_2)
	v_alignbit_b32 v37, v36, v32, 9
	v_lshlrev_b32_e32 v34, 31, v34
	v_alignbit_b32 v36, v33, v36, 9
	s_delay_alu instid0(VALU_DEP_3) | instskip(NEXT) | instid1(VALU_DEP_2)
	v_clz_i32_u32_e32 v38, v37
	v_or_b32_e32 v36, v36, v34
	v_or_b32_e32 v34, 0x33800000, v34
	s_delay_alu instid0(VALU_DEP_3) | instskip(NEXT) | instid1(VALU_DEP_3)
	v_min_u32_e32 v38, 32, v38
	v_xor_b32_e32 v36, 1.0, v36
	s_delay_alu instid0(VALU_DEP_2) | instskip(SKIP_1) | instid1(VALU_DEP_3)
	v_sub_nc_u32_e32 v39, 31, v38
	v_add_lshl_u32 v33, v38, v33, 23
	v_mul_f32_e32 v38, 0x3fc90fda, v36
	s_delay_alu instid0(VALU_DEP_3) | instskip(NEXT) | instid1(VALU_DEP_3)
	v_alignbit_b32 v32, v37, v32, v39
	v_sub_nc_u32_e32 v33, v34, v33
	s_delay_alu instid0(VALU_DEP_3) | instskip(NEXT) | instid1(VALU_DEP_3)
	v_fma_f32 v34, 0x3fc90fda, v36, -v38
	v_lshrrev_b32_e32 v32, 9, v32
	s_delay_alu instid0(VALU_DEP_2) | instskip(NEXT) | instid1(VALU_DEP_2)
	v_fmac_f32_e32 v34, 0x33a22168, v36
	v_or_b32_e32 v32, v33, v32
	s_delay_alu instid0(VALU_DEP_1) | instskip(SKIP_1) | instid1(VALU_DEP_2)
	v_fmac_f32_e32 v34, 0x3fc90fda, v32
	v_lshrrev_b32_e32 v32, 30, v0
	v_add_f32_e32 v0, v38, v34
	s_delay_alu instid0(VALU_DEP_2)
	v_add_nc_u32_e32 v32, v35, v32
	s_and_not1_saveexec_b32 s4, s30
	s_cbranch_execnz .LBB249_340
	s_branch .LBB249_341
.LBB249_339:                            ;   in Loop: Header=BB249_217 Depth=1
	s_and_not1_saveexec_b32 s4, s30
.LBB249_340:                            ;   in Loop: Header=BB249_217 Depth=1
	v_mul_f32_e64 v0, 0x3f22f983, |v9|
	s_delay_alu instid0(VALU_DEP_1) | instskip(NEXT) | instid1(VALU_DEP_1)
	v_rndne_f32_e32 v32, v0
	v_fma_f32 v0, 0xbfc90fda, v32, |v9|
	s_delay_alu instid0(VALU_DEP_1) | instskip(NEXT) | instid1(VALU_DEP_1)
	v_fmac_f32_e32 v0, 0xb3a22168, v32
	v_fmac_f32_e32 v0, 0xa7c234c4, v32
	v_cvt_i32_f32_e32 v32, v32
.LBB249_341:                            ;   in Loop: Header=BB249_217 Depth=1
	s_or_b32 exec_lo, exec_lo, s4
	v_dual_mul_f32 v33, 0xbfb8aa3b, v8 :: v_dual_mul_f32 v34, v30, v30
	s_delay_alu instid0(VALU_DEP_3) | instskip(SKIP_1) | instid1(VALU_DEP_3)
	v_dual_mul_f32 v38, v0, v0 :: v_dual_and_b32 v35, 1, v31
	v_lshlrev_b32_e32 v31, 30, v31
	v_rndne_f32_e32 v36, v33
	s_delay_alu instid0(VALU_DEP_4) | instskip(SKIP_4) | instid1(VALU_DEP_4)
	v_fmaak_f32 v40, s24, v34, 0x3c0881c4
	v_fma_f32 v37, 0xbfb8aa3b, v8, -v33
	v_dual_fmaak_f32 v42, s24, v38, 0x3c0881c4 :: v_dual_and_b32 v39, 1, v32
	v_dual_fmaak_f32 v41, s25, v34, 0xbab64f3b :: v_dual_lshlrev_b32 v32, 30, v32
	v_sub_f32_e32 v33, v33, v36
	v_fmac_f32_e32 v37, 0xb2a5705f, v8
	v_cmp_eq_u32_e32 vcc_lo, 0, v35
	v_cvt_i32_f32_e32 v36, v36
	v_and_or_b32 v29, 0x80000000, v32, v29
	v_cmp_ngt_f32_e64 s4, 0xc2b17218, v8
	v_add_f32_e32 v33, v33, v37
	v_fmaak_f32 v37, v34, v40, 0xbe2aaa9d
	v_fmaak_f32 v40, v34, v41, 0x3d2aabf7
	s_delay_alu instid0(VALU_DEP_2) | instskip(NEXT) | instid1(VALU_DEP_2)
	v_mul_f32_e32 v37, v34, v37
	v_fmaak_f32 v40, v34, v40, 0xbf000004
	s_delay_alu instid0(VALU_DEP_2) | instskip(NEXT) | instid1(VALU_DEP_2)
	v_dual_fmaak_f32 v43, s25, v38, 0xbab64f3b :: v_dual_fmac_f32 v30, v30, v37
	v_fma_f32 v34, v34, v40, 1.0
	s_delay_alu instid0(VALU_DEP_1) | instskip(SKIP_4) | instid1(VALU_DEP_2)
	v_cndmask_b32_e64 v30, -v30, v34, vcc_lo
	v_cmp_eq_u32_e32 vcc_lo, 0, v39
	v_fmaak_f32 v41, v38, v42, 0xbe2aaa9d
	v_fmaak_f32 v42, v38, v43, 0x3d2aabf7
	v_exp_f32_e32 v33, v33
	v_mul_f32_e32 v41, v38, v41
	s_delay_alu instid0(VALU_DEP_2) | instskip(NEXT) | instid1(VALU_DEP_2)
	v_fmaak_f32 v42, v38, v42, 0xbf000004
	v_fmac_f32_e32 v0, v0, v41
	s_delay_alu instid0(VALU_DEP_2) | instskip(SKIP_4) | instid1(VALU_DEP_2)
	v_fma_f32 v37, v38, v42, 1.0
	s_waitcnt_depctr 0xfff
	v_ldexp_f32 v33, v33, v36
	v_cndmask_b32_e32 v0, v37, v0, vcc_lo
	v_cmp_nlt_f32_e32 vcc_lo, 0x42ce8ed0, v8
	v_xor3_b32 v0, v29, v0, v28
	s_delay_alu instid0(VALU_DEP_4) | instskip(SKIP_1) | instid1(VALU_DEP_2)
	v_cndmask_b32_e32 v32, 0, v33, vcc_lo
	v_cmp_class_f32_e64 vcc_lo, v9, 0x1f8
                                        ; implicit-def: $vgpr29
	v_cndmask_b32_e64 v8, 0x7f800000, v32, s4
	v_and_b32_e32 v31, 0x80000000, v31
	v_cndmask_b32_e32 v28, 0x7fc00000, v0, vcc_lo
	s_delay_alu instid0(VALU_DEP_2) | instskip(NEXT) | instid1(VALU_DEP_1)
	v_xor_b32_e32 v30, v31, v30
	v_dual_mul_f32 v28, v8, v28 :: v_dual_cndmask_b32 v9, 0x7fc00000, v30
	s_delay_alu instid0(VALU_DEP_1)
	v_mul_f32_e32 v0, v8, v9
                                        ; implicit-def: $vgpr9
.LBB249_342:                            ;   in Loop: Header=BB249_217 Depth=1
	s_and_not1_saveexec_b32 s29, s29
	s_cbranch_execz .LBB249_352
; %bb.343:                              ;   in Loop: Header=BB249_217 Depth=1
	v_cmp_ngt_f32_e64 s30, 0x48000000, |v9|
                                        ; implicit-def: $vgpr31
                                        ; implicit-def: $vgpr30
	s_delay_alu instid0(VALU_DEP_1) | instskip(NEXT) | instid1(SALU_CYCLE_1)
	s_and_saveexec_b32 s4, s30
	s_xor_b32 s31, exec_lo, s4
	s_cbranch_execz .LBB249_345
; %bb.344:                              ;   in Loop: Header=BB249_217 Depth=1
	v_lshrrev_b32_e32 v35, 23, v29
	v_and_or_b32 v38, v29, s7, 0x800000
	s_delay_alu instid0(VALU_DEP_2) | instskip(NEXT) | instid1(VALU_DEP_2)
	v_add_nc_u32_e32 v36, 0xffffff88, v35
	v_mad_u64_u32 v[30:31], null, 0xfe5163ab, v38, 0
	s_delay_alu instid0(VALU_DEP_2) | instskip(SKIP_1) | instid1(VALU_DEP_1)
	v_cmp_lt_u32_e32 vcc_lo, 63, v36
	v_cndmask_b32_e64 v37, 0, 0xffffffc0, vcc_lo
	v_dual_mov_b32 v0, v31 :: v_dual_add_nc_u32 v37, v37, v36
	s_delay_alu instid0(VALU_DEP_1) | instskip(NEXT) | instid1(VALU_DEP_2)
	v_mad_u64_u32 v[31:32], null, 0x3c439041, v38, v[0:1]
	v_cmp_lt_u32_e64 s4, 31, v37
	s_delay_alu instid0(VALU_DEP_1) | instskip(NEXT) | instid1(VALU_DEP_1)
	v_cndmask_b32_e64 v39, 0, 0xffffffe0, s4
	v_dual_mov_b32 v0, v32 :: v_dual_add_nc_u32 v39, v39, v37
	s_delay_alu instid0(VALU_DEP_1) | instskip(NEXT) | instid1(VALU_DEP_2)
	v_mad_u64_u32 v[32:33], null, 0xdb629599, v38, v[0:1]
	v_cmp_lt_u32_e64 s5, 31, v39
	s_delay_alu instid0(VALU_DEP_2) | instskip(NEXT) | instid1(VALU_DEP_3)
	v_mov_b32_e32 v0, v33
	v_cndmask_b32_e32 v30, v32, v30, vcc_lo
	s_delay_alu instid0(VALU_DEP_2) | instskip(NEXT) | instid1(VALU_DEP_1)
	v_mad_u64_u32 v[33:34], null, 0xf534ddc0, v38, v[0:1]
	v_dual_mov_b32 v0, v34 :: v_dual_cndmask_b32 v31, v33, v31
	s_delay_alu instid0(VALU_DEP_1) | instskip(NEXT) | instid1(VALU_DEP_2)
	v_mad_u64_u32 v[34:35], null, 0xfc2757d1, v38, v[0:1]
	v_cndmask_b32_e64 v30, v31, v30, s4
	s_delay_alu instid0(VALU_DEP_2) | instskip(NEXT) | instid1(VALU_DEP_1)
	v_mov_b32_e32 v0, v35
	v_mad_u64_u32 v[35:36], null, 0x4e441529, v38, v[0:1]
	s_delay_alu instid0(VALU_DEP_1) | instskip(NEXT) | instid1(VALU_DEP_1)
	v_mov_b32_e32 v0, v36
	v_mad_u64_u32 v[36:37], null, 0xa2f9836e, v38, v[0:1]
	v_cndmask_b32_e64 v0, 0, 0xffffffe0, s5
	s_delay_alu instid0(VALU_DEP_4) | instskip(NEXT) | instid1(VALU_DEP_2)
	v_cndmask_b32_e32 v38, v35, v33, vcc_lo
	v_add_nc_u32_e32 v0, v0, v39
	s_delay_alu instid0(VALU_DEP_4) | instskip(SKIP_1) | instid1(VALU_DEP_3)
	v_dual_cndmask_b32 v36, v36, v34 :: v_dual_cndmask_b32 v35, v37, v35
	v_cndmask_b32_e32 v34, v34, v32, vcc_lo
	v_sub_nc_u32_e32 v37, 32, v0
	s_delay_alu instid0(VALU_DEP_3) | instskip(NEXT) | instid1(VALU_DEP_4)
	v_cndmask_b32_e64 v33, v36, v38, s4
	v_cndmask_b32_e64 v35, v35, v36, s4
	s_delay_alu instid0(VALU_DEP_4) | instskip(SKIP_2) | instid1(VALU_DEP_4)
	v_cndmask_b32_e64 v36, v38, v34, s4
	v_cndmask_b32_e64 v34, v34, v31, s4
	v_cmp_eq_u32_e64 s6, 0, v0
	v_cndmask_b32_e64 v35, v35, v33, s5
	s_delay_alu instid0(VALU_DEP_4) | instskip(NEXT) | instid1(VALU_DEP_4)
	v_cndmask_b32_e64 v33, v33, v36, s5
	v_cndmask_b32_e64 v36, v36, v34, s5
	;; [unrolled: 1-line block ×3, first 2 shown]
	s_delay_alu instid0(VALU_DEP_3) | instskip(NEXT) | instid1(VALU_DEP_3)
	v_alignbit_b32 v38, v35, v33, v37
	v_alignbit_b32 v39, v33, v36, v37
	s_delay_alu instid0(VALU_DEP_3) | instskip(NEXT) | instid1(VALU_DEP_3)
	v_alignbit_b32 v37, v36, v30, v37
	v_cndmask_b32_e64 v0, v38, v35, s6
	s_delay_alu instid0(VALU_DEP_3) | instskip(NEXT) | instid1(VALU_DEP_3)
	v_cndmask_b32_e64 v32, v39, v33, s6
	v_cndmask_b32_e64 v36, v37, v36, s6
	s_delay_alu instid0(VALU_DEP_3) | instskip(NEXT) | instid1(VALU_DEP_3)
	v_bfe_u32 v33, v0, 29, 1
	v_alignbit_b32 v31, v0, v32, 30
	s_delay_alu instid0(VALU_DEP_3) | instskip(SKIP_1) | instid1(VALU_DEP_4)
	v_alignbit_b32 v32, v32, v36, 30
	v_alignbit_b32 v30, v36, v30, 30
	v_sub_nc_u32_e32 v35, 0, v33
	s_delay_alu instid0(VALU_DEP_1) | instskip(SKIP_3) | instid1(VALU_DEP_4)
	v_xor_b32_e32 v34, v31, v35
	v_cmp_ne_u32_e32 vcc_lo, v31, v35
	v_xor_b32_e32 v32, v32, v35
	v_xor_b32_e32 v30, v30, v35
	v_clz_i32_u32_e32 v38, v34
	s_delay_alu instid0(VALU_DEP_1) | instskip(NEXT) | instid1(VALU_DEP_1)
	v_add_nc_u32_e32 v37, 1, v38
	v_cndmask_b32_e32 v31, 33, v37, vcc_lo
	s_delay_alu instid0(VALU_DEP_1) | instskip(NEXT) | instid1(VALU_DEP_1)
	v_sub_nc_u32_e32 v36, 32, v31
	v_alignbit_b32 v34, v34, v32, v36
	v_alignbit_b32 v30, v32, v30, v36
	v_lshrrev_b32_e32 v32, 29, v0
	v_lshrrev_b32_e32 v0, 30, v0
	s_delay_alu instid0(VALU_DEP_3) | instskip(NEXT) | instid1(VALU_DEP_3)
	v_alignbit_b32 v35, v34, v30, 9
	v_lshlrev_b32_e32 v32, 31, v32
	v_alignbit_b32 v34, v31, v34, 9
	s_delay_alu instid0(VALU_DEP_3) | instskip(NEXT) | instid1(VALU_DEP_2)
	v_clz_i32_u32_e32 v36, v35
	v_or_b32_e32 v34, v34, v32
	v_or_b32_e32 v32, 0x33800000, v32
	s_delay_alu instid0(VALU_DEP_3) | instskip(NEXT) | instid1(VALU_DEP_3)
	v_min_u32_e32 v36, 32, v36
	v_xor_b32_e32 v34, 1.0, v34
	s_delay_alu instid0(VALU_DEP_2) | instskip(SKIP_1) | instid1(VALU_DEP_3)
	v_sub_nc_u32_e32 v37, 31, v36
	v_add_lshl_u32 v31, v36, v31, 23
	v_mul_f32_e32 v36, 0x3fc90fda, v34
	s_delay_alu instid0(VALU_DEP_3) | instskip(NEXT) | instid1(VALU_DEP_3)
	v_alignbit_b32 v30, v35, v30, v37
	v_sub_nc_u32_e32 v31, v32, v31
	s_delay_alu instid0(VALU_DEP_3) | instskip(NEXT) | instid1(VALU_DEP_3)
	v_fma_f32 v32, 0x3fc90fda, v34, -v36
	v_lshrrev_b32_e32 v30, 9, v30
	s_delay_alu instid0(VALU_DEP_2) | instskip(NEXT) | instid1(VALU_DEP_2)
	v_fmac_f32_e32 v32, 0x33a22168, v34
	v_or_b32_e32 v30, v31, v30
	s_delay_alu instid0(VALU_DEP_1) | instskip(NEXT) | instid1(VALU_DEP_1)
	v_dual_fmac_f32 v32, 0x3fc90fda, v30 :: v_dual_add_nc_u32 v31, v33, v0
	v_add_f32_e32 v30, v36, v32
	s_and_not1_saveexec_b32 s4, s31
	s_branch .LBB249_346
.LBB249_345:                            ;   in Loop: Header=BB249_217 Depth=1
	s_and_not1_saveexec_b32 s4, s31
.LBB249_346:                            ;   in Loop: Header=BB249_217 Depth=1
	v_mul_f32_e64 v0, 0x3f22f983, |v9|
	s_delay_alu instid0(VALU_DEP_1) | instskip(NEXT) | instid1(VALU_DEP_1)
	v_rndne_f32_e32 v0, v0
	v_fma_f32 v30, 0xbfc90fda, v0, |v9|
	v_cvt_i32_f32_e32 v31, v0
	s_delay_alu instid0(VALU_DEP_2) | instskip(NEXT) | instid1(VALU_DEP_1)
	v_fmac_f32_e32 v30, 0xb3a22168, v0
	v_fmac_f32_e32 v30, 0xa7c234c4, v0
; %bb.347:                              ;   in Loop: Header=BB249_217 Depth=1
	s_or_b32 exec_lo, exec_lo, s4
                                        ; implicit-def: $vgpr32
                                        ; implicit-def: $vgpr0
	s_and_saveexec_b32 s4, s30
	s_delay_alu instid0(SALU_CYCLE_1)
	s_xor_b32 s30, exec_lo, s4
	s_cbranch_execz .LBB249_349
; %bb.348:                              ;   in Loop: Header=BB249_217 Depth=1
	v_lshrrev_b32_e32 v37, 23, v29
	v_and_or_b32 v40, v29, s7, 0x800000
	s_delay_alu instid0(VALU_DEP_2) | instskip(NEXT) | instid1(VALU_DEP_2)
	v_add_nc_u32_e32 v38, 0xffffff88, v37
	v_mad_u64_u32 v[32:33], null, 0xfe5163ab, v40, 0
	s_delay_alu instid0(VALU_DEP_2) | instskip(SKIP_1) | instid1(VALU_DEP_1)
	v_cmp_lt_u32_e32 vcc_lo, 63, v38
	v_cndmask_b32_e64 v39, 0, 0xffffffc0, vcc_lo
	v_dual_mov_b32 v0, v33 :: v_dual_add_nc_u32 v39, v39, v38
	s_delay_alu instid0(VALU_DEP_1) | instskip(NEXT) | instid1(VALU_DEP_2)
	v_mad_u64_u32 v[33:34], null, 0x3c439041, v40, v[0:1]
	v_cmp_lt_u32_e64 s4, 31, v39
	s_delay_alu instid0(VALU_DEP_1) | instskip(NEXT) | instid1(VALU_DEP_1)
	v_cndmask_b32_e64 v41, 0, 0xffffffe0, s4
	v_dual_mov_b32 v0, v34 :: v_dual_add_nc_u32 v41, v41, v39
	s_delay_alu instid0(VALU_DEP_1) | instskip(NEXT) | instid1(VALU_DEP_2)
	v_mad_u64_u32 v[34:35], null, 0xdb629599, v40, v[0:1]
	v_cmp_lt_u32_e64 s5, 31, v41
	s_delay_alu instid0(VALU_DEP_2) | instskip(NEXT) | instid1(VALU_DEP_3)
	v_mov_b32_e32 v0, v35
	v_cndmask_b32_e32 v32, v34, v32, vcc_lo
	s_delay_alu instid0(VALU_DEP_2) | instskip(NEXT) | instid1(VALU_DEP_1)
	v_mad_u64_u32 v[35:36], null, 0xf534ddc0, v40, v[0:1]
	v_dual_mov_b32 v0, v36 :: v_dual_cndmask_b32 v33, v35, v33
	s_delay_alu instid0(VALU_DEP_1) | instskip(NEXT) | instid1(VALU_DEP_2)
	v_mad_u64_u32 v[36:37], null, 0xfc2757d1, v40, v[0:1]
	v_cndmask_b32_e64 v32, v33, v32, s4
	s_delay_alu instid0(VALU_DEP_2) | instskip(NEXT) | instid1(VALU_DEP_1)
	v_mov_b32_e32 v0, v37
	v_mad_u64_u32 v[37:38], null, 0x4e441529, v40, v[0:1]
	s_delay_alu instid0(VALU_DEP_1) | instskip(NEXT) | instid1(VALU_DEP_1)
	v_mov_b32_e32 v0, v38
	v_mad_u64_u32 v[38:39], null, 0xa2f9836e, v40, v[0:1]
	v_cndmask_b32_e64 v0, 0, 0xffffffe0, s5
	s_delay_alu instid0(VALU_DEP_4) | instskip(NEXT) | instid1(VALU_DEP_2)
	v_cndmask_b32_e32 v40, v37, v35, vcc_lo
	v_add_nc_u32_e32 v0, v0, v41
	s_delay_alu instid0(VALU_DEP_4) | instskip(SKIP_1) | instid1(VALU_DEP_3)
	v_dual_cndmask_b32 v38, v38, v36 :: v_dual_cndmask_b32 v37, v39, v37
	v_cndmask_b32_e32 v36, v36, v34, vcc_lo
	v_sub_nc_u32_e32 v39, 32, v0
	s_delay_alu instid0(VALU_DEP_3) | instskip(NEXT) | instid1(VALU_DEP_4)
	v_cndmask_b32_e64 v35, v38, v40, s4
	v_cndmask_b32_e64 v37, v37, v38, s4
	s_delay_alu instid0(VALU_DEP_4) | instskip(SKIP_2) | instid1(VALU_DEP_4)
	v_cndmask_b32_e64 v38, v40, v36, s4
	v_cndmask_b32_e64 v36, v36, v33, s4
	v_cmp_eq_u32_e64 s6, 0, v0
	v_cndmask_b32_e64 v37, v37, v35, s5
	s_delay_alu instid0(VALU_DEP_4) | instskip(NEXT) | instid1(VALU_DEP_4)
	v_cndmask_b32_e64 v35, v35, v38, s5
	v_cndmask_b32_e64 v38, v38, v36, s5
	;; [unrolled: 1-line block ×3, first 2 shown]
	s_delay_alu instid0(VALU_DEP_3) | instskip(NEXT) | instid1(VALU_DEP_3)
	v_alignbit_b32 v40, v37, v35, v39
	v_alignbit_b32 v41, v35, v38, v39
	s_delay_alu instid0(VALU_DEP_3) | instskip(NEXT) | instid1(VALU_DEP_3)
	v_alignbit_b32 v39, v38, v32, v39
	v_cndmask_b32_e64 v0, v40, v37, s6
	s_delay_alu instid0(VALU_DEP_3) | instskip(NEXT) | instid1(VALU_DEP_3)
	v_cndmask_b32_e64 v34, v41, v35, s6
	v_cndmask_b32_e64 v38, v39, v38, s6
	s_delay_alu instid0(VALU_DEP_3) | instskip(NEXT) | instid1(VALU_DEP_3)
	v_bfe_u32 v35, v0, 29, 1
	v_alignbit_b32 v33, v0, v34, 30
	s_delay_alu instid0(VALU_DEP_3) | instskip(SKIP_1) | instid1(VALU_DEP_4)
	v_alignbit_b32 v34, v34, v38, 30
	v_alignbit_b32 v32, v38, v32, 30
	v_sub_nc_u32_e32 v37, 0, v35
	s_delay_alu instid0(VALU_DEP_1) | instskip(SKIP_3) | instid1(VALU_DEP_4)
	v_xor_b32_e32 v36, v33, v37
	v_cmp_ne_u32_e32 vcc_lo, v33, v37
	v_xor_b32_e32 v34, v34, v37
	v_xor_b32_e32 v32, v32, v37
	v_clz_i32_u32_e32 v40, v36
	s_delay_alu instid0(VALU_DEP_1) | instskip(NEXT) | instid1(VALU_DEP_1)
	v_add_nc_u32_e32 v39, 1, v40
	v_cndmask_b32_e32 v33, 33, v39, vcc_lo
	s_delay_alu instid0(VALU_DEP_1) | instskip(NEXT) | instid1(VALU_DEP_1)
	v_sub_nc_u32_e32 v38, 32, v33
	v_alignbit_b32 v36, v36, v34, v38
	v_alignbit_b32 v32, v34, v32, v38
	v_lshrrev_b32_e32 v34, 29, v0
	s_delay_alu instid0(VALU_DEP_2) | instskip(NEXT) | instid1(VALU_DEP_2)
	v_alignbit_b32 v37, v36, v32, 9
	v_lshlrev_b32_e32 v34, 31, v34
	v_alignbit_b32 v36, v33, v36, 9
	s_delay_alu instid0(VALU_DEP_3) | instskip(NEXT) | instid1(VALU_DEP_2)
	v_clz_i32_u32_e32 v38, v37
	v_or_b32_e32 v36, v36, v34
	v_or_b32_e32 v34, 0x33800000, v34
	s_delay_alu instid0(VALU_DEP_3) | instskip(NEXT) | instid1(VALU_DEP_3)
	v_min_u32_e32 v38, 32, v38
	v_xor_b32_e32 v36, 1.0, v36
	s_delay_alu instid0(VALU_DEP_2) | instskip(SKIP_1) | instid1(VALU_DEP_3)
	v_sub_nc_u32_e32 v39, 31, v38
	v_add_lshl_u32 v33, v38, v33, 23
	v_mul_f32_e32 v38, 0x3fc90fda, v36
	s_delay_alu instid0(VALU_DEP_3) | instskip(NEXT) | instid1(VALU_DEP_3)
	v_alignbit_b32 v32, v37, v32, v39
	v_sub_nc_u32_e32 v33, v34, v33
	s_delay_alu instid0(VALU_DEP_3) | instskip(NEXT) | instid1(VALU_DEP_3)
	v_fma_f32 v34, 0x3fc90fda, v36, -v38
	v_lshrrev_b32_e32 v32, 9, v32
	s_delay_alu instid0(VALU_DEP_2) | instskip(NEXT) | instid1(VALU_DEP_2)
	v_fmac_f32_e32 v34, 0x33a22168, v36
	v_or_b32_e32 v32, v33, v32
	s_delay_alu instid0(VALU_DEP_1) | instskip(SKIP_1) | instid1(VALU_DEP_2)
	v_fmac_f32_e32 v34, 0x3fc90fda, v32
	v_lshrrev_b32_e32 v32, 30, v0
	v_add_f32_e32 v0, v38, v34
	s_delay_alu instid0(VALU_DEP_2)
	v_add_nc_u32_e32 v32, v35, v32
	s_and_not1_saveexec_b32 s4, s30
	s_cbranch_execnz .LBB249_350
	s_branch .LBB249_351
.LBB249_349:                            ;   in Loop: Header=BB249_217 Depth=1
	s_and_not1_saveexec_b32 s4, s30
.LBB249_350:                            ;   in Loop: Header=BB249_217 Depth=1
	v_mul_f32_e64 v0, 0x3f22f983, |v9|
	s_delay_alu instid0(VALU_DEP_1) | instskip(NEXT) | instid1(VALU_DEP_1)
	v_rndne_f32_e32 v32, v0
	v_fma_f32 v0, 0xbfc90fda, v32, |v9|
	s_delay_alu instid0(VALU_DEP_1) | instskip(NEXT) | instid1(VALU_DEP_1)
	v_fmac_f32_e32 v0, 0xb3a22168, v32
	v_fmac_f32_e32 v0, 0xa7c234c4, v32
	v_cvt_i32_f32_e32 v32, v32
.LBB249_351:                            ;   in Loop: Header=BB249_217 Depth=1
	s_or_b32 exec_lo, exec_lo, s4
	v_sub_f32_e32 v8, 0xc322e3bc, v8
	s_delay_alu instid0(VALU_DEP_1) | instskip(NEXT) | instid1(VALU_DEP_1)
	v_dual_mul_f32 v36, v30, v30 :: v_dual_mul_f32 v33, 0x3fb8aa3b, v8
	v_fmaak_f32 v38, s25, v36, 0xbab64f3b
	s_delay_alu instid0(VALU_DEP_2) | instskip(SKIP_1) | instid1(VALU_DEP_1)
	v_fma_f32 v34, 0x3fb8aa3b, v8, -v33
	v_rndne_f32_e32 v35, v33
	v_dual_sub_f32 v33, v33, v35 :: v_dual_fmac_f32 v34, 0x32a5705f, v8
	v_cmp_ngt_f32_e32 vcc_lo, 0xc2ce8ed0, v8
	s_delay_alu instid0(VALU_DEP_2) | instskip(SKIP_3) | instid1(VALU_DEP_4)
	v_add_f32_e32 v33, v33, v34
	v_cvt_i32_f32_e32 v34, v35
	v_lshlrev_b32_e32 v35, 30, v31
	v_and_b32_e32 v31, 1, v31
	v_exp_f32_e32 v33, v33
	s_waitcnt_depctr 0xfff
	v_ldexp_f32 v33, v33, v34
	v_and_b32_e32 v34, 1, v32
	s_delay_alu instid0(VALU_DEP_2) | instskip(SKIP_2) | instid1(VALU_DEP_3)
	v_dual_cndmask_b32 v33, 0, v33 :: v_dual_lshlrev_b32 v32, 30, v32
	v_cmp_nlt_f32_e32 vcc_lo, 0x42b17218, v8
	v_mul_f32_e32 v37, v0, v0
	v_and_or_b32 v29, 0x80000000, v32, v29
	s_delay_alu instid0(VALU_DEP_4) | instskip(NEXT) | instid1(VALU_DEP_3)
	v_cndmask_b32_e32 v8, 0x7f800000, v33, vcc_lo
	v_dual_fmaak_f32 v39, s24, v36, 0x3c0881c4 :: v_dual_fmaak_f32 v40, s24, v37, 0x3c0881c4
	v_cmp_eq_u32_e32 vcc_lo, 0, v31
	s_delay_alu instid0(VALU_DEP_2) | instskip(NEXT) | instid1(VALU_DEP_1)
	v_fmaak_f32 v40, v37, v40, 0xbe2aaa9d
	v_dual_fmaak_f32 v33, s25, v37, 0xbab64f3b :: v_dual_mul_f32 v40, v37, v40
	s_delay_alu instid0(VALU_DEP_1) | instskip(SKIP_3) | instid1(VALU_DEP_4)
	v_dual_fmaak_f32 v32, v36, v38, 0x3d2aabf7 :: v_dual_fmaak_f32 v33, v37, v33, 0x3d2aabf7
	v_fmaak_f32 v38, v36, v39, 0xbe2aaa9d
	v_and_b32_e32 v35, 0x80000000, v35
	v_lshrrev_b32_e32 v39, 23, v8
	v_dual_fmaak_f32 v32, v36, v32, 0xbf000004 :: v_dual_fmaak_f32 v33, v37, v33, 0xbf000004
	s_delay_alu instid0(VALU_DEP_4) | instskip(SKIP_1) | instid1(VALU_DEP_4)
	v_mul_f32_e32 v38, v36, v38
	v_and_or_b32 v8, 0x7fffff, v8, s26
	v_subrev_nc_u32_e32 v39, 19, v39
	s_delay_alu instid0(VALU_DEP_4) | instskip(SKIP_2) | instid1(VALU_DEP_4)
	v_fma_f32 v32, v36, v32, 1.0
	v_fma_f32 v33, v37, v33, 1.0
	v_fmac_f32_e32 v30, v30, v38
	v_lshrrev_b16 v36, 15, v39
	s_delay_alu instid0(VALU_DEP_2) | instskip(SKIP_1) | instid1(VALU_DEP_3)
	v_cndmask_b32_e64 v30, -v30, v32, vcc_lo
	v_cmp_eq_u32_e32 vcc_lo, 0, v34
	v_add_nc_u16 v31, v39, v36
	s_delay_alu instid0(VALU_DEP_3) | instskip(SKIP_1) | instid1(VALU_DEP_3)
	v_xor_b32_e32 v30, v35, v30
	v_fmac_f32_e32 v0, v0, v40
	v_ashrrev_i16 v31, 1, v31
	s_delay_alu instid0(VALU_DEP_2) | instskip(SKIP_1) | instid1(VALU_DEP_2)
	v_cndmask_b32_e32 v0, v33, v0, vcc_lo
	v_cmp_class_f32_e64 vcc_lo, v9, 0x1f8
	v_xor3_b32 v0, v29, v0, v28
	v_cndmask_b32_e32 v9, 0x7fc00000, v30, vcc_lo
	v_bfe_i32 v28, v31, 0, 16
	s_delay_alu instid0(VALU_DEP_3) | instskip(NEXT) | instid1(VALU_DEP_3)
	v_cndmask_b32_e32 v0, 0x7fc00000, v0, vcc_lo
	v_mul_f32_e32 v9, v9, v8
	s_delay_alu instid0(VALU_DEP_3) | instskip(SKIP_1) | instid1(VALU_DEP_4)
	v_lshl_add_u32 v29, v28, 23, 1.0
	v_sub_nc_u32_e32 v28, v39, v28
	v_mul_f32_e32 v0, v0, v8
	s_delay_alu instid0(VALU_DEP_3) | instskip(NEXT) | instid1(VALU_DEP_3)
	v_mul_f32_e32 v8, v9, v29
	v_lshl_add_u32 v9, v28, 23, 1.0
	s_delay_alu instid0(VALU_DEP_3) | instskip(NEXT) | instid1(VALU_DEP_2)
	v_mul_f32_e32 v28, v0, v29
	v_mul_f32_e32 v0, v8, v9
	s_delay_alu instid0(VALU_DEP_2)
	v_mul_f32_e32 v28, v28, v9
.LBB249_352:                            ;   in Loop: Header=BB249_217 Depth=1
	s_or_b32 exec_lo, exec_lo, s29
                                        ; implicit-def: $vgpr30
                                        ; implicit-def: $vgpr9
                                        ; implicit-def: $vgpr31
.LBB249_353:                            ;   in Loop: Header=BB249_217 Depth=1
	s_and_not1_saveexec_b32 s4, s28
	s_cbranch_execz .LBB249_359
; %bb.354:                              ;   in Loop: Header=BB249_217 Depth=1
	s_mov_b32 s5, exec_lo
                                        ; implicit-def: $vgpr28
	v_cmpx_ne_u32_e32 0x7f800000, v31
	s_xor_b32 s5, exec_lo, s5
; %bb.355:                              ;   in Loop: Header=BB249_217 Depth=1
	v_sub_f32_e32 v28, v9, v9
                                        ; implicit-def: $vgpr30
                                        ; implicit-def: $vgpr9
; %bb.356:                              ;   in Loop: Header=BB249_217 Depth=1
	s_or_saveexec_b32 s5, s5
	s_delay_alu instid0(VALU_DEP_1)
	v_mov_b32_e32 v0, v28
	s_xor_b32 exec_lo, exec_lo, s5
; %bb.357:                              ;   in Loop: Header=BB249_217 Depth=1
	v_sub_f32_e32 v9, v9, v9
	v_cmp_lt_i32_e32 vcc_lo, -1, v30
	v_cndmask_b32_e64 v0, 0, -v8, vcc_lo
	s_delay_alu instid0(VALU_DEP_3)
	v_cndmask_b32_e32 v28, 0, v9, vcc_lo
; %bb.358:                              ;   in Loop: Header=BB249_217 Depth=1
	s_or_b32 exec_lo, exec_lo, s5
.LBB249_359:                            ;   in Loop: Header=BB249_217 Depth=1
	s_delay_alu instid0(SALU_CYCLE_1)
	s_or_b32 exec_lo, exec_lo, s4
                                        ; implicit-def: $vgpr9
                                        ; implicit-def: $vgpr29
.LBB249_360:                            ;   in Loop: Header=BB249_217 Depth=1
	s_and_not1_saveexec_b32 s27, s27
	s_cbranch_execz .LBB249_370
; %bb.361:                              ;   in Loop: Header=BB249_217 Depth=1
	v_cmp_ngt_f32_e64 s28, 0x48000000, |v9|
                                        ; implicit-def: $vgpr30
                                        ; implicit-def: $vgpr8
	s_delay_alu instid0(VALU_DEP_1) | instskip(NEXT) | instid1(SALU_CYCLE_1)
	s_and_saveexec_b32 s4, s28
	s_xor_b32 s29, exec_lo, s4
	s_cbranch_execz .LBB249_363
; %bb.362:                              ;   in Loop: Header=BB249_217 Depth=1
	v_lshrrev_b32_e32 v35, 23, v29
	v_and_or_b32 v8, v29, s7, 0x800000
	s_delay_alu instid0(VALU_DEP_2) | instskip(NEXT) | instid1(VALU_DEP_2)
	v_add_nc_u32_e32 v36, 0xffffff88, v35
	v_mad_u64_u32 v[30:31], null, 0xfe5163ab, v8, 0
	s_delay_alu instid0(VALU_DEP_2) | instskip(SKIP_1) | instid1(VALU_DEP_1)
	v_cmp_lt_u32_e32 vcc_lo, 63, v36
	v_cndmask_b32_e64 v37, 0, 0xffffffc0, vcc_lo
	v_dual_mov_b32 v0, v31 :: v_dual_add_nc_u32 v37, v37, v36
	s_delay_alu instid0(VALU_DEP_1) | instskip(NEXT) | instid1(VALU_DEP_2)
	v_mad_u64_u32 v[31:32], null, 0x3c439041, v8, v[0:1]
	v_cmp_lt_u32_e64 s4, 31, v37
	s_delay_alu instid0(VALU_DEP_2) | instskip(NEXT) | instid1(VALU_DEP_2)
	v_mov_b32_e32 v0, v32
	v_cndmask_b32_e64 v38, 0, 0xffffffe0, s4
	s_delay_alu instid0(VALU_DEP_2) | instskip(NEXT) | instid1(VALU_DEP_2)
	v_mad_u64_u32 v[32:33], null, 0xdb629599, v8, v[0:1]
	v_add_nc_u32_e32 v38, v38, v37
	s_delay_alu instid0(VALU_DEP_1) | instskip(NEXT) | instid1(VALU_DEP_3)
	v_cmp_lt_u32_e64 s5, 31, v38
	v_mov_b32_e32 v0, v33
	s_delay_alu instid0(VALU_DEP_4) | instskip(NEXT) | instid1(VALU_DEP_2)
	v_cndmask_b32_e32 v30, v32, v30, vcc_lo
	v_mad_u64_u32 v[33:34], null, 0xf534ddc0, v8, v[0:1]
	s_delay_alu instid0(VALU_DEP_1) | instskip(NEXT) | instid1(VALU_DEP_1)
	v_dual_mov_b32 v0, v34 :: v_dual_cndmask_b32 v31, v33, v31
	v_mad_u64_u32 v[34:35], null, 0xfc2757d1, v8, v[0:1]
	s_delay_alu instid0(VALU_DEP_2) | instskip(NEXT) | instid1(VALU_DEP_2)
	v_cndmask_b32_e64 v30, v31, v30, s4
	v_mov_b32_e32 v0, v35
	s_delay_alu instid0(VALU_DEP_1) | instskip(NEXT) | instid1(VALU_DEP_1)
	v_mad_u64_u32 v[35:36], null, 0x4e441529, v8, v[0:1]
	v_mov_b32_e32 v0, v36
	s_delay_alu instid0(VALU_DEP_1) | instskip(SKIP_1) | instid1(VALU_DEP_4)
	v_mad_u64_u32 v[36:37], null, 0xa2f9836e, v8, v[0:1]
	v_cndmask_b32_e64 v0, 0, 0xffffffe0, s5
	v_cndmask_b32_e32 v8, v35, v33, vcc_lo
	s_delay_alu instid0(VALU_DEP_2) | instskip(NEXT) | instid1(VALU_DEP_4)
	v_add_nc_u32_e32 v0, v0, v38
	v_dual_cndmask_b32 v36, v36, v34 :: v_dual_cndmask_b32 v35, v37, v35
	v_cndmask_b32_e32 v34, v34, v32, vcc_lo
	s_delay_alu instid0(VALU_DEP_3) | instskip(NEXT) | instid1(VALU_DEP_3)
	v_cmp_eq_u32_e64 s6, 0, v0
	v_cndmask_b32_e64 v33, v36, v8, s4
	s_delay_alu instid0(VALU_DEP_4) | instskip(NEXT) | instid1(VALU_DEP_4)
	v_cndmask_b32_e64 v35, v35, v36, s4
	v_cndmask_b32_e64 v8, v8, v34, s4
	v_sub_nc_u32_e32 v36, 32, v0
	v_cndmask_b32_e64 v34, v34, v31, s4
	s_delay_alu instid0(VALU_DEP_4) | instskip(NEXT) | instid1(VALU_DEP_4)
	v_cndmask_b32_e64 v35, v35, v33, s5
	v_cndmask_b32_e64 v33, v33, v8, s5
	s_delay_alu instid0(VALU_DEP_3) | instskip(SKIP_1) | instid1(VALU_DEP_3)
	v_cndmask_b32_e64 v8, v8, v34, s5
	v_cndmask_b32_e64 v30, v34, v30, s5
	v_alignbit_b32 v37, v35, v33, v36
	s_delay_alu instid0(VALU_DEP_3) | instskip(NEXT) | instid1(VALU_DEP_3)
	v_alignbit_b32 v38, v33, v8, v36
	v_alignbit_b32 v36, v8, v30, v36
	s_delay_alu instid0(VALU_DEP_3) | instskip(NEXT) | instid1(VALU_DEP_3)
	v_cndmask_b32_e64 v0, v37, v35, s6
	v_cndmask_b32_e64 v32, v38, v33, s6
	s_delay_alu instid0(VALU_DEP_3) | instskip(NEXT) | instid1(VALU_DEP_3)
	v_cndmask_b32_e64 v8, v36, v8, s6
	v_bfe_u32 v33, v0, 29, 1
	s_delay_alu instid0(VALU_DEP_3) | instskip(NEXT) | instid1(VALU_DEP_3)
	v_alignbit_b32 v31, v0, v32, 30
	v_alignbit_b32 v32, v32, v8, 30
	;; [unrolled: 1-line block ×3, first 2 shown]
	s_delay_alu instid0(VALU_DEP_4) | instskip(NEXT) | instid1(VALU_DEP_1)
	v_sub_nc_u32_e32 v35, 0, v33
	v_xor_b32_e32 v34, v31, v35
	v_cmp_ne_u32_e32 vcc_lo, v31, v35
	v_xor_b32_e32 v30, v32, v35
	v_xor_b32_e32 v8, v8, v35
	s_delay_alu instid0(VALU_DEP_4) | instskip(NEXT) | instid1(VALU_DEP_1)
	v_clz_i32_u32_e32 v37, v34
	v_add_nc_u32_e32 v36, 1, v37
	s_delay_alu instid0(VALU_DEP_1) | instskip(NEXT) | instid1(VALU_DEP_1)
	v_cndmask_b32_e32 v31, 33, v36, vcc_lo
	v_sub_nc_u32_e32 v32, 32, v31
	s_delay_alu instid0(VALU_DEP_1) | instskip(SKIP_3) | instid1(VALU_DEP_3)
	v_alignbit_b32 v34, v34, v30, v32
	v_alignbit_b32 v8, v30, v8, v32
	v_lshrrev_b32_e32 v30, 29, v0
	v_lshrrev_b32_e32 v0, 30, v0
	v_alignbit_b32 v32, v34, v8, 9
	s_delay_alu instid0(VALU_DEP_3) | instskip(SKIP_1) | instid1(VALU_DEP_3)
	v_lshlrev_b32_e32 v30, 31, v30
	v_alignbit_b32 v34, v31, v34, 9
	v_clz_i32_u32_e32 v35, v32
	s_delay_alu instid0(VALU_DEP_2) | instskip(SKIP_1) | instid1(VALU_DEP_3)
	v_or_b32_e32 v34, v34, v30
	v_or_b32_e32 v30, 0x33800000, v30
	v_min_u32_e32 v35, 32, v35
	s_delay_alu instid0(VALU_DEP_3) | instskip(NEXT) | instid1(VALU_DEP_2)
	v_xor_b32_e32 v34, 1.0, v34
	v_sub_nc_u32_e32 v36, 31, v35
	v_add_lshl_u32 v31, v35, v31, 23
	s_delay_alu instid0(VALU_DEP_3) | instskip(NEXT) | instid1(VALU_DEP_3)
	v_mul_f32_e32 v35, 0x3fc90fda, v34
	v_alignbit_b32 v8, v32, v8, v36
	s_delay_alu instid0(VALU_DEP_3) | instskip(NEXT) | instid1(VALU_DEP_3)
	v_sub_nc_u32_e32 v30, v30, v31
	v_fma_f32 v31, 0x3fc90fda, v34, -v35
	s_delay_alu instid0(VALU_DEP_3) | instskip(NEXT) | instid1(VALU_DEP_2)
	v_lshrrev_b32_e32 v8, 9, v8
	v_fmac_f32_e32 v31, 0x33a22168, v34
	s_delay_alu instid0(VALU_DEP_2) | instskip(SKIP_1) | instid1(VALU_DEP_2)
	v_or_b32_e32 v8, v30, v8
	v_add_nc_u32_e32 v30, v33, v0
	v_fmac_f32_e32 v31, 0x3fc90fda, v8
	s_delay_alu instid0(VALU_DEP_1)
	v_add_f32_e32 v8, v35, v31
	s_and_not1_saveexec_b32 s4, s29
	s_branch .LBB249_364
.LBB249_363:                            ;   in Loop: Header=BB249_217 Depth=1
	s_and_not1_saveexec_b32 s4, s29
.LBB249_364:                            ;   in Loop: Header=BB249_217 Depth=1
	v_mul_f32_e64 v0, 0x3f22f983, |v9|
	s_delay_alu instid0(VALU_DEP_1) | instskip(NEXT) | instid1(VALU_DEP_1)
	v_rndne_f32_e32 v0, v0
	v_fma_f32 v8, 0xbfc90fda, v0, |v9|
	v_cvt_i32_f32_e32 v30, v0
	s_delay_alu instid0(VALU_DEP_2) | instskip(NEXT) | instid1(VALU_DEP_1)
	v_fmac_f32_e32 v8, 0xb3a22168, v0
	v_fmac_f32_e32 v8, 0xa7c234c4, v0
; %bb.365:                              ;   in Loop: Header=BB249_217 Depth=1
	s_or_b32 exec_lo, exec_lo, s4
                                        ; implicit-def: $vgpr31
                                        ; implicit-def: $vgpr0
	s_and_saveexec_b32 s4, s28
	s_delay_alu instid0(SALU_CYCLE_1)
	s_xor_b32 s28, exec_lo, s4
	s_cbranch_execz .LBB249_367
; %bb.366:                              ;   in Loop: Header=BB249_217 Depth=1
	v_and_or_b32 v39, v29, s7, 0x800000
	v_lshrrev_b32_e32 v36, 23, v29
	s_delay_alu instid0(VALU_DEP_2) | instskip(NEXT) | instid1(VALU_DEP_2)
	v_mad_u64_u32 v[31:32], null, 0xfe5163ab, v39, 0
	v_add_nc_u32_e32 v37, 0xffffff88, v36
	s_delay_alu instid0(VALU_DEP_1) | instskip(NEXT) | instid1(VALU_DEP_3)
	v_cmp_lt_u32_e32 vcc_lo, 63, v37
	v_mov_b32_e32 v0, v32
	v_cndmask_b32_e64 v38, 0, 0xffffffc0, vcc_lo
	s_delay_alu instid0(VALU_DEP_2) | instskip(NEXT) | instid1(VALU_DEP_2)
	v_mad_u64_u32 v[32:33], null, 0x3c439041, v39, v[0:1]
	v_add_nc_u32_e32 v38, v38, v37
	s_delay_alu instid0(VALU_DEP_2) | instskip(NEXT) | instid1(VALU_DEP_2)
	v_mov_b32_e32 v0, v33
	v_cmp_lt_u32_e64 s4, 31, v38
	s_delay_alu instid0(VALU_DEP_2) | instskip(NEXT) | instid1(VALU_DEP_2)
	v_mad_u64_u32 v[33:34], null, 0xdb629599, v39, v[0:1]
	v_cndmask_b32_e64 v40, 0, 0xffffffe0, s4
	s_delay_alu instid0(VALU_DEP_1) | instskip(NEXT) | instid1(VALU_DEP_3)
	v_add_nc_u32_e32 v40, v40, v38
	v_dual_mov_b32 v0, v34 :: v_dual_cndmask_b32 v31, v33, v31
	s_delay_alu instid0(VALU_DEP_2) | instskip(NEXT) | instid1(VALU_DEP_2)
	v_cmp_lt_u32_e64 s5, 31, v40
	v_mad_u64_u32 v[34:35], null, 0xf534ddc0, v39, v[0:1]
	s_delay_alu instid0(VALU_DEP_1) | instskip(NEXT) | instid1(VALU_DEP_2)
	v_mov_b32_e32 v0, v35
	v_cndmask_b32_e32 v32, v34, v32, vcc_lo
	s_delay_alu instid0(VALU_DEP_2) | instskip(NEXT) | instid1(VALU_DEP_2)
	v_mad_u64_u32 v[35:36], null, 0xfc2757d1, v39, v[0:1]
	v_cndmask_b32_e64 v31, v32, v31, s4
	s_delay_alu instid0(VALU_DEP_2) | instskip(NEXT) | instid1(VALU_DEP_1)
	v_mov_b32_e32 v0, v36
	v_mad_u64_u32 v[36:37], null, 0x4e441529, v39, v[0:1]
	s_delay_alu instid0(VALU_DEP_1) | instskip(NEXT) | instid1(VALU_DEP_1)
	v_mov_b32_e32 v0, v37
	v_mad_u64_u32 v[37:38], null, 0xa2f9836e, v39, v[0:1]
	v_cndmask_b32_e64 v0, 0, 0xffffffe0, s5
	s_delay_alu instid0(VALU_DEP_4) | instskip(NEXT) | instid1(VALU_DEP_2)
	v_cndmask_b32_e32 v39, v36, v34, vcc_lo
	v_dual_cndmask_b32 v37, v37, v35 :: v_dual_add_nc_u32 v0, v0, v40
	s_delay_alu instid0(VALU_DEP_4) | instskip(NEXT) | instid1(VALU_DEP_2)
	v_dual_cndmask_b32 v36, v38, v36 :: v_dual_cndmask_b32 v35, v35, v33
	v_sub_nc_u32_e32 v38, 32, v0
	s_delay_alu instid0(VALU_DEP_3) | instskip(NEXT) | instid1(VALU_DEP_3)
	v_cndmask_b32_e64 v34, v37, v39, s4
	v_cndmask_b32_e64 v36, v36, v37, s4
	s_delay_alu instid0(VALU_DEP_4) | instskip(SKIP_2) | instid1(VALU_DEP_4)
	v_cndmask_b32_e64 v37, v39, v35, s4
	v_cndmask_b32_e64 v35, v35, v32, s4
	v_cmp_eq_u32_e64 s6, 0, v0
	v_cndmask_b32_e64 v36, v36, v34, s5
	s_delay_alu instid0(VALU_DEP_4) | instskip(NEXT) | instid1(VALU_DEP_4)
	v_cndmask_b32_e64 v34, v34, v37, s5
	v_cndmask_b32_e64 v37, v37, v35, s5
	;; [unrolled: 1-line block ×3, first 2 shown]
	s_delay_alu instid0(VALU_DEP_3) | instskip(NEXT) | instid1(VALU_DEP_3)
	v_alignbit_b32 v39, v36, v34, v38
	v_alignbit_b32 v40, v34, v37, v38
	s_delay_alu instid0(VALU_DEP_3) | instskip(NEXT) | instid1(VALU_DEP_3)
	v_alignbit_b32 v38, v37, v31, v38
	v_cndmask_b32_e64 v0, v39, v36, s6
	s_delay_alu instid0(VALU_DEP_3) | instskip(NEXT) | instid1(VALU_DEP_3)
	v_cndmask_b32_e64 v33, v40, v34, s6
	v_cndmask_b32_e64 v37, v38, v37, s6
	s_delay_alu instid0(VALU_DEP_3) | instskip(NEXT) | instid1(VALU_DEP_3)
	v_bfe_u32 v34, v0, 29, 1
	v_alignbit_b32 v32, v0, v33, 30
	s_delay_alu instid0(VALU_DEP_3) | instskip(SKIP_1) | instid1(VALU_DEP_4)
	v_alignbit_b32 v33, v33, v37, 30
	v_alignbit_b32 v31, v37, v31, 30
	v_sub_nc_u32_e32 v36, 0, v34
	s_delay_alu instid0(VALU_DEP_1) | instskip(SKIP_3) | instid1(VALU_DEP_4)
	v_xor_b32_e32 v35, v32, v36
	v_cmp_ne_u32_e32 vcc_lo, v32, v36
	v_xor_b32_e32 v33, v33, v36
	v_xor_b32_e32 v31, v31, v36
	v_clz_i32_u32_e32 v39, v35
	s_delay_alu instid0(VALU_DEP_1) | instskip(NEXT) | instid1(VALU_DEP_1)
	v_add_nc_u32_e32 v38, 1, v39
	v_cndmask_b32_e32 v32, 33, v38, vcc_lo
	s_delay_alu instid0(VALU_DEP_1) | instskip(NEXT) | instid1(VALU_DEP_1)
	v_sub_nc_u32_e32 v37, 32, v32
	v_alignbit_b32 v35, v35, v33, v37
	v_alignbit_b32 v31, v33, v31, v37
	v_lshrrev_b32_e32 v33, 29, v0
	s_delay_alu instid0(VALU_DEP_2) | instskip(NEXT) | instid1(VALU_DEP_2)
	v_alignbit_b32 v36, v35, v31, 9
	v_lshlrev_b32_e32 v33, 31, v33
	v_alignbit_b32 v35, v32, v35, 9
	s_delay_alu instid0(VALU_DEP_3) | instskip(NEXT) | instid1(VALU_DEP_2)
	v_clz_i32_u32_e32 v37, v36
	v_or_b32_e32 v35, v35, v33
	v_or_b32_e32 v33, 0x33800000, v33
	s_delay_alu instid0(VALU_DEP_3) | instskip(NEXT) | instid1(VALU_DEP_3)
	v_min_u32_e32 v37, 32, v37
	v_xor_b32_e32 v35, 1.0, v35
	s_delay_alu instid0(VALU_DEP_2) | instskip(SKIP_1) | instid1(VALU_DEP_3)
	v_sub_nc_u32_e32 v38, 31, v37
	v_add_lshl_u32 v32, v37, v32, 23
	v_mul_f32_e32 v37, 0x3fc90fda, v35
	s_delay_alu instid0(VALU_DEP_3) | instskip(NEXT) | instid1(VALU_DEP_3)
	v_alignbit_b32 v31, v36, v31, v38
	v_sub_nc_u32_e32 v32, v33, v32
	s_delay_alu instid0(VALU_DEP_3) | instskip(NEXT) | instid1(VALU_DEP_3)
	v_fma_f32 v33, 0x3fc90fda, v35, -v37
	v_lshrrev_b32_e32 v31, 9, v31
	s_delay_alu instid0(VALU_DEP_2) | instskip(NEXT) | instid1(VALU_DEP_2)
	v_fmac_f32_e32 v33, 0x33a22168, v35
	v_or_b32_e32 v31, v32, v31
	s_delay_alu instid0(VALU_DEP_1) | instskip(SKIP_1) | instid1(VALU_DEP_1)
	v_fmac_f32_e32 v33, 0x3fc90fda, v31
	v_lshrrev_b32_e32 v31, 30, v0
	v_dual_add_f32 v0, v37, v33 :: v_dual_add_nc_u32 v31, v34, v31
	s_and_not1_saveexec_b32 s4, s28
	s_cbranch_execnz .LBB249_368
	s_branch .LBB249_369
.LBB249_367:                            ;   in Loop: Header=BB249_217 Depth=1
	s_and_not1_saveexec_b32 s4, s28
.LBB249_368:                            ;   in Loop: Header=BB249_217 Depth=1
	v_mul_f32_e64 v0, 0x3f22f983, |v9|
	s_delay_alu instid0(VALU_DEP_1) | instskip(NEXT) | instid1(VALU_DEP_1)
	v_rndne_f32_e32 v31, v0
	v_fma_f32 v0, 0xbfc90fda, v31, |v9|
	s_delay_alu instid0(VALU_DEP_1) | instskip(NEXT) | instid1(VALU_DEP_1)
	v_fmac_f32_e32 v0, 0xb3a22168, v31
	v_fmac_f32_e32 v0, 0xa7c234c4, v31
	v_cvt_i32_f32_e32 v31, v31
.LBB249_369:                            ;   in Loop: Header=BB249_217 Depth=1
	s_or_b32 exec_lo, exec_lo, s4
	s_delay_alu instid0(VALU_DEP_1) | instskip(NEXT) | instid1(VALU_DEP_2)
	v_dual_mul_f32 v33, v0, v0 :: v_dual_and_b32 v34, 1, v30
	v_dual_mul_f32 v32, v8, v8 :: v_dual_and_b32 v39, 1, v31
	v_lshlrev_b32_e32 v31, 30, v31
	s_delay_alu instid0(VALU_DEP_3) | instskip(SKIP_1) | instid1(VALU_DEP_4)
	v_fmaak_f32 v37, s24, v33, 0x3c0881c4
	v_fmaak_f32 v38, s25, v33, 0xbab64f3b
	;; [unrolled: 1-line block ×3, first 2 shown]
	v_dual_fmaak_f32 v35, s24, v32, 0x3c0881c4 :: v_dual_lshlrev_b32 v30, 30, v30
	s_delay_alu instid0(VALU_DEP_4) | instskip(NEXT) | instid1(VALU_DEP_4)
	v_fmaak_f32 v37, v33, v37, 0xbe2aaa9d
	v_fmaak_f32 v38, v33, v38, 0x3d2aabf7
	s_delay_alu instid0(VALU_DEP_4) | instskip(SKIP_1) | instid1(VALU_DEP_4)
	v_fmaak_f32 v36, v32, v36, 0x3d2aabf7
	v_cmp_eq_u32_e32 vcc_lo, 0, v34
	v_dual_mul_f32 v37, v33, v37 :: v_dual_and_b32 v30, 0x80000000, v30
	s_delay_alu instid0(VALU_DEP_4) | instskip(NEXT) | instid1(VALU_DEP_4)
	v_fmaak_f32 v38, v33, v38, 0xbf000004
	v_fmaak_f32 v36, v32, v36, 0xbf000004
	v_and_or_b32 v29, 0x80000000, v31, v29
	s_delay_alu instid0(VALU_DEP_4) | instskip(NEXT) | instid1(VALU_DEP_4)
	v_fmac_f32_e32 v0, v0, v37
	v_fma_f32 v33, v33, v38, 1.0
	v_fmaak_f32 v35, v32, v35, 0xbe2aaa9d
	s_delay_alu instid0(VALU_DEP_1) | instskip(SKIP_1) | instid1(VALU_DEP_2)
	v_mul_f32_e32 v35, v32, v35
	v_fma_f32 v32, v32, v36, 1.0
	v_fmac_f32_e32 v8, v8, v35
	s_delay_alu instid0(VALU_DEP_1) | instskip(SKIP_1) | instid1(VALU_DEP_2)
	v_cndmask_b32_e64 v8, -v8, v32, vcc_lo
	v_cmp_eq_u32_e32 vcc_lo, 0, v39
	v_xor_b32_e32 v8, v30, v8
	v_cndmask_b32_e32 v0, v33, v0, vcc_lo
	v_cmp_class_f32_e64 vcc_lo, v9, 0x1f8
	s_delay_alu instid0(VALU_DEP_2) | instskip(NEXT) | instid1(VALU_DEP_4)
	v_xor3_b32 v28, v29, v0, v28
	v_cndmask_b32_e32 v0, 0x7fc00000, v8, vcc_lo
	s_delay_alu instid0(VALU_DEP_2)
	v_cndmask_b32_e32 v28, 0x7fc00000, v28, vcc_lo
.LBB249_370:                            ;   in Loop: Header=BB249_217 Depth=1
	s_or_b32 exec_lo, exec_lo, s27
                                        ; implicit-def: $vgpr8
.LBB249_371:                            ;   in Loop: Header=BB249_217 Depth=1
	s_and_not1_saveexec_b32 s4, s15
	s_cbranch_execz .LBB249_373
; %bb.372:                              ;   in Loop: Header=BB249_217 Depth=1
	v_mul_f32_e32 v0, 0xbfb8aa3b, v8
	v_cmp_nlt_f32_e32 vcc_lo, 0x42ce8ed0, v8
	s_delay_alu instid0(VALU_DEP_2) | instskip(SKIP_1) | instid1(VALU_DEP_1)
	v_rndne_f32_e32 v9, v0
	v_fma_f32 v29, 0xbfb8aa3b, v8, -v0
	v_dual_sub_f32 v0, v0, v9 :: v_dual_fmac_f32 v29, 0xb2a5705f, v8
	v_cvt_i32_f32_e32 v9, v9
	s_delay_alu instid0(VALU_DEP_2) | instskip(NEXT) | instid1(VALU_DEP_1)
	v_add_f32_e32 v0, v0, v29
	v_exp_f32_e32 v0, v0
	s_waitcnt_depctr 0xfff
	v_ldexp_f32 v0, v0, v9
	s_delay_alu instid0(VALU_DEP_1) | instskip(SKIP_1) | instid1(VALU_DEP_2)
	v_cndmask_b32_e32 v0, 0, v0, vcc_lo
	v_cmp_ngt_f32_e32 vcc_lo, 0xc2b17218, v8
	v_cndmask_b32_e32 v0, 0x7f800000, v0, vcc_lo
.LBB249_373:                            ;   in Loop: Header=BB249_217 Depth=1
	s_or_b32 exec_lo, exec_lo, s4
	s_delay_alu instid0(VALU_DEP_1) | instskip(SKIP_2) | instid1(VALU_DEP_2)
	v_add_f32_e32 v29, s8, v0
	v_add_f32_e32 v0, s9, v28
                                        ; implicit-def: $vgpr9
	s_mov_b32 s4, exec_lo
	v_cmp_gt_f32_e32 vcc_lo, 0, v29
	v_cndmask_b32_e64 v28, v29, -v29, vcc_lo
	s_delay_alu instid0(VALU_DEP_3) | instskip(SKIP_1) | instid1(VALU_DEP_1)
	v_cmp_gt_f32_e32 vcc_lo, 0, v0
	v_cndmask_b32_e64 v30, v0, -v0, vcc_lo
	v_cmpx_ge_f32_e32 v28, v30
	s_xor_b32 s5, exec_lo, s4
	s_cbranch_execz .LBB249_379
; %bb.374:                              ;   in Loop: Header=BB249_217 Depth=1
	v_cmp_neq_f32_e32 vcc_lo, 0, v29
	v_cmp_neq_f32_e64 s4, 0, v0
                                        ; implicit-def: $vgpr9
	s_delay_alu instid0(VALU_DEP_1) | instskip(NEXT) | instid1(SALU_CYCLE_1)
	s_or_b32 s4, vcc_lo, s4
	s_and_saveexec_b32 s6, s4
	s_delay_alu instid0(SALU_CYCLE_1)
	s_xor_b32 s4, exec_lo, s6
	s_cbranch_execz .LBB249_376
; %bb.375:                              ;   in Loop: Header=BB249_217 Depth=1
	v_div_scale_f32 v8, null, v29, v29, v0
	v_div_scale_f32 v30, vcc_lo, v0, v29, v0
	s_delay_alu instid0(VALU_DEP_2) | instskip(SKIP_2) | instid1(VALU_DEP_1)
	v_rcp_f32_e32 v9, v8
	s_waitcnt_depctr 0xfff
	v_fma_f32 v28, -v8, v9, 1.0
	v_fmac_f32_e32 v9, v28, v9
	s_delay_alu instid0(VALU_DEP_1) | instskip(NEXT) | instid1(VALU_DEP_1)
	v_mul_f32_e32 v28, v30, v9
	v_fma_f32 v31, -v8, v28, v30
	s_delay_alu instid0(VALU_DEP_1) | instskip(NEXT) | instid1(VALU_DEP_1)
	v_fmac_f32_e32 v28, v31, v9
	v_fma_f32 v8, -v8, v28, v30
	s_delay_alu instid0(VALU_DEP_1) | instskip(NEXT) | instid1(VALU_DEP_1)
	v_div_fmas_f32 v8, v8, v9, v28
	v_div_fixup_f32 v8, v8, v29, v0
	s_delay_alu instid0(VALU_DEP_1) | instskip(NEXT) | instid1(VALU_DEP_1)
	v_fmac_f32_e32 v29, v0, v8
	v_div_scale_f32 v0, null, v29, v29, 1.0
	v_div_scale_f32 v30, vcc_lo, 1.0, v29, 1.0
	s_delay_alu instid0(VALU_DEP_2) | instskip(SKIP_2) | instid1(VALU_DEP_1)
	v_rcp_f32_e32 v9, v0
	s_waitcnt_depctr 0xfff
	v_fma_f32 v28, -v0, v9, 1.0
	v_fmac_f32_e32 v9, v28, v9
	s_delay_alu instid0(VALU_DEP_1) | instskip(NEXT) | instid1(VALU_DEP_1)
	v_mul_f32_e32 v28, v30, v9
	v_fma_f32 v31, -v0, v28, v30
	s_delay_alu instid0(VALU_DEP_1) | instskip(NEXT) | instid1(VALU_DEP_1)
	v_fmac_f32_e32 v28, v31, v9
	v_fma_f32 v0, -v0, v28, v30
                                        ; implicit-def: $vgpr30
	s_delay_alu instid0(VALU_DEP_1) | instskip(SKIP_2) | instid1(VALU_DEP_3)
	v_div_fmas_f32 v0, v0, v9, v28
	v_fma_f32 v9, v8, s9, s8
	v_fma_f32 v28, -v8, s8, s9
	v_div_fixup_f32 v0, v0, v29, 1.0
	s_delay_alu instid0(VALU_DEP_1) | instskip(NEXT) | instid1(VALU_DEP_3)
	v_mul_f32_e32 v8, v9, v0
	v_mul_f32_e32 v9, v28, v0
                                        ; implicit-def: $vgpr28
.LBB249_376:                            ;   in Loop: Header=BB249_217 Depth=1
	s_and_not1_saveexec_b32 s6, s4
	s_cbranch_execz .LBB249_378
; %bb.377:                              ;   in Loop: Header=BB249_217 Depth=1
	v_div_scale_f32 v0, null, v28, v28, s8
	v_div_scale_f32 v8, null, v30, v30, s9
	v_div_scale_f32 v33, vcc_lo, s8, v28, s8
	s_delay_alu instid0(VALU_DEP_3) | instskip(NEXT) | instid1(VALU_DEP_2)
	v_rcp_f32_e32 v9, v0
	v_rcp_f32_e32 v29, v8
	s_waitcnt_depctr 0xfff
	v_fma_f32 v31, -v0, v9, 1.0
	v_fma_f32 v32, -v8, v29, 1.0
	s_delay_alu instid0(VALU_DEP_2) | instskip(SKIP_1) | instid1(VALU_DEP_3)
	v_fmac_f32_e32 v9, v31, v9
	v_div_scale_f32 v31, s4, s9, v30, s9
	v_fmac_f32_e32 v29, v32, v29
	s_delay_alu instid0(VALU_DEP_3) | instskip(NEXT) | instid1(VALU_DEP_2)
	v_mul_f32_e32 v32, v33, v9
	v_mul_f32_e32 v34, v31, v29
	s_delay_alu instid0(VALU_DEP_2) | instskip(NEXT) | instid1(VALU_DEP_2)
	v_fma_f32 v35, -v0, v32, v33
	v_fma_f32 v36, -v8, v34, v31
	s_delay_alu instid0(VALU_DEP_2) | instskip(NEXT) | instid1(VALU_DEP_2)
	v_fmac_f32_e32 v32, v35, v9
	v_fmac_f32_e32 v34, v36, v29
	s_delay_alu instid0(VALU_DEP_2) | instskip(NEXT) | instid1(VALU_DEP_2)
	v_fma_f32 v0, -v0, v32, v33
	v_fma_f32 v8, -v8, v34, v31
	s_delay_alu instid0(VALU_DEP_2) | instskip(SKIP_1) | instid1(VALU_DEP_2)
	v_div_fmas_f32 v0, v0, v9, v32
	s_mov_b32 vcc_lo, s4
	v_div_fmas_f32 v9, v8, v29, v34
	s_delay_alu instid0(VALU_DEP_2) | instskip(NEXT) | instid1(VALU_DEP_2)
	v_div_fixup_f32 v8, v0, v28, s8
	v_div_fixup_f32 v9, v9, v30, s9
.LBB249_378:                            ;   in Loop: Header=BB249_217 Depth=1
	s_or_b32 exec_lo, exec_lo, s6
                                        ; implicit-def: $vgpr0
                                        ; implicit-def: $vgpr29
.LBB249_379:                            ;   in Loop: Header=BB249_217 Depth=1
	s_and_not1_saveexec_b32 s4, s5
	s_cbranch_execz .LBB249_381
; %bb.380:                              ;   in Loop: Header=BB249_217 Depth=1
	v_div_scale_f32 v8, null, v0, v0, v29
	v_div_scale_f32 v30, vcc_lo, v29, v0, v29
	s_delay_alu instid0(VALU_DEP_2) | instskip(SKIP_2) | instid1(VALU_DEP_1)
	v_rcp_f32_e32 v9, v8
	s_waitcnt_depctr 0xfff
	v_fma_f32 v28, -v8, v9, 1.0
	v_fmac_f32_e32 v9, v28, v9
	s_delay_alu instid0(VALU_DEP_1) | instskip(NEXT) | instid1(VALU_DEP_1)
	v_mul_f32_e32 v28, v30, v9
	v_fma_f32 v31, -v8, v28, v30
	s_delay_alu instid0(VALU_DEP_1) | instskip(NEXT) | instid1(VALU_DEP_1)
	v_fmac_f32_e32 v28, v31, v9
	v_fma_f32 v8, -v8, v28, v30
	s_delay_alu instid0(VALU_DEP_1) | instskip(NEXT) | instid1(VALU_DEP_1)
	v_div_fmas_f32 v8, v8, v9, v28
	v_div_fixup_f32 v8, v8, v0, v29
	s_delay_alu instid0(VALU_DEP_1) | instskip(NEXT) | instid1(VALU_DEP_1)
	v_fmac_f32_e32 v0, v29, v8
	v_div_scale_f32 v9, null, v0, v0, 1.0
	v_div_scale_f32 v30, vcc_lo, 1.0, v0, 1.0
	s_delay_alu instid0(VALU_DEP_2) | instskip(SKIP_2) | instid1(VALU_DEP_1)
	v_rcp_f32_e32 v28, v9
	s_waitcnt_depctr 0xfff
	v_fma_f32 v29, -v9, v28, 1.0
	v_fmac_f32_e32 v28, v29, v28
	s_delay_alu instid0(VALU_DEP_1) | instskip(NEXT) | instid1(VALU_DEP_1)
	v_mul_f32_e32 v29, v30, v28
	v_fma_f32 v31, -v9, v29, v30
	s_delay_alu instid0(VALU_DEP_1) | instskip(NEXT) | instid1(VALU_DEP_1)
	v_fmac_f32_e32 v29, v31, v28
	v_fma_f32 v9, -v9, v29, v30
	s_delay_alu instid0(VALU_DEP_1) | instskip(SKIP_1) | instid1(VALU_DEP_2)
	v_div_fmas_f32 v9, v9, v28, v29
	v_fma_f32 v28, v8, s8, s9
	v_div_fixup_f32 v0, v9, v0, 1.0
	v_fma_f32 v9, v8, s9, -s8
	s_delay_alu instid0(VALU_DEP_2) | instskip(NEXT) | instid1(VALU_DEP_2)
	v_mul_f32_e32 v8, v28, v0
	v_mul_f32_e32 v9, v9, v0
.LBB249_381:                            ;   in Loop: Header=BB249_217 Depth=1
	s_or_b32 exec_lo, exec_lo, s4
	v_and_b32_e32 v29, 0x7fffffff, v5
	v_xor_b32_e32 v28, 0x80000000, v5
                                        ; implicit-def: $vgpr0
	s_mov_b32 s4, exec_lo
	s_delay_alu instid0(VALU_DEP_2)
	v_cmpx_ne_u32_e32 0, v29
	s_xor_b32 s15, exec_lo, s4
	s_cbranch_execz .LBB249_423
; %bb.382:                              ;   in Loop: Header=BB249_217 Depth=1
	v_and_b32_e32 v31, 0x7fffffff, v4
                                        ; implicit-def: $vgpr0
	s_mov_b32 s4, exec_lo
	s_delay_alu instid0(VALU_DEP_1)
	v_cmpx_ne_u32_e32 0, v31
	s_xor_b32 s27, exec_lo, s4
	s_cbranch_execz .LBB249_412
; %bb.383:                              ;   in Loop: Header=BB249_217 Depth=1
	v_xor_b32_e32 v30, 0x80000000, v4
                                        ; implicit-def: $vgpr0
	s_mov_b32 s4, exec_lo
	v_cmpx_gt_u32_e32 0x7f800000, v29
	s_xor_b32 s28, exec_lo, s4
	s_cbranch_execz .LBB249_405
; %bb.384:                              ;   in Loop: Header=BB249_217 Depth=1
	v_add_nc_u32_e32 v0, 0xbd4e8de8, v30
	s_delay_alu instid0(VALU_DEP_1) | instskip(SKIP_1) | instid1(SALU_CYCLE_1)
	v_cmp_lt_u32_e32 vcc_lo, 0x8e8e5c, v0
                                        ; implicit-def: $vgpr0
	s_and_saveexec_b32 s4, vcc_lo
	s_xor_b32 s29, exec_lo, s4
	s_cbranch_execz .LBB249_394
; %bb.385:                              ;   in Loop: Header=BB249_217 Depth=1
	v_cmp_ngt_f32_e64 s30, 0x48000000, |v5|
                                        ; implicit-def: $vgpr31
                                        ; implicit-def: $vgpr30
	s_delay_alu instid0(VALU_DEP_1) | instskip(NEXT) | instid1(SALU_CYCLE_1)
	s_and_saveexec_b32 s4, s30
	s_xor_b32 s31, exec_lo, s4
	s_cbranch_execz .LBB249_387
; %bb.386:                              ;   in Loop: Header=BB249_217 Depth=1
	v_lshrrev_b32_e32 v35, 23, v29
	v_and_or_b32 v38, v29, s7, 0x800000
	s_delay_alu instid0(VALU_DEP_2) | instskip(NEXT) | instid1(VALU_DEP_2)
	v_add_nc_u32_e32 v36, 0xffffff88, v35
	v_mad_u64_u32 v[30:31], null, 0xfe5163ab, v38, 0
	s_delay_alu instid0(VALU_DEP_2) | instskip(SKIP_1) | instid1(VALU_DEP_1)
	v_cmp_lt_u32_e32 vcc_lo, 63, v36
	v_cndmask_b32_e64 v37, 0, 0xffffffc0, vcc_lo
	v_dual_mov_b32 v0, v31 :: v_dual_add_nc_u32 v37, v37, v36
	s_delay_alu instid0(VALU_DEP_1) | instskip(NEXT) | instid1(VALU_DEP_2)
	v_mad_u64_u32 v[31:32], null, 0x3c439041, v38, v[0:1]
	v_cmp_lt_u32_e64 s4, 31, v37
	s_delay_alu instid0(VALU_DEP_1) | instskip(NEXT) | instid1(VALU_DEP_1)
	v_cndmask_b32_e64 v39, 0, 0xffffffe0, s4
	v_dual_mov_b32 v0, v32 :: v_dual_add_nc_u32 v39, v39, v37
	s_delay_alu instid0(VALU_DEP_1) | instskip(NEXT) | instid1(VALU_DEP_2)
	v_mad_u64_u32 v[32:33], null, 0xdb629599, v38, v[0:1]
	v_cmp_lt_u32_e64 s5, 31, v39
	s_delay_alu instid0(VALU_DEP_2) | instskip(NEXT) | instid1(VALU_DEP_3)
	v_mov_b32_e32 v0, v33
	v_cndmask_b32_e32 v30, v32, v30, vcc_lo
	s_delay_alu instid0(VALU_DEP_2) | instskip(NEXT) | instid1(VALU_DEP_1)
	v_mad_u64_u32 v[33:34], null, 0xf534ddc0, v38, v[0:1]
	v_dual_mov_b32 v0, v34 :: v_dual_cndmask_b32 v31, v33, v31
	s_delay_alu instid0(VALU_DEP_1) | instskip(NEXT) | instid1(VALU_DEP_2)
	v_mad_u64_u32 v[34:35], null, 0xfc2757d1, v38, v[0:1]
	v_cndmask_b32_e64 v30, v31, v30, s4
	s_delay_alu instid0(VALU_DEP_2) | instskip(NEXT) | instid1(VALU_DEP_1)
	v_mov_b32_e32 v0, v35
	v_mad_u64_u32 v[35:36], null, 0x4e441529, v38, v[0:1]
	s_delay_alu instid0(VALU_DEP_1) | instskip(NEXT) | instid1(VALU_DEP_1)
	v_mov_b32_e32 v0, v36
	v_mad_u64_u32 v[36:37], null, 0xa2f9836e, v38, v[0:1]
	v_cndmask_b32_e64 v0, 0, 0xffffffe0, s5
	s_delay_alu instid0(VALU_DEP_4) | instskip(NEXT) | instid1(VALU_DEP_2)
	v_cndmask_b32_e32 v38, v35, v33, vcc_lo
	v_add_nc_u32_e32 v0, v0, v39
	s_delay_alu instid0(VALU_DEP_4) | instskip(SKIP_1) | instid1(VALU_DEP_3)
	v_dual_cndmask_b32 v36, v36, v34 :: v_dual_cndmask_b32 v35, v37, v35
	v_cndmask_b32_e32 v34, v34, v32, vcc_lo
	v_sub_nc_u32_e32 v37, 32, v0
	s_delay_alu instid0(VALU_DEP_3) | instskip(NEXT) | instid1(VALU_DEP_4)
	v_cndmask_b32_e64 v33, v36, v38, s4
	v_cndmask_b32_e64 v35, v35, v36, s4
	s_delay_alu instid0(VALU_DEP_4) | instskip(SKIP_2) | instid1(VALU_DEP_4)
	v_cndmask_b32_e64 v36, v38, v34, s4
	v_cndmask_b32_e64 v34, v34, v31, s4
	v_cmp_eq_u32_e64 s6, 0, v0
	v_cndmask_b32_e64 v35, v35, v33, s5
	s_delay_alu instid0(VALU_DEP_4) | instskip(NEXT) | instid1(VALU_DEP_4)
	v_cndmask_b32_e64 v33, v33, v36, s5
	v_cndmask_b32_e64 v36, v36, v34, s5
	;; [unrolled: 1-line block ×3, first 2 shown]
	s_delay_alu instid0(VALU_DEP_3) | instskip(NEXT) | instid1(VALU_DEP_3)
	v_alignbit_b32 v38, v35, v33, v37
	v_alignbit_b32 v39, v33, v36, v37
	s_delay_alu instid0(VALU_DEP_3) | instskip(NEXT) | instid1(VALU_DEP_3)
	v_alignbit_b32 v37, v36, v30, v37
	v_cndmask_b32_e64 v0, v38, v35, s6
	s_delay_alu instid0(VALU_DEP_3) | instskip(NEXT) | instid1(VALU_DEP_3)
	v_cndmask_b32_e64 v32, v39, v33, s6
	v_cndmask_b32_e64 v36, v37, v36, s6
	s_delay_alu instid0(VALU_DEP_3) | instskip(NEXT) | instid1(VALU_DEP_3)
	v_bfe_u32 v33, v0, 29, 1
	v_alignbit_b32 v31, v0, v32, 30
	s_delay_alu instid0(VALU_DEP_3) | instskip(SKIP_1) | instid1(VALU_DEP_4)
	v_alignbit_b32 v32, v32, v36, 30
	v_alignbit_b32 v30, v36, v30, 30
	v_sub_nc_u32_e32 v35, 0, v33
	s_delay_alu instid0(VALU_DEP_1) | instskip(SKIP_3) | instid1(VALU_DEP_4)
	v_xor_b32_e32 v34, v31, v35
	v_cmp_ne_u32_e32 vcc_lo, v31, v35
	v_xor_b32_e32 v32, v32, v35
	v_xor_b32_e32 v30, v30, v35
	v_clz_i32_u32_e32 v38, v34
	s_delay_alu instid0(VALU_DEP_1) | instskip(NEXT) | instid1(VALU_DEP_1)
	v_add_nc_u32_e32 v37, 1, v38
	v_cndmask_b32_e32 v31, 33, v37, vcc_lo
	s_delay_alu instid0(VALU_DEP_1) | instskip(NEXT) | instid1(VALU_DEP_1)
	v_sub_nc_u32_e32 v36, 32, v31
	v_alignbit_b32 v34, v34, v32, v36
	v_alignbit_b32 v30, v32, v30, v36
	v_lshrrev_b32_e32 v32, 29, v0
	v_lshrrev_b32_e32 v0, 30, v0
	s_delay_alu instid0(VALU_DEP_3) | instskip(NEXT) | instid1(VALU_DEP_3)
	v_alignbit_b32 v35, v34, v30, 9
	v_lshlrev_b32_e32 v32, 31, v32
	v_alignbit_b32 v34, v31, v34, 9
	s_delay_alu instid0(VALU_DEP_3) | instskip(NEXT) | instid1(VALU_DEP_2)
	v_clz_i32_u32_e32 v36, v35
	v_or_b32_e32 v34, v34, v32
	v_or_b32_e32 v32, 0x33800000, v32
	s_delay_alu instid0(VALU_DEP_3) | instskip(NEXT) | instid1(VALU_DEP_3)
	v_min_u32_e32 v36, 32, v36
	v_xor_b32_e32 v34, 1.0, v34
	s_delay_alu instid0(VALU_DEP_2) | instskip(SKIP_1) | instid1(VALU_DEP_3)
	v_sub_nc_u32_e32 v37, 31, v36
	v_add_lshl_u32 v31, v36, v31, 23
	v_mul_f32_e32 v36, 0x3fc90fda, v34
	s_delay_alu instid0(VALU_DEP_3) | instskip(NEXT) | instid1(VALU_DEP_3)
	v_alignbit_b32 v30, v35, v30, v37
	v_sub_nc_u32_e32 v31, v32, v31
	s_delay_alu instid0(VALU_DEP_3) | instskip(NEXT) | instid1(VALU_DEP_3)
	v_fma_f32 v32, 0x3fc90fda, v34, -v36
	v_lshrrev_b32_e32 v30, 9, v30
	s_delay_alu instid0(VALU_DEP_2) | instskip(NEXT) | instid1(VALU_DEP_2)
	v_fmac_f32_e32 v32, 0x33a22168, v34
	v_or_b32_e32 v30, v31, v30
	s_delay_alu instid0(VALU_DEP_1) | instskip(NEXT) | instid1(VALU_DEP_1)
	v_dual_fmac_f32 v32, 0x3fc90fda, v30 :: v_dual_add_nc_u32 v31, v33, v0
	v_add_f32_e32 v30, v36, v32
	s_and_not1_saveexec_b32 s4, s31
	s_branch .LBB249_388
.LBB249_387:                            ;   in Loop: Header=BB249_217 Depth=1
	s_and_not1_saveexec_b32 s4, s31
.LBB249_388:                            ;   in Loop: Header=BB249_217 Depth=1
	v_mul_f32_e64 v0, 0x3f22f983, |v5|
	s_delay_alu instid0(VALU_DEP_1) | instskip(NEXT) | instid1(VALU_DEP_1)
	v_rndne_f32_e32 v0, v0
	v_fma_f32 v30, 0xbfc90fda, v0, |v5|
	v_cvt_i32_f32_e32 v31, v0
	s_delay_alu instid0(VALU_DEP_2) | instskip(NEXT) | instid1(VALU_DEP_1)
	v_fmac_f32_e32 v30, 0xb3a22168, v0
	v_fmac_f32_e32 v30, 0xa7c234c4, v0
; %bb.389:                              ;   in Loop: Header=BB249_217 Depth=1
	s_or_b32 exec_lo, exec_lo, s4
                                        ; implicit-def: $vgpr32
                                        ; implicit-def: $vgpr0
	s_and_saveexec_b32 s4, s30
	s_delay_alu instid0(SALU_CYCLE_1)
	s_xor_b32 s30, exec_lo, s4
	s_cbranch_execz .LBB249_391
; %bb.390:                              ;   in Loop: Header=BB249_217 Depth=1
	v_lshrrev_b32_e32 v37, 23, v29
	v_and_or_b32 v40, v29, s7, 0x800000
	s_delay_alu instid0(VALU_DEP_2) | instskip(NEXT) | instid1(VALU_DEP_2)
	v_add_nc_u32_e32 v38, 0xffffff88, v37
	v_mad_u64_u32 v[32:33], null, 0xfe5163ab, v40, 0
	s_delay_alu instid0(VALU_DEP_2) | instskip(SKIP_1) | instid1(VALU_DEP_1)
	v_cmp_lt_u32_e32 vcc_lo, 63, v38
	v_cndmask_b32_e64 v39, 0, 0xffffffc0, vcc_lo
	v_dual_mov_b32 v0, v33 :: v_dual_add_nc_u32 v39, v39, v38
	s_delay_alu instid0(VALU_DEP_1) | instskip(NEXT) | instid1(VALU_DEP_2)
	v_mad_u64_u32 v[33:34], null, 0x3c439041, v40, v[0:1]
	v_cmp_lt_u32_e64 s4, 31, v39
	s_delay_alu instid0(VALU_DEP_1) | instskip(NEXT) | instid1(VALU_DEP_1)
	v_cndmask_b32_e64 v41, 0, 0xffffffe0, s4
	v_dual_mov_b32 v0, v34 :: v_dual_add_nc_u32 v41, v41, v39
	s_delay_alu instid0(VALU_DEP_1) | instskip(NEXT) | instid1(VALU_DEP_2)
	v_mad_u64_u32 v[34:35], null, 0xdb629599, v40, v[0:1]
	v_cmp_lt_u32_e64 s5, 31, v41
	s_delay_alu instid0(VALU_DEP_2) | instskip(NEXT) | instid1(VALU_DEP_3)
	v_mov_b32_e32 v0, v35
	v_cndmask_b32_e32 v32, v34, v32, vcc_lo
	s_delay_alu instid0(VALU_DEP_2) | instskip(NEXT) | instid1(VALU_DEP_1)
	v_mad_u64_u32 v[35:36], null, 0xf534ddc0, v40, v[0:1]
	v_dual_mov_b32 v0, v36 :: v_dual_cndmask_b32 v33, v35, v33
	s_delay_alu instid0(VALU_DEP_1) | instskip(NEXT) | instid1(VALU_DEP_2)
	v_mad_u64_u32 v[36:37], null, 0xfc2757d1, v40, v[0:1]
	v_cndmask_b32_e64 v32, v33, v32, s4
	s_delay_alu instid0(VALU_DEP_2) | instskip(NEXT) | instid1(VALU_DEP_1)
	v_mov_b32_e32 v0, v37
	v_mad_u64_u32 v[37:38], null, 0x4e441529, v40, v[0:1]
	s_delay_alu instid0(VALU_DEP_1) | instskip(NEXT) | instid1(VALU_DEP_1)
	v_mov_b32_e32 v0, v38
	v_mad_u64_u32 v[38:39], null, 0xa2f9836e, v40, v[0:1]
	v_cndmask_b32_e64 v0, 0, 0xffffffe0, s5
	s_delay_alu instid0(VALU_DEP_4) | instskip(NEXT) | instid1(VALU_DEP_2)
	v_cndmask_b32_e32 v40, v37, v35, vcc_lo
	v_add_nc_u32_e32 v0, v0, v41
	s_delay_alu instid0(VALU_DEP_4) | instskip(SKIP_1) | instid1(VALU_DEP_3)
	v_dual_cndmask_b32 v38, v38, v36 :: v_dual_cndmask_b32 v37, v39, v37
	v_cndmask_b32_e32 v36, v36, v34, vcc_lo
	v_sub_nc_u32_e32 v39, 32, v0
	s_delay_alu instid0(VALU_DEP_3) | instskip(NEXT) | instid1(VALU_DEP_4)
	v_cndmask_b32_e64 v35, v38, v40, s4
	v_cndmask_b32_e64 v37, v37, v38, s4
	s_delay_alu instid0(VALU_DEP_4) | instskip(SKIP_2) | instid1(VALU_DEP_4)
	v_cndmask_b32_e64 v38, v40, v36, s4
	v_cndmask_b32_e64 v36, v36, v33, s4
	v_cmp_eq_u32_e64 s6, 0, v0
	v_cndmask_b32_e64 v37, v37, v35, s5
	s_delay_alu instid0(VALU_DEP_4) | instskip(NEXT) | instid1(VALU_DEP_4)
	v_cndmask_b32_e64 v35, v35, v38, s5
	v_cndmask_b32_e64 v38, v38, v36, s5
	v_cndmask_b32_e64 v32, v36, v32, s5
	s_delay_alu instid0(VALU_DEP_3) | instskip(NEXT) | instid1(VALU_DEP_3)
	v_alignbit_b32 v40, v37, v35, v39
	v_alignbit_b32 v41, v35, v38, v39
	s_delay_alu instid0(VALU_DEP_3) | instskip(NEXT) | instid1(VALU_DEP_3)
	v_alignbit_b32 v39, v38, v32, v39
	v_cndmask_b32_e64 v0, v40, v37, s6
	s_delay_alu instid0(VALU_DEP_3) | instskip(NEXT) | instid1(VALU_DEP_3)
	v_cndmask_b32_e64 v34, v41, v35, s6
	v_cndmask_b32_e64 v38, v39, v38, s6
	s_delay_alu instid0(VALU_DEP_3) | instskip(NEXT) | instid1(VALU_DEP_3)
	v_bfe_u32 v35, v0, 29, 1
	v_alignbit_b32 v33, v0, v34, 30
	s_delay_alu instid0(VALU_DEP_3) | instskip(SKIP_1) | instid1(VALU_DEP_4)
	v_alignbit_b32 v34, v34, v38, 30
	v_alignbit_b32 v32, v38, v32, 30
	v_sub_nc_u32_e32 v37, 0, v35
	s_delay_alu instid0(VALU_DEP_1) | instskip(SKIP_3) | instid1(VALU_DEP_4)
	v_xor_b32_e32 v36, v33, v37
	v_cmp_ne_u32_e32 vcc_lo, v33, v37
	v_xor_b32_e32 v34, v34, v37
	v_xor_b32_e32 v32, v32, v37
	v_clz_i32_u32_e32 v40, v36
	s_delay_alu instid0(VALU_DEP_1) | instskip(NEXT) | instid1(VALU_DEP_1)
	v_add_nc_u32_e32 v39, 1, v40
	v_cndmask_b32_e32 v33, 33, v39, vcc_lo
	s_delay_alu instid0(VALU_DEP_1) | instskip(NEXT) | instid1(VALU_DEP_1)
	v_sub_nc_u32_e32 v38, 32, v33
	v_alignbit_b32 v36, v36, v34, v38
	v_alignbit_b32 v32, v34, v32, v38
	v_lshrrev_b32_e32 v34, 29, v0
	s_delay_alu instid0(VALU_DEP_2) | instskip(NEXT) | instid1(VALU_DEP_2)
	v_alignbit_b32 v37, v36, v32, 9
	v_lshlrev_b32_e32 v34, 31, v34
	v_alignbit_b32 v36, v33, v36, 9
	s_delay_alu instid0(VALU_DEP_3) | instskip(NEXT) | instid1(VALU_DEP_2)
	v_clz_i32_u32_e32 v38, v37
	v_or_b32_e32 v36, v36, v34
	v_or_b32_e32 v34, 0x33800000, v34
	s_delay_alu instid0(VALU_DEP_3) | instskip(NEXT) | instid1(VALU_DEP_3)
	v_min_u32_e32 v38, 32, v38
	v_xor_b32_e32 v36, 1.0, v36
	s_delay_alu instid0(VALU_DEP_2) | instskip(SKIP_1) | instid1(VALU_DEP_3)
	v_sub_nc_u32_e32 v39, 31, v38
	v_add_lshl_u32 v33, v38, v33, 23
	v_mul_f32_e32 v38, 0x3fc90fda, v36
	s_delay_alu instid0(VALU_DEP_3) | instskip(NEXT) | instid1(VALU_DEP_3)
	v_alignbit_b32 v32, v37, v32, v39
	v_sub_nc_u32_e32 v33, v34, v33
	s_delay_alu instid0(VALU_DEP_3) | instskip(NEXT) | instid1(VALU_DEP_3)
	v_fma_f32 v34, 0x3fc90fda, v36, -v38
	v_lshrrev_b32_e32 v32, 9, v32
	s_delay_alu instid0(VALU_DEP_2) | instskip(NEXT) | instid1(VALU_DEP_2)
	v_fmac_f32_e32 v34, 0x33a22168, v36
	v_or_b32_e32 v32, v33, v32
	s_delay_alu instid0(VALU_DEP_1) | instskip(SKIP_1) | instid1(VALU_DEP_2)
	v_fmac_f32_e32 v34, 0x3fc90fda, v32
	v_lshrrev_b32_e32 v32, 30, v0
	v_add_f32_e32 v0, v38, v34
	s_delay_alu instid0(VALU_DEP_2)
	v_add_nc_u32_e32 v32, v35, v32
	s_and_not1_saveexec_b32 s4, s30
	s_cbranch_execnz .LBB249_392
	s_branch .LBB249_393
.LBB249_391:                            ;   in Loop: Header=BB249_217 Depth=1
	s_and_not1_saveexec_b32 s4, s30
.LBB249_392:                            ;   in Loop: Header=BB249_217 Depth=1
	v_mul_f32_e64 v0, 0x3f22f983, |v5|
	s_delay_alu instid0(VALU_DEP_1) | instskip(NEXT) | instid1(VALU_DEP_1)
	v_rndne_f32_e32 v32, v0
	v_fma_f32 v0, 0xbfc90fda, v32, |v5|
	s_delay_alu instid0(VALU_DEP_1) | instskip(NEXT) | instid1(VALU_DEP_1)
	v_fmac_f32_e32 v0, 0xb3a22168, v32
	v_fmac_f32_e32 v0, 0xa7c234c4, v32
	v_cvt_i32_f32_e32 v32, v32
.LBB249_393:                            ;   in Loop: Header=BB249_217 Depth=1
	s_or_b32 exec_lo, exec_lo, s4
	v_dual_mul_f32 v33, 0xbfb8aa3b, v4 :: v_dual_mul_f32 v34, v30, v30
	s_delay_alu instid0(VALU_DEP_3) | instskip(SKIP_1) | instid1(VALU_DEP_3)
	v_dual_mul_f32 v38, v0, v0 :: v_dual_and_b32 v35, 1, v31
	v_lshlrev_b32_e32 v31, 30, v31
	v_rndne_f32_e32 v36, v33
	s_delay_alu instid0(VALU_DEP_4) | instskip(SKIP_4) | instid1(VALU_DEP_4)
	v_fmaak_f32 v40, s24, v34, 0x3c0881c4
	v_fma_f32 v37, 0xbfb8aa3b, v4, -v33
	v_dual_fmaak_f32 v42, s24, v38, 0x3c0881c4 :: v_dual_and_b32 v39, 1, v32
	v_dual_fmaak_f32 v41, s25, v34, 0xbab64f3b :: v_dual_lshlrev_b32 v32, 30, v32
	v_sub_f32_e32 v33, v33, v36
	v_fmac_f32_e32 v37, 0xb2a5705f, v4
	v_cmp_eq_u32_e32 vcc_lo, 0, v35
	v_cvt_i32_f32_e32 v36, v36
	v_and_or_b32 v29, 0x80000000, v32, v29
	v_cmp_ngt_f32_e64 s4, 0xc2b17218, v4
	v_add_f32_e32 v33, v33, v37
	v_fmaak_f32 v37, v34, v40, 0xbe2aaa9d
	v_fmaak_f32 v40, v34, v41, 0x3d2aabf7
	s_delay_alu instid0(VALU_DEP_2) | instskip(NEXT) | instid1(VALU_DEP_2)
	v_mul_f32_e32 v37, v34, v37
	v_fmaak_f32 v40, v34, v40, 0xbf000004
	s_delay_alu instid0(VALU_DEP_2) | instskip(NEXT) | instid1(VALU_DEP_2)
	v_dual_fmaak_f32 v43, s25, v38, 0xbab64f3b :: v_dual_fmac_f32 v30, v30, v37
	v_fma_f32 v34, v34, v40, 1.0
	s_delay_alu instid0(VALU_DEP_1) | instskip(SKIP_4) | instid1(VALU_DEP_2)
	v_cndmask_b32_e64 v30, -v30, v34, vcc_lo
	v_cmp_eq_u32_e32 vcc_lo, 0, v39
	v_fmaak_f32 v41, v38, v42, 0xbe2aaa9d
	v_fmaak_f32 v42, v38, v43, 0x3d2aabf7
	v_exp_f32_e32 v33, v33
	v_mul_f32_e32 v41, v38, v41
	s_delay_alu instid0(VALU_DEP_2) | instskip(NEXT) | instid1(VALU_DEP_2)
	v_fmaak_f32 v42, v38, v42, 0xbf000004
	v_fmac_f32_e32 v0, v0, v41
	s_delay_alu instid0(VALU_DEP_2) | instskip(SKIP_4) | instid1(VALU_DEP_2)
	v_fma_f32 v37, v38, v42, 1.0
	s_waitcnt_depctr 0xfff
	v_ldexp_f32 v33, v33, v36
	v_cndmask_b32_e32 v0, v37, v0, vcc_lo
	v_cmp_nlt_f32_e32 vcc_lo, 0x42ce8ed0, v4
	v_xor3_b32 v0, v29, v0, v28
	s_delay_alu instid0(VALU_DEP_4) | instskip(SKIP_1) | instid1(VALU_DEP_2)
	v_cndmask_b32_e32 v32, 0, v33, vcc_lo
	v_cmp_class_f32_e64 vcc_lo, v5, 0x1f8
                                        ; implicit-def: $vgpr29
	v_cndmask_b32_e64 v4, 0x7f800000, v32, s4
	v_and_b32_e32 v31, 0x80000000, v31
	v_cndmask_b32_e32 v28, 0x7fc00000, v0, vcc_lo
	s_delay_alu instid0(VALU_DEP_2) | instskip(NEXT) | instid1(VALU_DEP_1)
	v_xor_b32_e32 v30, v31, v30
	v_dual_mul_f32 v28, v4, v28 :: v_dual_cndmask_b32 v5, 0x7fc00000, v30
	s_delay_alu instid0(VALU_DEP_1)
	v_mul_f32_e32 v0, v4, v5
                                        ; implicit-def: $vgpr5
.LBB249_394:                            ;   in Loop: Header=BB249_217 Depth=1
	s_and_not1_saveexec_b32 s29, s29
	s_cbranch_execz .LBB249_404
; %bb.395:                              ;   in Loop: Header=BB249_217 Depth=1
	v_cmp_ngt_f32_e64 s30, 0x48000000, |v5|
                                        ; implicit-def: $vgpr31
                                        ; implicit-def: $vgpr30
	s_delay_alu instid0(VALU_DEP_1) | instskip(NEXT) | instid1(SALU_CYCLE_1)
	s_and_saveexec_b32 s4, s30
	s_xor_b32 s31, exec_lo, s4
	s_cbranch_execz .LBB249_397
; %bb.396:                              ;   in Loop: Header=BB249_217 Depth=1
	v_lshrrev_b32_e32 v35, 23, v29
	v_and_or_b32 v38, v29, s7, 0x800000
	s_delay_alu instid0(VALU_DEP_2) | instskip(NEXT) | instid1(VALU_DEP_2)
	v_add_nc_u32_e32 v36, 0xffffff88, v35
	v_mad_u64_u32 v[30:31], null, 0xfe5163ab, v38, 0
	s_delay_alu instid0(VALU_DEP_2) | instskip(SKIP_1) | instid1(VALU_DEP_1)
	v_cmp_lt_u32_e32 vcc_lo, 63, v36
	v_cndmask_b32_e64 v37, 0, 0xffffffc0, vcc_lo
	v_dual_mov_b32 v0, v31 :: v_dual_add_nc_u32 v37, v37, v36
	s_delay_alu instid0(VALU_DEP_1) | instskip(NEXT) | instid1(VALU_DEP_2)
	v_mad_u64_u32 v[31:32], null, 0x3c439041, v38, v[0:1]
	v_cmp_lt_u32_e64 s4, 31, v37
	s_delay_alu instid0(VALU_DEP_1) | instskip(NEXT) | instid1(VALU_DEP_1)
	v_cndmask_b32_e64 v39, 0, 0xffffffe0, s4
	v_dual_mov_b32 v0, v32 :: v_dual_add_nc_u32 v39, v39, v37
	s_delay_alu instid0(VALU_DEP_1) | instskip(NEXT) | instid1(VALU_DEP_2)
	v_mad_u64_u32 v[32:33], null, 0xdb629599, v38, v[0:1]
	v_cmp_lt_u32_e64 s5, 31, v39
	s_delay_alu instid0(VALU_DEP_2) | instskip(NEXT) | instid1(VALU_DEP_3)
	v_mov_b32_e32 v0, v33
	v_cndmask_b32_e32 v30, v32, v30, vcc_lo
	s_delay_alu instid0(VALU_DEP_2) | instskip(NEXT) | instid1(VALU_DEP_1)
	v_mad_u64_u32 v[33:34], null, 0xf534ddc0, v38, v[0:1]
	v_dual_mov_b32 v0, v34 :: v_dual_cndmask_b32 v31, v33, v31
	s_delay_alu instid0(VALU_DEP_1) | instskip(NEXT) | instid1(VALU_DEP_2)
	v_mad_u64_u32 v[34:35], null, 0xfc2757d1, v38, v[0:1]
	v_cndmask_b32_e64 v30, v31, v30, s4
	s_delay_alu instid0(VALU_DEP_2) | instskip(NEXT) | instid1(VALU_DEP_1)
	v_mov_b32_e32 v0, v35
	v_mad_u64_u32 v[35:36], null, 0x4e441529, v38, v[0:1]
	s_delay_alu instid0(VALU_DEP_1) | instskip(NEXT) | instid1(VALU_DEP_1)
	v_mov_b32_e32 v0, v36
	v_mad_u64_u32 v[36:37], null, 0xa2f9836e, v38, v[0:1]
	v_cndmask_b32_e64 v0, 0, 0xffffffe0, s5
	s_delay_alu instid0(VALU_DEP_4) | instskip(NEXT) | instid1(VALU_DEP_2)
	v_cndmask_b32_e32 v38, v35, v33, vcc_lo
	v_add_nc_u32_e32 v0, v0, v39
	s_delay_alu instid0(VALU_DEP_4) | instskip(SKIP_1) | instid1(VALU_DEP_3)
	v_dual_cndmask_b32 v36, v36, v34 :: v_dual_cndmask_b32 v35, v37, v35
	v_cndmask_b32_e32 v34, v34, v32, vcc_lo
	v_sub_nc_u32_e32 v37, 32, v0
	s_delay_alu instid0(VALU_DEP_3) | instskip(NEXT) | instid1(VALU_DEP_4)
	v_cndmask_b32_e64 v33, v36, v38, s4
	v_cndmask_b32_e64 v35, v35, v36, s4
	s_delay_alu instid0(VALU_DEP_4) | instskip(SKIP_2) | instid1(VALU_DEP_4)
	v_cndmask_b32_e64 v36, v38, v34, s4
	v_cndmask_b32_e64 v34, v34, v31, s4
	v_cmp_eq_u32_e64 s6, 0, v0
	v_cndmask_b32_e64 v35, v35, v33, s5
	s_delay_alu instid0(VALU_DEP_4) | instskip(NEXT) | instid1(VALU_DEP_4)
	v_cndmask_b32_e64 v33, v33, v36, s5
	v_cndmask_b32_e64 v36, v36, v34, s5
	;; [unrolled: 1-line block ×3, first 2 shown]
	s_delay_alu instid0(VALU_DEP_3) | instskip(NEXT) | instid1(VALU_DEP_3)
	v_alignbit_b32 v38, v35, v33, v37
	v_alignbit_b32 v39, v33, v36, v37
	s_delay_alu instid0(VALU_DEP_3) | instskip(NEXT) | instid1(VALU_DEP_3)
	v_alignbit_b32 v37, v36, v30, v37
	v_cndmask_b32_e64 v0, v38, v35, s6
	s_delay_alu instid0(VALU_DEP_3) | instskip(NEXT) | instid1(VALU_DEP_3)
	v_cndmask_b32_e64 v32, v39, v33, s6
	v_cndmask_b32_e64 v36, v37, v36, s6
	s_delay_alu instid0(VALU_DEP_3) | instskip(NEXT) | instid1(VALU_DEP_3)
	v_bfe_u32 v33, v0, 29, 1
	v_alignbit_b32 v31, v0, v32, 30
	s_delay_alu instid0(VALU_DEP_3) | instskip(SKIP_1) | instid1(VALU_DEP_4)
	v_alignbit_b32 v32, v32, v36, 30
	v_alignbit_b32 v30, v36, v30, 30
	v_sub_nc_u32_e32 v35, 0, v33
	s_delay_alu instid0(VALU_DEP_1) | instskip(SKIP_3) | instid1(VALU_DEP_4)
	v_xor_b32_e32 v34, v31, v35
	v_cmp_ne_u32_e32 vcc_lo, v31, v35
	v_xor_b32_e32 v32, v32, v35
	v_xor_b32_e32 v30, v30, v35
	v_clz_i32_u32_e32 v38, v34
	s_delay_alu instid0(VALU_DEP_1) | instskip(NEXT) | instid1(VALU_DEP_1)
	v_add_nc_u32_e32 v37, 1, v38
	v_cndmask_b32_e32 v31, 33, v37, vcc_lo
	s_delay_alu instid0(VALU_DEP_1) | instskip(NEXT) | instid1(VALU_DEP_1)
	v_sub_nc_u32_e32 v36, 32, v31
	v_alignbit_b32 v34, v34, v32, v36
	v_alignbit_b32 v30, v32, v30, v36
	v_lshrrev_b32_e32 v32, 29, v0
	v_lshrrev_b32_e32 v0, 30, v0
	s_delay_alu instid0(VALU_DEP_3) | instskip(NEXT) | instid1(VALU_DEP_3)
	v_alignbit_b32 v35, v34, v30, 9
	v_lshlrev_b32_e32 v32, 31, v32
	v_alignbit_b32 v34, v31, v34, 9
	s_delay_alu instid0(VALU_DEP_3) | instskip(NEXT) | instid1(VALU_DEP_2)
	v_clz_i32_u32_e32 v36, v35
	v_or_b32_e32 v34, v34, v32
	v_or_b32_e32 v32, 0x33800000, v32
	s_delay_alu instid0(VALU_DEP_3) | instskip(NEXT) | instid1(VALU_DEP_3)
	v_min_u32_e32 v36, 32, v36
	v_xor_b32_e32 v34, 1.0, v34
	s_delay_alu instid0(VALU_DEP_2) | instskip(SKIP_1) | instid1(VALU_DEP_3)
	v_sub_nc_u32_e32 v37, 31, v36
	v_add_lshl_u32 v31, v36, v31, 23
	v_mul_f32_e32 v36, 0x3fc90fda, v34
	s_delay_alu instid0(VALU_DEP_3) | instskip(NEXT) | instid1(VALU_DEP_3)
	v_alignbit_b32 v30, v35, v30, v37
	v_sub_nc_u32_e32 v31, v32, v31
	s_delay_alu instid0(VALU_DEP_3) | instskip(NEXT) | instid1(VALU_DEP_3)
	v_fma_f32 v32, 0x3fc90fda, v34, -v36
	v_lshrrev_b32_e32 v30, 9, v30
	s_delay_alu instid0(VALU_DEP_2) | instskip(NEXT) | instid1(VALU_DEP_2)
	v_fmac_f32_e32 v32, 0x33a22168, v34
	v_or_b32_e32 v30, v31, v30
	s_delay_alu instid0(VALU_DEP_1) | instskip(NEXT) | instid1(VALU_DEP_1)
	v_dual_fmac_f32 v32, 0x3fc90fda, v30 :: v_dual_add_nc_u32 v31, v33, v0
	v_add_f32_e32 v30, v36, v32
	s_and_not1_saveexec_b32 s4, s31
	s_branch .LBB249_398
.LBB249_397:                            ;   in Loop: Header=BB249_217 Depth=1
	s_and_not1_saveexec_b32 s4, s31
.LBB249_398:                            ;   in Loop: Header=BB249_217 Depth=1
	v_mul_f32_e64 v0, 0x3f22f983, |v5|
	s_delay_alu instid0(VALU_DEP_1) | instskip(NEXT) | instid1(VALU_DEP_1)
	v_rndne_f32_e32 v0, v0
	v_fma_f32 v30, 0xbfc90fda, v0, |v5|
	v_cvt_i32_f32_e32 v31, v0
	s_delay_alu instid0(VALU_DEP_2) | instskip(NEXT) | instid1(VALU_DEP_1)
	v_fmac_f32_e32 v30, 0xb3a22168, v0
	v_fmac_f32_e32 v30, 0xa7c234c4, v0
; %bb.399:                              ;   in Loop: Header=BB249_217 Depth=1
	s_or_b32 exec_lo, exec_lo, s4
                                        ; implicit-def: $vgpr32
                                        ; implicit-def: $vgpr0
	s_and_saveexec_b32 s4, s30
	s_delay_alu instid0(SALU_CYCLE_1)
	s_xor_b32 s30, exec_lo, s4
	s_cbranch_execz .LBB249_401
; %bb.400:                              ;   in Loop: Header=BB249_217 Depth=1
	v_lshrrev_b32_e32 v37, 23, v29
	v_and_or_b32 v40, v29, s7, 0x800000
	s_delay_alu instid0(VALU_DEP_2) | instskip(NEXT) | instid1(VALU_DEP_2)
	v_add_nc_u32_e32 v38, 0xffffff88, v37
	v_mad_u64_u32 v[32:33], null, 0xfe5163ab, v40, 0
	s_delay_alu instid0(VALU_DEP_2) | instskip(SKIP_1) | instid1(VALU_DEP_1)
	v_cmp_lt_u32_e32 vcc_lo, 63, v38
	v_cndmask_b32_e64 v39, 0, 0xffffffc0, vcc_lo
	v_dual_mov_b32 v0, v33 :: v_dual_add_nc_u32 v39, v39, v38
	s_delay_alu instid0(VALU_DEP_1) | instskip(NEXT) | instid1(VALU_DEP_2)
	v_mad_u64_u32 v[33:34], null, 0x3c439041, v40, v[0:1]
	v_cmp_lt_u32_e64 s4, 31, v39
	s_delay_alu instid0(VALU_DEP_1) | instskip(NEXT) | instid1(VALU_DEP_1)
	v_cndmask_b32_e64 v41, 0, 0xffffffe0, s4
	v_dual_mov_b32 v0, v34 :: v_dual_add_nc_u32 v41, v41, v39
	s_delay_alu instid0(VALU_DEP_1) | instskip(NEXT) | instid1(VALU_DEP_2)
	v_mad_u64_u32 v[34:35], null, 0xdb629599, v40, v[0:1]
	v_cmp_lt_u32_e64 s5, 31, v41
	s_delay_alu instid0(VALU_DEP_2) | instskip(NEXT) | instid1(VALU_DEP_3)
	v_mov_b32_e32 v0, v35
	v_cndmask_b32_e32 v32, v34, v32, vcc_lo
	s_delay_alu instid0(VALU_DEP_2) | instskip(NEXT) | instid1(VALU_DEP_1)
	v_mad_u64_u32 v[35:36], null, 0xf534ddc0, v40, v[0:1]
	v_dual_mov_b32 v0, v36 :: v_dual_cndmask_b32 v33, v35, v33
	s_delay_alu instid0(VALU_DEP_1) | instskip(NEXT) | instid1(VALU_DEP_2)
	v_mad_u64_u32 v[36:37], null, 0xfc2757d1, v40, v[0:1]
	v_cndmask_b32_e64 v32, v33, v32, s4
	s_delay_alu instid0(VALU_DEP_2) | instskip(NEXT) | instid1(VALU_DEP_1)
	v_mov_b32_e32 v0, v37
	v_mad_u64_u32 v[37:38], null, 0x4e441529, v40, v[0:1]
	s_delay_alu instid0(VALU_DEP_1) | instskip(NEXT) | instid1(VALU_DEP_1)
	v_mov_b32_e32 v0, v38
	v_mad_u64_u32 v[38:39], null, 0xa2f9836e, v40, v[0:1]
	v_cndmask_b32_e64 v0, 0, 0xffffffe0, s5
	s_delay_alu instid0(VALU_DEP_4) | instskip(NEXT) | instid1(VALU_DEP_2)
	v_cndmask_b32_e32 v40, v37, v35, vcc_lo
	v_add_nc_u32_e32 v0, v0, v41
	s_delay_alu instid0(VALU_DEP_4) | instskip(SKIP_1) | instid1(VALU_DEP_3)
	v_dual_cndmask_b32 v38, v38, v36 :: v_dual_cndmask_b32 v37, v39, v37
	v_cndmask_b32_e32 v36, v36, v34, vcc_lo
	v_sub_nc_u32_e32 v39, 32, v0
	s_delay_alu instid0(VALU_DEP_3) | instskip(NEXT) | instid1(VALU_DEP_4)
	v_cndmask_b32_e64 v35, v38, v40, s4
	v_cndmask_b32_e64 v37, v37, v38, s4
	s_delay_alu instid0(VALU_DEP_4) | instskip(SKIP_2) | instid1(VALU_DEP_4)
	v_cndmask_b32_e64 v38, v40, v36, s4
	v_cndmask_b32_e64 v36, v36, v33, s4
	v_cmp_eq_u32_e64 s6, 0, v0
	v_cndmask_b32_e64 v37, v37, v35, s5
	s_delay_alu instid0(VALU_DEP_4) | instskip(NEXT) | instid1(VALU_DEP_4)
	v_cndmask_b32_e64 v35, v35, v38, s5
	v_cndmask_b32_e64 v38, v38, v36, s5
	;; [unrolled: 1-line block ×3, first 2 shown]
	s_delay_alu instid0(VALU_DEP_3) | instskip(NEXT) | instid1(VALU_DEP_3)
	v_alignbit_b32 v40, v37, v35, v39
	v_alignbit_b32 v41, v35, v38, v39
	s_delay_alu instid0(VALU_DEP_3) | instskip(NEXT) | instid1(VALU_DEP_3)
	v_alignbit_b32 v39, v38, v32, v39
	v_cndmask_b32_e64 v0, v40, v37, s6
	s_delay_alu instid0(VALU_DEP_3) | instskip(NEXT) | instid1(VALU_DEP_3)
	v_cndmask_b32_e64 v34, v41, v35, s6
	v_cndmask_b32_e64 v38, v39, v38, s6
	s_delay_alu instid0(VALU_DEP_3) | instskip(NEXT) | instid1(VALU_DEP_3)
	v_bfe_u32 v35, v0, 29, 1
	v_alignbit_b32 v33, v0, v34, 30
	s_delay_alu instid0(VALU_DEP_3) | instskip(SKIP_1) | instid1(VALU_DEP_4)
	v_alignbit_b32 v34, v34, v38, 30
	v_alignbit_b32 v32, v38, v32, 30
	v_sub_nc_u32_e32 v37, 0, v35
	s_delay_alu instid0(VALU_DEP_1) | instskip(SKIP_3) | instid1(VALU_DEP_4)
	v_xor_b32_e32 v36, v33, v37
	v_cmp_ne_u32_e32 vcc_lo, v33, v37
	v_xor_b32_e32 v34, v34, v37
	v_xor_b32_e32 v32, v32, v37
	v_clz_i32_u32_e32 v40, v36
	s_delay_alu instid0(VALU_DEP_1) | instskip(NEXT) | instid1(VALU_DEP_1)
	v_add_nc_u32_e32 v39, 1, v40
	v_cndmask_b32_e32 v33, 33, v39, vcc_lo
	s_delay_alu instid0(VALU_DEP_1) | instskip(NEXT) | instid1(VALU_DEP_1)
	v_sub_nc_u32_e32 v38, 32, v33
	v_alignbit_b32 v36, v36, v34, v38
	v_alignbit_b32 v32, v34, v32, v38
	v_lshrrev_b32_e32 v34, 29, v0
	s_delay_alu instid0(VALU_DEP_2) | instskip(NEXT) | instid1(VALU_DEP_2)
	v_alignbit_b32 v37, v36, v32, 9
	v_lshlrev_b32_e32 v34, 31, v34
	v_alignbit_b32 v36, v33, v36, 9
	s_delay_alu instid0(VALU_DEP_3) | instskip(NEXT) | instid1(VALU_DEP_2)
	v_clz_i32_u32_e32 v38, v37
	v_or_b32_e32 v36, v36, v34
	v_or_b32_e32 v34, 0x33800000, v34
	s_delay_alu instid0(VALU_DEP_3) | instskip(NEXT) | instid1(VALU_DEP_3)
	v_min_u32_e32 v38, 32, v38
	v_xor_b32_e32 v36, 1.0, v36
	s_delay_alu instid0(VALU_DEP_2) | instskip(SKIP_1) | instid1(VALU_DEP_3)
	v_sub_nc_u32_e32 v39, 31, v38
	v_add_lshl_u32 v33, v38, v33, 23
	v_mul_f32_e32 v38, 0x3fc90fda, v36
	s_delay_alu instid0(VALU_DEP_3) | instskip(NEXT) | instid1(VALU_DEP_3)
	v_alignbit_b32 v32, v37, v32, v39
	v_sub_nc_u32_e32 v33, v34, v33
	s_delay_alu instid0(VALU_DEP_3) | instskip(NEXT) | instid1(VALU_DEP_3)
	v_fma_f32 v34, 0x3fc90fda, v36, -v38
	v_lshrrev_b32_e32 v32, 9, v32
	s_delay_alu instid0(VALU_DEP_2) | instskip(NEXT) | instid1(VALU_DEP_2)
	v_fmac_f32_e32 v34, 0x33a22168, v36
	v_or_b32_e32 v32, v33, v32
	s_delay_alu instid0(VALU_DEP_1) | instskip(SKIP_1) | instid1(VALU_DEP_2)
	v_fmac_f32_e32 v34, 0x3fc90fda, v32
	v_lshrrev_b32_e32 v32, 30, v0
	v_add_f32_e32 v0, v38, v34
	s_delay_alu instid0(VALU_DEP_2)
	v_add_nc_u32_e32 v32, v35, v32
	s_and_not1_saveexec_b32 s4, s30
	s_cbranch_execnz .LBB249_402
	s_branch .LBB249_403
.LBB249_401:                            ;   in Loop: Header=BB249_217 Depth=1
	s_and_not1_saveexec_b32 s4, s30
.LBB249_402:                            ;   in Loop: Header=BB249_217 Depth=1
	v_mul_f32_e64 v0, 0x3f22f983, |v5|
	s_delay_alu instid0(VALU_DEP_1) | instskip(NEXT) | instid1(VALU_DEP_1)
	v_rndne_f32_e32 v32, v0
	v_fma_f32 v0, 0xbfc90fda, v32, |v5|
	s_delay_alu instid0(VALU_DEP_1) | instskip(NEXT) | instid1(VALU_DEP_1)
	v_fmac_f32_e32 v0, 0xb3a22168, v32
	v_fmac_f32_e32 v0, 0xa7c234c4, v32
	v_cvt_i32_f32_e32 v32, v32
.LBB249_403:                            ;   in Loop: Header=BB249_217 Depth=1
	s_or_b32 exec_lo, exec_lo, s4
	v_sub_f32_e32 v4, 0xc322e3bc, v4
	s_delay_alu instid0(VALU_DEP_1) | instskip(NEXT) | instid1(VALU_DEP_1)
	v_dual_mul_f32 v36, v30, v30 :: v_dual_mul_f32 v33, 0x3fb8aa3b, v4
	v_fmaak_f32 v38, s25, v36, 0xbab64f3b
	s_delay_alu instid0(VALU_DEP_2) | instskip(SKIP_1) | instid1(VALU_DEP_1)
	v_fma_f32 v34, 0x3fb8aa3b, v4, -v33
	v_rndne_f32_e32 v35, v33
	v_dual_sub_f32 v33, v33, v35 :: v_dual_fmac_f32 v34, 0x32a5705f, v4
	v_cmp_ngt_f32_e32 vcc_lo, 0xc2ce8ed0, v4
	s_delay_alu instid0(VALU_DEP_2) | instskip(SKIP_3) | instid1(VALU_DEP_4)
	v_add_f32_e32 v33, v33, v34
	v_cvt_i32_f32_e32 v34, v35
	v_lshlrev_b32_e32 v35, 30, v31
	v_and_b32_e32 v31, 1, v31
	v_exp_f32_e32 v33, v33
	s_waitcnt_depctr 0xfff
	v_ldexp_f32 v33, v33, v34
	v_and_b32_e32 v34, 1, v32
	s_delay_alu instid0(VALU_DEP_2) | instskip(SKIP_2) | instid1(VALU_DEP_3)
	v_dual_cndmask_b32 v33, 0, v33 :: v_dual_lshlrev_b32 v32, 30, v32
	v_cmp_nlt_f32_e32 vcc_lo, 0x42b17218, v4
	v_mul_f32_e32 v37, v0, v0
	v_and_or_b32 v29, 0x80000000, v32, v29
	s_delay_alu instid0(VALU_DEP_4) | instskip(NEXT) | instid1(VALU_DEP_3)
	v_cndmask_b32_e32 v4, 0x7f800000, v33, vcc_lo
	v_dual_fmaak_f32 v39, s24, v36, 0x3c0881c4 :: v_dual_fmaak_f32 v40, s24, v37, 0x3c0881c4
	v_cmp_eq_u32_e32 vcc_lo, 0, v31
	s_delay_alu instid0(VALU_DEP_2) | instskip(NEXT) | instid1(VALU_DEP_1)
	v_fmaak_f32 v40, v37, v40, 0xbe2aaa9d
	v_dual_fmaak_f32 v33, s25, v37, 0xbab64f3b :: v_dual_mul_f32 v40, v37, v40
	s_delay_alu instid0(VALU_DEP_1) | instskip(SKIP_3) | instid1(VALU_DEP_4)
	v_dual_fmaak_f32 v32, v36, v38, 0x3d2aabf7 :: v_dual_fmaak_f32 v33, v37, v33, 0x3d2aabf7
	v_fmaak_f32 v38, v36, v39, 0xbe2aaa9d
	v_and_b32_e32 v35, 0x80000000, v35
	v_lshrrev_b32_e32 v39, 23, v4
	v_dual_fmaak_f32 v32, v36, v32, 0xbf000004 :: v_dual_fmaak_f32 v33, v37, v33, 0xbf000004
	s_delay_alu instid0(VALU_DEP_4) | instskip(SKIP_1) | instid1(VALU_DEP_4)
	v_mul_f32_e32 v38, v36, v38
	v_and_or_b32 v4, 0x7fffff, v4, s26
	v_subrev_nc_u32_e32 v39, 19, v39
	s_delay_alu instid0(VALU_DEP_4) | instskip(SKIP_2) | instid1(VALU_DEP_4)
	v_fma_f32 v32, v36, v32, 1.0
	v_fma_f32 v33, v37, v33, 1.0
	v_fmac_f32_e32 v30, v30, v38
	v_lshrrev_b16 v36, 15, v39
	s_delay_alu instid0(VALU_DEP_2) | instskip(SKIP_1) | instid1(VALU_DEP_3)
	v_cndmask_b32_e64 v30, -v30, v32, vcc_lo
	v_cmp_eq_u32_e32 vcc_lo, 0, v34
	v_add_nc_u16 v31, v39, v36
	s_delay_alu instid0(VALU_DEP_3) | instskip(SKIP_1) | instid1(VALU_DEP_3)
	v_xor_b32_e32 v30, v35, v30
	v_fmac_f32_e32 v0, v0, v40
	v_ashrrev_i16 v31, 1, v31
	s_delay_alu instid0(VALU_DEP_2) | instskip(SKIP_1) | instid1(VALU_DEP_2)
	v_cndmask_b32_e32 v0, v33, v0, vcc_lo
	v_cmp_class_f32_e64 vcc_lo, v5, 0x1f8
	v_xor3_b32 v0, v29, v0, v28
	v_cndmask_b32_e32 v5, 0x7fc00000, v30, vcc_lo
	v_bfe_i32 v28, v31, 0, 16
	s_delay_alu instid0(VALU_DEP_3) | instskip(NEXT) | instid1(VALU_DEP_3)
	v_cndmask_b32_e32 v0, 0x7fc00000, v0, vcc_lo
	v_mul_f32_e32 v5, v5, v4
	s_delay_alu instid0(VALU_DEP_3) | instskip(SKIP_1) | instid1(VALU_DEP_4)
	v_lshl_add_u32 v29, v28, 23, 1.0
	v_sub_nc_u32_e32 v28, v39, v28
	v_mul_f32_e32 v0, v0, v4
	s_delay_alu instid0(VALU_DEP_3) | instskip(NEXT) | instid1(VALU_DEP_3)
	v_mul_f32_e32 v4, v5, v29
	v_lshl_add_u32 v5, v28, 23, 1.0
	s_delay_alu instid0(VALU_DEP_3) | instskip(NEXT) | instid1(VALU_DEP_2)
	v_mul_f32_e32 v28, v0, v29
	v_mul_f32_e32 v0, v4, v5
	s_delay_alu instid0(VALU_DEP_2)
	v_mul_f32_e32 v28, v28, v5
.LBB249_404:                            ;   in Loop: Header=BB249_217 Depth=1
	s_or_b32 exec_lo, exec_lo, s29
                                        ; implicit-def: $vgpr30
                                        ; implicit-def: $vgpr5
                                        ; implicit-def: $vgpr31
.LBB249_405:                            ;   in Loop: Header=BB249_217 Depth=1
	s_and_not1_saveexec_b32 s4, s28
	s_cbranch_execz .LBB249_411
; %bb.406:                              ;   in Loop: Header=BB249_217 Depth=1
	s_mov_b32 s5, exec_lo
                                        ; implicit-def: $vgpr28
	v_cmpx_ne_u32_e32 0x7f800000, v31
	s_xor_b32 s5, exec_lo, s5
; %bb.407:                              ;   in Loop: Header=BB249_217 Depth=1
	v_sub_f32_e32 v28, v5, v5
                                        ; implicit-def: $vgpr30
                                        ; implicit-def: $vgpr5
; %bb.408:                              ;   in Loop: Header=BB249_217 Depth=1
	s_or_saveexec_b32 s5, s5
	s_delay_alu instid0(VALU_DEP_1)
	v_mov_b32_e32 v0, v28
	s_xor_b32 exec_lo, exec_lo, s5
; %bb.409:                              ;   in Loop: Header=BB249_217 Depth=1
	v_sub_f32_e32 v5, v5, v5
	v_cmp_lt_i32_e32 vcc_lo, -1, v30
	v_cndmask_b32_e64 v0, 0, -v4, vcc_lo
	s_delay_alu instid0(VALU_DEP_3)
	v_cndmask_b32_e32 v28, 0, v5, vcc_lo
; %bb.410:                              ;   in Loop: Header=BB249_217 Depth=1
	s_or_b32 exec_lo, exec_lo, s5
.LBB249_411:                            ;   in Loop: Header=BB249_217 Depth=1
	s_delay_alu instid0(SALU_CYCLE_1)
	s_or_b32 exec_lo, exec_lo, s4
                                        ; implicit-def: $vgpr5
                                        ; implicit-def: $vgpr29
.LBB249_412:                            ;   in Loop: Header=BB249_217 Depth=1
	s_and_not1_saveexec_b32 s27, s27
	s_cbranch_execz .LBB249_422
; %bb.413:                              ;   in Loop: Header=BB249_217 Depth=1
	v_cmp_ngt_f32_e64 s28, 0x48000000, |v5|
                                        ; implicit-def: $vgpr30
                                        ; implicit-def: $vgpr4
	s_delay_alu instid0(VALU_DEP_1) | instskip(NEXT) | instid1(SALU_CYCLE_1)
	s_and_saveexec_b32 s4, s28
	s_xor_b32 s29, exec_lo, s4
	s_cbranch_execz .LBB249_415
; %bb.414:                              ;   in Loop: Header=BB249_217 Depth=1
	v_lshrrev_b32_e32 v35, 23, v29
	v_and_or_b32 v4, v29, s7, 0x800000
	s_delay_alu instid0(VALU_DEP_2) | instskip(NEXT) | instid1(VALU_DEP_2)
	v_add_nc_u32_e32 v36, 0xffffff88, v35
	v_mad_u64_u32 v[30:31], null, 0xfe5163ab, v4, 0
	s_delay_alu instid0(VALU_DEP_2) | instskip(SKIP_1) | instid1(VALU_DEP_1)
	v_cmp_lt_u32_e32 vcc_lo, 63, v36
	v_cndmask_b32_e64 v37, 0, 0xffffffc0, vcc_lo
	v_dual_mov_b32 v0, v31 :: v_dual_add_nc_u32 v37, v37, v36
	s_delay_alu instid0(VALU_DEP_1) | instskip(NEXT) | instid1(VALU_DEP_2)
	v_mad_u64_u32 v[31:32], null, 0x3c439041, v4, v[0:1]
	v_cmp_lt_u32_e64 s4, 31, v37
	s_delay_alu instid0(VALU_DEP_2) | instskip(NEXT) | instid1(VALU_DEP_2)
	v_mov_b32_e32 v0, v32
	v_cndmask_b32_e64 v38, 0, 0xffffffe0, s4
	s_delay_alu instid0(VALU_DEP_2) | instskip(NEXT) | instid1(VALU_DEP_2)
	v_mad_u64_u32 v[32:33], null, 0xdb629599, v4, v[0:1]
	v_add_nc_u32_e32 v38, v38, v37
	s_delay_alu instid0(VALU_DEP_1) | instskip(NEXT) | instid1(VALU_DEP_3)
	v_cmp_lt_u32_e64 s5, 31, v38
	v_mov_b32_e32 v0, v33
	s_delay_alu instid0(VALU_DEP_4) | instskip(NEXT) | instid1(VALU_DEP_2)
	v_cndmask_b32_e32 v30, v32, v30, vcc_lo
	v_mad_u64_u32 v[33:34], null, 0xf534ddc0, v4, v[0:1]
	s_delay_alu instid0(VALU_DEP_1) | instskip(NEXT) | instid1(VALU_DEP_1)
	v_dual_mov_b32 v0, v34 :: v_dual_cndmask_b32 v31, v33, v31
	v_mad_u64_u32 v[34:35], null, 0xfc2757d1, v4, v[0:1]
	s_delay_alu instid0(VALU_DEP_2) | instskip(NEXT) | instid1(VALU_DEP_2)
	v_cndmask_b32_e64 v30, v31, v30, s4
	v_mov_b32_e32 v0, v35
	s_delay_alu instid0(VALU_DEP_1) | instskip(NEXT) | instid1(VALU_DEP_1)
	v_mad_u64_u32 v[35:36], null, 0x4e441529, v4, v[0:1]
	v_mov_b32_e32 v0, v36
	s_delay_alu instid0(VALU_DEP_1) | instskip(SKIP_1) | instid1(VALU_DEP_4)
	v_mad_u64_u32 v[36:37], null, 0xa2f9836e, v4, v[0:1]
	v_cndmask_b32_e64 v0, 0, 0xffffffe0, s5
	v_cndmask_b32_e32 v4, v35, v33, vcc_lo
	s_delay_alu instid0(VALU_DEP_2) | instskip(NEXT) | instid1(VALU_DEP_4)
	v_add_nc_u32_e32 v0, v0, v38
	v_dual_cndmask_b32 v36, v36, v34 :: v_dual_cndmask_b32 v35, v37, v35
	v_cndmask_b32_e32 v34, v34, v32, vcc_lo
	s_delay_alu instid0(VALU_DEP_3) | instskip(NEXT) | instid1(VALU_DEP_3)
	v_cmp_eq_u32_e64 s6, 0, v0
	v_cndmask_b32_e64 v33, v36, v4, s4
	s_delay_alu instid0(VALU_DEP_4) | instskip(NEXT) | instid1(VALU_DEP_4)
	v_cndmask_b32_e64 v35, v35, v36, s4
	v_cndmask_b32_e64 v4, v4, v34, s4
	v_sub_nc_u32_e32 v36, 32, v0
	v_cndmask_b32_e64 v34, v34, v31, s4
	s_delay_alu instid0(VALU_DEP_4) | instskip(NEXT) | instid1(VALU_DEP_4)
	v_cndmask_b32_e64 v35, v35, v33, s5
	v_cndmask_b32_e64 v33, v33, v4, s5
	s_delay_alu instid0(VALU_DEP_3) | instskip(SKIP_1) | instid1(VALU_DEP_3)
	v_cndmask_b32_e64 v4, v4, v34, s5
	v_cndmask_b32_e64 v30, v34, v30, s5
	v_alignbit_b32 v37, v35, v33, v36
	s_delay_alu instid0(VALU_DEP_3) | instskip(NEXT) | instid1(VALU_DEP_3)
	v_alignbit_b32 v38, v33, v4, v36
	v_alignbit_b32 v36, v4, v30, v36
	s_delay_alu instid0(VALU_DEP_3) | instskip(NEXT) | instid1(VALU_DEP_3)
	v_cndmask_b32_e64 v0, v37, v35, s6
	v_cndmask_b32_e64 v32, v38, v33, s6
	s_delay_alu instid0(VALU_DEP_3) | instskip(NEXT) | instid1(VALU_DEP_3)
	v_cndmask_b32_e64 v4, v36, v4, s6
	v_bfe_u32 v33, v0, 29, 1
	s_delay_alu instid0(VALU_DEP_3) | instskip(NEXT) | instid1(VALU_DEP_3)
	v_alignbit_b32 v31, v0, v32, 30
	v_alignbit_b32 v32, v32, v4, 30
	;; [unrolled: 1-line block ×3, first 2 shown]
	s_delay_alu instid0(VALU_DEP_4) | instskip(NEXT) | instid1(VALU_DEP_1)
	v_sub_nc_u32_e32 v35, 0, v33
	v_xor_b32_e32 v34, v31, v35
	v_cmp_ne_u32_e32 vcc_lo, v31, v35
	v_xor_b32_e32 v30, v32, v35
	v_xor_b32_e32 v4, v4, v35
	s_delay_alu instid0(VALU_DEP_4) | instskip(NEXT) | instid1(VALU_DEP_1)
	v_clz_i32_u32_e32 v37, v34
	v_add_nc_u32_e32 v36, 1, v37
	s_delay_alu instid0(VALU_DEP_1) | instskip(NEXT) | instid1(VALU_DEP_1)
	v_cndmask_b32_e32 v31, 33, v36, vcc_lo
	v_sub_nc_u32_e32 v32, 32, v31
	s_delay_alu instid0(VALU_DEP_1) | instskip(SKIP_3) | instid1(VALU_DEP_3)
	v_alignbit_b32 v34, v34, v30, v32
	v_alignbit_b32 v4, v30, v4, v32
	v_lshrrev_b32_e32 v30, 29, v0
	v_lshrrev_b32_e32 v0, 30, v0
	v_alignbit_b32 v32, v34, v4, 9
	s_delay_alu instid0(VALU_DEP_3) | instskip(SKIP_1) | instid1(VALU_DEP_3)
	v_lshlrev_b32_e32 v30, 31, v30
	v_alignbit_b32 v34, v31, v34, 9
	v_clz_i32_u32_e32 v35, v32
	s_delay_alu instid0(VALU_DEP_2) | instskip(SKIP_1) | instid1(VALU_DEP_3)
	v_or_b32_e32 v34, v34, v30
	v_or_b32_e32 v30, 0x33800000, v30
	v_min_u32_e32 v35, 32, v35
	s_delay_alu instid0(VALU_DEP_3) | instskip(NEXT) | instid1(VALU_DEP_2)
	v_xor_b32_e32 v34, 1.0, v34
	v_sub_nc_u32_e32 v36, 31, v35
	v_add_lshl_u32 v31, v35, v31, 23
	s_delay_alu instid0(VALU_DEP_3) | instskip(NEXT) | instid1(VALU_DEP_3)
	v_mul_f32_e32 v35, 0x3fc90fda, v34
	v_alignbit_b32 v4, v32, v4, v36
	s_delay_alu instid0(VALU_DEP_3) | instskip(NEXT) | instid1(VALU_DEP_3)
	v_sub_nc_u32_e32 v30, v30, v31
	v_fma_f32 v31, 0x3fc90fda, v34, -v35
	s_delay_alu instid0(VALU_DEP_3) | instskip(NEXT) | instid1(VALU_DEP_2)
	v_lshrrev_b32_e32 v4, 9, v4
	v_fmac_f32_e32 v31, 0x33a22168, v34
	s_delay_alu instid0(VALU_DEP_2) | instskip(SKIP_1) | instid1(VALU_DEP_2)
	v_or_b32_e32 v4, v30, v4
	v_add_nc_u32_e32 v30, v33, v0
	v_fmac_f32_e32 v31, 0x3fc90fda, v4
	s_delay_alu instid0(VALU_DEP_1)
	v_add_f32_e32 v4, v35, v31
	s_and_not1_saveexec_b32 s4, s29
	s_branch .LBB249_416
.LBB249_415:                            ;   in Loop: Header=BB249_217 Depth=1
	s_and_not1_saveexec_b32 s4, s29
.LBB249_416:                            ;   in Loop: Header=BB249_217 Depth=1
	v_mul_f32_e64 v0, 0x3f22f983, |v5|
	s_delay_alu instid0(VALU_DEP_1) | instskip(NEXT) | instid1(VALU_DEP_1)
	v_rndne_f32_e32 v0, v0
	v_fma_f32 v4, 0xbfc90fda, v0, |v5|
	v_cvt_i32_f32_e32 v30, v0
	s_delay_alu instid0(VALU_DEP_2) | instskip(NEXT) | instid1(VALU_DEP_1)
	v_fmac_f32_e32 v4, 0xb3a22168, v0
	v_fmac_f32_e32 v4, 0xa7c234c4, v0
; %bb.417:                              ;   in Loop: Header=BB249_217 Depth=1
	s_or_b32 exec_lo, exec_lo, s4
                                        ; implicit-def: $vgpr31
                                        ; implicit-def: $vgpr0
	s_and_saveexec_b32 s4, s28
	s_delay_alu instid0(SALU_CYCLE_1)
	s_xor_b32 s28, exec_lo, s4
	s_cbranch_execz .LBB249_419
; %bb.418:                              ;   in Loop: Header=BB249_217 Depth=1
	v_and_or_b32 v39, v29, s7, 0x800000
	v_lshrrev_b32_e32 v36, 23, v29
	s_delay_alu instid0(VALU_DEP_2) | instskip(NEXT) | instid1(VALU_DEP_2)
	v_mad_u64_u32 v[31:32], null, 0xfe5163ab, v39, 0
	v_add_nc_u32_e32 v37, 0xffffff88, v36
	s_delay_alu instid0(VALU_DEP_1) | instskip(NEXT) | instid1(VALU_DEP_3)
	v_cmp_lt_u32_e32 vcc_lo, 63, v37
	v_mov_b32_e32 v0, v32
	v_cndmask_b32_e64 v38, 0, 0xffffffc0, vcc_lo
	s_delay_alu instid0(VALU_DEP_2) | instskip(NEXT) | instid1(VALU_DEP_2)
	v_mad_u64_u32 v[32:33], null, 0x3c439041, v39, v[0:1]
	v_add_nc_u32_e32 v38, v38, v37
	s_delay_alu instid0(VALU_DEP_2) | instskip(NEXT) | instid1(VALU_DEP_2)
	v_mov_b32_e32 v0, v33
	v_cmp_lt_u32_e64 s4, 31, v38
	s_delay_alu instid0(VALU_DEP_2) | instskip(NEXT) | instid1(VALU_DEP_2)
	v_mad_u64_u32 v[33:34], null, 0xdb629599, v39, v[0:1]
	v_cndmask_b32_e64 v40, 0, 0xffffffe0, s4
	s_delay_alu instid0(VALU_DEP_1) | instskip(NEXT) | instid1(VALU_DEP_3)
	v_add_nc_u32_e32 v40, v40, v38
	v_dual_mov_b32 v0, v34 :: v_dual_cndmask_b32 v31, v33, v31
	s_delay_alu instid0(VALU_DEP_2) | instskip(NEXT) | instid1(VALU_DEP_2)
	v_cmp_lt_u32_e64 s5, 31, v40
	v_mad_u64_u32 v[34:35], null, 0xf534ddc0, v39, v[0:1]
	s_delay_alu instid0(VALU_DEP_1) | instskip(NEXT) | instid1(VALU_DEP_2)
	v_mov_b32_e32 v0, v35
	v_cndmask_b32_e32 v32, v34, v32, vcc_lo
	s_delay_alu instid0(VALU_DEP_2) | instskip(NEXT) | instid1(VALU_DEP_2)
	v_mad_u64_u32 v[35:36], null, 0xfc2757d1, v39, v[0:1]
	v_cndmask_b32_e64 v31, v32, v31, s4
	s_delay_alu instid0(VALU_DEP_2) | instskip(NEXT) | instid1(VALU_DEP_1)
	v_mov_b32_e32 v0, v36
	v_mad_u64_u32 v[36:37], null, 0x4e441529, v39, v[0:1]
	s_delay_alu instid0(VALU_DEP_1) | instskip(NEXT) | instid1(VALU_DEP_1)
	v_mov_b32_e32 v0, v37
	v_mad_u64_u32 v[37:38], null, 0xa2f9836e, v39, v[0:1]
	v_cndmask_b32_e64 v0, 0, 0xffffffe0, s5
	s_delay_alu instid0(VALU_DEP_4) | instskip(NEXT) | instid1(VALU_DEP_2)
	v_cndmask_b32_e32 v39, v36, v34, vcc_lo
	v_dual_cndmask_b32 v37, v37, v35 :: v_dual_add_nc_u32 v0, v0, v40
	s_delay_alu instid0(VALU_DEP_4) | instskip(NEXT) | instid1(VALU_DEP_2)
	v_dual_cndmask_b32 v36, v38, v36 :: v_dual_cndmask_b32 v35, v35, v33
	v_sub_nc_u32_e32 v38, 32, v0
	s_delay_alu instid0(VALU_DEP_3) | instskip(NEXT) | instid1(VALU_DEP_3)
	v_cndmask_b32_e64 v34, v37, v39, s4
	v_cndmask_b32_e64 v36, v36, v37, s4
	s_delay_alu instid0(VALU_DEP_4) | instskip(SKIP_2) | instid1(VALU_DEP_4)
	v_cndmask_b32_e64 v37, v39, v35, s4
	v_cndmask_b32_e64 v35, v35, v32, s4
	v_cmp_eq_u32_e64 s6, 0, v0
	v_cndmask_b32_e64 v36, v36, v34, s5
	s_delay_alu instid0(VALU_DEP_4) | instskip(NEXT) | instid1(VALU_DEP_4)
	v_cndmask_b32_e64 v34, v34, v37, s5
	v_cndmask_b32_e64 v37, v37, v35, s5
	;; [unrolled: 1-line block ×3, first 2 shown]
	s_delay_alu instid0(VALU_DEP_3) | instskip(NEXT) | instid1(VALU_DEP_3)
	v_alignbit_b32 v39, v36, v34, v38
	v_alignbit_b32 v40, v34, v37, v38
	s_delay_alu instid0(VALU_DEP_3) | instskip(NEXT) | instid1(VALU_DEP_3)
	v_alignbit_b32 v38, v37, v31, v38
	v_cndmask_b32_e64 v0, v39, v36, s6
	s_delay_alu instid0(VALU_DEP_3) | instskip(NEXT) | instid1(VALU_DEP_3)
	v_cndmask_b32_e64 v33, v40, v34, s6
	v_cndmask_b32_e64 v37, v38, v37, s6
	s_delay_alu instid0(VALU_DEP_3) | instskip(NEXT) | instid1(VALU_DEP_3)
	v_bfe_u32 v34, v0, 29, 1
	v_alignbit_b32 v32, v0, v33, 30
	s_delay_alu instid0(VALU_DEP_3) | instskip(SKIP_1) | instid1(VALU_DEP_4)
	v_alignbit_b32 v33, v33, v37, 30
	v_alignbit_b32 v31, v37, v31, 30
	v_sub_nc_u32_e32 v36, 0, v34
	s_delay_alu instid0(VALU_DEP_1) | instskip(SKIP_3) | instid1(VALU_DEP_4)
	v_xor_b32_e32 v35, v32, v36
	v_cmp_ne_u32_e32 vcc_lo, v32, v36
	v_xor_b32_e32 v33, v33, v36
	v_xor_b32_e32 v31, v31, v36
	v_clz_i32_u32_e32 v39, v35
	s_delay_alu instid0(VALU_DEP_1) | instskip(NEXT) | instid1(VALU_DEP_1)
	v_add_nc_u32_e32 v38, 1, v39
	v_cndmask_b32_e32 v32, 33, v38, vcc_lo
	s_delay_alu instid0(VALU_DEP_1) | instskip(NEXT) | instid1(VALU_DEP_1)
	v_sub_nc_u32_e32 v37, 32, v32
	v_alignbit_b32 v35, v35, v33, v37
	v_alignbit_b32 v31, v33, v31, v37
	v_lshrrev_b32_e32 v33, 29, v0
	s_delay_alu instid0(VALU_DEP_2) | instskip(NEXT) | instid1(VALU_DEP_2)
	v_alignbit_b32 v36, v35, v31, 9
	v_lshlrev_b32_e32 v33, 31, v33
	v_alignbit_b32 v35, v32, v35, 9
	s_delay_alu instid0(VALU_DEP_3) | instskip(NEXT) | instid1(VALU_DEP_2)
	v_clz_i32_u32_e32 v37, v36
	v_or_b32_e32 v35, v35, v33
	v_or_b32_e32 v33, 0x33800000, v33
	s_delay_alu instid0(VALU_DEP_3) | instskip(NEXT) | instid1(VALU_DEP_3)
	v_min_u32_e32 v37, 32, v37
	v_xor_b32_e32 v35, 1.0, v35
	s_delay_alu instid0(VALU_DEP_2) | instskip(SKIP_1) | instid1(VALU_DEP_3)
	v_sub_nc_u32_e32 v38, 31, v37
	v_add_lshl_u32 v32, v37, v32, 23
	v_mul_f32_e32 v37, 0x3fc90fda, v35
	s_delay_alu instid0(VALU_DEP_3) | instskip(NEXT) | instid1(VALU_DEP_3)
	v_alignbit_b32 v31, v36, v31, v38
	v_sub_nc_u32_e32 v32, v33, v32
	s_delay_alu instid0(VALU_DEP_3) | instskip(NEXT) | instid1(VALU_DEP_3)
	v_fma_f32 v33, 0x3fc90fda, v35, -v37
	v_lshrrev_b32_e32 v31, 9, v31
	s_delay_alu instid0(VALU_DEP_2) | instskip(NEXT) | instid1(VALU_DEP_2)
	v_fmac_f32_e32 v33, 0x33a22168, v35
	v_or_b32_e32 v31, v32, v31
	s_delay_alu instid0(VALU_DEP_1) | instskip(SKIP_1) | instid1(VALU_DEP_1)
	v_fmac_f32_e32 v33, 0x3fc90fda, v31
	v_lshrrev_b32_e32 v31, 30, v0
	v_dual_add_f32 v0, v37, v33 :: v_dual_add_nc_u32 v31, v34, v31
	s_and_not1_saveexec_b32 s4, s28
	s_cbranch_execnz .LBB249_420
	s_branch .LBB249_421
.LBB249_419:                            ;   in Loop: Header=BB249_217 Depth=1
	s_and_not1_saveexec_b32 s4, s28
.LBB249_420:                            ;   in Loop: Header=BB249_217 Depth=1
	v_mul_f32_e64 v0, 0x3f22f983, |v5|
	s_delay_alu instid0(VALU_DEP_1) | instskip(NEXT) | instid1(VALU_DEP_1)
	v_rndne_f32_e32 v31, v0
	v_fma_f32 v0, 0xbfc90fda, v31, |v5|
	s_delay_alu instid0(VALU_DEP_1) | instskip(NEXT) | instid1(VALU_DEP_1)
	v_fmac_f32_e32 v0, 0xb3a22168, v31
	v_fmac_f32_e32 v0, 0xa7c234c4, v31
	v_cvt_i32_f32_e32 v31, v31
.LBB249_421:                            ;   in Loop: Header=BB249_217 Depth=1
	s_or_b32 exec_lo, exec_lo, s4
	s_delay_alu instid0(VALU_DEP_1) | instskip(NEXT) | instid1(VALU_DEP_2)
	v_dual_mul_f32 v33, v0, v0 :: v_dual_and_b32 v34, 1, v30
	v_dual_mul_f32 v32, v4, v4 :: v_dual_and_b32 v39, 1, v31
	v_lshlrev_b32_e32 v31, 30, v31
	s_delay_alu instid0(VALU_DEP_3) | instskip(SKIP_1) | instid1(VALU_DEP_4)
	v_fmaak_f32 v37, s24, v33, 0x3c0881c4
	v_fmaak_f32 v38, s25, v33, 0xbab64f3b
	;; [unrolled: 1-line block ×3, first 2 shown]
	v_dual_fmaak_f32 v35, s24, v32, 0x3c0881c4 :: v_dual_lshlrev_b32 v30, 30, v30
	s_delay_alu instid0(VALU_DEP_4) | instskip(NEXT) | instid1(VALU_DEP_4)
	v_fmaak_f32 v37, v33, v37, 0xbe2aaa9d
	v_fmaak_f32 v38, v33, v38, 0x3d2aabf7
	s_delay_alu instid0(VALU_DEP_4) | instskip(SKIP_1) | instid1(VALU_DEP_4)
	v_fmaak_f32 v36, v32, v36, 0x3d2aabf7
	v_cmp_eq_u32_e32 vcc_lo, 0, v34
	v_dual_mul_f32 v37, v33, v37 :: v_dual_and_b32 v30, 0x80000000, v30
	s_delay_alu instid0(VALU_DEP_4) | instskip(NEXT) | instid1(VALU_DEP_4)
	v_fmaak_f32 v38, v33, v38, 0xbf000004
	v_fmaak_f32 v36, v32, v36, 0xbf000004
	v_and_or_b32 v29, 0x80000000, v31, v29
	s_delay_alu instid0(VALU_DEP_4) | instskip(NEXT) | instid1(VALU_DEP_4)
	v_fmac_f32_e32 v0, v0, v37
	v_fma_f32 v33, v33, v38, 1.0
	v_fmaak_f32 v35, v32, v35, 0xbe2aaa9d
	s_delay_alu instid0(VALU_DEP_1) | instskip(SKIP_1) | instid1(VALU_DEP_2)
	v_mul_f32_e32 v35, v32, v35
	v_fma_f32 v32, v32, v36, 1.0
	v_fmac_f32_e32 v4, v4, v35
	s_delay_alu instid0(VALU_DEP_1) | instskip(SKIP_1) | instid1(VALU_DEP_2)
	v_cndmask_b32_e64 v4, -v4, v32, vcc_lo
	v_cmp_eq_u32_e32 vcc_lo, 0, v39
	v_xor_b32_e32 v4, v30, v4
	v_cndmask_b32_e32 v0, v33, v0, vcc_lo
	v_cmp_class_f32_e64 vcc_lo, v5, 0x1f8
	s_delay_alu instid0(VALU_DEP_2) | instskip(NEXT) | instid1(VALU_DEP_4)
	v_xor3_b32 v28, v29, v0, v28
	v_cndmask_b32_e32 v0, 0x7fc00000, v4, vcc_lo
	s_delay_alu instid0(VALU_DEP_2)
	v_cndmask_b32_e32 v28, 0x7fc00000, v28, vcc_lo
.LBB249_422:                            ;   in Loop: Header=BB249_217 Depth=1
	s_or_b32 exec_lo, exec_lo, s27
                                        ; implicit-def: $vgpr4
.LBB249_423:                            ;   in Loop: Header=BB249_217 Depth=1
	s_and_not1_saveexec_b32 s4, s15
	s_cbranch_execz .LBB249_425
; %bb.424:                              ;   in Loop: Header=BB249_217 Depth=1
	v_mul_f32_e32 v0, 0xbfb8aa3b, v4
	v_cmp_nlt_f32_e32 vcc_lo, 0x42ce8ed0, v4
	s_delay_alu instid0(VALU_DEP_2) | instskip(SKIP_1) | instid1(VALU_DEP_1)
	v_rndne_f32_e32 v5, v0
	v_fma_f32 v29, 0xbfb8aa3b, v4, -v0
	v_dual_sub_f32 v0, v0, v5 :: v_dual_fmac_f32 v29, 0xb2a5705f, v4
	v_cvt_i32_f32_e32 v5, v5
	s_delay_alu instid0(VALU_DEP_2) | instskip(NEXT) | instid1(VALU_DEP_1)
	v_add_f32_e32 v0, v0, v29
	v_exp_f32_e32 v0, v0
	s_waitcnt_depctr 0xfff
	v_ldexp_f32 v0, v0, v5
	s_delay_alu instid0(VALU_DEP_1) | instskip(SKIP_1) | instid1(VALU_DEP_2)
	v_cndmask_b32_e32 v0, 0, v0, vcc_lo
	v_cmp_ngt_f32_e32 vcc_lo, 0xc2b17218, v4
	v_cndmask_b32_e32 v0, 0x7f800000, v0, vcc_lo
.LBB249_425:                            ;   in Loop: Header=BB249_217 Depth=1
	s_or_b32 exec_lo, exec_lo, s4
	s_delay_alu instid0(VALU_DEP_1) | instskip(SKIP_2) | instid1(VALU_DEP_2)
	v_add_f32_e32 v29, s8, v0
	v_add_f32_e32 v0, s9, v28
                                        ; implicit-def: $vgpr5
	s_mov_b32 s4, exec_lo
	v_cmp_gt_f32_e32 vcc_lo, 0, v29
	v_cndmask_b32_e64 v28, v29, -v29, vcc_lo
	s_delay_alu instid0(VALU_DEP_3) | instskip(SKIP_1) | instid1(VALU_DEP_1)
	v_cmp_gt_f32_e32 vcc_lo, 0, v0
	v_cndmask_b32_e64 v30, v0, -v0, vcc_lo
	v_cmpx_ge_f32_e32 v28, v30
	s_xor_b32 s5, exec_lo, s4
	s_cbranch_execz .LBB249_435
; %bb.426:                              ;   in Loop: Header=BB249_217 Depth=1
	v_cmp_neq_f32_e32 vcc_lo, 0, v29
	v_cmp_neq_f32_e64 s4, 0, v0
                                        ; implicit-def: $vgpr5
	s_delay_alu instid0(VALU_DEP_1) | instskip(NEXT) | instid1(SALU_CYCLE_1)
	s_or_b32 s4, vcc_lo, s4
	s_and_saveexec_b32 s6, s4
	s_delay_alu instid0(SALU_CYCLE_1)
	s_xor_b32 s4, exec_lo, s6
	s_cbranch_execz .LBB249_428
; %bb.427:                              ;   in Loop: Header=BB249_217 Depth=1
	v_div_scale_f32 v4, null, v29, v29, v0
	v_div_scale_f32 v30, vcc_lo, v0, v29, v0
	s_delay_alu instid0(VALU_DEP_2) | instskip(SKIP_2) | instid1(VALU_DEP_1)
	v_rcp_f32_e32 v5, v4
	s_waitcnt_depctr 0xfff
	v_fma_f32 v28, -v4, v5, 1.0
	v_fmac_f32_e32 v5, v28, v5
	s_delay_alu instid0(VALU_DEP_1) | instskip(NEXT) | instid1(VALU_DEP_1)
	v_mul_f32_e32 v28, v30, v5
	v_fma_f32 v31, -v4, v28, v30
	s_delay_alu instid0(VALU_DEP_1) | instskip(NEXT) | instid1(VALU_DEP_1)
	v_fmac_f32_e32 v28, v31, v5
	v_fma_f32 v4, -v4, v28, v30
	s_delay_alu instid0(VALU_DEP_1) | instskip(NEXT) | instid1(VALU_DEP_1)
	v_div_fmas_f32 v4, v4, v5, v28
	v_div_fixup_f32 v4, v4, v29, v0
	s_delay_alu instid0(VALU_DEP_1) | instskip(NEXT) | instid1(VALU_DEP_1)
	v_fmac_f32_e32 v29, v0, v4
	v_div_scale_f32 v0, null, v29, v29, 1.0
	v_div_scale_f32 v30, vcc_lo, 1.0, v29, 1.0
	s_delay_alu instid0(VALU_DEP_2) | instskip(SKIP_2) | instid1(VALU_DEP_1)
	v_rcp_f32_e32 v5, v0
	s_waitcnt_depctr 0xfff
	v_fma_f32 v28, -v0, v5, 1.0
	v_fmac_f32_e32 v5, v28, v5
	s_delay_alu instid0(VALU_DEP_1) | instskip(NEXT) | instid1(VALU_DEP_1)
	v_mul_f32_e32 v28, v30, v5
	v_fma_f32 v31, -v0, v28, v30
	s_delay_alu instid0(VALU_DEP_1) | instskip(NEXT) | instid1(VALU_DEP_1)
	v_fmac_f32_e32 v28, v31, v5
	v_fma_f32 v0, -v0, v28, v30
                                        ; implicit-def: $vgpr30
	s_delay_alu instid0(VALU_DEP_1) | instskip(SKIP_2) | instid1(VALU_DEP_3)
	v_div_fmas_f32 v0, v0, v5, v28
	v_fma_f32 v5, v4, s9, s8
	v_fma_f32 v28, -v4, s8, s9
	v_div_fixup_f32 v0, v0, v29, 1.0
	s_delay_alu instid0(VALU_DEP_1) | instskip(NEXT) | instid1(VALU_DEP_3)
	v_mul_f32_e32 v4, v5, v0
	v_mul_f32_e32 v5, v28, v0
                                        ; implicit-def: $vgpr28
.LBB249_428:                            ;   in Loop: Header=BB249_217 Depth=1
	s_and_not1_saveexec_b32 s6, s4
	s_cbranch_execz .LBB249_430
; %bb.429:                              ;   in Loop: Header=BB249_217 Depth=1
	v_div_scale_f32 v0, null, v28, v28, s8
	v_div_scale_f32 v4, null, v30, v30, s9
	v_div_scale_f32 v33, vcc_lo, s8, v28, s8
	s_delay_alu instid0(VALU_DEP_3) | instskip(NEXT) | instid1(VALU_DEP_2)
	v_rcp_f32_e32 v5, v0
	v_rcp_f32_e32 v29, v4
	s_waitcnt_depctr 0xfff
	v_fma_f32 v31, -v0, v5, 1.0
	v_fma_f32 v32, -v4, v29, 1.0
	s_delay_alu instid0(VALU_DEP_2) | instskip(SKIP_1) | instid1(VALU_DEP_3)
	v_fmac_f32_e32 v5, v31, v5
	v_div_scale_f32 v31, s4, s9, v30, s9
	v_fmac_f32_e32 v29, v32, v29
	s_delay_alu instid0(VALU_DEP_3) | instskip(NEXT) | instid1(VALU_DEP_2)
	v_mul_f32_e32 v32, v33, v5
	v_mul_f32_e32 v34, v31, v29
	s_delay_alu instid0(VALU_DEP_2) | instskip(NEXT) | instid1(VALU_DEP_2)
	v_fma_f32 v35, -v0, v32, v33
	v_fma_f32 v36, -v4, v34, v31
	s_delay_alu instid0(VALU_DEP_2) | instskip(NEXT) | instid1(VALU_DEP_2)
	v_fmac_f32_e32 v32, v35, v5
	v_fmac_f32_e32 v34, v36, v29
	s_delay_alu instid0(VALU_DEP_2) | instskip(NEXT) | instid1(VALU_DEP_2)
	v_fma_f32 v0, -v0, v32, v33
	v_fma_f32 v4, -v4, v34, v31
	s_delay_alu instid0(VALU_DEP_2) | instskip(SKIP_1) | instid1(VALU_DEP_2)
	v_div_fmas_f32 v0, v0, v5, v32
	s_mov_b32 vcc_lo, s4
	v_div_fmas_f32 v5, v4, v29, v34
	s_delay_alu instid0(VALU_DEP_2) | instskip(NEXT) | instid1(VALU_DEP_2)
	v_div_fixup_f32 v4, v0, v28, s8
	v_div_fixup_f32 v5, v5, v30, s9
.LBB249_430:                            ;   in Loop: Header=BB249_217 Depth=1
	s_or_b32 exec_lo, exec_lo, s6
                                        ; implicit-def: $vgpr0
                                        ; implicit-def: $vgpr29
	s_and_not1_saveexec_b32 s4, s5
	s_cbranch_execnz .LBB249_436
.LBB249_431:                            ;   in Loop: Header=BB249_217 Depth=1
	s_or_b32 exec_lo, exec_lo, s4
	s_and_saveexec_b32 s4, s0
	s_delay_alu instid0(SALU_CYCLE_1)
	s_xor_b32 s0, exec_lo, s4
	s_cbranch_execz .LBB249_437
.LBB249_432:                            ;   in Loop: Header=BB249_217 Depth=1
	v_add_co_u32 v28, vcc_lo, v14, s10
	v_add_co_ci_u32_e32 v29, vcc_lo, s11, v15, vcc_lo
	global_store_b64 v[28:29], v[6:7], off offset:-4
	s_or_b32 exec_lo, exec_lo, s0
	s_and_saveexec_b32 s0, s1
	s_cbranch_execnz .LBB249_438
.LBB249_433:                            ;   in Loop: Header=BB249_217 Depth=1
	s_or_b32 exec_lo, exec_lo, s0
	s_and_saveexec_b32 s0, s2
	s_cbranch_execz .LBB249_439
.LBB249_434:                            ;   in Loop: Header=BB249_217 Depth=1
	v_add_co_u32 v6, vcc_lo, v26, s10
	v_add_co_ci_u32_e32 v7, vcc_lo, s11, v27, vcc_lo
	global_store_b64 v[6:7], v[8:9], off offset:-4
	s_or_b32 exec_lo, exec_lo, s0
	s_and_saveexec_b32 s0, s3
	s_cbranch_execz .LBB249_216
	s_branch .LBB249_440
.LBB249_435:                            ;   in Loop: Header=BB249_217 Depth=1
	s_and_not1_saveexec_b32 s4, s5
	s_cbranch_execz .LBB249_431
.LBB249_436:                            ;   in Loop: Header=BB249_217 Depth=1
	v_div_scale_f32 v4, null, v0, v0, v29
	v_div_scale_f32 v30, vcc_lo, v29, v0, v29
	s_delay_alu instid0(VALU_DEP_2) | instskip(SKIP_2) | instid1(VALU_DEP_1)
	v_rcp_f32_e32 v5, v4
	s_waitcnt_depctr 0xfff
	v_fma_f32 v28, -v4, v5, 1.0
	v_fmac_f32_e32 v5, v28, v5
	s_delay_alu instid0(VALU_DEP_1) | instskip(NEXT) | instid1(VALU_DEP_1)
	v_mul_f32_e32 v28, v30, v5
	v_fma_f32 v31, -v4, v28, v30
	s_delay_alu instid0(VALU_DEP_1) | instskip(NEXT) | instid1(VALU_DEP_1)
	v_fmac_f32_e32 v28, v31, v5
	v_fma_f32 v4, -v4, v28, v30
	s_delay_alu instid0(VALU_DEP_1) | instskip(NEXT) | instid1(VALU_DEP_1)
	v_div_fmas_f32 v4, v4, v5, v28
	v_div_fixup_f32 v4, v4, v0, v29
	s_delay_alu instid0(VALU_DEP_1) | instskip(NEXT) | instid1(VALU_DEP_1)
	v_fmac_f32_e32 v0, v29, v4
	v_div_scale_f32 v5, null, v0, v0, 1.0
	v_div_scale_f32 v30, vcc_lo, 1.0, v0, 1.0
	s_delay_alu instid0(VALU_DEP_2) | instskip(SKIP_2) | instid1(VALU_DEP_1)
	v_rcp_f32_e32 v28, v5
	s_waitcnt_depctr 0xfff
	v_fma_f32 v29, -v5, v28, 1.0
	v_fmac_f32_e32 v28, v29, v28
	s_delay_alu instid0(VALU_DEP_1) | instskip(NEXT) | instid1(VALU_DEP_1)
	v_mul_f32_e32 v29, v30, v28
	v_fma_f32 v31, -v5, v29, v30
	s_delay_alu instid0(VALU_DEP_1) | instskip(NEXT) | instid1(VALU_DEP_1)
	v_fmac_f32_e32 v29, v31, v28
	v_fma_f32 v5, -v5, v29, v30
	s_delay_alu instid0(VALU_DEP_1) | instskip(SKIP_1) | instid1(VALU_DEP_2)
	v_div_fmas_f32 v5, v5, v28, v29
	v_fma_f32 v28, v4, s8, s9
	v_div_fixup_f32 v0, v5, v0, 1.0
	v_fma_f32 v5, v4, s9, -s8
	s_delay_alu instid0(VALU_DEP_2) | instskip(NEXT) | instid1(VALU_DEP_2)
	v_mul_f32_e32 v4, v28, v0
	v_mul_f32_e32 v5, v5, v0
	s_or_b32 exec_lo, exec_lo, s4
	s_and_saveexec_b32 s4, s0
	s_delay_alu instid0(SALU_CYCLE_1)
	s_xor_b32 s0, exec_lo, s4
	s_cbranch_execnz .LBB249_432
.LBB249_437:                            ;   in Loop: Header=BB249_217 Depth=1
	s_or_b32 exec_lo, exec_lo, s0
	s_and_saveexec_b32 s0, s1
	s_cbranch_execz .LBB249_433
.LBB249_438:                            ;   in Loop: Header=BB249_217 Depth=1
	v_add_co_u32 v6, vcc_lo, v16, s10
	v_add_co_ci_u32_e32 v7, vcc_lo, s11, v17, vcc_lo
	global_store_b64 v[6:7], v[10:11], off
	s_or_b32 exec_lo, exec_lo, s0
	s_and_saveexec_b32 s0, s2
	s_cbranch_execnz .LBB249_434
.LBB249_439:                            ;   in Loop: Header=BB249_217 Depth=1
	s_or_b32 exec_lo, exec_lo, s0
	s_and_saveexec_b32 s0, s3
	s_cbranch_execz .LBB249_216
.LBB249_440:                            ;   in Loop: Header=BB249_217 Depth=1
	v_add_co_u32 v6, vcc_lo, v22, s10
	v_add_co_ci_u32_e32 v7, vcc_lo, s11, v23, vcc_lo
	global_store_b64 v[6:7], v[4:5], off offset:-4
	s_branch .LBB249_216
.LBB249_441:
	s_nop 0
	s_sendmsg sendmsg(MSG_DEALLOC_VGPRS)
	s_endpgm
	.section	.rodata,"a",@progbits
	.p2align	6, 0x0
	.amdhsa_kernel _ZN2at6native12_GLOBAL__N_125multi_tensor_apply_kernelINS1_18TensorListMetadataILi2EEENS1_14UnaryOpFunctorIN3c107complexIfEELi2ELi1ELi1EEEJNS0_7SigmoidIS8_EEEEEvT_T0_DpT1_
		.amdhsa_group_segment_fixed_size 0
		.amdhsa_private_segment_fixed_size 0
		.amdhsa_kernarg_size 3416
		.amdhsa_user_sgpr_count 15
		.amdhsa_user_sgpr_dispatch_ptr 0
		.amdhsa_user_sgpr_queue_ptr 0
		.amdhsa_user_sgpr_kernarg_segment_ptr 1
		.amdhsa_user_sgpr_dispatch_id 0
		.amdhsa_user_sgpr_private_segment_size 0
		.amdhsa_wavefront_size32 1
		.amdhsa_uses_dynamic_stack 0
		.amdhsa_enable_private_segment 0
		.amdhsa_system_sgpr_workgroup_id_x 1
		.amdhsa_system_sgpr_workgroup_id_y 0
		.amdhsa_system_sgpr_workgroup_id_z 0
		.amdhsa_system_sgpr_workgroup_info 0
		.amdhsa_system_vgpr_workitem_id 0
		.amdhsa_next_free_vgpr 44
		.amdhsa_next_free_sgpr 34
		.amdhsa_reserve_vcc 1
		.amdhsa_float_round_mode_32 0
		.amdhsa_float_round_mode_16_64 0
		.amdhsa_float_denorm_mode_32 3
		.amdhsa_float_denorm_mode_16_64 3
		.amdhsa_dx10_clamp 1
		.amdhsa_ieee_mode 1
		.amdhsa_fp16_overflow 0
		.amdhsa_workgroup_processor_mode 1
		.amdhsa_memory_ordered 1
		.amdhsa_forward_progress 0
		.amdhsa_shared_vgpr_count 0
		.amdhsa_exception_fp_ieee_invalid_op 0
		.amdhsa_exception_fp_denorm_src 0
		.amdhsa_exception_fp_ieee_div_zero 0
		.amdhsa_exception_fp_ieee_overflow 0
		.amdhsa_exception_fp_ieee_underflow 0
		.amdhsa_exception_fp_ieee_inexact 0
		.amdhsa_exception_int_div_zero 0
	.end_amdhsa_kernel
	.section	.text._ZN2at6native12_GLOBAL__N_125multi_tensor_apply_kernelINS1_18TensorListMetadataILi2EEENS1_14UnaryOpFunctorIN3c107complexIfEELi2ELi1ELi1EEEJNS0_7SigmoidIS8_EEEEEvT_T0_DpT1_,"axG",@progbits,_ZN2at6native12_GLOBAL__N_125multi_tensor_apply_kernelINS1_18TensorListMetadataILi2EEENS1_14UnaryOpFunctorIN3c107complexIfEELi2ELi1ELi1EEEJNS0_7SigmoidIS8_EEEEEvT_T0_DpT1_,comdat
.Lfunc_end249:
	.size	_ZN2at6native12_GLOBAL__N_125multi_tensor_apply_kernelINS1_18TensorListMetadataILi2EEENS1_14UnaryOpFunctorIN3c107complexIfEELi2ELi1ELi1EEEJNS0_7SigmoidIS8_EEEEEvT_T0_DpT1_, .Lfunc_end249-_ZN2at6native12_GLOBAL__N_125multi_tensor_apply_kernelINS1_18TensorListMetadataILi2EEENS1_14UnaryOpFunctorIN3c107complexIfEELi2ELi1ELi1EEEJNS0_7SigmoidIS8_EEEEEvT_T0_DpT1_
                                        ; -- End function
	.section	.AMDGPU.csdata,"",@progbits
; Kernel info:
; codeLenInByte = 56416
; NumSgprs: 36
; NumVgprs: 44
; ScratchSize: 0
; MemoryBound: 0
; FloatMode: 240
; IeeeMode: 1
; LDSByteSize: 0 bytes/workgroup (compile time only)
; SGPRBlocks: 4
; VGPRBlocks: 5
; NumSGPRsForWavesPerEU: 36
; NumVGPRsForWavesPerEU: 44
; Occupancy: 16
; WaveLimiterHint : 0
; COMPUTE_PGM_RSRC2:SCRATCH_EN: 0
; COMPUTE_PGM_RSRC2:USER_SGPR: 15
; COMPUTE_PGM_RSRC2:TRAP_HANDLER: 0
; COMPUTE_PGM_RSRC2:TGID_X_EN: 1
; COMPUTE_PGM_RSRC2:TGID_Y_EN: 0
; COMPUTE_PGM_RSRC2:TGID_Z_EN: 0
; COMPUTE_PGM_RSRC2:TIDIG_COMP_CNT: 0
	.section	.text._ZN2at6native12_GLOBAL__N_125multi_tensor_apply_kernelINS1_18TensorListMetadataILi2EEENS1_14UnaryOpFunctorIN3c104HalfELi2ELi1ELi1EEEJNS0_7SigmoidIfEEEEEvT_T0_DpT1_,"axG",@progbits,_ZN2at6native12_GLOBAL__N_125multi_tensor_apply_kernelINS1_18TensorListMetadataILi2EEENS1_14UnaryOpFunctorIN3c104HalfELi2ELi1ELi1EEEJNS0_7SigmoidIfEEEEEvT_T0_DpT1_,comdat
	.globl	_ZN2at6native12_GLOBAL__N_125multi_tensor_apply_kernelINS1_18TensorListMetadataILi2EEENS1_14UnaryOpFunctorIN3c104HalfELi2ELi1ELi1EEEJNS0_7SigmoidIfEEEEEvT_T0_DpT1_ ; -- Begin function _ZN2at6native12_GLOBAL__N_125multi_tensor_apply_kernelINS1_18TensorListMetadataILi2EEENS1_14UnaryOpFunctorIN3c104HalfELi2ELi1ELi1EEEJNS0_7SigmoidIfEEEEEvT_T0_DpT1_
	.p2align	8
	.type	_ZN2at6native12_GLOBAL__N_125multi_tensor_apply_kernelINS1_18TensorListMetadataILi2EEENS1_14UnaryOpFunctorIN3c104HalfELi2ELi1ELi1EEEJNS0_7SigmoidIfEEEEEvT_T0_DpT1_,@function
_ZN2at6native12_GLOBAL__N_125multi_tensor_apply_kernelINS1_18TensorListMetadataILi2EEENS1_14UnaryOpFunctorIN3c104HalfELi2ELi1ELi1EEEJNS0_7SigmoidIfEEEEEvT_T0_DpT1_: ; @_ZN2at6native12_GLOBAL__N_125multi_tensor_apply_kernelINS1_18TensorListMetadataILi2EEENS1_14UnaryOpFunctorIN3c104HalfELi2ELi1ELi1EEEJNS0_7SigmoidIfEEEEEvT_T0_DpT1_
; %bb.0:
	v_mov_b32_e32 v1, s15
	s_add_u32 s2, s0, s15
	s_mul_hi_u32 s3, s15, 3
	s_mul_i32 s15, s15, 3
	s_addc_u32 s4, s1, 0
	global_load_u8 v1, v1, s[0:1] offset:1536
	s_add_u32 s2, s2, s15
	s_addc_u32 s3, s4, s3
	s_mov_b32 s11, 0
	s_load_b32 s2, s[2:3], 0x740
	s_mov_b32 s21, s11
	s_mov_b32 s23, s11
	s_waitcnt vmcnt(0)
	v_readfirstlane_b32 s3, v1
	s_delay_alu instid0(VALU_DEP_1)
	s_lshl_b32 s3, s3, 3
	s_clause 0x3
	s_load_b64 s[12:13], s[0:1], s3 offset:0x0
	s_load_b64 s[14:15], s[0:1], s3 offset:0x200
	;; [unrolled: 1-line block ×3, first 2 shown]
	s_load_b32 s16, s[0:1], 0xc4c
	s_waitcnt lgkmcnt(0)
	s_ashr_i32 s3, s2, 31
	s_delay_alu instid0(SALU_CYCLE_1) | instskip(NEXT) | instid1(SALU_CYCLE_1)
	s_lshl_b64 s[8:9], s[2:3], 17
	s_add_u32 s7, s12, s8
	s_addc_u32 s17, s13, s9
	s_and_b32 s10, s7, 7
	s_add_u32 s18, s14, s8
	s_addc_u32 s19, s15, s9
	s_and_b32 s20, s4, 3
	s_and_b32 s22, s18, 7
	s_or_b64 s[10:11], s[10:11], s[20:21]
	s_lshl_b64 s[2:3], s[2:3], 16
	s_or_b64 s[20:21], s[22:23], s[10:11]
	s_sub_u32 s10, s4, s2
	s_subb_u32 s11, s5, s3
	s_cmp_eq_u64 s[20:21], 0
	s_mov_b32 s2, -1
	s_cbranch_scc0 .LBB250_5
; %bb.1:
	v_dual_mov_b32 v2, 0 :: v_dual_lshlrev_b32 v1, 2, v0
	s_mov_b32 s20, exec_lo
	s_delay_alu instid0(VALU_DEP_1)
	v_cmpx_gt_i64_e64 s[10:11], v[1:2]
	s_cbranch_execz .LBB250_4
; %bb.2:
	s_load_b32 s2, s[0:1], 0xc5c
	v_lshlrev_b32_e32 v3, 3, v0
	s_mov_b32 s21, 0
	s_mov_b32 s24, 0x3fb8aa3b
	;; [unrolled: 1-line block ×3, first 2 shown]
	s_waitcnt lgkmcnt(0)
	s_and_b32 s2, s2, 0xffff
	s_delay_alu instid0(SALU_CYCLE_1)
	v_add_lshl_u32 v1, v0, s2, 2
	s_lshl_b32 s22, s2, 2
	s_lshl_b32 s23, s2, 3
.LBB250_3:                              ; =>This Inner Loop Header: Depth=1
	v_add_co_u32 v4, s2, s7, v3
	s_delay_alu instid0(VALU_DEP_1) | instskip(SKIP_1) | instid1(VALU_DEP_1)
	v_add_co_ci_u32_e64 v5, null, s17, 0, s2
	v_add_co_u32 v6, s2, s18, v3
	v_add_co_ci_u32_e64 v7, null, s19, 0, s2
	global_load_b64 v[4:5], v[4:5], off
	v_cmp_le_i64_e64 s2, s[10:11], v[1:2]
	v_cmp_lt_u64_e64 s3, 0xffff, v[1:2]
	v_add_co_u32 v1, vcc_lo, v1, s22
	v_add_co_ci_u32_e32 v2, vcc_lo, 0, v2, vcc_lo
	s_delay_alu instid0(VALU_DEP_3)
	s_or_b32 s2, s2, s3
	s_add_u32 s7, s7, s23
	s_addc_u32 s17, s17, 0
	s_add_u32 s18, s18, s23
	s_addc_u32 s19, s19, 0
	s_and_b32 s2, exec_lo, s2
	s_delay_alu instid0(SALU_CYCLE_1)
	s_or_b32 s21, s2, s21
	s_waitcnt vmcnt(0)
	v_cvt_f32_f16_e64 v8, -v4
	v_lshrrev_b32_e32 v9, 16, v4
	v_cvt_f32_f16_e64 v10, -v5
	v_lshrrev_b32_e32 v11, 16, v5
	s_delay_alu instid0(VALU_DEP_4) | instskip(NEXT) | instid1(VALU_DEP_4)
	v_mul_f32_e32 v12, 0x3fb8aa3b, v8
	v_cvt_f32_f16_e64 v9, -v9
	s_delay_alu instid0(VALU_DEP_4) | instskip(NEXT) | instid1(VALU_DEP_4)
	v_mul_f32_e32 v13, 0x3fb8aa3b, v10
	v_cvt_f32_f16_e64 v11, -v11
	v_cmp_ngt_f32_e64 s4, 0xc2ce8ed0, v8
	v_fma_mix_f32 v14, -v4, s24, -v12 op_sel_hi:[1,0,0]
	v_rndne_f32_e32 v15, v12
	s_delay_alu instid0(VALU_DEP_4)
	v_dual_mul_f32 v16, 0x3fb8aa3b, v9 :: v_dual_mul_f32 v19, 0x3fb8aa3b, v11
	v_fma_mix_f32 v17, -v5, s24, -v13 op_sel_hi:[1,0,0]
	v_rndne_f32_e32 v18, v13
	v_fma_mix_f32 v14, -v4, s25, v14 op_sel_hi:[1,0,0]
	v_sub_f32_e32 v12, v12, v15
	v_fma_mix_f32 v20, -v4, s24, -v16 op_sel:[1,0,0] op_sel_hi:[1,0,0]
	v_rndne_f32_e32 v21, v16
	v_sub_f32_e32 v13, v13, v18
	v_fma_mix_f32 v17, -v5, s25, v17 op_sel_hi:[1,0,0]
	v_fma_mix_f32 v22, -v5, s24, -v19 op_sel:[1,0,0] op_sel_hi:[1,0,0]
	v_rndne_f32_e32 v23, v19
	v_add_f32_e32 v12, v12, v14
	v_fma_mix_f32 v4, -v4, s25, v20 op_sel:[1,0,0] op_sel_hi:[1,0,0]
	v_add_f32_e32 v13, v13, v17
	s_delay_alu instid0(VALU_DEP_4) | instskip(SKIP_3) | instid1(VALU_DEP_3)
	v_dual_sub_f32 v14, v16, v21 :: v_dual_sub_f32 v17, v19, v23
	v_fma_mix_f32 v5, -v5, s25, v22 op_sel:[1,0,0] op_sel_hi:[1,0,0]
	v_exp_f32_e32 v12, v12
	v_cvt_i32_f32_e32 v15, v15
	v_add_f32_e32 v4, v14, v4
	v_exp_f32_e32 v13, v13
	v_add_f32_e32 v5, v17, v5
	v_cvt_i32_f32_e32 v18, v18
	v_cvt_i32_f32_e32 v16, v21
	v_exp_f32_e32 v4, v4
	v_cmp_ngt_f32_e32 vcc_lo, 0xc2ce8ed0, v10
	v_cmp_nlt_f32_e64 s6, 0x42b17218, v8
	v_ldexp_f32 v12, v12, v15
	v_exp_f32_e32 v5, v5
	v_cvt_i32_f32_e32 v19, v23
	v_ldexp_f32 v13, v13, v18
	v_cmp_ngt_f32_e64 s5, 0xc2ce8ed0, v11
	v_cndmask_b32_e64 v12, 0, v12, s4
	v_cmp_ngt_f32_e64 s4, 0xc2ce8ed0, v9
	v_ldexp_f32 v4, v4, v16
	s_delay_alu instid0(VALU_DEP_3) | instskip(SKIP_2) | instid1(VALU_DEP_4)
	v_cndmask_b32_e64 v8, 0x7f800000, v12, s6
	v_cndmask_b32_e32 v13, 0, v13, vcc_lo
	v_cmp_nlt_f32_e32 vcc_lo, 0x42b17218, v10
	v_cndmask_b32_e64 v4, 0, v4, s4
	v_cmp_nlt_f32_e64 s4, 0x42b17218, v9
	v_add_f32_e32 v8, s16, v8
	v_ldexp_f32 v5, v5, v19
	v_cndmask_b32_e32 v10, 0x7f800000, v13, vcc_lo
	v_cmp_nlt_f32_e32 vcc_lo, 0x42b17218, v11
	v_cndmask_b32_e64 v4, 0x7f800000, v4, s4
	s_delay_alu instid0(VALU_DEP_4) | instskip(NEXT) | instid1(VALU_DEP_4)
	v_cndmask_b32_e64 v5, 0, v5, s5
	v_add_f32_e32 v9, s16, v10
	v_div_scale_f32 v10, null, v8, v8, s16
	s_delay_alu instid0(VALU_DEP_4) | instskip(NEXT) | instid1(VALU_DEP_3)
	v_add_f32_e32 v4, s16, v4
	v_div_scale_f32 v12, null, v9, v9, s16
	s_delay_alu instid0(VALU_DEP_3) | instskip(NEXT) | instid1(VALU_DEP_2)
	v_rcp_f32_e32 v14, v10
	v_div_scale_f32 v15, null, v4, v4, s16
	s_delay_alu instid0(VALU_DEP_2) | instskip(SKIP_1) | instid1(VALU_DEP_2)
	v_rcp_f32_e32 v17, v12
	v_div_scale_f32 v16, s5, s16, v4, s16
	v_rcp_f32_e32 v20, v15
	v_div_scale_f32 v13, s4, s16, v9, s16
	s_delay_alu instid0(TRANS32_DEP_3) | instskip(SKIP_2) | instid1(TRANS32_DEP_2)
	v_fma_f32 v22, -v10, v14, 1.0
	v_cndmask_b32_e32 v5, 0x7f800000, v5, vcc_lo
	v_div_scale_f32 v11, vcc_lo, s16, v8, s16
	v_fma_f32 v23, -v12, v17, 1.0
	s_delay_alu instid0(VALU_DEP_4) | instskip(NEXT) | instid1(TRANS32_DEP_1)
	v_fmac_f32_e32 v14, v22, v14
	v_fma_f32 v24, -v15, v20, 1.0
	s_delay_alu instid0(VALU_DEP_1) | instskip(NEXT) | instid1(VALU_DEP_1)
	v_dual_add_f32 v5, s16, v5 :: v_dual_fmac_f32 v20, v24, v20
	v_div_scale_f32 v18, null, v5, v5, s16
	v_fmac_f32_e32 v17, v23, v17
	v_mul_f32_e32 v23, v11, v14
	v_div_scale_f32 v19, s6, s16, v5, s16
	s_delay_alu instid0(VALU_DEP_4) | instskip(NEXT) | instid1(VALU_DEP_2)
	v_rcp_f32_e32 v21, v18
	v_fma_f32 v25, -v10, v23, v11
	s_waitcnt_depctr 0xfff
	v_fma_f32 v22, -v18, v21, 1.0
	s_delay_alu instid0(VALU_DEP_1) | instskip(SKIP_1) | instid1(VALU_DEP_2)
	v_dual_fmac_f32 v21, v22, v21 :: v_dual_mul_f32 v22, v16, v20
	v_mul_f32_e32 v24, v13, v17
	v_fma_f32 v28, -v15, v22, v16
	s_delay_alu instid0(VALU_DEP_2) | instskip(NEXT) | instid1(VALU_DEP_2)
	v_fma_f32 v26, -v12, v24, v13
	v_dual_fmac_f32 v23, v25, v14 :: v_dual_fmac_f32 v22, v28, v20
	s_delay_alu instid0(VALU_DEP_2) | instskip(SKIP_1) | instid1(VALU_DEP_3)
	v_fmac_f32_e32 v24, v26, v17
	v_mul_f32_e32 v27, v19, v21
	v_fma_f32 v10, -v10, v23, v11
	s_delay_alu instid0(VALU_DEP_3) | instskip(NEXT) | instid1(VALU_DEP_3)
	v_fma_f32 v11, -v12, v24, v13
	v_fma_f32 v25, -v18, v27, v19
	;; [unrolled: 1-line block ×3, first 2 shown]
	s_delay_alu instid0(VALU_DEP_4) | instskip(SKIP_1) | instid1(VALU_DEP_3)
	v_div_fmas_f32 v10, v10, v14, v23
	s_mov_b32 vcc_lo, s5
	v_fmac_f32_e32 v27, v25, v21
	s_delay_alu instid0(VALU_DEP_3)
	v_div_fmas_f32 v12, v12, v20, v22
	s_mov_b32 vcc_lo, s4
	v_div_fixup_f32 v8, v10, v8, s16
	v_div_fmas_f32 v11, v11, v17, v24
	v_fma_f32 v13, -v18, v27, v19
	s_mov_b32 vcc_lo, s6
	v_div_fixup_f32 v4, v12, v4, s16
	v_cvt_f16_f32_e32 v8, v8
	v_div_fixup_f32 v9, v11, v9, s16
	v_div_fmas_f32 v13, v13, v21, v27
	s_delay_alu instid0(VALU_DEP_4) | instskip(NEXT) | instid1(VALU_DEP_3)
	v_cvt_f16_f32_e32 v4, v4
	v_cvt_f16_f32_e32 v9, v9
	s_delay_alu instid0(VALU_DEP_3) | instskip(NEXT) | instid1(VALU_DEP_3)
	v_div_fixup_f32 v5, v13, v5, s16
	v_pack_b32_f16 v4, v8, v4
	s_delay_alu instid0(VALU_DEP_2) | instskip(NEXT) | instid1(VALU_DEP_1)
	v_cvt_f16_f32_e32 v5, v5
	v_pack_b32_f16 v5, v9, v5
	global_store_b64 v[6:7], v[4:5], off
	s_and_not1_b32 exec_lo, exec_lo, s21
	s_cbranch_execnz .LBB250_3
.LBB250_4:
	s_or_b32 exec_lo, exec_lo, s20
	s_mov_b32 s2, 0
.LBB250_5:
	s_delay_alu instid0(SALU_CYCLE_1)
	s_and_not1_b32 vcc_lo, exec_lo, s2
	s_cbranch_vccnz .LBB250_25
; %bb.6:
	v_cmp_lt_i64_e64 s2, s[10:11], 1
	s_delay_alu instid0(VALU_DEP_1)
	s_and_b32 vcc_lo, exec_lo, s2
	s_cbranch_vccnz .LBB250_25
; %bb.7:
	s_load_b32 s0, s[0:1], 0xc5c
	v_dual_mov_b32 v10, 0 :: v_dual_lshlrev_b32 v9, 1, v0
	v_cmp_gt_u64_e64 s1, 0x10000, s[10:11]
	s_mov_b64 s[6:7], 0
	s_delay_alu instid0(VALU_DEP_2) | instskip(NEXT) | instid1(VALU_DEP_1)
	v_add_co_u32 v1, s2, s12, v9
	v_add_co_ci_u32_e64 v2, null, s13, 0, s2
	v_add_co_u32 v3, s2, s14, v9
	s_delay_alu instid0(VALU_DEP_1)
	v_add_co_ci_u32_e64 v4, null, s15, 0, s2
	s_waitcnt lgkmcnt(0)
	s_and_b32 s0, s0, 0xffff
	s_and_b32 s1, s1, exec_lo
	v_mad_u64_u32 v[7:8], null, s0, 6, v[9:10]
	s_cselect_b32 s5, s11, 0
	s_cselect_b32 s4, s10, 0x10000
	s_lshl_b32 s1, s0, 1
	s_mul_i32 s2, s0, 3
	s_lshl_b32 s17, s0, 2
	s_lshl_b32 s18, s0, 3
	v_add_co_u32 v13, s0, v0, s0
	v_add_co_u32 v5, vcc_lo, s12, v7
	v_add_co_u32 v14, s3, s17, v9
	v_add_co_ci_u32_e32 v6, vcc_lo, s13, v8, vcc_lo
	s_delay_alu instid0(VALU_DEP_4)
	v_lshlrev_b32_e32 v21, 1, v13
	v_add_co_u32 v7, vcc_lo, s14, v7
	v_add_co_ci_u32_e64 v15, null, 0, 0, s3
	v_add_co_ci_u32_e32 v8, vcc_lo, s15, v8, vcc_lo
	v_add_co_ci_u32_e64 v16, null, 0, 0, s0
	v_add_co_u32 v17, s0, s1, v0
	v_add_co_u32 v11, vcc_lo, s12, v14
	v_add_co_ci_u32_e64 v18, null, 0, 0, s0
	v_add_co_u32 v19, s0, s12, v21
	v_add_co_ci_u32_e32 v12, vcc_lo, s13, v15, vcc_lo
	v_add_co_u32 v9, s2, s2, v0
	v_add_co_u32 v14, vcc_lo, s14, v14
	v_add_co_ci_u32_e64 v20, null, s13, 0, s0
	v_add_co_u32 v21, s0, s14, v21
	v_add_co_ci_u32_e64 v10, null, 0, 0, s2
	v_add_co_ci_u32_e32 v15, vcc_lo, s15, v15, vcc_lo
	v_add_co_ci_u32_e64 v22, null, s15, 0, s0
	s_mov_b32 s12, 0x3fb8aa3b
	s_mov_b32 s13, 0x32a5705f
	s_branch .LBB250_9
.LBB250_8:                              ;   in Loop: Header=BB250_9 Depth=1
	s_or_b32 exec_lo, exec_lo, s1
	v_add_co_u32 v1, vcc_lo, v1, s18
	v_add_co_ci_u32_e32 v2, vcc_lo, 0, v2, vcc_lo
	v_add_co_u32 v3, vcc_lo, v3, s18
	v_add_co_ci_u32_e32 v4, vcc_lo, 0, v4, vcc_lo
	;; [unrolled: 2-line block ×5, first 2 shown]
	s_add_u32 s6, s6, s17
	v_add_co_u32 v14, vcc_lo, v14, s18
	s_addc_u32 s7, s7, 0
	v_add_co_ci_u32_e32 v15, vcc_lo, 0, v15, vcc_lo
	v_cmp_ge_i64_e64 s0, s[6:7], s[10:11]
	v_cmp_lt_u64_e64 s1, 0xffff, s[6:7]
	v_add_co_u32 v19, vcc_lo, v19, s18
	v_add_co_ci_u32_e32 v20, vcc_lo, 0, v20, vcc_lo
	v_add_co_u32 v21, vcc_lo, v21, s18
	v_add_co_ci_u32_e32 v22, vcc_lo, 0, v22, vcc_lo
	s_or_b32 s0, s0, s1
	s_delay_alu instid0(SALU_CYCLE_1)
	s_and_b32 vcc_lo, exec_lo, s0
	s_cbranch_vccnz .LBB250_25
.LBB250_9:                              ; =>This Inner Loop Header: Depth=1
	s_waitcnt vmcnt(0)
	v_add_co_u32 v23, s0, v0, s6
	s_delay_alu instid0(VALU_DEP_1) | instskip(SKIP_1) | instid1(VALU_DEP_2)
	v_add_co_ci_u32_e64 v24, null, 0, s7, s0
	v_mov_b32_e32 v26, 0
	v_cmp_gt_u64_e32 vcc_lo, s[4:5], v[23:24]
	s_and_saveexec_b32 s1, vcc_lo
	s_cbranch_execz .LBB250_11
; %bb.10:                               ;   in Loop: Header=BB250_9 Depth=1
	v_add_co_u32 v23, s0, v1, s8
	s_delay_alu instid0(VALU_DEP_1)
	v_add_co_ci_u32_e64 v24, s0, s9, v2, s0
	global_load_u16 v26, v[23:24], off
.LBB250_11:                             ;   in Loop: Header=BB250_9 Depth=1
	s_or_b32 exec_lo, exec_lo, s1
	v_add_co_u32 v23, s0, v13, s6
	s_delay_alu instid0(VALU_DEP_1) | instskip(SKIP_1) | instid1(VALU_DEP_2)
	v_add_co_ci_u32_e64 v24, s0, s7, v16, s0
	v_mov_b32_e32 v25, 0
	v_cmp_gt_u64_e64 s2, s[4:5], v[23:24]
	s_delay_alu instid0(VALU_DEP_1)
	s_and_saveexec_b32 s1, s2
	s_cbranch_execz .LBB250_13
; %bb.12:                               ;   in Loop: Header=BB250_9 Depth=1
	v_add_co_u32 v23, s0, v19, s8
	s_delay_alu instid0(VALU_DEP_1)
	v_add_co_ci_u32_e64 v24, s0, s9, v20, s0
	global_load_u16 v25, v[23:24], off
.LBB250_13:                             ;   in Loop: Header=BB250_9 Depth=1
	s_or_b32 exec_lo, exec_lo, s1
	v_add_co_u32 v23, s0, v17, s6
	s_delay_alu instid0(VALU_DEP_1) | instskip(NEXT) | instid1(VALU_DEP_1)
	v_add_co_ci_u32_e64 v24, s0, s7, v18, s0
	v_cmp_gt_u64_e64 s1, s[4:5], v[23:24]
	v_dual_mov_b32 v23, 0 :: v_dual_mov_b32 v24, 0
	s_delay_alu instid0(VALU_DEP_2)
	s_and_saveexec_b32 s3, s1
	s_cbranch_execz .LBB250_15
; %bb.14:                               ;   in Loop: Header=BB250_9 Depth=1
	v_add_co_u32 v27, s0, v11, s8
	s_delay_alu instid0(VALU_DEP_1)
	v_add_co_ci_u32_e64 v28, s0, s9, v12, s0
	global_load_u16 v24, v[27:28], off
.LBB250_15:                             ;   in Loop: Header=BB250_9 Depth=1
	s_or_b32 exec_lo, exec_lo, s3
	v_add_co_u32 v27, s0, v9, s6
	s_delay_alu instid0(VALU_DEP_1) | instskip(NEXT) | instid1(VALU_DEP_1)
	v_add_co_ci_u32_e64 v28, s0, s7, v10, s0
	v_cmp_gt_u64_e64 s0, s[4:5], v[27:28]
	s_delay_alu instid0(VALU_DEP_1)
	s_and_saveexec_b32 s14, s0
	s_cbranch_execnz .LBB250_20
; %bb.16:                               ;   in Loop: Header=BB250_9 Depth=1
	s_or_b32 exec_lo, exec_lo, s14
	s_and_saveexec_b32 s3, vcc_lo
	s_cbranch_execnz .LBB250_21
.LBB250_17:                             ;   in Loop: Header=BB250_9 Depth=1
	s_or_b32 exec_lo, exec_lo, s3
	s_and_saveexec_b32 s3, s2
	s_cbranch_execnz .LBB250_22
.LBB250_18:                             ;   in Loop: Header=BB250_9 Depth=1
	s_or_b32 exec_lo, exec_lo, s3
	s_and_saveexec_b32 s2, s1
	s_cbranch_execnz .LBB250_23
.LBB250_19:                             ;   in Loop: Header=BB250_9 Depth=1
	s_or_b32 exec_lo, exec_lo, s2
	s_and_saveexec_b32 s1, s0
	s_cbranch_execz .LBB250_8
	s_branch .LBB250_24
.LBB250_20:                             ;   in Loop: Header=BB250_9 Depth=1
	v_add_co_u32 v27, s3, v5, s8
	s_delay_alu instid0(VALU_DEP_1)
	v_add_co_ci_u32_e64 v28, s3, s9, v6, s3
	global_load_u16 v23, v[27:28], off
	s_or_b32 exec_lo, exec_lo, s14
	s_and_saveexec_b32 s3, vcc_lo
	s_cbranch_execz .LBB250_17
.LBB250_21:                             ;   in Loop: Header=BB250_9 Depth=1
	s_waitcnt vmcnt(0)
	v_cvt_f32_f16_e64 v27, -v26
	s_delay_alu instid0(VALU_DEP_1) | instskip(SKIP_1) | instid1(VALU_DEP_2)
	v_mul_f32_e32 v28, 0x3fb8aa3b, v27
	v_cmp_ngt_f32_e32 vcc_lo, 0xc2ce8ed0, v27
	v_rndne_f32_e32 v29, v28
	v_fma_mix_f32 v30, -v26, s12, -v28 op_sel_hi:[1,0,0]
	s_delay_alu instid0(VALU_DEP_2) | instskip(NEXT) | instid1(VALU_DEP_2)
	v_sub_f32_e32 v28, v28, v29
	v_fma_mix_f32 v26, -v26, s13, v30 op_sel_hi:[1,0,0]
	s_delay_alu instid0(VALU_DEP_1) | instskip(SKIP_1) | instid1(VALU_DEP_2)
	v_add_f32_e32 v26, v28, v26
	v_cvt_i32_f32_e32 v28, v29
	v_exp_f32_e32 v26, v26
	s_waitcnt_depctr 0xfff
	v_ldexp_f32 v26, v26, v28
	s_delay_alu instid0(VALU_DEP_1) | instskip(SKIP_1) | instid1(VALU_DEP_2)
	v_cndmask_b32_e32 v26, 0, v26, vcc_lo
	v_cmp_nlt_f32_e32 vcc_lo, 0x42b17218, v27
	v_cndmask_b32_e32 v26, 0x7f800000, v26, vcc_lo
	s_delay_alu instid0(VALU_DEP_1) | instskip(NEXT) | instid1(VALU_DEP_1)
	v_add_f32_e32 v26, s16, v26
	v_div_scale_f32 v27, null, v26, v26, s16
	v_div_scale_f32 v30, vcc_lo, s16, v26, s16
	s_delay_alu instid0(VALU_DEP_2) | instskip(SKIP_2) | instid1(VALU_DEP_1)
	v_rcp_f32_e32 v28, v27
	s_waitcnt_depctr 0xfff
	v_fma_f32 v29, -v27, v28, 1.0
	v_fmac_f32_e32 v28, v29, v28
	s_delay_alu instid0(VALU_DEP_1) | instskip(NEXT) | instid1(VALU_DEP_1)
	v_mul_f32_e32 v29, v30, v28
	v_fma_f32 v31, -v27, v29, v30
	s_delay_alu instid0(VALU_DEP_1) | instskip(NEXT) | instid1(VALU_DEP_1)
	v_fmac_f32_e32 v29, v31, v28
	v_fma_f32 v27, -v27, v29, v30
	s_delay_alu instid0(VALU_DEP_1) | instskip(NEXT) | instid1(VALU_DEP_1)
	v_div_fmas_f32 v27, v27, v28, v29
	v_div_fixup_f32 v26, v27, v26, s16
	s_delay_alu instid0(VALU_DEP_1)
	v_cvt_f16_f32_e32 v28, v26
	v_add_co_u32 v26, vcc_lo, v3, s8
	v_add_co_ci_u32_e32 v27, vcc_lo, s9, v4, vcc_lo
	global_store_b16 v[26:27], v28, off
	s_or_b32 exec_lo, exec_lo, s3
	s_and_saveexec_b32 s3, s2
	s_cbranch_execz .LBB250_18
.LBB250_22:                             ;   in Loop: Header=BB250_9 Depth=1
	s_waitcnt vmcnt(0)
	v_cvt_f32_f16_e64 v26, -v25
	s_delay_alu instid0(VALU_DEP_1) | instskip(SKIP_1) | instid1(VALU_DEP_2)
	v_mul_f32_e32 v27, 0x3fb8aa3b, v26
	v_cmp_ngt_f32_e32 vcc_lo, 0xc2ce8ed0, v26
	v_rndne_f32_e32 v28, v27
	v_fma_mix_f32 v29, -v25, s12, -v27 op_sel_hi:[1,0,0]
	s_delay_alu instid0(VALU_DEP_2) | instskip(NEXT) | instid1(VALU_DEP_2)
	v_sub_f32_e32 v27, v27, v28
	v_fma_mix_f32 v25, -v25, s13, v29 op_sel_hi:[1,0,0]
	s_delay_alu instid0(VALU_DEP_1) | instskip(SKIP_1) | instid1(VALU_DEP_2)
	v_add_f32_e32 v25, v27, v25
	v_cvt_i32_f32_e32 v27, v28
	v_exp_f32_e32 v25, v25
	s_waitcnt_depctr 0xfff
	v_ldexp_f32 v25, v25, v27
	s_delay_alu instid0(VALU_DEP_1) | instskip(SKIP_1) | instid1(VALU_DEP_2)
	v_cndmask_b32_e32 v25, 0, v25, vcc_lo
	v_cmp_nlt_f32_e32 vcc_lo, 0x42b17218, v26
	v_cndmask_b32_e32 v25, 0x7f800000, v25, vcc_lo
	s_delay_alu instid0(VALU_DEP_1) | instskip(NEXT) | instid1(VALU_DEP_1)
	v_add_f32_e32 v25, s16, v25
	v_div_scale_f32 v26, null, v25, v25, s16
	v_div_scale_f32 v29, vcc_lo, s16, v25, s16
	s_delay_alu instid0(VALU_DEP_2) | instskip(SKIP_2) | instid1(VALU_DEP_1)
	v_rcp_f32_e32 v27, v26
	s_waitcnt_depctr 0xfff
	v_fma_f32 v28, -v26, v27, 1.0
	v_fmac_f32_e32 v27, v28, v27
	s_delay_alu instid0(VALU_DEP_1) | instskip(NEXT) | instid1(VALU_DEP_1)
	v_mul_f32_e32 v28, v29, v27
	v_fma_f32 v30, -v26, v28, v29
	s_delay_alu instid0(VALU_DEP_1) | instskip(NEXT) | instid1(VALU_DEP_1)
	v_fmac_f32_e32 v28, v30, v27
	v_fma_f32 v26, -v26, v28, v29
	s_delay_alu instid0(VALU_DEP_1) | instskip(NEXT) | instid1(VALU_DEP_1)
	v_div_fmas_f32 v26, v26, v27, v28
	v_div_fixup_f32 v25, v26, v25, s16
	s_delay_alu instid0(VALU_DEP_1)
	v_cvt_f16_f32_e32 v27, v25
	v_add_co_u32 v25, vcc_lo, v21, s8
	v_add_co_ci_u32_e32 v26, vcc_lo, s9, v22, vcc_lo
	global_store_b16 v[25:26], v27, off
	s_or_b32 exec_lo, exec_lo, s3
	s_and_saveexec_b32 s2, s1
	s_cbranch_execz .LBB250_19
.LBB250_23:                             ;   in Loop: Header=BB250_9 Depth=1
	s_waitcnt vmcnt(0)
	v_cvt_f32_f16_e64 v25, -v24
	s_delay_alu instid0(VALU_DEP_1) | instskip(SKIP_1) | instid1(VALU_DEP_2)
	v_mul_f32_e32 v26, 0x3fb8aa3b, v25
	v_cmp_ngt_f32_e32 vcc_lo, 0xc2ce8ed0, v25
	v_rndne_f32_e32 v27, v26
	v_fma_mix_f32 v28, -v24, s12, -v26 op_sel_hi:[1,0,0]
	s_delay_alu instid0(VALU_DEP_2) | instskip(NEXT) | instid1(VALU_DEP_2)
	v_sub_f32_e32 v26, v26, v27
	v_fma_mix_f32 v24, -v24, s13, v28 op_sel_hi:[1,0,0]
	s_delay_alu instid0(VALU_DEP_1) | instskip(SKIP_1) | instid1(VALU_DEP_2)
	v_add_f32_e32 v24, v26, v24
	v_cvt_i32_f32_e32 v26, v27
	v_exp_f32_e32 v24, v24
	s_waitcnt_depctr 0xfff
	v_ldexp_f32 v24, v24, v26
	s_delay_alu instid0(VALU_DEP_1) | instskip(SKIP_1) | instid1(VALU_DEP_2)
	v_cndmask_b32_e32 v24, 0, v24, vcc_lo
	v_cmp_nlt_f32_e32 vcc_lo, 0x42b17218, v25
	v_cndmask_b32_e32 v24, 0x7f800000, v24, vcc_lo
	s_delay_alu instid0(VALU_DEP_1) | instskip(NEXT) | instid1(VALU_DEP_1)
	v_add_f32_e32 v24, s16, v24
	v_div_scale_f32 v25, null, v24, v24, s16
	v_div_scale_f32 v28, vcc_lo, s16, v24, s16
	s_delay_alu instid0(VALU_DEP_2) | instskip(SKIP_2) | instid1(VALU_DEP_1)
	v_rcp_f32_e32 v26, v25
	s_waitcnt_depctr 0xfff
	v_fma_f32 v27, -v25, v26, 1.0
	v_fmac_f32_e32 v26, v27, v26
	s_delay_alu instid0(VALU_DEP_1) | instskip(NEXT) | instid1(VALU_DEP_1)
	v_mul_f32_e32 v27, v28, v26
	v_fma_f32 v29, -v25, v27, v28
	s_delay_alu instid0(VALU_DEP_1) | instskip(NEXT) | instid1(VALU_DEP_1)
	v_fmac_f32_e32 v27, v29, v26
	v_fma_f32 v25, -v25, v27, v28
	s_delay_alu instid0(VALU_DEP_1) | instskip(NEXT) | instid1(VALU_DEP_1)
	v_div_fmas_f32 v25, v25, v26, v27
	v_div_fixup_f32 v24, v25, v24, s16
	s_delay_alu instid0(VALU_DEP_1)
	v_cvt_f16_f32_e32 v26, v24
	v_add_co_u32 v24, vcc_lo, v14, s8
	v_add_co_ci_u32_e32 v25, vcc_lo, s9, v15, vcc_lo
	global_store_b16 v[24:25], v26, off
	s_or_b32 exec_lo, exec_lo, s2
	s_and_saveexec_b32 s1, s0
	s_cbranch_execz .LBB250_8
.LBB250_24:                             ;   in Loop: Header=BB250_9 Depth=1
	s_waitcnt vmcnt(0)
	v_cvt_f32_f16_e64 v24, -v23
	s_delay_alu instid0(VALU_DEP_1) | instskip(SKIP_1) | instid1(VALU_DEP_2)
	v_mul_f32_e32 v25, 0x3fb8aa3b, v24
	v_cmp_ngt_f32_e32 vcc_lo, 0xc2ce8ed0, v24
	v_rndne_f32_e32 v26, v25
	v_fma_mix_f32 v27, -v23, s12, -v25 op_sel_hi:[1,0,0]
	s_delay_alu instid0(VALU_DEP_2) | instskip(NEXT) | instid1(VALU_DEP_2)
	v_sub_f32_e32 v25, v25, v26
	v_fma_mix_f32 v23, -v23, s13, v27 op_sel_hi:[1,0,0]
	s_delay_alu instid0(VALU_DEP_1) | instskip(SKIP_1) | instid1(VALU_DEP_2)
	v_add_f32_e32 v23, v25, v23
	v_cvt_i32_f32_e32 v25, v26
	v_exp_f32_e32 v23, v23
	s_waitcnt_depctr 0xfff
	v_ldexp_f32 v23, v23, v25
	s_delay_alu instid0(VALU_DEP_1) | instskip(SKIP_1) | instid1(VALU_DEP_2)
	v_cndmask_b32_e32 v23, 0, v23, vcc_lo
	v_cmp_nlt_f32_e32 vcc_lo, 0x42b17218, v24
	v_cndmask_b32_e32 v23, 0x7f800000, v23, vcc_lo
	s_delay_alu instid0(VALU_DEP_1) | instskip(NEXT) | instid1(VALU_DEP_1)
	v_add_f32_e32 v23, s16, v23
	v_div_scale_f32 v24, null, v23, v23, s16
	v_div_scale_f32 v27, vcc_lo, s16, v23, s16
	s_delay_alu instid0(VALU_DEP_2) | instskip(SKIP_2) | instid1(VALU_DEP_1)
	v_rcp_f32_e32 v25, v24
	s_waitcnt_depctr 0xfff
	v_fma_f32 v26, -v24, v25, 1.0
	v_fmac_f32_e32 v25, v26, v25
	s_delay_alu instid0(VALU_DEP_1) | instskip(NEXT) | instid1(VALU_DEP_1)
	v_mul_f32_e32 v26, v27, v25
	v_fma_f32 v28, -v24, v26, v27
	s_delay_alu instid0(VALU_DEP_1) | instskip(NEXT) | instid1(VALU_DEP_1)
	v_fmac_f32_e32 v26, v28, v25
	v_fma_f32 v24, -v24, v26, v27
	s_delay_alu instid0(VALU_DEP_1) | instskip(NEXT) | instid1(VALU_DEP_1)
	v_div_fmas_f32 v24, v24, v25, v26
	v_div_fixup_f32 v23, v24, v23, s16
	s_delay_alu instid0(VALU_DEP_1)
	v_cvt_f16_f32_e32 v25, v23
	v_add_co_u32 v23, vcc_lo, v7, s8
	v_add_co_ci_u32_e32 v24, vcc_lo, s9, v8, vcc_lo
	global_store_b16 v[23:24], v25, off
	s_branch .LBB250_8
.LBB250_25:
	s_nop 0
	s_sendmsg sendmsg(MSG_DEALLOC_VGPRS)
	s_endpgm
	.section	.rodata,"a",@progbits
	.p2align	6, 0x0
	.amdhsa_kernel _ZN2at6native12_GLOBAL__N_125multi_tensor_apply_kernelINS1_18TensorListMetadataILi2EEENS1_14UnaryOpFunctorIN3c104HalfELi2ELi1ELi1EEEJNS0_7SigmoidIfEEEEEvT_T0_DpT1_
		.amdhsa_group_segment_fixed_size 0
		.amdhsa_private_segment_fixed_size 0
		.amdhsa_kernarg_size 3408
		.amdhsa_user_sgpr_count 15
		.amdhsa_user_sgpr_dispatch_ptr 0
		.amdhsa_user_sgpr_queue_ptr 0
		.amdhsa_user_sgpr_kernarg_segment_ptr 1
		.amdhsa_user_sgpr_dispatch_id 0
		.amdhsa_user_sgpr_private_segment_size 0
		.amdhsa_wavefront_size32 1
		.amdhsa_uses_dynamic_stack 0
		.amdhsa_enable_private_segment 0
		.amdhsa_system_sgpr_workgroup_id_x 1
		.amdhsa_system_sgpr_workgroup_id_y 0
		.amdhsa_system_sgpr_workgroup_id_z 0
		.amdhsa_system_sgpr_workgroup_info 0
		.amdhsa_system_vgpr_workitem_id 0
		.amdhsa_next_free_vgpr 32
		.amdhsa_next_free_sgpr 26
		.amdhsa_reserve_vcc 1
		.amdhsa_float_round_mode_32 0
		.amdhsa_float_round_mode_16_64 0
		.amdhsa_float_denorm_mode_32 3
		.amdhsa_float_denorm_mode_16_64 3
		.amdhsa_dx10_clamp 1
		.amdhsa_ieee_mode 1
		.amdhsa_fp16_overflow 0
		.amdhsa_workgroup_processor_mode 1
		.amdhsa_memory_ordered 1
		.amdhsa_forward_progress 0
		.amdhsa_shared_vgpr_count 0
		.amdhsa_exception_fp_ieee_invalid_op 0
		.amdhsa_exception_fp_denorm_src 0
		.amdhsa_exception_fp_ieee_div_zero 0
		.amdhsa_exception_fp_ieee_overflow 0
		.amdhsa_exception_fp_ieee_underflow 0
		.amdhsa_exception_fp_ieee_inexact 0
		.amdhsa_exception_int_div_zero 0
	.end_amdhsa_kernel
	.section	.text._ZN2at6native12_GLOBAL__N_125multi_tensor_apply_kernelINS1_18TensorListMetadataILi2EEENS1_14UnaryOpFunctorIN3c104HalfELi2ELi1ELi1EEEJNS0_7SigmoidIfEEEEEvT_T0_DpT1_,"axG",@progbits,_ZN2at6native12_GLOBAL__N_125multi_tensor_apply_kernelINS1_18TensorListMetadataILi2EEENS1_14UnaryOpFunctorIN3c104HalfELi2ELi1ELi1EEEJNS0_7SigmoidIfEEEEEvT_T0_DpT1_,comdat
.Lfunc_end250:
	.size	_ZN2at6native12_GLOBAL__N_125multi_tensor_apply_kernelINS1_18TensorListMetadataILi2EEENS1_14UnaryOpFunctorIN3c104HalfELi2ELi1ELi1EEEJNS0_7SigmoidIfEEEEEvT_T0_DpT1_, .Lfunc_end250-_ZN2at6native12_GLOBAL__N_125multi_tensor_apply_kernelINS1_18TensorListMetadataILi2EEENS1_14UnaryOpFunctorIN3c104HalfELi2ELi1ELi1EEEJNS0_7SigmoidIfEEEEEvT_T0_DpT1_
                                        ; -- End function
	.section	.AMDGPU.csdata,"",@progbits
; Kernel info:
; codeLenInByte = 3096
; NumSgprs: 28
; NumVgprs: 32
; ScratchSize: 0
; MemoryBound: 0
; FloatMode: 240
; IeeeMode: 1
; LDSByteSize: 0 bytes/workgroup (compile time only)
; SGPRBlocks: 3
; VGPRBlocks: 3
; NumSGPRsForWavesPerEU: 28
; NumVGPRsForWavesPerEU: 32
; Occupancy: 16
; WaveLimiterHint : 0
; COMPUTE_PGM_RSRC2:SCRATCH_EN: 0
; COMPUTE_PGM_RSRC2:USER_SGPR: 15
; COMPUTE_PGM_RSRC2:TRAP_HANDLER: 0
; COMPUTE_PGM_RSRC2:TGID_X_EN: 1
; COMPUTE_PGM_RSRC2:TGID_Y_EN: 0
; COMPUTE_PGM_RSRC2:TGID_Z_EN: 0
; COMPUTE_PGM_RSRC2:TIDIG_COMP_CNT: 0
	.section	.text._ZN2at6native12_GLOBAL__N_125multi_tensor_apply_kernelINS1_18TensorListMetadataILi2EEENS1_14UnaryOpFunctorIN3c108BFloat16ELi2ELi1ELi1EEEJNS0_7SigmoidIfEEEEEvT_T0_DpT1_,"axG",@progbits,_ZN2at6native12_GLOBAL__N_125multi_tensor_apply_kernelINS1_18TensorListMetadataILi2EEENS1_14UnaryOpFunctorIN3c108BFloat16ELi2ELi1ELi1EEEJNS0_7SigmoidIfEEEEEvT_T0_DpT1_,comdat
	.globl	_ZN2at6native12_GLOBAL__N_125multi_tensor_apply_kernelINS1_18TensorListMetadataILi2EEENS1_14UnaryOpFunctorIN3c108BFloat16ELi2ELi1ELi1EEEJNS0_7SigmoidIfEEEEEvT_T0_DpT1_ ; -- Begin function _ZN2at6native12_GLOBAL__N_125multi_tensor_apply_kernelINS1_18TensorListMetadataILi2EEENS1_14UnaryOpFunctorIN3c108BFloat16ELi2ELi1ELi1EEEJNS0_7SigmoidIfEEEEEvT_T0_DpT1_
	.p2align	8
	.type	_ZN2at6native12_GLOBAL__N_125multi_tensor_apply_kernelINS1_18TensorListMetadataILi2EEENS1_14UnaryOpFunctorIN3c108BFloat16ELi2ELi1ELi1EEEJNS0_7SigmoidIfEEEEEvT_T0_DpT1_,@function
_ZN2at6native12_GLOBAL__N_125multi_tensor_apply_kernelINS1_18TensorListMetadataILi2EEENS1_14UnaryOpFunctorIN3c108BFloat16ELi2ELi1ELi1EEEJNS0_7SigmoidIfEEEEEvT_T0_DpT1_: ; @_ZN2at6native12_GLOBAL__N_125multi_tensor_apply_kernelINS1_18TensorListMetadataILi2EEENS1_14UnaryOpFunctorIN3c108BFloat16ELi2ELi1ELi1EEEJNS0_7SigmoidIfEEEEEvT_T0_DpT1_
; %bb.0:
	v_mov_b32_e32 v1, s15
	s_add_u32 s2, s0, s15
	s_mul_hi_u32 s3, s15, 3
	s_mul_i32 s15, s15, 3
	s_addc_u32 s4, s1, 0
	global_load_u8 v1, v1, s[0:1] offset:1536
	s_add_u32 s2, s2, s15
	s_addc_u32 s3, s4, s3
	s_mov_b32 s7, 0
	s_load_b32 s2, s[2:3], 0x740
	s_mov_b32 s19, s7
	s_mov_b32 s11, s7
	s_waitcnt vmcnt(0)
	v_readfirstlane_b32 s3, v1
	s_delay_alu instid0(VALU_DEP_1)
	s_lshl_b32 s3, s3, 3
	s_clause 0x3
	s_load_b64 s[12:13], s[0:1], s3 offset:0x0
	s_load_b64 s[14:15], s[0:1], s3 offset:0x200
	s_load_b64 s[4:5], s[0:1], s3 offset:0x400
	s_load_b32 s16, s[0:1], 0xc4c
	s_waitcnt lgkmcnt(0)
	s_ashr_i32 s3, s2, 31
	s_delay_alu instid0(SALU_CYCLE_1) | instskip(SKIP_4) | instid1(SALU_CYCLE_1)
	s_lshl_b64 s[8:9], s[2:3], 17
	s_lshl_b64 s[2:3], s[2:3], 16
	s_and_b32 s6, s12, 7
	s_and_b32 s10, s14, 7
	;; [unrolled: 1-line block ×3, first 2 shown]
	s_or_b64 s[6:7], s[6:7], s[18:19]
	s_delay_alu instid0(SALU_CYCLE_1)
	s_or_b64 s[6:7], s[10:11], s[6:7]
	s_sub_u32 s10, s4, s2
	s_subb_u32 s11, s5, s3
	s_cmp_eq_u64 s[6:7], 0
	s_mov_b32 s2, -1
	s_cbranch_scc0 .LBB251_5
; %bb.1:
	v_dual_mov_b32 v2, 0 :: v_dual_lshlrev_b32 v1, 2, v0
	s_mov_b32 s17, exec_lo
	s_delay_alu instid0(VALU_DEP_1)
	v_cmpx_gt_i64_e64 s[10:11], v[1:2]
	s_cbranch_execz .LBB251_4
; %bb.2:
	s_load_b32 s2, s[0:1], 0xc5c
	v_lshlrev_b32_e32 v1, 3, v0
	s_mov_b32 s18, 0
	s_delay_alu instid0(VALU_DEP_1) | instskip(NEXT) | instid1(VALU_DEP_1)
	v_add_co_u32 v3, s3, s8, v1
	v_add_co_ci_u32_e64 v4, null, s9, 0, s3
	s_waitcnt lgkmcnt(0)
	s_and_b32 s2, s2, 0xffff
	s_delay_alu instid0(SALU_CYCLE_1)
	v_add_lshl_u32 v1, v0, s2, 2
	s_lshl_b32 s19, s2, 3
	s_lshl_b32 s20, s2, 2
.LBB251_3:                              ; =>This Inner Loop Header: Depth=1
	v_add_co_u32 v5, vcc_lo, s12, v3
	v_add_co_ci_u32_e32 v6, vcc_lo, s13, v4, vcc_lo
	v_add_co_u32 v7, vcc_lo, s14, v3
	v_add_co_ci_u32_e32 v8, vcc_lo, s15, v4, vcc_lo
	global_load_b64 v[5:6], v[5:6], off
	v_add_co_u32 v3, vcc_lo, v3, s19
	v_add_co_ci_u32_e32 v4, vcc_lo, 0, v4, vcc_lo
	v_cmp_le_i64_e64 s2, s[10:11], v[1:2]
	v_cmp_lt_u64_e64 s3, 0xffff, v[1:2]
	v_add_co_u32 v1, s4, v1, s20
	s_delay_alu instid0(VALU_DEP_2) | instskip(NEXT) | instid1(SALU_CYCLE_1)
	s_or_b32 s2, s2, s3
	s_and_b32 s2, exec_lo, s2
	s_delay_alu instid0(SALU_CYCLE_1)
	s_or_b32 s18, s2, s18
	s_waitcnt vmcnt(0)
	v_and_b32_e32 v10, 0xffff0000, v5
	v_lshlrev_b32_e32 v9, 16, v5
	v_alignbit_b32 v5, v6, v5, 16
	v_and_b32_e32 v6, 0xffff0000, v6
	s_delay_alu instid0(VALU_DEP_3) | instskip(NEXT) | instid1(VALU_DEP_3)
	v_dual_mul_f32 v12, 0xbfb8aa3b, v10 :: v_dual_mul_f32 v11, 0xbfb8aa3b, v9
	v_and_b32_e32 v5, 0xffff0000, v5
	s_delay_alu instid0(VALU_DEP_3) | instskip(SKIP_1) | instid1(VALU_DEP_4)
	v_mul_f32_e32 v13, 0xbfb8aa3b, v6
	v_cmp_nlt_f32_e64 s6, 0x42ce8ed0, v9
	v_rndne_f32_e32 v17, v12
	v_fma_f32 v14, 0xbfb8aa3b, v9, -v11
	v_mul_f32_e32 v18, 0xbfb8aa3b, v5
	v_rndne_f32_e32 v15, v11
	v_rndne_f32_e32 v20, v13
	v_fma_f32 v19, 0xbfb8aa3b, v6, -v13
	v_cmp_ngt_f32_e64 s7, 0xc2b17218, v9
	v_rndne_f32_e32 v22, v18
	v_sub_f32_e32 v11, v11, v15
	v_fma_f32 v16, 0xbfb8aa3b, v10, -v12
	v_dual_sub_f32 v13, v13, v20 :: v_dual_fmac_f32 v14, 0xb2a5705f, v9
	v_dual_fmac_f32 v19, 0xb2a5705f, v6 :: v_dual_sub_f32 v12, v12, v17
	v_cvt_i32_f32_e32 v15, v15
	v_cvt_i32_f32_e32 v17, v17
	s_delay_alu instid0(VALU_DEP_4)
	v_add_f32_e32 v11, v11, v14
	v_sub_f32_e32 v14, v18, v22
	v_fma_f32 v21, 0xbfb8aa3b, v5, -v18
	v_fmac_f32_e32 v16, 0xb2a5705f, v10
	v_cvt_i32_f32_e32 v20, v20
	v_exp_f32_e32 v11, v11
	v_cmp_nlt_f32_e32 vcc_lo, 0x42ce8ed0, v10
	s_delay_alu instid0(VALU_DEP_3) | instskip(SKIP_3) | instid1(VALU_DEP_4)
	v_dual_fmac_f32 v21, 0xb2a5705f, v5 :: v_dual_add_f32 v12, v12, v16
	v_add_f32_e32 v13, v13, v19
	v_cvt_i32_f32_e32 v16, v22
	v_cmp_nlt_f32_e64 s5, 0x42ce8ed0, v6
	v_add_f32_e32 v14, v14, v21
	v_exp_f32_e32 v12, v12
	v_exp_f32_e32 v13, v13
	s_delay_alu instid0(TRANS32_DEP_3) | instskip(NEXT) | instid1(VALU_DEP_2)
	v_ldexp_f32 v11, v11, v15
	v_exp_f32_e32 v14, v14
	s_delay_alu instid0(VALU_DEP_1) | instskip(SKIP_1) | instid1(TRANS32_DEP_3)
	v_cndmask_b32_e64 v11, 0, v11, s6
	v_cmp_nlt_f32_e64 s6, 0x42ce8ed0, v5
	v_ldexp_f32 v12, v12, v17
	s_waitcnt_depctr 0xfff
	v_ldexp_f32 v13, v13, v20
	s_delay_alu instid0(VALU_DEP_1)
	v_cndmask_b32_e64 v13, 0, v13, s5
	v_cmp_ngt_f32_e64 s5, 0xc2b17218, v6
	v_cndmask_b32_e64 v6, 0x7f800000, v11, s7
	v_cndmask_b32_e32 v12, 0, v12, vcc_lo
	v_cmp_ngt_f32_e32 vcc_lo, 0xc2b17218, v10
	v_ldexp_f32 v10, v14, v16
	v_cndmask_b32_e64 v11, 0x7f800000, v13, s5
	s_delay_alu instid0(VALU_DEP_4) | instskip(NEXT) | instid1(VALU_DEP_3)
	v_cndmask_b32_e32 v9, 0x7f800000, v12, vcc_lo
	v_cndmask_b32_e64 v10, 0, v10, s6
	v_cmp_ngt_f32_e32 vcc_lo, 0xc2b17218, v5
	s_delay_alu instid0(VALU_DEP_3) | instskip(NEXT) | instid1(VALU_DEP_3)
	v_dual_add_f32 v5, s16, v6 :: v_dual_add_f32 v6, s16, v9
	v_cndmask_b32_e32 v9, 0x7f800000, v10, vcc_lo
	v_add_f32_e32 v10, s16, v11
	s_delay_alu instid0(VALU_DEP_3) | instskip(NEXT) | instid1(VALU_DEP_4)
	v_div_scale_f32 v11, null, v5, v5, s16
	v_div_scale_f32 v13, null, v6, v6, s16
	s_delay_alu instid0(VALU_DEP_3) | instskip(NEXT) | instid1(VALU_DEP_3)
	v_div_scale_f32 v15, null, v10, v10, s16
	v_rcp_f32_e32 v17, v11
	s_delay_alu instid0(VALU_DEP_2) | instskip(SKIP_1) | instid1(VALU_DEP_2)
	v_rcp_f32_e32 v18, v13
	v_div_scale_f32 v14, s5, s16, v6, s16
	v_rcp_f32_e32 v20, v15
	v_div_scale_f32 v12, vcc_lo, s16, v5, s16
	s_delay_alu instid0(TRANS32_DEP_3) | instskip(SKIP_3) | instid1(VALU_DEP_2)
	v_fma_f32 v23, -v11, v17, 1.0
	s_waitcnt_depctr 0xfff
	v_fma_f32 v24, -v13, v18, 1.0
	v_fma_f32 v25, -v15, v20, 1.0
	v_fmac_f32_e32 v18, v24, v18
	s_delay_alu instid0(VALU_DEP_2) | instskip(SKIP_1) | instid1(VALU_DEP_3)
	v_dual_fmac_f32 v20, v25, v20 :: v_dual_add_f32 v9, s16, v9
	v_div_scale_f32 v16, s6, s16, v10, s16
	v_mul_f32_e32 v25, v14, v18
	s_delay_alu instid0(VALU_DEP_3) | instskip(SKIP_2) | instid1(VALU_DEP_3)
	v_div_scale_f32 v19, null, v9, v9, s16
	v_div_scale_f32 v21, s7, s16, v9, s16
	v_fmac_f32_e32 v17, v23, v17
	v_rcp_f32_e32 v22, v19
	v_fma_f32 v27, -v13, v25, v14
	s_delay_alu instid0(VALU_DEP_1) | instskip(SKIP_2) | instid1(VALU_DEP_1)
	v_fmac_f32_e32 v25, v27, v18
	s_waitcnt_depctr 0xfff
	v_fma_f32 v23, -v19, v22, 1.0
	v_dual_fmac_f32 v22, v23, v22 :: v_dual_mul_f32 v23, v16, v20
	s_delay_alu instid0(VALU_DEP_1) | instskip(SKIP_1) | instid1(VALU_DEP_3)
	v_mul_f32_e32 v28, v21, v22
	v_mul_f32_e32 v24, v12, v17
	v_fma_f32 v29, -v15, v23, v16
	s_delay_alu instid0(VALU_DEP_2) | instskip(NEXT) | instid1(VALU_DEP_1)
	v_fma_f32 v26, -v11, v24, v12
	v_dual_fmac_f32 v23, v29, v20 :: v_dual_fmac_f32 v24, v26, v17
	v_fma_f32 v26, -v19, v28, v21
	s_delay_alu instid0(VALU_DEP_2) | instskip(NEXT) | instid1(VALU_DEP_2)
	v_fma_f32 v11, -v11, v24, v12
	v_fmac_f32_e32 v28, v26, v22
	v_fma_f32 v12, -v13, v25, v14
	v_fma_f32 v13, -v15, v23, v16
	s_delay_alu instid0(VALU_DEP_4) | instskip(NEXT) | instid1(VALU_DEP_4)
	v_div_fmas_f32 v11, v11, v17, v24
	v_fma_f32 v14, -v19, v28, v21
	s_mov_b32 vcc_lo, s5
	v_div_fmas_f32 v12, v12, v18, v25
	s_mov_b32 vcc_lo, s7
	v_div_fixup_f32 v5, v11, v5, s16
	v_div_fmas_f32 v11, v14, v22, v28
	s_mov_b32 vcc_lo, s6
	v_div_fixup_f32 v6, v12, v6, s16
	v_div_fmas_f32 v13, v13, v20, v23
	v_bfe_u32 v12, v5, 16, 1
	v_div_fixup_f32 v9, v11, v9, s16
	v_cmp_o_f32_e32 vcc_lo, v5, v5
	v_bfe_u32 v11, v6, 16, 1
	v_div_fixup_f32 v10, v13, v10, s16
	v_add3_u32 v12, v5, v12, 0x7fff
	v_bfe_u32 v13, v9, 16, 1
	v_cmp_o_f32_e64 s5, v6, v6
	v_add3_u32 v11, v6, v11, 0x7fff
	v_bfe_u32 v14, v10, 16, 1
	v_lshrrev_b32_e32 v12, 16, v12
	v_add3_u32 v13, v9, v13, 0x7fff
	s_delay_alu instid0(VALU_DEP_4) | instskip(NEXT) | instid1(VALU_DEP_4)
	v_and_b32_e32 v11, 0xffff0000, v11
	v_add3_u32 v5, v10, v14, 0x7fff
	s_delay_alu instid0(VALU_DEP_4) | instskip(NEXT) | instid1(VALU_DEP_4)
	v_cndmask_b32_e32 v12, 0x7fc0, v12, vcc_lo
	v_lshrrev_b32_e32 v6, 16, v13
	v_cmp_o_f32_e32 vcc_lo, v9, v9
	v_cndmask_b32_e64 v11, 0x7fc00000, v11, s5
	v_and_b32_e32 v5, 0xffff0000, v5
	v_cmp_o_f32_e64 s5, v10, v10
	v_cndmask_b32_e32 v6, 0x7fc0, v6, vcc_lo
	s_delay_alu instid0(VALU_DEP_4) | instskip(SKIP_1) | instid1(VALU_DEP_4)
	v_or_b32_e32 v9, v12, v11
	v_add_co_ci_u32_e64 v2, vcc_lo, 0, v2, s4
	v_cndmask_b32_e64 v5, 0x7fc00000, v5, s5
	s_delay_alu instid0(VALU_DEP_1) | instskip(NEXT) | instid1(VALU_DEP_4)
	v_or3_b32 v6, 0, v6, v5
	v_or3_b32 v5, v9, 0, 0
	global_store_b64 v[7:8], v[5:6], off
	s_and_not1_b32 exec_lo, exec_lo, s18
	s_cbranch_execnz .LBB251_3
.LBB251_4:
	s_or_b32 exec_lo, exec_lo, s17
	s_mov_b32 s2, 0
.LBB251_5:
	s_delay_alu instid0(SALU_CYCLE_1)
	s_and_not1_b32 vcc_lo, exec_lo, s2
	s_cbranch_vccnz .LBB251_25
; %bb.6:
	v_cmp_lt_i64_e64 s2, s[10:11], 1
	s_delay_alu instid0(VALU_DEP_1)
	s_and_b32 vcc_lo, exec_lo, s2
	s_cbranch_vccnz .LBB251_25
; %bb.7:
	s_load_b32 s0, s[0:1], 0xc5c
	v_dual_mov_b32 v10, 0 :: v_dual_lshlrev_b32 v9, 1, v0
	v_cmp_gt_u64_e64 s1, 0x10000, s[10:11]
	s_mov_b64 s[6:7], 0
	s_delay_alu instid0(VALU_DEP_2) | instskip(NEXT) | instid1(VALU_DEP_1)
	v_add_co_u32 v1, s2, s12, v9
	v_add_co_ci_u32_e64 v2, null, s13, 0, s2
	v_add_co_u32 v3, s2, s14, v9
	s_delay_alu instid0(VALU_DEP_1)
	v_add_co_ci_u32_e64 v4, null, s15, 0, s2
	s_waitcnt lgkmcnt(0)
	s_and_b32 s0, s0, 0xffff
	s_and_b32 s1, s1, exec_lo
	v_mad_u64_u32 v[7:8], null, s0, 6, v[9:10]
	s_cselect_b32 s5, s11, 0
	s_cselect_b32 s4, s10, 0x10000
	s_mul_i32 s2, s0, 3
	s_lshl_b32 s17, s0, 2
	s_lshl_b32 s1, s0, 1
	v_add_co_u32 v14, s3, s17, v9
	v_add_co_u32 v9, s2, s2, v0
	s_delay_alu instid0(VALU_DEP_1) | instskip(SKIP_3) | instid1(VALU_DEP_3)
	v_add_co_ci_u32_e64 v10, null, 0, 0, s2
	v_add_co_u32 v13, s2, v0, s0
	v_add_co_u32 v5, vcc_lo, s12, v7
	v_add_co_ci_u32_e32 v6, vcc_lo, s13, v8, vcc_lo
	v_lshlrev_b32_e32 v21, 1, v13
	v_add_co_u32 v7, vcc_lo, s14, v7
	v_add_co_ci_u32_e64 v15, null, 0, 0, s3
	v_add_co_ci_u32_e32 v8, vcc_lo, s15, v8, vcc_lo
	v_add_co_u32 v17, s1, s1, v0
	v_add_co_u32 v11, vcc_lo, s12, v14
	v_add_co_ci_u32_e64 v18, null, 0, 0, s1
	v_add_co_u32 v19, s1, s12, v21
	v_add_co_ci_u32_e32 v12, vcc_lo, s13, v15, vcc_lo
	v_add_co_u32 v14, vcc_lo, s14, v14
	v_add_co_ci_u32_e64 v20, null, s13, 0, s1
	v_add_co_u32 v21, s1, s14, v21
	v_add_co_ci_u32_e32 v15, vcc_lo, s15, v15, vcc_lo
	v_add_co_ci_u32_e64 v16, null, 0, 0, s2
	v_add_co_ci_u32_e64 v22, null, s15, 0, s1
	s_lshl_b32 s12, s0, 3
	s_branch .LBB251_9
.LBB251_8:                              ;   in Loop: Header=BB251_9 Depth=1
	s_or_b32 exec_lo, exec_lo, s1
	v_add_co_u32 v1, vcc_lo, v1, s12
	v_add_co_ci_u32_e32 v2, vcc_lo, 0, v2, vcc_lo
	v_add_co_u32 v3, vcc_lo, v3, s12
	v_add_co_ci_u32_e32 v4, vcc_lo, 0, v4, vcc_lo
	v_add_co_u32 v5, vcc_lo, v5, s12
	v_add_co_ci_u32_e32 v6, vcc_lo, 0, v6, vcc_lo
	v_add_co_u32 v7, vcc_lo, v7, s12
	v_add_co_ci_u32_e32 v8, vcc_lo, 0, v8, vcc_lo
	v_add_co_u32 v11, vcc_lo, v11, s12
	v_add_co_ci_u32_e32 v12, vcc_lo, 0, v12, vcc_lo
	s_add_u32 s6, s6, s17
	v_add_co_u32 v14, vcc_lo, v14, s12
	s_addc_u32 s7, s7, 0
	v_add_co_ci_u32_e32 v15, vcc_lo, 0, v15, vcc_lo
	v_cmp_ge_i64_e64 s0, s[6:7], s[10:11]
	v_cmp_lt_u64_e64 s1, 0xffff, s[6:7]
	v_add_co_u32 v19, vcc_lo, v19, s12
	v_add_co_ci_u32_e32 v20, vcc_lo, 0, v20, vcc_lo
	v_add_co_u32 v21, vcc_lo, v21, s12
	v_add_co_ci_u32_e32 v22, vcc_lo, 0, v22, vcc_lo
	s_or_b32 s0, s0, s1
	s_delay_alu instid0(SALU_CYCLE_1)
	s_and_b32 vcc_lo, exec_lo, s0
	s_cbranch_vccnz .LBB251_25
.LBB251_9:                              ; =>This Inner Loop Header: Depth=1
	s_waitcnt vmcnt(0)
	v_add_co_u32 v23, s0, v0, s6
	s_delay_alu instid0(VALU_DEP_1) | instskip(SKIP_1) | instid1(VALU_DEP_2)
	v_add_co_ci_u32_e64 v24, null, 0, s7, s0
	v_mov_b32_e32 v26, 0
	v_cmp_gt_u64_e32 vcc_lo, s[4:5], v[23:24]
	s_and_saveexec_b32 s1, vcc_lo
	s_cbranch_execz .LBB251_11
; %bb.10:                               ;   in Loop: Header=BB251_9 Depth=1
	v_add_co_u32 v23, s0, v1, s8
	s_delay_alu instid0(VALU_DEP_1)
	v_add_co_ci_u32_e64 v24, s0, s9, v2, s0
	global_load_u16 v26, v[23:24], off
.LBB251_11:                             ;   in Loop: Header=BB251_9 Depth=1
	s_or_b32 exec_lo, exec_lo, s1
	v_add_co_u32 v23, s0, v13, s6
	s_delay_alu instid0(VALU_DEP_1) | instskip(SKIP_1) | instid1(VALU_DEP_2)
	v_add_co_ci_u32_e64 v24, s0, s7, v16, s0
	v_mov_b32_e32 v25, 0
	v_cmp_gt_u64_e64 s2, s[4:5], v[23:24]
	s_delay_alu instid0(VALU_DEP_1)
	s_and_saveexec_b32 s1, s2
	s_cbranch_execz .LBB251_13
; %bb.12:                               ;   in Loop: Header=BB251_9 Depth=1
	v_add_co_u32 v23, s0, v19, s8
	s_delay_alu instid0(VALU_DEP_1)
	v_add_co_ci_u32_e64 v24, s0, s9, v20, s0
	global_load_u16 v25, v[23:24], off
.LBB251_13:                             ;   in Loop: Header=BB251_9 Depth=1
	s_or_b32 exec_lo, exec_lo, s1
	v_add_co_u32 v23, s0, v17, s6
	s_delay_alu instid0(VALU_DEP_1) | instskip(NEXT) | instid1(VALU_DEP_1)
	v_add_co_ci_u32_e64 v24, s0, s7, v18, s0
	v_cmp_gt_u64_e64 s1, s[4:5], v[23:24]
	v_dual_mov_b32 v23, 0 :: v_dual_mov_b32 v24, 0
	s_delay_alu instid0(VALU_DEP_2)
	s_and_saveexec_b32 s3, s1
	s_cbranch_execz .LBB251_15
; %bb.14:                               ;   in Loop: Header=BB251_9 Depth=1
	v_add_co_u32 v27, s0, v11, s8
	s_delay_alu instid0(VALU_DEP_1)
	v_add_co_ci_u32_e64 v28, s0, s9, v12, s0
	global_load_u16 v24, v[27:28], off
.LBB251_15:                             ;   in Loop: Header=BB251_9 Depth=1
	s_or_b32 exec_lo, exec_lo, s3
	v_add_co_u32 v27, s0, v9, s6
	s_delay_alu instid0(VALU_DEP_1) | instskip(NEXT) | instid1(VALU_DEP_1)
	v_add_co_ci_u32_e64 v28, s0, s7, v10, s0
	v_cmp_gt_u64_e64 s0, s[4:5], v[27:28]
	s_delay_alu instid0(VALU_DEP_1)
	s_and_saveexec_b32 s13, s0
	s_cbranch_execnz .LBB251_20
; %bb.16:                               ;   in Loop: Header=BB251_9 Depth=1
	s_or_b32 exec_lo, exec_lo, s13
	s_and_saveexec_b32 s3, vcc_lo
	s_cbranch_execnz .LBB251_21
.LBB251_17:                             ;   in Loop: Header=BB251_9 Depth=1
	s_or_b32 exec_lo, exec_lo, s3
	s_and_saveexec_b32 s3, s2
	s_cbranch_execnz .LBB251_22
.LBB251_18:                             ;   in Loop: Header=BB251_9 Depth=1
	s_or_b32 exec_lo, exec_lo, s3
	s_and_saveexec_b32 s2, s1
	s_cbranch_execnz .LBB251_23
.LBB251_19:                             ;   in Loop: Header=BB251_9 Depth=1
	s_or_b32 exec_lo, exec_lo, s2
	s_and_saveexec_b32 s1, s0
	s_cbranch_execz .LBB251_8
	s_branch .LBB251_24
.LBB251_20:                             ;   in Loop: Header=BB251_9 Depth=1
	v_add_co_u32 v27, s3, v5, s8
	s_delay_alu instid0(VALU_DEP_1)
	v_add_co_ci_u32_e64 v28, s3, s9, v6, s3
	global_load_u16 v23, v[27:28], off
	s_or_b32 exec_lo, exec_lo, s13
	s_and_saveexec_b32 s3, vcc_lo
	s_cbranch_execz .LBB251_17
.LBB251_21:                             ;   in Loop: Header=BB251_9 Depth=1
	s_waitcnt vmcnt(0)
	v_lshlrev_b32_e32 v26, 16, v26
	s_delay_alu instid0(VALU_DEP_1) | instskip(NEXT) | instid1(VALU_DEP_1)
	v_mul_f32_e32 v27, 0xbfb8aa3b, v26
	v_rndne_f32_e32 v28, v27
	v_fma_f32 v29, 0xbfb8aa3b, v26, -v27
	s_delay_alu instid0(VALU_DEP_2) | instskip(NEXT) | instid1(VALU_DEP_2)
	v_sub_f32_e32 v27, v27, v28
	v_fmac_f32_e32 v29, 0xb2a5705f, v26
	v_cvt_i32_f32_e32 v28, v28
	v_cmp_nlt_f32_e32 vcc_lo, 0x42ce8ed0, v26
	s_delay_alu instid0(VALU_DEP_3) | instskip(NEXT) | instid1(VALU_DEP_1)
	v_add_f32_e32 v27, v27, v29
	v_exp_f32_e32 v27, v27
	s_waitcnt_depctr 0xfff
	v_ldexp_f32 v27, v27, v28
	s_delay_alu instid0(VALU_DEP_1) | instskip(SKIP_1) | instid1(VALU_DEP_2)
	v_cndmask_b32_e32 v27, 0, v27, vcc_lo
	v_cmp_ngt_f32_e32 vcc_lo, 0xc2b17218, v26
	v_cndmask_b32_e32 v26, 0x7f800000, v27, vcc_lo
	s_delay_alu instid0(VALU_DEP_1) | instskip(NEXT) | instid1(VALU_DEP_1)
	v_add_f32_e32 v26, s16, v26
	v_div_scale_f32 v27, null, v26, v26, s16
	v_div_scale_f32 v30, vcc_lo, s16, v26, s16
	s_delay_alu instid0(VALU_DEP_2) | instskip(SKIP_2) | instid1(VALU_DEP_1)
	v_rcp_f32_e32 v28, v27
	s_waitcnt_depctr 0xfff
	v_fma_f32 v29, -v27, v28, 1.0
	v_fmac_f32_e32 v28, v29, v28
	s_delay_alu instid0(VALU_DEP_1) | instskip(NEXT) | instid1(VALU_DEP_1)
	v_mul_f32_e32 v29, v30, v28
	v_fma_f32 v31, -v27, v29, v30
	s_delay_alu instid0(VALU_DEP_1) | instskip(NEXT) | instid1(VALU_DEP_1)
	v_fmac_f32_e32 v29, v31, v28
	v_fma_f32 v27, -v27, v29, v30
	s_delay_alu instid0(VALU_DEP_1) | instskip(NEXT) | instid1(VALU_DEP_1)
	v_div_fmas_f32 v27, v27, v28, v29
	v_div_fixup_f32 v26, v27, v26, s16
	s_delay_alu instid0(VALU_DEP_1) | instskip(SKIP_1) | instid1(VALU_DEP_2)
	v_bfe_u32 v27, v26, 16, 1
	v_cmp_o_f32_e32 vcc_lo, v26, v26
	v_add3_u32 v27, v26, v27, 0x7fff
	s_delay_alu instid0(VALU_DEP_1) | instskip(NEXT) | instid1(VALU_DEP_1)
	v_lshrrev_b32_e32 v27, 16, v27
	v_cndmask_b32_e32 v28, 0x7fc0, v27, vcc_lo
	v_add_co_u32 v26, vcc_lo, v3, s8
	v_add_co_ci_u32_e32 v27, vcc_lo, s9, v4, vcc_lo
	global_store_b16 v[26:27], v28, off
	s_or_b32 exec_lo, exec_lo, s3
	s_and_saveexec_b32 s3, s2
	s_cbranch_execz .LBB251_18
.LBB251_22:                             ;   in Loop: Header=BB251_9 Depth=1
	s_waitcnt vmcnt(0)
	v_lshlrev_b32_e32 v25, 16, v25
	s_delay_alu instid0(VALU_DEP_1) | instskip(NEXT) | instid1(VALU_DEP_1)
	v_mul_f32_e32 v26, 0xbfb8aa3b, v25
	v_rndne_f32_e32 v27, v26
	v_fma_f32 v28, 0xbfb8aa3b, v25, -v26
	s_delay_alu instid0(VALU_DEP_2) | instskip(NEXT) | instid1(VALU_DEP_2)
	v_sub_f32_e32 v26, v26, v27
	v_fmac_f32_e32 v28, 0xb2a5705f, v25
	v_cvt_i32_f32_e32 v27, v27
	v_cmp_nlt_f32_e32 vcc_lo, 0x42ce8ed0, v25
	s_delay_alu instid0(VALU_DEP_3) | instskip(NEXT) | instid1(VALU_DEP_1)
	v_add_f32_e32 v26, v26, v28
	v_exp_f32_e32 v26, v26
	s_waitcnt_depctr 0xfff
	v_ldexp_f32 v26, v26, v27
	s_delay_alu instid0(VALU_DEP_1) | instskip(SKIP_1) | instid1(VALU_DEP_2)
	v_cndmask_b32_e32 v26, 0, v26, vcc_lo
	v_cmp_ngt_f32_e32 vcc_lo, 0xc2b17218, v25
	v_cndmask_b32_e32 v25, 0x7f800000, v26, vcc_lo
	s_delay_alu instid0(VALU_DEP_1) | instskip(NEXT) | instid1(VALU_DEP_1)
	v_add_f32_e32 v25, s16, v25
	v_div_scale_f32 v26, null, v25, v25, s16
	v_div_scale_f32 v29, vcc_lo, s16, v25, s16
	s_delay_alu instid0(VALU_DEP_2) | instskip(SKIP_2) | instid1(VALU_DEP_1)
	v_rcp_f32_e32 v27, v26
	s_waitcnt_depctr 0xfff
	v_fma_f32 v28, -v26, v27, 1.0
	v_fmac_f32_e32 v27, v28, v27
	s_delay_alu instid0(VALU_DEP_1) | instskip(NEXT) | instid1(VALU_DEP_1)
	v_mul_f32_e32 v28, v29, v27
	v_fma_f32 v30, -v26, v28, v29
	s_delay_alu instid0(VALU_DEP_1) | instskip(NEXT) | instid1(VALU_DEP_1)
	v_fmac_f32_e32 v28, v30, v27
	v_fma_f32 v26, -v26, v28, v29
	s_delay_alu instid0(VALU_DEP_1) | instskip(NEXT) | instid1(VALU_DEP_1)
	v_div_fmas_f32 v26, v26, v27, v28
	v_div_fixup_f32 v25, v26, v25, s16
	s_delay_alu instid0(VALU_DEP_1) | instskip(SKIP_1) | instid1(VALU_DEP_2)
	v_bfe_u32 v26, v25, 16, 1
	v_cmp_o_f32_e32 vcc_lo, v25, v25
	v_add3_u32 v26, v25, v26, 0x7fff
	s_delay_alu instid0(VALU_DEP_1) | instskip(NEXT) | instid1(VALU_DEP_1)
	v_lshrrev_b32_e32 v26, 16, v26
	v_cndmask_b32_e32 v27, 0x7fc0, v26, vcc_lo
	v_add_co_u32 v25, vcc_lo, v21, s8
	v_add_co_ci_u32_e32 v26, vcc_lo, s9, v22, vcc_lo
	global_store_b16 v[25:26], v27, off
	s_or_b32 exec_lo, exec_lo, s3
	s_and_saveexec_b32 s2, s1
	s_cbranch_execz .LBB251_19
.LBB251_23:                             ;   in Loop: Header=BB251_9 Depth=1
	s_waitcnt vmcnt(0)
	v_lshlrev_b32_e32 v24, 16, v24
	s_delay_alu instid0(VALU_DEP_1) | instskip(NEXT) | instid1(VALU_DEP_1)
	v_mul_f32_e32 v25, 0xbfb8aa3b, v24
	v_rndne_f32_e32 v26, v25
	v_fma_f32 v27, 0xbfb8aa3b, v24, -v25
	s_delay_alu instid0(VALU_DEP_2) | instskip(NEXT) | instid1(VALU_DEP_2)
	v_sub_f32_e32 v25, v25, v26
	v_fmac_f32_e32 v27, 0xb2a5705f, v24
	v_cvt_i32_f32_e32 v26, v26
	v_cmp_nlt_f32_e32 vcc_lo, 0x42ce8ed0, v24
	s_delay_alu instid0(VALU_DEP_3) | instskip(NEXT) | instid1(VALU_DEP_1)
	v_add_f32_e32 v25, v25, v27
	v_exp_f32_e32 v25, v25
	s_waitcnt_depctr 0xfff
	v_ldexp_f32 v25, v25, v26
	s_delay_alu instid0(VALU_DEP_1) | instskip(SKIP_1) | instid1(VALU_DEP_2)
	v_cndmask_b32_e32 v25, 0, v25, vcc_lo
	v_cmp_ngt_f32_e32 vcc_lo, 0xc2b17218, v24
	v_cndmask_b32_e32 v24, 0x7f800000, v25, vcc_lo
	s_delay_alu instid0(VALU_DEP_1) | instskip(NEXT) | instid1(VALU_DEP_1)
	v_add_f32_e32 v24, s16, v24
	v_div_scale_f32 v25, null, v24, v24, s16
	v_div_scale_f32 v28, vcc_lo, s16, v24, s16
	s_delay_alu instid0(VALU_DEP_2) | instskip(SKIP_2) | instid1(VALU_DEP_1)
	v_rcp_f32_e32 v26, v25
	s_waitcnt_depctr 0xfff
	v_fma_f32 v27, -v25, v26, 1.0
	v_fmac_f32_e32 v26, v27, v26
	s_delay_alu instid0(VALU_DEP_1) | instskip(NEXT) | instid1(VALU_DEP_1)
	v_mul_f32_e32 v27, v28, v26
	v_fma_f32 v29, -v25, v27, v28
	s_delay_alu instid0(VALU_DEP_1) | instskip(NEXT) | instid1(VALU_DEP_1)
	v_fmac_f32_e32 v27, v29, v26
	v_fma_f32 v25, -v25, v27, v28
	s_delay_alu instid0(VALU_DEP_1) | instskip(NEXT) | instid1(VALU_DEP_1)
	v_div_fmas_f32 v25, v25, v26, v27
	v_div_fixup_f32 v24, v25, v24, s16
	s_delay_alu instid0(VALU_DEP_1) | instskip(SKIP_1) | instid1(VALU_DEP_2)
	v_bfe_u32 v25, v24, 16, 1
	v_cmp_o_f32_e32 vcc_lo, v24, v24
	v_add3_u32 v25, v24, v25, 0x7fff
	s_delay_alu instid0(VALU_DEP_1) | instskip(NEXT) | instid1(VALU_DEP_1)
	v_lshrrev_b32_e32 v25, 16, v25
	v_cndmask_b32_e32 v26, 0x7fc0, v25, vcc_lo
	v_add_co_u32 v24, vcc_lo, v14, s8
	v_add_co_ci_u32_e32 v25, vcc_lo, s9, v15, vcc_lo
	global_store_b16 v[24:25], v26, off
	s_or_b32 exec_lo, exec_lo, s2
	s_and_saveexec_b32 s1, s0
	s_cbranch_execz .LBB251_8
.LBB251_24:                             ;   in Loop: Header=BB251_9 Depth=1
	s_waitcnt vmcnt(0)
	v_lshlrev_b32_e32 v23, 16, v23
	s_delay_alu instid0(VALU_DEP_1) | instskip(NEXT) | instid1(VALU_DEP_1)
	v_mul_f32_e32 v24, 0xbfb8aa3b, v23
	v_rndne_f32_e32 v25, v24
	v_fma_f32 v26, 0xbfb8aa3b, v23, -v24
	s_delay_alu instid0(VALU_DEP_2) | instskip(NEXT) | instid1(VALU_DEP_2)
	v_sub_f32_e32 v24, v24, v25
	v_fmac_f32_e32 v26, 0xb2a5705f, v23
	v_cvt_i32_f32_e32 v25, v25
	v_cmp_nlt_f32_e32 vcc_lo, 0x42ce8ed0, v23
	s_delay_alu instid0(VALU_DEP_3) | instskip(NEXT) | instid1(VALU_DEP_1)
	v_add_f32_e32 v24, v24, v26
	v_exp_f32_e32 v24, v24
	s_waitcnt_depctr 0xfff
	v_ldexp_f32 v24, v24, v25
	s_delay_alu instid0(VALU_DEP_1) | instskip(SKIP_1) | instid1(VALU_DEP_2)
	v_cndmask_b32_e32 v24, 0, v24, vcc_lo
	v_cmp_ngt_f32_e32 vcc_lo, 0xc2b17218, v23
	v_cndmask_b32_e32 v23, 0x7f800000, v24, vcc_lo
	s_delay_alu instid0(VALU_DEP_1) | instskip(NEXT) | instid1(VALU_DEP_1)
	v_add_f32_e32 v23, s16, v23
	v_div_scale_f32 v24, null, v23, v23, s16
	v_div_scale_f32 v27, vcc_lo, s16, v23, s16
	s_delay_alu instid0(VALU_DEP_2) | instskip(SKIP_2) | instid1(VALU_DEP_1)
	v_rcp_f32_e32 v25, v24
	s_waitcnt_depctr 0xfff
	v_fma_f32 v26, -v24, v25, 1.0
	v_fmac_f32_e32 v25, v26, v25
	s_delay_alu instid0(VALU_DEP_1) | instskip(NEXT) | instid1(VALU_DEP_1)
	v_mul_f32_e32 v26, v27, v25
	v_fma_f32 v28, -v24, v26, v27
	s_delay_alu instid0(VALU_DEP_1) | instskip(NEXT) | instid1(VALU_DEP_1)
	v_fmac_f32_e32 v26, v28, v25
	v_fma_f32 v24, -v24, v26, v27
	s_delay_alu instid0(VALU_DEP_1) | instskip(NEXT) | instid1(VALU_DEP_1)
	v_div_fmas_f32 v24, v24, v25, v26
	v_div_fixup_f32 v23, v24, v23, s16
	s_delay_alu instid0(VALU_DEP_1) | instskip(SKIP_1) | instid1(VALU_DEP_2)
	v_bfe_u32 v24, v23, 16, 1
	v_cmp_o_f32_e32 vcc_lo, v23, v23
	v_add3_u32 v24, v23, v24, 0x7fff
	s_delay_alu instid0(VALU_DEP_1) | instskip(NEXT) | instid1(VALU_DEP_1)
	v_lshrrev_b32_e32 v24, 16, v24
	v_cndmask_b32_e32 v25, 0x7fc0, v24, vcc_lo
	v_add_co_u32 v23, vcc_lo, v7, s8
	v_add_co_ci_u32_e32 v24, vcc_lo, s9, v8, vcc_lo
	global_store_b16 v[23:24], v25, off
	s_branch .LBB251_8
.LBB251_25:
	s_nop 0
	s_sendmsg sendmsg(MSG_DEALLOC_VGPRS)
	s_endpgm
	.section	.rodata,"a",@progbits
	.p2align	6, 0x0
	.amdhsa_kernel _ZN2at6native12_GLOBAL__N_125multi_tensor_apply_kernelINS1_18TensorListMetadataILi2EEENS1_14UnaryOpFunctorIN3c108BFloat16ELi2ELi1ELi1EEEJNS0_7SigmoidIfEEEEEvT_T0_DpT1_
		.amdhsa_group_segment_fixed_size 0
		.amdhsa_private_segment_fixed_size 0
		.amdhsa_kernarg_size 3408
		.amdhsa_user_sgpr_count 15
		.amdhsa_user_sgpr_dispatch_ptr 0
		.amdhsa_user_sgpr_queue_ptr 0
		.amdhsa_user_sgpr_kernarg_segment_ptr 1
		.amdhsa_user_sgpr_dispatch_id 0
		.amdhsa_user_sgpr_private_segment_size 0
		.amdhsa_wavefront_size32 1
		.amdhsa_uses_dynamic_stack 0
		.amdhsa_enable_private_segment 0
		.amdhsa_system_sgpr_workgroup_id_x 1
		.amdhsa_system_sgpr_workgroup_id_y 0
		.amdhsa_system_sgpr_workgroup_id_z 0
		.amdhsa_system_sgpr_workgroup_info 0
		.amdhsa_system_vgpr_workitem_id 0
		.amdhsa_next_free_vgpr 32
		.amdhsa_next_free_sgpr 21
		.amdhsa_reserve_vcc 1
		.amdhsa_float_round_mode_32 0
		.amdhsa_float_round_mode_16_64 0
		.amdhsa_float_denorm_mode_32 3
		.amdhsa_float_denorm_mode_16_64 3
		.amdhsa_dx10_clamp 1
		.amdhsa_ieee_mode 1
		.amdhsa_fp16_overflow 0
		.amdhsa_workgroup_processor_mode 1
		.amdhsa_memory_ordered 1
		.amdhsa_forward_progress 0
		.amdhsa_shared_vgpr_count 0
		.amdhsa_exception_fp_ieee_invalid_op 0
		.amdhsa_exception_fp_denorm_src 0
		.amdhsa_exception_fp_ieee_div_zero 0
		.amdhsa_exception_fp_ieee_overflow 0
		.amdhsa_exception_fp_ieee_underflow 0
		.amdhsa_exception_fp_ieee_inexact 0
		.amdhsa_exception_int_div_zero 0
	.end_amdhsa_kernel
	.section	.text._ZN2at6native12_GLOBAL__N_125multi_tensor_apply_kernelINS1_18TensorListMetadataILi2EEENS1_14UnaryOpFunctorIN3c108BFloat16ELi2ELi1ELi1EEEJNS0_7SigmoidIfEEEEEvT_T0_DpT1_,"axG",@progbits,_ZN2at6native12_GLOBAL__N_125multi_tensor_apply_kernelINS1_18TensorListMetadataILi2EEENS1_14UnaryOpFunctorIN3c108BFloat16ELi2ELi1ELi1EEEJNS0_7SigmoidIfEEEEEvT_T0_DpT1_,comdat
.Lfunc_end251:
	.size	_ZN2at6native12_GLOBAL__N_125multi_tensor_apply_kernelINS1_18TensorListMetadataILi2EEENS1_14UnaryOpFunctorIN3c108BFloat16ELi2ELi1ELi1EEEJNS0_7SigmoidIfEEEEEvT_T0_DpT1_, .Lfunc_end251-_ZN2at6native12_GLOBAL__N_125multi_tensor_apply_kernelINS1_18TensorListMetadataILi2EEENS1_14UnaryOpFunctorIN3c108BFloat16ELi2ELi1ELi1EEEJNS0_7SigmoidIfEEEEEvT_T0_DpT1_
                                        ; -- End function
	.section	.AMDGPU.csdata,"",@progbits
; Kernel info:
; codeLenInByte = 3388
; NumSgprs: 23
; NumVgprs: 32
; ScratchSize: 0
; MemoryBound: 0
; FloatMode: 240
; IeeeMode: 1
; LDSByteSize: 0 bytes/workgroup (compile time only)
; SGPRBlocks: 2
; VGPRBlocks: 3
; NumSGPRsForWavesPerEU: 23
; NumVGPRsForWavesPerEU: 32
; Occupancy: 16
; WaveLimiterHint : 0
; COMPUTE_PGM_RSRC2:SCRATCH_EN: 0
; COMPUTE_PGM_RSRC2:USER_SGPR: 15
; COMPUTE_PGM_RSRC2:TRAP_HANDLER: 0
; COMPUTE_PGM_RSRC2:TGID_X_EN: 1
; COMPUTE_PGM_RSRC2:TGID_Y_EN: 0
; COMPUTE_PGM_RSRC2:TGID_Z_EN: 0
; COMPUTE_PGM_RSRC2:TIDIG_COMP_CNT: 0
	.section	.text._ZN2at6native12_GLOBAL__N_125multi_tensor_apply_kernelINS1_18TensorListMetadataILi1EEENS1_14UnaryOpFunctorIdLi1ELi1ELi0EEEJNS0_7SigmoidIdEEEEEvT_T0_DpT1_,"axG",@progbits,_ZN2at6native12_GLOBAL__N_125multi_tensor_apply_kernelINS1_18TensorListMetadataILi1EEENS1_14UnaryOpFunctorIdLi1ELi1ELi0EEEJNS0_7SigmoidIdEEEEEvT_T0_DpT1_,comdat
	.globl	_ZN2at6native12_GLOBAL__N_125multi_tensor_apply_kernelINS1_18TensorListMetadataILi1EEENS1_14UnaryOpFunctorIdLi1ELi1ELi0EEEJNS0_7SigmoidIdEEEEEvT_T0_DpT1_ ; -- Begin function _ZN2at6native12_GLOBAL__N_125multi_tensor_apply_kernelINS1_18TensorListMetadataILi1EEENS1_14UnaryOpFunctorIdLi1ELi1ELi0EEEJNS0_7SigmoidIdEEEEEvT_T0_DpT1_
	.p2align	8
	.type	_ZN2at6native12_GLOBAL__N_125multi_tensor_apply_kernelINS1_18TensorListMetadataILi1EEENS1_14UnaryOpFunctorIdLi1ELi1ELi0EEEJNS0_7SigmoidIdEEEEEvT_T0_DpT1_,@function
_ZN2at6native12_GLOBAL__N_125multi_tensor_apply_kernelINS1_18TensorListMetadataILi1EEENS1_14UnaryOpFunctorIdLi1ELi1ELi0EEEJNS0_7SigmoidIdEEEEEvT_T0_DpT1_: ; @_ZN2at6native12_GLOBAL__N_125multi_tensor_apply_kernelINS1_18TensorListMetadataILi1EEENS1_14UnaryOpFunctorIdLi1ELi1ELi0EEEJNS0_7SigmoidIdEEEEEvT_T0_DpT1_
; %bb.0:
	v_mov_b32_e32 v1, s15
	s_add_u32 s2, s0, s15
	s_mul_hi_u32 s3, s15, 3
	s_mul_i32 s15, s15, 3
	s_addc_u32 s4, s1, 0
	global_load_u8 v1, v1, s[0:1] offset:1760
	s_add_u32 s2, s2, s15
	s_addc_u32 s3, s4, s3
	s_mov_b32 s15, 0
	s_load_b32 s2, s[2:3], 0x820
	s_waitcnt vmcnt(0)
	v_readfirstlane_b32 s5, v1
	s_delay_alu instid0(VALU_DEP_1)
	s_lshl_b32 s3, s5, 3
	s_clause 0x2
	s_load_b64 s[6:7], s[0:1], s3 offset:0x0
	s_load_b64 s[4:5], s[0:1], s3 offset:0x370
	s_load_b64 s[8:9], s[0:1], 0xd30
	s_waitcnt lgkmcnt(0)
	s_ashr_i32 s3, s2, 31
	s_delay_alu instid0(SALU_CYCLE_1)
	s_lshl_b64 s[12:13], s[2:3], 19
	s_lshl_b64 s[2:3], s[2:3], 16
	s_and_b32 s14, s6, 31
	s_sub_u32 s10, s4, s2
	s_subb_u32 s11, s5, s3
	s_and_b32 s2, s4, 3
	s_mov_b32 s3, s15
	s_delay_alu instid0(SALU_CYCLE_1) | instskip(NEXT) | instid1(SALU_CYCLE_1)
	s_or_b64 s[2:3], s[14:15], s[2:3]
	s_cmp_eq_u64 s[2:3], 0
	s_cbranch_scc1 .LBB252_21
; %bb.1:
	v_cmp_lt_i64_e64 s2, s[10:11], 1
	s_delay_alu instid0(VALU_DEP_1)
	s_and_b32 vcc_lo, exec_lo, s2
	s_cbranch_vccnz .LBB252_20
; %bb.2:
	s_load_b32 s2, s[0:1], 0xd44
	v_cmp_gt_u64_e64 s3, 0x10000, s[10:11]
	v_lshlrev_b32_e32 v1, 3, v0
	s_mov_b32 s16, 0x652b82fe
	s_mov_b32 s18, 0xfefa39ef
	;; [unrolled: 1-line block ×17, first 2 shown]
	s_waitcnt lgkmcnt(0)
	s_and_b32 s2, s2, 0xffff
	s_and_b32 s3, s3, exec_lo
	v_add_co_u32 v13, s5, v0, s2
	s_cselect_b32 s15, s11, 0
	s_cselect_b32 s14, s10, 0x10000
	s_lshl_b32 s3, s2, 1
	s_lshl_b32 s33, s2, 2
	v_lshlrev_b32_e32 v3, 3, v13
	s_add_u32 s44, s6, s12
	v_add_co_u32 v16, s3, s3, v0
	s_mul_i32 s4, s2, 3
	s_addc_u32 s45, s7, s13
	v_add_co_ci_u32_e64 v17, null, 0, 0, s3
	v_add_co_u32 v1, s3, s44, v1
	v_add_co_u32 v14, s4, s4, v0
	v_add_co_ci_u32_e64 v2, null, s45, 0, s3
	v_add_co_u32 v3, s3, s44, v3
	v_add_co_ci_u32_e64 v15, null, 0, 0, s4
	v_add_co_ci_u32_e64 v18, null, 0, 0, s5
	;; [unrolled: 1-line block ×3, first 2 shown]
	s_lshl_b32 s46, s2, 5
	s_mov_b32 s25, 0x3e5ade15
	s_mov_b32 s27, 0x3ec71dee
	;; [unrolled: 1-line block ×9, first 2 shown]
	s_mul_i32 s47, s2, 24
	s_lshl_b32 s48, s2, 4
	s_mov_b64 s[44:45], 0
	s_branch .LBB252_4
.LBB252_3:                              ;   in Loop: Header=BB252_4 Depth=1
	s_or_b32 exec_lo, exec_lo, s3
	s_add_u32 s44, s44, s33
	s_addc_u32 s45, s45, 0
	v_add_co_u32 v1, vcc_lo, v1, s46
	v_cmp_lt_i64_e64 s2, s[44:45], s[10:11]
	v_cmp_gt_u64_e64 s3, 0x10000, s[44:45]
	v_add_co_ci_u32_e32 v2, vcc_lo, 0, v2, vcc_lo
	v_add_co_u32 v3, vcc_lo, v3, s46
	v_add_co_ci_u32_e32 v4, vcc_lo, 0, v4, vcc_lo
	s_delay_alu instid0(VALU_DEP_4) | instskip(NEXT) | instid1(SALU_CYCLE_1)
	s_and_b32 s2, s2, s3
	s_and_b32 vcc_lo, exec_lo, s2
	s_cbranch_vccz .LBB252_20
.LBB252_4:                              ; =>This Inner Loop Header: Depth=1
	s_waitcnt vmcnt(0)
	v_add_co_u32 v5, s2, v0, s44
	s_delay_alu instid0(VALU_DEP_1) | instskip(SKIP_2) | instid1(VALU_DEP_3)
	v_add_co_ci_u32_e64 v6, null, 0, s45, s2
	v_mov_b32_e32 v9, 0
	v_mov_b32_e32 v10, 0
	v_cmp_gt_u64_e32 vcc_lo, s[14:15], v[5:6]
	s_delay_alu instid0(VALU_DEP_2)
	v_dual_mov_b32 v12, v10 :: v_dual_mov_b32 v11, v9
	s_and_saveexec_b32 s2, vcc_lo
	s_cbranch_execz .LBB252_6
; %bb.5:                                ;   in Loop: Header=BB252_4 Depth=1
	global_load_b64 v[11:12], v[1:2], off
.LBB252_6:                              ;   in Loop: Header=BB252_4 Depth=1
	s_or_b32 exec_lo, exec_lo, s2
	v_add_co_u32 v5, s2, v13, s44
	s_delay_alu instid0(VALU_DEP_1) | instskip(NEXT) | instid1(VALU_DEP_1)
	v_add_co_ci_u32_e64 v6, s2, s45, v18, s2
	v_cmp_gt_u64_e64 s4, s[14:15], v[5:6]
	s_delay_alu instid0(VALU_DEP_1)
	s_and_saveexec_b32 s2, s4
	s_cbranch_execz .LBB252_8
; %bb.7:                                ;   in Loop: Header=BB252_4 Depth=1
	global_load_b64 v[9:10], v[3:4], off
.LBB252_8:                              ;   in Loop: Header=BB252_4 Depth=1
	s_or_b32 exec_lo, exec_lo, s2
	v_add_co_u32 v7, s2, v16, s44
	s_delay_alu instid0(VALU_DEP_1) | instskip(SKIP_2) | instid1(VALU_DEP_3)
	v_add_co_ci_u32_e64 v8, s2, s45, v17, s2
	v_mov_b32_e32 v5, 0
	v_mov_b32_e32 v6, 0
	v_cmp_gt_u64_e64 s3, s[14:15], v[7:8]
	s_delay_alu instid0(VALU_DEP_2) | instskip(NEXT) | instid1(VALU_DEP_2)
	v_dual_mov_b32 v8, v6 :: v_dual_mov_b32 v7, v5
	s_and_saveexec_b32 s5, s3
	s_cbranch_execz .LBB252_10
; %bb.9:                                ;   in Loop: Header=BB252_4 Depth=1
	v_add_co_u32 v7, s2, v1, s48
	s_delay_alu instid0(VALU_DEP_1)
	v_add_co_ci_u32_e64 v8, s2, 0, v2, s2
	global_load_b64 v[7:8], v[7:8], off
.LBB252_10:                             ;   in Loop: Header=BB252_4 Depth=1
	s_or_b32 exec_lo, exec_lo, s5
	v_add_co_u32 v19, s2, v14, s44
	s_delay_alu instid0(VALU_DEP_1) | instskip(NEXT) | instid1(VALU_DEP_1)
	v_add_co_ci_u32_e64 v20, s2, s45, v15, s2
	v_cmp_gt_u64_e64 s2, s[14:15], v[19:20]
	s_delay_alu instid0(VALU_DEP_1)
	s_and_saveexec_b32 s49, s2
	s_cbranch_execnz .LBB252_15
; %bb.11:                               ;   in Loop: Header=BB252_4 Depth=1
	s_or_b32 exec_lo, exec_lo, s49
	s_and_saveexec_b32 s49, vcc_lo
	s_cbranch_execnz .LBB252_16
.LBB252_12:                             ;   in Loop: Header=BB252_4 Depth=1
	s_or_b32 exec_lo, exec_lo, s49
	s_and_saveexec_b32 s5, s4
	s_cbranch_execnz .LBB252_17
.LBB252_13:                             ;   in Loop: Header=BB252_4 Depth=1
	s_or_b32 exec_lo, exec_lo, s5
	s_and_saveexec_b32 s4, s3
	s_cbranch_execnz .LBB252_18
.LBB252_14:                             ;   in Loop: Header=BB252_4 Depth=1
	s_or_b32 exec_lo, exec_lo, s4
	s_and_saveexec_b32 s3, s2
	s_cbranch_execz .LBB252_3
	s_branch .LBB252_19
.LBB252_15:                             ;   in Loop: Header=BB252_4 Depth=1
	v_add_co_u32 v5, s5, v1, s47
	s_delay_alu instid0(VALU_DEP_1)
	v_add_co_ci_u32_e64 v6, s5, 0, v2, s5
	global_load_b64 v[5:6], v[5:6], off
	s_or_b32 exec_lo, exec_lo, s49
	s_and_saveexec_b32 s49, vcc_lo
	s_cbranch_execz .LBB252_12
.LBB252_16:                             ;   in Loop: Header=BB252_4 Depth=1
	s_waitcnt vmcnt(0)
	v_mul_f64 v[19:20], v[11:12], s[16:17]
	v_cmp_ngt_f64_e32 vcc_lo, 0xc0900000, v[11:12]
	v_cmp_nlt_f64_e64 s5, 0x4090cc00, v[11:12]
	s_delay_alu instid0(VALU_DEP_3) | instskip(NEXT) | instid1(VALU_DEP_1)
	v_rndne_f64_e32 v[19:20], v[19:20]
	v_fma_f64 v[21:22], v[19:20], s[18:19], -v[11:12]
	v_cvt_i32_f64_e32 v25, v[19:20]
	s_delay_alu instid0(VALU_DEP_2) | instskip(NEXT) | instid1(VALU_DEP_1)
	v_fma_f64 v[21:22], v[19:20], s[20:21], v[21:22]
	v_fma_f64 v[23:24], v[21:22], s[24:25], s[22:23]
	s_delay_alu instid0(VALU_DEP_1) | instskip(NEXT) | instid1(VALU_DEP_1)
	v_fma_f64 v[23:24], v[21:22], v[23:24], s[26:27]
	v_fma_f64 v[23:24], v[21:22], v[23:24], s[28:29]
	s_delay_alu instid0(VALU_DEP_1) | instskip(NEXT) | instid1(VALU_DEP_1)
	;; [unrolled: 3-line block ×5, first 2 shown]
	v_fma_f64 v[23:24], v[21:22], v[23:24], 1.0
	v_fma_f64 v[19:20], v[21:22], v[23:24], 1.0
	s_delay_alu instid0(VALU_DEP_1) | instskip(NEXT) | instid1(VALU_DEP_1)
	v_ldexp_f64 v[19:20], v[19:20], v25
	v_cndmask_b32_e32 v20, 0x7ff00000, v20, vcc_lo
	s_and_b32 vcc_lo, s5, vcc_lo
	s_delay_alu instid0(VALU_DEP_2) | instskip(NEXT) | instid1(VALU_DEP_2)
	v_cndmask_b32_e32 v11, 0, v19, vcc_lo
	v_cndmask_b32_e64 v12, 0, v20, s5
	s_delay_alu instid0(VALU_DEP_1) | instskip(NEXT) | instid1(VALU_DEP_1)
	v_add_f64 v[11:12], v[11:12], s[8:9]
	v_div_scale_f64 v[19:20], null, v[11:12], v[11:12], s[8:9]
	s_delay_alu instid0(VALU_DEP_1) | instskip(SKIP_2) | instid1(VALU_DEP_1)
	v_rcp_f64_e32 v[21:22], v[19:20]
	s_waitcnt_depctr 0xfff
	v_fma_f64 v[23:24], -v[19:20], v[21:22], 1.0
	v_fma_f64 v[21:22], v[21:22], v[23:24], v[21:22]
	s_delay_alu instid0(VALU_DEP_1) | instskip(NEXT) | instid1(VALU_DEP_1)
	v_fma_f64 v[23:24], -v[19:20], v[21:22], 1.0
	v_fma_f64 v[21:22], v[21:22], v[23:24], v[21:22]
	v_div_scale_f64 v[23:24], vcc_lo, s[8:9], v[11:12], s[8:9]
	s_delay_alu instid0(VALU_DEP_1) | instskip(NEXT) | instid1(VALU_DEP_1)
	v_mul_f64 v[25:26], v[23:24], v[21:22]
	v_fma_f64 v[19:20], -v[19:20], v[25:26], v[23:24]
	s_delay_alu instid0(VALU_DEP_1) | instskip(NEXT) | instid1(VALU_DEP_1)
	v_div_fmas_f64 v[19:20], v[19:20], v[21:22], v[25:26]
	v_div_fixup_f64 v[11:12], v[19:20], v[11:12], s[8:9]
	global_store_b64 v[1:2], v[11:12], off
	s_or_b32 exec_lo, exec_lo, s49
	s_and_saveexec_b32 s5, s4
	s_cbranch_execz .LBB252_13
.LBB252_17:                             ;   in Loop: Header=BB252_4 Depth=1
	s_waitcnt vmcnt(0)
	v_mul_f64 v[11:12], v[9:10], s[16:17]
	v_cmp_ngt_f64_e32 vcc_lo, 0xc0900000, v[9:10]
	v_cmp_nlt_f64_e64 s4, 0x4090cc00, v[9:10]
	s_delay_alu instid0(VALU_DEP_3) | instskip(NEXT) | instid1(VALU_DEP_1)
	v_rndne_f64_e32 v[11:12], v[11:12]
	v_fma_f64 v[19:20], v[11:12], s[18:19], -v[9:10]
	v_cvt_i32_f64_e32 v23, v[11:12]
	s_delay_alu instid0(VALU_DEP_2) | instskip(NEXT) | instid1(VALU_DEP_1)
	v_fma_f64 v[19:20], v[11:12], s[20:21], v[19:20]
	v_fma_f64 v[21:22], v[19:20], s[24:25], s[22:23]
	s_delay_alu instid0(VALU_DEP_1) | instskip(NEXT) | instid1(VALU_DEP_1)
	v_fma_f64 v[21:22], v[19:20], v[21:22], s[26:27]
	v_fma_f64 v[21:22], v[19:20], v[21:22], s[28:29]
	s_delay_alu instid0(VALU_DEP_1) | instskip(NEXT) | instid1(VALU_DEP_1)
	;; [unrolled: 3-line block ×5, first 2 shown]
	v_fma_f64 v[21:22], v[19:20], v[21:22], 1.0
	v_fma_f64 v[11:12], v[19:20], v[21:22], 1.0
	s_delay_alu instid0(VALU_DEP_1) | instskip(NEXT) | instid1(VALU_DEP_1)
	v_ldexp_f64 v[11:12], v[11:12], v23
	v_cndmask_b32_e32 v12, 0x7ff00000, v12, vcc_lo
	s_and_b32 vcc_lo, s4, vcc_lo
	s_delay_alu instid0(VALU_DEP_2) | instskip(NEXT) | instid1(VALU_DEP_2)
	v_cndmask_b32_e32 v9, 0, v11, vcc_lo
	v_cndmask_b32_e64 v10, 0, v12, s4
	s_delay_alu instid0(VALU_DEP_1) | instskip(NEXT) | instid1(VALU_DEP_1)
	v_add_f64 v[9:10], v[9:10], s[8:9]
	v_div_scale_f64 v[11:12], null, v[9:10], v[9:10], s[8:9]
	s_delay_alu instid0(VALU_DEP_1) | instskip(SKIP_2) | instid1(VALU_DEP_1)
	v_rcp_f64_e32 v[19:20], v[11:12]
	s_waitcnt_depctr 0xfff
	v_fma_f64 v[21:22], -v[11:12], v[19:20], 1.0
	v_fma_f64 v[19:20], v[19:20], v[21:22], v[19:20]
	s_delay_alu instid0(VALU_DEP_1) | instskip(NEXT) | instid1(VALU_DEP_1)
	v_fma_f64 v[21:22], -v[11:12], v[19:20], 1.0
	v_fma_f64 v[19:20], v[19:20], v[21:22], v[19:20]
	v_div_scale_f64 v[21:22], vcc_lo, s[8:9], v[9:10], s[8:9]
	s_delay_alu instid0(VALU_DEP_1) | instskip(NEXT) | instid1(VALU_DEP_1)
	v_mul_f64 v[23:24], v[21:22], v[19:20]
	v_fma_f64 v[11:12], -v[11:12], v[23:24], v[21:22]
	s_delay_alu instid0(VALU_DEP_1) | instskip(NEXT) | instid1(VALU_DEP_1)
	v_div_fmas_f64 v[11:12], v[11:12], v[19:20], v[23:24]
	v_div_fixup_f64 v[9:10], v[11:12], v[9:10], s[8:9]
	global_store_b64 v[3:4], v[9:10], off
	s_or_b32 exec_lo, exec_lo, s5
	s_and_saveexec_b32 s4, s3
	s_cbranch_execz .LBB252_14
.LBB252_18:                             ;   in Loop: Header=BB252_4 Depth=1
	s_waitcnt vmcnt(0)
	v_mul_f64 v[9:10], v[7:8], s[16:17]
	v_cmp_ngt_f64_e32 vcc_lo, 0xc0900000, v[7:8]
	v_cmp_nlt_f64_e64 s3, 0x4090cc00, v[7:8]
	s_delay_alu instid0(VALU_DEP_3) | instskip(NEXT) | instid1(VALU_DEP_1)
	v_rndne_f64_e32 v[9:10], v[9:10]
	v_fma_f64 v[11:12], v[9:10], s[18:19], -v[7:8]
	v_cvt_i32_f64_e32 v21, v[9:10]
	s_delay_alu instid0(VALU_DEP_2) | instskip(NEXT) | instid1(VALU_DEP_1)
	v_fma_f64 v[11:12], v[9:10], s[20:21], v[11:12]
	v_fma_f64 v[19:20], v[11:12], s[24:25], s[22:23]
	s_delay_alu instid0(VALU_DEP_1) | instskip(NEXT) | instid1(VALU_DEP_1)
	v_fma_f64 v[19:20], v[11:12], v[19:20], s[26:27]
	v_fma_f64 v[19:20], v[11:12], v[19:20], s[28:29]
	s_delay_alu instid0(VALU_DEP_1) | instskip(NEXT) | instid1(VALU_DEP_1)
	;; [unrolled: 3-line block ×5, first 2 shown]
	v_fma_f64 v[19:20], v[11:12], v[19:20], 1.0
	v_fma_f64 v[9:10], v[11:12], v[19:20], 1.0
	s_delay_alu instid0(VALU_DEP_1) | instskip(NEXT) | instid1(VALU_DEP_1)
	v_ldexp_f64 v[9:10], v[9:10], v21
	v_cndmask_b32_e32 v10, 0x7ff00000, v10, vcc_lo
	s_and_b32 vcc_lo, s3, vcc_lo
	s_delay_alu instid0(VALU_DEP_2) | instskip(NEXT) | instid1(VALU_DEP_2)
	v_cndmask_b32_e32 v7, 0, v9, vcc_lo
	v_cndmask_b32_e64 v8, 0, v10, s3
	s_delay_alu instid0(VALU_DEP_1) | instskip(NEXT) | instid1(VALU_DEP_1)
	v_add_f64 v[7:8], v[7:8], s[8:9]
	v_div_scale_f64 v[9:10], null, v[7:8], v[7:8], s[8:9]
	s_delay_alu instid0(VALU_DEP_1) | instskip(SKIP_2) | instid1(VALU_DEP_1)
	v_rcp_f64_e32 v[11:12], v[9:10]
	s_waitcnt_depctr 0xfff
	v_fma_f64 v[19:20], -v[9:10], v[11:12], 1.0
	v_fma_f64 v[11:12], v[11:12], v[19:20], v[11:12]
	s_delay_alu instid0(VALU_DEP_1) | instskip(NEXT) | instid1(VALU_DEP_1)
	v_fma_f64 v[19:20], -v[9:10], v[11:12], 1.0
	v_fma_f64 v[11:12], v[11:12], v[19:20], v[11:12]
	v_div_scale_f64 v[19:20], vcc_lo, s[8:9], v[7:8], s[8:9]
	s_delay_alu instid0(VALU_DEP_1) | instskip(NEXT) | instid1(VALU_DEP_1)
	v_mul_f64 v[21:22], v[19:20], v[11:12]
	v_fma_f64 v[9:10], -v[9:10], v[21:22], v[19:20]
	s_delay_alu instid0(VALU_DEP_1) | instskip(NEXT) | instid1(VALU_DEP_1)
	v_div_fmas_f64 v[9:10], v[9:10], v[11:12], v[21:22]
	v_div_fixup_f64 v[7:8], v[9:10], v[7:8], s[8:9]
	v_add_co_u32 v9, vcc_lo, v1, s48
	v_add_co_ci_u32_e32 v10, vcc_lo, 0, v2, vcc_lo
	global_store_b64 v[9:10], v[7:8], off
	s_or_b32 exec_lo, exec_lo, s4
	s_and_saveexec_b32 s3, s2
	s_cbranch_execz .LBB252_3
.LBB252_19:                             ;   in Loop: Header=BB252_4 Depth=1
	s_waitcnt vmcnt(0)
	v_mul_f64 v[7:8], v[5:6], s[16:17]
	v_cmp_ngt_f64_e32 vcc_lo, 0xc0900000, v[5:6]
	v_cmp_nlt_f64_e64 s2, 0x4090cc00, v[5:6]
	s_delay_alu instid0(VALU_DEP_3) | instskip(NEXT) | instid1(VALU_DEP_1)
	v_rndne_f64_e32 v[7:8], v[7:8]
	v_fma_f64 v[9:10], v[7:8], s[18:19], -v[5:6]
	v_cvt_i32_f64_e32 v19, v[7:8]
	s_delay_alu instid0(VALU_DEP_2) | instskip(NEXT) | instid1(VALU_DEP_1)
	v_fma_f64 v[9:10], v[7:8], s[20:21], v[9:10]
	v_fma_f64 v[11:12], v[9:10], s[24:25], s[22:23]
	s_delay_alu instid0(VALU_DEP_1) | instskip(NEXT) | instid1(VALU_DEP_1)
	v_fma_f64 v[11:12], v[9:10], v[11:12], s[26:27]
	v_fma_f64 v[11:12], v[9:10], v[11:12], s[28:29]
	s_delay_alu instid0(VALU_DEP_1) | instskip(NEXT) | instid1(VALU_DEP_1)
	;; [unrolled: 3-line block ×5, first 2 shown]
	v_fma_f64 v[11:12], v[9:10], v[11:12], 1.0
	v_fma_f64 v[7:8], v[9:10], v[11:12], 1.0
	s_delay_alu instid0(VALU_DEP_1) | instskip(NEXT) | instid1(VALU_DEP_1)
	v_ldexp_f64 v[7:8], v[7:8], v19
	v_cndmask_b32_e32 v8, 0x7ff00000, v8, vcc_lo
	s_and_b32 vcc_lo, s2, vcc_lo
	s_delay_alu instid0(VALU_DEP_2) | instskip(NEXT) | instid1(VALU_DEP_2)
	v_cndmask_b32_e32 v5, 0, v7, vcc_lo
	v_cndmask_b32_e64 v6, 0, v8, s2
	s_delay_alu instid0(VALU_DEP_1) | instskip(NEXT) | instid1(VALU_DEP_1)
	v_add_f64 v[5:6], v[5:6], s[8:9]
	v_div_scale_f64 v[7:8], null, v[5:6], v[5:6], s[8:9]
	s_delay_alu instid0(VALU_DEP_1) | instskip(SKIP_2) | instid1(VALU_DEP_1)
	v_rcp_f64_e32 v[9:10], v[7:8]
	s_waitcnt_depctr 0xfff
	v_fma_f64 v[11:12], -v[7:8], v[9:10], 1.0
	v_fma_f64 v[9:10], v[9:10], v[11:12], v[9:10]
	s_delay_alu instid0(VALU_DEP_1) | instskip(NEXT) | instid1(VALU_DEP_1)
	v_fma_f64 v[11:12], -v[7:8], v[9:10], 1.0
	v_fma_f64 v[9:10], v[9:10], v[11:12], v[9:10]
	v_div_scale_f64 v[11:12], vcc_lo, s[8:9], v[5:6], s[8:9]
	s_delay_alu instid0(VALU_DEP_1) | instskip(NEXT) | instid1(VALU_DEP_1)
	v_mul_f64 v[19:20], v[11:12], v[9:10]
	v_fma_f64 v[7:8], -v[7:8], v[19:20], v[11:12]
	s_delay_alu instid0(VALU_DEP_1) | instskip(NEXT) | instid1(VALU_DEP_1)
	v_div_fmas_f64 v[7:8], v[7:8], v[9:10], v[19:20]
	v_div_fixup_f64 v[5:6], v[7:8], v[5:6], s[8:9]
	v_add_co_u32 v7, vcc_lo, v1, s47
	v_add_co_ci_u32_e32 v8, vcc_lo, 0, v2, vcc_lo
	global_store_b64 v[7:8], v[5:6], off
	s_branch .LBB252_3
.LBB252_20:
	s_cbranch_execz .LBB252_22
	s_branch .LBB252_25
.LBB252_21:
.LBB252_22:
	v_dual_mov_b32 v2, 0 :: v_dual_lshlrev_b32 v1, 2, v0
	s_mov_b32 s33, 0
	s_mov_b32 s2, exec_lo
	s_delay_alu instid0(VALU_DEP_1)
	v_cmpx_gt_i64_e64 s[10:11], v[1:2]
	s_cbranch_execz .LBB252_25
; %bb.23:
	s_load_b32 s0, s[0:1], 0xd44
	v_lshlrev_b32_e32 v3, 5, v0
	s_mov_b32 s14, 0x652b82fe
	s_mov_b32 s16, 0xfefa39ef
	;; [unrolled: 1-line block ×18, first 2 shown]
	s_waitcnt lgkmcnt(0)
	s_and_b32 s0, s0, 0xffff
	s_mov_b32 s27, 0x3efa0199
	s_lshl_b32 s40, s0, 2
	s_add_u32 s1, s6, s12
	v_add_lshl_u32 v1, v0, s0, 2
	s_addc_u32 s2, s7, s13
	v_add_co_u32 v0, s1, s1, v3
	s_delay_alu instid0(VALU_DEP_1) | instskip(SKIP_1) | instid1(VALU_DEP_2)
	v_add_co_ci_u32_e64 v4, null, s2, 0, s1
	s_mov_b32 s12, 0x1852b7b0
	v_add_co_u32 v3, vcc_lo, v0, 16
	s_delay_alu instid0(VALU_DEP_2)
	v_add_co_ci_u32_e32 v4, vcc_lo, 0, v4, vcc_lo
	s_mov_b32 s29, 0x3f2a01a0
	s_mov_b32 s13, 0x3f56c16c
	;; [unrolled: 1-line block ×6, first 2 shown]
	s_lshl_b32 s7, s0, 5
.LBB252_24:                             ; =>This Inner Loop Header: Depth=1
	s_clause 0x1
	global_load_b128 v[5:8], v[3:4], off offset:-16
	global_load_b128 v[9:12], v[3:4], off
	s_waitcnt vmcnt(1)
	v_mul_f64 v[13:14], v[5:6], s[14:15]
	v_mul_f64 v[15:16], v[7:8], s[14:15]
	s_waitcnt vmcnt(0)
	v_mul_f64 v[17:18], v[9:10], s[14:15]
	v_mul_f64 v[19:20], v[11:12], s[14:15]
	v_cmp_ngt_f64_e32 vcc_lo, 0xc0900000, v[5:6]
	v_cmp_ngt_f64_e64 s1, 0xc0900000, v[7:8]
	v_cmp_ngt_f64_e64 s3, 0xc0900000, v[9:10]
	v_cmp_nlt_f64_e64 s0, 0x4090cc00, v[5:6]
	v_cmp_ngt_f64_e64 s5, 0xc0900000, v[11:12]
	v_cmp_nlt_f64_e64 s2, 0x4090cc00, v[7:8]
	v_cmp_nlt_f64_e64 s4, 0x4090cc00, v[9:10]
	;; [unrolled: 1-line block ×3, first 2 shown]
	v_rndne_f64_e32 v[13:14], v[13:14]
	v_rndne_f64_e32 v[15:16], v[15:16]
	;; [unrolled: 1-line block ×4, first 2 shown]
	s_delay_alu instid0(VALU_DEP_4) | instskip(NEXT) | instid1(VALU_DEP_4)
	v_fma_f64 v[21:22], v[13:14], s[16:17], -v[5:6]
	v_fma_f64 v[23:24], v[15:16], s[16:17], -v[7:8]
	s_delay_alu instid0(VALU_DEP_4) | instskip(NEXT) | instid1(VALU_DEP_4)
	v_fma_f64 v[25:26], v[17:18], s[16:17], -v[9:10]
	v_fma_f64 v[27:28], v[19:20], s[16:17], -v[11:12]
	v_cvt_i32_f64_e32 v0, v[13:14]
	v_fma_f64 v[21:22], v[13:14], s[18:19], v[21:22]
	v_fma_f64 v[23:24], v[15:16], s[18:19], v[23:24]
	;; [unrolled: 1-line block ×4, first 2 shown]
	s_delay_alu instid0(VALU_DEP_4) | instskip(NEXT) | instid1(VALU_DEP_4)
	v_fma_f64 v[29:30], v[21:22], s[22:23], s[20:21]
	v_fma_f64 v[31:32], v[23:24], s[22:23], s[20:21]
	s_delay_alu instid0(VALU_DEP_4) | instskip(NEXT) | instid1(VALU_DEP_4)
	v_fma_f64 v[33:34], v[25:26], s[22:23], s[20:21]
	v_fma_f64 v[35:36], v[27:28], s[22:23], s[20:21]
	;; [unrolled: 3-line block ×18, first 2 shown]
	s_delay_alu instid0(VALU_DEP_4) | instskip(NEXT) | instid1(VALU_DEP_4)
	v_fma_f64 v[29:30], v[21:22], v[29:30], 1.0
	v_fma_f64 v[31:32], v[23:24], v[31:32], 1.0
	s_delay_alu instid0(VALU_DEP_4) | instskip(NEXT) | instid1(VALU_DEP_4)
	v_fma_f64 v[33:34], v[25:26], v[33:34], 1.0
	v_fma_f64 v[35:36], v[27:28], v[35:36], 1.0
	s_delay_alu instid0(VALU_DEP_4)
	v_fma_f64 v[13:14], v[21:22], v[29:30], 1.0
	v_cvt_i32_f64_e32 v21, v[15:16]
	v_fma_f64 v[15:16], v[23:24], v[31:32], 1.0
	v_cvt_i32_f64_e32 v22, v[17:18]
	;; [unrolled: 2-line block ×3, first 2 shown]
	v_fma_f64 v[19:20], v[27:28], v[35:36], 1.0
	v_ldexp_f64 v[13:14], v[13:14], v0
	v_ldexp_f64 v[15:16], v[15:16], v21
	;; [unrolled: 1-line block ×3, first 2 shown]
	s_delay_alu instid0(VALU_DEP_4) | instskip(NEXT) | instid1(VALU_DEP_4)
	v_ldexp_f64 v[19:20], v[19:20], v23
	v_cndmask_b32_e32 v0, 0x7ff00000, v14, vcc_lo
	s_and_b32 vcc_lo, s0, vcc_lo
	s_delay_alu instid0(VALU_DEP_4) | instskip(NEXT) | instid1(VALU_DEP_4)
	v_cndmask_b32_e64 v5, 0x7ff00000, v16, s1
	v_cndmask_b32_e64 v7, 0x7ff00000, v18, s3
	s_delay_alu instid0(VALU_DEP_3) | instskip(SKIP_1) | instid1(VALU_DEP_4)
	v_cndmask_b32_e64 v6, 0, v0, s0
	v_cndmask_b32_e64 v9, 0x7ff00000, v20, s5
	;; [unrolled: 1-line block ×3, first 2 shown]
	v_cndmask_b32_e32 v5, 0, v13, vcc_lo
	s_and_b32 vcc_lo, s2, s1
	v_cndmask_b32_e64 v10, 0, v7, s4
	v_cndmask_b32_e32 v7, 0, v15, vcc_lo
	s_and_b32 vcc_lo, s4, s3
	v_cndmask_b32_e64 v12, 0, v9, s6
	v_cndmask_b32_e32 v9, 0, v17, vcc_lo
	s_and_b32 vcc_lo, s6, s5
	v_add_f64 v[5:6], v[5:6], s[8:9]
	v_cndmask_b32_e32 v11, 0, v19, vcc_lo
	v_add_f64 v[7:8], v[7:8], s[8:9]
	v_add_f64 v[9:10], v[9:10], s[8:9]
	s_delay_alu instid0(VALU_DEP_3) | instskip(SKIP_1) | instid1(VALU_DEP_4)
	v_add_f64 v[11:12], v[11:12], s[8:9]
	v_div_scale_f64 v[13:14], null, v[5:6], v[5:6], s[8:9]
	v_div_scale_f64 v[15:16], null, v[7:8], v[7:8], s[8:9]
	s_delay_alu instid0(VALU_DEP_4) | instskip(NEXT) | instid1(VALU_DEP_4)
	v_div_scale_f64 v[17:18], null, v[9:10], v[9:10], s[8:9]
	v_div_scale_f64 v[19:20], null, v[11:12], v[11:12], s[8:9]
	v_div_scale_f64 v[37:38], vcc_lo, s[8:9], v[5:6], s[8:9]
	v_rcp_f64_e32 v[21:22], v[13:14]
	s_delay_alu instid0(VALU_DEP_4) | instskip(NEXT) | instid1(VALU_DEP_3)
	v_rcp_f64_e32 v[23:24], v[15:16]
	v_rcp_f64_e32 v[25:26], v[17:18]
	s_delay_alu instid0(VALU_DEP_2) | instskip(SKIP_1) | instid1(TRANS32_DEP_3)
	v_rcp_f64_e32 v[27:28], v[19:20]
	v_fma_f64 v[29:30], -v[13:14], v[21:22], 1.0
	v_fma_f64 v[31:32], -v[15:16], v[23:24], 1.0
	s_waitcnt_depctr 0xfff
	v_fma_f64 v[33:34], -v[17:18], v[25:26], 1.0
	v_fma_f64 v[35:36], -v[19:20], v[27:28], 1.0
	v_fma_f64 v[21:22], v[21:22], v[29:30], v[21:22]
	v_fma_f64 v[23:24], v[23:24], v[31:32], v[23:24]
	s_delay_alu instid0(VALU_DEP_4) | instskip(NEXT) | instid1(VALU_DEP_4)
	v_fma_f64 v[25:26], v[25:26], v[33:34], v[25:26]
	v_fma_f64 v[27:28], v[27:28], v[35:36], v[27:28]
	s_delay_alu instid0(VALU_DEP_4) | instskip(NEXT) | instid1(VALU_DEP_4)
	v_fma_f64 v[29:30], -v[13:14], v[21:22], 1.0
	v_fma_f64 v[31:32], -v[15:16], v[23:24], 1.0
	s_delay_alu instid0(VALU_DEP_4) | instskip(NEXT) | instid1(VALU_DEP_4)
	v_fma_f64 v[33:34], -v[17:18], v[25:26], 1.0
	v_fma_f64 v[35:36], -v[19:20], v[27:28], 1.0
	s_delay_alu instid0(VALU_DEP_4)
	v_fma_f64 v[21:22], v[21:22], v[29:30], v[21:22]
	v_div_scale_f64 v[29:30], s0, s[8:9], v[7:8], s[8:9]
	v_fma_f64 v[23:24], v[23:24], v[31:32], v[23:24]
	v_div_scale_f64 v[31:32], s1, s[8:9], v[9:10], s[8:9]
	;; [unrolled: 2-line block ×3, first 2 shown]
	v_fma_f64 v[27:28], v[27:28], v[35:36], v[27:28]
	v_mul_f64 v[35:36], v[37:38], v[21:22]
	v_mul_f64 v[39:40], v[29:30], v[23:24]
	;; [unrolled: 1-line block ×3, first 2 shown]
	s_delay_alu instid0(VALU_DEP_4) | instskip(NEXT) | instid1(VALU_DEP_4)
	v_mul_f64 v[43:44], v[33:34], v[27:28]
	v_fma_f64 v[13:14], -v[13:14], v[35:36], v[37:38]
	s_delay_alu instid0(VALU_DEP_4) | instskip(NEXT) | instid1(VALU_DEP_4)
	v_fma_f64 v[15:16], -v[15:16], v[39:40], v[29:30]
	v_fma_f64 v[17:18], -v[17:18], v[41:42], v[31:32]
	s_delay_alu instid0(VALU_DEP_4) | instskip(NEXT) | instid1(VALU_DEP_4)
	v_fma_f64 v[19:20], -v[19:20], v[43:44], v[33:34]
	v_div_fmas_f64 v[13:14], v[13:14], v[21:22], v[35:36]
	s_mov_b32 vcc_lo, s0
	v_cmp_lt_u64_e64 s0, 0xffff, v[1:2]
	v_div_fmas_f64 v[15:16], v[15:16], v[23:24], v[39:40]
	s_mov_b32 vcc_lo, s1
	v_div_fmas_f64 v[17:18], v[17:18], v[25:26], v[41:42]
	s_mov_b32 vcc_lo, s2
	v_div_fmas_f64 v[19:20], v[19:20], v[27:28], v[43:44]
	v_cmp_le_i64_e32 vcc_lo, s[10:11], v[1:2]
	v_add_co_u32 v1, s1, v1, s40
	s_delay_alu instid0(VALU_DEP_1) | instskip(SKIP_1) | instid1(SALU_CYCLE_1)
	v_add_co_ci_u32_e64 v2, s1, 0, v2, s1
	s_or_b32 s0, vcc_lo, s0
	s_and_b32 s0, exec_lo, s0
	s_delay_alu instid0(SALU_CYCLE_1)
	s_or_b32 s33, s0, s33
	v_div_fixup_f64 v[5:6], v[13:14], v[5:6], s[8:9]
	v_div_fixup_f64 v[7:8], v[15:16], v[7:8], s[8:9]
	;; [unrolled: 1-line block ×4, first 2 shown]
	s_clause 0x1
	global_store_b128 v[3:4], v[5:8], off offset:-16
	global_store_b128 v[3:4], v[9:12], off
	v_add_co_u32 v3, vcc_lo, v3, s7
	v_add_co_ci_u32_e32 v4, vcc_lo, 0, v4, vcc_lo
	s_and_not1_b32 exec_lo, exec_lo, s33
	s_cbranch_execnz .LBB252_24
.LBB252_25:
	s_nop 0
	s_sendmsg sendmsg(MSG_DEALLOC_VGPRS)
	s_endpgm
	.section	.rodata,"a",@progbits
	.p2align	6, 0x0
	.amdhsa_kernel _ZN2at6native12_GLOBAL__N_125multi_tensor_apply_kernelINS1_18TensorListMetadataILi1EEENS1_14UnaryOpFunctorIdLi1ELi1ELi0EEEJNS0_7SigmoidIdEEEEEvT_T0_DpT1_
		.amdhsa_group_segment_fixed_size 0
		.amdhsa_private_segment_fixed_size 0
		.amdhsa_kernarg_size 3640
		.amdhsa_user_sgpr_count 15
		.amdhsa_user_sgpr_dispatch_ptr 0
		.amdhsa_user_sgpr_queue_ptr 0
		.amdhsa_user_sgpr_kernarg_segment_ptr 1
		.amdhsa_user_sgpr_dispatch_id 0
		.amdhsa_user_sgpr_private_segment_size 0
		.amdhsa_wavefront_size32 1
		.amdhsa_uses_dynamic_stack 0
		.amdhsa_enable_private_segment 0
		.amdhsa_system_sgpr_workgroup_id_x 1
		.amdhsa_system_sgpr_workgroup_id_y 0
		.amdhsa_system_sgpr_workgroup_id_z 0
		.amdhsa_system_sgpr_workgroup_info 0
		.amdhsa_system_vgpr_workitem_id 0
		.amdhsa_next_free_vgpr 45
		.amdhsa_next_free_sgpr 50
		.amdhsa_reserve_vcc 1
		.amdhsa_float_round_mode_32 0
		.amdhsa_float_round_mode_16_64 0
		.amdhsa_float_denorm_mode_32 3
		.amdhsa_float_denorm_mode_16_64 3
		.amdhsa_dx10_clamp 1
		.amdhsa_ieee_mode 1
		.amdhsa_fp16_overflow 0
		.amdhsa_workgroup_processor_mode 1
		.amdhsa_memory_ordered 1
		.amdhsa_forward_progress 0
		.amdhsa_shared_vgpr_count 0
		.amdhsa_exception_fp_ieee_invalid_op 0
		.amdhsa_exception_fp_denorm_src 0
		.amdhsa_exception_fp_ieee_div_zero 0
		.amdhsa_exception_fp_ieee_overflow 0
		.amdhsa_exception_fp_ieee_underflow 0
		.amdhsa_exception_fp_ieee_inexact 0
		.amdhsa_exception_int_div_zero 0
	.end_amdhsa_kernel
	.section	.text._ZN2at6native12_GLOBAL__N_125multi_tensor_apply_kernelINS1_18TensorListMetadataILi1EEENS1_14UnaryOpFunctorIdLi1ELi1ELi0EEEJNS0_7SigmoidIdEEEEEvT_T0_DpT1_,"axG",@progbits,_ZN2at6native12_GLOBAL__N_125multi_tensor_apply_kernelINS1_18TensorListMetadataILi1EEENS1_14UnaryOpFunctorIdLi1ELi1ELi0EEEJNS0_7SigmoidIdEEEEEvT_T0_DpT1_,comdat
.Lfunc_end252:
	.size	_ZN2at6native12_GLOBAL__N_125multi_tensor_apply_kernelINS1_18TensorListMetadataILi1EEENS1_14UnaryOpFunctorIdLi1ELi1ELi0EEEJNS0_7SigmoidIdEEEEEvT_T0_DpT1_, .Lfunc_end252-_ZN2at6native12_GLOBAL__N_125multi_tensor_apply_kernelINS1_18TensorListMetadataILi1EEENS1_14UnaryOpFunctorIdLi1ELi1ELi0EEEJNS0_7SigmoidIdEEEEEvT_T0_DpT1_
                                        ; -- End function
	.section	.AMDGPU.csdata,"",@progbits
; Kernel info:
; codeLenInByte = 4072
; NumSgprs: 52
; NumVgprs: 45
; ScratchSize: 0
; MemoryBound: 0
; FloatMode: 240
; IeeeMode: 1
; LDSByteSize: 0 bytes/workgroup (compile time only)
; SGPRBlocks: 6
; VGPRBlocks: 5
; NumSGPRsForWavesPerEU: 52
; NumVGPRsForWavesPerEU: 45
; Occupancy: 16
; WaveLimiterHint : 0
; COMPUTE_PGM_RSRC2:SCRATCH_EN: 0
; COMPUTE_PGM_RSRC2:USER_SGPR: 15
; COMPUTE_PGM_RSRC2:TRAP_HANDLER: 0
; COMPUTE_PGM_RSRC2:TGID_X_EN: 1
; COMPUTE_PGM_RSRC2:TGID_Y_EN: 0
; COMPUTE_PGM_RSRC2:TGID_Z_EN: 0
; COMPUTE_PGM_RSRC2:TIDIG_COMP_CNT: 0
	.section	.text._ZN2at6native12_GLOBAL__N_125multi_tensor_apply_kernelINS1_18TensorListMetadataILi1EEENS1_14UnaryOpFunctorIfLi1ELi1ELi0EEEJNS0_7SigmoidIfEEEEEvT_T0_DpT1_,"axG",@progbits,_ZN2at6native12_GLOBAL__N_125multi_tensor_apply_kernelINS1_18TensorListMetadataILi1EEENS1_14UnaryOpFunctorIfLi1ELi1ELi0EEEJNS0_7SigmoidIfEEEEEvT_T0_DpT1_,comdat
	.globl	_ZN2at6native12_GLOBAL__N_125multi_tensor_apply_kernelINS1_18TensorListMetadataILi1EEENS1_14UnaryOpFunctorIfLi1ELi1ELi0EEEJNS0_7SigmoidIfEEEEEvT_T0_DpT1_ ; -- Begin function _ZN2at6native12_GLOBAL__N_125multi_tensor_apply_kernelINS1_18TensorListMetadataILi1EEENS1_14UnaryOpFunctorIfLi1ELi1ELi0EEEJNS0_7SigmoidIfEEEEEvT_T0_DpT1_
	.p2align	8
	.type	_ZN2at6native12_GLOBAL__N_125multi_tensor_apply_kernelINS1_18TensorListMetadataILi1EEENS1_14UnaryOpFunctorIfLi1ELi1ELi0EEEJNS0_7SigmoidIfEEEEEvT_T0_DpT1_,@function
_ZN2at6native12_GLOBAL__N_125multi_tensor_apply_kernelINS1_18TensorListMetadataILi1EEENS1_14UnaryOpFunctorIfLi1ELi1ELi0EEEJNS0_7SigmoidIfEEEEEvT_T0_DpT1_: ; @_ZN2at6native12_GLOBAL__N_125multi_tensor_apply_kernelINS1_18TensorListMetadataILi1EEENS1_14UnaryOpFunctorIfLi1ELi1ELi0EEEJNS0_7SigmoidIfEEEEEvT_T0_DpT1_
; %bb.0:
	v_mov_b32_e32 v1, s15
	s_add_u32 s2, s0, s15
	s_mul_hi_u32 s3, s15, 3
	s_mul_i32 s15, s15, 3
	s_addc_u32 s4, s1, 0
	global_load_u8 v1, v1, s[0:1] offset:1760
	s_add_u32 s2, s2, s15
	s_addc_u32 s3, s4, s3
	s_mov_b32 s13, 0
	s_load_b32 s2, s[2:3], 0x820
	s_waitcnt vmcnt(0)
	v_readfirstlane_b32 s5, v1
	s_delay_alu instid0(VALU_DEP_1)
	s_lshl_b32 s3, s5, 3
	s_clause 0x2
	s_load_b64 s[8:9], s[0:1], s3 offset:0x0
	s_load_b64 s[4:5], s[0:1], s3 offset:0x370
	s_load_b32 s16, s[0:1], 0xd2c
	s_waitcnt lgkmcnt(0)
	s_ashr_i32 s3, s2, 31
	s_delay_alu instid0(SALU_CYCLE_1)
	s_lshl_b64 s[10:11], s[2:3], 18
	s_lshl_b64 s[2:3], s[2:3], 16
	s_and_b32 s12, s8, 15
	s_sub_u32 s6, s4, s2
	s_subb_u32 s7, s5, s3
	s_and_b32 s2, s4, 3
	s_mov_b32 s3, s13
	s_delay_alu instid0(SALU_CYCLE_1) | instskip(NEXT) | instid1(SALU_CYCLE_1)
	s_or_b64 s[2:3], s[12:13], s[2:3]
	s_cmp_eq_u64 s[2:3], 0
	s_cbranch_scc1 .LBB253_21
; %bb.1:
	v_cmp_lt_i64_e64 s2, s[6:7], 1
	s_delay_alu instid0(VALU_DEP_1)
	s_and_b32 vcc_lo, exec_lo, s2
	s_cbranch_vccnz .LBB253_20
; %bb.2:
	s_load_b32 s2, s[0:1], 0xd3c
	v_cmp_gt_u64_e64 s3, 0x10000, s[6:7]
	v_lshlrev_b32_e32 v1, 2, v0
	s_waitcnt lgkmcnt(0)
	s_and_b32 s2, s2, 0xffff
	s_delay_alu instid0(VALU_DEP_2)
	s_and_b32 s3, s3, exec_lo
	v_add_co_u32 v5, s5, v0, s2
	s_cselect_b32 s13, s7, 0
	s_cselect_b32 s12, s6, 0x10000
	s_lshl_b32 s3, s2, 1
	s_lshl_b32 s17, s2, 2
	v_lshlrev_b32_e32 v3, 2, v5
	v_add_co_ci_u32_e64 v6, null, 0, 0, s5
	s_add_u32 s5, s8, s10
	v_add_co_u32 v9, s3, s3, v0
	s_mul_i32 s4, s2, 3
	s_addc_u32 s14, s9, s11
	v_add_co_ci_u32_e64 v10, null, 0, 0, s3
	v_add_co_u32 v1, s3, s5, v1
	v_add_co_u32 v7, s4, s4, v0
	v_add_co_ci_u32_e64 v2, null, s14, 0, s3
	v_add_co_u32 v3, s3, s5, v3
	v_add_co_ci_u32_e64 v8, null, 0, 0, s4
	v_add_co_ci_u32_e64 v4, null, s14, 0, s3
	s_lshl_b32 s18, s2, 4
	s_mul_i32 s19, s2, 12
	s_lshl_b32 s20, s2, 3
	s_mov_b64 s[14:15], 0
	s_branch .LBB253_4
.LBB253_3:                              ;   in Loop: Header=BB253_4 Depth=1
	s_or_b32 exec_lo, exec_lo, s3
	s_add_u32 s14, s14, s17
	s_addc_u32 s15, s15, 0
	v_add_co_u32 v1, vcc_lo, v1, s18
	v_cmp_lt_i64_e64 s2, s[14:15], s[6:7]
	v_cmp_gt_u64_e64 s3, 0x10000, s[14:15]
	v_add_co_ci_u32_e32 v2, vcc_lo, 0, v2, vcc_lo
	v_add_co_u32 v3, vcc_lo, v3, s18
	v_add_co_ci_u32_e32 v4, vcc_lo, 0, v4, vcc_lo
	s_delay_alu instid0(VALU_DEP_4) | instskip(NEXT) | instid1(SALU_CYCLE_1)
	s_and_b32 s2, s2, s3
	s_and_b32 vcc_lo, exec_lo, s2
	s_cbranch_vccz .LBB253_20
.LBB253_4:                              ; =>This Inner Loop Header: Depth=1
	s_waitcnt vmcnt(0)
	v_add_co_u32 v11, s2, v0, s14
	s_delay_alu instid0(VALU_DEP_1) | instskip(SKIP_1) | instid1(VALU_DEP_2)
	v_add_co_ci_u32_e64 v12, null, 0, s15, s2
	v_mov_b32_e32 v14, 0
	v_cmp_gt_u64_e32 vcc_lo, s[12:13], v[11:12]
	s_and_saveexec_b32 s2, vcc_lo
	s_cbranch_execz .LBB253_6
; %bb.5:                                ;   in Loop: Header=BB253_4 Depth=1
	global_load_b32 v14, v[1:2], off
.LBB253_6:                              ;   in Loop: Header=BB253_4 Depth=1
	s_or_b32 exec_lo, exec_lo, s2
	v_add_co_u32 v11, s2, v5, s14
	s_delay_alu instid0(VALU_DEP_1) | instskip(SKIP_1) | instid1(VALU_DEP_2)
	v_add_co_ci_u32_e64 v12, s2, s15, v6, s2
	v_mov_b32_e32 v13, 0
	v_cmp_gt_u64_e64 s4, s[12:13], v[11:12]
	s_delay_alu instid0(VALU_DEP_1)
	s_and_saveexec_b32 s2, s4
	s_cbranch_execz .LBB253_8
; %bb.7:                                ;   in Loop: Header=BB253_4 Depth=1
	global_load_b32 v13, v[3:4], off
.LBB253_8:                              ;   in Loop: Header=BB253_4 Depth=1
	s_or_b32 exec_lo, exec_lo, s2
	v_add_co_u32 v11, s2, v9, s14
	s_delay_alu instid0(VALU_DEP_1) | instskip(NEXT) | instid1(VALU_DEP_1)
	v_add_co_ci_u32_e64 v12, s2, s15, v10, s2
	v_cmp_gt_u64_e64 s3, s[12:13], v[11:12]
	v_dual_mov_b32 v11, 0 :: v_dual_mov_b32 v12, 0
	s_delay_alu instid0(VALU_DEP_2)
	s_and_saveexec_b32 s5, s3
	s_cbranch_execz .LBB253_10
; %bb.9:                                ;   in Loop: Header=BB253_4 Depth=1
	v_add_co_u32 v15, s2, v1, s20
	s_delay_alu instid0(VALU_DEP_1)
	v_add_co_ci_u32_e64 v16, s2, 0, v2, s2
	global_load_b32 v12, v[15:16], off
.LBB253_10:                             ;   in Loop: Header=BB253_4 Depth=1
	s_or_b32 exec_lo, exec_lo, s5
	v_add_co_u32 v15, s2, v7, s14
	s_delay_alu instid0(VALU_DEP_1) | instskip(NEXT) | instid1(VALU_DEP_1)
	v_add_co_ci_u32_e64 v16, s2, s15, v8, s2
	v_cmp_gt_u64_e64 s2, s[12:13], v[15:16]
	s_delay_alu instid0(VALU_DEP_1)
	s_and_saveexec_b32 s21, s2
	s_cbranch_execnz .LBB253_15
; %bb.11:                               ;   in Loop: Header=BB253_4 Depth=1
	s_or_b32 exec_lo, exec_lo, s21
	s_and_saveexec_b32 s5, vcc_lo
	s_cbranch_execnz .LBB253_16
.LBB253_12:                             ;   in Loop: Header=BB253_4 Depth=1
	s_or_b32 exec_lo, exec_lo, s5
	s_and_saveexec_b32 s5, s4
	s_cbranch_execnz .LBB253_17
.LBB253_13:                             ;   in Loop: Header=BB253_4 Depth=1
	s_or_b32 exec_lo, exec_lo, s5
	s_and_saveexec_b32 s4, s3
	s_cbranch_execnz .LBB253_18
.LBB253_14:                             ;   in Loop: Header=BB253_4 Depth=1
	s_or_b32 exec_lo, exec_lo, s4
	s_and_saveexec_b32 s3, s2
	s_cbranch_execz .LBB253_3
	s_branch .LBB253_19
.LBB253_15:                             ;   in Loop: Header=BB253_4 Depth=1
	v_add_co_u32 v15, s5, v1, s19
	s_delay_alu instid0(VALU_DEP_1)
	v_add_co_ci_u32_e64 v16, s5, 0, v2, s5
	global_load_b32 v11, v[15:16], off
	s_or_b32 exec_lo, exec_lo, s21
	s_and_saveexec_b32 s5, vcc_lo
	s_cbranch_execz .LBB253_12
.LBB253_16:                             ;   in Loop: Header=BB253_4 Depth=1
	s_waitcnt vmcnt(0)
	v_mul_f32_e32 v15, 0xbfb8aa3b, v14
	v_cmp_nlt_f32_e32 vcc_lo, 0x42ce8ed0, v14
	s_delay_alu instid0(VALU_DEP_2) | instskip(SKIP_1) | instid1(VALU_DEP_2)
	v_rndne_f32_e32 v16, v15
	v_fma_f32 v17, 0xbfb8aa3b, v14, -v15
	v_sub_f32_e32 v15, v15, v16
	s_delay_alu instid0(VALU_DEP_2) | instskip(SKIP_1) | instid1(VALU_DEP_2)
	v_fmac_f32_e32 v17, 0xb2a5705f, v14
	v_cvt_i32_f32_e32 v16, v16
	v_add_f32_e32 v15, v15, v17
	s_delay_alu instid0(VALU_DEP_1) | instskip(SKIP_2) | instid1(VALU_DEP_1)
	v_exp_f32_e32 v15, v15
	s_waitcnt_depctr 0xfff
	v_ldexp_f32 v15, v15, v16
	v_cndmask_b32_e32 v15, 0, v15, vcc_lo
	v_cmp_ngt_f32_e32 vcc_lo, 0xc2b17218, v14
	s_delay_alu instid0(VALU_DEP_2) | instskip(NEXT) | instid1(VALU_DEP_1)
	v_cndmask_b32_e32 v14, 0x7f800000, v15, vcc_lo
	v_add_f32_e32 v14, s16, v14
	s_delay_alu instid0(VALU_DEP_1) | instskip(NEXT) | instid1(VALU_DEP_1)
	v_div_scale_f32 v15, null, v14, v14, s16
	v_rcp_f32_e32 v16, v15
	s_waitcnt_depctr 0xfff
	v_fma_f32 v17, -v15, v16, 1.0
	s_delay_alu instid0(VALU_DEP_1) | instskip(SKIP_1) | instid1(VALU_DEP_1)
	v_fmac_f32_e32 v16, v17, v16
	v_div_scale_f32 v17, vcc_lo, s16, v14, s16
	v_mul_f32_e32 v18, v17, v16
	s_delay_alu instid0(VALU_DEP_1) | instskip(NEXT) | instid1(VALU_DEP_1)
	v_fma_f32 v19, -v15, v18, v17
	v_fmac_f32_e32 v18, v19, v16
	s_delay_alu instid0(VALU_DEP_1) | instskip(NEXT) | instid1(VALU_DEP_1)
	v_fma_f32 v15, -v15, v18, v17
	v_div_fmas_f32 v15, v15, v16, v18
	s_delay_alu instid0(VALU_DEP_1)
	v_div_fixup_f32 v14, v15, v14, s16
	global_store_b32 v[1:2], v14, off
	s_or_b32 exec_lo, exec_lo, s5
	s_and_saveexec_b32 s5, s4
	s_cbranch_execz .LBB253_13
.LBB253_17:                             ;   in Loop: Header=BB253_4 Depth=1
	s_waitcnt vmcnt(0)
	v_mul_f32_e32 v14, 0xbfb8aa3b, v13
	v_cmp_nlt_f32_e32 vcc_lo, 0x42ce8ed0, v13
	s_delay_alu instid0(VALU_DEP_2) | instskip(SKIP_1) | instid1(VALU_DEP_2)
	v_rndne_f32_e32 v15, v14
	v_fma_f32 v16, 0xbfb8aa3b, v13, -v14
	v_sub_f32_e32 v14, v14, v15
	s_delay_alu instid0(VALU_DEP_2) | instskip(SKIP_1) | instid1(VALU_DEP_2)
	v_fmac_f32_e32 v16, 0xb2a5705f, v13
	v_cvt_i32_f32_e32 v15, v15
	v_add_f32_e32 v14, v14, v16
	s_delay_alu instid0(VALU_DEP_1) | instskip(SKIP_2) | instid1(VALU_DEP_1)
	v_exp_f32_e32 v14, v14
	s_waitcnt_depctr 0xfff
	v_ldexp_f32 v14, v14, v15
	v_cndmask_b32_e32 v14, 0, v14, vcc_lo
	v_cmp_ngt_f32_e32 vcc_lo, 0xc2b17218, v13
	s_delay_alu instid0(VALU_DEP_2) | instskip(NEXT) | instid1(VALU_DEP_1)
	v_cndmask_b32_e32 v13, 0x7f800000, v14, vcc_lo
	v_add_f32_e32 v13, s16, v13
	s_delay_alu instid0(VALU_DEP_1) | instskip(NEXT) | instid1(VALU_DEP_1)
	v_div_scale_f32 v14, null, v13, v13, s16
	v_rcp_f32_e32 v15, v14
	s_waitcnt_depctr 0xfff
	v_fma_f32 v16, -v14, v15, 1.0
	s_delay_alu instid0(VALU_DEP_1) | instskip(SKIP_1) | instid1(VALU_DEP_1)
	v_fmac_f32_e32 v15, v16, v15
	v_div_scale_f32 v16, vcc_lo, s16, v13, s16
	v_mul_f32_e32 v17, v16, v15
	s_delay_alu instid0(VALU_DEP_1) | instskip(NEXT) | instid1(VALU_DEP_1)
	v_fma_f32 v18, -v14, v17, v16
	v_fmac_f32_e32 v17, v18, v15
	s_delay_alu instid0(VALU_DEP_1) | instskip(NEXT) | instid1(VALU_DEP_1)
	v_fma_f32 v14, -v14, v17, v16
	v_div_fmas_f32 v14, v14, v15, v17
	s_delay_alu instid0(VALU_DEP_1)
	v_div_fixup_f32 v13, v14, v13, s16
	global_store_b32 v[3:4], v13, off
	s_or_b32 exec_lo, exec_lo, s5
	s_and_saveexec_b32 s4, s3
	s_cbranch_execz .LBB253_14
.LBB253_18:                             ;   in Loop: Header=BB253_4 Depth=1
	s_waitcnt vmcnt(0)
	v_mul_f32_e32 v13, 0xbfb8aa3b, v12
	v_cmp_nlt_f32_e32 vcc_lo, 0x42ce8ed0, v12
	s_delay_alu instid0(VALU_DEP_2) | instskip(SKIP_1) | instid1(VALU_DEP_2)
	v_rndne_f32_e32 v14, v13
	v_fma_f32 v15, 0xbfb8aa3b, v12, -v13
	v_sub_f32_e32 v13, v13, v14
	s_delay_alu instid0(VALU_DEP_2) | instskip(SKIP_1) | instid1(VALU_DEP_2)
	v_fmac_f32_e32 v15, 0xb2a5705f, v12
	v_cvt_i32_f32_e32 v14, v14
	v_add_f32_e32 v13, v13, v15
	s_delay_alu instid0(VALU_DEP_1) | instskip(SKIP_2) | instid1(VALU_DEP_1)
	v_exp_f32_e32 v13, v13
	s_waitcnt_depctr 0xfff
	v_ldexp_f32 v13, v13, v14
	v_cndmask_b32_e32 v13, 0, v13, vcc_lo
	v_cmp_ngt_f32_e32 vcc_lo, 0xc2b17218, v12
	s_delay_alu instid0(VALU_DEP_2) | instskip(NEXT) | instid1(VALU_DEP_1)
	v_cndmask_b32_e32 v12, 0x7f800000, v13, vcc_lo
	v_add_f32_e32 v12, s16, v12
	s_delay_alu instid0(VALU_DEP_1) | instskip(SKIP_1) | instid1(VALU_DEP_2)
	v_div_scale_f32 v13, null, v12, v12, s16
	v_div_scale_f32 v16, vcc_lo, s16, v12, s16
	v_rcp_f32_e32 v14, v13
	s_waitcnt_depctr 0xfff
	v_fma_f32 v15, -v13, v14, 1.0
	s_delay_alu instid0(VALU_DEP_1) | instskip(NEXT) | instid1(VALU_DEP_1)
	v_fmac_f32_e32 v14, v15, v14
	v_mul_f32_e32 v15, v16, v14
	s_delay_alu instid0(VALU_DEP_1) | instskip(NEXT) | instid1(VALU_DEP_1)
	v_fma_f32 v17, -v13, v15, v16
	v_fmac_f32_e32 v15, v17, v14
	s_delay_alu instid0(VALU_DEP_1) | instskip(NEXT) | instid1(VALU_DEP_1)
	v_fma_f32 v13, -v13, v15, v16
	v_div_fmas_f32 v13, v13, v14, v15
	s_delay_alu instid0(VALU_DEP_1)
	v_div_fixup_f32 v14, v13, v12, s16
	v_add_co_u32 v12, vcc_lo, v1, s20
	v_add_co_ci_u32_e32 v13, vcc_lo, 0, v2, vcc_lo
	global_store_b32 v[12:13], v14, off
	s_or_b32 exec_lo, exec_lo, s4
	s_and_saveexec_b32 s3, s2
	s_cbranch_execz .LBB253_3
.LBB253_19:                             ;   in Loop: Header=BB253_4 Depth=1
	s_waitcnt vmcnt(0)
	v_mul_f32_e32 v12, 0xbfb8aa3b, v11
	v_cmp_nlt_f32_e32 vcc_lo, 0x42ce8ed0, v11
	s_delay_alu instid0(VALU_DEP_2) | instskip(SKIP_1) | instid1(VALU_DEP_2)
	v_rndne_f32_e32 v13, v12
	v_fma_f32 v14, 0xbfb8aa3b, v11, -v12
	v_sub_f32_e32 v12, v12, v13
	s_delay_alu instid0(VALU_DEP_2) | instskip(SKIP_1) | instid1(VALU_DEP_2)
	v_fmac_f32_e32 v14, 0xb2a5705f, v11
	v_cvt_i32_f32_e32 v13, v13
	v_add_f32_e32 v12, v12, v14
	s_delay_alu instid0(VALU_DEP_1) | instskip(SKIP_2) | instid1(VALU_DEP_1)
	v_exp_f32_e32 v12, v12
	s_waitcnt_depctr 0xfff
	v_ldexp_f32 v12, v12, v13
	v_cndmask_b32_e32 v12, 0, v12, vcc_lo
	v_cmp_ngt_f32_e32 vcc_lo, 0xc2b17218, v11
	s_delay_alu instid0(VALU_DEP_2) | instskip(NEXT) | instid1(VALU_DEP_1)
	v_cndmask_b32_e32 v11, 0x7f800000, v12, vcc_lo
	v_add_f32_e32 v11, s16, v11
	s_delay_alu instid0(VALU_DEP_1) | instskip(SKIP_1) | instid1(VALU_DEP_2)
	v_div_scale_f32 v12, null, v11, v11, s16
	v_div_scale_f32 v15, vcc_lo, s16, v11, s16
	v_rcp_f32_e32 v13, v12
	s_waitcnt_depctr 0xfff
	v_fma_f32 v14, -v12, v13, 1.0
	s_delay_alu instid0(VALU_DEP_1) | instskip(NEXT) | instid1(VALU_DEP_1)
	v_fmac_f32_e32 v13, v14, v13
	v_mul_f32_e32 v14, v15, v13
	s_delay_alu instid0(VALU_DEP_1) | instskip(NEXT) | instid1(VALU_DEP_1)
	v_fma_f32 v16, -v12, v14, v15
	v_fmac_f32_e32 v14, v16, v13
	s_delay_alu instid0(VALU_DEP_1) | instskip(NEXT) | instid1(VALU_DEP_1)
	v_fma_f32 v12, -v12, v14, v15
	v_div_fmas_f32 v12, v12, v13, v14
	s_delay_alu instid0(VALU_DEP_1)
	v_div_fixup_f32 v13, v12, v11, s16
	v_add_co_u32 v11, vcc_lo, v1, s19
	v_add_co_ci_u32_e32 v12, vcc_lo, 0, v2, vcc_lo
	global_store_b32 v[11:12], v13, off
	s_branch .LBB253_3
.LBB253_20:
	s_cbranch_execz .LBB253_22
	s_branch .LBB253_25
.LBB253_21:
.LBB253_22:
	v_dual_mov_b32 v2, 0 :: v_dual_lshlrev_b32 v1, 2, v0
	s_mov_b32 s4, 0
	s_mov_b32 s2, exec_lo
	s_delay_alu instid0(VALU_DEP_1)
	v_cmpx_gt_i64_e64 s[6:7], v[1:2]
	s_cbranch_execz .LBB253_25
; %bb.23:
	s_load_b32 s0, s[0:1], 0xd3c
	v_lshlrev_b32_e32 v1, 4, v0
	s_waitcnt lgkmcnt(0)
	s_and_b32 s0, s0, 0xffff
	s_delay_alu instid0(SALU_CYCLE_1) | instskip(SKIP_3) | instid1(VALU_DEP_1)
	s_lshl_b32 s5, s0, 2
	s_add_u32 s1, s8, s10
	s_addc_u32 s2, s9, s11
	v_add_co_u32 v3, s1, s1, v1
	v_add_co_ci_u32_e64 v4, null, s2, 0, s1
	v_add_lshl_u32 v1, v0, s0, 2
	s_delay_alu instid0(VALU_DEP_3) | instskip(NEXT) | instid1(VALU_DEP_3)
	v_add_co_u32 v3, vcc_lo, v3, 8
	v_add_co_ci_u32_e32 v4, vcc_lo, 0, v4, vcc_lo
	s_lshl_b32 s8, s0, 4
.LBB253_24:                             ; =>This Inner Loop Header: Depth=1
	global_load_b128 v[5:8], v[3:4], off offset:-8
	v_cmp_le_i64_e64 s3, s[6:7], v[1:2]
	s_waitcnt vmcnt(0)
	v_dual_mul_f32 v0, 0xbfb8aa3b, v5 :: v_dual_mul_f32 v9, 0xbfb8aa3b, v6
	v_dual_mul_f32 v10, 0xbfb8aa3b, v7 :: v_dual_mul_f32 v11, 0xbfb8aa3b, v8
	v_cmp_nlt_f32_e32 vcc_lo, 0x42ce8ed0, v5
	s_delay_alu instid0(VALU_DEP_3) | instskip(SKIP_4) | instid1(VALU_DEP_4)
	v_rndne_f32_e32 v12, v0
	v_fma_f32 v13, 0xbfb8aa3b, v5, -v0
	v_fma_f32 v15, 0xbfb8aa3b, v6, -v9
	v_rndne_f32_e32 v14, v9
	v_rndne_f32_e32 v16, v10
	v_dual_sub_f32 v0, v0, v12 :: v_dual_fmac_f32 v13, 0xb2a5705f, v5
	s_delay_alu instid0(VALU_DEP_4)
	v_fmac_f32_e32 v15, 0xb2a5705f, v6
	v_cvt_i32_f32_e32 v12, v12
	v_fma_f32 v17, 0xbfb8aa3b, v7, -v10
	v_dual_sub_f32 v9, v9, v14 :: v_dual_sub_f32 v10, v10, v16
	v_add_f32_e32 v0, v0, v13
	v_rndne_f32_e32 v18, v11
	v_fma_f32 v19, 0xbfb8aa3b, v8, -v11
	v_cvt_i32_f32_e32 v13, v14
	v_cvt_i32_f32_e32 v14, v16
	v_exp_f32_e32 v0, v0
	s_waitcnt_depctr 0xfff
	v_ldexp_f32 v0, v0, v12
	s_delay_alu instid0(VALU_DEP_1) | instskip(SKIP_1) | instid1(VALU_DEP_2)
	v_dual_fmac_f32 v17, 0xb2a5705f, v7 :: v_dual_cndmask_b32 v0, 0, v0
	v_add_f32_e32 v9, v9, v15
	v_dual_sub_f32 v11, v11, v18 :: v_dual_add_f32 v10, v10, v17
	v_cmp_nlt_f32_e32 vcc_lo, 0x42ce8ed0, v6
	v_cvt_i32_f32_e32 v15, v18
	s_delay_alu instid0(VALU_DEP_4) | instskip(NEXT) | instid1(VALU_DEP_3)
	v_exp_f32_e32 v9, v9
	v_exp_f32_e32 v10, v10
	s_waitcnt_depctr 0xfff
	v_ldexp_f32 v9, v9, v13
	v_ldexp_f32 v10, v10, v14
	s_delay_alu instid0(VALU_DEP_2) | instskip(SKIP_1) | instid1(VALU_DEP_3)
	v_cndmask_b32_e32 v9, 0, v9, vcc_lo
	v_cmp_nlt_f32_e32 vcc_lo, 0x42ce8ed0, v7
	v_dual_fmac_f32 v19, 0xb2a5705f, v8 :: v_dual_cndmask_b32 v10, 0, v10
	s_delay_alu instid0(VALU_DEP_1) | instskip(SKIP_1) | instid1(VALU_DEP_2)
	v_add_f32_e32 v11, v11, v19
	v_cmp_nlt_f32_e32 vcc_lo, 0x42ce8ed0, v8
	v_exp_f32_e32 v11, v11
	s_waitcnt_depctr 0xfff
	v_ldexp_f32 v11, v11, v15
	s_delay_alu instid0(VALU_DEP_1) | instskip(SKIP_3) | instid1(VALU_DEP_2)
	v_cndmask_b32_e32 v11, 0, v11, vcc_lo
	v_cmp_ngt_f32_e32 vcc_lo, 0xc2b17218, v5
	v_cndmask_b32_e32 v0, 0x7f800000, v0, vcc_lo
	v_cmp_ngt_f32_e32 vcc_lo, 0xc2b17218, v6
	v_add_f32_e32 v0, s16, v0
	v_cndmask_b32_e32 v5, 0x7f800000, v9, vcc_lo
	v_cmp_ngt_f32_e32 vcc_lo, 0xc2b17218, v7
	v_cndmask_b32_e32 v6, 0x7f800000, v10, vcc_lo
	v_cmp_ngt_f32_e32 vcc_lo, 0xc2b17218, v8
	s_delay_alu instid0(VALU_DEP_4) | instskip(SKIP_3) | instid1(VALU_DEP_4)
	v_add_f32_e32 v8, s16, v5
	v_div_scale_f32 v5, null, v0, v0, s16
	v_cndmask_b32_e32 v7, 0x7f800000, v11, vcc_lo
	v_add_f32_e32 v9, s16, v6
	v_div_scale_f32 v6, null, v8, v8, s16
	s_delay_alu instid0(VALU_DEP_4) | instskip(NEXT) | instid1(VALU_DEP_3)
	v_rcp_f32_e32 v12, v5
	v_add_f32_e32 v10, s16, v7
	s_delay_alu instid0(VALU_DEP_3) | instskip(NEXT) | instid1(VALU_DEP_3)
	v_div_scale_f32 v7, null, v9, v9, s16
	v_rcp_f32_e32 v13, v6
	v_div_scale_f32 v17, s0, s16, v8, s16
	s_delay_alu instid0(VALU_DEP_3) | instskip(NEXT) | instid1(VALU_DEP_3)
	v_div_scale_f32 v11, null, v10, v10, s16
	v_rcp_f32_e32 v14, v7
	s_delay_alu instid0(TRANS32_DEP_3) | instskip(SKIP_1) | instid1(VALU_DEP_3)
	v_fma_f32 v19, -v5, v12, 1.0
	v_div_scale_f32 v23, s2, s16, v10, s16
	v_rcp_f32_e32 v15, v11
	s_delay_alu instid0(TRANS32_DEP_3) | instskip(SKIP_3) | instid1(TRANS32_DEP_2)
	v_fma_f32 v20, -v6, v13, 1.0
	v_div_scale_f32 v16, vcc_lo, s16, v0, s16
	v_fmac_f32_e32 v12, v19, v12
	v_div_scale_f32 v18, s1, s16, v9, s16
	v_fma_f32 v21, -v7, v14, 1.0
	s_waitcnt_depctr 0xfff
	v_fma_f32 v22, -v11, v15, 1.0
	s_delay_alu instid0(VALU_DEP_1) | instskip(NEXT) | instid1(VALU_DEP_1)
	v_dual_fmac_f32 v14, v21, v14 :: v_dual_fmac_f32 v15, v22, v15
	v_dual_fmac_f32 v13, v20, v13 :: v_dual_mul_f32 v22, v23, v15
	s_delay_alu instid0(VALU_DEP_1) | instskip(NEXT) | instid1(VALU_DEP_2)
	v_mul_f32_e32 v20, v17, v13
	v_fma_f32 v27, -v11, v22, v23
	s_delay_alu instid0(VALU_DEP_2) | instskip(SKIP_1) | instid1(VALU_DEP_3)
	v_fma_f32 v25, -v6, v20, v17
	v_mul_f32_e32 v19, v16, v12
	v_dual_mul_f32 v21, v18, v14 :: v_dual_fmac_f32 v22, v27, v15
	s_delay_alu instid0(VALU_DEP_3) | instskip(NEXT) | instid1(VALU_DEP_3)
	v_fmac_f32_e32 v20, v25, v13
	v_fma_f32 v24, -v5, v19, v16
	s_delay_alu instid0(VALU_DEP_3) | instskip(NEXT) | instid1(VALU_DEP_4)
	v_fma_f32 v26, -v7, v21, v18
	v_fma_f32 v11, -v11, v22, v23
	s_delay_alu instid0(VALU_DEP_4) | instskip(NEXT) | instid1(VALU_DEP_4)
	v_fma_f32 v6, -v6, v20, v17
	v_fmac_f32_e32 v19, v24, v12
	s_delay_alu instid0(VALU_DEP_4) | instskip(NEXT) | instid1(VALU_DEP_2)
	v_fmac_f32_e32 v21, v26, v14
	v_fma_f32 v5, -v5, v19, v16
	s_delay_alu instid0(VALU_DEP_2) | instskip(NEXT) | instid1(VALU_DEP_2)
	v_fma_f32 v7, -v7, v21, v18
	v_div_fmas_f32 v5, v5, v12, v19
	s_mov_b32 vcc_lo, s0
	v_div_fmas_f32 v6, v6, v13, v20
	s_mov_b32 vcc_lo, s1
	s_delay_alu instid0(VALU_DEP_2)
	v_div_fixup_f32 v5, v5, v0, s16
	v_div_fmas_f32 v7, v7, v14, v21
	s_mov_b32 vcc_lo, s2
	v_div_fixup_f32 v6, v6, v8, s16
	v_div_fmas_f32 v11, v11, v15, v22
	v_cmp_lt_u64_e32 vcc_lo, 0xffff, v[1:2]
	v_div_fixup_f32 v7, v7, v9, s16
	v_add_co_u32 v1, s0, v1, s5
	s_delay_alu instid0(VALU_DEP_4)
	v_div_fixup_f32 v8, v11, v10, s16
	v_add_co_ci_u32_e64 v2, s0, 0, v2, s0
	s_or_b32 s0, s3, vcc_lo
	global_store_b128 v[3:4], v[5:8], off offset:-8
	v_add_co_u32 v3, vcc_lo, v3, s8
	v_add_co_ci_u32_e32 v4, vcc_lo, 0, v4, vcc_lo
	s_and_b32 s0, exec_lo, s0
	s_delay_alu instid0(SALU_CYCLE_1) | instskip(NEXT) | instid1(SALU_CYCLE_1)
	s_or_b32 s4, s0, s4
	s_and_not1_b32 exec_lo, exec_lo, s4
	s_cbranch_execnz .LBB253_24
.LBB253_25:
	s_nop 0
	s_sendmsg sendmsg(MSG_DEALLOC_VGPRS)
	s_endpgm
	.section	.rodata,"a",@progbits
	.p2align	6, 0x0
	.amdhsa_kernel _ZN2at6native12_GLOBAL__N_125multi_tensor_apply_kernelINS1_18TensorListMetadataILi1EEENS1_14UnaryOpFunctorIfLi1ELi1ELi0EEEJNS0_7SigmoidIfEEEEEvT_T0_DpT1_
		.amdhsa_group_segment_fixed_size 0
		.amdhsa_private_segment_fixed_size 0
		.amdhsa_kernarg_size 3632
		.amdhsa_user_sgpr_count 15
		.amdhsa_user_sgpr_dispatch_ptr 0
		.amdhsa_user_sgpr_queue_ptr 0
		.amdhsa_user_sgpr_kernarg_segment_ptr 1
		.amdhsa_user_sgpr_dispatch_id 0
		.amdhsa_user_sgpr_private_segment_size 0
		.amdhsa_wavefront_size32 1
		.amdhsa_uses_dynamic_stack 0
		.amdhsa_enable_private_segment 0
		.amdhsa_system_sgpr_workgroup_id_x 1
		.amdhsa_system_sgpr_workgroup_id_y 0
		.amdhsa_system_sgpr_workgroup_id_z 0
		.amdhsa_system_sgpr_workgroup_info 0
		.amdhsa_system_vgpr_workitem_id 0
		.amdhsa_next_free_vgpr 28
		.amdhsa_next_free_sgpr 22
		.amdhsa_reserve_vcc 1
		.amdhsa_float_round_mode_32 0
		.amdhsa_float_round_mode_16_64 0
		.amdhsa_float_denorm_mode_32 3
		.amdhsa_float_denorm_mode_16_64 3
		.amdhsa_dx10_clamp 1
		.amdhsa_ieee_mode 1
		.amdhsa_fp16_overflow 0
		.amdhsa_workgroup_processor_mode 1
		.amdhsa_memory_ordered 1
		.amdhsa_forward_progress 0
		.amdhsa_shared_vgpr_count 0
		.amdhsa_exception_fp_ieee_invalid_op 0
		.amdhsa_exception_fp_denorm_src 0
		.amdhsa_exception_fp_ieee_div_zero 0
		.amdhsa_exception_fp_ieee_overflow 0
		.amdhsa_exception_fp_ieee_underflow 0
		.amdhsa_exception_fp_ieee_inexact 0
		.amdhsa_exception_int_div_zero 0
	.end_amdhsa_kernel
	.section	.text._ZN2at6native12_GLOBAL__N_125multi_tensor_apply_kernelINS1_18TensorListMetadataILi1EEENS1_14UnaryOpFunctorIfLi1ELi1ELi0EEEJNS0_7SigmoidIfEEEEEvT_T0_DpT1_,"axG",@progbits,_ZN2at6native12_GLOBAL__N_125multi_tensor_apply_kernelINS1_18TensorListMetadataILi1EEENS1_14UnaryOpFunctorIfLi1ELi1ELi0EEEJNS0_7SigmoidIfEEEEEvT_T0_DpT1_,comdat
.Lfunc_end253:
	.size	_ZN2at6native12_GLOBAL__N_125multi_tensor_apply_kernelINS1_18TensorListMetadataILi1EEENS1_14UnaryOpFunctorIfLi1ELi1ELi0EEEJNS0_7SigmoidIfEEEEEvT_T0_DpT1_, .Lfunc_end253-_ZN2at6native12_GLOBAL__N_125multi_tensor_apply_kernelINS1_18TensorListMetadataILi1EEENS1_14UnaryOpFunctorIfLi1ELi1ELi0EEEJNS0_7SigmoidIfEEEEEvT_T0_DpT1_
                                        ; -- End function
	.section	.AMDGPU.csdata,"",@progbits
; Kernel info:
; codeLenInByte = 2644
; NumSgprs: 24
; NumVgprs: 28
; ScratchSize: 0
; MemoryBound: 0
; FloatMode: 240
; IeeeMode: 1
; LDSByteSize: 0 bytes/workgroup (compile time only)
; SGPRBlocks: 2
; VGPRBlocks: 3
; NumSGPRsForWavesPerEU: 24
; NumVGPRsForWavesPerEU: 28
; Occupancy: 16
; WaveLimiterHint : 0
; COMPUTE_PGM_RSRC2:SCRATCH_EN: 0
; COMPUTE_PGM_RSRC2:USER_SGPR: 15
; COMPUTE_PGM_RSRC2:TRAP_HANDLER: 0
; COMPUTE_PGM_RSRC2:TGID_X_EN: 1
; COMPUTE_PGM_RSRC2:TGID_Y_EN: 0
; COMPUTE_PGM_RSRC2:TGID_Z_EN: 0
; COMPUTE_PGM_RSRC2:TIDIG_COMP_CNT: 0
	.section	.text._ZN2at6native12_GLOBAL__N_125multi_tensor_apply_kernelINS1_18TensorListMetadataILi1EEENS1_14UnaryOpFunctorIN3c107complexIdEELi1ELi1ELi0EEEJNS0_7SigmoidIS8_EEEEEvT_T0_DpT1_,"axG",@progbits,_ZN2at6native12_GLOBAL__N_125multi_tensor_apply_kernelINS1_18TensorListMetadataILi1EEENS1_14UnaryOpFunctorIN3c107complexIdEELi1ELi1ELi0EEEJNS0_7SigmoidIS8_EEEEEvT_T0_DpT1_,comdat
	.globl	_ZN2at6native12_GLOBAL__N_125multi_tensor_apply_kernelINS1_18TensorListMetadataILi1EEENS1_14UnaryOpFunctorIN3c107complexIdEELi1ELi1ELi0EEEJNS0_7SigmoidIS8_EEEEEvT_T0_DpT1_ ; -- Begin function _ZN2at6native12_GLOBAL__N_125multi_tensor_apply_kernelINS1_18TensorListMetadataILi1EEENS1_14UnaryOpFunctorIN3c107complexIdEELi1ELi1ELi0EEEJNS0_7SigmoidIS8_EEEEEvT_T0_DpT1_
	.p2align	8
	.type	_ZN2at6native12_GLOBAL__N_125multi_tensor_apply_kernelINS1_18TensorListMetadataILi1EEENS1_14UnaryOpFunctorIN3c107complexIdEELi1ELi1ELi0EEEJNS0_7SigmoidIS8_EEEEEvT_T0_DpT1_,@function
_ZN2at6native12_GLOBAL__N_125multi_tensor_apply_kernelINS1_18TensorListMetadataILi1EEENS1_14UnaryOpFunctorIN3c107complexIdEELi1ELi1ELi0EEEJNS0_7SigmoidIS8_EEEEEvT_T0_DpT1_: ; @_ZN2at6native12_GLOBAL__N_125multi_tensor_apply_kernelINS1_18TensorListMetadataILi1EEENS1_14UnaryOpFunctorIN3c107complexIdEELi1ELi1ELi0EEEJNS0_7SigmoidIS8_EEEEEvT_T0_DpT1_
; %bb.0:
	v_mov_b32_e32 v1, s15
	s_add_u32 s2, s0, s15
	s_mul_hi_u32 s3, s15, 3
	s_mul_i32 s15, s15, 3
	s_addc_u32 s4, s1, 0
	global_load_u8 v1, v1, s[0:1] offset:1760
	s_add_u32 s2, s2, s15
	s_addc_u32 s3, s4, s3
	s_mov_b32 s7, 0
	s_load_b32 s2, s[2:3], 0x820
	s_waitcnt vmcnt(0)
	v_readfirstlane_b32 s3, v1
	s_delay_alu instid0(VALU_DEP_1)
	s_lshl_b32 s3, s3, 3
	s_clause 0x2
	s_load_b64 s[16:17], s[0:1], s3 offset:0x0
	s_load_b64 s[4:5], s[0:1], s3 offset:0x370
	s_load_b128 s[12:15], s[0:1], 0xd30
	s_waitcnt lgkmcnt(0)
	s_ashr_i32 s3, s2, 31
	s_delay_alu instid0(SALU_CYCLE_1) | instskip(NEXT) | instid1(SALU_CYCLE_1)
	s_lshl_b64 s[18:19], s[2:3], 20
	s_add_u32 s33, s16, s18
	s_addc_u32 s94, s17, s19
	s_lshl_b64 s[2:3], s[2:3], 16
	s_and_b32 s6, s33, 63
	s_sub_u32 s10, s4, s2
	s_subb_u32 s11, s5, s3
	s_and_b32 s2, s4, 3
	s_mov_b32 s3, s7
	s_delay_alu instid0(SALU_CYCLE_1) | instskip(NEXT) | instid1(SALU_CYCLE_1)
	s_or_b64 s[2:3], s[6:7], s[2:3]
	s_cmp_eq_u64 s[2:3], 0
	s_cbranch_scc1 .LBB254_229
; %bb.1:
	v_cmp_lt_i64_e64 s2, s[10:11], 1
	s_delay_alu instid0(VALU_DEP_1)
	s_and_b32 vcc_lo, exec_lo, s2
	s_cbranch_vccnz .LBB254_228
; %bb.2:
	s_load_b32 s2, s[0:1], 0xd4c
	v_mov_b32_e32 v17, 0
	v_cmp_gt_u64_e64 s3, 0x10000, s[10:11]
	v_lshlrev_b32_e32 v19, 4, v0
	s_mov_b32 s26, 0x54442d18
	s_mov_b32 s34, 0x6dc9c883
	v_mov_b32_e32 v20, v17
	s_mov_b32 s36, 0x33145c00
	s_mov_b32 s38, 0x252049c0
	;; [unrolled: 1-line block ×13, first 2 shown]
	s_waitcnt lgkmcnt(0)
	s_and_b32 s2, s2, 0xffff
	s_and_b32 s3, s3, exec_lo
	v_mad_u64_u32 v[21:22], null, s2, 48, v[19:20]
	s_cselect_b32 s21, s11, 0
	s_cselect_b32 s20, s10, 0x10000
	s_lshl_b32 s3, s2, 1
	s_mul_i32 s4, s2, 3
	s_lshl_b32 s95, s2, 2
	s_lshl_b32 s96, s2, 6
	v_add_co_u32 v39, s5, v0, s2
	s_lshl_b32 s2, s2, 5
	v_add_co_u32 v20, s4, s4, v0
	v_add_co_u32 v1, s2, s2, v19
	s_delay_alu instid0(VALU_DEP_1)
	v_add_co_ci_u32_e64 v42, null, 0, 0, s2
	v_add_co_u32 v45, s2, s3, v0
	v_add_co_ci_u32_e64 v40, null, 0, 0, s5
	v_add_co_ci_u32_e64 v41, null, 0, 0, s4
	v_lshlrev_b32_e32 v43, 4, v39
	v_or_b32_e32 v44, 8, v1
	v_or_b32_e32 v21, 8, v21
	v_add_co_ci_u32_e64 v46, null, 0, 0, s2
	s_mov_b32 s64, 0x55555511
	s_mov_b32 s66, 11
	s_mov_b32 s68, 0x9037ab78
	s_mov_b32 s70, 0x46cc5e42
	s_mov_b32 s72, 0xa17f65f6
	s_mov_b32 s74, 0x19f4ec90
	s_mov_b32 s76, 0x16c16967
	s_mov_b32 s78, 0xb42fdfa7
	s_mov_b32 s80, 0xf9a43bb8
	s_mov_b32 s82, 0x796cde01
	s_mov_b32 s84, 0x19e83e5c
	s_mov_b32 s86, 0x19ba0da4
	s_mov_b64 s[22:23], 0
	s_mov_b32 s25, 0x3ff921fb
	s_mov_b32 s27, 0xbff921fb
	;; [unrolled: 1-line block ×35, first 2 shown]
	s_branch .LBB254_4
.LBB254_3:                              ;   in Loop: Header=BB254_4 Depth=1
	s_or_b32 exec_lo, exec_lo, s2
	s_add_u32 s22, s22, s95
	s_addc_u32 s23, s23, 0
	s_delay_alu instid0(SALU_CYCLE_1) | instskip(SKIP_1) | instid1(VALU_DEP_1)
	v_cmp_ge_i64_e64 s2, s[22:23], s[10:11]
	v_cmp_lt_u64_e64 s3, 0xffff, s[22:23]
	s_or_b32 s2, s2, s3
	s_add_u32 s33, s33, s96
	s_addc_u32 s94, s94, 0
	s_and_b32 vcc_lo, exec_lo, s2
	s_cbranch_vccnz .LBB254_228
.LBB254_4:                              ; =>This Inner Loop Header: Depth=1
	v_add_co_u32 v1, s2, v0, s22
	s_delay_alu instid0(VALU_DEP_1) | instskip(SKIP_2) | instid1(VALU_DEP_2)
	v_add_co_ci_u32_e64 v2, null, 0, s23, s2
	v_mov_b32_e32 v15, 0
	v_mov_b32_e32 v16, 0
	;; [unrolled: 1-line block ×3, first 2 shown]
	s_delay_alu instid0(VALU_DEP_4) | instskip(NEXT) | instid1(VALU_DEP_3)
	v_cmp_gt_u64_e64 s2, s[20:21], v[1:2]
	v_dual_mov_b32 v5, v15 :: v_dual_mov_b32 v6, v16
	v_mov_b32_e32 v8, v16
	s_delay_alu instid0(VALU_DEP_3)
	s_and_saveexec_b32 s3, s2
	s_cbranch_execz .LBB254_6
; %bb.5:                                ;   in Loop: Header=BB254_4 Depth=1
	v_add_co_u32 v1, s4, s33, v19
	s_delay_alu instid0(VALU_DEP_1)
	v_add_co_ci_u32_e64 v2, null, s94, 0, s4
	global_load_b128 v[5:8], v[1:2], off
.LBB254_6:                              ;   in Loop: Header=BB254_4 Depth=1
	s_or_b32 exec_lo, exec_lo, s3
	v_add_co_u32 v1, vcc_lo, v39, s22
	v_add_co_ci_u32_e32 v2, vcc_lo, s23, v40, vcc_lo
	v_dual_mov_b32 v13, v15 :: v_dual_mov_b32 v14, v16
	s_delay_alu instid0(VALU_DEP_2) | instskip(NEXT) | instid1(VALU_DEP_1)
	v_cmp_gt_u64_e64 s3, s[20:21], v[1:2]
	s_and_saveexec_b32 s4, s3
	s_cbranch_execz .LBB254_8
; %bb.7:                                ;   in Loop: Header=BB254_4 Depth=1
	v_add_co_u32 v1, s5, s33, v43
	s_delay_alu instid0(VALU_DEP_1)
	v_add_co_ci_u32_e64 v2, null, s94, 0, s5
	global_load_b128 v[13:16], v[1:2], off
.LBB254_8:                              ;   in Loop: Header=BB254_4 Depth=1
	s_or_b32 exec_lo, exec_lo, s4
	v_add_co_u32 v1, vcc_lo, v45, s22
	v_add_co_ci_u32_e32 v2, vcc_lo, s23, v46, vcc_lo
	v_mov_b32_e32 v3, 0
	v_mov_b32_e32 v4, 0
	s_delay_alu instid0(VALU_DEP_3) | instskip(NEXT) | instid1(VALU_DEP_2)
	v_cmp_gt_u64_e64 s4, s[20:21], v[1:2]
	v_dual_mov_b32 v12, v4 :: v_dual_mov_b32 v11, v3
	v_dual_mov_b32 v10, v4 :: v_dual_mov_b32 v9, v3
	s_delay_alu instid0(VALU_DEP_3)
	s_and_saveexec_b32 s5, s4
	s_cbranch_execz .LBB254_10
; %bb.9:                                ;   in Loop: Header=BB254_4 Depth=1
	v_add_co_u32 v1, vcc_lo, s33, v44
	v_add_co_ci_u32_e32 v2, vcc_lo, s94, v42, vcc_lo
	global_load_b128 v[9:12], v[1:2], off offset:-8
.LBB254_10:                             ;   in Loop: Header=BB254_4 Depth=1
	s_or_b32 exec_lo, exec_lo, s5
	v_add_co_u32 v1, vcc_lo, v20, s22
	v_add_co_ci_u32_e32 v2, vcc_lo, s23, v41, vcc_lo
	s_delay_alu instid0(VALU_DEP_1) | instskip(SKIP_1) | instid1(VALU_DEP_2)
	v_cmp_gt_u64_e64 s5, s[20:21], v[1:2]
	v_dual_mov_b32 v1, v3 :: v_dual_mov_b32 v2, v4
	s_and_saveexec_b32 s6, s5
	s_cbranch_execz .LBB254_12
; %bb.11:                               ;   in Loop: Header=BB254_4 Depth=1
	v_add_co_u32 v1, vcc_lo, s33, v21
	v_add_co_ci_u32_e32 v2, vcc_lo, s94, v22, vcc_lo
	global_load_b128 v[1:4], v[1:2], off offset:-8
.LBB254_12:                             ;   in Loop: Header=BB254_4 Depth=1
	s_or_b32 exec_lo, exec_lo, s6
	s_waitcnt vmcnt(0)
	v_xor_b32_e32 v24, 0x80000000, v8
	v_mov_b32_e32 v23, v7
                                        ; implicit-def: $vgpr25_vgpr26
	s_mov_b32 s6, exec_lo
	s_delay_alu instid0(VALU_DEP_2) | instskip(NEXT) | instid1(VALU_DEP_1)
	v_and_b32_e32 v29, 0x7fffffff, v24
	v_or_b32_e32 v18, v29, v23
	s_delay_alu instid0(VALU_DEP_1)
	v_cmpx_ne_u32_e32 0, v18
	s_xor_b32 s98, exec_lo, s6
	s_cbranch_execz .LBB254_54
; %bb.13:                               ;   in Loop: Header=BB254_4 Depth=1
	v_xor_b32_e32 v28, 0x80000000, v6
	v_mov_b32_e32 v27, v5
                                        ; implicit-def: $vgpr25_vgpr26
	s_mov_b32 s6, exec_lo
	s_delay_alu instid0(VALU_DEP_2) | instskip(NEXT) | instid1(VALU_DEP_1)
	v_and_b32_e32 v18, 0x7fffffff, v28
	v_or_b32_e32 v23, v18, v27
	s_delay_alu instid0(VALU_DEP_1)
	v_cmpx_ne_u32_e32 0, v23
	s_xor_b32 s99, exec_lo, s6
	s_cbranch_execz .LBB254_43
; %bb.14:                               ;   in Loop: Header=BB254_4 Depth=1
                                        ; implicit-def: $vgpr25_vgpr26
	s_mov_b32 s6, exec_lo
	v_cmpx_gt_u32_e32 0x7ff00000, v29
	s_xor_b32 s100, exec_lo, s6
	s_cbranch_execz .LBB254_36
; %bb.15:                               ;   in Loop: Header=BB254_4 Depth=1
	v_add_nc_u32_e32 v18, 0xbf79d1be, v28
                                        ; implicit-def: $vgpr25_vgpr26
	s_mov_b32 s6, exec_lo
	s_delay_alu instid0(VALU_DEP_1)
	v_cmpx_lt_u32_e32 0x108aa2, v18
	s_xor_b32 s101, exec_lo, s6
	s_cbranch_execz .LBB254_25
; %bb.16:                               ;   in Loop: Header=BB254_4 Depth=1
	v_cmp_ngt_f64_e64 s7, 0x41d00000, |v[7:8]|
                                        ; implicit-def: $vgpr23
                                        ; implicit-def: $vgpr25_vgpr26
                                        ; implicit-def: $vgpr27_vgpr28
	s_delay_alu instid0(VALU_DEP_1) | instskip(NEXT) | instid1(SALU_CYCLE_1)
	s_and_saveexec_b32 s6, s7
	s_xor_b32 s8, exec_lo, s6
	s_cbranch_execz .LBB254_18
; %bb.17:                               ;   in Loop: Header=BB254_4 Depth=1
	v_ldexp_f64 v[25:26], |v[7:8]|, 0xffffff80
	v_cmp_le_f64_e64 vcc_lo, 0x7b000000, |v[7:8]|
	v_trig_preop_f64 v[27:28], |v[7:8]|, 0
	v_and_b32_e32 v18, 0x7fffffff, v8
	v_trig_preop_f64 v[29:30], |v[7:8]|, 1
	v_trig_preop_f64 v[47:48], |v[7:8]|, 2
	s_mov_b32 s24, s26
	s_mov_b32 s31, s29
	v_dual_cndmask_b32 v25, v7, v25 :: v_dual_cndmask_b32 v26, v18, v26
	s_delay_alu instid0(VALU_DEP_1) | instskip(NEXT) | instid1(VALU_DEP_4)
	v_mul_f64 v[31:32], v[27:28], v[25:26]
	v_mul_f64 v[33:34], v[29:30], v[25:26]
	s_delay_alu instid0(VALU_DEP_2) | instskip(NEXT) | instid1(VALU_DEP_2)
	v_fma_f64 v[27:28], v[27:28], v[25:26], -v[31:32]
	v_fma_f64 v[29:30], v[29:30], v[25:26], -v[33:34]
	s_delay_alu instid0(VALU_DEP_2) | instskip(NEXT) | instid1(VALU_DEP_1)
	v_add_f64 v[35:36], v[33:34], v[27:28]
	v_add_f64 v[37:38], v[35:36], -v[33:34]
	v_add_f64 v[51:52], v[31:32], v[35:36]
	s_delay_alu instid0(VALU_DEP_2) | instskip(SKIP_1) | instid1(VALU_DEP_3)
	v_add_f64 v[49:50], v[35:36], -v[37:38]
	v_add_f64 v[27:28], v[27:28], -v[37:38]
	v_ldexp_f64 v[37:38], v[51:52], -2
	v_add_f64 v[31:32], v[51:52], -v[31:32]
	s_delay_alu instid0(VALU_DEP_4) | instskip(NEXT) | instid1(VALU_DEP_3)
	v_add_f64 v[33:34], v[33:34], -v[49:50]
	v_cmp_neq_f64_e64 vcc_lo, 0x7ff00000, |v[37:38]|
	s_delay_alu instid0(VALU_DEP_3) | instskip(NEXT) | instid1(VALU_DEP_3)
	v_add_f64 v[31:32], v[35:36], -v[31:32]
	v_add_f64 v[27:28], v[27:28], v[33:34]
	v_fract_f64_e32 v[33:34], v[37:38]
	s_delay_alu instid0(VALU_DEP_1) | instskip(SKIP_1) | instid1(VALU_DEP_3)
	v_cndmask_b32_e32 v33, 0, v33, vcc_lo
	v_mul_f64 v[53:54], v[47:48], v[25:26]
	v_cndmask_b32_e32 v34, 0, v34, vcc_lo
	s_delay_alu instid0(VALU_DEP_1) | instskip(NEXT) | instid1(VALU_DEP_3)
	v_ldexp_f64 v[33:34], v[33:34], 2
	v_add_f64 v[49:50], v[53:54], v[29:30]
	v_fma_f64 v[25:26], v[47:48], v[25:26], -v[53:54]
	s_delay_alu instid0(VALU_DEP_2) | instskip(NEXT) | instid1(VALU_DEP_1)
	v_add_f64 v[35:36], v[49:50], v[27:28]
	v_add_f64 v[37:38], v[31:32], v[35:36]
	v_add_f64 v[55:56], v[35:36], -v[49:50]
	s_delay_alu instid0(VALU_DEP_2) | instskip(NEXT) | instid1(VALU_DEP_2)
	v_add_f64 v[51:52], v[37:38], v[33:34]
	v_add_f64 v[61:62], v[35:36], -v[55:56]
	v_add_f64 v[27:28], v[27:28], -v[55:56]
	;; [unrolled: 1-line block ×3, first 2 shown]
	s_delay_alu instid0(VALU_DEP_4) | instskip(SKIP_1) | instid1(VALU_DEP_3)
	v_cmp_gt_f64_e32 vcc_lo, 0, v[51:52]
	v_add_f64 v[51:52], v[49:50], -v[53:54]
	v_add_f64 v[31:32], v[35:36], -v[31:32]
	v_cndmask_b32_e64 v18, 0, 0x40100000, vcc_lo
	s_delay_alu instid0(VALU_DEP_3) | instskip(SKIP_2) | instid1(VALU_DEP_4)
	v_add_f64 v[59:60], v[49:50], -v[51:52]
	v_add_f64 v[29:30], v[29:30], -v[51:52]
	;; [unrolled: 1-line block ×3, first 2 shown]
	v_add_f64 v[33:34], v[33:34], v[17:18]
	s_delay_alu instid0(VALU_DEP_4) | instskip(NEXT) | instid1(VALU_DEP_3)
	v_add_f64 v[51:52], v[53:54], -v[59:60]
	v_add_f64 v[27:28], v[27:28], v[49:50]
	s_delay_alu instid0(VALU_DEP_3) | instskip(NEXT) | instid1(VALU_DEP_3)
	v_add_f64 v[57:58], v[37:38], v[33:34]
	v_add_f64 v[29:30], v[29:30], v[51:52]
	s_delay_alu instid0(VALU_DEP_2) | instskip(NEXT) | instid1(VALU_DEP_2)
	v_cvt_i32_f64_e32 v18, v[57:58]
	v_add_f64 v[27:28], v[29:30], v[27:28]
	s_delay_alu instid0(VALU_DEP_2) | instskip(NEXT) | instid1(VALU_DEP_2)
	v_cvt_f64_i32_e32 v[55:56], v18
	v_add_f64 v[25:26], v[25:26], v[27:28]
	s_delay_alu instid0(VALU_DEP_2) | instskip(NEXT) | instid1(VALU_DEP_2)
	v_add_f64 v[33:34], v[33:34], -v[55:56]
	v_add_f64 v[25:26], v[31:32], v[25:26]
	s_delay_alu instid0(VALU_DEP_2) | instskip(NEXT) | instid1(VALU_DEP_1)
	v_add_f64 v[29:30], v[37:38], v[33:34]
	v_add_f64 v[27:28], v[29:30], -v[33:34]
	v_cmp_le_f64_e32 vcc_lo, 0.5, v[29:30]
	s_delay_alu instid0(VALU_DEP_2) | instskip(SKIP_2) | instid1(VALU_DEP_3)
	v_add_f64 v[27:28], v[37:38], -v[27:28]
	v_add_co_ci_u32_e64 v23, s6, 0, v18, vcc_lo
	v_cndmask_b32_e64 v18, 0, 0x3ff00000, vcc_lo
	v_add_f64 v[25:26], v[25:26], v[27:28]
	s_delay_alu instid0(VALU_DEP_2) | instskip(NEXT) | instid1(VALU_DEP_1)
	v_add_f64 v[27:28], v[29:30], -v[17:18]
	v_add_f64 v[29:30], v[27:28], v[25:26]
	s_delay_alu instid0(VALU_DEP_1) | instskip(SKIP_1) | instid1(VALU_DEP_2)
	v_mul_f64 v[31:32], v[29:30], s[24:25]
	v_add_f64 v[27:28], v[29:30], -v[27:28]
	v_fma_f64 v[33:34], v[29:30], s[24:25], -v[31:32]
	s_delay_alu instid0(VALU_DEP_2) | instskip(NEXT) | instid1(VALU_DEP_2)
	v_add_f64 v[25:26], v[25:26], -v[27:28]
	v_fma_f64 v[27:28], v[29:30], s[30:31], v[33:34]
	s_delay_alu instid0(VALU_DEP_1) | instskip(NEXT) | instid1(VALU_DEP_1)
	v_fma_f64 v[27:28], v[25:26], s[24:25], v[27:28]
	v_add_f64 v[25:26], v[31:32], v[27:28]
	s_delay_alu instid0(VALU_DEP_1) | instskip(NEXT) | instid1(VALU_DEP_1)
	v_add_f64 v[29:30], v[25:26], -v[31:32]
	v_add_f64 v[27:28], v[27:28], -v[29:30]
	s_and_not1_saveexec_b32 s6, s8
	s_cbranch_execz .LBB254_20
	s_branch .LBB254_19
.LBB254_18:                             ;   in Loop: Header=BB254_4 Depth=1
	s_and_not1_saveexec_b32 s6, s8
	s_cbranch_execz .LBB254_20
.LBB254_19:                             ;   in Loop: Header=BB254_4 Depth=1
	v_mul_f64 v[25:26], |v[7:8]|, s[34:35]
	s_mov_b32 s28, s36
	s_delay_alu instid0(VALU_DEP_1) | instskip(NEXT) | instid1(VALU_DEP_1)
	v_rndne_f64_e32 v[29:30], v[25:26]
	v_fma_f64 v[25:26], v[29:30], s[26:27], |v[7:8]|
	v_mul_f64 v[27:28], v[29:30], s[36:37]
	v_cvt_i32_f64_e32 v23, v[29:30]
	s_delay_alu instid0(VALU_DEP_3) | instskip(NEXT) | instid1(VALU_DEP_3)
	v_fma_f64 v[33:34], v[29:30], s[36:37], v[25:26]
	v_add_f64 v[31:32], v[25:26], v[27:28]
	s_delay_alu instid0(VALU_DEP_1) | instskip(NEXT) | instid1(VALU_DEP_3)
	v_add_f64 v[25:26], v[25:26], -v[31:32]
	v_add_f64 v[31:32], v[31:32], -v[33:34]
	s_delay_alu instid0(VALU_DEP_2) | instskip(SKIP_1) | instid1(VALU_DEP_2)
	v_add_f64 v[25:26], v[25:26], v[27:28]
	v_fma_f64 v[27:28], v[29:30], s[28:29], v[27:28]
	v_add_f64 v[25:26], v[31:32], v[25:26]
	s_delay_alu instid0(VALU_DEP_1) | instskip(NEXT) | instid1(VALU_DEP_1)
	v_add_f64 v[25:26], v[25:26], -v[27:28]
	v_fma_f64 v[27:28], v[29:30], s[38:39], v[25:26]
	s_delay_alu instid0(VALU_DEP_1) | instskip(NEXT) | instid1(VALU_DEP_1)
	v_add_f64 v[25:26], v[33:34], v[27:28]
	v_add_f64 v[31:32], v[25:26], -v[33:34]
	s_delay_alu instid0(VALU_DEP_1)
	v_add_f64 v[27:28], v[27:28], -v[31:32]
.LBB254_20:                             ;   in Loop: Header=BB254_4 Depth=1
	s_or_b32 exec_lo, exec_lo, s6
                                        ; implicit-def: $vgpr33
                                        ; implicit-def: $vgpr29_vgpr30
                                        ; implicit-def: $vgpr31_vgpr32
	s_and_saveexec_b32 s6, s7
	s_delay_alu instid0(SALU_CYCLE_1)
	s_xor_b32 s7, exec_lo, s6
	s_cbranch_execz .LBB254_22
; %bb.21:                               ;   in Loop: Header=BB254_4 Depth=1
	v_ldexp_f64 v[29:30], |v[7:8]|, 0xffffff80
	v_cmp_le_f64_e64 vcc_lo, 0x7b000000, |v[7:8]|
	v_trig_preop_f64 v[31:32], |v[7:8]|, 0
	v_and_b32_e32 v18, 0x7fffffff, v8
	v_trig_preop_f64 v[33:34], |v[7:8]|, 1
	v_trig_preop_f64 v[51:52], |v[7:8]|, 2
	s_mov_b32 s24, s26
	s_mov_b32 s31, s29
	v_dual_cndmask_b32 v29, v7, v29 :: v_dual_cndmask_b32 v30, v18, v30
	s_delay_alu instid0(VALU_DEP_1) | instskip(NEXT) | instid1(VALU_DEP_4)
	v_mul_f64 v[35:36], v[31:32], v[29:30]
	v_mul_f64 v[37:38], v[33:34], v[29:30]
	s_delay_alu instid0(VALU_DEP_2) | instskip(NEXT) | instid1(VALU_DEP_2)
	v_fma_f64 v[31:32], v[31:32], v[29:30], -v[35:36]
	v_fma_f64 v[33:34], v[33:34], v[29:30], -v[37:38]
	s_delay_alu instid0(VALU_DEP_2) | instskip(NEXT) | instid1(VALU_DEP_1)
	v_add_f64 v[47:48], v[37:38], v[31:32]
	v_add_f64 v[49:50], v[47:48], -v[37:38]
	v_add_f64 v[55:56], v[35:36], v[47:48]
	s_delay_alu instid0(VALU_DEP_2) | instskip(SKIP_1) | instid1(VALU_DEP_3)
	v_add_f64 v[53:54], v[47:48], -v[49:50]
	v_add_f64 v[31:32], v[31:32], -v[49:50]
	v_ldexp_f64 v[49:50], v[55:56], -2
	v_add_f64 v[35:36], v[55:56], -v[35:36]
	s_delay_alu instid0(VALU_DEP_4) | instskip(NEXT) | instid1(VALU_DEP_3)
	v_add_f64 v[37:38], v[37:38], -v[53:54]
	v_cmp_neq_f64_e64 vcc_lo, 0x7ff00000, |v[49:50]|
	s_delay_alu instid0(VALU_DEP_3) | instskip(NEXT) | instid1(VALU_DEP_3)
	v_add_f64 v[35:36], v[47:48], -v[35:36]
	v_add_f64 v[31:32], v[31:32], v[37:38]
	v_fract_f64_e32 v[37:38], v[49:50]
	s_delay_alu instid0(VALU_DEP_1) | instskip(SKIP_1) | instid1(VALU_DEP_3)
	v_cndmask_b32_e32 v37, 0, v37, vcc_lo
	v_mul_f64 v[57:58], v[51:52], v[29:30]
	v_cndmask_b32_e32 v38, 0, v38, vcc_lo
	s_delay_alu instid0(VALU_DEP_1) | instskip(NEXT) | instid1(VALU_DEP_3)
	v_ldexp_f64 v[37:38], v[37:38], 2
	v_add_f64 v[53:54], v[57:58], v[33:34]
	v_fma_f64 v[29:30], v[51:52], v[29:30], -v[57:58]
	s_delay_alu instid0(VALU_DEP_2) | instskip(NEXT) | instid1(VALU_DEP_1)
	v_add_f64 v[47:48], v[53:54], v[31:32]
	v_add_f64 v[49:50], v[35:36], v[47:48]
	v_add_f64 v[59:60], v[47:48], -v[53:54]
	s_delay_alu instid0(VALU_DEP_2) | instskip(NEXT) | instid1(VALU_DEP_2)
	v_add_f64 v[55:56], v[49:50], v[37:38]
	v_add_f64 v[65:66], v[47:48], -v[59:60]
	v_add_f64 v[31:32], v[31:32], -v[59:60]
	;; [unrolled: 1-line block ×3, first 2 shown]
	s_delay_alu instid0(VALU_DEP_4) | instskip(SKIP_2) | instid1(VALU_DEP_2)
	v_cmp_gt_f64_e32 vcc_lo, 0, v[55:56]
	v_add_f64 v[55:56], v[53:54], -v[57:58]
	v_cndmask_b32_e64 v18, 0, 0x40100000, vcc_lo
	v_add_f64 v[63:64], v[53:54], -v[55:56]
	v_add_f64 v[33:34], v[33:34], -v[55:56]
	v_add_f64 v[53:54], v[53:54], -v[65:66]
	s_delay_alu instid0(VALU_DEP_4) | instskip(NEXT) | instid1(VALU_DEP_4)
	v_add_f64 v[37:38], v[37:38], v[17:18]
	v_add_f64 v[55:56], v[57:58], -v[63:64]
	s_delay_alu instid0(VALU_DEP_3) | instskip(NEXT) | instid1(VALU_DEP_3)
	v_add_f64 v[31:32], v[31:32], v[53:54]
	v_add_f64 v[61:62], v[49:50], v[37:38]
	s_delay_alu instid0(VALU_DEP_3) | instskip(NEXT) | instid1(VALU_DEP_2)
	v_add_f64 v[33:34], v[33:34], v[55:56]
	v_cvt_i32_f64_e32 v18, v[61:62]
	s_delay_alu instid0(VALU_DEP_2) | instskip(SKIP_1) | instid1(VALU_DEP_3)
	v_add_f64 v[31:32], v[33:34], v[31:32]
	v_add_f64 v[33:34], v[47:48], -v[35:36]
	v_cvt_f64_i32_e32 v[59:60], v18
	s_delay_alu instid0(VALU_DEP_3) | instskip(NEXT) | instid1(VALU_DEP_2)
	v_add_f64 v[29:30], v[29:30], v[31:32]
	v_add_f64 v[37:38], v[37:38], -v[59:60]
	s_delay_alu instid0(VALU_DEP_2) | instskip(NEXT) | instid1(VALU_DEP_2)
	v_add_f64 v[29:30], v[33:34], v[29:30]
	v_add_f64 v[51:52], v[49:50], v[37:38]
	s_delay_alu instid0(VALU_DEP_1) | instskip(SKIP_1) | instid1(VALU_DEP_2)
	v_add_f64 v[31:32], v[51:52], -v[37:38]
	v_cmp_le_f64_e32 vcc_lo, 0.5, v[51:52]
	v_add_f64 v[31:32], v[49:50], -v[31:32]
	v_add_co_ci_u32_e64 v33, s6, 0, v18, vcc_lo
	v_cndmask_b32_e64 v18, 0, 0x3ff00000, vcc_lo
	s_delay_alu instid0(VALU_DEP_3) | instskip(NEXT) | instid1(VALU_DEP_2)
	v_add_f64 v[29:30], v[29:30], v[31:32]
	v_add_f64 v[31:32], v[51:52], -v[17:18]
	s_delay_alu instid0(VALU_DEP_1) | instskip(NEXT) | instid1(VALU_DEP_1)
	v_add_f64 v[34:35], v[31:32], v[29:30]
	v_mul_f64 v[36:37], v[34:35], s[24:25]
	v_add_f64 v[31:32], v[34:35], -v[31:32]
	s_delay_alu instid0(VALU_DEP_2) | instskip(NEXT) | instid1(VALU_DEP_2)
	v_fma_f64 v[47:48], v[34:35], s[24:25], -v[36:37]
	v_add_f64 v[29:30], v[29:30], -v[31:32]
	s_delay_alu instid0(VALU_DEP_2) | instskip(NEXT) | instid1(VALU_DEP_1)
	v_fma_f64 v[31:32], v[34:35], s[30:31], v[47:48]
	v_fma_f64 v[31:32], v[29:30], s[24:25], v[31:32]
	s_delay_alu instid0(VALU_DEP_1) | instskip(NEXT) | instid1(VALU_DEP_1)
	v_add_f64 v[29:30], v[36:37], v[31:32]
	v_add_f64 v[34:35], v[29:30], -v[36:37]
	s_delay_alu instid0(VALU_DEP_1)
	v_add_f64 v[31:32], v[31:32], -v[34:35]
	s_and_not1_saveexec_b32 s6, s7
	s_cbranch_execnz .LBB254_23
	s_branch .LBB254_24
.LBB254_22:                             ;   in Loop: Header=BB254_4 Depth=1
	s_and_not1_saveexec_b32 s6, s7
	s_cbranch_execz .LBB254_24
.LBB254_23:                             ;   in Loop: Header=BB254_4 Depth=1
	v_mul_f64 v[29:30], |v[7:8]|, s[34:35]
	s_mov_b32 s28, s36
	s_delay_alu instid0(VALU_DEP_1) | instskip(NEXT) | instid1(VALU_DEP_1)
	v_rndne_f64_e32 v[33:34], v[29:30]
	v_fma_f64 v[29:30], v[33:34], s[26:27], |v[7:8]|
	v_mul_f64 v[31:32], v[33:34], s[36:37]
	s_delay_alu instid0(VALU_DEP_2) | instskip(NEXT) | instid1(VALU_DEP_2)
	v_fma_f64 v[37:38], v[33:34], s[36:37], v[29:30]
	v_add_f64 v[35:36], v[29:30], v[31:32]
	s_delay_alu instid0(VALU_DEP_1) | instskip(NEXT) | instid1(VALU_DEP_3)
	v_add_f64 v[29:30], v[29:30], -v[35:36]
	v_add_f64 v[35:36], v[35:36], -v[37:38]
	s_delay_alu instid0(VALU_DEP_2) | instskip(SKIP_1) | instid1(VALU_DEP_2)
	v_add_f64 v[29:30], v[29:30], v[31:32]
	v_fma_f64 v[31:32], v[33:34], s[28:29], v[31:32]
	v_add_f64 v[29:30], v[35:36], v[29:30]
	s_delay_alu instid0(VALU_DEP_1) | instskip(NEXT) | instid1(VALU_DEP_1)
	v_add_f64 v[29:30], v[29:30], -v[31:32]
	v_fma_f64 v[31:32], v[33:34], s[38:39], v[29:30]
	v_cvt_i32_f64_e32 v33, v[33:34]
	s_delay_alu instid0(VALU_DEP_2) | instskip(NEXT) | instid1(VALU_DEP_1)
	v_add_f64 v[29:30], v[37:38], v[31:32]
	v_add_f64 v[35:36], v[29:30], -v[37:38]
	s_delay_alu instid0(VALU_DEP_1)
	v_add_f64 v[31:32], v[31:32], -v[35:36]
.LBB254_24:                             ;   in Loop: Header=BB254_4 Depth=1
	s_or_b32 exec_lo, exec_lo, s6
	s_mov_b32 s40, s42
	v_mul_f64 v[49:50], v[25:26], v[25:26]
	v_mul_f64 v[34:35], v[5:6], s[40:41]
	;; [unrolled: 1-line block ×3, first 2 shown]
	s_mov_b32 s89, s61
	s_mov_b32 s91, s63
	s_delay_alu instid0(VALU_DEP_4)
	v_mul_f64 v[69:70], v[27:28], 0.5
	v_mul_f64 v[75:76], v[31:32], 0.5
	s_mov_b32 s92, s62
	v_cmp_ngt_f64_e64 s7, 0xc0900000, v[5:6]
	v_cmp_nlt_f64_e64 s8, 0x4090cc00, v[5:6]
	v_cmp_class_f64_e64 s6, v[7:8], 0x1f8
	v_and_b32_e32 v7, 1, v33
	s_delay_alu instid0(VALU_DEP_1)
	v_cmp_eq_u32_e64 s9, 0, v7
	v_fma_f64 v[53:54], v[49:50], s[80:81], s[78:79]
	v_rndne_f64_e32 v[34:35], v[34:35]
	v_fma_f64 v[55:56], v[51:52], s[80:81], s[78:79]
	v_fma_f64 v[57:58], v[49:50], s[70:71], s[68:69]
	v_mul_f64 v[59:60], v[49:50], 0.5
	v_fma_f64 v[61:62], v[51:52], s[70:71], s[68:69]
	v_mul_f64 v[63:64], v[51:52], 0.5
	v_mul_f64 v[71:72], v[25:26], -v[49:50]
	v_mul_f64 v[77:78], v[29:30], -v[51:52]
	v_fma_f64 v[53:54], v[49:50], v[53:54], s[82:83]
	v_fma_f64 v[36:37], v[34:35], s[44:45], -v[5:6]
	v_fma_f64 v[55:56], v[51:52], v[55:56], s[82:83]
	v_fma_f64 v[57:58], v[49:50], v[57:58], s[72:73]
	v_add_f64 v[65:66], -v[59:60], 1.0
	v_fma_f64 v[61:62], v[51:52], v[61:62], s[72:73]
	v_add_f64 v[67:68], -v[63:64], 1.0
	v_cvt_i32_f64_e32 v18, v[34:35]
	v_lshlrev_b32_e32 v6, 30, v23
	v_lshlrev_b32_e32 v5, 30, v33
	s_delay_alu instid0(VALU_DEP_1)
	v_xor_b32_e32 v5, v5, v24
	v_fma_f64 v[53:54], v[49:50], v[53:54], s[84:85]
	v_fma_f64 v[36:37], v[34:35], s[46:47], v[36:37]
	;; [unrolled: 1-line block ×4, first 2 shown]
	v_add_f64 v[73:74], -v[65:66], 1.0
	v_fma_f64 v[61:62], v[51:52], v[61:62], s[74:75]
	v_add_f64 v[79:80], -v[67:68], 1.0
	v_fma_f64 v[53:54], v[49:50], v[53:54], s[60:61]
	v_fma_f64 v[47:48], v[36:37], s[50:51], s[48:49]
	;; [unrolled: 1-line block ×4, first 2 shown]
	v_add_f64 v[59:60], v[73:74], -v[59:60]
	v_fma_f64 v[61:62], v[51:52], v[61:62], s[76:77]
	v_add_f64 v[63:64], v[79:80], -v[63:64]
	v_fma_f64 v[53:54], v[71:72], v[53:54], v[69:70]
	v_fma_f64 v[47:48], v[36:37], v[47:48], s[52:53]
	;; [unrolled: 1-line block ×3, first 2 shown]
	v_mul_f64 v[69:70], v[49:50], v[49:50]
	v_fma_f64 v[57:58], v[49:50], v[57:58], s[62:63]
	v_fma_f64 v[59:60], v[25:26], -v[27:28], v[59:60]
	v_fma_f64 v[27:28], v[49:50], v[53:54], -v[27:28]
	v_fma_f64 v[47:48], v[36:37], v[47:48], s[54:55]
	v_mul_f64 v[49:50], v[51:52], v[51:52]
	v_fma_f64 v[53:54], v[51:52], v[61:62], s[62:63]
	v_fma_f64 v[61:62], v[29:30], -v[31:32], v[63:64]
	v_fma_f64 v[31:32], v[51:52], v[55:56], -v[31:32]
	v_fma_f64 v[51:52], v[69:70], v[57:58], v[59:60]
	v_fma_f64 v[27:28], v[71:72], s[92:93], v[27:28]
	;; [unrolled: 1-line block ×3, first 2 shown]
	s_delay_alu instid0(VALU_DEP_4) | instskip(NEXT) | instid1(VALU_DEP_3)
	v_fma_f64 v[31:32], v[77:78], s[92:93], v[31:32]
	v_add_f64 v[25:26], v[25:26], -v[27:28]
	s_delay_alu instid0(VALU_DEP_3) | instskip(NEXT) | instid1(VALU_DEP_3)
	v_fma_f64 v[47:48], v[36:37], v[47:48], s[58:59]
	v_add_f64 v[29:30], v[29:30], -v[31:32]
	s_delay_alu instid0(VALU_DEP_2) | instskip(NEXT) | instid1(VALU_DEP_1)
	v_fma_f64 v[47:48], v[36:37], v[47:48], s[88:89]
	v_fma_f64 v[47:48], v[36:37], v[47:48], s[90:91]
	s_delay_alu instid0(VALU_DEP_1) | instskip(NEXT) | instid1(VALU_DEP_1)
	v_fma_f64 v[47:48], v[36:37], v[47:48], s[64:65]
	v_fma_f64 v[47:48], v[36:37], v[47:48], s[66:67]
	s_delay_alu instid0(VALU_DEP_1) | instskip(NEXT) | instid1(VALU_DEP_1)
	v_fma_f64 v[47:48], v[36:37], v[47:48], 1.0
	v_fma_f64 v[34:35], v[36:37], v[47:48], 1.0
	v_fma_f64 v[36:37], v[49:50], v[53:54], v[61:62]
	v_add_f64 v[47:48], v[65:66], v[51:52]
	s_delay_alu instid0(VALU_DEP_3) | instskip(NEXT) | instid1(VALU_DEP_3)
	v_ldexp_f64 v[27:28], v[34:35], v18
	v_add_f64 v[34:35], v[67:68], v[36:37]
	v_and_b32_e32 v18, 1, v23
	v_xor_b32_e32 v23, 0x80000000, v26
	s_delay_alu instid0(VALU_DEP_2) | instskip(NEXT) | instid1(VALU_DEP_2)
	v_cmp_eq_u32_e32 vcc_lo, 0, v18
	v_dual_cndmask_b32 v7, v23, v48 :: v_dual_cndmask_b32 v18, v25, v47
	s_and_b32 vcc_lo, s8, s7
	v_and_b32_e32 v6, 0x80000000, v6
	v_and_b32_e32 v23, 0x80000000, v5
	s_delay_alu instid0(VALU_DEP_3) | instskip(SKIP_3) | instid1(VALU_DEP_2)
	v_cndmask_b32_e64 v5, 0, v18, s6
	v_cndmask_b32_e64 v8, 0x7ff00000, v28, s7
	;; [unrolled: 1-line block ×4, first 2 shown]
	v_xor_b32_e32 v18, v25, v23
	v_cndmask_b32_e32 v23, 0, v27, vcc_lo
	v_xor_b32_e32 v6, v7, v6
	s_delay_alu instid0(VALU_DEP_4) | instskip(SKIP_2) | instid1(VALU_DEP_4)
	v_cndmask_b32_e64 v7, 0, v24, s6
	v_cndmask_b32_e64 v24, 0, v8, s8
	;; [unrolled: 1-line block ×4, first 2 shown]
	s_delay_alu instid0(VALU_DEP_1) | instskip(NEXT) | instid1(VALU_DEP_3)
	v_mul_f64 v[25:26], v[23:24], v[5:6]
	v_mul_f64 v[23:24], v[23:24], v[7:8]
                                        ; implicit-def: $vgpr7_vgpr8
.LBB254_25:                             ;   in Loop: Header=BB254_4 Depth=1
	s_and_not1_saveexec_b32 s40, s101
	s_cbranch_execz .LBB254_28
; %bb.26:                               ;   in Loop: Header=BB254_4 Depth=1
	v_cmp_ngt_f64_e64 s7, 0x41d00000, |v[7:8]|
                                        ; implicit-def: $vgpr23
                                        ; implicit-def: $vgpr25_vgpr26
                                        ; implicit-def: $vgpr27_vgpr28
	s_delay_alu instid0(VALU_DEP_1) | instskip(NEXT) | instid1(SALU_CYCLE_1)
	s_and_saveexec_b32 s6, s7
	s_xor_b32 s8, exec_lo, s6
	s_cbranch_execz .LBB254_29
; %bb.27:                               ;   in Loop: Header=BB254_4 Depth=1
	v_ldexp_f64 v[25:26], |v[7:8]|, 0xffffff80
	v_cmp_le_f64_e64 vcc_lo, 0x7b000000, |v[7:8]|
	v_trig_preop_f64 v[27:28], |v[7:8]|, 0
	v_and_b32_e32 v18, 0x7fffffff, v8
	v_trig_preop_f64 v[29:30], |v[7:8]|, 1
	v_trig_preop_f64 v[47:48], |v[7:8]|, 2
	s_mov_b32 s24, s26
	s_mov_b32 s31, s29
	v_dual_cndmask_b32 v25, v7, v25 :: v_dual_cndmask_b32 v26, v18, v26
	s_delay_alu instid0(VALU_DEP_1) | instskip(NEXT) | instid1(VALU_DEP_4)
	v_mul_f64 v[31:32], v[27:28], v[25:26]
	v_mul_f64 v[33:34], v[29:30], v[25:26]
	s_delay_alu instid0(VALU_DEP_2) | instskip(NEXT) | instid1(VALU_DEP_2)
	v_fma_f64 v[27:28], v[27:28], v[25:26], -v[31:32]
	v_fma_f64 v[29:30], v[29:30], v[25:26], -v[33:34]
	s_delay_alu instid0(VALU_DEP_2) | instskip(NEXT) | instid1(VALU_DEP_1)
	v_add_f64 v[35:36], v[33:34], v[27:28]
	v_add_f64 v[37:38], v[35:36], -v[33:34]
	v_add_f64 v[51:52], v[31:32], v[35:36]
	s_delay_alu instid0(VALU_DEP_2) | instskip(SKIP_1) | instid1(VALU_DEP_3)
	v_add_f64 v[49:50], v[35:36], -v[37:38]
	v_add_f64 v[27:28], v[27:28], -v[37:38]
	v_ldexp_f64 v[37:38], v[51:52], -2
	v_add_f64 v[31:32], v[51:52], -v[31:32]
	s_delay_alu instid0(VALU_DEP_4) | instskip(NEXT) | instid1(VALU_DEP_3)
	v_add_f64 v[33:34], v[33:34], -v[49:50]
	v_cmp_neq_f64_e64 vcc_lo, 0x7ff00000, |v[37:38]|
	s_delay_alu instid0(VALU_DEP_3) | instskip(NEXT) | instid1(VALU_DEP_3)
	v_add_f64 v[31:32], v[35:36], -v[31:32]
	v_add_f64 v[27:28], v[27:28], v[33:34]
	v_fract_f64_e32 v[33:34], v[37:38]
	s_delay_alu instid0(VALU_DEP_1) | instskip(SKIP_1) | instid1(VALU_DEP_3)
	v_cndmask_b32_e32 v33, 0, v33, vcc_lo
	v_mul_f64 v[53:54], v[47:48], v[25:26]
	v_cndmask_b32_e32 v34, 0, v34, vcc_lo
	s_delay_alu instid0(VALU_DEP_1) | instskip(NEXT) | instid1(VALU_DEP_3)
	v_ldexp_f64 v[33:34], v[33:34], 2
	v_add_f64 v[49:50], v[53:54], v[29:30]
	v_fma_f64 v[25:26], v[47:48], v[25:26], -v[53:54]
	s_delay_alu instid0(VALU_DEP_2) | instskip(NEXT) | instid1(VALU_DEP_1)
	v_add_f64 v[35:36], v[49:50], v[27:28]
	v_add_f64 v[37:38], v[31:32], v[35:36]
	v_add_f64 v[55:56], v[35:36], -v[49:50]
	s_delay_alu instid0(VALU_DEP_2) | instskip(NEXT) | instid1(VALU_DEP_2)
	v_add_f64 v[51:52], v[37:38], v[33:34]
	v_add_f64 v[61:62], v[35:36], -v[55:56]
	v_add_f64 v[27:28], v[27:28], -v[55:56]
	;; [unrolled: 1-line block ×3, first 2 shown]
	s_delay_alu instid0(VALU_DEP_4) | instskip(SKIP_1) | instid1(VALU_DEP_3)
	v_cmp_gt_f64_e32 vcc_lo, 0, v[51:52]
	v_add_f64 v[51:52], v[49:50], -v[53:54]
	v_add_f64 v[31:32], v[35:36], -v[31:32]
	v_cndmask_b32_e64 v18, 0, 0x40100000, vcc_lo
	s_delay_alu instid0(VALU_DEP_3) | instskip(SKIP_2) | instid1(VALU_DEP_4)
	v_add_f64 v[59:60], v[49:50], -v[51:52]
	v_add_f64 v[29:30], v[29:30], -v[51:52]
	;; [unrolled: 1-line block ×3, first 2 shown]
	v_add_f64 v[33:34], v[33:34], v[17:18]
	s_delay_alu instid0(VALU_DEP_4) | instskip(NEXT) | instid1(VALU_DEP_3)
	v_add_f64 v[51:52], v[53:54], -v[59:60]
	v_add_f64 v[27:28], v[27:28], v[49:50]
	s_delay_alu instid0(VALU_DEP_3) | instskip(NEXT) | instid1(VALU_DEP_3)
	v_add_f64 v[57:58], v[37:38], v[33:34]
	v_add_f64 v[29:30], v[29:30], v[51:52]
	s_delay_alu instid0(VALU_DEP_2) | instskip(NEXT) | instid1(VALU_DEP_2)
	v_cvt_i32_f64_e32 v18, v[57:58]
	v_add_f64 v[27:28], v[29:30], v[27:28]
	s_delay_alu instid0(VALU_DEP_2) | instskip(NEXT) | instid1(VALU_DEP_2)
	v_cvt_f64_i32_e32 v[55:56], v18
	v_add_f64 v[25:26], v[25:26], v[27:28]
	s_delay_alu instid0(VALU_DEP_2) | instskip(NEXT) | instid1(VALU_DEP_2)
	v_add_f64 v[33:34], v[33:34], -v[55:56]
	v_add_f64 v[25:26], v[31:32], v[25:26]
	s_delay_alu instid0(VALU_DEP_2) | instskip(NEXT) | instid1(VALU_DEP_1)
	v_add_f64 v[29:30], v[37:38], v[33:34]
	v_add_f64 v[27:28], v[29:30], -v[33:34]
	v_cmp_le_f64_e32 vcc_lo, 0.5, v[29:30]
	s_delay_alu instid0(VALU_DEP_2) | instskip(SKIP_2) | instid1(VALU_DEP_3)
	v_add_f64 v[27:28], v[37:38], -v[27:28]
	v_add_co_ci_u32_e64 v23, s6, 0, v18, vcc_lo
	v_cndmask_b32_e64 v18, 0, 0x3ff00000, vcc_lo
	v_add_f64 v[25:26], v[25:26], v[27:28]
	s_delay_alu instid0(VALU_DEP_2) | instskip(NEXT) | instid1(VALU_DEP_1)
	v_add_f64 v[27:28], v[29:30], -v[17:18]
	v_add_f64 v[29:30], v[27:28], v[25:26]
	s_delay_alu instid0(VALU_DEP_1) | instskip(SKIP_1) | instid1(VALU_DEP_2)
	v_mul_f64 v[31:32], v[29:30], s[24:25]
	v_add_f64 v[27:28], v[29:30], -v[27:28]
	v_fma_f64 v[33:34], v[29:30], s[24:25], -v[31:32]
	s_delay_alu instid0(VALU_DEP_2) | instskip(NEXT) | instid1(VALU_DEP_2)
	v_add_f64 v[25:26], v[25:26], -v[27:28]
	v_fma_f64 v[27:28], v[29:30], s[30:31], v[33:34]
	s_delay_alu instid0(VALU_DEP_1) | instskip(NEXT) | instid1(VALU_DEP_1)
	v_fma_f64 v[27:28], v[25:26], s[24:25], v[27:28]
	v_add_f64 v[25:26], v[31:32], v[27:28]
	s_delay_alu instid0(VALU_DEP_1) | instskip(NEXT) | instid1(VALU_DEP_1)
	v_add_f64 v[29:30], v[25:26], -v[31:32]
	v_add_f64 v[27:28], v[27:28], -v[29:30]
	s_and_not1_saveexec_b32 s6, s8
	s_cbranch_execz .LBB254_31
	s_branch .LBB254_30
.LBB254_28:                             ;   in Loop: Header=BB254_4 Depth=1
	s_or_b32 exec_lo, exec_lo, s40
                                        ; implicit-def: $vgpr27_vgpr28
                                        ; implicit-def: $vgpr5_vgpr6
                                        ; implicit-def: $vgpr18
	s_and_not1_saveexec_b32 s7, s100
	s_cbranch_execnz .LBB254_37
	s_branch .LBB254_42
.LBB254_29:                             ;   in Loop: Header=BB254_4 Depth=1
	s_and_not1_saveexec_b32 s6, s8
	s_cbranch_execz .LBB254_31
.LBB254_30:                             ;   in Loop: Header=BB254_4 Depth=1
	v_mul_f64 v[25:26], |v[7:8]|, s[34:35]
	s_mov_b32 s28, s36
	s_delay_alu instid0(VALU_DEP_1) | instskip(NEXT) | instid1(VALU_DEP_1)
	v_rndne_f64_e32 v[29:30], v[25:26]
	v_fma_f64 v[25:26], v[29:30], s[26:27], |v[7:8]|
	v_mul_f64 v[27:28], v[29:30], s[36:37]
	v_cvt_i32_f64_e32 v23, v[29:30]
	s_delay_alu instid0(VALU_DEP_3) | instskip(NEXT) | instid1(VALU_DEP_3)
	v_fma_f64 v[33:34], v[29:30], s[36:37], v[25:26]
	v_add_f64 v[31:32], v[25:26], v[27:28]
	s_delay_alu instid0(VALU_DEP_1) | instskip(NEXT) | instid1(VALU_DEP_3)
	v_add_f64 v[25:26], v[25:26], -v[31:32]
	v_add_f64 v[31:32], v[31:32], -v[33:34]
	s_delay_alu instid0(VALU_DEP_2) | instskip(SKIP_1) | instid1(VALU_DEP_2)
	v_add_f64 v[25:26], v[25:26], v[27:28]
	v_fma_f64 v[27:28], v[29:30], s[28:29], v[27:28]
	v_add_f64 v[25:26], v[31:32], v[25:26]
	s_delay_alu instid0(VALU_DEP_1) | instskip(NEXT) | instid1(VALU_DEP_1)
	v_add_f64 v[25:26], v[25:26], -v[27:28]
	v_fma_f64 v[27:28], v[29:30], s[38:39], v[25:26]
	s_delay_alu instid0(VALU_DEP_1) | instskip(NEXT) | instid1(VALU_DEP_1)
	v_add_f64 v[25:26], v[33:34], v[27:28]
	v_add_f64 v[31:32], v[25:26], -v[33:34]
	s_delay_alu instid0(VALU_DEP_1)
	v_add_f64 v[27:28], v[27:28], -v[31:32]
.LBB254_31:                             ;   in Loop: Header=BB254_4 Depth=1
	s_or_b32 exec_lo, exec_lo, s6
                                        ; implicit-def: $vgpr33
                                        ; implicit-def: $vgpr29_vgpr30
                                        ; implicit-def: $vgpr31_vgpr32
	s_and_saveexec_b32 s6, s7
	s_delay_alu instid0(SALU_CYCLE_1)
	s_xor_b32 s7, exec_lo, s6
	s_cbranch_execz .LBB254_33
; %bb.32:                               ;   in Loop: Header=BB254_4 Depth=1
	v_ldexp_f64 v[29:30], |v[7:8]|, 0xffffff80
	v_cmp_le_f64_e64 vcc_lo, 0x7b000000, |v[7:8]|
	v_trig_preop_f64 v[31:32], |v[7:8]|, 0
	v_and_b32_e32 v18, 0x7fffffff, v8
	v_trig_preop_f64 v[33:34], |v[7:8]|, 1
	v_trig_preop_f64 v[51:52], |v[7:8]|, 2
	s_mov_b32 s24, s26
	s_mov_b32 s31, s29
	v_dual_cndmask_b32 v29, v7, v29 :: v_dual_cndmask_b32 v30, v18, v30
	s_delay_alu instid0(VALU_DEP_1) | instskip(NEXT) | instid1(VALU_DEP_4)
	v_mul_f64 v[35:36], v[31:32], v[29:30]
	v_mul_f64 v[37:38], v[33:34], v[29:30]
	s_delay_alu instid0(VALU_DEP_2) | instskip(NEXT) | instid1(VALU_DEP_2)
	v_fma_f64 v[31:32], v[31:32], v[29:30], -v[35:36]
	v_fma_f64 v[33:34], v[33:34], v[29:30], -v[37:38]
	s_delay_alu instid0(VALU_DEP_2) | instskip(NEXT) | instid1(VALU_DEP_1)
	v_add_f64 v[47:48], v[37:38], v[31:32]
	v_add_f64 v[49:50], v[47:48], -v[37:38]
	v_add_f64 v[55:56], v[35:36], v[47:48]
	s_delay_alu instid0(VALU_DEP_2) | instskip(SKIP_1) | instid1(VALU_DEP_3)
	v_add_f64 v[53:54], v[47:48], -v[49:50]
	v_add_f64 v[31:32], v[31:32], -v[49:50]
	v_ldexp_f64 v[49:50], v[55:56], -2
	v_add_f64 v[35:36], v[55:56], -v[35:36]
	s_delay_alu instid0(VALU_DEP_4) | instskip(NEXT) | instid1(VALU_DEP_3)
	v_add_f64 v[37:38], v[37:38], -v[53:54]
	v_cmp_neq_f64_e64 vcc_lo, 0x7ff00000, |v[49:50]|
	s_delay_alu instid0(VALU_DEP_3) | instskip(NEXT) | instid1(VALU_DEP_3)
	v_add_f64 v[35:36], v[47:48], -v[35:36]
	v_add_f64 v[31:32], v[31:32], v[37:38]
	v_fract_f64_e32 v[37:38], v[49:50]
	s_delay_alu instid0(VALU_DEP_1) | instskip(SKIP_1) | instid1(VALU_DEP_3)
	v_cndmask_b32_e32 v37, 0, v37, vcc_lo
	v_mul_f64 v[57:58], v[51:52], v[29:30]
	v_cndmask_b32_e32 v38, 0, v38, vcc_lo
	s_delay_alu instid0(VALU_DEP_1) | instskip(NEXT) | instid1(VALU_DEP_3)
	v_ldexp_f64 v[37:38], v[37:38], 2
	v_add_f64 v[53:54], v[57:58], v[33:34]
	v_fma_f64 v[29:30], v[51:52], v[29:30], -v[57:58]
	s_delay_alu instid0(VALU_DEP_2) | instskip(NEXT) | instid1(VALU_DEP_1)
	v_add_f64 v[47:48], v[53:54], v[31:32]
	v_add_f64 v[49:50], v[35:36], v[47:48]
	v_add_f64 v[59:60], v[47:48], -v[53:54]
	s_delay_alu instid0(VALU_DEP_2) | instskip(NEXT) | instid1(VALU_DEP_2)
	v_add_f64 v[55:56], v[49:50], v[37:38]
	v_add_f64 v[65:66], v[47:48], -v[59:60]
	v_add_f64 v[31:32], v[31:32], -v[59:60]
	;; [unrolled: 1-line block ×3, first 2 shown]
	s_delay_alu instid0(VALU_DEP_4) | instskip(SKIP_2) | instid1(VALU_DEP_2)
	v_cmp_gt_f64_e32 vcc_lo, 0, v[55:56]
	v_add_f64 v[55:56], v[53:54], -v[57:58]
	v_cndmask_b32_e64 v18, 0, 0x40100000, vcc_lo
	v_add_f64 v[63:64], v[53:54], -v[55:56]
	v_add_f64 v[33:34], v[33:34], -v[55:56]
	;; [unrolled: 1-line block ×3, first 2 shown]
	s_delay_alu instid0(VALU_DEP_4) | instskip(NEXT) | instid1(VALU_DEP_4)
	v_add_f64 v[37:38], v[37:38], v[17:18]
	v_add_f64 v[55:56], v[57:58], -v[63:64]
	s_delay_alu instid0(VALU_DEP_3) | instskip(NEXT) | instid1(VALU_DEP_3)
	v_add_f64 v[31:32], v[31:32], v[53:54]
	v_add_f64 v[61:62], v[49:50], v[37:38]
	s_delay_alu instid0(VALU_DEP_3) | instskip(NEXT) | instid1(VALU_DEP_2)
	v_add_f64 v[33:34], v[33:34], v[55:56]
	v_cvt_i32_f64_e32 v18, v[61:62]
	s_delay_alu instid0(VALU_DEP_2) | instskip(SKIP_1) | instid1(VALU_DEP_3)
	v_add_f64 v[31:32], v[33:34], v[31:32]
	v_add_f64 v[33:34], v[47:48], -v[35:36]
	v_cvt_f64_i32_e32 v[59:60], v18
	s_delay_alu instid0(VALU_DEP_3) | instskip(NEXT) | instid1(VALU_DEP_2)
	v_add_f64 v[29:30], v[29:30], v[31:32]
	v_add_f64 v[37:38], v[37:38], -v[59:60]
	s_delay_alu instid0(VALU_DEP_2) | instskip(NEXT) | instid1(VALU_DEP_2)
	v_add_f64 v[29:30], v[33:34], v[29:30]
	v_add_f64 v[51:52], v[49:50], v[37:38]
	s_delay_alu instid0(VALU_DEP_1) | instskip(SKIP_1) | instid1(VALU_DEP_2)
	v_add_f64 v[31:32], v[51:52], -v[37:38]
	v_cmp_le_f64_e32 vcc_lo, 0.5, v[51:52]
	v_add_f64 v[31:32], v[49:50], -v[31:32]
	v_add_co_ci_u32_e64 v33, s6, 0, v18, vcc_lo
	v_cndmask_b32_e64 v18, 0, 0x3ff00000, vcc_lo
	s_delay_alu instid0(VALU_DEP_3) | instskip(NEXT) | instid1(VALU_DEP_2)
	v_add_f64 v[29:30], v[29:30], v[31:32]
	v_add_f64 v[31:32], v[51:52], -v[17:18]
	s_delay_alu instid0(VALU_DEP_1) | instskip(NEXT) | instid1(VALU_DEP_1)
	v_add_f64 v[34:35], v[31:32], v[29:30]
	v_mul_f64 v[36:37], v[34:35], s[24:25]
	v_add_f64 v[31:32], v[34:35], -v[31:32]
	s_delay_alu instid0(VALU_DEP_2) | instskip(NEXT) | instid1(VALU_DEP_2)
	v_fma_f64 v[47:48], v[34:35], s[24:25], -v[36:37]
	v_add_f64 v[29:30], v[29:30], -v[31:32]
	s_delay_alu instid0(VALU_DEP_2) | instskip(NEXT) | instid1(VALU_DEP_1)
	v_fma_f64 v[31:32], v[34:35], s[30:31], v[47:48]
	v_fma_f64 v[31:32], v[29:30], s[24:25], v[31:32]
	s_delay_alu instid0(VALU_DEP_1) | instskip(NEXT) | instid1(VALU_DEP_1)
	v_add_f64 v[29:30], v[36:37], v[31:32]
	v_add_f64 v[34:35], v[29:30], -v[36:37]
	s_delay_alu instid0(VALU_DEP_1)
	v_add_f64 v[31:32], v[31:32], -v[34:35]
	s_and_not1_saveexec_b32 s6, s7
	s_cbranch_execnz .LBB254_34
	s_branch .LBB254_35
.LBB254_33:                             ;   in Loop: Header=BB254_4 Depth=1
	s_and_not1_saveexec_b32 s6, s7
	s_cbranch_execz .LBB254_35
.LBB254_34:                             ;   in Loop: Header=BB254_4 Depth=1
	v_mul_f64 v[29:30], |v[7:8]|, s[34:35]
	s_mov_b32 s28, s36
	s_delay_alu instid0(VALU_DEP_1) | instskip(NEXT) | instid1(VALU_DEP_1)
	v_rndne_f64_e32 v[33:34], v[29:30]
	v_fma_f64 v[29:30], v[33:34], s[26:27], |v[7:8]|
	v_mul_f64 v[31:32], v[33:34], s[36:37]
	s_delay_alu instid0(VALU_DEP_2) | instskip(NEXT) | instid1(VALU_DEP_2)
	v_fma_f64 v[37:38], v[33:34], s[36:37], v[29:30]
	v_add_f64 v[35:36], v[29:30], v[31:32]
	s_delay_alu instid0(VALU_DEP_1) | instskip(NEXT) | instid1(VALU_DEP_3)
	v_add_f64 v[29:30], v[29:30], -v[35:36]
	v_add_f64 v[35:36], v[35:36], -v[37:38]
	s_delay_alu instid0(VALU_DEP_2) | instskip(SKIP_1) | instid1(VALU_DEP_2)
	v_add_f64 v[29:30], v[29:30], v[31:32]
	v_fma_f64 v[31:32], v[33:34], s[28:29], v[31:32]
	v_add_f64 v[29:30], v[35:36], v[29:30]
	s_delay_alu instid0(VALU_DEP_1) | instskip(NEXT) | instid1(VALU_DEP_1)
	v_add_f64 v[29:30], v[29:30], -v[31:32]
	v_fma_f64 v[31:32], v[33:34], s[38:39], v[29:30]
	v_cvt_i32_f64_e32 v33, v[33:34]
	s_delay_alu instid0(VALU_DEP_2) | instskip(NEXT) | instid1(VALU_DEP_1)
	v_add_f64 v[29:30], v[37:38], v[31:32]
	v_add_f64 v[35:36], v[29:30], -v[37:38]
	s_delay_alu instid0(VALU_DEP_1)
	v_add_f64 v[31:32], v[31:32], -v[35:36]
.LBB254_35:                             ;   in Loop: Header=BB254_4 Depth=1
	s_or_b32 exec_lo, exec_lo, s6
	v_add_f64 v[5:6], -v[5:6], s[86:87]
	s_delay_alu instid0(VALU_DEP_4) | instskip(SKIP_3) | instid1(VALU_DEP_4)
	v_mul_f64 v[49:50], v[25:26], v[25:26]
	v_mul_f64 v[51:52], v[29:30], v[29:30]
	s_mov_b32 s89, s61
	s_mov_b32 s91, s63
	v_mul_f64 v[69:70], v[27:28], 0.5
	v_mul_f64 v[75:76], v[31:32], 0.5
	s_mov_b32 s92, s62
	v_cmp_class_f64_e64 s6, v[7:8], 0x1f8
	v_mul_f64 v[34:35], v[5:6], s[42:43]
	v_fma_f64 v[53:54], v[49:50], s[80:81], s[78:79]
	v_fma_f64 v[55:56], v[51:52], s[80:81], s[78:79]
	;; [unrolled: 1-line block ×3, first 2 shown]
	v_mul_f64 v[59:60], v[49:50], 0.5
	v_fma_f64 v[61:62], v[51:52], s[70:71], s[68:69]
	v_mul_f64 v[63:64], v[51:52], 0.5
	v_mul_f64 v[71:72], v[25:26], -v[49:50]
	v_mul_f64 v[77:78], v[29:30], -v[51:52]
	v_cmp_nlt_f64_e64 s7, 0x40900000, v[5:6]
	v_cmp_ngt_f64_e64 s8, 0xc090cc00, v[5:6]
	v_rndne_f64_e32 v[34:35], v[34:35]
	v_fma_f64 v[53:54], v[49:50], v[53:54], s[82:83]
	v_fma_f64 v[55:56], v[51:52], v[55:56], s[82:83]
	;; [unrolled: 1-line block ×3, first 2 shown]
	v_add_f64 v[65:66], -v[59:60], 1.0
	v_fma_f64 v[61:62], v[51:52], v[61:62], s[72:73]
	v_add_f64 v[67:68], -v[63:64], 1.0
	v_fma_f64 v[36:37], v[34:35], s[44:45], v[5:6]
	v_fma_f64 v[53:54], v[49:50], v[53:54], s[84:85]
	;; [unrolled: 1-line block ×4, first 2 shown]
	v_add_f64 v[73:74], -v[65:66], 1.0
	v_fma_f64 v[61:62], v[51:52], v[61:62], s[74:75]
	v_add_f64 v[79:80], -v[67:68], 1.0
	v_cvt_i32_f64_e32 v18, v[34:35]
	v_lshlrev_b32_e32 v6, 30, v23
	v_lshlrev_b32_e32 v5, 30, v33
	s_delay_alu instid0(VALU_DEP_2) | instskip(NEXT) | instid1(VALU_DEP_2)
	v_and_b32_e32 v6, 0x80000000, v6
	v_xor_b32_e32 v5, v5, v24
	v_fma_f64 v[36:37], v[34:35], s[46:47], v[36:37]
	v_fma_f64 v[53:54], v[49:50], v[53:54], s[60:61]
	;; [unrolled: 1-line block ×4, first 2 shown]
	v_add_f64 v[59:60], v[73:74], -v[59:60]
	v_fma_f64 v[61:62], v[51:52], v[61:62], s[76:77]
	v_add_f64 v[63:64], v[79:80], -v[63:64]
	v_fma_f64 v[47:48], v[36:37], s[50:51], s[48:49]
	v_fma_f64 v[53:54], v[71:72], v[53:54], v[69:70]
	v_fma_f64 v[55:56], v[77:78], v[55:56], v[75:76]
	v_mul_f64 v[69:70], v[49:50], v[49:50]
	v_fma_f64 v[57:58], v[49:50], v[57:58], s[62:63]
	v_fma_f64 v[59:60], v[25:26], -v[27:28], v[59:60]
	v_fma_f64 v[47:48], v[36:37], v[47:48], s[52:53]
	v_fma_f64 v[27:28], v[49:50], v[53:54], -v[27:28]
	v_mul_f64 v[49:50], v[51:52], v[51:52]
	v_fma_f64 v[53:54], v[51:52], v[61:62], s[62:63]
	v_fma_f64 v[61:62], v[29:30], -v[31:32], v[63:64]
	v_fma_f64 v[31:32], v[51:52], v[55:56], -v[31:32]
	v_fma_f64 v[51:52], v[69:70], v[57:58], v[59:60]
	v_fma_f64 v[47:48], v[36:37], v[47:48], s[54:55]
	;; [unrolled: 1-line block ×3, first 2 shown]
	s_delay_alu instid0(VALU_DEP_4) | instskip(NEXT) | instid1(VALU_DEP_3)
	v_fma_f64 v[31:32], v[77:78], s[92:93], v[31:32]
	v_fma_f64 v[47:48], v[36:37], v[47:48], s[56:57]
	s_delay_alu instid0(VALU_DEP_3) | instskip(NEXT) | instid1(VALU_DEP_3)
	v_add_f64 v[25:26], v[25:26], -v[27:28]
	v_add_f64 v[29:30], v[29:30], -v[31:32]
	s_delay_alu instid0(VALU_DEP_3) | instskip(NEXT) | instid1(VALU_DEP_1)
	v_fma_f64 v[47:48], v[36:37], v[47:48], s[58:59]
	v_fma_f64 v[47:48], v[36:37], v[47:48], s[88:89]
	s_delay_alu instid0(VALU_DEP_1) | instskip(NEXT) | instid1(VALU_DEP_1)
	v_fma_f64 v[47:48], v[36:37], v[47:48], s[90:91]
	v_fma_f64 v[47:48], v[36:37], v[47:48], s[64:65]
	s_delay_alu instid0(VALU_DEP_1) | instskip(NEXT) | instid1(VALU_DEP_1)
	v_fma_f64 v[47:48], v[36:37], v[47:48], s[66:67]
	v_fma_f64 v[47:48], v[36:37], v[47:48], 1.0
	s_delay_alu instid0(VALU_DEP_1) | instskip(SKIP_2) | instid1(VALU_DEP_3)
	v_fma_f64 v[34:35], v[36:37], v[47:48], 1.0
	v_fma_f64 v[36:37], v[49:50], v[53:54], v[61:62]
	v_add_f64 v[47:48], v[65:66], v[51:52]
	v_ldexp_f64 v[27:28], v[34:35], v18
	s_delay_alu instid0(VALU_DEP_3) | instskip(SKIP_3) | instid1(VALU_DEP_3)
	v_add_f64 v[34:35], v[67:68], v[36:37]
	v_and_b32_e32 v18, 1, v23
	v_and_b32_e32 v8, 1, v33
	v_xor_b32_e32 v23, 0x80000000, v26
	v_cmp_eq_u32_e32 vcc_lo, 0, v18
	s_delay_alu instid0(VALU_DEP_3) | instskip(SKIP_1) | instid1(VALU_DEP_4)
	v_cmp_eq_u32_e64 s9, 0, v8
	v_cndmask_b32_e32 v18, v25, v47, vcc_lo
	v_dual_cndmask_b32 v8, v23, v48 :: v_dual_and_b32 v23, 0x80000000, v5
	s_and_b32 vcc_lo, s8, s7
	s_delay_alu instid0(VALU_DEP_2) | instskip(NEXT) | instid1(VALU_DEP_2)
	v_cndmask_b32_e64 v5, 0, v18, s6
	v_xor_b32_e32 v6, v8, v6
	s_delay_alu instid0(VALU_DEP_1) | instskip(SKIP_3) | instid1(VALU_DEP_3)
	v_cndmask_b32_e64 v6, 0x7ff80000, v6, s6
	v_cndmask_b32_e64 v7, 0x7ff00000, v28, s7
	;; [unrolled: 1-line block ×5, first 2 shown]
	s_delay_alu instid0(VALU_DEP_3) | instskip(NEXT) | instid1(VALU_DEP_3)
	v_xor_b32_e32 v8, v25, v23
	v_cndmask_b32_e64 v7, 0, v24, s6
	v_cndmask_b32_e32 v23, 0, v27, vcc_lo
	s_delay_alu instid0(VALU_DEP_4) | instskip(NEXT) | instid1(VALU_DEP_4)
	v_and_or_b32 v24, v26, s97, 0x7fe00000
	v_cndmask_b32_e64 v8, 0x7ff80000, v8, s6
	v_lshrrev_b32_e32 v18, 20, v26
	s_delay_alu instid0(VALU_DEP_3) | instskip(NEXT) | instid1(VALU_DEP_3)
	v_mul_f64 v[5:6], v[23:24], v[5:6]
	v_mul_f64 v[7:8], v[23:24], v[7:8]
	s_delay_alu instid0(VALU_DEP_3) | instskip(NEXT) | instid1(VALU_DEP_1)
	v_add_nc_u32_e32 v23, 0xffffff09, v18
	v_lshrrev_b16 v18, 15, v23
	s_delay_alu instid0(VALU_DEP_1) | instskip(NEXT) | instid1(VALU_DEP_1)
	v_add_nc_u16 v18, v23, v18
	v_ashrrev_i16 v18, 1, v18
	s_delay_alu instid0(VALU_DEP_1) | instskip(NEXT) | instid1(VALU_DEP_1)
	v_bfe_i32 v24, v18, 0, 16
	v_lshl_add_u32 v18, v24, 20, 0x3ff00000
	s_delay_alu instid0(VALU_DEP_1) | instskip(SKIP_3) | instid1(VALU_DEP_2)
	v_mul_f64 v[5:6], v[5:6], v[17:18]
	v_mul_f64 v[7:8], v[7:8], v[17:18]
	v_sub_nc_u32_e32 v18, v23, v24
	v_mov_b32_e32 v23, v17
	v_lshl_add_u32 v24, v18, 20, 0x3ff00000
	s_delay_alu instid0(VALU_DEP_1)
	v_mul_f64 v[25:26], v[5:6], v[23:24]
	v_mul_f64 v[23:24], v[7:8], v[23:24]
	s_or_b32 exec_lo, exec_lo, s40
                                        ; implicit-def: $vgpr27_vgpr28
                                        ; implicit-def: $vgpr5_vgpr6
                                        ; implicit-def: $vgpr18
.LBB254_36:                             ;   in Loop: Header=BB254_4 Depth=1
	s_and_not1_saveexec_b32 s7, s100
	s_cbranch_execz .LBB254_42
.LBB254_37:                             ;   in Loop: Header=BB254_4 Depth=1
	v_add_f64 v[23:24], v[7:8], -v[7:8]
	v_cmp_ne_u32_e32 vcc_lo, 0, v27
	v_cmp_ne_u32_e64 s6, 0x7ff00000, v18
	s_delay_alu instid0(VALU_DEP_1) | instskip(NEXT) | instid1(SALU_CYCLE_1)
	s_or_b32 s6, vcc_lo, s6
	s_and_saveexec_b32 s8, s6
	s_delay_alu instid0(SALU_CYCLE_1)
	s_xor_b32 s6, exec_lo, s8
; %bb.38:                               ;   in Loop: Header=BB254_4 Depth=1
                                        ; implicit-def: $vgpr27_vgpr28
                                        ; implicit-def: $vgpr5_vgpr6
; %bb.39:                               ;   in Loop: Header=BB254_4 Depth=1
	s_delay_alu instid0(SALU_CYCLE_1) | instskip(NEXT) | instid1(VALU_DEP_3)
	s_or_saveexec_b32 s6, s6
	v_dual_mov_b32 v26, v24 :: v_dual_mov_b32 v25, v23
	s_xor_b32 exec_lo, exec_lo, s6
; %bb.40:                               ;   in Loop: Header=BB254_4 Depth=1
	v_cmp_lt_i64_e32 vcc_lo, -1, v[27:28]
	v_dual_cndmask_b32 v26, 0, v28 :: v_dual_cndmask_b32 v25, 0, v5
	v_dual_cndmask_b32 v24, 0, v24 :: v_dual_cndmask_b32 v23, 0, v23
; %bb.41:                               ;   in Loop: Header=BB254_4 Depth=1
	s_or_b32 exec_lo, exec_lo, s6
.LBB254_42:                             ;   in Loop: Header=BB254_4 Depth=1
	s_delay_alu instid0(SALU_CYCLE_1)
	s_or_b32 exec_lo, exec_lo, s7
                                        ; implicit-def: $vgpr7_vgpr8
.LBB254_43:                             ;   in Loop: Header=BB254_4 Depth=1
	s_and_not1_saveexec_b32 s8, s99
	s_cbranch_execz .LBB254_53
; %bb.44:                               ;   in Loop: Header=BB254_4 Depth=1
	v_cmp_ngt_f64_e64 s7, 0x41d00000, |v[7:8]|
	v_trig_preop_f64 v[31:32], |v[7:8]|, 0
	v_trig_preop_f64 v[29:30], |v[7:8]|, 1
	v_ldexp_f64 v[33:34], |v[7:8]|, 0xffffff80
	v_trig_preop_f64 v[27:28], |v[7:8]|, 2
	v_and_b32_e32 v47, 0x7fffffff, v8
                                        ; implicit-def: $vgpr23
                                        ; implicit-def: $vgpr5_vgpr6
                                        ; implicit-def: $vgpr25_vgpr26
	s_and_saveexec_b32 s6, s7
	s_delay_alu instid0(SALU_CYCLE_1)
	s_xor_b32 s9, exec_lo, s6
	s_cbranch_execz .LBB254_46
; %bb.45:                               ;   in Loop: Header=BB254_4 Depth=1
	v_cmp_le_f64_e64 vcc_lo, 0x7b000000, |v[7:8]|
	s_mov_b32 s24, s26
	s_mov_b32 s31, s29
	s_delay_alu instid0(VALU_DEP_4) | instskip(SKIP_1) | instid1(VALU_DEP_1)
	v_cndmask_b32_e32 v6, v47, v34, vcc_lo
	v_cndmask_b32_e32 v5, v7, v33, vcc_lo
	v_mul_f64 v[25:26], v[31:32], v[5:6]
	v_mul_f64 v[35:36], v[29:30], v[5:6]
	s_delay_alu instid0(VALU_DEP_2) | instskip(NEXT) | instid1(VALU_DEP_2)
	v_fma_f64 v[37:38], v[31:32], v[5:6], -v[25:26]
	v_fma_f64 v[58:59], v[29:30], v[5:6], -v[35:36]
	s_delay_alu instid0(VALU_DEP_2) | instskip(NEXT) | instid1(VALU_DEP_1)
	v_add_f64 v[48:49], v[35:36], v[37:38]
	v_add_f64 v[50:51], v[48:49], -v[35:36]
	v_add_f64 v[54:55], v[25:26], v[48:49]
	s_delay_alu instid0(VALU_DEP_2) | instskip(SKIP_1) | instid1(VALU_DEP_3)
	v_add_f64 v[52:53], v[48:49], -v[50:51]
	v_add_f64 v[37:38], v[37:38], -v[50:51]
	v_ldexp_f64 v[50:51], v[54:55], -2
	v_add_f64 v[25:26], v[54:55], -v[25:26]
	s_delay_alu instid0(VALU_DEP_4) | instskip(NEXT) | instid1(VALU_DEP_3)
	v_add_f64 v[35:36], v[35:36], -v[52:53]
	v_cmp_neq_f64_e64 vcc_lo, 0x7ff00000, |v[50:51]|
	s_delay_alu instid0(VALU_DEP_3) | instskip(NEXT) | instid1(VALU_DEP_3)
	v_add_f64 v[25:26], v[48:49], -v[25:26]
	v_add_f64 v[35:36], v[37:38], v[35:36]
	v_fract_f64_e32 v[37:38], v[50:51]
	s_delay_alu instid0(VALU_DEP_1) | instskip(SKIP_1) | instid1(VALU_DEP_2)
	v_dual_cndmask_b32 v38, 0, v38 :: v_dual_cndmask_b32 v37, 0, v37
	v_mul_f64 v[56:57], v[27:28], v[5:6]
	v_ldexp_f64 v[37:38], v[37:38], 2
	s_delay_alu instid0(VALU_DEP_2) | instskip(SKIP_1) | instid1(VALU_DEP_2)
	v_add_f64 v[52:53], v[56:57], v[58:59]
	v_fma_f64 v[5:6], v[27:28], v[5:6], -v[56:57]
	v_add_f64 v[48:49], v[52:53], v[35:36]
	s_delay_alu instid0(VALU_DEP_1) | instskip(SKIP_1) | instid1(VALU_DEP_2)
	v_add_f64 v[50:51], v[25:26], v[48:49]
	v_add_f64 v[60:61], v[48:49], -v[52:53]
	v_add_f64 v[54:55], v[50:51], v[37:38]
	s_delay_alu instid0(VALU_DEP_2) | instskip(SKIP_2) | instid1(VALU_DEP_4)
	v_add_f64 v[66:67], v[48:49], -v[60:61]
	v_add_f64 v[35:36], v[35:36], -v[60:61]
	;; [unrolled: 1-line block ×3, first 2 shown]
	v_cmp_gt_f64_e32 vcc_lo, 0, v[54:55]
	v_add_f64 v[54:55], v[52:53], -v[56:57]
	s_delay_alu instid0(VALU_DEP_3) | instskip(SKIP_1) | instid1(VALU_DEP_3)
	v_add_f64 v[25:26], v[48:49], -v[25:26]
	v_cndmask_b32_e64 v18, 0, 0x40100000, vcc_lo
	v_add_f64 v[64:65], v[52:53], -v[54:55]
	v_add_f64 v[54:55], v[58:59], -v[54:55]
	;; [unrolled: 1-line block ×3, first 2 shown]
	s_delay_alu instid0(VALU_DEP_4) | instskip(NEXT) | instid1(VALU_DEP_4)
	v_add_f64 v[37:38], v[37:38], v[17:18]
	v_add_f64 v[58:59], v[56:57], -v[64:65]
	s_delay_alu instid0(VALU_DEP_3) | instskip(NEXT) | instid1(VALU_DEP_3)
	v_add_f64 v[35:36], v[35:36], v[52:53]
	v_add_f64 v[62:63], v[50:51], v[37:38]
	s_delay_alu instid0(VALU_DEP_3) | instskip(NEXT) | instid1(VALU_DEP_2)
	v_add_f64 v[54:55], v[54:55], v[58:59]
	v_cvt_i32_f64_e32 v18, v[62:63]
	s_delay_alu instid0(VALU_DEP_2) | instskip(NEXT) | instid1(VALU_DEP_2)
	v_add_f64 v[35:36], v[54:55], v[35:36]
	v_cvt_f64_i32_e32 v[60:61], v18
	s_delay_alu instid0(VALU_DEP_2) | instskip(NEXT) | instid1(VALU_DEP_2)
	v_add_f64 v[5:6], v[5:6], v[35:36]
	v_add_f64 v[37:38], v[37:38], -v[60:61]
	s_delay_alu instid0(VALU_DEP_2) | instskip(NEXT) | instid1(VALU_DEP_2)
	v_add_f64 v[5:6], v[25:26], v[5:6]
	v_add_f64 v[52:53], v[50:51], v[37:38]
	s_delay_alu instid0(VALU_DEP_1) | instskip(SKIP_1) | instid1(VALU_DEP_2)
	v_add_f64 v[35:36], v[52:53], -v[37:38]
	v_cmp_le_f64_e32 vcc_lo, 0.5, v[52:53]
	v_add_f64 v[25:26], v[50:51], -v[35:36]
	v_add_co_ci_u32_e64 v23, s6, 0, v18, vcc_lo
	v_cndmask_b32_e64 v18, 0, 0x3ff00000, vcc_lo
	s_delay_alu instid0(VALU_DEP_3) | instskip(NEXT) | instid1(VALU_DEP_2)
	v_add_f64 v[5:6], v[5:6], v[25:26]
	v_add_f64 v[25:26], v[52:53], -v[17:18]
	s_delay_alu instid0(VALU_DEP_1) | instskip(NEXT) | instid1(VALU_DEP_1)
	v_add_f64 v[35:36], v[25:26], v[5:6]
	v_mul_f64 v[37:38], v[35:36], s[24:25]
	v_add_f64 v[25:26], v[35:36], -v[25:26]
	s_delay_alu instid0(VALU_DEP_2) | instskip(NEXT) | instid1(VALU_DEP_2)
	v_fma_f64 v[48:49], v[35:36], s[24:25], -v[37:38]
	v_add_f64 v[5:6], v[5:6], -v[25:26]
	s_delay_alu instid0(VALU_DEP_2) | instskip(NEXT) | instid1(VALU_DEP_1)
	v_fma_f64 v[25:26], v[35:36], s[30:31], v[48:49]
	v_fma_f64 v[25:26], v[5:6], s[24:25], v[25:26]
	s_delay_alu instid0(VALU_DEP_1) | instskip(NEXT) | instid1(VALU_DEP_1)
	v_add_f64 v[5:6], v[37:38], v[25:26]
	v_add_f64 v[35:36], v[5:6], -v[37:38]
	s_delay_alu instid0(VALU_DEP_1)
	v_add_f64 v[25:26], v[25:26], -v[35:36]
	s_and_not1_saveexec_b32 s6, s9
	s_cbranch_execz .LBB254_48
	s_branch .LBB254_47
.LBB254_46:                             ;   in Loop: Header=BB254_4 Depth=1
	s_and_not1_saveexec_b32 s6, s9
	s_cbranch_execz .LBB254_48
.LBB254_47:                             ;   in Loop: Header=BB254_4 Depth=1
	v_mul_f64 v[5:6], |v[7:8]|, s[34:35]
	s_mov_b32 s28, s36
	s_delay_alu instid0(VALU_DEP_1) | instskip(NEXT) | instid1(VALU_DEP_1)
	v_rndne_f64_e32 v[35:36], v[5:6]
	v_fma_f64 v[5:6], v[35:36], s[26:27], |v[7:8]|
	v_mul_f64 v[25:26], v[35:36], s[36:37]
	v_cvt_i32_f64_e32 v23, v[35:36]
	s_delay_alu instid0(VALU_DEP_3) | instskip(NEXT) | instid1(VALU_DEP_3)
	v_fma_f64 v[48:49], v[35:36], s[36:37], v[5:6]
	v_add_f64 v[37:38], v[5:6], v[25:26]
	s_delay_alu instid0(VALU_DEP_1) | instskip(NEXT) | instid1(VALU_DEP_3)
	v_add_f64 v[5:6], v[5:6], -v[37:38]
	v_add_f64 v[37:38], v[37:38], -v[48:49]
	s_delay_alu instid0(VALU_DEP_2) | instskip(SKIP_1) | instid1(VALU_DEP_2)
	v_add_f64 v[5:6], v[5:6], v[25:26]
	v_fma_f64 v[25:26], v[35:36], s[28:29], v[25:26]
	v_add_f64 v[5:6], v[37:38], v[5:6]
	s_delay_alu instid0(VALU_DEP_1) | instskip(NEXT) | instid1(VALU_DEP_1)
	v_add_f64 v[5:6], v[5:6], -v[25:26]
	v_fma_f64 v[25:26], v[35:36], s[38:39], v[5:6]
	s_delay_alu instid0(VALU_DEP_1) | instskip(NEXT) | instid1(VALU_DEP_1)
	v_add_f64 v[5:6], v[48:49], v[25:26]
	v_add_f64 v[37:38], v[5:6], -v[48:49]
	s_delay_alu instid0(VALU_DEP_1)
	v_add_f64 v[25:26], v[25:26], -v[37:38]
.LBB254_48:                             ;   in Loop: Header=BB254_4 Depth=1
	s_or_b32 exec_lo, exec_lo, s6
                                        ; implicit-def: $vgpr48
                                        ; implicit-def: $vgpr35_vgpr36
                                        ; implicit-def: $vgpr37_vgpr38
	s_and_saveexec_b32 s6, s7
	s_delay_alu instid0(SALU_CYCLE_1)
	s_xor_b32 s7, exec_lo, s6
	s_cbranch_execz .LBB254_50
; %bb.49:                               ;   in Loop: Header=BB254_4 Depth=1
	v_cmp_le_f64_e64 vcc_lo, 0x7b000000, |v[7:8]|
	s_mov_b32 s24, s26
	s_mov_b32 s31, s29
	s_delay_alu instid0(VALU_DEP_4) | instskip(SKIP_1) | instid1(VALU_DEP_1)
	v_cndmask_b32_e32 v34, v47, v34, vcc_lo
	v_cndmask_b32_e32 v33, v7, v33, vcc_lo
	v_mul_f64 v[35:36], v[31:32], v[33:34]
	v_mul_f64 v[37:38], v[29:30], v[33:34]
	s_delay_alu instid0(VALU_DEP_2) | instskip(NEXT) | instid1(VALU_DEP_2)
	v_fma_f64 v[31:32], v[31:32], v[33:34], -v[35:36]
	v_fma_f64 v[29:30], v[29:30], v[33:34], -v[37:38]
	s_delay_alu instid0(VALU_DEP_2) | instskip(NEXT) | instid1(VALU_DEP_1)
	v_add_f64 v[47:48], v[37:38], v[31:32]
	v_add_f64 v[49:50], v[47:48], -v[37:38]
	v_add_f64 v[53:54], v[35:36], v[47:48]
	s_delay_alu instid0(VALU_DEP_2) | instskip(SKIP_1) | instid1(VALU_DEP_3)
	v_add_f64 v[51:52], v[47:48], -v[49:50]
	v_add_f64 v[31:32], v[31:32], -v[49:50]
	v_ldexp_f64 v[49:50], v[53:54], -2
	v_add_f64 v[35:36], v[53:54], -v[35:36]
	s_delay_alu instid0(VALU_DEP_4) | instskip(NEXT) | instid1(VALU_DEP_3)
	v_add_f64 v[37:38], v[37:38], -v[51:52]
	v_cmp_neq_f64_e64 vcc_lo, 0x7ff00000, |v[49:50]|
	s_delay_alu instid0(VALU_DEP_3) | instskip(NEXT) | instid1(VALU_DEP_3)
	v_add_f64 v[35:36], v[47:48], -v[35:36]
	v_add_f64 v[31:32], v[31:32], v[37:38]
	v_fract_f64_e32 v[37:38], v[49:50]
	s_delay_alu instid0(VALU_DEP_1) | instskip(SKIP_1) | instid1(VALU_DEP_2)
	v_dual_cndmask_b32 v38, 0, v38 :: v_dual_cndmask_b32 v37, 0, v37
	v_mul_f64 v[55:56], v[27:28], v[33:34]
	v_ldexp_f64 v[37:38], v[37:38], 2
	s_delay_alu instid0(VALU_DEP_2) | instskip(SKIP_1) | instid1(VALU_DEP_2)
	v_add_f64 v[51:52], v[55:56], v[29:30]
	v_fma_f64 v[27:28], v[27:28], v[33:34], -v[55:56]
	v_add_f64 v[47:48], v[51:52], v[31:32]
	s_delay_alu instid0(VALU_DEP_1) | instskip(SKIP_1) | instid1(VALU_DEP_2)
	v_add_f64 v[49:50], v[35:36], v[47:48]
	v_add_f64 v[57:58], v[47:48], -v[51:52]
	v_add_f64 v[53:54], v[49:50], v[37:38]
	s_delay_alu instid0(VALU_DEP_2) | instskip(SKIP_2) | instid1(VALU_DEP_4)
	v_add_f64 v[63:64], v[47:48], -v[57:58]
	v_add_f64 v[31:32], v[31:32], -v[57:58]
	;; [unrolled: 1-line block ×3, first 2 shown]
	v_cmp_gt_f64_e32 vcc_lo, 0, v[53:54]
	v_add_f64 v[53:54], v[51:52], -v[55:56]
	s_delay_alu instid0(VALU_DEP_3) | instskip(SKIP_1) | instid1(VALU_DEP_3)
	v_add_f64 v[33:34], v[47:48], -v[33:34]
	v_cndmask_b32_e64 v18, 0, 0x40100000, vcc_lo
	v_add_f64 v[61:62], v[51:52], -v[53:54]
	v_add_f64 v[29:30], v[29:30], -v[53:54]
	;; [unrolled: 1-line block ×3, first 2 shown]
	s_delay_alu instid0(VALU_DEP_4) | instskip(NEXT) | instid1(VALU_DEP_4)
	v_add_f64 v[37:38], v[37:38], v[17:18]
	v_add_f64 v[53:54], v[55:56], -v[61:62]
	s_delay_alu instid0(VALU_DEP_3) | instskip(NEXT) | instid1(VALU_DEP_3)
	v_add_f64 v[31:32], v[31:32], v[51:52]
	v_add_f64 v[59:60], v[49:50], v[37:38]
	s_delay_alu instid0(VALU_DEP_3) | instskip(NEXT) | instid1(VALU_DEP_2)
	v_add_f64 v[29:30], v[29:30], v[53:54]
	v_cvt_i32_f64_e32 v18, v[59:60]
	s_delay_alu instid0(VALU_DEP_2) | instskip(NEXT) | instid1(VALU_DEP_2)
	v_add_f64 v[29:30], v[29:30], v[31:32]
	v_cvt_f64_i32_e32 v[57:58], v18
	s_delay_alu instid0(VALU_DEP_2) | instskip(NEXT) | instid1(VALU_DEP_2)
	v_add_f64 v[27:28], v[27:28], v[29:30]
	v_add_f64 v[37:38], v[37:38], -v[57:58]
	s_delay_alu instid0(VALU_DEP_2) | instskip(NEXT) | instid1(VALU_DEP_2)
	v_add_f64 v[27:28], v[33:34], v[27:28]
	v_add_f64 v[31:32], v[49:50], v[37:38]
	s_delay_alu instid0(VALU_DEP_1) | instskip(SKIP_1) | instid1(VALU_DEP_2)
	v_add_f64 v[29:30], v[31:32], -v[37:38]
	v_cmp_le_f64_e32 vcc_lo, 0.5, v[31:32]
	v_add_f64 v[29:30], v[49:50], -v[29:30]
	v_add_co_ci_u32_e64 v48, s6, 0, v18, vcc_lo
	v_cndmask_b32_e64 v18, 0, 0x3ff00000, vcc_lo
	s_delay_alu instid0(VALU_DEP_3) | instskip(NEXT) | instid1(VALU_DEP_2)
	v_add_f64 v[27:28], v[27:28], v[29:30]
	v_add_f64 v[29:30], v[31:32], -v[17:18]
	s_delay_alu instid0(VALU_DEP_1) | instskip(NEXT) | instid1(VALU_DEP_1)
	v_add_f64 v[31:32], v[29:30], v[27:28]
	v_mul_f64 v[33:34], v[31:32], s[24:25]
	v_add_f64 v[29:30], v[31:32], -v[29:30]
	s_delay_alu instid0(VALU_DEP_2) | instskip(NEXT) | instid1(VALU_DEP_2)
	v_fma_f64 v[35:36], v[31:32], s[24:25], -v[33:34]
	v_add_f64 v[27:28], v[27:28], -v[29:30]
	s_delay_alu instid0(VALU_DEP_2) | instskip(NEXT) | instid1(VALU_DEP_1)
	v_fma_f64 v[29:30], v[31:32], s[30:31], v[35:36]
	v_fma_f64 v[27:28], v[27:28], s[24:25], v[29:30]
	s_delay_alu instid0(VALU_DEP_1) | instskip(NEXT) | instid1(VALU_DEP_1)
	v_add_f64 v[35:36], v[33:34], v[27:28]
	v_add_f64 v[29:30], v[35:36], -v[33:34]
	s_delay_alu instid0(VALU_DEP_1)
	v_add_f64 v[37:38], v[27:28], -v[29:30]
	s_and_not1_saveexec_b32 s6, s7
	s_cbranch_execnz .LBB254_51
	s_branch .LBB254_52
.LBB254_50:                             ;   in Loop: Header=BB254_4 Depth=1
	s_and_not1_saveexec_b32 s6, s7
	s_cbranch_execz .LBB254_52
.LBB254_51:                             ;   in Loop: Header=BB254_4 Depth=1
	v_mul_f64 v[27:28], |v[7:8]|, s[34:35]
	s_mov_b32 s28, s36
	s_delay_alu instid0(VALU_DEP_1) | instskip(NEXT) | instid1(VALU_DEP_1)
	v_rndne_f64_e32 v[27:28], v[27:28]
	v_fma_f64 v[29:30], v[27:28], s[26:27], |v[7:8]|
	v_mul_f64 v[31:32], v[27:28], s[36:37]
	v_cvt_i32_f64_e32 v48, v[27:28]
	s_delay_alu instid0(VALU_DEP_3) | instskip(NEXT) | instid1(VALU_DEP_3)
	v_fma_f64 v[37:38], v[27:28], s[36:37], v[29:30]
	v_add_f64 v[33:34], v[29:30], v[31:32]
	s_delay_alu instid0(VALU_DEP_1) | instskip(NEXT) | instid1(VALU_DEP_3)
	v_add_f64 v[29:30], v[29:30], -v[33:34]
	v_add_f64 v[33:34], v[33:34], -v[37:38]
	s_delay_alu instid0(VALU_DEP_2) | instskip(SKIP_1) | instid1(VALU_DEP_2)
	v_add_f64 v[29:30], v[29:30], v[31:32]
	v_fma_f64 v[31:32], v[27:28], s[28:29], v[31:32]
	v_add_f64 v[29:30], v[33:34], v[29:30]
	s_delay_alu instid0(VALU_DEP_1) | instskip(NEXT) | instid1(VALU_DEP_1)
	v_add_f64 v[29:30], v[29:30], -v[31:32]
	v_fma_f64 v[29:30], v[27:28], s[38:39], v[29:30]
	s_delay_alu instid0(VALU_DEP_1) | instskip(NEXT) | instid1(VALU_DEP_1)
	v_add_f64 v[35:36], v[37:38], v[29:30]
	v_add_f64 v[31:32], v[35:36], -v[37:38]
	s_delay_alu instid0(VALU_DEP_1)
	v_add_f64 v[37:38], v[29:30], -v[31:32]
.LBB254_52:                             ;   in Loop: Header=BB254_4 Depth=1
	s_or_b32 exec_lo, exec_lo, s6
	v_mul_f64 v[27:28], v[5:6], v[5:6]
	v_mul_f64 v[29:30], v[35:36], v[35:36]
	s_delay_alu instid0(VALU_DEP_3) | instskip(NEXT) | instid1(VALU_DEP_4)
	v_mul_f64 v[61:62], v[25:26], 0.5
	v_mul_f64 v[67:68], v[37:38], 0.5
	s_mov_b32 s92, s62
	v_cmp_class_f64_e64 s6, v[7:8], 0x1f8
	v_and_b32_e32 v18, 1, v23
	v_lshlrev_b32_e32 v7, 30, v48
	v_and_b32_e32 v8, 1, v48
	s_delay_alu instid0(VALU_DEP_3) | instskip(SKIP_1) | instid1(VALU_DEP_4)
	v_cmp_eq_u32_e32 vcc_lo, 0, v18
	v_lshlrev_b32_e32 v18, 30, v23
	v_xor_b32_e32 v7, v7, v24
	s_delay_alu instid0(VALU_DEP_4) | instskip(NEXT) | instid1(VALU_DEP_3)
	v_cmp_eq_u32_e64 s7, 0, v8
	v_and_b32_e32 v8, 0x80000000, v18
	v_fma_f64 v[31:32], v[27:28], s[80:81], s[78:79]
	v_fma_f64 v[33:34], v[29:30], s[80:81], s[78:79]
	;; [unrolled: 1-line block ×3, first 2 shown]
	v_mul_f64 v[51:52], v[27:28], 0.5
	v_fma_f64 v[53:54], v[29:30], s[70:71], s[68:69]
	v_mul_f64 v[55:56], v[29:30], 0.5
	v_mul_f64 v[63:64], v[5:6], -v[27:28]
	v_mul_f64 v[69:70], v[35:36], -v[29:30]
	v_fma_f64 v[31:32], v[27:28], v[31:32], s[82:83]
	v_fma_f64 v[33:34], v[29:30], v[33:34], s[82:83]
	;; [unrolled: 1-line block ×3, first 2 shown]
	v_add_f64 v[57:58], -v[51:52], 1.0
	v_fma_f64 v[53:54], v[29:30], v[53:54], s[72:73]
	v_add_f64 v[59:60], -v[55:56], 1.0
	v_fma_f64 v[31:32], v[27:28], v[31:32], s[84:85]
	v_fma_f64 v[33:34], v[29:30], v[33:34], s[84:85]
	;; [unrolled: 1-line block ×3, first 2 shown]
	v_add_f64 v[65:66], -v[57:58], 1.0
	v_fma_f64 v[53:54], v[29:30], v[53:54], s[74:75]
	v_add_f64 v[71:72], -v[59:60], 1.0
	v_fma_f64 v[31:32], v[27:28], v[31:32], s[60:61]
	v_fma_f64 v[33:34], v[29:30], v[33:34], s[60:61]
	;; [unrolled: 1-line block ×3, first 2 shown]
	v_add_f64 v[51:52], v[65:66], -v[51:52]
	v_fma_f64 v[53:54], v[29:30], v[53:54], s[76:77]
	v_add_f64 v[55:56], v[71:72], -v[55:56]
	v_fma_f64 v[31:32], v[63:64], v[31:32], v[61:62]
	v_fma_f64 v[33:34], v[69:70], v[33:34], v[67:68]
	v_mul_f64 v[61:62], v[27:28], v[27:28]
	v_fma_f64 v[49:50], v[27:28], v[49:50], s[62:63]
	v_fma_f64 v[51:52], v[5:6], -v[25:26], v[51:52]
	v_fma_f64 v[25:26], v[27:28], v[31:32], -v[25:26]
	v_mul_f64 v[27:28], v[29:30], v[29:30]
	v_fma_f64 v[31:32], v[29:30], v[53:54], s[62:63]
	v_fma_f64 v[53:54], v[35:36], -v[37:38], v[55:56]
	v_fma_f64 v[29:30], v[29:30], v[33:34], -v[37:38]
	v_fma_f64 v[33:34], v[61:62], v[49:50], v[51:52]
	v_fma_f64 v[25:26], v[63:64], s[92:93], v[25:26]
	s_delay_alu instid0(VALU_DEP_4) | instskip(NEXT) | instid1(VALU_DEP_4)
	v_fma_f64 v[27:28], v[27:28], v[31:32], v[53:54]
	v_fma_f64 v[29:30], v[69:70], s[92:93], v[29:30]
	s_delay_alu instid0(VALU_DEP_4) | instskip(NEXT) | instid1(VALU_DEP_4)
	v_add_f64 v[31:32], v[57:58], v[33:34]
	v_add_f64 v[5:6], v[5:6], -v[25:26]
	s_delay_alu instid0(VALU_DEP_4) | instskip(NEXT) | instid1(VALU_DEP_4)
	v_add_f64 v[25:26], v[59:60], v[27:28]
	v_add_f64 v[27:28], v[35:36], -v[29:30]
	s_delay_alu instid0(VALU_DEP_3) | instskip(NEXT) | instid1(VALU_DEP_4)
	v_cndmask_b32_e32 v5, v5, v31, vcc_lo
	v_xor_b32_e32 v6, 0x80000000, v6
	v_and_b32_e32 v7, 0x80000000, v7
	s_delay_alu instid0(VALU_DEP_4) | instskip(SKIP_1) | instid1(VALU_DEP_4)
	v_cndmask_b32_e64 v23, v26, v28, s7
	v_cndmask_b32_e64 v18, v25, v27, s7
	v_cndmask_b32_e32 v6, v6, v32, vcc_lo
	v_cndmask_b32_e64 v25, 0, v5, s6
	s_delay_alu instid0(VALU_DEP_4) | instskip(NEXT) | instid1(VALU_DEP_4)
	v_xor_b32_e32 v7, v23, v7
	v_cndmask_b32_e64 v23, 0, v18, s6
	s_delay_alu instid0(VALU_DEP_4) | instskip(NEXT) | instid1(VALU_DEP_3)
	v_xor_b32_e32 v6, v6, v8
	v_cndmask_b32_e64 v24, 0x7ff80000, v7, s6
	s_delay_alu instid0(VALU_DEP_2)
	v_cndmask_b32_e64 v26, 0x7ff80000, v6, s6
.LBB254_53:                             ;   in Loop: Header=BB254_4 Depth=1
	s_or_b32 exec_lo, exec_lo, s8
                                        ; implicit-def: $vgpr5_vgpr6
.LBB254_54:                             ;   in Loop: Header=BB254_4 Depth=1
	s_and_not1_saveexec_b32 s7, s98
	s_cbranch_execz .LBB254_56
; %bb.55:                               ;   in Loop: Header=BB254_4 Depth=1
	s_mov_b32 s40, s42
	s_mov_b32 s89, s61
	v_mul_f64 v[7:8], v[5:6], s[40:41]
	s_mov_b32 s91, s63
	v_cmp_ngt_f64_e32 vcc_lo, 0xc0900000, v[5:6]
	v_cmp_nlt_f64_e64 s6, 0x4090cc00, v[5:6]
	s_delay_alu instid0(VALU_DEP_3) | instskip(NEXT) | instid1(VALU_DEP_1)
	v_rndne_f64_e32 v[7:8], v[7:8]
	v_fma_f64 v[25:26], v[7:8], s[44:45], -v[5:6]
	v_cvt_i32_f64_e32 v18, v[7:8]
	s_delay_alu instid0(VALU_DEP_2) | instskip(NEXT) | instid1(VALU_DEP_1)
	v_fma_f64 v[25:26], v[7:8], s[46:47], v[25:26]
	v_fma_f64 v[27:28], v[25:26], s[50:51], s[48:49]
	s_delay_alu instid0(VALU_DEP_1) | instskip(NEXT) | instid1(VALU_DEP_1)
	v_fma_f64 v[27:28], v[25:26], v[27:28], s[52:53]
	v_fma_f64 v[27:28], v[25:26], v[27:28], s[54:55]
	s_delay_alu instid0(VALU_DEP_1) | instskip(NEXT) | instid1(VALU_DEP_1)
	;; [unrolled: 3-line block ×5, first 2 shown]
	v_fma_f64 v[27:28], v[25:26], v[27:28], 1.0
	v_fma_f64 v[7:8], v[25:26], v[27:28], 1.0
	s_delay_alu instid0(VALU_DEP_1) | instskip(NEXT) | instid1(VALU_DEP_1)
	v_ldexp_f64 v[7:8], v[7:8], v18
	v_cndmask_b32_e32 v8, 0x7ff00000, v8, vcc_lo
	s_and_b32 vcc_lo, s6, vcc_lo
	s_delay_alu instid0(VALU_DEP_2) | instskip(NEXT) | instid1(VALU_DEP_2)
	v_cndmask_b32_e32 v25, 0, v7, vcc_lo
	v_cndmask_b32_e64 v26, 0, v8, s6
.LBB254_56:                             ;   in Loop: Header=BB254_4 Depth=1
	s_or_b32 exec_lo, exec_lo, s7
	s_delay_alu instid0(VALU_DEP_1) | instskip(NEXT) | instid1(VALU_DEP_2)
	v_add_f64 v[25:26], s[12:13], v[25:26]
	v_add_f64 v[23:24], s[14:15], v[23:24]
                                        ; implicit-def: $vgpr7_vgpr8
	s_delay_alu instid0(VALU_DEP_2) | instskip(NEXT) | instid1(VALU_DEP_2)
	v_cmp_gt_f64_e32 vcc_lo, 0, v[25:26]
	v_cmp_gt_f64_e64 s6, 0, v[23:24]
	v_xor_b32_e32 v5, 0x80000000, v26
	v_xor_b32_e32 v6, 0x80000000, v24
	s_delay_alu instid0(VALU_DEP_2) | instskip(NEXT) | instid1(VALU_DEP_2)
	v_cndmask_b32_e32 v28, v26, v5, vcc_lo
	v_cndmask_b32_e64 v30, v24, v6, s6
	v_cndmask_b32_e32 v27, v25, v25, vcc_lo
	v_cndmask_b32_e64 v29, v23, v23, s6
	s_mov_b32 s6, exec_lo
	s_delay_alu instid0(VALU_DEP_1)
	v_cmpx_ge_f64_e32 v[27:28], v[29:30]
	s_xor_b32 s7, exec_lo, s6
	s_cbranch_execz .LBB254_62
; %bb.57:                               ;   in Loop: Header=BB254_4 Depth=1
	v_cmp_neq_f64_e32 vcc_lo, 0, v[25:26]
	v_cmp_neq_f64_e64 s6, 0, v[23:24]
                                        ; implicit-def: $vgpr7_vgpr8
	s_delay_alu instid0(VALU_DEP_1) | instskip(NEXT) | instid1(SALU_CYCLE_1)
	s_or_b32 s6, vcc_lo, s6
	s_and_saveexec_b32 s8, s6
	s_delay_alu instid0(SALU_CYCLE_1)
	s_xor_b32 s6, exec_lo, s8
	s_cbranch_execz .LBB254_59
; %bb.58:                               ;   in Loop: Header=BB254_4 Depth=1
	v_div_scale_f64 v[5:6], null, v[25:26], v[25:26], v[23:24]
	v_div_scale_f64 v[29:30], vcc_lo, v[23:24], v[25:26], v[23:24]
	s_delay_alu instid0(VALU_DEP_2) | instskip(SKIP_2) | instid1(VALU_DEP_1)
	v_rcp_f64_e32 v[7:8], v[5:6]
	s_waitcnt_depctr 0xfff
	v_fma_f64 v[27:28], -v[5:6], v[7:8], 1.0
	v_fma_f64 v[7:8], v[7:8], v[27:28], v[7:8]
	s_delay_alu instid0(VALU_DEP_1) | instskip(NEXT) | instid1(VALU_DEP_1)
	v_fma_f64 v[27:28], -v[5:6], v[7:8], 1.0
	v_fma_f64 v[7:8], v[7:8], v[27:28], v[7:8]
	s_delay_alu instid0(VALU_DEP_1) | instskip(NEXT) | instid1(VALU_DEP_1)
	v_mul_f64 v[27:28], v[29:30], v[7:8]
	v_fma_f64 v[5:6], -v[5:6], v[27:28], v[29:30]
	s_delay_alu instid0(VALU_DEP_1) | instskip(NEXT) | instid1(VALU_DEP_1)
	v_div_fmas_f64 v[5:6], v[5:6], v[7:8], v[27:28]
	v_div_fixup_f64 v[5:6], v[5:6], v[25:26], v[23:24]
	s_delay_alu instid0(VALU_DEP_1) | instskip(NEXT) | instid1(VALU_DEP_1)
	v_fma_f64 v[7:8], v[23:24], v[5:6], v[25:26]
	v_div_scale_f64 v[23:24], null, v[7:8], v[7:8], 1.0
	v_div_scale_f64 v[29:30], vcc_lo, 1.0, v[7:8], 1.0
	s_delay_alu instid0(VALU_DEP_2) | instskip(SKIP_2) | instid1(VALU_DEP_1)
	v_rcp_f64_e32 v[25:26], v[23:24]
	s_waitcnt_depctr 0xfff
	v_fma_f64 v[27:28], -v[23:24], v[25:26], 1.0
	v_fma_f64 v[25:26], v[25:26], v[27:28], v[25:26]
	s_delay_alu instid0(VALU_DEP_1) | instskip(NEXT) | instid1(VALU_DEP_1)
	v_fma_f64 v[27:28], -v[23:24], v[25:26], 1.0
	v_fma_f64 v[25:26], v[25:26], v[27:28], v[25:26]
	s_delay_alu instid0(VALU_DEP_1) | instskip(NEXT) | instid1(VALU_DEP_1)
	v_mul_f64 v[27:28], v[29:30], v[25:26]
	v_fma_f64 v[23:24], -v[23:24], v[27:28], v[29:30]
                                        ; implicit-def: $vgpr29_vgpr30
	s_delay_alu instid0(VALU_DEP_1) | instskip(SKIP_1) | instid1(VALU_DEP_2)
	v_div_fmas_f64 v[23:24], v[23:24], v[25:26], v[27:28]
	v_fma_f64 v[25:26], s[14:15], v[5:6], s[12:13]
                                        ; implicit-def: $vgpr27_vgpr28
	v_div_fixup_f64 v[7:8], v[23:24], v[7:8], 1.0
	v_fma_f64 v[23:24], -s[12:13], v[5:6], s[14:15]
	s_delay_alu instid0(VALU_DEP_2) | instskip(NEXT) | instid1(VALU_DEP_2)
	v_mul_f64 v[5:6], v[25:26], v[7:8]
	v_mul_f64 v[7:8], v[23:24], v[7:8]
.LBB254_59:                             ;   in Loop: Header=BB254_4 Depth=1
	s_and_not1_saveexec_b32 s8, s6
	s_cbranch_execz .LBB254_61
; %bb.60:                               ;   in Loop: Header=BB254_4 Depth=1
	v_div_scale_f64 v[5:6], null, v[27:28], v[27:28], s[12:13]
	v_div_scale_f64 v[7:8], null, v[29:30], v[29:30], s[14:15]
	v_div_scale_f64 v[35:36], vcc_lo, s[12:13], v[27:28], s[12:13]
	s_delay_alu instid0(VALU_DEP_3) | instskip(NEXT) | instid1(VALU_DEP_2)
	v_rcp_f64_e32 v[23:24], v[5:6]
	v_rcp_f64_e32 v[25:26], v[7:8]
	s_waitcnt_depctr 0xfff
	v_fma_f64 v[31:32], -v[5:6], v[23:24], 1.0
	v_fma_f64 v[33:34], -v[7:8], v[25:26], 1.0
	s_delay_alu instid0(VALU_DEP_2) | instskip(NEXT) | instid1(VALU_DEP_2)
	v_fma_f64 v[23:24], v[23:24], v[31:32], v[23:24]
	v_fma_f64 v[25:26], v[25:26], v[33:34], v[25:26]
	s_delay_alu instid0(VALU_DEP_2) | instskip(NEXT) | instid1(VALU_DEP_2)
	v_fma_f64 v[31:32], -v[5:6], v[23:24], 1.0
	v_fma_f64 v[33:34], -v[7:8], v[25:26], 1.0
	s_delay_alu instid0(VALU_DEP_2) | instskip(SKIP_1) | instid1(VALU_DEP_3)
	v_fma_f64 v[23:24], v[23:24], v[31:32], v[23:24]
	v_div_scale_f64 v[31:32], s6, s[14:15], v[29:30], s[14:15]
	v_fma_f64 v[25:26], v[25:26], v[33:34], v[25:26]
	s_delay_alu instid0(VALU_DEP_3) | instskip(NEXT) | instid1(VALU_DEP_2)
	v_mul_f64 v[33:34], v[35:36], v[23:24]
	v_mul_f64 v[37:38], v[31:32], v[25:26]
	s_delay_alu instid0(VALU_DEP_2) | instskip(NEXT) | instid1(VALU_DEP_2)
	v_fma_f64 v[5:6], -v[5:6], v[33:34], v[35:36]
	v_fma_f64 v[7:8], -v[7:8], v[37:38], v[31:32]
	s_delay_alu instid0(VALU_DEP_2) | instskip(SKIP_1) | instid1(VALU_DEP_2)
	v_div_fmas_f64 v[5:6], v[5:6], v[23:24], v[33:34]
	s_mov_b32 vcc_lo, s6
	v_div_fmas_f64 v[7:8], v[7:8], v[25:26], v[37:38]
	s_delay_alu instid0(VALU_DEP_2) | instskip(NEXT) | instid1(VALU_DEP_2)
	v_div_fixup_f64 v[5:6], v[5:6], v[27:28], s[12:13]
	v_div_fixup_f64 v[7:8], v[7:8], v[29:30], s[14:15]
.LBB254_61:                             ;   in Loop: Header=BB254_4 Depth=1
	s_or_b32 exec_lo, exec_lo, s8
                                        ; implicit-def: $vgpr23_vgpr24
                                        ; implicit-def: $vgpr25_vgpr26
.LBB254_62:                             ;   in Loop: Header=BB254_4 Depth=1
	s_and_not1_saveexec_b32 s6, s7
	s_cbranch_execz .LBB254_64
; %bb.63:                               ;   in Loop: Header=BB254_4 Depth=1
	v_div_scale_f64 v[5:6], null, v[23:24], v[23:24], v[25:26]
	v_div_scale_f64 v[29:30], vcc_lo, v[25:26], v[23:24], v[25:26]
	s_delay_alu instid0(VALU_DEP_2) | instskip(SKIP_2) | instid1(VALU_DEP_1)
	v_rcp_f64_e32 v[7:8], v[5:6]
	s_waitcnt_depctr 0xfff
	v_fma_f64 v[27:28], -v[5:6], v[7:8], 1.0
	v_fma_f64 v[7:8], v[7:8], v[27:28], v[7:8]
	s_delay_alu instid0(VALU_DEP_1) | instskip(NEXT) | instid1(VALU_DEP_1)
	v_fma_f64 v[27:28], -v[5:6], v[7:8], 1.0
	v_fma_f64 v[7:8], v[7:8], v[27:28], v[7:8]
	s_delay_alu instid0(VALU_DEP_1) | instskip(NEXT) | instid1(VALU_DEP_1)
	v_mul_f64 v[27:28], v[29:30], v[7:8]
	v_fma_f64 v[5:6], -v[5:6], v[27:28], v[29:30]
	s_delay_alu instid0(VALU_DEP_1) | instskip(NEXT) | instid1(VALU_DEP_1)
	v_div_fmas_f64 v[5:6], v[5:6], v[7:8], v[27:28]
	v_div_fixup_f64 v[5:6], v[5:6], v[23:24], v[25:26]
	s_delay_alu instid0(VALU_DEP_1) | instskip(NEXT) | instid1(VALU_DEP_1)
	v_fma_f64 v[7:8], v[25:26], v[5:6], v[23:24]
	v_div_scale_f64 v[23:24], null, v[7:8], v[7:8], 1.0
	v_div_scale_f64 v[29:30], vcc_lo, 1.0, v[7:8], 1.0
	s_delay_alu instid0(VALU_DEP_2) | instskip(SKIP_2) | instid1(VALU_DEP_1)
	v_rcp_f64_e32 v[25:26], v[23:24]
	s_waitcnt_depctr 0xfff
	v_fma_f64 v[27:28], -v[23:24], v[25:26], 1.0
	v_fma_f64 v[25:26], v[25:26], v[27:28], v[25:26]
	s_delay_alu instid0(VALU_DEP_1) | instskip(NEXT) | instid1(VALU_DEP_1)
	v_fma_f64 v[27:28], -v[23:24], v[25:26], 1.0
	v_fma_f64 v[25:26], v[25:26], v[27:28], v[25:26]
	s_delay_alu instid0(VALU_DEP_1) | instskip(NEXT) | instid1(VALU_DEP_1)
	v_mul_f64 v[27:28], v[29:30], v[25:26]
	v_fma_f64 v[23:24], -v[23:24], v[27:28], v[29:30]
	s_delay_alu instid0(VALU_DEP_1) | instskip(SKIP_1) | instid1(VALU_DEP_2)
	v_div_fmas_f64 v[23:24], v[23:24], v[25:26], v[27:28]
	v_fma_f64 v[25:26], s[12:13], v[5:6], s[14:15]
	v_div_fixup_f64 v[7:8], v[23:24], v[7:8], 1.0
	v_fma_f64 v[23:24], s[14:15], v[5:6], -s[12:13]
	s_delay_alu instid0(VALU_DEP_2) | instskip(NEXT) | instid1(VALU_DEP_2)
	v_mul_f64 v[5:6], v[25:26], v[7:8]
	v_mul_f64 v[7:8], v[23:24], v[7:8]
.LBB254_64:                             ;   in Loop: Header=BB254_4 Depth=1
	s_or_b32 exec_lo, exec_lo, s6
	v_xor_b32_e32 v24, 0x80000000, v16
	v_mov_b32_e32 v23, v15
                                        ; implicit-def: $vgpr25_vgpr26
	s_mov_b32 s6, exec_lo
	s_delay_alu instid0(VALU_DEP_2) | instskip(NEXT) | instid1(VALU_DEP_1)
	v_and_b32_e32 v29, 0x7fffffff, v24
	v_or_b32_e32 v18, v29, v23
	s_delay_alu instid0(VALU_DEP_1)
	v_cmpx_ne_u32_e32 0, v18
	s_xor_b32 s98, exec_lo, s6
	s_cbranch_execz .LBB254_106
; %bb.65:                               ;   in Loop: Header=BB254_4 Depth=1
	v_xor_b32_e32 v28, 0x80000000, v14
	v_mov_b32_e32 v27, v13
                                        ; implicit-def: $vgpr25_vgpr26
	s_mov_b32 s6, exec_lo
	s_delay_alu instid0(VALU_DEP_2) | instskip(NEXT) | instid1(VALU_DEP_1)
	v_and_b32_e32 v18, 0x7fffffff, v28
	v_or_b32_e32 v23, v18, v27
	s_delay_alu instid0(VALU_DEP_1)
	v_cmpx_ne_u32_e32 0, v23
	s_xor_b32 s99, exec_lo, s6
	s_cbranch_execz .LBB254_95
; %bb.66:                               ;   in Loop: Header=BB254_4 Depth=1
                                        ; implicit-def: $vgpr25_vgpr26
	s_mov_b32 s6, exec_lo
	v_cmpx_gt_u32_e32 0x7ff00000, v29
	s_xor_b32 s100, exec_lo, s6
	s_cbranch_execz .LBB254_88
; %bb.67:                               ;   in Loop: Header=BB254_4 Depth=1
	v_add_nc_u32_e32 v18, 0xbf79d1be, v28
                                        ; implicit-def: $vgpr25_vgpr26
	s_mov_b32 s6, exec_lo
	s_delay_alu instid0(VALU_DEP_1)
	v_cmpx_lt_u32_e32 0x108aa2, v18
	s_xor_b32 s101, exec_lo, s6
	s_cbranch_execz .LBB254_77
; %bb.68:                               ;   in Loop: Header=BB254_4 Depth=1
	v_cmp_ngt_f64_e64 s7, 0x41d00000, |v[15:16]|
                                        ; implicit-def: $vgpr23
                                        ; implicit-def: $vgpr25_vgpr26
                                        ; implicit-def: $vgpr27_vgpr28
	s_delay_alu instid0(VALU_DEP_1) | instskip(NEXT) | instid1(SALU_CYCLE_1)
	s_and_saveexec_b32 s6, s7
	s_xor_b32 s8, exec_lo, s6
	s_cbranch_execz .LBB254_70
; %bb.69:                               ;   in Loop: Header=BB254_4 Depth=1
	v_ldexp_f64 v[25:26], |v[15:16]|, 0xffffff80
	v_cmp_le_f64_e64 vcc_lo, 0x7b000000, |v[15:16]|
	v_trig_preop_f64 v[27:28], |v[15:16]|, 0
	v_and_b32_e32 v18, 0x7fffffff, v16
	v_trig_preop_f64 v[29:30], |v[15:16]|, 1
	v_trig_preop_f64 v[47:48], |v[15:16]|, 2
	s_mov_b32 s24, s26
	s_mov_b32 s31, s29
	v_dual_cndmask_b32 v25, v15, v25 :: v_dual_cndmask_b32 v26, v18, v26
	s_delay_alu instid0(VALU_DEP_1) | instskip(NEXT) | instid1(VALU_DEP_4)
	v_mul_f64 v[31:32], v[27:28], v[25:26]
	v_mul_f64 v[33:34], v[29:30], v[25:26]
	s_delay_alu instid0(VALU_DEP_2) | instskip(NEXT) | instid1(VALU_DEP_2)
	v_fma_f64 v[27:28], v[27:28], v[25:26], -v[31:32]
	v_fma_f64 v[29:30], v[29:30], v[25:26], -v[33:34]
	s_delay_alu instid0(VALU_DEP_2) | instskip(NEXT) | instid1(VALU_DEP_1)
	v_add_f64 v[35:36], v[33:34], v[27:28]
	v_add_f64 v[37:38], v[35:36], -v[33:34]
	v_add_f64 v[51:52], v[31:32], v[35:36]
	s_delay_alu instid0(VALU_DEP_2) | instskip(SKIP_1) | instid1(VALU_DEP_3)
	v_add_f64 v[49:50], v[35:36], -v[37:38]
	v_add_f64 v[27:28], v[27:28], -v[37:38]
	v_ldexp_f64 v[37:38], v[51:52], -2
	v_add_f64 v[31:32], v[51:52], -v[31:32]
	s_delay_alu instid0(VALU_DEP_4) | instskip(NEXT) | instid1(VALU_DEP_3)
	v_add_f64 v[33:34], v[33:34], -v[49:50]
	v_cmp_neq_f64_e64 vcc_lo, 0x7ff00000, |v[37:38]|
	s_delay_alu instid0(VALU_DEP_3) | instskip(NEXT) | instid1(VALU_DEP_3)
	v_add_f64 v[31:32], v[35:36], -v[31:32]
	v_add_f64 v[27:28], v[27:28], v[33:34]
	v_fract_f64_e32 v[33:34], v[37:38]
	s_delay_alu instid0(VALU_DEP_1) | instskip(SKIP_1) | instid1(VALU_DEP_3)
	v_cndmask_b32_e32 v33, 0, v33, vcc_lo
	v_mul_f64 v[53:54], v[47:48], v[25:26]
	v_cndmask_b32_e32 v34, 0, v34, vcc_lo
	s_delay_alu instid0(VALU_DEP_1) | instskip(NEXT) | instid1(VALU_DEP_3)
	v_ldexp_f64 v[33:34], v[33:34], 2
	v_add_f64 v[49:50], v[53:54], v[29:30]
	v_fma_f64 v[25:26], v[47:48], v[25:26], -v[53:54]
	s_delay_alu instid0(VALU_DEP_2) | instskip(NEXT) | instid1(VALU_DEP_1)
	v_add_f64 v[35:36], v[49:50], v[27:28]
	v_add_f64 v[37:38], v[31:32], v[35:36]
	v_add_f64 v[55:56], v[35:36], -v[49:50]
	s_delay_alu instid0(VALU_DEP_2) | instskip(NEXT) | instid1(VALU_DEP_2)
	v_add_f64 v[51:52], v[37:38], v[33:34]
	v_add_f64 v[61:62], v[35:36], -v[55:56]
	v_add_f64 v[27:28], v[27:28], -v[55:56]
	;; [unrolled: 1-line block ×3, first 2 shown]
	s_delay_alu instid0(VALU_DEP_4) | instskip(SKIP_1) | instid1(VALU_DEP_3)
	v_cmp_gt_f64_e32 vcc_lo, 0, v[51:52]
	v_add_f64 v[51:52], v[49:50], -v[53:54]
	v_add_f64 v[31:32], v[35:36], -v[31:32]
	v_cndmask_b32_e64 v18, 0, 0x40100000, vcc_lo
	s_delay_alu instid0(VALU_DEP_3) | instskip(SKIP_2) | instid1(VALU_DEP_4)
	v_add_f64 v[59:60], v[49:50], -v[51:52]
	v_add_f64 v[29:30], v[29:30], -v[51:52]
	;; [unrolled: 1-line block ×3, first 2 shown]
	v_add_f64 v[33:34], v[33:34], v[17:18]
	s_delay_alu instid0(VALU_DEP_4) | instskip(NEXT) | instid1(VALU_DEP_3)
	v_add_f64 v[51:52], v[53:54], -v[59:60]
	v_add_f64 v[27:28], v[27:28], v[49:50]
	s_delay_alu instid0(VALU_DEP_3) | instskip(NEXT) | instid1(VALU_DEP_3)
	v_add_f64 v[57:58], v[37:38], v[33:34]
	v_add_f64 v[29:30], v[29:30], v[51:52]
	s_delay_alu instid0(VALU_DEP_2) | instskip(NEXT) | instid1(VALU_DEP_2)
	v_cvt_i32_f64_e32 v18, v[57:58]
	v_add_f64 v[27:28], v[29:30], v[27:28]
	s_delay_alu instid0(VALU_DEP_2) | instskip(NEXT) | instid1(VALU_DEP_2)
	v_cvt_f64_i32_e32 v[55:56], v18
	v_add_f64 v[25:26], v[25:26], v[27:28]
	s_delay_alu instid0(VALU_DEP_2) | instskip(NEXT) | instid1(VALU_DEP_2)
	v_add_f64 v[33:34], v[33:34], -v[55:56]
	v_add_f64 v[25:26], v[31:32], v[25:26]
	s_delay_alu instid0(VALU_DEP_2) | instskip(NEXT) | instid1(VALU_DEP_1)
	v_add_f64 v[29:30], v[37:38], v[33:34]
	v_add_f64 v[27:28], v[29:30], -v[33:34]
	v_cmp_le_f64_e32 vcc_lo, 0.5, v[29:30]
	s_delay_alu instid0(VALU_DEP_2) | instskip(SKIP_2) | instid1(VALU_DEP_3)
	v_add_f64 v[27:28], v[37:38], -v[27:28]
	v_add_co_ci_u32_e64 v23, s6, 0, v18, vcc_lo
	v_cndmask_b32_e64 v18, 0, 0x3ff00000, vcc_lo
	v_add_f64 v[25:26], v[25:26], v[27:28]
	s_delay_alu instid0(VALU_DEP_2) | instskip(NEXT) | instid1(VALU_DEP_1)
	v_add_f64 v[27:28], v[29:30], -v[17:18]
	v_add_f64 v[29:30], v[27:28], v[25:26]
	s_delay_alu instid0(VALU_DEP_1) | instskip(SKIP_1) | instid1(VALU_DEP_2)
	v_mul_f64 v[31:32], v[29:30], s[24:25]
	v_add_f64 v[27:28], v[29:30], -v[27:28]
	v_fma_f64 v[33:34], v[29:30], s[24:25], -v[31:32]
	s_delay_alu instid0(VALU_DEP_2) | instskip(NEXT) | instid1(VALU_DEP_2)
	v_add_f64 v[25:26], v[25:26], -v[27:28]
	v_fma_f64 v[27:28], v[29:30], s[30:31], v[33:34]
	s_delay_alu instid0(VALU_DEP_1) | instskip(NEXT) | instid1(VALU_DEP_1)
	v_fma_f64 v[27:28], v[25:26], s[24:25], v[27:28]
	v_add_f64 v[25:26], v[31:32], v[27:28]
	s_delay_alu instid0(VALU_DEP_1) | instskip(NEXT) | instid1(VALU_DEP_1)
	v_add_f64 v[29:30], v[25:26], -v[31:32]
	v_add_f64 v[27:28], v[27:28], -v[29:30]
	s_and_not1_saveexec_b32 s6, s8
	s_cbranch_execz .LBB254_72
	s_branch .LBB254_71
.LBB254_70:                             ;   in Loop: Header=BB254_4 Depth=1
	s_and_not1_saveexec_b32 s6, s8
	s_cbranch_execz .LBB254_72
.LBB254_71:                             ;   in Loop: Header=BB254_4 Depth=1
	v_mul_f64 v[25:26], |v[15:16]|, s[34:35]
	s_mov_b32 s28, s36
	s_delay_alu instid0(VALU_DEP_1) | instskip(NEXT) | instid1(VALU_DEP_1)
	v_rndne_f64_e32 v[29:30], v[25:26]
	v_fma_f64 v[25:26], v[29:30], s[26:27], |v[15:16]|
	v_mul_f64 v[27:28], v[29:30], s[36:37]
	v_cvt_i32_f64_e32 v23, v[29:30]
	s_delay_alu instid0(VALU_DEP_3) | instskip(NEXT) | instid1(VALU_DEP_3)
	v_fma_f64 v[33:34], v[29:30], s[36:37], v[25:26]
	v_add_f64 v[31:32], v[25:26], v[27:28]
	s_delay_alu instid0(VALU_DEP_1) | instskip(NEXT) | instid1(VALU_DEP_3)
	v_add_f64 v[25:26], v[25:26], -v[31:32]
	v_add_f64 v[31:32], v[31:32], -v[33:34]
	s_delay_alu instid0(VALU_DEP_2) | instskip(SKIP_1) | instid1(VALU_DEP_2)
	v_add_f64 v[25:26], v[25:26], v[27:28]
	v_fma_f64 v[27:28], v[29:30], s[28:29], v[27:28]
	v_add_f64 v[25:26], v[31:32], v[25:26]
	s_delay_alu instid0(VALU_DEP_1) | instskip(NEXT) | instid1(VALU_DEP_1)
	v_add_f64 v[25:26], v[25:26], -v[27:28]
	v_fma_f64 v[27:28], v[29:30], s[38:39], v[25:26]
	s_delay_alu instid0(VALU_DEP_1) | instskip(NEXT) | instid1(VALU_DEP_1)
	v_add_f64 v[25:26], v[33:34], v[27:28]
	v_add_f64 v[31:32], v[25:26], -v[33:34]
	s_delay_alu instid0(VALU_DEP_1)
	v_add_f64 v[27:28], v[27:28], -v[31:32]
.LBB254_72:                             ;   in Loop: Header=BB254_4 Depth=1
	s_or_b32 exec_lo, exec_lo, s6
                                        ; implicit-def: $vgpr33
                                        ; implicit-def: $vgpr29_vgpr30
                                        ; implicit-def: $vgpr31_vgpr32
	s_and_saveexec_b32 s6, s7
	s_delay_alu instid0(SALU_CYCLE_1)
	s_xor_b32 s7, exec_lo, s6
	s_cbranch_execz .LBB254_74
; %bb.73:                               ;   in Loop: Header=BB254_4 Depth=1
	v_ldexp_f64 v[29:30], |v[15:16]|, 0xffffff80
	v_cmp_le_f64_e64 vcc_lo, 0x7b000000, |v[15:16]|
	v_trig_preop_f64 v[31:32], |v[15:16]|, 0
	v_and_b32_e32 v18, 0x7fffffff, v16
	v_trig_preop_f64 v[33:34], |v[15:16]|, 1
	v_trig_preop_f64 v[51:52], |v[15:16]|, 2
	s_mov_b32 s24, s26
	s_mov_b32 s31, s29
	v_dual_cndmask_b32 v29, v15, v29 :: v_dual_cndmask_b32 v30, v18, v30
	s_delay_alu instid0(VALU_DEP_1) | instskip(NEXT) | instid1(VALU_DEP_4)
	v_mul_f64 v[35:36], v[31:32], v[29:30]
	v_mul_f64 v[37:38], v[33:34], v[29:30]
	s_delay_alu instid0(VALU_DEP_2) | instskip(NEXT) | instid1(VALU_DEP_2)
	v_fma_f64 v[31:32], v[31:32], v[29:30], -v[35:36]
	v_fma_f64 v[33:34], v[33:34], v[29:30], -v[37:38]
	s_delay_alu instid0(VALU_DEP_2) | instskip(NEXT) | instid1(VALU_DEP_1)
	v_add_f64 v[47:48], v[37:38], v[31:32]
	v_add_f64 v[49:50], v[47:48], -v[37:38]
	v_add_f64 v[55:56], v[35:36], v[47:48]
	s_delay_alu instid0(VALU_DEP_2) | instskip(SKIP_1) | instid1(VALU_DEP_3)
	v_add_f64 v[53:54], v[47:48], -v[49:50]
	v_add_f64 v[31:32], v[31:32], -v[49:50]
	v_ldexp_f64 v[49:50], v[55:56], -2
	v_add_f64 v[35:36], v[55:56], -v[35:36]
	s_delay_alu instid0(VALU_DEP_4) | instskip(NEXT) | instid1(VALU_DEP_3)
	v_add_f64 v[37:38], v[37:38], -v[53:54]
	v_cmp_neq_f64_e64 vcc_lo, 0x7ff00000, |v[49:50]|
	s_delay_alu instid0(VALU_DEP_3) | instskip(NEXT) | instid1(VALU_DEP_3)
	v_add_f64 v[35:36], v[47:48], -v[35:36]
	v_add_f64 v[31:32], v[31:32], v[37:38]
	v_fract_f64_e32 v[37:38], v[49:50]
	s_delay_alu instid0(VALU_DEP_1) | instskip(SKIP_1) | instid1(VALU_DEP_3)
	v_cndmask_b32_e32 v37, 0, v37, vcc_lo
	v_mul_f64 v[57:58], v[51:52], v[29:30]
	v_cndmask_b32_e32 v38, 0, v38, vcc_lo
	s_delay_alu instid0(VALU_DEP_1) | instskip(NEXT) | instid1(VALU_DEP_3)
	v_ldexp_f64 v[37:38], v[37:38], 2
	v_add_f64 v[53:54], v[57:58], v[33:34]
	v_fma_f64 v[29:30], v[51:52], v[29:30], -v[57:58]
	s_delay_alu instid0(VALU_DEP_2) | instskip(NEXT) | instid1(VALU_DEP_1)
	v_add_f64 v[47:48], v[53:54], v[31:32]
	v_add_f64 v[49:50], v[35:36], v[47:48]
	v_add_f64 v[59:60], v[47:48], -v[53:54]
	s_delay_alu instid0(VALU_DEP_2) | instskip(NEXT) | instid1(VALU_DEP_2)
	v_add_f64 v[55:56], v[49:50], v[37:38]
	v_add_f64 v[65:66], v[47:48], -v[59:60]
	v_add_f64 v[31:32], v[31:32], -v[59:60]
	;; [unrolled: 1-line block ×3, first 2 shown]
	s_delay_alu instid0(VALU_DEP_4) | instskip(SKIP_2) | instid1(VALU_DEP_2)
	v_cmp_gt_f64_e32 vcc_lo, 0, v[55:56]
	v_add_f64 v[55:56], v[53:54], -v[57:58]
	v_cndmask_b32_e64 v18, 0, 0x40100000, vcc_lo
	v_add_f64 v[63:64], v[53:54], -v[55:56]
	v_add_f64 v[33:34], v[33:34], -v[55:56]
	;; [unrolled: 1-line block ×3, first 2 shown]
	s_delay_alu instid0(VALU_DEP_4) | instskip(NEXT) | instid1(VALU_DEP_4)
	v_add_f64 v[37:38], v[37:38], v[17:18]
	v_add_f64 v[55:56], v[57:58], -v[63:64]
	s_delay_alu instid0(VALU_DEP_3) | instskip(NEXT) | instid1(VALU_DEP_3)
	v_add_f64 v[31:32], v[31:32], v[53:54]
	v_add_f64 v[61:62], v[49:50], v[37:38]
	s_delay_alu instid0(VALU_DEP_3) | instskip(NEXT) | instid1(VALU_DEP_2)
	v_add_f64 v[33:34], v[33:34], v[55:56]
	v_cvt_i32_f64_e32 v18, v[61:62]
	s_delay_alu instid0(VALU_DEP_2) | instskip(SKIP_1) | instid1(VALU_DEP_3)
	v_add_f64 v[31:32], v[33:34], v[31:32]
	v_add_f64 v[33:34], v[47:48], -v[35:36]
	v_cvt_f64_i32_e32 v[59:60], v18
	s_delay_alu instid0(VALU_DEP_3) | instskip(NEXT) | instid1(VALU_DEP_2)
	v_add_f64 v[29:30], v[29:30], v[31:32]
	v_add_f64 v[37:38], v[37:38], -v[59:60]
	s_delay_alu instid0(VALU_DEP_2) | instskip(NEXT) | instid1(VALU_DEP_2)
	v_add_f64 v[29:30], v[33:34], v[29:30]
	v_add_f64 v[51:52], v[49:50], v[37:38]
	s_delay_alu instid0(VALU_DEP_1) | instskip(SKIP_1) | instid1(VALU_DEP_2)
	v_add_f64 v[31:32], v[51:52], -v[37:38]
	v_cmp_le_f64_e32 vcc_lo, 0.5, v[51:52]
	v_add_f64 v[31:32], v[49:50], -v[31:32]
	v_add_co_ci_u32_e64 v33, s6, 0, v18, vcc_lo
	v_cndmask_b32_e64 v18, 0, 0x3ff00000, vcc_lo
	s_delay_alu instid0(VALU_DEP_3) | instskip(NEXT) | instid1(VALU_DEP_2)
	v_add_f64 v[29:30], v[29:30], v[31:32]
	v_add_f64 v[31:32], v[51:52], -v[17:18]
	s_delay_alu instid0(VALU_DEP_1) | instskip(NEXT) | instid1(VALU_DEP_1)
	v_add_f64 v[34:35], v[31:32], v[29:30]
	v_mul_f64 v[36:37], v[34:35], s[24:25]
	v_add_f64 v[31:32], v[34:35], -v[31:32]
	s_delay_alu instid0(VALU_DEP_2) | instskip(NEXT) | instid1(VALU_DEP_2)
	v_fma_f64 v[47:48], v[34:35], s[24:25], -v[36:37]
	v_add_f64 v[29:30], v[29:30], -v[31:32]
	s_delay_alu instid0(VALU_DEP_2) | instskip(NEXT) | instid1(VALU_DEP_1)
	v_fma_f64 v[31:32], v[34:35], s[30:31], v[47:48]
	v_fma_f64 v[31:32], v[29:30], s[24:25], v[31:32]
	s_delay_alu instid0(VALU_DEP_1) | instskip(NEXT) | instid1(VALU_DEP_1)
	v_add_f64 v[29:30], v[36:37], v[31:32]
	v_add_f64 v[34:35], v[29:30], -v[36:37]
	s_delay_alu instid0(VALU_DEP_1)
	v_add_f64 v[31:32], v[31:32], -v[34:35]
	s_and_not1_saveexec_b32 s6, s7
	s_cbranch_execnz .LBB254_75
	s_branch .LBB254_76
.LBB254_74:                             ;   in Loop: Header=BB254_4 Depth=1
	s_and_not1_saveexec_b32 s6, s7
	s_cbranch_execz .LBB254_76
.LBB254_75:                             ;   in Loop: Header=BB254_4 Depth=1
	v_mul_f64 v[29:30], |v[15:16]|, s[34:35]
	s_mov_b32 s28, s36
	s_delay_alu instid0(VALU_DEP_1) | instskip(NEXT) | instid1(VALU_DEP_1)
	v_rndne_f64_e32 v[33:34], v[29:30]
	v_fma_f64 v[29:30], v[33:34], s[26:27], |v[15:16]|
	v_mul_f64 v[31:32], v[33:34], s[36:37]
	s_delay_alu instid0(VALU_DEP_2) | instskip(NEXT) | instid1(VALU_DEP_2)
	v_fma_f64 v[37:38], v[33:34], s[36:37], v[29:30]
	v_add_f64 v[35:36], v[29:30], v[31:32]
	s_delay_alu instid0(VALU_DEP_1) | instskip(NEXT) | instid1(VALU_DEP_3)
	v_add_f64 v[29:30], v[29:30], -v[35:36]
	v_add_f64 v[35:36], v[35:36], -v[37:38]
	s_delay_alu instid0(VALU_DEP_2) | instskip(SKIP_1) | instid1(VALU_DEP_2)
	v_add_f64 v[29:30], v[29:30], v[31:32]
	v_fma_f64 v[31:32], v[33:34], s[28:29], v[31:32]
	v_add_f64 v[29:30], v[35:36], v[29:30]
	s_delay_alu instid0(VALU_DEP_1) | instskip(NEXT) | instid1(VALU_DEP_1)
	v_add_f64 v[29:30], v[29:30], -v[31:32]
	v_fma_f64 v[31:32], v[33:34], s[38:39], v[29:30]
	v_cvt_i32_f64_e32 v33, v[33:34]
	s_delay_alu instid0(VALU_DEP_2) | instskip(NEXT) | instid1(VALU_DEP_1)
	v_add_f64 v[29:30], v[37:38], v[31:32]
	v_add_f64 v[35:36], v[29:30], -v[37:38]
	s_delay_alu instid0(VALU_DEP_1)
	v_add_f64 v[31:32], v[31:32], -v[35:36]
.LBB254_76:                             ;   in Loop: Header=BB254_4 Depth=1
	s_or_b32 exec_lo, exec_lo, s6
	s_mov_b32 s40, s42
	v_mul_f64 v[49:50], v[25:26], v[25:26]
	v_mul_f64 v[34:35], v[13:14], s[40:41]
	;; [unrolled: 1-line block ×3, first 2 shown]
	s_mov_b32 s89, s61
	s_mov_b32 s91, s63
	s_delay_alu instid0(VALU_DEP_4)
	v_mul_f64 v[69:70], v[27:28], 0.5
	v_mul_f64 v[75:76], v[31:32], 0.5
	s_mov_b32 s92, s62
	v_cmp_ngt_f64_e64 s7, 0xc0900000, v[13:14]
	v_cmp_nlt_f64_e64 s8, 0x4090cc00, v[13:14]
	v_cmp_class_f64_e64 s6, v[15:16], 0x1f8
	v_and_b32_e32 v15, 1, v33
	s_delay_alu instid0(VALU_DEP_1)
	v_cmp_eq_u32_e64 s9, 0, v15
	v_fma_f64 v[53:54], v[49:50], s[80:81], s[78:79]
	v_rndne_f64_e32 v[34:35], v[34:35]
	v_fma_f64 v[55:56], v[51:52], s[80:81], s[78:79]
	v_fma_f64 v[57:58], v[49:50], s[70:71], s[68:69]
	v_mul_f64 v[59:60], v[49:50], 0.5
	v_fma_f64 v[61:62], v[51:52], s[70:71], s[68:69]
	v_mul_f64 v[63:64], v[51:52], 0.5
	v_mul_f64 v[71:72], v[25:26], -v[49:50]
	v_mul_f64 v[77:78], v[29:30], -v[51:52]
	v_fma_f64 v[53:54], v[49:50], v[53:54], s[82:83]
	v_fma_f64 v[36:37], v[34:35], s[44:45], -v[13:14]
	v_fma_f64 v[55:56], v[51:52], v[55:56], s[82:83]
	v_fma_f64 v[57:58], v[49:50], v[57:58], s[72:73]
	v_add_f64 v[65:66], -v[59:60], 1.0
	v_fma_f64 v[61:62], v[51:52], v[61:62], s[72:73]
	v_add_f64 v[67:68], -v[63:64], 1.0
	v_cvt_i32_f64_e32 v18, v[34:35]
	v_lshlrev_b32_e32 v14, 30, v23
	v_lshlrev_b32_e32 v13, 30, v33
	s_delay_alu instid0(VALU_DEP_1)
	v_xor_b32_e32 v13, v13, v24
	v_fma_f64 v[53:54], v[49:50], v[53:54], s[84:85]
	v_fma_f64 v[36:37], v[34:35], s[46:47], v[36:37]
	;; [unrolled: 1-line block ×4, first 2 shown]
	v_add_f64 v[73:74], -v[65:66], 1.0
	v_fma_f64 v[61:62], v[51:52], v[61:62], s[74:75]
	v_add_f64 v[79:80], -v[67:68], 1.0
	v_fma_f64 v[53:54], v[49:50], v[53:54], s[60:61]
	v_fma_f64 v[47:48], v[36:37], s[50:51], s[48:49]
	v_fma_f64 v[55:56], v[51:52], v[55:56], s[60:61]
	v_fma_f64 v[57:58], v[49:50], v[57:58], s[76:77]
	v_add_f64 v[59:60], v[73:74], -v[59:60]
	v_fma_f64 v[61:62], v[51:52], v[61:62], s[76:77]
	v_add_f64 v[63:64], v[79:80], -v[63:64]
	v_fma_f64 v[53:54], v[71:72], v[53:54], v[69:70]
	v_fma_f64 v[47:48], v[36:37], v[47:48], s[52:53]
	;; [unrolled: 1-line block ×3, first 2 shown]
	v_mul_f64 v[69:70], v[49:50], v[49:50]
	v_fma_f64 v[57:58], v[49:50], v[57:58], s[62:63]
	v_fma_f64 v[59:60], v[25:26], -v[27:28], v[59:60]
	v_fma_f64 v[27:28], v[49:50], v[53:54], -v[27:28]
	v_fma_f64 v[47:48], v[36:37], v[47:48], s[54:55]
	v_mul_f64 v[49:50], v[51:52], v[51:52]
	v_fma_f64 v[53:54], v[51:52], v[61:62], s[62:63]
	v_fma_f64 v[61:62], v[29:30], -v[31:32], v[63:64]
	v_fma_f64 v[31:32], v[51:52], v[55:56], -v[31:32]
	v_fma_f64 v[51:52], v[69:70], v[57:58], v[59:60]
	v_fma_f64 v[27:28], v[71:72], s[92:93], v[27:28]
	v_fma_f64 v[47:48], v[36:37], v[47:48], s[56:57]
	s_delay_alu instid0(VALU_DEP_4) | instskip(NEXT) | instid1(VALU_DEP_3)
	v_fma_f64 v[31:32], v[77:78], s[92:93], v[31:32]
	v_add_f64 v[25:26], v[25:26], -v[27:28]
	s_delay_alu instid0(VALU_DEP_3) | instskip(NEXT) | instid1(VALU_DEP_3)
	v_fma_f64 v[47:48], v[36:37], v[47:48], s[58:59]
	v_add_f64 v[29:30], v[29:30], -v[31:32]
	s_delay_alu instid0(VALU_DEP_2) | instskip(NEXT) | instid1(VALU_DEP_1)
	v_fma_f64 v[47:48], v[36:37], v[47:48], s[88:89]
	v_fma_f64 v[47:48], v[36:37], v[47:48], s[90:91]
	s_delay_alu instid0(VALU_DEP_1) | instskip(NEXT) | instid1(VALU_DEP_1)
	v_fma_f64 v[47:48], v[36:37], v[47:48], s[64:65]
	v_fma_f64 v[47:48], v[36:37], v[47:48], s[66:67]
	s_delay_alu instid0(VALU_DEP_1) | instskip(NEXT) | instid1(VALU_DEP_1)
	v_fma_f64 v[47:48], v[36:37], v[47:48], 1.0
	v_fma_f64 v[34:35], v[36:37], v[47:48], 1.0
	v_fma_f64 v[36:37], v[49:50], v[53:54], v[61:62]
	v_add_f64 v[47:48], v[65:66], v[51:52]
	s_delay_alu instid0(VALU_DEP_3) | instskip(NEXT) | instid1(VALU_DEP_3)
	v_ldexp_f64 v[27:28], v[34:35], v18
	v_add_f64 v[34:35], v[67:68], v[36:37]
	v_and_b32_e32 v18, 1, v23
	v_xor_b32_e32 v23, 0x80000000, v26
	s_delay_alu instid0(VALU_DEP_2) | instskip(NEXT) | instid1(VALU_DEP_2)
	v_cmp_eq_u32_e32 vcc_lo, 0, v18
	v_dual_cndmask_b32 v15, v23, v48 :: v_dual_cndmask_b32 v18, v25, v47
	s_and_b32 vcc_lo, s8, s7
	v_and_b32_e32 v14, 0x80000000, v14
	v_and_b32_e32 v23, 0x80000000, v13
	s_delay_alu instid0(VALU_DEP_3) | instskip(SKIP_3) | instid1(VALU_DEP_2)
	v_cndmask_b32_e64 v13, 0, v18, s6
	v_cndmask_b32_e64 v16, 0x7ff00000, v28, s7
	;; [unrolled: 1-line block ×4, first 2 shown]
	v_xor_b32_e32 v18, v25, v23
	v_cndmask_b32_e32 v23, 0, v27, vcc_lo
	v_xor_b32_e32 v14, v15, v14
	s_delay_alu instid0(VALU_DEP_4) | instskip(SKIP_2) | instid1(VALU_DEP_4)
	v_cndmask_b32_e64 v15, 0, v24, s6
	v_cndmask_b32_e64 v24, 0, v16, s8
	;; [unrolled: 1-line block ×4, first 2 shown]
	s_delay_alu instid0(VALU_DEP_1) | instskip(NEXT) | instid1(VALU_DEP_3)
	v_mul_f64 v[25:26], v[23:24], v[13:14]
	v_mul_f64 v[23:24], v[23:24], v[15:16]
                                        ; implicit-def: $vgpr15_vgpr16
.LBB254_77:                             ;   in Loop: Header=BB254_4 Depth=1
	s_and_not1_saveexec_b32 s40, s101
	s_cbranch_execz .LBB254_87
; %bb.78:                               ;   in Loop: Header=BB254_4 Depth=1
	v_cmp_ngt_f64_e64 s7, 0x41d00000, |v[15:16]|
                                        ; implicit-def: $vgpr23
                                        ; implicit-def: $vgpr25_vgpr26
                                        ; implicit-def: $vgpr27_vgpr28
	s_delay_alu instid0(VALU_DEP_1) | instskip(NEXT) | instid1(SALU_CYCLE_1)
	s_and_saveexec_b32 s6, s7
	s_xor_b32 s8, exec_lo, s6
	s_cbranch_execz .LBB254_80
; %bb.79:                               ;   in Loop: Header=BB254_4 Depth=1
	v_ldexp_f64 v[25:26], |v[15:16]|, 0xffffff80
	v_cmp_le_f64_e64 vcc_lo, 0x7b000000, |v[15:16]|
	v_trig_preop_f64 v[27:28], |v[15:16]|, 0
	v_and_b32_e32 v18, 0x7fffffff, v16
	v_trig_preop_f64 v[29:30], |v[15:16]|, 1
	v_trig_preop_f64 v[47:48], |v[15:16]|, 2
	s_mov_b32 s24, s26
	s_mov_b32 s31, s29
	v_dual_cndmask_b32 v25, v15, v25 :: v_dual_cndmask_b32 v26, v18, v26
	s_delay_alu instid0(VALU_DEP_1) | instskip(NEXT) | instid1(VALU_DEP_4)
	v_mul_f64 v[31:32], v[27:28], v[25:26]
	v_mul_f64 v[33:34], v[29:30], v[25:26]
	s_delay_alu instid0(VALU_DEP_2) | instskip(NEXT) | instid1(VALU_DEP_2)
	v_fma_f64 v[27:28], v[27:28], v[25:26], -v[31:32]
	v_fma_f64 v[29:30], v[29:30], v[25:26], -v[33:34]
	s_delay_alu instid0(VALU_DEP_2) | instskip(NEXT) | instid1(VALU_DEP_1)
	v_add_f64 v[35:36], v[33:34], v[27:28]
	v_add_f64 v[37:38], v[35:36], -v[33:34]
	v_add_f64 v[51:52], v[31:32], v[35:36]
	s_delay_alu instid0(VALU_DEP_2) | instskip(SKIP_1) | instid1(VALU_DEP_3)
	v_add_f64 v[49:50], v[35:36], -v[37:38]
	v_add_f64 v[27:28], v[27:28], -v[37:38]
	v_ldexp_f64 v[37:38], v[51:52], -2
	v_add_f64 v[31:32], v[51:52], -v[31:32]
	s_delay_alu instid0(VALU_DEP_4) | instskip(NEXT) | instid1(VALU_DEP_3)
	v_add_f64 v[33:34], v[33:34], -v[49:50]
	v_cmp_neq_f64_e64 vcc_lo, 0x7ff00000, |v[37:38]|
	s_delay_alu instid0(VALU_DEP_3) | instskip(NEXT) | instid1(VALU_DEP_3)
	v_add_f64 v[31:32], v[35:36], -v[31:32]
	v_add_f64 v[27:28], v[27:28], v[33:34]
	v_fract_f64_e32 v[33:34], v[37:38]
	s_delay_alu instid0(VALU_DEP_1) | instskip(SKIP_1) | instid1(VALU_DEP_3)
	v_cndmask_b32_e32 v33, 0, v33, vcc_lo
	v_mul_f64 v[53:54], v[47:48], v[25:26]
	v_cndmask_b32_e32 v34, 0, v34, vcc_lo
	s_delay_alu instid0(VALU_DEP_1) | instskip(NEXT) | instid1(VALU_DEP_3)
	v_ldexp_f64 v[33:34], v[33:34], 2
	v_add_f64 v[49:50], v[53:54], v[29:30]
	v_fma_f64 v[25:26], v[47:48], v[25:26], -v[53:54]
	s_delay_alu instid0(VALU_DEP_2) | instskip(NEXT) | instid1(VALU_DEP_1)
	v_add_f64 v[35:36], v[49:50], v[27:28]
	v_add_f64 v[37:38], v[31:32], v[35:36]
	v_add_f64 v[55:56], v[35:36], -v[49:50]
	s_delay_alu instid0(VALU_DEP_2) | instskip(NEXT) | instid1(VALU_DEP_2)
	v_add_f64 v[51:52], v[37:38], v[33:34]
	v_add_f64 v[61:62], v[35:36], -v[55:56]
	v_add_f64 v[27:28], v[27:28], -v[55:56]
	;; [unrolled: 1-line block ×3, first 2 shown]
	s_delay_alu instid0(VALU_DEP_4) | instskip(SKIP_1) | instid1(VALU_DEP_3)
	v_cmp_gt_f64_e32 vcc_lo, 0, v[51:52]
	v_add_f64 v[51:52], v[49:50], -v[53:54]
	v_add_f64 v[31:32], v[35:36], -v[31:32]
	v_cndmask_b32_e64 v18, 0, 0x40100000, vcc_lo
	s_delay_alu instid0(VALU_DEP_3) | instskip(SKIP_2) | instid1(VALU_DEP_4)
	v_add_f64 v[59:60], v[49:50], -v[51:52]
	v_add_f64 v[29:30], v[29:30], -v[51:52]
	;; [unrolled: 1-line block ×3, first 2 shown]
	v_add_f64 v[33:34], v[33:34], v[17:18]
	s_delay_alu instid0(VALU_DEP_4) | instskip(NEXT) | instid1(VALU_DEP_3)
	v_add_f64 v[51:52], v[53:54], -v[59:60]
	v_add_f64 v[27:28], v[27:28], v[49:50]
	s_delay_alu instid0(VALU_DEP_3) | instskip(NEXT) | instid1(VALU_DEP_3)
	v_add_f64 v[57:58], v[37:38], v[33:34]
	v_add_f64 v[29:30], v[29:30], v[51:52]
	s_delay_alu instid0(VALU_DEP_2) | instskip(NEXT) | instid1(VALU_DEP_2)
	v_cvt_i32_f64_e32 v18, v[57:58]
	v_add_f64 v[27:28], v[29:30], v[27:28]
	s_delay_alu instid0(VALU_DEP_2) | instskip(NEXT) | instid1(VALU_DEP_2)
	v_cvt_f64_i32_e32 v[55:56], v18
	v_add_f64 v[25:26], v[25:26], v[27:28]
	s_delay_alu instid0(VALU_DEP_2) | instskip(NEXT) | instid1(VALU_DEP_2)
	v_add_f64 v[33:34], v[33:34], -v[55:56]
	v_add_f64 v[25:26], v[31:32], v[25:26]
	s_delay_alu instid0(VALU_DEP_2) | instskip(NEXT) | instid1(VALU_DEP_1)
	v_add_f64 v[29:30], v[37:38], v[33:34]
	v_add_f64 v[27:28], v[29:30], -v[33:34]
	v_cmp_le_f64_e32 vcc_lo, 0.5, v[29:30]
	s_delay_alu instid0(VALU_DEP_2) | instskip(SKIP_2) | instid1(VALU_DEP_3)
	v_add_f64 v[27:28], v[37:38], -v[27:28]
	v_add_co_ci_u32_e64 v23, s6, 0, v18, vcc_lo
	v_cndmask_b32_e64 v18, 0, 0x3ff00000, vcc_lo
	v_add_f64 v[25:26], v[25:26], v[27:28]
	s_delay_alu instid0(VALU_DEP_2) | instskip(NEXT) | instid1(VALU_DEP_1)
	v_add_f64 v[27:28], v[29:30], -v[17:18]
	v_add_f64 v[29:30], v[27:28], v[25:26]
	s_delay_alu instid0(VALU_DEP_1) | instskip(SKIP_1) | instid1(VALU_DEP_2)
	v_mul_f64 v[31:32], v[29:30], s[24:25]
	v_add_f64 v[27:28], v[29:30], -v[27:28]
	v_fma_f64 v[33:34], v[29:30], s[24:25], -v[31:32]
	s_delay_alu instid0(VALU_DEP_2) | instskip(NEXT) | instid1(VALU_DEP_2)
	v_add_f64 v[25:26], v[25:26], -v[27:28]
	v_fma_f64 v[27:28], v[29:30], s[30:31], v[33:34]
	s_delay_alu instid0(VALU_DEP_1) | instskip(NEXT) | instid1(VALU_DEP_1)
	v_fma_f64 v[27:28], v[25:26], s[24:25], v[27:28]
	v_add_f64 v[25:26], v[31:32], v[27:28]
	s_delay_alu instid0(VALU_DEP_1) | instskip(NEXT) | instid1(VALU_DEP_1)
	v_add_f64 v[29:30], v[25:26], -v[31:32]
	v_add_f64 v[27:28], v[27:28], -v[29:30]
	s_and_not1_saveexec_b32 s6, s8
	s_cbranch_execz .LBB254_82
	s_branch .LBB254_81
.LBB254_80:                             ;   in Loop: Header=BB254_4 Depth=1
	s_and_not1_saveexec_b32 s6, s8
	s_cbranch_execz .LBB254_82
.LBB254_81:                             ;   in Loop: Header=BB254_4 Depth=1
	v_mul_f64 v[25:26], |v[15:16]|, s[34:35]
	s_mov_b32 s28, s36
	s_delay_alu instid0(VALU_DEP_1) | instskip(NEXT) | instid1(VALU_DEP_1)
	v_rndne_f64_e32 v[29:30], v[25:26]
	v_fma_f64 v[25:26], v[29:30], s[26:27], |v[15:16]|
	v_mul_f64 v[27:28], v[29:30], s[36:37]
	v_cvt_i32_f64_e32 v23, v[29:30]
	s_delay_alu instid0(VALU_DEP_3) | instskip(NEXT) | instid1(VALU_DEP_3)
	v_fma_f64 v[33:34], v[29:30], s[36:37], v[25:26]
	v_add_f64 v[31:32], v[25:26], v[27:28]
	s_delay_alu instid0(VALU_DEP_1) | instskip(NEXT) | instid1(VALU_DEP_3)
	v_add_f64 v[25:26], v[25:26], -v[31:32]
	v_add_f64 v[31:32], v[31:32], -v[33:34]
	s_delay_alu instid0(VALU_DEP_2) | instskip(SKIP_1) | instid1(VALU_DEP_2)
	v_add_f64 v[25:26], v[25:26], v[27:28]
	v_fma_f64 v[27:28], v[29:30], s[28:29], v[27:28]
	v_add_f64 v[25:26], v[31:32], v[25:26]
	s_delay_alu instid0(VALU_DEP_1) | instskip(NEXT) | instid1(VALU_DEP_1)
	v_add_f64 v[25:26], v[25:26], -v[27:28]
	v_fma_f64 v[27:28], v[29:30], s[38:39], v[25:26]
	s_delay_alu instid0(VALU_DEP_1) | instskip(NEXT) | instid1(VALU_DEP_1)
	v_add_f64 v[25:26], v[33:34], v[27:28]
	v_add_f64 v[31:32], v[25:26], -v[33:34]
	s_delay_alu instid0(VALU_DEP_1)
	v_add_f64 v[27:28], v[27:28], -v[31:32]
.LBB254_82:                             ;   in Loop: Header=BB254_4 Depth=1
	s_or_b32 exec_lo, exec_lo, s6
                                        ; implicit-def: $vgpr33
                                        ; implicit-def: $vgpr29_vgpr30
                                        ; implicit-def: $vgpr31_vgpr32
	s_and_saveexec_b32 s6, s7
	s_delay_alu instid0(SALU_CYCLE_1)
	s_xor_b32 s7, exec_lo, s6
	s_cbranch_execz .LBB254_84
; %bb.83:                               ;   in Loop: Header=BB254_4 Depth=1
	v_ldexp_f64 v[29:30], |v[15:16]|, 0xffffff80
	v_cmp_le_f64_e64 vcc_lo, 0x7b000000, |v[15:16]|
	v_trig_preop_f64 v[31:32], |v[15:16]|, 0
	v_and_b32_e32 v18, 0x7fffffff, v16
	v_trig_preop_f64 v[33:34], |v[15:16]|, 1
	v_trig_preop_f64 v[51:52], |v[15:16]|, 2
	s_mov_b32 s24, s26
	s_mov_b32 s31, s29
	v_dual_cndmask_b32 v29, v15, v29 :: v_dual_cndmask_b32 v30, v18, v30
	s_delay_alu instid0(VALU_DEP_1) | instskip(NEXT) | instid1(VALU_DEP_4)
	v_mul_f64 v[35:36], v[31:32], v[29:30]
	v_mul_f64 v[37:38], v[33:34], v[29:30]
	s_delay_alu instid0(VALU_DEP_2) | instskip(NEXT) | instid1(VALU_DEP_2)
	v_fma_f64 v[31:32], v[31:32], v[29:30], -v[35:36]
	v_fma_f64 v[33:34], v[33:34], v[29:30], -v[37:38]
	s_delay_alu instid0(VALU_DEP_2) | instskip(NEXT) | instid1(VALU_DEP_1)
	v_add_f64 v[47:48], v[37:38], v[31:32]
	v_add_f64 v[49:50], v[47:48], -v[37:38]
	v_add_f64 v[55:56], v[35:36], v[47:48]
	s_delay_alu instid0(VALU_DEP_2) | instskip(SKIP_1) | instid1(VALU_DEP_3)
	v_add_f64 v[53:54], v[47:48], -v[49:50]
	v_add_f64 v[31:32], v[31:32], -v[49:50]
	v_ldexp_f64 v[49:50], v[55:56], -2
	v_add_f64 v[35:36], v[55:56], -v[35:36]
	s_delay_alu instid0(VALU_DEP_4) | instskip(NEXT) | instid1(VALU_DEP_3)
	v_add_f64 v[37:38], v[37:38], -v[53:54]
	v_cmp_neq_f64_e64 vcc_lo, 0x7ff00000, |v[49:50]|
	s_delay_alu instid0(VALU_DEP_3) | instskip(NEXT) | instid1(VALU_DEP_3)
	v_add_f64 v[35:36], v[47:48], -v[35:36]
	v_add_f64 v[31:32], v[31:32], v[37:38]
	v_fract_f64_e32 v[37:38], v[49:50]
	s_delay_alu instid0(VALU_DEP_1) | instskip(SKIP_1) | instid1(VALU_DEP_3)
	v_cndmask_b32_e32 v37, 0, v37, vcc_lo
	v_mul_f64 v[57:58], v[51:52], v[29:30]
	v_cndmask_b32_e32 v38, 0, v38, vcc_lo
	s_delay_alu instid0(VALU_DEP_1) | instskip(NEXT) | instid1(VALU_DEP_3)
	v_ldexp_f64 v[37:38], v[37:38], 2
	v_add_f64 v[53:54], v[57:58], v[33:34]
	v_fma_f64 v[29:30], v[51:52], v[29:30], -v[57:58]
	s_delay_alu instid0(VALU_DEP_2) | instskip(NEXT) | instid1(VALU_DEP_1)
	v_add_f64 v[47:48], v[53:54], v[31:32]
	v_add_f64 v[49:50], v[35:36], v[47:48]
	v_add_f64 v[59:60], v[47:48], -v[53:54]
	s_delay_alu instid0(VALU_DEP_2) | instskip(NEXT) | instid1(VALU_DEP_2)
	v_add_f64 v[55:56], v[49:50], v[37:38]
	v_add_f64 v[65:66], v[47:48], -v[59:60]
	v_add_f64 v[31:32], v[31:32], -v[59:60]
	;; [unrolled: 1-line block ×3, first 2 shown]
	s_delay_alu instid0(VALU_DEP_4) | instskip(SKIP_2) | instid1(VALU_DEP_2)
	v_cmp_gt_f64_e32 vcc_lo, 0, v[55:56]
	v_add_f64 v[55:56], v[53:54], -v[57:58]
	v_cndmask_b32_e64 v18, 0, 0x40100000, vcc_lo
	v_add_f64 v[63:64], v[53:54], -v[55:56]
	v_add_f64 v[33:34], v[33:34], -v[55:56]
	;; [unrolled: 1-line block ×3, first 2 shown]
	s_delay_alu instid0(VALU_DEP_4) | instskip(NEXT) | instid1(VALU_DEP_4)
	v_add_f64 v[37:38], v[37:38], v[17:18]
	v_add_f64 v[55:56], v[57:58], -v[63:64]
	s_delay_alu instid0(VALU_DEP_3) | instskip(NEXT) | instid1(VALU_DEP_3)
	v_add_f64 v[31:32], v[31:32], v[53:54]
	v_add_f64 v[61:62], v[49:50], v[37:38]
	s_delay_alu instid0(VALU_DEP_3) | instskip(NEXT) | instid1(VALU_DEP_2)
	v_add_f64 v[33:34], v[33:34], v[55:56]
	v_cvt_i32_f64_e32 v18, v[61:62]
	s_delay_alu instid0(VALU_DEP_2) | instskip(SKIP_1) | instid1(VALU_DEP_3)
	v_add_f64 v[31:32], v[33:34], v[31:32]
	v_add_f64 v[33:34], v[47:48], -v[35:36]
	v_cvt_f64_i32_e32 v[59:60], v18
	s_delay_alu instid0(VALU_DEP_3) | instskip(NEXT) | instid1(VALU_DEP_2)
	v_add_f64 v[29:30], v[29:30], v[31:32]
	v_add_f64 v[37:38], v[37:38], -v[59:60]
	s_delay_alu instid0(VALU_DEP_2) | instskip(NEXT) | instid1(VALU_DEP_2)
	v_add_f64 v[29:30], v[33:34], v[29:30]
	v_add_f64 v[51:52], v[49:50], v[37:38]
	s_delay_alu instid0(VALU_DEP_1) | instskip(SKIP_1) | instid1(VALU_DEP_2)
	v_add_f64 v[31:32], v[51:52], -v[37:38]
	v_cmp_le_f64_e32 vcc_lo, 0.5, v[51:52]
	v_add_f64 v[31:32], v[49:50], -v[31:32]
	v_add_co_ci_u32_e64 v33, s6, 0, v18, vcc_lo
	v_cndmask_b32_e64 v18, 0, 0x3ff00000, vcc_lo
	s_delay_alu instid0(VALU_DEP_3) | instskip(NEXT) | instid1(VALU_DEP_2)
	v_add_f64 v[29:30], v[29:30], v[31:32]
	v_add_f64 v[31:32], v[51:52], -v[17:18]
	s_delay_alu instid0(VALU_DEP_1) | instskip(NEXT) | instid1(VALU_DEP_1)
	v_add_f64 v[34:35], v[31:32], v[29:30]
	v_mul_f64 v[36:37], v[34:35], s[24:25]
	v_add_f64 v[31:32], v[34:35], -v[31:32]
	s_delay_alu instid0(VALU_DEP_2) | instskip(NEXT) | instid1(VALU_DEP_2)
	v_fma_f64 v[47:48], v[34:35], s[24:25], -v[36:37]
	v_add_f64 v[29:30], v[29:30], -v[31:32]
	s_delay_alu instid0(VALU_DEP_2) | instskip(NEXT) | instid1(VALU_DEP_1)
	v_fma_f64 v[31:32], v[34:35], s[30:31], v[47:48]
	v_fma_f64 v[31:32], v[29:30], s[24:25], v[31:32]
	s_delay_alu instid0(VALU_DEP_1) | instskip(NEXT) | instid1(VALU_DEP_1)
	v_add_f64 v[29:30], v[36:37], v[31:32]
	v_add_f64 v[34:35], v[29:30], -v[36:37]
	s_delay_alu instid0(VALU_DEP_1)
	v_add_f64 v[31:32], v[31:32], -v[34:35]
	s_and_not1_saveexec_b32 s6, s7
	s_cbranch_execnz .LBB254_85
	s_branch .LBB254_86
.LBB254_84:                             ;   in Loop: Header=BB254_4 Depth=1
	s_and_not1_saveexec_b32 s6, s7
	s_cbranch_execz .LBB254_86
.LBB254_85:                             ;   in Loop: Header=BB254_4 Depth=1
	v_mul_f64 v[29:30], |v[15:16]|, s[34:35]
	s_mov_b32 s28, s36
	s_delay_alu instid0(VALU_DEP_1) | instskip(NEXT) | instid1(VALU_DEP_1)
	v_rndne_f64_e32 v[33:34], v[29:30]
	v_fma_f64 v[29:30], v[33:34], s[26:27], |v[15:16]|
	v_mul_f64 v[31:32], v[33:34], s[36:37]
	s_delay_alu instid0(VALU_DEP_2) | instskip(NEXT) | instid1(VALU_DEP_2)
	v_fma_f64 v[37:38], v[33:34], s[36:37], v[29:30]
	v_add_f64 v[35:36], v[29:30], v[31:32]
	s_delay_alu instid0(VALU_DEP_1) | instskip(NEXT) | instid1(VALU_DEP_3)
	v_add_f64 v[29:30], v[29:30], -v[35:36]
	v_add_f64 v[35:36], v[35:36], -v[37:38]
	s_delay_alu instid0(VALU_DEP_2) | instskip(SKIP_1) | instid1(VALU_DEP_2)
	v_add_f64 v[29:30], v[29:30], v[31:32]
	v_fma_f64 v[31:32], v[33:34], s[28:29], v[31:32]
	v_add_f64 v[29:30], v[35:36], v[29:30]
	s_delay_alu instid0(VALU_DEP_1) | instskip(NEXT) | instid1(VALU_DEP_1)
	v_add_f64 v[29:30], v[29:30], -v[31:32]
	v_fma_f64 v[31:32], v[33:34], s[38:39], v[29:30]
	v_cvt_i32_f64_e32 v33, v[33:34]
	s_delay_alu instid0(VALU_DEP_2) | instskip(NEXT) | instid1(VALU_DEP_1)
	v_add_f64 v[29:30], v[37:38], v[31:32]
	v_add_f64 v[35:36], v[29:30], -v[37:38]
	s_delay_alu instid0(VALU_DEP_1)
	v_add_f64 v[31:32], v[31:32], -v[35:36]
.LBB254_86:                             ;   in Loop: Header=BB254_4 Depth=1
	s_or_b32 exec_lo, exec_lo, s6
	v_add_f64 v[13:14], -v[13:14], s[86:87]
	s_delay_alu instid0(VALU_DEP_4) | instskip(SKIP_3) | instid1(VALU_DEP_4)
	v_mul_f64 v[49:50], v[25:26], v[25:26]
	v_mul_f64 v[51:52], v[29:30], v[29:30]
	s_mov_b32 s89, s61
	s_mov_b32 s91, s63
	v_mul_f64 v[69:70], v[27:28], 0.5
	v_mul_f64 v[75:76], v[31:32], 0.5
	s_mov_b32 s92, s62
	v_cmp_class_f64_e64 s6, v[15:16], 0x1f8
	v_mul_f64 v[34:35], v[13:14], s[42:43]
	v_fma_f64 v[53:54], v[49:50], s[80:81], s[78:79]
	v_fma_f64 v[55:56], v[51:52], s[80:81], s[78:79]
	;; [unrolled: 1-line block ×3, first 2 shown]
	v_mul_f64 v[59:60], v[49:50], 0.5
	v_fma_f64 v[61:62], v[51:52], s[70:71], s[68:69]
	v_mul_f64 v[63:64], v[51:52], 0.5
	v_mul_f64 v[71:72], v[25:26], -v[49:50]
	v_mul_f64 v[77:78], v[29:30], -v[51:52]
	v_cmp_nlt_f64_e64 s7, 0x40900000, v[13:14]
	v_cmp_ngt_f64_e64 s8, 0xc090cc00, v[13:14]
	v_rndne_f64_e32 v[34:35], v[34:35]
	v_fma_f64 v[53:54], v[49:50], v[53:54], s[82:83]
	v_fma_f64 v[55:56], v[51:52], v[55:56], s[82:83]
	;; [unrolled: 1-line block ×3, first 2 shown]
	v_add_f64 v[65:66], -v[59:60], 1.0
	v_fma_f64 v[61:62], v[51:52], v[61:62], s[72:73]
	v_add_f64 v[67:68], -v[63:64], 1.0
	v_fma_f64 v[36:37], v[34:35], s[44:45], v[13:14]
	v_fma_f64 v[53:54], v[49:50], v[53:54], s[84:85]
	;; [unrolled: 1-line block ×4, first 2 shown]
	v_add_f64 v[73:74], -v[65:66], 1.0
	v_fma_f64 v[61:62], v[51:52], v[61:62], s[74:75]
	v_add_f64 v[79:80], -v[67:68], 1.0
	v_cvt_i32_f64_e32 v18, v[34:35]
	v_lshlrev_b32_e32 v14, 30, v23
	v_lshlrev_b32_e32 v13, 30, v33
	s_delay_alu instid0(VALU_DEP_2) | instskip(NEXT) | instid1(VALU_DEP_2)
	v_and_b32_e32 v14, 0x80000000, v14
	v_xor_b32_e32 v13, v13, v24
	v_fma_f64 v[36:37], v[34:35], s[46:47], v[36:37]
	v_fma_f64 v[53:54], v[49:50], v[53:54], s[60:61]
	;; [unrolled: 1-line block ×4, first 2 shown]
	v_add_f64 v[59:60], v[73:74], -v[59:60]
	v_fma_f64 v[61:62], v[51:52], v[61:62], s[76:77]
	v_add_f64 v[63:64], v[79:80], -v[63:64]
	v_fma_f64 v[47:48], v[36:37], s[50:51], s[48:49]
	v_fma_f64 v[53:54], v[71:72], v[53:54], v[69:70]
	;; [unrolled: 1-line block ×3, first 2 shown]
	v_mul_f64 v[69:70], v[49:50], v[49:50]
	v_fma_f64 v[57:58], v[49:50], v[57:58], s[62:63]
	v_fma_f64 v[59:60], v[25:26], -v[27:28], v[59:60]
	v_fma_f64 v[47:48], v[36:37], v[47:48], s[52:53]
	v_fma_f64 v[27:28], v[49:50], v[53:54], -v[27:28]
	v_mul_f64 v[49:50], v[51:52], v[51:52]
	v_fma_f64 v[53:54], v[51:52], v[61:62], s[62:63]
	v_fma_f64 v[61:62], v[29:30], -v[31:32], v[63:64]
	v_fma_f64 v[31:32], v[51:52], v[55:56], -v[31:32]
	v_fma_f64 v[51:52], v[69:70], v[57:58], v[59:60]
	v_fma_f64 v[47:48], v[36:37], v[47:48], s[54:55]
	;; [unrolled: 1-line block ×3, first 2 shown]
	s_delay_alu instid0(VALU_DEP_4) | instskip(NEXT) | instid1(VALU_DEP_3)
	v_fma_f64 v[31:32], v[77:78], s[92:93], v[31:32]
	v_fma_f64 v[47:48], v[36:37], v[47:48], s[56:57]
	s_delay_alu instid0(VALU_DEP_3) | instskip(NEXT) | instid1(VALU_DEP_3)
	v_add_f64 v[25:26], v[25:26], -v[27:28]
	v_add_f64 v[29:30], v[29:30], -v[31:32]
	s_delay_alu instid0(VALU_DEP_3) | instskip(NEXT) | instid1(VALU_DEP_1)
	v_fma_f64 v[47:48], v[36:37], v[47:48], s[58:59]
	v_fma_f64 v[47:48], v[36:37], v[47:48], s[88:89]
	s_delay_alu instid0(VALU_DEP_1) | instskip(NEXT) | instid1(VALU_DEP_1)
	v_fma_f64 v[47:48], v[36:37], v[47:48], s[90:91]
	v_fma_f64 v[47:48], v[36:37], v[47:48], s[64:65]
	s_delay_alu instid0(VALU_DEP_1) | instskip(NEXT) | instid1(VALU_DEP_1)
	v_fma_f64 v[47:48], v[36:37], v[47:48], s[66:67]
	v_fma_f64 v[47:48], v[36:37], v[47:48], 1.0
	s_delay_alu instid0(VALU_DEP_1) | instskip(SKIP_2) | instid1(VALU_DEP_3)
	v_fma_f64 v[34:35], v[36:37], v[47:48], 1.0
	v_fma_f64 v[36:37], v[49:50], v[53:54], v[61:62]
	v_add_f64 v[47:48], v[65:66], v[51:52]
	v_ldexp_f64 v[27:28], v[34:35], v18
	s_delay_alu instid0(VALU_DEP_3) | instskip(SKIP_3) | instid1(VALU_DEP_3)
	v_add_f64 v[34:35], v[67:68], v[36:37]
	v_and_b32_e32 v18, 1, v23
	v_and_b32_e32 v16, 1, v33
	v_xor_b32_e32 v23, 0x80000000, v26
	v_cmp_eq_u32_e32 vcc_lo, 0, v18
	s_delay_alu instid0(VALU_DEP_3) | instskip(SKIP_1) | instid1(VALU_DEP_4)
	v_cmp_eq_u32_e64 s9, 0, v16
	v_cndmask_b32_e32 v18, v25, v47, vcc_lo
	v_dual_cndmask_b32 v16, v23, v48 :: v_dual_and_b32 v23, 0x80000000, v13
	s_and_b32 vcc_lo, s8, s7
	s_delay_alu instid0(VALU_DEP_2) | instskip(NEXT) | instid1(VALU_DEP_2)
	v_cndmask_b32_e64 v13, 0, v18, s6
	v_xor_b32_e32 v14, v16, v14
	s_delay_alu instid0(VALU_DEP_1) | instskip(SKIP_3) | instid1(VALU_DEP_3)
	v_cndmask_b32_e64 v14, 0x7ff80000, v14, s6
	v_cndmask_b32_e64 v15, 0x7ff00000, v28, s7
	;; [unrolled: 1-line block ×5, first 2 shown]
	s_delay_alu instid0(VALU_DEP_3) | instskip(NEXT) | instid1(VALU_DEP_3)
	v_xor_b32_e32 v16, v25, v23
	v_cndmask_b32_e64 v15, 0, v24, s6
	v_cndmask_b32_e32 v23, 0, v27, vcc_lo
	s_delay_alu instid0(VALU_DEP_4) | instskip(NEXT) | instid1(VALU_DEP_4)
	v_and_or_b32 v24, v26, s97, 0x7fe00000
	v_cndmask_b32_e64 v16, 0x7ff80000, v16, s6
	v_lshrrev_b32_e32 v18, 20, v26
	s_delay_alu instid0(VALU_DEP_3) | instskip(NEXT) | instid1(VALU_DEP_3)
	v_mul_f64 v[13:14], v[23:24], v[13:14]
	v_mul_f64 v[15:16], v[23:24], v[15:16]
	s_delay_alu instid0(VALU_DEP_3) | instskip(NEXT) | instid1(VALU_DEP_1)
	v_add_nc_u32_e32 v23, 0xffffff09, v18
	v_lshrrev_b16 v18, 15, v23
	s_delay_alu instid0(VALU_DEP_1) | instskip(NEXT) | instid1(VALU_DEP_1)
	v_add_nc_u16 v18, v23, v18
	v_ashrrev_i16 v18, 1, v18
	s_delay_alu instid0(VALU_DEP_1) | instskip(NEXT) | instid1(VALU_DEP_1)
	v_bfe_i32 v24, v18, 0, 16
	v_lshl_add_u32 v18, v24, 20, 0x3ff00000
	s_delay_alu instid0(VALU_DEP_1) | instskip(SKIP_3) | instid1(VALU_DEP_2)
	v_mul_f64 v[13:14], v[13:14], v[17:18]
	v_mul_f64 v[15:16], v[15:16], v[17:18]
	v_sub_nc_u32_e32 v18, v23, v24
	v_mov_b32_e32 v23, v17
	v_lshl_add_u32 v24, v18, 20, 0x3ff00000
	s_delay_alu instid0(VALU_DEP_1)
	v_mul_f64 v[25:26], v[13:14], v[23:24]
	v_mul_f64 v[23:24], v[15:16], v[23:24]
.LBB254_87:                             ;   in Loop: Header=BB254_4 Depth=1
	s_or_b32 exec_lo, exec_lo, s40
                                        ; implicit-def: $vgpr27_vgpr28
                                        ; implicit-def: $vgpr13_vgpr14
                                        ; implicit-def: $vgpr18
.LBB254_88:                             ;   in Loop: Header=BB254_4 Depth=1
	s_and_not1_saveexec_b32 s7, s100
	s_cbranch_execz .LBB254_94
; %bb.89:                               ;   in Loop: Header=BB254_4 Depth=1
	v_add_f64 v[23:24], v[15:16], -v[15:16]
	v_cmp_ne_u32_e32 vcc_lo, 0, v27
	v_cmp_ne_u32_e64 s6, 0x7ff00000, v18
	s_delay_alu instid0(VALU_DEP_1) | instskip(NEXT) | instid1(SALU_CYCLE_1)
	s_or_b32 s6, vcc_lo, s6
	s_and_saveexec_b32 s8, s6
	s_delay_alu instid0(SALU_CYCLE_1)
	s_xor_b32 s6, exec_lo, s8
; %bb.90:                               ;   in Loop: Header=BB254_4 Depth=1
                                        ; implicit-def: $vgpr27_vgpr28
                                        ; implicit-def: $vgpr13_vgpr14
; %bb.91:                               ;   in Loop: Header=BB254_4 Depth=1
	s_delay_alu instid0(SALU_CYCLE_1) | instskip(NEXT) | instid1(VALU_DEP_3)
	s_or_saveexec_b32 s6, s6
	v_dual_mov_b32 v26, v24 :: v_dual_mov_b32 v25, v23
	s_xor_b32 exec_lo, exec_lo, s6
; %bb.92:                               ;   in Loop: Header=BB254_4 Depth=1
	v_cmp_lt_i64_e32 vcc_lo, -1, v[27:28]
	v_dual_cndmask_b32 v26, 0, v28 :: v_dual_cndmask_b32 v25, 0, v13
	v_dual_cndmask_b32 v24, 0, v24 :: v_dual_cndmask_b32 v23, 0, v23
; %bb.93:                               ;   in Loop: Header=BB254_4 Depth=1
	s_or_b32 exec_lo, exec_lo, s6
.LBB254_94:                             ;   in Loop: Header=BB254_4 Depth=1
	s_delay_alu instid0(SALU_CYCLE_1)
	s_or_b32 exec_lo, exec_lo, s7
                                        ; implicit-def: $vgpr15_vgpr16
.LBB254_95:                             ;   in Loop: Header=BB254_4 Depth=1
	s_and_not1_saveexec_b32 s8, s99
	s_cbranch_execz .LBB254_105
; %bb.96:                               ;   in Loop: Header=BB254_4 Depth=1
	v_cmp_ngt_f64_e64 s7, 0x41d00000, |v[15:16]|
	v_trig_preop_f64 v[31:32], |v[15:16]|, 0
	v_trig_preop_f64 v[29:30], |v[15:16]|, 1
	v_ldexp_f64 v[33:34], |v[15:16]|, 0xffffff80
	v_trig_preop_f64 v[27:28], |v[15:16]|, 2
	v_and_b32_e32 v47, 0x7fffffff, v16
                                        ; implicit-def: $vgpr23
                                        ; implicit-def: $vgpr13_vgpr14
                                        ; implicit-def: $vgpr25_vgpr26
	s_and_saveexec_b32 s6, s7
	s_delay_alu instid0(SALU_CYCLE_1)
	s_xor_b32 s9, exec_lo, s6
	s_cbranch_execz .LBB254_98
; %bb.97:                               ;   in Loop: Header=BB254_4 Depth=1
	v_cmp_le_f64_e64 vcc_lo, 0x7b000000, |v[15:16]|
	s_mov_b32 s24, s26
	s_mov_b32 s31, s29
	s_delay_alu instid0(VALU_DEP_4) | instskip(SKIP_1) | instid1(VALU_DEP_1)
	v_cndmask_b32_e32 v14, v47, v34, vcc_lo
	v_cndmask_b32_e32 v13, v15, v33, vcc_lo
	v_mul_f64 v[25:26], v[31:32], v[13:14]
	v_mul_f64 v[35:36], v[29:30], v[13:14]
	s_delay_alu instid0(VALU_DEP_2) | instskip(NEXT) | instid1(VALU_DEP_2)
	v_fma_f64 v[37:38], v[31:32], v[13:14], -v[25:26]
	v_fma_f64 v[58:59], v[29:30], v[13:14], -v[35:36]
	s_delay_alu instid0(VALU_DEP_2) | instskip(NEXT) | instid1(VALU_DEP_1)
	v_add_f64 v[48:49], v[35:36], v[37:38]
	v_add_f64 v[50:51], v[48:49], -v[35:36]
	v_add_f64 v[54:55], v[25:26], v[48:49]
	s_delay_alu instid0(VALU_DEP_2) | instskip(SKIP_1) | instid1(VALU_DEP_3)
	v_add_f64 v[52:53], v[48:49], -v[50:51]
	v_add_f64 v[37:38], v[37:38], -v[50:51]
	v_ldexp_f64 v[50:51], v[54:55], -2
	v_add_f64 v[25:26], v[54:55], -v[25:26]
	s_delay_alu instid0(VALU_DEP_4) | instskip(NEXT) | instid1(VALU_DEP_3)
	v_add_f64 v[35:36], v[35:36], -v[52:53]
	v_cmp_neq_f64_e64 vcc_lo, 0x7ff00000, |v[50:51]|
	s_delay_alu instid0(VALU_DEP_3) | instskip(NEXT) | instid1(VALU_DEP_3)
	v_add_f64 v[25:26], v[48:49], -v[25:26]
	v_add_f64 v[35:36], v[37:38], v[35:36]
	v_fract_f64_e32 v[37:38], v[50:51]
	s_delay_alu instid0(VALU_DEP_1) | instskip(SKIP_1) | instid1(VALU_DEP_2)
	v_dual_cndmask_b32 v38, 0, v38 :: v_dual_cndmask_b32 v37, 0, v37
	v_mul_f64 v[56:57], v[27:28], v[13:14]
	v_ldexp_f64 v[37:38], v[37:38], 2
	s_delay_alu instid0(VALU_DEP_2) | instskip(SKIP_1) | instid1(VALU_DEP_2)
	v_add_f64 v[52:53], v[56:57], v[58:59]
	v_fma_f64 v[13:14], v[27:28], v[13:14], -v[56:57]
	v_add_f64 v[48:49], v[52:53], v[35:36]
	s_delay_alu instid0(VALU_DEP_1) | instskip(SKIP_1) | instid1(VALU_DEP_2)
	v_add_f64 v[50:51], v[25:26], v[48:49]
	v_add_f64 v[60:61], v[48:49], -v[52:53]
	v_add_f64 v[54:55], v[50:51], v[37:38]
	s_delay_alu instid0(VALU_DEP_2) | instskip(SKIP_2) | instid1(VALU_DEP_4)
	v_add_f64 v[66:67], v[48:49], -v[60:61]
	v_add_f64 v[35:36], v[35:36], -v[60:61]
	;; [unrolled: 1-line block ×3, first 2 shown]
	v_cmp_gt_f64_e32 vcc_lo, 0, v[54:55]
	v_add_f64 v[54:55], v[52:53], -v[56:57]
	s_delay_alu instid0(VALU_DEP_3) | instskip(SKIP_1) | instid1(VALU_DEP_3)
	v_add_f64 v[25:26], v[48:49], -v[25:26]
	v_cndmask_b32_e64 v18, 0, 0x40100000, vcc_lo
	v_add_f64 v[64:65], v[52:53], -v[54:55]
	v_add_f64 v[54:55], v[58:59], -v[54:55]
	v_add_f64 v[52:53], v[52:53], -v[66:67]
	s_delay_alu instid0(VALU_DEP_4) | instskip(NEXT) | instid1(VALU_DEP_4)
	v_add_f64 v[37:38], v[37:38], v[17:18]
	v_add_f64 v[58:59], v[56:57], -v[64:65]
	s_delay_alu instid0(VALU_DEP_3) | instskip(NEXT) | instid1(VALU_DEP_3)
	v_add_f64 v[35:36], v[35:36], v[52:53]
	v_add_f64 v[62:63], v[50:51], v[37:38]
	s_delay_alu instid0(VALU_DEP_3) | instskip(NEXT) | instid1(VALU_DEP_2)
	v_add_f64 v[54:55], v[54:55], v[58:59]
	v_cvt_i32_f64_e32 v18, v[62:63]
	s_delay_alu instid0(VALU_DEP_2) | instskip(NEXT) | instid1(VALU_DEP_2)
	v_add_f64 v[35:36], v[54:55], v[35:36]
	v_cvt_f64_i32_e32 v[60:61], v18
	s_delay_alu instid0(VALU_DEP_2) | instskip(NEXT) | instid1(VALU_DEP_2)
	v_add_f64 v[13:14], v[13:14], v[35:36]
	v_add_f64 v[37:38], v[37:38], -v[60:61]
	s_delay_alu instid0(VALU_DEP_2) | instskip(NEXT) | instid1(VALU_DEP_2)
	v_add_f64 v[13:14], v[25:26], v[13:14]
	v_add_f64 v[52:53], v[50:51], v[37:38]
	s_delay_alu instid0(VALU_DEP_1) | instskip(SKIP_1) | instid1(VALU_DEP_2)
	v_add_f64 v[35:36], v[52:53], -v[37:38]
	v_cmp_le_f64_e32 vcc_lo, 0.5, v[52:53]
	v_add_f64 v[25:26], v[50:51], -v[35:36]
	v_add_co_ci_u32_e64 v23, s6, 0, v18, vcc_lo
	v_cndmask_b32_e64 v18, 0, 0x3ff00000, vcc_lo
	s_delay_alu instid0(VALU_DEP_3) | instskip(NEXT) | instid1(VALU_DEP_2)
	v_add_f64 v[13:14], v[13:14], v[25:26]
	v_add_f64 v[25:26], v[52:53], -v[17:18]
	s_delay_alu instid0(VALU_DEP_1) | instskip(NEXT) | instid1(VALU_DEP_1)
	v_add_f64 v[35:36], v[25:26], v[13:14]
	v_mul_f64 v[37:38], v[35:36], s[24:25]
	v_add_f64 v[25:26], v[35:36], -v[25:26]
	s_delay_alu instid0(VALU_DEP_2) | instskip(NEXT) | instid1(VALU_DEP_2)
	v_fma_f64 v[48:49], v[35:36], s[24:25], -v[37:38]
	v_add_f64 v[13:14], v[13:14], -v[25:26]
	s_delay_alu instid0(VALU_DEP_2) | instskip(NEXT) | instid1(VALU_DEP_1)
	v_fma_f64 v[25:26], v[35:36], s[30:31], v[48:49]
	v_fma_f64 v[25:26], v[13:14], s[24:25], v[25:26]
	s_delay_alu instid0(VALU_DEP_1) | instskip(NEXT) | instid1(VALU_DEP_1)
	v_add_f64 v[13:14], v[37:38], v[25:26]
	v_add_f64 v[35:36], v[13:14], -v[37:38]
	s_delay_alu instid0(VALU_DEP_1)
	v_add_f64 v[25:26], v[25:26], -v[35:36]
	s_and_not1_saveexec_b32 s6, s9
	s_cbranch_execz .LBB254_100
	s_branch .LBB254_99
.LBB254_98:                             ;   in Loop: Header=BB254_4 Depth=1
	s_and_not1_saveexec_b32 s6, s9
	s_cbranch_execz .LBB254_100
.LBB254_99:                             ;   in Loop: Header=BB254_4 Depth=1
	v_mul_f64 v[13:14], |v[15:16]|, s[34:35]
	s_mov_b32 s28, s36
	s_delay_alu instid0(VALU_DEP_1) | instskip(NEXT) | instid1(VALU_DEP_1)
	v_rndne_f64_e32 v[35:36], v[13:14]
	v_fma_f64 v[13:14], v[35:36], s[26:27], |v[15:16]|
	v_mul_f64 v[25:26], v[35:36], s[36:37]
	v_cvt_i32_f64_e32 v23, v[35:36]
	s_delay_alu instid0(VALU_DEP_3) | instskip(NEXT) | instid1(VALU_DEP_3)
	v_fma_f64 v[48:49], v[35:36], s[36:37], v[13:14]
	v_add_f64 v[37:38], v[13:14], v[25:26]
	s_delay_alu instid0(VALU_DEP_1) | instskip(NEXT) | instid1(VALU_DEP_3)
	v_add_f64 v[13:14], v[13:14], -v[37:38]
	v_add_f64 v[37:38], v[37:38], -v[48:49]
	s_delay_alu instid0(VALU_DEP_2) | instskip(SKIP_1) | instid1(VALU_DEP_2)
	v_add_f64 v[13:14], v[13:14], v[25:26]
	v_fma_f64 v[25:26], v[35:36], s[28:29], v[25:26]
	v_add_f64 v[13:14], v[37:38], v[13:14]
	s_delay_alu instid0(VALU_DEP_1) | instskip(NEXT) | instid1(VALU_DEP_1)
	v_add_f64 v[13:14], v[13:14], -v[25:26]
	v_fma_f64 v[25:26], v[35:36], s[38:39], v[13:14]
	s_delay_alu instid0(VALU_DEP_1) | instskip(NEXT) | instid1(VALU_DEP_1)
	v_add_f64 v[13:14], v[48:49], v[25:26]
	v_add_f64 v[37:38], v[13:14], -v[48:49]
	s_delay_alu instid0(VALU_DEP_1)
	v_add_f64 v[25:26], v[25:26], -v[37:38]
.LBB254_100:                            ;   in Loop: Header=BB254_4 Depth=1
	s_or_b32 exec_lo, exec_lo, s6
                                        ; implicit-def: $vgpr48
                                        ; implicit-def: $vgpr35_vgpr36
                                        ; implicit-def: $vgpr37_vgpr38
	s_and_saveexec_b32 s6, s7
	s_delay_alu instid0(SALU_CYCLE_1)
	s_xor_b32 s7, exec_lo, s6
	s_cbranch_execz .LBB254_102
; %bb.101:                              ;   in Loop: Header=BB254_4 Depth=1
	v_cmp_le_f64_e64 vcc_lo, 0x7b000000, |v[15:16]|
	s_mov_b32 s24, s26
	s_mov_b32 s31, s29
	s_delay_alu instid0(VALU_DEP_4) | instskip(SKIP_1) | instid1(VALU_DEP_1)
	v_cndmask_b32_e32 v34, v47, v34, vcc_lo
	v_cndmask_b32_e32 v33, v15, v33, vcc_lo
	v_mul_f64 v[35:36], v[31:32], v[33:34]
	v_mul_f64 v[37:38], v[29:30], v[33:34]
	s_delay_alu instid0(VALU_DEP_2) | instskip(NEXT) | instid1(VALU_DEP_2)
	v_fma_f64 v[31:32], v[31:32], v[33:34], -v[35:36]
	v_fma_f64 v[29:30], v[29:30], v[33:34], -v[37:38]
	s_delay_alu instid0(VALU_DEP_2) | instskip(NEXT) | instid1(VALU_DEP_1)
	v_add_f64 v[47:48], v[37:38], v[31:32]
	v_add_f64 v[49:50], v[47:48], -v[37:38]
	v_add_f64 v[53:54], v[35:36], v[47:48]
	s_delay_alu instid0(VALU_DEP_2) | instskip(SKIP_1) | instid1(VALU_DEP_3)
	v_add_f64 v[51:52], v[47:48], -v[49:50]
	v_add_f64 v[31:32], v[31:32], -v[49:50]
	v_ldexp_f64 v[49:50], v[53:54], -2
	v_add_f64 v[35:36], v[53:54], -v[35:36]
	s_delay_alu instid0(VALU_DEP_4) | instskip(NEXT) | instid1(VALU_DEP_3)
	v_add_f64 v[37:38], v[37:38], -v[51:52]
	v_cmp_neq_f64_e64 vcc_lo, 0x7ff00000, |v[49:50]|
	s_delay_alu instid0(VALU_DEP_3) | instskip(NEXT) | instid1(VALU_DEP_3)
	v_add_f64 v[35:36], v[47:48], -v[35:36]
	v_add_f64 v[31:32], v[31:32], v[37:38]
	v_fract_f64_e32 v[37:38], v[49:50]
	s_delay_alu instid0(VALU_DEP_1) | instskip(SKIP_1) | instid1(VALU_DEP_2)
	v_dual_cndmask_b32 v38, 0, v38 :: v_dual_cndmask_b32 v37, 0, v37
	v_mul_f64 v[55:56], v[27:28], v[33:34]
	v_ldexp_f64 v[37:38], v[37:38], 2
	s_delay_alu instid0(VALU_DEP_2) | instskip(SKIP_1) | instid1(VALU_DEP_2)
	v_add_f64 v[51:52], v[55:56], v[29:30]
	v_fma_f64 v[27:28], v[27:28], v[33:34], -v[55:56]
	v_add_f64 v[47:48], v[51:52], v[31:32]
	s_delay_alu instid0(VALU_DEP_1) | instskip(SKIP_1) | instid1(VALU_DEP_2)
	v_add_f64 v[49:50], v[35:36], v[47:48]
	v_add_f64 v[57:58], v[47:48], -v[51:52]
	v_add_f64 v[53:54], v[49:50], v[37:38]
	s_delay_alu instid0(VALU_DEP_2) | instskip(SKIP_2) | instid1(VALU_DEP_4)
	v_add_f64 v[63:64], v[47:48], -v[57:58]
	v_add_f64 v[31:32], v[31:32], -v[57:58]
	;; [unrolled: 1-line block ×3, first 2 shown]
	v_cmp_gt_f64_e32 vcc_lo, 0, v[53:54]
	v_add_f64 v[53:54], v[51:52], -v[55:56]
	s_delay_alu instid0(VALU_DEP_3) | instskip(SKIP_1) | instid1(VALU_DEP_3)
	v_add_f64 v[33:34], v[47:48], -v[33:34]
	v_cndmask_b32_e64 v18, 0, 0x40100000, vcc_lo
	v_add_f64 v[61:62], v[51:52], -v[53:54]
	v_add_f64 v[29:30], v[29:30], -v[53:54]
	;; [unrolled: 1-line block ×3, first 2 shown]
	s_delay_alu instid0(VALU_DEP_4) | instskip(NEXT) | instid1(VALU_DEP_4)
	v_add_f64 v[37:38], v[37:38], v[17:18]
	v_add_f64 v[53:54], v[55:56], -v[61:62]
	s_delay_alu instid0(VALU_DEP_3) | instskip(NEXT) | instid1(VALU_DEP_3)
	v_add_f64 v[31:32], v[31:32], v[51:52]
	v_add_f64 v[59:60], v[49:50], v[37:38]
	s_delay_alu instid0(VALU_DEP_3) | instskip(NEXT) | instid1(VALU_DEP_2)
	v_add_f64 v[29:30], v[29:30], v[53:54]
	v_cvt_i32_f64_e32 v18, v[59:60]
	s_delay_alu instid0(VALU_DEP_2) | instskip(NEXT) | instid1(VALU_DEP_2)
	v_add_f64 v[29:30], v[29:30], v[31:32]
	v_cvt_f64_i32_e32 v[57:58], v18
	s_delay_alu instid0(VALU_DEP_2) | instskip(NEXT) | instid1(VALU_DEP_2)
	v_add_f64 v[27:28], v[27:28], v[29:30]
	v_add_f64 v[37:38], v[37:38], -v[57:58]
	s_delay_alu instid0(VALU_DEP_2) | instskip(NEXT) | instid1(VALU_DEP_2)
	v_add_f64 v[27:28], v[33:34], v[27:28]
	v_add_f64 v[31:32], v[49:50], v[37:38]
	s_delay_alu instid0(VALU_DEP_1) | instskip(SKIP_1) | instid1(VALU_DEP_2)
	v_add_f64 v[29:30], v[31:32], -v[37:38]
	v_cmp_le_f64_e32 vcc_lo, 0.5, v[31:32]
	v_add_f64 v[29:30], v[49:50], -v[29:30]
	v_add_co_ci_u32_e64 v48, s6, 0, v18, vcc_lo
	v_cndmask_b32_e64 v18, 0, 0x3ff00000, vcc_lo
	s_delay_alu instid0(VALU_DEP_3) | instskip(NEXT) | instid1(VALU_DEP_2)
	v_add_f64 v[27:28], v[27:28], v[29:30]
	v_add_f64 v[29:30], v[31:32], -v[17:18]
	s_delay_alu instid0(VALU_DEP_1) | instskip(NEXT) | instid1(VALU_DEP_1)
	v_add_f64 v[31:32], v[29:30], v[27:28]
	v_mul_f64 v[33:34], v[31:32], s[24:25]
	v_add_f64 v[29:30], v[31:32], -v[29:30]
	s_delay_alu instid0(VALU_DEP_2) | instskip(NEXT) | instid1(VALU_DEP_2)
	v_fma_f64 v[35:36], v[31:32], s[24:25], -v[33:34]
	v_add_f64 v[27:28], v[27:28], -v[29:30]
	s_delay_alu instid0(VALU_DEP_2) | instskip(NEXT) | instid1(VALU_DEP_1)
	v_fma_f64 v[29:30], v[31:32], s[30:31], v[35:36]
	v_fma_f64 v[27:28], v[27:28], s[24:25], v[29:30]
	s_delay_alu instid0(VALU_DEP_1) | instskip(NEXT) | instid1(VALU_DEP_1)
	v_add_f64 v[35:36], v[33:34], v[27:28]
	v_add_f64 v[29:30], v[35:36], -v[33:34]
	s_delay_alu instid0(VALU_DEP_1)
	v_add_f64 v[37:38], v[27:28], -v[29:30]
	s_and_not1_saveexec_b32 s6, s7
	s_cbranch_execnz .LBB254_103
	s_branch .LBB254_104
.LBB254_102:                            ;   in Loop: Header=BB254_4 Depth=1
	s_and_not1_saveexec_b32 s6, s7
	s_cbranch_execz .LBB254_104
.LBB254_103:                            ;   in Loop: Header=BB254_4 Depth=1
	v_mul_f64 v[27:28], |v[15:16]|, s[34:35]
	s_mov_b32 s28, s36
	s_delay_alu instid0(VALU_DEP_1) | instskip(NEXT) | instid1(VALU_DEP_1)
	v_rndne_f64_e32 v[27:28], v[27:28]
	v_fma_f64 v[29:30], v[27:28], s[26:27], |v[15:16]|
	v_mul_f64 v[31:32], v[27:28], s[36:37]
	v_cvt_i32_f64_e32 v48, v[27:28]
	s_delay_alu instid0(VALU_DEP_3) | instskip(NEXT) | instid1(VALU_DEP_3)
	v_fma_f64 v[37:38], v[27:28], s[36:37], v[29:30]
	v_add_f64 v[33:34], v[29:30], v[31:32]
	s_delay_alu instid0(VALU_DEP_1) | instskip(NEXT) | instid1(VALU_DEP_3)
	v_add_f64 v[29:30], v[29:30], -v[33:34]
	v_add_f64 v[33:34], v[33:34], -v[37:38]
	s_delay_alu instid0(VALU_DEP_2) | instskip(SKIP_1) | instid1(VALU_DEP_2)
	v_add_f64 v[29:30], v[29:30], v[31:32]
	v_fma_f64 v[31:32], v[27:28], s[28:29], v[31:32]
	v_add_f64 v[29:30], v[33:34], v[29:30]
	s_delay_alu instid0(VALU_DEP_1) | instskip(NEXT) | instid1(VALU_DEP_1)
	v_add_f64 v[29:30], v[29:30], -v[31:32]
	v_fma_f64 v[29:30], v[27:28], s[38:39], v[29:30]
	s_delay_alu instid0(VALU_DEP_1) | instskip(NEXT) | instid1(VALU_DEP_1)
	v_add_f64 v[35:36], v[37:38], v[29:30]
	v_add_f64 v[31:32], v[35:36], -v[37:38]
	s_delay_alu instid0(VALU_DEP_1)
	v_add_f64 v[37:38], v[29:30], -v[31:32]
.LBB254_104:                            ;   in Loop: Header=BB254_4 Depth=1
	s_or_b32 exec_lo, exec_lo, s6
	v_mul_f64 v[27:28], v[13:14], v[13:14]
	v_mul_f64 v[29:30], v[35:36], v[35:36]
	s_delay_alu instid0(VALU_DEP_3) | instskip(NEXT) | instid1(VALU_DEP_4)
	v_mul_f64 v[61:62], v[25:26], 0.5
	v_mul_f64 v[67:68], v[37:38], 0.5
	s_mov_b32 s92, s62
	v_cmp_class_f64_e64 s6, v[15:16], 0x1f8
	v_and_b32_e32 v18, 1, v23
	v_lshlrev_b32_e32 v15, 30, v48
	v_and_b32_e32 v16, 1, v48
	s_delay_alu instid0(VALU_DEP_3) | instskip(SKIP_1) | instid1(VALU_DEP_4)
	v_cmp_eq_u32_e32 vcc_lo, 0, v18
	v_lshlrev_b32_e32 v18, 30, v23
	v_xor_b32_e32 v15, v15, v24
	s_delay_alu instid0(VALU_DEP_4) | instskip(NEXT) | instid1(VALU_DEP_3)
	v_cmp_eq_u32_e64 s7, 0, v16
	v_and_b32_e32 v16, 0x80000000, v18
	v_fma_f64 v[31:32], v[27:28], s[80:81], s[78:79]
	v_fma_f64 v[33:34], v[29:30], s[80:81], s[78:79]
	;; [unrolled: 1-line block ×3, first 2 shown]
	v_mul_f64 v[51:52], v[27:28], 0.5
	v_fma_f64 v[53:54], v[29:30], s[70:71], s[68:69]
	v_mul_f64 v[55:56], v[29:30], 0.5
	v_mul_f64 v[63:64], v[13:14], -v[27:28]
	v_mul_f64 v[69:70], v[35:36], -v[29:30]
	v_fma_f64 v[31:32], v[27:28], v[31:32], s[82:83]
	v_fma_f64 v[33:34], v[29:30], v[33:34], s[82:83]
	;; [unrolled: 1-line block ×3, first 2 shown]
	v_add_f64 v[57:58], -v[51:52], 1.0
	v_fma_f64 v[53:54], v[29:30], v[53:54], s[72:73]
	v_add_f64 v[59:60], -v[55:56], 1.0
	v_fma_f64 v[31:32], v[27:28], v[31:32], s[84:85]
	v_fma_f64 v[33:34], v[29:30], v[33:34], s[84:85]
	;; [unrolled: 1-line block ×3, first 2 shown]
	v_add_f64 v[65:66], -v[57:58], 1.0
	v_fma_f64 v[53:54], v[29:30], v[53:54], s[74:75]
	v_add_f64 v[71:72], -v[59:60], 1.0
	v_fma_f64 v[31:32], v[27:28], v[31:32], s[60:61]
	v_fma_f64 v[33:34], v[29:30], v[33:34], s[60:61]
	;; [unrolled: 1-line block ×3, first 2 shown]
	v_add_f64 v[51:52], v[65:66], -v[51:52]
	v_fma_f64 v[53:54], v[29:30], v[53:54], s[76:77]
	v_add_f64 v[55:56], v[71:72], -v[55:56]
	v_fma_f64 v[31:32], v[63:64], v[31:32], v[61:62]
	v_fma_f64 v[33:34], v[69:70], v[33:34], v[67:68]
	v_mul_f64 v[61:62], v[27:28], v[27:28]
	v_fma_f64 v[49:50], v[27:28], v[49:50], s[62:63]
	v_fma_f64 v[51:52], v[13:14], -v[25:26], v[51:52]
	v_fma_f64 v[25:26], v[27:28], v[31:32], -v[25:26]
	v_mul_f64 v[27:28], v[29:30], v[29:30]
	v_fma_f64 v[31:32], v[29:30], v[53:54], s[62:63]
	v_fma_f64 v[53:54], v[35:36], -v[37:38], v[55:56]
	v_fma_f64 v[29:30], v[29:30], v[33:34], -v[37:38]
	v_fma_f64 v[33:34], v[61:62], v[49:50], v[51:52]
	v_fma_f64 v[25:26], v[63:64], s[92:93], v[25:26]
	s_delay_alu instid0(VALU_DEP_4) | instskip(NEXT) | instid1(VALU_DEP_4)
	v_fma_f64 v[27:28], v[27:28], v[31:32], v[53:54]
	v_fma_f64 v[29:30], v[69:70], s[92:93], v[29:30]
	s_delay_alu instid0(VALU_DEP_4) | instskip(NEXT) | instid1(VALU_DEP_4)
	v_add_f64 v[31:32], v[57:58], v[33:34]
	v_add_f64 v[13:14], v[13:14], -v[25:26]
	s_delay_alu instid0(VALU_DEP_4) | instskip(NEXT) | instid1(VALU_DEP_4)
	v_add_f64 v[25:26], v[59:60], v[27:28]
	v_add_f64 v[27:28], v[35:36], -v[29:30]
	s_delay_alu instid0(VALU_DEP_3) | instskip(NEXT) | instid1(VALU_DEP_4)
	v_cndmask_b32_e32 v13, v13, v31, vcc_lo
	v_xor_b32_e32 v14, 0x80000000, v14
	v_and_b32_e32 v15, 0x80000000, v15
	s_delay_alu instid0(VALU_DEP_4) | instskip(SKIP_1) | instid1(VALU_DEP_4)
	v_cndmask_b32_e64 v23, v26, v28, s7
	v_cndmask_b32_e64 v18, v25, v27, s7
	v_cndmask_b32_e32 v14, v14, v32, vcc_lo
	v_cndmask_b32_e64 v25, 0, v13, s6
	s_delay_alu instid0(VALU_DEP_4) | instskip(NEXT) | instid1(VALU_DEP_4)
	v_xor_b32_e32 v15, v23, v15
	v_cndmask_b32_e64 v23, 0, v18, s6
	s_delay_alu instid0(VALU_DEP_4) | instskip(NEXT) | instid1(VALU_DEP_3)
	v_xor_b32_e32 v14, v14, v16
	v_cndmask_b32_e64 v24, 0x7ff80000, v15, s6
	s_delay_alu instid0(VALU_DEP_2)
	v_cndmask_b32_e64 v26, 0x7ff80000, v14, s6
.LBB254_105:                            ;   in Loop: Header=BB254_4 Depth=1
	s_or_b32 exec_lo, exec_lo, s8
                                        ; implicit-def: $vgpr13_vgpr14
.LBB254_106:                            ;   in Loop: Header=BB254_4 Depth=1
	s_and_not1_saveexec_b32 s7, s98
	s_cbranch_execz .LBB254_108
; %bb.107:                              ;   in Loop: Header=BB254_4 Depth=1
	s_mov_b32 s40, s42
	s_mov_b32 s89, s61
	v_mul_f64 v[15:16], v[13:14], s[40:41]
	s_mov_b32 s91, s63
	v_cmp_ngt_f64_e32 vcc_lo, 0xc0900000, v[13:14]
	v_cmp_nlt_f64_e64 s6, 0x4090cc00, v[13:14]
	s_delay_alu instid0(VALU_DEP_3) | instskip(NEXT) | instid1(VALU_DEP_1)
	v_rndne_f64_e32 v[15:16], v[15:16]
	v_fma_f64 v[25:26], v[15:16], s[44:45], -v[13:14]
	v_cvt_i32_f64_e32 v18, v[15:16]
	s_delay_alu instid0(VALU_DEP_2) | instskip(NEXT) | instid1(VALU_DEP_1)
	v_fma_f64 v[25:26], v[15:16], s[46:47], v[25:26]
	v_fma_f64 v[27:28], v[25:26], s[50:51], s[48:49]
	s_delay_alu instid0(VALU_DEP_1) | instskip(NEXT) | instid1(VALU_DEP_1)
	v_fma_f64 v[27:28], v[25:26], v[27:28], s[52:53]
	v_fma_f64 v[27:28], v[25:26], v[27:28], s[54:55]
	s_delay_alu instid0(VALU_DEP_1) | instskip(NEXT) | instid1(VALU_DEP_1)
	;; [unrolled: 3-line block ×5, first 2 shown]
	v_fma_f64 v[27:28], v[25:26], v[27:28], 1.0
	v_fma_f64 v[15:16], v[25:26], v[27:28], 1.0
	s_delay_alu instid0(VALU_DEP_1) | instskip(NEXT) | instid1(VALU_DEP_1)
	v_ldexp_f64 v[15:16], v[15:16], v18
	v_cndmask_b32_e32 v16, 0x7ff00000, v16, vcc_lo
	s_and_b32 vcc_lo, s6, vcc_lo
	s_delay_alu instid0(VALU_DEP_2) | instskip(NEXT) | instid1(VALU_DEP_2)
	v_cndmask_b32_e32 v25, 0, v15, vcc_lo
	v_cndmask_b32_e64 v26, 0, v16, s6
.LBB254_108:                            ;   in Loop: Header=BB254_4 Depth=1
	s_or_b32 exec_lo, exec_lo, s7
	s_delay_alu instid0(VALU_DEP_1) | instskip(NEXT) | instid1(VALU_DEP_2)
	v_add_f64 v[25:26], s[12:13], v[25:26]
	v_add_f64 v[23:24], s[14:15], v[23:24]
                                        ; implicit-def: $vgpr15_vgpr16
	s_delay_alu instid0(VALU_DEP_2) | instskip(NEXT) | instid1(VALU_DEP_2)
	v_cmp_gt_f64_e32 vcc_lo, 0, v[25:26]
	v_cmp_gt_f64_e64 s6, 0, v[23:24]
	v_xor_b32_e32 v13, 0x80000000, v26
	v_xor_b32_e32 v14, 0x80000000, v24
	s_delay_alu instid0(VALU_DEP_2) | instskip(NEXT) | instid1(VALU_DEP_2)
	v_cndmask_b32_e32 v28, v26, v13, vcc_lo
	v_cndmask_b32_e64 v30, v24, v14, s6
	v_cndmask_b32_e32 v27, v25, v25, vcc_lo
	v_cndmask_b32_e64 v29, v23, v23, s6
	s_mov_b32 s6, exec_lo
	s_delay_alu instid0(VALU_DEP_1)
	v_cmpx_ge_f64_e32 v[27:28], v[29:30]
	s_xor_b32 s7, exec_lo, s6
	s_cbranch_execz .LBB254_114
; %bb.109:                              ;   in Loop: Header=BB254_4 Depth=1
	v_cmp_neq_f64_e32 vcc_lo, 0, v[25:26]
	v_cmp_neq_f64_e64 s6, 0, v[23:24]
                                        ; implicit-def: $vgpr15_vgpr16
	s_delay_alu instid0(VALU_DEP_1) | instskip(NEXT) | instid1(SALU_CYCLE_1)
	s_or_b32 s6, vcc_lo, s6
	s_and_saveexec_b32 s8, s6
	s_delay_alu instid0(SALU_CYCLE_1)
	s_xor_b32 s6, exec_lo, s8
	s_cbranch_execz .LBB254_111
; %bb.110:                              ;   in Loop: Header=BB254_4 Depth=1
	v_div_scale_f64 v[13:14], null, v[25:26], v[25:26], v[23:24]
	v_div_scale_f64 v[29:30], vcc_lo, v[23:24], v[25:26], v[23:24]
	s_delay_alu instid0(VALU_DEP_2) | instskip(SKIP_2) | instid1(VALU_DEP_1)
	v_rcp_f64_e32 v[15:16], v[13:14]
	s_waitcnt_depctr 0xfff
	v_fma_f64 v[27:28], -v[13:14], v[15:16], 1.0
	v_fma_f64 v[15:16], v[15:16], v[27:28], v[15:16]
	s_delay_alu instid0(VALU_DEP_1) | instskip(NEXT) | instid1(VALU_DEP_1)
	v_fma_f64 v[27:28], -v[13:14], v[15:16], 1.0
	v_fma_f64 v[15:16], v[15:16], v[27:28], v[15:16]
	s_delay_alu instid0(VALU_DEP_1) | instskip(NEXT) | instid1(VALU_DEP_1)
	v_mul_f64 v[27:28], v[29:30], v[15:16]
	v_fma_f64 v[13:14], -v[13:14], v[27:28], v[29:30]
	s_delay_alu instid0(VALU_DEP_1) | instskip(NEXT) | instid1(VALU_DEP_1)
	v_div_fmas_f64 v[13:14], v[13:14], v[15:16], v[27:28]
	v_div_fixup_f64 v[13:14], v[13:14], v[25:26], v[23:24]
	s_delay_alu instid0(VALU_DEP_1) | instskip(NEXT) | instid1(VALU_DEP_1)
	v_fma_f64 v[15:16], v[23:24], v[13:14], v[25:26]
	v_div_scale_f64 v[23:24], null, v[15:16], v[15:16], 1.0
	v_div_scale_f64 v[29:30], vcc_lo, 1.0, v[15:16], 1.0
	s_delay_alu instid0(VALU_DEP_2) | instskip(SKIP_2) | instid1(VALU_DEP_1)
	v_rcp_f64_e32 v[25:26], v[23:24]
	s_waitcnt_depctr 0xfff
	v_fma_f64 v[27:28], -v[23:24], v[25:26], 1.0
	v_fma_f64 v[25:26], v[25:26], v[27:28], v[25:26]
	s_delay_alu instid0(VALU_DEP_1) | instskip(NEXT) | instid1(VALU_DEP_1)
	v_fma_f64 v[27:28], -v[23:24], v[25:26], 1.0
	v_fma_f64 v[25:26], v[25:26], v[27:28], v[25:26]
	s_delay_alu instid0(VALU_DEP_1) | instskip(NEXT) | instid1(VALU_DEP_1)
	v_mul_f64 v[27:28], v[29:30], v[25:26]
	v_fma_f64 v[23:24], -v[23:24], v[27:28], v[29:30]
                                        ; implicit-def: $vgpr29_vgpr30
	s_delay_alu instid0(VALU_DEP_1) | instskip(SKIP_1) | instid1(VALU_DEP_2)
	v_div_fmas_f64 v[23:24], v[23:24], v[25:26], v[27:28]
	v_fma_f64 v[25:26], s[14:15], v[13:14], s[12:13]
                                        ; implicit-def: $vgpr27_vgpr28
	v_div_fixup_f64 v[15:16], v[23:24], v[15:16], 1.0
	v_fma_f64 v[23:24], -s[12:13], v[13:14], s[14:15]
	s_delay_alu instid0(VALU_DEP_2) | instskip(NEXT) | instid1(VALU_DEP_2)
	v_mul_f64 v[13:14], v[25:26], v[15:16]
	v_mul_f64 v[15:16], v[23:24], v[15:16]
.LBB254_111:                            ;   in Loop: Header=BB254_4 Depth=1
	s_and_not1_saveexec_b32 s8, s6
	s_cbranch_execz .LBB254_113
; %bb.112:                              ;   in Loop: Header=BB254_4 Depth=1
	v_div_scale_f64 v[13:14], null, v[27:28], v[27:28], s[12:13]
	v_div_scale_f64 v[15:16], null, v[29:30], v[29:30], s[14:15]
	v_div_scale_f64 v[35:36], vcc_lo, s[12:13], v[27:28], s[12:13]
	s_delay_alu instid0(VALU_DEP_3) | instskip(NEXT) | instid1(VALU_DEP_2)
	v_rcp_f64_e32 v[23:24], v[13:14]
	v_rcp_f64_e32 v[25:26], v[15:16]
	s_waitcnt_depctr 0xfff
	v_fma_f64 v[31:32], -v[13:14], v[23:24], 1.0
	v_fma_f64 v[33:34], -v[15:16], v[25:26], 1.0
	s_delay_alu instid0(VALU_DEP_2) | instskip(NEXT) | instid1(VALU_DEP_2)
	v_fma_f64 v[23:24], v[23:24], v[31:32], v[23:24]
	v_fma_f64 v[25:26], v[25:26], v[33:34], v[25:26]
	s_delay_alu instid0(VALU_DEP_2) | instskip(NEXT) | instid1(VALU_DEP_2)
	v_fma_f64 v[31:32], -v[13:14], v[23:24], 1.0
	v_fma_f64 v[33:34], -v[15:16], v[25:26], 1.0
	s_delay_alu instid0(VALU_DEP_2) | instskip(SKIP_1) | instid1(VALU_DEP_3)
	v_fma_f64 v[23:24], v[23:24], v[31:32], v[23:24]
	v_div_scale_f64 v[31:32], s6, s[14:15], v[29:30], s[14:15]
	v_fma_f64 v[25:26], v[25:26], v[33:34], v[25:26]
	s_delay_alu instid0(VALU_DEP_3) | instskip(NEXT) | instid1(VALU_DEP_2)
	v_mul_f64 v[33:34], v[35:36], v[23:24]
	v_mul_f64 v[37:38], v[31:32], v[25:26]
	s_delay_alu instid0(VALU_DEP_2) | instskip(NEXT) | instid1(VALU_DEP_2)
	v_fma_f64 v[13:14], -v[13:14], v[33:34], v[35:36]
	v_fma_f64 v[15:16], -v[15:16], v[37:38], v[31:32]
	s_delay_alu instid0(VALU_DEP_2) | instskip(SKIP_1) | instid1(VALU_DEP_2)
	v_div_fmas_f64 v[13:14], v[13:14], v[23:24], v[33:34]
	s_mov_b32 vcc_lo, s6
	v_div_fmas_f64 v[15:16], v[15:16], v[25:26], v[37:38]
	s_delay_alu instid0(VALU_DEP_2) | instskip(NEXT) | instid1(VALU_DEP_2)
	v_div_fixup_f64 v[13:14], v[13:14], v[27:28], s[12:13]
	v_div_fixup_f64 v[15:16], v[15:16], v[29:30], s[14:15]
.LBB254_113:                            ;   in Loop: Header=BB254_4 Depth=1
	s_or_b32 exec_lo, exec_lo, s8
                                        ; implicit-def: $vgpr23_vgpr24
                                        ; implicit-def: $vgpr25_vgpr26
.LBB254_114:                            ;   in Loop: Header=BB254_4 Depth=1
	s_and_not1_saveexec_b32 s6, s7
	s_cbranch_execz .LBB254_116
; %bb.115:                              ;   in Loop: Header=BB254_4 Depth=1
	v_div_scale_f64 v[13:14], null, v[23:24], v[23:24], v[25:26]
	v_div_scale_f64 v[29:30], vcc_lo, v[25:26], v[23:24], v[25:26]
	s_delay_alu instid0(VALU_DEP_2) | instskip(SKIP_2) | instid1(VALU_DEP_1)
	v_rcp_f64_e32 v[15:16], v[13:14]
	s_waitcnt_depctr 0xfff
	v_fma_f64 v[27:28], -v[13:14], v[15:16], 1.0
	v_fma_f64 v[15:16], v[15:16], v[27:28], v[15:16]
	s_delay_alu instid0(VALU_DEP_1) | instskip(NEXT) | instid1(VALU_DEP_1)
	v_fma_f64 v[27:28], -v[13:14], v[15:16], 1.0
	v_fma_f64 v[15:16], v[15:16], v[27:28], v[15:16]
	s_delay_alu instid0(VALU_DEP_1) | instskip(NEXT) | instid1(VALU_DEP_1)
	v_mul_f64 v[27:28], v[29:30], v[15:16]
	v_fma_f64 v[13:14], -v[13:14], v[27:28], v[29:30]
	s_delay_alu instid0(VALU_DEP_1) | instskip(NEXT) | instid1(VALU_DEP_1)
	v_div_fmas_f64 v[13:14], v[13:14], v[15:16], v[27:28]
	v_div_fixup_f64 v[13:14], v[13:14], v[23:24], v[25:26]
	s_delay_alu instid0(VALU_DEP_1) | instskip(NEXT) | instid1(VALU_DEP_1)
	v_fma_f64 v[15:16], v[25:26], v[13:14], v[23:24]
	v_div_scale_f64 v[23:24], null, v[15:16], v[15:16], 1.0
	v_div_scale_f64 v[29:30], vcc_lo, 1.0, v[15:16], 1.0
	s_delay_alu instid0(VALU_DEP_2) | instskip(SKIP_2) | instid1(VALU_DEP_1)
	v_rcp_f64_e32 v[25:26], v[23:24]
	s_waitcnt_depctr 0xfff
	v_fma_f64 v[27:28], -v[23:24], v[25:26], 1.0
	v_fma_f64 v[25:26], v[25:26], v[27:28], v[25:26]
	s_delay_alu instid0(VALU_DEP_1) | instskip(NEXT) | instid1(VALU_DEP_1)
	v_fma_f64 v[27:28], -v[23:24], v[25:26], 1.0
	v_fma_f64 v[25:26], v[25:26], v[27:28], v[25:26]
	s_delay_alu instid0(VALU_DEP_1) | instskip(NEXT) | instid1(VALU_DEP_1)
	v_mul_f64 v[27:28], v[29:30], v[25:26]
	v_fma_f64 v[23:24], -v[23:24], v[27:28], v[29:30]
	s_delay_alu instid0(VALU_DEP_1) | instskip(SKIP_1) | instid1(VALU_DEP_2)
	v_div_fmas_f64 v[23:24], v[23:24], v[25:26], v[27:28]
	v_fma_f64 v[25:26], s[12:13], v[13:14], s[14:15]
	v_div_fixup_f64 v[15:16], v[23:24], v[15:16], 1.0
	v_fma_f64 v[23:24], s[14:15], v[13:14], -s[12:13]
	s_delay_alu instid0(VALU_DEP_2) | instskip(NEXT) | instid1(VALU_DEP_2)
	v_mul_f64 v[13:14], v[25:26], v[15:16]
	v_mul_f64 v[15:16], v[23:24], v[15:16]
.LBB254_116:                            ;   in Loop: Header=BB254_4 Depth=1
	s_or_b32 exec_lo, exec_lo, s6
	v_xor_b32_e32 v24, 0x80000000, v12
	v_mov_b32_e32 v23, v11
                                        ; implicit-def: $vgpr25_vgpr26
	s_mov_b32 s6, exec_lo
	s_delay_alu instid0(VALU_DEP_2) | instskip(NEXT) | instid1(VALU_DEP_1)
	v_and_b32_e32 v29, 0x7fffffff, v24
	v_or_b32_e32 v18, v29, v23
	s_delay_alu instid0(VALU_DEP_1)
	v_cmpx_ne_u32_e32 0, v18
	s_xor_b32 s98, exec_lo, s6
	s_cbranch_execz .LBB254_158
; %bb.117:                              ;   in Loop: Header=BB254_4 Depth=1
	v_xor_b32_e32 v28, 0x80000000, v10
	v_mov_b32_e32 v27, v9
                                        ; implicit-def: $vgpr25_vgpr26
	s_mov_b32 s6, exec_lo
	s_delay_alu instid0(VALU_DEP_2) | instskip(NEXT) | instid1(VALU_DEP_1)
	v_and_b32_e32 v18, 0x7fffffff, v28
	v_or_b32_e32 v23, v18, v27
	s_delay_alu instid0(VALU_DEP_1)
	v_cmpx_ne_u32_e32 0, v23
	s_xor_b32 s99, exec_lo, s6
	s_cbranch_execz .LBB254_147
; %bb.118:                              ;   in Loop: Header=BB254_4 Depth=1
                                        ; implicit-def: $vgpr25_vgpr26
	s_mov_b32 s6, exec_lo
	v_cmpx_gt_u32_e32 0x7ff00000, v29
	s_xor_b32 s100, exec_lo, s6
	s_cbranch_execz .LBB254_140
; %bb.119:                              ;   in Loop: Header=BB254_4 Depth=1
	v_add_nc_u32_e32 v18, 0xbf79d1be, v28
                                        ; implicit-def: $vgpr25_vgpr26
	s_mov_b32 s6, exec_lo
	s_delay_alu instid0(VALU_DEP_1)
	v_cmpx_lt_u32_e32 0x108aa2, v18
	s_xor_b32 s101, exec_lo, s6
	s_cbranch_execz .LBB254_129
; %bb.120:                              ;   in Loop: Header=BB254_4 Depth=1
	v_cmp_ngt_f64_e64 s7, 0x41d00000, |v[11:12]|
                                        ; implicit-def: $vgpr23
                                        ; implicit-def: $vgpr25_vgpr26
                                        ; implicit-def: $vgpr27_vgpr28
	s_delay_alu instid0(VALU_DEP_1) | instskip(NEXT) | instid1(SALU_CYCLE_1)
	s_and_saveexec_b32 s6, s7
	s_xor_b32 s8, exec_lo, s6
	s_cbranch_execz .LBB254_122
; %bb.121:                              ;   in Loop: Header=BB254_4 Depth=1
	v_ldexp_f64 v[25:26], |v[11:12]|, 0xffffff80
	v_cmp_le_f64_e64 vcc_lo, 0x7b000000, |v[11:12]|
	v_trig_preop_f64 v[27:28], |v[11:12]|, 0
	v_and_b32_e32 v18, 0x7fffffff, v12
	v_trig_preop_f64 v[29:30], |v[11:12]|, 1
	v_trig_preop_f64 v[47:48], |v[11:12]|, 2
	s_mov_b32 s24, s26
	s_mov_b32 s31, s29
	v_dual_cndmask_b32 v25, v11, v25 :: v_dual_cndmask_b32 v26, v18, v26
	s_delay_alu instid0(VALU_DEP_1) | instskip(NEXT) | instid1(VALU_DEP_4)
	v_mul_f64 v[31:32], v[27:28], v[25:26]
	v_mul_f64 v[33:34], v[29:30], v[25:26]
	s_delay_alu instid0(VALU_DEP_2) | instskip(NEXT) | instid1(VALU_DEP_2)
	v_fma_f64 v[27:28], v[27:28], v[25:26], -v[31:32]
	v_fma_f64 v[29:30], v[29:30], v[25:26], -v[33:34]
	s_delay_alu instid0(VALU_DEP_2) | instskip(NEXT) | instid1(VALU_DEP_1)
	v_add_f64 v[35:36], v[33:34], v[27:28]
	v_add_f64 v[37:38], v[35:36], -v[33:34]
	v_add_f64 v[51:52], v[31:32], v[35:36]
	s_delay_alu instid0(VALU_DEP_2) | instskip(SKIP_1) | instid1(VALU_DEP_3)
	v_add_f64 v[49:50], v[35:36], -v[37:38]
	v_add_f64 v[27:28], v[27:28], -v[37:38]
	v_ldexp_f64 v[37:38], v[51:52], -2
	v_add_f64 v[31:32], v[51:52], -v[31:32]
	s_delay_alu instid0(VALU_DEP_4) | instskip(NEXT) | instid1(VALU_DEP_3)
	v_add_f64 v[33:34], v[33:34], -v[49:50]
	v_cmp_neq_f64_e64 vcc_lo, 0x7ff00000, |v[37:38]|
	s_delay_alu instid0(VALU_DEP_3) | instskip(NEXT) | instid1(VALU_DEP_3)
	v_add_f64 v[31:32], v[35:36], -v[31:32]
	v_add_f64 v[27:28], v[27:28], v[33:34]
	v_fract_f64_e32 v[33:34], v[37:38]
	s_delay_alu instid0(VALU_DEP_1) | instskip(SKIP_1) | instid1(VALU_DEP_3)
	v_cndmask_b32_e32 v33, 0, v33, vcc_lo
	v_mul_f64 v[53:54], v[47:48], v[25:26]
	v_cndmask_b32_e32 v34, 0, v34, vcc_lo
	s_delay_alu instid0(VALU_DEP_1) | instskip(NEXT) | instid1(VALU_DEP_3)
	v_ldexp_f64 v[33:34], v[33:34], 2
	v_add_f64 v[49:50], v[53:54], v[29:30]
	v_fma_f64 v[25:26], v[47:48], v[25:26], -v[53:54]
	s_delay_alu instid0(VALU_DEP_2) | instskip(NEXT) | instid1(VALU_DEP_1)
	v_add_f64 v[35:36], v[49:50], v[27:28]
	v_add_f64 v[37:38], v[31:32], v[35:36]
	v_add_f64 v[55:56], v[35:36], -v[49:50]
	s_delay_alu instid0(VALU_DEP_2) | instskip(NEXT) | instid1(VALU_DEP_2)
	v_add_f64 v[51:52], v[37:38], v[33:34]
	v_add_f64 v[61:62], v[35:36], -v[55:56]
	v_add_f64 v[27:28], v[27:28], -v[55:56]
	v_add_f64 v[31:32], v[37:38], -v[31:32]
	s_delay_alu instid0(VALU_DEP_4) | instskip(SKIP_1) | instid1(VALU_DEP_3)
	v_cmp_gt_f64_e32 vcc_lo, 0, v[51:52]
	v_add_f64 v[51:52], v[49:50], -v[53:54]
	v_add_f64 v[31:32], v[35:36], -v[31:32]
	v_cndmask_b32_e64 v18, 0, 0x40100000, vcc_lo
	s_delay_alu instid0(VALU_DEP_3) | instskip(SKIP_2) | instid1(VALU_DEP_4)
	v_add_f64 v[59:60], v[49:50], -v[51:52]
	v_add_f64 v[29:30], v[29:30], -v[51:52]
	;; [unrolled: 1-line block ×3, first 2 shown]
	v_add_f64 v[33:34], v[33:34], v[17:18]
	s_delay_alu instid0(VALU_DEP_4) | instskip(NEXT) | instid1(VALU_DEP_3)
	v_add_f64 v[51:52], v[53:54], -v[59:60]
	v_add_f64 v[27:28], v[27:28], v[49:50]
	s_delay_alu instid0(VALU_DEP_3) | instskip(NEXT) | instid1(VALU_DEP_3)
	v_add_f64 v[57:58], v[37:38], v[33:34]
	v_add_f64 v[29:30], v[29:30], v[51:52]
	s_delay_alu instid0(VALU_DEP_2) | instskip(NEXT) | instid1(VALU_DEP_2)
	v_cvt_i32_f64_e32 v18, v[57:58]
	v_add_f64 v[27:28], v[29:30], v[27:28]
	s_delay_alu instid0(VALU_DEP_2) | instskip(NEXT) | instid1(VALU_DEP_2)
	v_cvt_f64_i32_e32 v[55:56], v18
	v_add_f64 v[25:26], v[25:26], v[27:28]
	s_delay_alu instid0(VALU_DEP_2) | instskip(NEXT) | instid1(VALU_DEP_2)
	v_add_f64 v[33:34], v[33:34], -v[55:56]
	v_add_f64 v[25:26], v[31:32], v[25:26]
	s_delay_alu instid0(VALU_DEP_2) | instskip(NEXT) | instid1(VALU_DEP_1)
	v_add_f64 v[29:30], v[37:38], v[33:34]
	v_add_f64 v[27:28], v[29:30], -v[33:34]
	v_cmp_le_f64_e32 vcc_lo, 0.5, v[29:30]
	s_delay_alu instid0(VALU_DEP_2) | instskip(SKIP_2) | instid1(VALU_DEP_3)
	v_add_f64 v[27:28], v[37:38], -v[27:28]
	v_add_co_ci_u32_e64 v23, s6, 0, v18, vcc_lo
	v_cndmask_b32_e64 v18, 0, 0x3ff00000, vcc_lo
	v_add_f64 v[25:26], v[25:26], v[27:28]
	s_delay_alu instid0(VALU_DEP_2) | instskip(NEXT) | instid1(VALU_DEP_1)
	v_add_f64 v[27:28], v[29:30], -v[17:18]
	v_add_f64 v[29:30], v[27:28], v[25:26]
	s_delay_alu instid0(VALU_DEP_1) | instskip(SKIP_1) | instid1(VALU_DEP_2)
	v_mul_f64 v[31:32], v[29:30], s[24:25]
	v_add_f64 v[27:28], v[29:30], -v[27:28]
	v_fma_f64 v[33:34], v[29:30], s[24:25], -v[31:32]
	s_delay_alu instid0(VALU_DEP_2) | instskip(NEXT) | instid1(VALU_DEP_2)
	v_add_f64 v[25:26], v[25:26], -v[27:28]
	v_fma_f64 v[27:28], v[29:30], s[30:31], v[33:34]
	s_delay_alu instid0(VALU_DEP_1) | instskip(NEXT) | instid1(VALU_DEP_1)
	v_fma_f64 v[27:28], v[25:26], s[24:25], v[27:28]
	v_add_f64 v[25:26], v[31:32], v[27:28]
	s_delay_alu instid0(VALU_DEP_1) | instskip(NEXT) | instid1(VALU_DEP_1)
	v_add_f64 v[29:30], v[25:26], -v[31:32]
	v_add_f64 v[27:28], v[27:28], -v[29:30]
	s_and_not1_saveexec_b32 s6, s8
	s_cbranch_execz .LBB254_124
	s_branch .LBB254_123
.LBB254_122:                            ;   in Loop: Header=BB254_4 Depth=1
	s_and_not1_saveexec_b32 s6, s8
	s_cbranch_execz .LBB254_124
.LBB254_123:                            ;   in Loop: Header=BB254_4 Depth=1
	v_mul_f64 v[25:26], |v[11:12]|, s[34:35]
	s_mov_b32 s28, s36
	s_delay_alu instid0(VALU_DEP_1) | instskip(NEXT) | instid1(VALU_DEP_1)
	v_rndne_f64_e32 v[29:30], v[25:26]
	v_fma_f64 v[25:26], v[29:30], s[26:27], |v[11:12]|
	v_mul_f64 v[27:28], v[29:30], s[36:37]
	v_cvt_i32_f64_e32 v23, v[29:30]
	s_delay_alu instid0(VALU_DEP_3) | instskip(NEXT) | instid1(VALU_DEP_3)
	v_fma_f64 v[33:34], v[29:30], s[36:37], v[25:26]
	v_add_f64 v[31:32], v[25:26], v[27:28]
	s_delay_alu instid0(VALU_DEP_1) | instskip(NEXT) | instid1(VALU_DEP_3)
	v_add_f64 v[25:26], v[25:26], -v[31:32]
	v_add_f64 v[31:32], v[31:32], -v[33:34]
	s_delay_alu instid0(VALU_DEP_2) | instskip(SKIP_1) | instid1(VALU_DEP_2)
	v_add_f64 v[25:26], v[25:26], v[27:28]
	v_fma_f64 v[27:28], v[29:30], s[28:29], v[27:28]
	v_add_f64 v[25:26], v[31:32], v[25:26]
	s_delay_alu instid0(VALU_DEP_1) | instskip(NEXT) | instid1(VALU_DEP_1)
	v_add_f64 v[25:26], v[25:26], -v[27:28]
	v_fma_f64 v[27:28], v[29:30], s[38:39], v[25:26]
	s_delay_alu instid0(VALU_DEP_1) | instskip(NEXT) | instid1(VALU_DEP_1)
	v_add_f64 v[25:26], v[33:34], v[27:28]
	v_add_f64 v[31:32], v[25:26], -v[33:34]
	s_delay_alu instid0(VALU_DEP_1)
	v_add_f64 v[27:28], v[27:28], -v[31:32]
.LBB254_124:                            ;   in Loop: Header=BB254_4 Depth=1
	s_or_b32 exec_lo, exec_lo, s6
                                        ; implicit-def: $vgpr33
                                        ; implicit-def: $vgpr29_vgpr30
                                        ; implicit-def: $vgpr31_vgpr32
	s_and_saveexec_b32 s6, s7
	s_delay_alu instid0(SALU_CYCLE_1)
	s_xor_b32 s7, exec_lo, s6
	s_cbranch_execz .LBB254_126
; %bb.125:                              ;   in Loop: Header=BB254_4 Depth=1
	v_ldexp_f64 v[29:30], |v[11:12]|, 0xffffff80
	v_cmp_le_f64_e64 vcc_lo, 0x7b000000, |v[11:12]|
	v_trig_preop_f64 v[31:32], |v[11:12]|, 0
	v_and_b32_e32 v18, 0x7fffffff, v12
	v_trig_preop_f64 v[33:34], |v[11:12]|, 1
	v_trig_preop_f64 v[51:52], |v[11:12]|, 2
	s_mov_b32 s24, s26
	s_mov_b32 s31, s29
	v_dual_cndmask_b32 v29, v11, v29 :: v_dual_cndmask_b32 v30, v18, v30
	s_delay_alu instid0(VALU_DEP_1) | instskip(NEXT) | instid1(VALU_DEP_4)
	v_mul_f64 v[35:36], v[31:32], v[29:30]
	v_mul_f64 v[37:38], v[33:34], v[29:30]
	s_delay_alu instid0(VALU_DEP_2) | instskip(NEXT) | instid1(VALU_DEP_2)
	v_fma_f64 v[31:32], v[31:32], v[29:30], -v[35:36]
	v_fma_f64 v[33:34], v[33:34], v[29:30], -v[37:38]
	s_delay_alu instid0(VALU_DEP_2) | instskip(NEXT) | instid1(VALU_DEP_1)
	v_add_f64 v[47:48], v[37:38], v[31:32]
	v_add_f64 v[49:50], v[47:48], -v[37:38]
	v_add_f64 v[55:56], v[35:36], v[47:48]
	s_delay_alu instid0(VALU_DEP_2) | instskip(SKIP_1) | instid1(VALU_DEP_3)
	v_add_f64 v[53:54], v[47:48], -v[49:50]
	v_add_f64 v[31:32], v[31:32], -v[49:50]
	v_ldexp_f64 v[49:50], v[55:56], -2
	v_add_f64 v[35:36], v[55:56], -v[35:36]
	s_delay_alu instid0(VALU_DEP_4) | instskip(NEXT) | instid1(VALU_DEP_3)
	v_add_f64 v[37:38], v[37:38], -v[53:54]
	v_cmp_neq_f64_e64 vcc_lo, 0x7ff00000, |v[49:50]|
	s_delay_alu instid0(VALU_DEP_3) | instskip(NEXT) | instid1(VALU_DEP_3)
	v_add_f64 v[35:36], v[47:48], -v[35:36]
	v_add_f64 v[31:32], v[31:32], v[37:38]
	v_fract_f64_e32 v[37:38], v[49:50]
	s_delay_alu instid0(VALU_DEP_1) | instskip(SKIP_1) | instid1(VALU_DEP_3)
	v_cndmask_b32_e32 v37, 0, v37, vcc_lo
	v_mul_f64 v[57:58], v[51:52], v[29:30]
	v_cndmask_b32_e32 v38, 0, v38, vcc_lo
	s_delay_alu instid0(VALU_DEP_1) | instskip(NEXT) | instid1(VALU_DEP_3)
	v_ldexp_f64 v[37:38], v[37:38], 2
	v_add_f64 v[53:54], v[57:58], v[33:34]
	v_fma_f64 v[29:30], v[51:52], v[29:30], -v[57:58]
	s_delay_alu instid0(VALU_DEP_2) | instskip(NEXT) | instid1(VALU_DEP_1)
	v_add_f64 v[47:48], v[53:54], v[31:32]
	v_add_f64 v[49:50], v[35:36], v[47:48]
	v_add_f64 v[59:60], v[47:48], -v[53:54]
	s_delay_alu instid0(VALU_DEP_2) | instskip(NEXT) | instid1(VALU_DEP_2)
	v_add_f64 v[55:56], v[49:50], v[37:38]
	v_add_f64 v[65:66], v[47:48], -v[59:60]
	v_add_f64 v[31:32], v[31:32], -v[59:60]
	v_add_f64 v[35:36], v[49:50], -v[35:36]
	s_delay_alu instid0(VALU_DEP_4) | instskip(SKIP_2) | instid1(VALU_DEP_2)
	v_cmp_gt_f64_e32 vcc_lo, 0, v[55:56]
	v_add_f64 v[55:56], v[53:54], -v[57:58]
	v_cndmask_b32_e64 v18, 0, 0x40100000, vcc_lo
	v_add_f64 v[63:64], v[53:54], -v[55:56]
	v_add_f64 v[33:34], v[33:34], -v[55:56]
	;; [unrolled: 1-line block ×3, first 2 shown]
	s_delay_alu instid0(VALU_DEP_4) | instskip(NEXT) | instid1(VALU_DEP_4)
	v_add_f64 v[37:38], v[37:38], v[17:18]
	v_add_f64 v[55:56], v[57:58], -v[63:64]
	s_delay_alu instid0(VALU_DEP_3) | instskip(NEXT) | instid1(VALU_DEP_3)
	v_add_f64 v[31:32], v[31:32], v[53:54]
	v_add_f64 v[61:62], v[49:50], v[37:38]
	s_delay_alu instid0(VALU_DEP_3) | instskip(NEXT) | instid1(VALU_DEP_2)
	v_add_f64 v[33:34], v[33:34], v[55:56]
	v_cvt_i32_f64_e32 v18, v[61:62]
	s_delay_alu instid0(VALU_DEP_2) | instskip(SKIP_1) | instid1(VALU_DEP_3)
	v_add_f64 v[31:32], v[33:34], v[31:32]
	v_add_f64 v[33:34], v[47:48], -v[35:36]
	v_cvt_f64_i32_e32 v[59:60], v18
	s_delay_alu instid0(VALU_DEP_3) | instskip(NEXT) | instid1(VALU_DEP_2)
	v_add_f64 v[29:30], v[29:30], v[31:32]
	v_add_f64 v[37:38], v[37:38], -v[59:60]
	s_delay_alu instid0(VALU_DEP_2) | instskip(NEXT) | instid1(VALU_DEP_2)
	v_add_f64 v[29:30], v[33:34], v[29:30]
	v_add_f64 v[51:52], v[49:50], v[37:38]
	s_delay_alu instid0(VALU_DEP_1) | instskip(SKIP_1) | instid1(VALU_DEP_2)
	v_add_f64 v[31:32], v[51:52], -v[37:38]
	v_cmp_le_f64_e32 vcc_lo, 0.5, v[51:52]
	v_add_f64 v[31:32], v[49:50], -v[31:32]
	v_add_co_ci_u32_e64 v33, s6, 0, v18, vcc_lo
	v_cndmask_b32_e64 v18, 0, 0x3ff00000, vcc_lo
	s_delay_alu instid0(VALU_DEP_3) | instskip(NEXT) | instid1(VALU_DEP_2)
	v_add_f64 v[29:30], v[29:30], v[31:32]
	v_add_f64 v[31:32], v[51:52], -v[17:18]
	s_delay_alu instid0(VALU_DEP_1) | instskip(NEXT) | instid1(VALU_DEP_1)
	v_add_f64 v[34:35], v[31:32], v[29:30]
	v_mul_f64 v[36:37], v[34:35], s[24:25]
	v_add_f64 v[31:32], v[34:35], -v[31:32]
	s_delay_alu instid0(VALU_DEP_2) | instskip(NEXT) | instid1(VALU_DEP_2)
	v_fma_f64 v[47:48], v[34:35], s[24:25], -v[36:37]
	v_add_f64 v[29:30], v[29:30], -v[31:32]
	s_delay_alu instid0(VALU_DEP_2) | instskip(NEXT) | instid1(VALU_DEP_1)
	v_fma_f64 v[31:32], v[34:35], s[30:31], v[47:48]
	v_fma_f64 v[31:32], v[29:30], s[24:25], v[31:32]
	s_delay_alu instid0(VALU_DEP_1) | instskip(NEXT) | instid1(VALU_DEP_1)
	v_add_f64 v[29:30], v[36:37], v[31:32]
	v_add_f64 v[34:35], v[29:30], -v[36:37]
	s_delay_alu instid0(VALU_DEP_1)
	v_add_f64 v[31:32], v[31:32], -v[34:35]
	s_and_not1_saveexec_b32 s6, s7
	s_cbranch_execnz .LBB254_127
	s_branch .LBB254_128
.LBB254_126:                            ;   in Loop: Header=BB254_4 Depth=1
	s_and_not1_saveexec_b32 s6, s7
	s_cbranch_execz .LBB254_128
.LBB254_127:                            ;   in Loop: Header=BB254_4 Depth=1
	v_mul_f64 v[29:30], |v[11:12]|, s[34:35]
	s_mov_b32 s28, s36
	s_delay_alu instid0(VALU_DEP_1) | instskip(NEXT) | instid1(VALU_DEP_1)
	v_rndne_f64_e32 v[33:34], v[29:30]
	v_fma_f64 v[29:30], v[33:34], s[26:27], |v[11:12]|
	v_mul_f64 v[31:32], v[33:34], s[36:37]
	s_delay_alu instid0(VALU_DEP_2) | instskip(NEXT) | instid1(VALU_DEP_2)
	v_fma_f64 v[37:38], v[33:34], s[36:37], v[29:30]
	v_add_f64 v[35:36], v[29:30], v[31:32]
	s_delay_alu instid0(VALU_DEP_1) | instskip(NEXT) | instid1(VALU_DEP_3)
	v_add_f64 v[29:30], v[29:30], -v[35:36]
	v_add_f64 v[35:36], v[35:36], -v[37:38]
	s_delay_alu instid0(VALU_DEP_2) | instskip(SKIP_1) | instid1(VALU_DEP_2)
	v_add_f64 v[29:30], v[29:30], v[31:32]
	v_fma_f64 v[31:32], v[33:34], s[28:29], v[31:32]
	v_add_f64 v[29:30], v[35:36], v[29:30]
	s_delay_alu instid0(VALU_DEP_1) | instskip(NEXT) | instid1(VALU_DEP_1)
	v_add_f64 v[29:30], v[29:30], -v[31:32]
	v_fma_f64 v[31:32], v[33:34], s[38:39], v[29:30]
	v_cvt_i32_f64_e32 v33, v[33:34]
	s_delay_alu instid0(VALU_DEP_2) | instskip(NEXT) | instid1(VALU_DEP_1)
	v_add_f64 v[29:30], v[37:38], v[31:32]
	v_add_f64 v[35:36], v[29:30], -v[37:38]
	s_delay_alu instid0(VALU_DEP_1)
	v_add_f64 v[31:32], v[31:32], -v[35:36]
.LBB254_128:                            ;   in Loop: Header=BB254_4 Depth=1
	s_or_b32 exec_lo, exec_lo, s6
	s_mov_b32 s40, s42
	v_mul_f64 v[49:50], v[25:26], v[25:26]
	v_mul_f64 v[34:35], v[9:10], s[40:41]
	;; [unrolled: 1-line block ×3, first 2 shown]
	s_mov_b32 s89, s61
	s_mov_b32 s91, s63
	s_delay_alu instid0(VALU_DEP_4)
	v_mul_f64 v[69:70], v[27:28], 0.5
	v_mul_f64 v[75:76], v[31:32], 0.5
	s_mov_b32 s92, s62
	v_cmp_ngt_f64_e64 s7, 0xc0900000, v[9:10]
	v_cmp_nlt_f64_e64 s8, 0x4090cc00, v[9:10]
	v_cmp_class_f64_e64 s6, v[11:12], 0x1f8
	v_and_b32_e32 v11, 1, v33
	s_delay_alu instid0(VALU_DEP_1)
	v_cmp_eq_u32_e64 s9, 0, v11
	v_fma_f64 v[53:54], v[49:50], s[80:81], s[78:79]
	v_rndne_f64_e32 v[34:35], v[34:35]
	v_fma_f64 v[55:56], v[51:52], s[80:81], s[78:79]
	v_fma_f64 v[57:58], v[49:50], s[70:71], s[68:69]
	v_mul_f64 v[59:60], v[49:50], 0.5
	v_fma_f64 v[61:62], v[51:52], s[70:71], s[68:69]
	v_mul_f64 v[63:64], v[51:52], 0.5
	v_mul_f64 v[71:72], v[25:26], -v[49:50]
	v_mul_f64 v[77:78], v[29:30], -v[51:52]
	v_fma_f64 v[53:54], v[49:50], v[53:54], s[82:83]
	v_fma_f64 v[36:37], v[34:35], s[44:45], -v[9:10]
	v_fma_f64 v[55:56], v[51:52], v[55:56], s[82:83]
	v_fma_f64 v[57:58], v[49:50], v[57:58], s[72:73]
	v_add_f64 v[65:66], -v[59:60], 1.0
	v_fma_f64 v[61:62], v[51:52], v[61:62], s[72:73]
	v_add_f64 v[67:68], -v[63:64], 1.0
	v_cvt_i32_f64_e32 v18, v[34:35]
	v_lshlrev_b32_e32 v10, 30, v23
	v_lshlrev_b32_e32 v9, 30, v33
	s_delay_alu instid0(VALU_DEP_1)
	v_xor_b32_e32 v9, v9, v24
	v_fma_f64 v[53:54], v[49:50], v[53:54], s[84:85]
	v_fma_f64 v[36:37], v[34:35], s[46:47], v[36:37]
	;; [unrolled: 1-line block ×4, first 2 shown]
	v_add_f64 v[73:74], -v[65:66], 1.0
	v_fma_f64 v[61:62], v[51:52], v[61:62], s[74:75]
	v_add_f64 v[79:80], -v[67:68], 1.0
	v_fma_f64 v[53:54], v[49:50], v[53:54], s[60:61]
	v_fma_f64 v[47:48], v[36:37], s[50:51], s[48:49]
	;; [unrolled: 1-line block ×4, first 2 shown]
	v_add_f64 v[59:60], v[73:74], -v[59:60]
	v_fma_f64 v[61:62], v[51:52], v[61:62], s[76:77]
	v_add_f64 v[63:64], v[79:80], -v[63:64]
	v_fma_f64 v[53:54], v[71:72], v[53:54], v[69:70]
	v_fma_f64 v[47:48], v[36:37], v[47:48], s[52:53]
	;; [unrolled: 1-line block ×3, first 2 shown]
	v_mul_f64 v[69:70], v[49:50], v[49:50]
	v_fma_f64 v[57:58], v[49:50], v[57:58], s[62:63]
	v_fma_f64 v[59:60], v[25:26], -v[27:28], v[59:60]
	v_fma_f64 v[27:28], v[49:50], v[53:54], -v[27:28]
	v_fma_f64 v[47:48], v[36:37], v[47:48], s[54:55]
	v_mul_f64 v[49:50], v[51:52], v[51:52]
	v_fma_f64 v[53:54], v[51:52], v[61:62], s[62:63]
	v_fma_f64 v[61:62], v[29:30], -v[31:32], v[63:64]
	v_fma_f64 v[31:32], v[51:52], v[55:56], -v[31:32]
	v_fma_f64 v[51:52], v[69:70], v[57:58], v[59:60]
	v_fma_f64 v[27:28], v[71:72], s[92:93], v[27:28]
	;; [unrolled: 1-line block ×3, first 2 shown]
	s_delay_alu instid0(VALU_DEP_4) | instskip(NEXT) | instid1(VALU_DEP_3)
	v_fma_f64 v[31:32], v[77:78], s[92:93], v[31:32]
	v_add_f64 v[25:26], v[25:26], -v[27:28]
	s_delay_alu instid0(VALU_DEP_3) | instskip(NEXT) | instid1(VALU_DEP_3)
	v_fma_f64 v[47:48], v[36:37], v[47:48], s[58:59]
	v_add_f64 v[29:30], v[29:30], -v[31:32]
	s_delay_alu instid0(VALU_DEP_2) | instskip(NEXT) | instid1(VALU_DEP_1)
	v_fma_f64 v[47:48], v[36:37], v[47:48], s[88:89]
	v_fma_f64 v[47:48], v[36:37], v[47:48], s[90:91]
	s_delay_alu instid0(VALU_DEP_1) | instskip(NEXT) | instid1(VALU_DEP_1)
	v_fma_f64 v[47:48], v[36:37], v[47:48], s[64:65]
	v_fma_f64 v[47:48], v[36:37], v[47:48], s[66:67]
	s_delay_alu instid0(VALU_DEP_1) | instskip(NEXT) | instid1(VALU_DEP_1)
	v_fma_f64 v[47:48], v[36:37], v[47:48], 1.0
	v_fma_f64 v[34:35], v[36:37], v[47:48], 1.0
	v_fma_f64 v[36:37], v[49:50], v[53:54], v[61:62]
	v_add_f64 v[47:48], v[65:66], v[51:52]
	s_delay_alu instid0(VALU_DEP_3) | instskip(NEXT) | instid1(VALU_DEP_3)
	v_ldexp_f64 v[27:28], v[34:35], v18
	v_add_f64 v[34:35], v[67:68], v[36:37]
	v_and_b32_e32 v18, 1, v23
	v_xor_b32_e32 v23, 0x80000000, v26
	s_delay_alu instid0(VALU_DEP_2) | instskip(NEXT) | instid1(VALU_DEP_2)
	v_cmp_eq_u32_e32 vcc_lo, 0, v18
	v_dual_cndmask_b32 v11, v23, v48 :: v_dual_cndmask_b32 v18, v25, v47
	s_and_b32 vcc_lo, s8, s7
	v_and_b32_e32 v10, 0x80000000, v10
	v_and_b32_e32 v23, 0x80000000, v9
	s_delay_alu instid0(VALU_DEP_3) | instskip(SKIP_3) | instid1(VALU_DEP_2)
	v_cndmask_b32_e64 v9, 0, v18, s6
	v_cndmask_b32_e64 v12, 0x7ff00000, v28, s7
	;; [unrolled: 1-line block ×4, first 2 shown]
	v_xor_b32_e32 v18, v25, v23
	v_cndmask_b32_e32 v23, 0, v27, vcc_lo
	v_xor_b32_e32 v10, v11, v10
	s_delay_alu instid0(VALU_DEP_4) | instskip(SKIP_2) | instid1(VALU_DEP_4)
	v_cndmask_b32_e64 v11, 0, v24, s6
	v_cndmask_b32_e64 v24, 0, v12, s8
	;; [unrolled: 1-line block ×4, first 2 shown]
	s_delay_alu instid0(VALU_DEP_1) | instskip(NEXT) | instid1(VALU_DEP_3)
	v_mul_f64 v[25:26], v[23:24], v[9:10]
	v_mul_f64 v[23:24], v[23:24], v[11:12]
                                        ; implicit-def: $vgpr11_vgpr12
.LBB254_129:                            ;   in Loop: Header=BB254_4 Depth=1
	s_and_not1_saveexec_b32 s40, s101
	s_cbranch_execz .LBB254_139
; %bb.130:                              ;   in Loop: Header=BB254_4 Depth=1
	v_cmp_ngt_f64_e64 s7, 0x41d00000, |v[11:12]|
                                        ; implicit-def: $vgpr23
                                        ; implicit-def: $vgpr25_vgpr26
                                        ; implicit-def: $vgpr27_vgpr28
	s_delay_alu instid0(VALU_DEP_1) | instskip(NEXT) | instid1(SALU_CYCLE_1)
	s_and_saveexec_b32 s6, s7
	s_xor_b32 s8, exec_lo, s6
	s_cbranch_execz .LBB254_132
; %bb.131:                              ;   in Loop: Header=BB254_4 Depth=1
	v_ldexp_f64 v[25:26], |v[11:12]|, 0xffffff80
	v_cmp_le_f64_e64 vcc_lo, 0x7b000000, |v[11:12]|
	v_trig_preop_f64 v[27:28], |v[11:12]|, 0
	v_and_b32_e32 v18, 0x7fffffff, v12
	v_trig_preop_f64 v[29:30], |v[11:12]|, 1
	v_trig_preop_f64 v[47:48], |v[11:12]|, 2
	s_mov_b32 s24, s26
	s_mov_b32 s31, s29
	v_dual_cndmask_b32 v25, v11, v25 :: v_dual_cndmask_b32 v26, v18, v26
	s_delay_alu instid0(VALU_DEP_1) | instskip(NEXT) | instid1(VALU_DEP_4)
	v_mul_f64 v[31:32], v[27:28], v[25:26]
	v_mul_f64 v[33:34], v[29:30], v[25:26]
	s_delay_alu instid0(VALU_DEP_2) | instskip(NEXT) | instid1(VALU_DEP_2)
	v_fma_f64 v[27:28], v[27:28], v[25:26], -v[31:32]
	v_fma_f64 v[29:30], v[29:30], v[25:26], -v[33:34]
	s_delay_alu instid0(VALU_DEP_2) | instskip(NEXT) | instid1(VALU_DEP_1)
	v_add_f64 v[35:36], v[33:34], v[27:28]
	v_add_f64 v[37:38], v[35:36], -v[33:34]
	v_add_f64 v[51:52], v[31:32], v[35:36]
	s_delay_alu instid0(VALU_DEP_2) | instskip(SKIP_1) | instid1(VALU_DEP_3)
	v_add_f64 v[49:50], v[35:36], -v[37:38]
	v_add_f64 v[27:28], v[27:28], -v[37:38]
	v_ldexp_f64 v[37:38], v[51:52], -2
	v_add_f64 v[31:32], v[51:52], -v[31:32]
	s_delay_alu instid0(VALU_DEP_4) | instskip(NEXT) | instid1(VALU_DEP_3)
	v_add_f64 v[33:34], v[33:34], -v[49:50]
	v_cmp_neq_f64_e64 vcc_lo, 0x7ff00000, |v[37:38]|
	s_delay_alu instid0(VALU_DEP_3) | instskip(NEXT) | instid1(VALU_DEP_3)
	v_add_f64 v[31:32], v[35:36], -v[31:32]
	v_add_f64 v[27:28], v[27:28], v[33:34]
	v_fract_f64_e32 v[33:34], v[37:38]
	s_delay_alu instid0(VALU_DEP_1) | instskip(SKIP_1) | instid1(VALU_DEP_3)
	v_cndmask_b32_e32 v33, 0, v33, vcc_lo
	v_mul_f64 v[53:54], v[47:48], v[25:26]
	v_cndmask_b32_e32 v34, 0, v34, vcc_lo
	s_delay_alu instid0(VALU_DEP_1) | instskip(NEXT) | instid1(VALU_DEP_3)
	v_ldexp_f64 v[33:34], v[33:34], 2
	v_add_f64 v[49:50], v[53:54], v[29:30]
	v_fma_f64 v[25:26], v[47:48], v[25:26], -v[53:54]
	s_delay_alu instid0(VALU_DEP_2) | instskip(NEXT) | instid1(VALU_DEP_1)
	v_add_f64 v[35:36], v[49:50], v[27:28]
	v_add_f64 v[37:38], v[31:32], v[35:36]
	v_add_f64 v[55:56], v[35:36], -v[49:50]
	s_delay_alu instid0(VALU_DEP_2) | instskip(NEXT) | instid1(VALU_DEP_2)
	v_add_f64 v[51:52], v[37:38], v[33:34]
	v_add_f64 v[61:62], v[35:36], -v[55:56]
	v_add_f64 v[27:28], v[27:28], -v[55:56]
	;; [unrolled: 1-line block ×3, first 2 shown]
	s_delay_alu instid0(VALU_DEP_4) | instskip(SKIP_1) | instid1(VALU_DEP_3)
	v_cmp_gt_f64_e32 vcc_lo, 0, v[51:52]
	v_add_f64 v[51:52], v[49:50], -v[53:54]
	v_add_f64 v[31:32], v[35:36], -v[31:32]
	v_cndmask_b32_e64 v18, 0, 0x40100000, vcc_lo
	s_delay_alu instid0(VALU_DEP_3) | instskip(SKIP_2) | instid1(VALU_DEP_4)
	v_add_f64 v[59:60], v[49:50], -v[51:52]
	v_add_f64 v[29:30], v[29:30], -v[51:52]
	;; [unrolled: 1-line block ×3, first 2 shown]
	v_add_f64 v[33:34], v[33:34], v[17:18]
	s_delay_alu instid0(VALU_DEP_4) | instskip(NEXT) | instid1(VALU_DEP_3)
	v_add_f64 v[51:52], v[53:54], -v[59:60]
	v_add_f64 v[27:28], v[27:28], v[49:50]
	s_delay_alu instid0(VALU_DEP_3) | instskip(NEXT) | instid1(VALU_DEP_3)
	v_add_f64 v[57:58], v[37:38], v[33:34]
	v_add_f64 v[29:30], v[29:30], v[51:52]
	s_delay_alu instid0(VALU_DEP_2) | instskip(NEXT) | instid1(VALU_DEP_2)
	v_cvt_i32_f64_e32 v18, v[57:58]
	v_add_f64 v[27:28], v[29:30], v[27:28]
	s_delay_alu instid0(VALU_DEP_2) | instskip(NEXT) | instid1(VALU_DEP_2)
	v_cvt_f64_i32_e32 v[55:56], v18
	v_add_f64 v[25:26], v[25:26], v[27:28]
	s_delay_alu instid0(VALU_DEP_2) | instskip(NEXT) | instid1(VALU_DEP_2)
	v_add_f64 v[33:34], v[33:34], -v[55:56]
	v_add_f64 v[25:26], v[31:32], v[25:26]
	s_delay_alu instid0(VALU_DEP_2) | instskip(NEXT) | instid1(VALU_DEP_1)
	v_add_f64 v[29:30], v[37:38], v[33:34]
	v_add_f64 v[27:28], v[29:30], -v[33:34]
	v_cmp_le_f64_e32 vcc_lo, 0.5, v[29:30]
	s_delay_alu instid0(VALU_DEP_2) | instskip(SKIP_2) | instid1(VALU_DEP_3)
	v_add_f64 v[27:28], v[37:38], -v[27:28]
	v_add_co_ci_u32_e64 v23, s6, 0, v18, vcc_lo
	v_cndmask_b32_e64 v18, 0, 0x3ff00000, vcc_lo
	v_add_f64 v[25:26], v[25:26], v[27:28]
	s_delay_alu instid0(VALU_DEP_2) | instskip(NEXT) | instid1(VALU_DEP_1)
	v_add_f64 v[27:28], v[29:30], -v[17:18]
	v_add_f64 v[29:30], v[27:28], v[25:26]
	s_delay_alu instid0(VALU_DEP_1) | instskip(SKIP_1) | instid1(VALU_DEP_2)
	v_mul_f64 v[31:32], v[29:30], s[24:25]
	v_add_f64 v[27:28], v[29:30], -v[27:28]
	v_fma_f64 v[33:34], v[29:30], s[24:25], -v[31:32]
	s_delay_alu instid0(VALU_DEP_2) | instskip(NEXT) | instid1(VALU_DEP_2)
	v_add_f64 v[25:26], v[25:26], -v[27:28]
	v_fma_f64 v[27:28], v[29:30], s[30:31], v[33:34]
	s_delay_alu instid0(VALU_DEP_1) | instskip(NEXT) | instid1(VALU_DEP_1)
	v_fma_f64 v[27:28], v[25:26], s[24:25], v[27:28]
	v_add_f64 v[25:26], v[31:32], v[27:28]
	s_delay_alu instid0(VALU_DEP_1) | instskip(NEXT) | instid1(VALU_DEP_1)
	v_add_f64 v[29:30], v[25:26], -v[31:32]
	v_add_f64 v[27:28], v[27:28], -v[29:30]
	s_and_not1_saveexec_b32 s6, s8
	s_cbranch_execz .LBB254_134
	s_branch .LBB254_133
.LBB254_132:                            ;   in Loop: Header=BB254_4 Depth=1
	s_and_not1_saveexec_b32 s6, s8
	s_cbranch_execz .LBB254_134
.LBB254_133:                            ;   in Loop: Header=BB254_4 Depth=1
	v_mul_f64 v[25:26], |v[11:12]|, s[34:35]
	s_mov_b32 s28, s36
	s_delay_alu instid0(VALU_DEP_1) | instskip(NEXT) | instid1(VALU_DEP_1)
	v_rndne_f64_e32 v[29:30], v[25:26]
	v_fma_f64 v[25:26], v[29:30], s[26:27], |v[11:12]|
	v_mul_f64 v[27:28], v[29:30], s[36:37]
	v_cvt_i32_f64_e32 v23, v[29:30]
	s_delay_alu instid0(VALU_DEP_3) | instskip(NEXT) | instid1(VALU_DEP_3)
	v_fma_f64 v[33:34], v[29:30], s[36:37], v[25:26]
	v_add_f64 v[31:32], v[25:26], v[27:28]
	s_delay_alu instid0(VALU_DEP_1) | instskip(NEXT) | instid1(VALU_DEP_3)
	v_add_f64 v[25:26], v[25:26], -v[31:32]
	v_add_f64 v[31:32], v[31:32], -v[33:34]
	s_delay_alu instid0(VALU_DEP_2) | instskip(SKIP_1) | instid1(VALU_DEP_2)
	v_add_f64 v[25:26], v[25:26], v[27:28]
	v_fma_f64 v[27:28], v[29:30], s[28:29], v[27:28]
	v_add_f64 v[25:26], v[31:32], v[25:26]
	s_delay_alu instid0(VALU_DEP_1) | instskip(NEXT) | instid1(VALU_DEP_1)
	v_add_f64 v[25:26], v[25:26], -v[27:28]
	v_fma_f64 v[27:28], v[29:30], s[38:39], v[25:26]
	s_delay_alu instid0(VALU_DEP_1) | instskip(NEXT) | instid1(VALU_DEP_1)
	v_add_f64 v[25:26], v[33:34], v[27:28]
	v_add_f64 v[31:32], v[25:26], -v[33:34]
	s_delay_alu instid0(VALU_DEP_1)
	v_add_f64 v[27:28], v[27:28], -v[31:32]
.LBB254_134:                            ;   in Loop: Header=BB254_4 Depth=1
	s_or_b32 exec_lo, exec_lo, s6
                                        ; implicit-def: $vgpr33
                                        ; implicit-def: $vgpr29_vgpr30
                                        ; implicit-def: $vgpr31_vgpr32
	s_and_saveexec_b32 s6, s7
	s_delay_alu instid0(SALU_CYCLE_1)
	s_xor_b32 s7, exec_lo, s6
	s_cbranch_execz .LBB254_136
; %bb.135:                              ;   in Loop: Header=BB254_4 Depth=1
	v_ldexp_f64 v[29:30], |v[11:12]|, 0xffffff80
	v_cmp_le_f64_e64 vcc_lo, 0x7b000000, |v[11:12]|
	v_trig_preop_f64 v[31:32], |v[11:12]|, 0
	v_and_b32_e32 v18, 0x7fffffff, v12
	v_trig_preop_f64 v[33:34], |v[11:12]|, 1
	v_trig_preop_f64 v[51:52], |v[11:12]|, 2
	s_mov_b32 s24, s26
	s_mov_b32 s31, s29
	v_dual_cndmask_b32 v29, v11, v29 :: v_dual_cndmask_b32 v30, v18, v30
	s_delay_alu instid0(VALU_DEP_1) | instskip(NEXT) | instid1(VALU_DEP_4)
	v_mul_f64 v[35:36], v[31:32], v[29:30]
	v_mul_f64 v[37:38], v[33:34], v[29:30]
	s_delay_alu instid0(VALU_DEP_2) | instskip(NEXT) | instid1(VALU_DEP_2)
	v_fma_f64 v[31:32], v[31:32], v[29:30], -v[35:36]
	v_fma_f64 v[33:34], v[33:34], v[29:30], -v[37:38]
	s_delay_alu instid0(VALU_DEP_2) | instskip(NEXT) | instid1(VALU_DEP_1)
	v_add_f64 v[47:48], v[37:38], v[31:32]
	v_add_f64 v[49:50], v[47:48], -v[37:38]
	v_add_f64 v[55:56], v[35:36], v[47:48]
	s_delay_alu instid0(VALU_DEP_2) | instskip(SKIP_1) | instid1(VALU_DEP_3)
	v_add_f64 v[53:54], v[47:48], -v[49:50]
	v_add_f64 v[31:32], v[31:32], -v[49:50]
	v_ldexp_f64 v[49:50], v[55:56], -2
	v_add_f64 v[35:36], v[55:56], -v[35:36]
	s_delay_alu instid0(VALU_DEP_4) | instskip(NEXT) | instid1(VALU_DEP_3)
	v_add_f64 v[37:38], v[37:38], -v[53:54]
	v_cmp_neq_f64_e64 vcc_lo, 0x7ff00000, |v[49:50]|
	s_delay_alu instid0(VALU_DEP_3) | instskip(NEXT) | instid1(VALU_DEP_3)
	v_add_f64 v[35:36], v[47:48], -v[35:36]
	v_add_f64 v[31:32], v[31:32], v[37:38]
	v_fract_f64_e32 v[37:38], v[49:50]
	s_delay_alu instid0(VALU_DEP_1) | instskip(SKIP_1) | instid1(VALU_DEP_3)
	v_cndmask_b32_e32 v37, 0, v37, vcc_lo
	v_mul_f64 v[57:58], v[51:52], v[29:30]
	v_cndmask_b32_e32 v38, 0, v38, vcc_lo
	s_delay_alu instid0(VALU_DEP_1) | instskip(NEXT) | instid1(VALU_DEP_3)
	v_ldexp_f64 v[37:38], v[37:38], 2
	v_add_f64 v[53:54], v[57:58], v[33:34]
	v_fma_f64 v[29:30], v[51:52], v[29:30], -v[57:58]
	s_delay_alu instid0(VALU_DEP_2) | instskip(NEXT) | instid1(VALU_DEP_1)
	v_add_f64 v[47:48], v[53:54], v[31:32]
	v_add_f64 v[49:50], v[35:36], v[47:48]
	v_add_f64 v[59:60], v[47:48], -v[53:54]
	s_delay_alu instid0(VALU_DEP_2) | instskip(NEXT) | instid1(VALU_DEP_2)
	v_add_f64 v[55:56], v[49:50], v[37:38]
	v_add_f64 v[65:66], v[47:48], -v[59:60]
	v_add_f64 v[31:32], v[31:32], -v[59:60]
	;; [unrolled: 1-line block ×3, first 2 shown]
	s_delay_alu instid0(VALU_DEP_4) | instskip(SKIP_2) | instid1(VALU_DEP_2)
	v_cmp_gt_f64_e32 vcc_lo, 0, v[55:56]
	v_add_f64 v[55:56], v[53:54], -v[57:58]
	v_cndmask_b32_e64 v18, 0, 0x40100000, vcc_lo
	v_add_f64 v[63:64], v[53:54], -v[55:56]
	v_add_f64 v[33:34], v[33:34], -v[55:56]
	;; [unrolled: 1-line block ×3, first 2 shown]
	s_delay_alu instid0(VALU_DEP_4) | instskip(NEXT) | instid1(VALU_DEP_4)
	v_add_f64 v[37:38], v[37:38], v[17:18]
	v_add_f64 v[55:56], v[57:58], -v[63:64]
	s_delay_alu instid0(VALU_DEP_3) | instskip(NEXT) | instid1(VALU_DEP_3)
	v_add_f64 v[31:32], v[31:32], v[53:54]
	v_add_f64 v[61:62], v[49:50], v[37:38]
	s_delay_alu instid0(VALU_DEP_3) | instskip(NEXT) | instid1(VALU_DEP_2)
	v_add_f64 v[33:34], v[33:34], v[55:56]
	v_cvt_i32_f64_e32 v18, v[61:62]
	s_delay_alu instid0(VALU_DEP_2) | instskip(SKIP_1) | instid1(VALU_DEP_3)
	v_add_f64 v[31:32], v[33:34], v[31:32]
	v_add_f64 v[33:34], v[47:48], -v[35:36]
	v_cvt_f64_i32_e32 v[59:60], v18
	s_delay_alu instid0(VALU_DEP_3) | instskip(NEXT) | instid1(VALU_DEP_2)
	v_add_f64 v[29:30], v[29:30], v[31:32]
	v_add_f64 v[37:38], v[37:38], -v[59:60]
	s_delay_alu instid0(VALU_DEP_2) | instskip(NEXT) | instid1(VALU_DEP_2)
	v_add_f64 v[29:30], v[33:34], v[29:30]
	v_add_f64 v[51:52], v[49:50], v[37:38]
	s_delay_alu instid0(VALU_DEP_1) | instskip(SKIP_1) | instid1(VALU_DEP_2)
	v_add_f64 v[31:32], v[51:52], -v[37:38]
	v_cmp_le_f64_e32 vcc_lo, 0.5, v[51:52]
	v_add_f64 v[31:32], v[49:50], -v[31:32]
	v_add_co_ci_u32_e64 v33, s6, 0, v18, vcc_lo
	v_cndmask_b32_e64 v18, 0, 0x3ff00000, vcc_lo
	s_delay_alu instid0(VALU_DEP_3) | instskip(NEXT) | instid1(VALU_DEP_2)
	v_add_f64 v[29:30], v[29:30], v[31:32]
	v_add_f64 v[31:32], v[51:52], -v[17:18]
	s_delay_alu instid0(VALU_DEP_1) | instskip(NEXT) | instid1(VALU_DEP_1)
	v_add_f64 v[34:35], v[31:32], v[29:30]
	v_mul_f64 v[36:37], v[34:35], s[24:25]
	v_add_f64 v[31:32], v[34:35], -v[31:32]
	s_delay_alu instid0(VALU_DEP_2) | instskip(NEXT) | instid1(VALU_DEP_2)
	v_fma_f64 v[47:48], v[34:35], s[24:25], -v[36:37]
	v_add_f64 v[29:30], v[29:30], -v[31:32]
	s_delay_alu instid0(VALU_DEP_2) | instskip(NEXT) | instid1(VALU_DEP_1)
	v_fma_f64 v[31:32], v[34:35], s[30:31], v[47:48]
	v_fma_f64 v[31:32], v[29:30], s[24:25], v[31:32]
	s_delay_alu instid0(VALU_DEP_1) | instskip(NEXT) | instid1(VALU_DEP_1)
	v_add_f64 v[29:30], v[36:37], v[31:32]
	v_add_f64 v[34:35], v[29:30], -v[36:37]
	s_delay_alu instid0(VALU_DEP_1)
	v_add_f64 v[31:32], v[31:32], -v[34:35]
	s_and_not1_saveexec_b32 s6, s7
	s_cbranch_execnz .LBB254_137
	s_branch .LBB254_138
.LBB254_136:                            ;   in Loop: Header=BB254_4 Depth=1
	s_and_not1_saveexec_b32 s6, s7
	s_cbranch_execz .LBB254_138
.LBB254_137:                            ;   in Loop: Header=BB254_4 Depth=1
	v_mul_f64 v[29:30], |v[11:12]|, s[34:35]
	s_mov_b32 s28, s36
	s_delay_alu instid0(VALU_DEP_1) | instskip(NEXT) | instid1(VALU_DEP_1)
	v_rndne_f64_e32 v[33:34], v[29:30]
	v_fma_f64 v[29:30], v[33:34], s[26:27], |v[11:12]|
	v_mul_f64 v[31:32], v[33:34], s[36:37]
	s_delay_alu instid0(VALU_DEP_2) | instskip(NEXT) | instid1(VALU_DEP_2)
	v_fma_f64 v[37:38], v[33:34], s[36:37], v[29:30]
	v_add_f64 v[35:36], v[29:30], v[31:32]
	s_delay_alu instid0(VALU_DEP_1) | instskip(NEXT) | instid1(VALU_DEP_3)
	v_add_f64 v[29:30], v[29:30], -v[35:36]
	v_add_f64 v[35:36], v[35:36], -v[37:38]
	s_delay_alu instid0(VALU_DEP_2) | instskip(SKIP_1) | instid1(VALU_DEP_2)
	v_add_f64 v[29:30], v[29:30], v[31:32]
	v_fma_f64 v[31:32], v[33:34], s[28:29], v[31:32]
	v_add_f64 v[29:30], v[35:36], v[29:30]
	s_delay_alu instid0(VALU_DEP_1) | instskip(NEXT) | instid1(VALU_DEP_1)
	v_add_f64 v[29:30], v[29:30], -v[31:32]
	v_fma_f64 v[31:32], v[33:34], s[38:39], v[29:30]
	v_cvt_i32_f64_e32 v33, v[33:34]
	s_delay_alu instid0(VALU_DEP_2) | instskip(NEXT) | instid1(VALU_DEP_1)
	v_add_f64 v[29:30], v[37:38], v[31:32]
	v_add_f64 v[35:36], v[29:30], -v[37:38]
	s_delay_alu instid0(VALU_DEP_1)
	v_add_f64 v[31:32], v[31:32], -v[35:36]
.LBB254_138:                            ;   in Loop: Header=BB254_4 Depth=1
	s_or_b32 exec_lo, exec_lo, s6
	v_add_f64 v[9:10], -v[9:10], s[86:87]
	s_delay_alu instid0(VALU_DEP_4) | instskip(SKIP_3) | instid1(VALU_DEP_4)
	v_mul_f64 v[49:50], v[25:26], v[25:26]
	v_mul_f64 v[51:52], v[29:30], v[29:30]
	s_mov_b32 s89, s61
	s_mov_b32 s91, s63
	v_mul_f64 v[69:70], v[27:28], 0.5
	v_mul_f64 v[75:76], v[31:32], 0.5
	s_mov_b32 s92, s62
	v_cmp_class_f64_e64 s6, v[11:12], 0x1f8
	v_mul_f64 v[34:35], v[9:10], s[42:43]
	v_fma_f64 v[53:54], v[49:50], s[80:81], s[78:79]
	v_fma_f64 v[55:56], v[51:52], s[80:81], s[78:79]
	;; [unrolled: 1-line block ×3, first 2 shown]
	v_mul_f64 v[59:60], v[49:50], 0.5
	v_fma_f64 v[61:62], v[51:52], s[70:71], s[68:69]
	v_mul_f64 v[63:64], v[51:52], 0.5
	v_mul_f64 v[71:72], v[25:26], -v[49:50]
	v_mul_f64 v[77:78], v[29:30], -v[51:52]
	v_cmp_nlt_f64_e64 s7, 0x40900000, v[9:10]
	v_cmp_ngt_f64_e64 s8, 0xc090cc00, v[9:10]
	v_rndne_f64_e32 v[34:35], v[34:35]
	v_fma_f64 v[53:54], v[49:50], v[53:54], s[82:83]
	v_fma_f64 v[55:56], v[51:52], v[55:56], s[82:83]
	;; [unrolled: 1-line block ×3, first 2 shown]
	v_add_f64 v[65:66], -v[59:60], 1.0
	v_fma_f64 v[61:62], v[51:52], v[61:62], s[72:73]
	v_add_f64 v[67:68], -v[63:64], 1.0
	v_fma_f64 v[36:37], v[34:35], s[44:45], v[9:10]
	v_fma_f64 v[53:54], v[49:50], v[53:54], s[84:85]
	v_fma_f64 v[55:56], v[51:52], v[55:56], s[84:85]
	v_fma_f64 v[57:58], v[49:50], v[57:58], s[74:75]
	v_add_f64 v[73:74], -v[65:66], 1.0
	v_fma_f64 v[61:62], v[51:52], v[61:62], s[74:75]
	v_add_f64 v[79:80], -v[67:68], 1.0
	v_cvt_i32_f64_e32 v18, v[34:35]
	v_lshlrev_b32_e32 v10, 30, v23
	v_lshlrev_b32_e32 v9, 30, v33
	s_delay_alu instid0(VALU_DEP_2) | instskip(NEXT) | instid1(VALU_DEP_2)
	v_and_b32_e32 v10, 0x80000000, v10
	v_xor_b32_e32 v9, v9, v24
	v_fma_f64 v[36:37], v[34:35], s[46:47], v[36:37]
	v_fma_f64 v[53:54], v[49:50], v[53:54], s[60:61]
	;; [unrolled: 1-line block ×4, first 2 shown]
	v_add_f64 v[59:60], v[73:74], -v[59:60]
	v_fma_f64 v[61:62], v[51:52], v[61:62], s[76:77]
	v_add_f64 v[63:64], v[79:80], -v[63:64]
	v_fma_f64 v[47:48], v[36:37], s[50:51], s[48:49]
	v_fma_f64 v[53:54], v[71:72], v[53:54], v[69:70]
	;; [unrolled: 1-line block ×3, first 2 shown]
	v_mul_f64 v[69:70], v[49:50], v[49:50]
	v_fma_f64 v[57:58], v[49:50], v[57:58], s[62:63]
	v_fma_f64 v[59:60], v[25:26], -v[27:28], v[59:60]
	v_fma_f64 v[47:48], v[36:37], v[47:48], s[52:53]
	v_fma_f64 v[27:28], v[49:50], v[53:54], -v[27:28]
	v_mul_f64 v[49:50], v[51:52], v[51:52]
	v_fma_f64 v[53:54], v[51:52], v[61:62], s[62:63]
	v_fma_f64 v[61:62], v[29:30], -v[31:32], v[63:64]
	v_fma_f64 v[31:32], v[51:52], v[55:56], -v[31:32]
	v_fma_f64 v[51:52], v[69:70], v[57:58], v[59:60]
	v_fma_f64 v[47:48], v[36:37], v[47:48], s[54:55]
	;; [unrolled: 1-line block ×3, first 2 shown]
	s_delay_alu instid0(VALU_DEP_4) | instskip(NEXT) | instid1(VALU_DEP_3)
	v_fma_f64 v[31:32], v[77:78], s[92:93], v[31:32]
	v_fma_f64 v[47:48], v[36:37], v[47:48], s[56:57]
	s_delay_alu instid0(VALU_DEP_3) | instskip(NEXT) | instid1(VALU_DEP_3)
	v_add_f64 v[25:26], v[25:26], -v[27:28]
	v_add_f64 v[29:30], v[29:30], -v[31:32]
	s_delay_alu instid0(VALU_DEP_3) | instskip(NEXT) | instid1(VALU_DEP_1)
	v_fma_f64 v[47:48], v[36:37], v[47:48], s[58:59]
	v_fma_f64 v[47:48], v[36:37], v[47:48], s[88:89]
	s_delay_alu instid0(VALU_DEP_1) | instskip(NEXT) | instid1(VALU_DEP_1)
	v_fma_f64 v[47:48], v[36:37], v[47:48], s[90:91]
	v_fma_f64 v[47:48], v[36:37], v[47:48], s[64:65]
	s_delay_alu instid0(VALU_DEP_1) | instskip(NEXT) | instid1(VALU_DEP_1)
	v_fma_f64 v[47:48], v[36:37], v[47:48], s[66:67]
	v_fma_f64 v[47:48], v[36:37], v[47:48], 1.0
	s_delay_alu instid0(VALU_DEP_1) | instskip(SKIP_2) | instid1(VALU_DEP_3)
	v_fma_f64 v[34:35], v[36:37], v[47:48], 1.0
	v_fma_f64 v[36:37], v[49:50], v[53:54], v[61:62]
	v_add_f64 v[47:48], v[65:66], v[51:52]
	v_ldexp_f64 v[27:28], v[34:35], v18
	s_delay_alu instid0(VALU_DEP_3) | instskip(SKIP_3) | instid1(VALU_DEP_3)
	v_add_f64 v[34:35], v[67:68], v[36:37]
	v_and_b32_e32 v18, 1, v23
	v_and_b32_e32 v12, 1, v33
	v_xor_b32_e32 v23, 0x80000000, v26
	v_cmp_eq_u32_e32 vcc_lo, 0, v18
	s_delay_alu instid0(VALU_DEP_3) | instskip(SKIP_1) | instid1(VALU_DEP_4)
	v_cmp_eq_u32_e64 s9, 0, v12
	v_cndmask_b32_e32 v18, v25, v47, vcc_lo
	v_dual_cndmask_b32 v12, v23, v48 :: v_dual_and_b32 v23, 0x80000000, v9
	s_and_b32 vcc_lo, s8, s7
	s_delay_alu instid0(VALU_DEP_2) | instskip(NEXT) | instid1(VALU_DEP_2)
	v_cndmask_b32_e64 v9, 0, v18, s6
	v_xor_b32_e32 v10, v12, v10
	s_delay_alu instid0(VALU_DEP_1) | instskip(SKIP_3) | instid1(VALU_DEP_3)
	v_cndmask_b32_e64 v10, 0x7ff80000, v10, s6
	v_cndmask_b32_e64 v11, 0x7ff00000, v28, s7
	;; [unrolled: 1-line block ×5, first 2 shown]
	s_delay_alu instid0(VALU_DEP_3) | instskip(NEXT) | instid1(VALU_DEP_3)
	v_xor_b32_e32 v12, v25, v23
	v_cndmask_b32_e64 v11, 0, v24, s6
	v_cndmask_b32_e32 v23, 0, v27, vcc_lo
	s_delay_alu instid0(VALU_DEP_4) | instskip(NEXT) | instid1(VALU_DEP_4)
	v_and_or_b32 v24, v26, s97, 0x7fe00000
	v_cndmask_b32_e64 v12, 0x7ff80000, v12, s6
	v_lshrrev_b32_e32 v18, 20, v26
	s_delay_alu instid0(VALU_DEP_3) | instskip(NEXT) | instid1(VALU_DEP_3)
	v_mul_f64 v[9:10], v[23:24], v[9:10]
	v_mul_f64 v[11:12], v[23:24], v[11:12]
	s_delay_alu instid0(VALU_DEP_3) | instskip(NEXT) | instid1(VALU_DEP_1)
	v_add_nc_u32_e32 v23, 0xffffff09, v18
	v_lshrrev_b16 v18, 15, v23
	s_delay_alu instid0(VALU_DEP_1) | instskip(NEXT) | instid1(VALU_DEP_1)
	v_add_nc_u16 v18, v23, v18
	v_ashrrev_i16 v18, 1, v18
	s_delay_alu instid0(VALU_DEP_1) | instskip(NEXT) | instid1(VALU_DEP_1)
	v_bfe_i32 v24, v18, 0, 16
	v_lshl_add_u32 v18, v24, 20, 0x3ff00000
	s_delay_alu instid0(VALU_DEP_1) | instskip(SKIP_3) | instid1(VALU_DEP_2)
	v_mul_f64 v[9:10], v[9:10], v[17:18]
	v_mul_f64 v[11:12], v[11:12], v[17:18]
	v_sub_nc_u32_e32 v18, v23, v24
	v_mov_b32_e32 v23, v17
	v_lshl_add_u32 v24, v18, 20, 0x3ff00000
	s_delay_alu instid0(VALU_DEP_1)
	v_mul_f64 v[25:26], v[9:10], v[23:24]
	v_mul_f64 v[23:24], v[11:12], v[23:24]
.LBB254_139:                            ;   in Loop: Header=BB254_4 Depth=1
	s_or_b32 exec_lo, exec_lo, s40
                                        ; implicit-def: $vgpr27_vgpr28
                                        ; implicit-def: $vgpr9_vgpr10
                                        ; implicit-def: $vgpr18
.LBB254_140:                            ;   in Loop: Header=BB254_4 Depth=1
	s_and_not1_saveexec_b32 s7, s100
	s_cbranch_execz .LBB254_146
; %bb.141:                              ;   in Loop: Header=BB254_4 Depth=1
	v_add_f64 v[23:24], v[11:12], -v[11:12]
	v_cmp_ne_u32_e32 vcc_lo, 0, v27
	v_cmp_ne_u32_e64 s6, 0x7ff00000, v18
	s_delay_alu instid0(VALU_DEP_1) | instskip(NEXT) | instid1(SALU_CYCLE_1)
	s_or_b32 s6, vcc_lo, s6
	s_and_saveexec_b32 s8, s6
	s_delay_alu instid0(SALU_CYCLE_1)
	s_xor_b32 s6, exec_lo, s8
; %bb.142:                              ;   in Loop: Header=BB254_4 Depth=1
                                        ; implicit-def: $vgpr27_vgpr28
                                        ; implicit-def: $vgpr9_vgpr10
; %bb.143:                              ;   in Loop: Header=BB254_4 Depth=1
	s_delay_alu instid0(SALU_CYCLE_1) | instskip(NEXT) | instid1(VALU_DEP_3)
	s_or_saveexec_b32 s6, s6
	v_dual_mov_b32 v26, v24 :: v_dual_mov_b32 v25, v23
	s_xor_b32 exec_lo, exec_lo, s6
; %bb.144:                              ;   in Loop: Header=BB254_4 Depth=1
	v_cmp_lt_i64_e32 vcc_lo, -1, v[27:28]
	v_dual_cndmask_b32 v26, 0, v28 :: v_dual_cndmask_b32 v25, 0, v9
	v_dual_cndmask_b32 v24, 0, v24 :: v_dual_cndmask_b32 v23, 0, v23
; %bb.145:                              ;   in Loop: Header=BB254_4 Depth=1
	s_or_b32 exec_lo, exec_lo, s6
.LBB254_146:                            ;   in Loop: Header=BB254_4 Depth=1
	s_delay_alu instid0(SALU_CYCLE_1)
	s_or_b32 exec_lo, exec_lo, s7
                                        ; implicit-def: $vgpr11_vgpr12
.LBB254_147:                            ;   in Loop: Header=BB254_4 Depth=1
	s_and_not1_saveexec_b32 s8, s99
	s_cbranch_execz .LBB254_157
; %bb.148:                              ;   in Loop: Header=BB254_4 Depth=1
	v_cmp_ngt_f64_e64 s7, 0x41d00000, |v[11:12]|
	v_trig_preop_f64 v[31:32], |v[11:12]|, 0
	v_trig_preop_f64 v[29:30], |v[11:12]|, 1
	v_ldexp_f64 v[33:34], |v[11:12]|, 0xffffff80
	v_trig_preop_f64 v[27:28], |v[11:12]|, 2
	v_and_b32_e32 v47, 0x7fffffff, v12
                                        ; implicit-def: $vgpr23
                                        ; implicit-def: $vgpr9_vgpr10
                                        ; implicit-def: $vgpr25_vgpr26
	s_and_saveexec_b32 s6, s7
	s_delay_alu instid0(SALU_CYCLE_1)
	s_xor_b32 s9, exec_lo, s6
	s_cbranch_execz .LBB254_150
; %bb.149:                              ;   in Loop: Header=BB254_4 Depth=1
	v_cmp_le_f64_e64 vcc_lo, 0x7b000000, |v[11:12]|
	s_mov_b32 s24, s26
	s_mov_b32 s31, s29
	s_delay_alu instid0(VALU_DEP_4) | instskip(SKIP_1) | instid1(VALU_DEP_1)
	v_cndmask_b32_e32 v10, v47, v34, vcc_lo
	v_cndmask_b32_e32 v9, v11, v33, vcc_lo
	v_mul_f64 v[25:26], v[31:32], v[9:10]
	v_mul_f64 v[35:36], v[29:30], v[9:10]
	s_delay_alu instid0(VALU_DEP_2) | instskip(NEXT) | instid1(VALU_DEP_2)
	v_fma_f64 v[37:38], v[31:32], v[9:10], -v[25:26]
	v_fma_f64 v[58:59], v[29:30], v[9:10], -v[35:36]
	s_delay_alu instid0(VALU_DEP_2) | instskip(NEXT) | instid1(VALU_DEP_1)
	v_add_f64 v[48:49], v[35:36], v[37:38]
	v_add_f64 v[50:51], v[48:49], -v[35:36]
	v_add_f64 v[54:55], v[25:26], v[48:49]
	s_delay_alu instid0(VALU_DEP_2) | instskip(SKIP_1) | instid1(VALU_DEP_3)
	v_add_f64 v[52:53], v[48:49], -v[50:51]
	v_add_f64 v[37:38], v[37:38], -v[50:51]
	v_ldexp_f64 v[50:51], v[54:55], -2
	v_add_f64 v[25:26], v[54:55], -v[25:26]
	s_delay_alu instid0(VALU_DEP_4) | instskip(NEXT) | instid1(VALU_DEP_3)
	v_add_f64 v[35:36], v[35:36], -v[52:53]
	v_cmp_neq_f64_e64 vcc_lo, 0x7ff00000, |v[50:51]|
	s_delay_alu instid0(VALU_DEP_3) | instskip(NEXT) | instid1(VALU_DEP_3)
	v_add_f64 v[25:26], v[48:49], -v[25:26]
	v_add_f64 v[35:36], v[37:38], v[35:36]
	v_fract_f64_e32 v[37:38], v[50:51]
	s_delay_alu instid0(VALU_DEP_1) | instskip(SKIP_1) | instid1(VALU_DEP_2)
	v_dual_cndmask_b32 v38, 0, v38 :: v_dual_cndmask_b32 v37, 0, v37
	v_mul_f64 v[56:57], v[27:28], v[9:10]
	v_ldexp_f64 v[37:38], v[37:38], 2
	s_delay_alu instid0(VALU_DEP_2) | instskip(SKIP_1) | instid1(VALU_DEP_2)
	v_add_f64 v[52:53], v[56:57], v[58:59]
	v_fma_f64 v[9:10], v[27:28], v[9:10], -v[56:57]
	v_add_f64 v[48:49], v[52:53], v[35:36]
	s_delay_alu instid0(VALU_DEP_1) | instskip(SKIP_1) | instid1(VALU_DEP_2)
	v_add_f64 v[50:51], v[25:26], v[48:49]
	v_add_f64 v[60:61], v[48:49], -v[52:53]
	v_add_f64 v[54:55], v[50:51], v[37:38]
	s_delay_alu instid0(VALU_DEP_2) | instskip(SKIP_2) | instid1(VALU_DEP_4)
	v_add_f64 v[66:67], v[48:49], -v[60:61]
	v_add_f64 v[35:36], v[35:36], -v[60:61]
	;; [unrolled: 1-line block ×3, first 2 shown]
	v_cmp_gt_f64_e32 vcc_lo, 0, v[54:55]
	v_add_f64 v[54:55], v[52:53], -v[56:57]
	s_delay_alu instid0(VALU_DEP_3) | instskip(SKIP_1) | instid1(VALU_DEP_3)
	v_add_f64 v[25:26], v[48:49], -v[25:26]
	v_cndmask_b32_e64 v18, 0, 0x40100000, vcc_lo
	v_add_f64 v[64:65], v[52:53], -v[54:55]
	v_add_f64 v[54:55], v[58:59], -v[54:55]
	;; [unrolled: 1-line block ×3, first 2 shown]
	s_delay_alu instid0(VALU_DEP_4) | instskip(NEXT) | instid1(VALU_DEP_4)
	v_add_f64 v[37:38], v[37:38], v[17:18]
	v_add_f64 v[58:59], v[56:57], -v[64:65]
	s_delay_alu instid0(VALU_DEP_3) | instskip(NEXT) | instid1(VALU_DEP_3)
	v_add_f64 v[35:36], v[35:36], v[52:53]
	v_add_f64 v[62:63], v[50:51], v[37:38]
	s_delay_alu instid0(VALU_DEP_3) | instskip(NEXT) | instid1(VALU_DEP_2)
	v_add_f64 v[54:55], v[54:55], v[58:59]
	v_cvt_i32_f64_e32 v18, v[62:63]
	s_delay_alu instid0(VALU_DEP_2) | instskip(NEXT) | instid1(VALU_DEP_2)
	v_add_f64 v[35:36], v[54:55], v[35:36]
	v_cvt_f64_i32_e32 v[60:61], v18
	s_delay_alu instid0(VALU_DEP_2) | instskip(NEXT) | instid1(VALU_DEP_2)
	v_add_f64 v[9:10], v[9:10], v[35:36]
	v_add_f64 v[37:38], v[37:38], -v[60:61]
	s_delay_alu instid0(VALU_DEP_2) | instskip(NEXT) | instid1(VALU_DEP_2)
	v_add_f64 v[9:10], v[25:26], v[9:10]
	v_add_f64 v[52:53], v[50:51], v[37:38]
	s_delay_alu instid0(VALU_DEP_1) | instskip(SKIP_1) | instid1(VALU_DEP_2)
	v_add_f64 v[35:36], v[52:53], -v[37:38]
	v_cmp_le_f64_e32 vcc_lo, 0.5, v[52:53]
	v_add_f64 v[25:26], v[50:51], -v[35:36]
	v_add_co_ci_u32_e64 v23, s6, 0, v18, vcc_lo
	v_cndmask_b32_e64 v18, 0, 0x3ff00000, vcc_lo
	s_delay_alu instid0(VALU_DEP_3) | instskip(NEXT) | instid1(VALU_DEP_2)
	v_add_f64 v[9:10], v[9:10], v[25:26]
	v_add_f64 v[25:26], v[52:53], -v[17:18]
	s_delay_alu instid0(VALU_DEP_1) | instskip(NEXT) | instid1(VALU_DEP_1)
	v_add_f64 v[35:36], v[25:26], v[9:10]
	v_mul_f64 v[37:38], v[35:36], s[24:25]
	v_add_f64 v[25:26], v[35:36], -v[25:26]
	s_delay_alu instid0(VALU_DEP_2) | instskip(NEXT) | instid1(VALU_DEP_2)
	v_fma_f64 v[48:49], v[35:36], s[24:25], -v[37:38]
	v_add_f64 v[9:10], v[9:10], -v[25:26]
	s_delay_alu instid0(VALU_DEP_2) | instskip(NEXT) | instid1(VALU_DEP_1)
	v_fma_f64 v[25:26], v[35:36], s[30:31], v[48:49]
	v_fma_f64 v[25:26], v[9:10], s[24:25], v[25:26]
	s_delay_alu instid0(VALU_DEP_1) | instskip(NEXT) | instid1(VALU_DEP_1)
	v_add_f64 v[9:10], v[37:38], v[25:26]
	v_add_f64 v[35:36], v[9:10], -v[37:38]
	s_delay_alu instid0(VALU_DEP_1)
	v_add_f64 v[25:26], v[25:26], -v[35:36]
	s_and_not1_saveexec_b32 s6, s9
	s_cbranch_execz .LBB254_152
	s_branch .LBB254_151
.LBB254_150:                            ;   in Loop: Header=BB254_4 Depth=1
	s_and_not1_saveexec_b32 s6, s9
	s_cbranch_execz .LBB254_152
.LBB254_151:                            ;   in Loop: Header=BB254_4 Depth=1
	v_mul_f64 v[9:10], |v[11:12]|, s[34:35]
	s_mov_b32 s28, s36
	s_delay_alu instid0(VALU_DEP_1) | instskip(NEXT) | instid1(VALU_DEP_1)
	v_rndne_f64_e32 v[35:36], v[9:10]
	v_fma_f64 v[9:10], v[35:36], s[26:27], |v[11:12]|
	v_mul_f64 v[25:26], v[35:36], s[36:37]
	v_cvt_i32_f64_e32 v23, v[35:36]
	s_delay_alu instid0(VALU_DEP_3) | instskip(NEXT) | instid1(VALU_DEP_3)
	v_fma_f64 v[48:49], v[35:36], s[36:37], v[9:10]
	v_add_f64 v[37:38], v[9:10], v[25:26]
	s_delay_alu instid0(VALU_DEP_1) | instskip(NEXT) | instid1(VALU_DEP_3)
	v_add_f64 v[9:10], v[9:10], -v[37:38]
	v_add_f64 v[37:38], v[37:38], -v[48:49]
	s_delay_alu instid0(VALU_DEP_2) | instskip(SKIP_1) | instid1(VALU_DEP_2)
	v_add_f64 v[9:10], v[9:10], v[25:26]
	v_fma_f64 v[25:26], v[35:36], s[28:29], v[25:26]
	v_add_f64 v[9:10], v[37:38], v[9:10]
	s_delay_alu instid0(VALU_DEP_1) | instskip(NEXT) | instid1(VALU_DEP_1)
	v_add_f64 v[9:10], v[9:10], -v[25:26]
	v_fma_f64 v[25:26], v[35:36], s[38:39], v[9:10]
	s_delay_alu instid0(VALU_DEP_1) | instskip(NEXT) | instid1(VALU_DEP_1)
	v_add_f64 v[9:10], v[48:49], v[25:26]
	v_add_f64 v[37:38], v[9:10], -v[48:49]
	s_delay_alu instid0(VALU_DEP_1)
	v_add_f64 v[25:26], v[25:26], -v[37:38]
.LBB254_152:                            ;   in Loop: Header=BB254_4 Depth=1
	s_or_b32 exec_lo, exec_lo, s6
                                        ; implicit-def: $vgpr48
                                        ; implicit-def: $vgpr35_vgpr36
                                        ; implicit-def: $vgpr37_vgpr38
	s_and_saveexec_b32 s6, s7
	s_delay_alu instid0(SALU_CYCLE_1)
	s_xor_b32 s7, exec_lo, s6
	s_cbranch_execz .LBB254_154
; %bb.153:                              ;   in Loop: Header=BB254_4 Depth=1
	v_cmp_le_f64_e64 vcc_lo, 0x7b000000, |v[11:12]|
	s_mov_b32 s24, s26
	s_mov_b32 s31, s29
	s_delay_alu instid0(VALU_DEP_4) | instskip(SKIP_1) | instid1(VALU_DEP_1)
	v_cndmask_b32_e32 v34, v47, v34, vcc_lo
	v_cndmask_b32_e32 v33, v11, v33, vcc_lo
	v_mul_f64 v[35:36], v[31:32], v[33:34]
	v_mul_f64 v[37:38], v[29:30], v[33:34]
	s_delay_alu instid0(VALU_DEP_2) | instskip(NEXT) | instid1(VALU_DEP_2)
	v_fma_f64 v[31:32], v[31:32], v[33:34], -v[35:36]
	v_fma_f64 v[29:30], v[29:30], v[33:34], -v[37:38]
	s_delay_alu instid0(VALU_DEP_2) | instskip(NEXT) | instid1(VALU_DEP_1)
	v_add_f64 v[47:48], v[37:38], v[31:32]
	v_add_f64 v[49:50], v[47:48], -v[37:38]
	v_add_f64 v[53:54], v[35:36], v[47:48]
	s_delay_alu instid0(VALU_DEP_2) | instskip(SKIP_1) | instid1(VALU_DEP_3)
	v_add_f64 v[51:52], v[47:48], -v[49:50]
	v_add_f64 v[31:32], v[31:32], -v[49:50]
	v_ldexp_f64 v[49:50], v[53:54], -2
	v_add_f64 v[35:36], v[53:54], -v[35:36]
	s_delay_alu instid0(VALU_DEP_4) | instskip(NEXT) | instid1(VALU_DEP_3)
	v_add_f64 v[37:38], v[37:38], -v[51:52]
	v_cmp_neq_f64_e64 vcc_lo, 0x7ff00000, |v[49:50]|
	s_delay_alu instid0(VALU_DEP_3) | instskip(NEXT) | instid1(VALU_DEP_3)
	v_add_f64 v[35:36], v[47:48], -v[35:36]
	v_add_f64 v[31:32], v[31:32], v[37:38]
	v_fract_f64_e32 v[37:38], v[49:50]
	s_delay_alu instid0(VALU_DEP_1) | instskip(SKIP_1) | instid1(VALU_DEP_2)
	v_dual_cndmask_b32 v38, 0, v38 :: v_dual_cndmask_b32 v37, 0, v37
	v_mul_f64 v[55:56], v[27:28], v[33:34]
	v_ldexp_f64 v[37:38], v[37:38], 2
	s_delay_alu instid0(VALU_DEP_2) | instskip(SKIP_1) | instid1(VALU_DEP_2)
	v_add_f64 v[51:52], v[55:56], v[29:30]
	v_fma_f64 v[27:28], v[27:28], v[33:34], -v[55:56]
	v_add_f64 v[47:48], v[51:52], v[31:32]
	s_delay_alu instid0(VALU_DEP_1) | instskip(SKIP_1) | instid1(VALU_DEP_2)
	v_add_f64 v[49:50], v[35:36], v[47:48]
	v_add_f64 v[57:58], v[47:48], -v[51:52]
	v_add_f64 v[53:54], v[49:50], v[37:38]
	s_delay_alu instid0(VALU_DEP_2) | instskip(SKIP_2) | instid1(VALU_DEP_4)
	v_add_f64 v[63:64], v[47:48], -v[57:58]
	v_add_f64 v[31:32], v[31:32], -v[57:58]
	;; [unrolled: 1-line block ×3, first 2 shown]
	v_cmp_gt_f64_e32 vcc_lo, 0, v[53:54]
	v_add_f64 v[53:54], v[51:52], -v[55:56]
	s_delay_alu instid0(VALU_DEP_3) | instskip(SKIP_1) | instid1(VALU_DEP_3)
	v_add_f64 v[33:34], v[47:48], -v[33:34]
	v_cndmask_b32_e64 v18, 0, 0x40100000, vcc_lo
	v_add_f64 v[61:62], v[51:52], -v[53:54]
	v_add_f64 v[29:30], v[29:30], -v[53:54]
	;; [unrolled: 1-line block ×3, first 2 shown]
	s_delay_alu instid0(VALU_DEP_4) | instskip(NEXT) | instid1(VALU_DEP_4)
	v_add_f64 v[37:38], v[37:38], v[17:18]
	v_add_f64 v[53:54], v[55:56], -v[61:62]
	s_delay_alu instid0(VALU_DEP_3) | instskip(NEXT) | instid1(VALU_DEP_3)
	v_add_f64 v[31:32], v[31:32], v[51:52]
	v_add_f64 v[59:60], v[49:50], v[37:38]
	s_delay_alu instid0(VALU_DEP_3) | instskip(NEXT) | instid1(VALU_DEP_2)
	v_add_f64 v[29:30], v[29:30], v[53:54]
	v_cvt_i32_f64_e32 v18, v[59:60]
	s_delay_alu instid0(VALU_DEP_2) | instskip(NEXT) | instid1(VALU_DEP_2)
	v_add_f64 v[29:30], v[29:30], v[31:32]
	v_cvt_f64_i32_e32 v[57:58], v18
	s_delay_alu instid0(VALU_DEP_2) | instskip(NEXT) | instid1(VALU_DEP_2)
	v_add_f64 v[27:28], v[27:28], v[29:30]
	v_add_f64 v[37:38], v[37:38], -v[57:58]
	s_delay_alu instid0(VALU_DEP_2) | instskip(NEXT) | instid1(VALU_DEP_2)
	v_add_f64 v[27:28], v[33:34], v[27:28]
	v_add_f64 v[31:32], v[49:50], v[37:38]
	s_delay_alu instid0(VALU_DEP_1) | instskip(SKIP_1) | instid1(VALU_DEP_2)
	v_add_f64 v[29:30], v[31:32], -v[37:38]
	v_cmp_le_f64_e32 vcc_lo, 0.5, v[31:32]
	v_add_f64 v[29:30], v[49:50], -v[29:30]
	v_add_co_ci_u32_e64 v48, s6, 0, v18, vcc_lo
	v_cndmask_b32_e64 v18, 0, 0x3ff00000, vcc_lo
	s_delay_alu instid0(VALU_DEP_3) | instskip(NEXT) | instid1(VALU_DEP_2)
	v_add_f64 v[27:28], v[27:28], v[29:30]
	v_add_f64 v[29:30], v[31:32], -v[17:18]
	s_delay_alu instid0(VALU_DEP_1) | instskip(NEXT) | instid1(VALU_DEP_1)
	v_add_f64 v[31:32], v[29:30], v[27:28]
	v_mul_f64 v[33:34], v[31:32], s[24:25]
	v_add_f64 v[29:30], v[31:32], -v[29:30]
	s_delay_alu instid0(VALU_DEP_2) | instskip(NEXT) | instid1(VALU_DEP_2)
	v_fma_f64 v[35:36], v[31:32], s[24:25], -v[33:34]
	v_add_f64 v[27:28], v[27:28], -v[29:30]
	s_delay_alu instid0(VALU_DEP_2) | instskip(NEXT) | instid1(VALU_DEP_1)
	v_fma_f64 v[29:30], v[31:32], s[30:31], v[35:36]
	v_fma_f64 v[27:28], v[27:28], s[24:25], v[29:30]
	s_delay_alu instid0(VALU_DEP_1) | instskip(NEXT) | instid1(VALU_DEP_1)
	v_add_f64 v[35:36], v[33:34], v[27:28]
	v_add_f64 v[29:30], v[35:36], -v[33:34]
	s_delay_alu instid0(VALU_DEP_1)
	v_add_f64 v[37:38], v[27:28], -v[29:30]
	s_and_not1_saveexec_b32 s6, s7
	s_cbranch_execnz .LBB254_155
	s_branch .LBB254_156
.LBB254_154:                            ;   in Loop: Header=BB254_4 Depth=1
	s_and_not1_saveexec_b32 s6, s7
	s_cbranch_execz .LBB254_156
.LBB254_155:                            ;   in Loop: Header=BB254_4 Depth=1
	v_mul_f64 v[27:28], |v[11:12]|, s[34:35]
	s_mov_b32 s28, s36
	s_delay_alu instid0(VALU_DEP_1) | instskip(NEXT) | instid1(VALU_DEP_1)
	v_rndne_f64_e32 v[27:28], v[27:28]
	v_fma_f64 v[29:30], v[27:28], s[26:27], |v[11:12]|
	v_mul_f64 v[31:32], v[27:28], s[36:37]
	v_cvt_i32_f64_e32 v48, v[27:28]
	s_delay_alu instid0(VALU_DEP_3) | instskip(NEXT) | instid1(VALU_DEP_3)
	v_fma_f64 v[37:38], v[27:28], s[36:37], v[29:30]
	v_add_f64 v[33:34], v[29:30], v[31:32]
	s_delay_alu instid0(VALU_DEP_1) | instskip(NEXT) | instid1(VALU_DEP_3)
	v_add_f64 v[29:30], v[29:30], -v[33:34]
	v_add_f64 v[33:34], v[33:34], -v[37:38]
	s_delay_alu instid0(VALU_DEP_2) | instskip(SKIP_1) | instid1(VALU_DEP_2)
	v_add_f64 v[29:30], v[29:30], v[31:32]
	v_fma_f64 v[31:32], v[27:28], s[28:29], v[31:32]
	v_add_f64 v[29:30], v[33:34], v[29:30]
	s_delay_alu instid0(VALU_DEP_1) | instskip(NEXT) | instid1(VALU_DEP_1)
	v_add_f64 v[29:30], v[29:30], -v[31:32]
	v_fma_f64 v[29:30], v[27:28], s[38:39], v[29:30]
	s_delay_alu instid0(VALU_DEP_1) | instskip(NEXT) | instid1(VALU_DEP_1)
	v_add_f64 v[35:36], v[37:38], v[29:30]
	v_add_f64 v[31:32], v[35:36], -v[37:38]
	s_delay_alu instid0(VALU_DEP_1)
	v_add_f64 v[37:38], v[29:30], -v[31:32]
.LBB254_156:                            ;   in Loop: Header=BB254_4 Depth=1
	s_or_b32 exec_lo, exec_lo, s6
	v_mul_f64 v[27:28], v[9:10], v[9:10]
	v_mul_f64 v[29:30], v[35:36], v[35:36]
	s_delay_alu instid0(VALU_DEP_3) | instskip(NEXT) | instid1(VALU_DEP_4)
	v_mul_f64 v[61:62], v[25:26], 0.5
	v_mul_f64 v[67:68], v[37:38], 0.5
	s_mov_b32 s92, s62
	v_cmp_class_f64_e64 s6, v[11:12], 0x1f8
	v_and_b32_e32 v18, 1, v23
	v_lshlrev_b32_e32 v11, 30, v48
	v_and_b32_e32 v12, 1, v48
	s_delay_alu instid0(VALU_DEP_3) | instskip(SKIP_1) | instid1(VALU_DEP_4)
	v_cmp_eq_u32_e32 vcc_lo, 0, v18
	v_lshlrev_b32_e32 v18, 30, v23
	v_xor_b32_e32 v11, v11, v24
	s_delay_alu instid0(VALU_DEP_4) | instskip(NEXT) | instid1(VALU_DEP_3)
	v_cmp_eq_u32_e64 s7, 0, v12
	v_and_b32_e32 v12, 0x80000000, v18
	v_fma_f64 v[31:32], v[27:28], s[80:81], s[78:79]
	v_fma_f64 v[33:34], v[29:30], s[80:81], s[78:79]
	;; [unrolled: 1-line block ×3, first 2 shown]
	v_mul_f64 v[51:52], v[27:28], 0.5
	v_fma_f64 v[53:54], v[29:30], s[70:71], s[68:69]
	v_mul_f64 v[55:56], v[29:30], 0.5
	v_mul_f64 v[63:64], v[9:10], -v[27:28]
	v_mul_f64 v[69:70], v[35:36], -v[29:30]
	v_fma_f64 v[31:32], v[27:28], v[31:32], s[82:83]
	v_fma_f64 v[33:34], v[29:30], v[33:34], s[82:83]
	;; [unrolled: 1-line block ×3, first 2 shown]
	v_add_f64 v[57:58], -v[51:52], 1.0
	v_fma_f64 v[53:54], v[29:30], v[53:54], s[72:73]
	v_add_f64 v[59:60], -v[55:56], 1.0
	v_fma_f64 v[31:32], v[27:28], v[31:32], s[84:85]
	v_fma_f64 v[33:34], v[29:30], v[33:34], s[84:85]
	;; [unrolled: 1-line block ×3, first 2 shown]
	v_add_f64 v[65:66], -v[57:58], 1.0
	v_fma_f64 v[53:54], v[29:30], v[53:54], s[74:75]
	v_add_f64 v[71:72], -v[59:60], 1.0
	v_fma_f64 v[31:32], v[27:28], v[31:32], s[60:61]
	v_fma_f64 v[33:34], v[29:30], v[33:34], s[60:61]
	;; [unrolled: 1-line block ×3, first 2 shown]
	v_add_f64 v[51:52], v[65:66], -v[51:52]
	v_fma_f64 v[53:54], v[29:30], v[53:54], s[76:77]
	v_add_f64 v[55:56], v[71:72], -v[55:56]
	v_fma_f64 v[31:32], v[63:64], v[31:32], v[61:62]
	v_fma_f64 v[33:34], v[69:70], v[33:34], v[67:68]
	v_mul_f64 v[61:62], v[27:28], v[27:28]
	v_fma_f64 v[49:50], v[27:28], v[49:50], s[62:63]
	v_fma_f64 v[51:52], v[9:10], -v[25:26], v[51:52]
	v_fma_f64 v[25:26], v[27:28], v[31:32], -v[25:26]
	v_mul_f64 v[27:28], v[29:30], v[29:30]
	v_fma_f64 v[31:32], v[29:30], v[53:54], s[62:63]
	v_fma_f64 v[53:54], v[35:36], -v[37:38], v[55:56]
	v_fma_f64 v[29:30], v[29:30], v[33:34], -v[37:38]
	v_fma_f64 v[33:34], v[61:62], v[49:50], v[51:52]
	v_fma_f64 v[25:26], v[63:64], s[92:93], v[25:26]
	s_delay_alu instid0(VALU_DEP_4) | instskip(NEXT) | instid1(VALU_DEP_4)
	v_fma_f64 v[27:28], v[27:28], v[31:32], v[53:54]
	v_fma_f64 v[29:30], v[69:70], s[92:93], v[29:30]
	s_delay_alu instid0(VALU_DEP_4) | instskip(NEXT) | instid1(VALU_DEP_4)
	v_add_f64 v[31:32], v[57:58], v[33:34]
	v_add_f64 v[9:10], v[9:10], -v[25:26]
	s_delay_alu instid0(VALU_DEP_4) | instskip(NEXT) | instid1(VALU_DEP_4)
	v_add_f64 v[25:26], v[59:60], v[27:28]
	v_add_f64 v[27:28], v[35:36], -v[29:30]
	s_delay_alu instid0(VALU_DEP_3) | instskip(NEXT) | instid1(VALU_DEP_4)
	v_cndmask_b32_e32 v9, v9, v31, vcc_lo
	v_xor_b32_e32 v10, 0x80000000, v10
	v_and_b32_e32 v11, 0x80000000, v11
	s_delay_alu instid0(VALU_DEP_4) | instskip(SKIP_1) | instid1(VALU_DEP_4)
	v_cndmask_b32_e64 v23, v26, v28, s7
	v_cndmask_b32_e64 v18, v25, v27, s7
	v_cndmask_b32_e32 v10, v10, v32, vcc_lo
	v_cndmask_b32_e64 v25, 0, v9, s6
	s_delay_alu instid0(VALU_DEP_4) | instskip(NEXT) | instid1(VALU_DEP_4)
	v_xor_b32_e32 v11, v23, v11
	v_cndmask_b32_e64 v23, 0, v18, s6
	s_delay_alu instid0(VALU_DEP_4) | instskip(NEXT) | instid1(VALU_DEP_3)
	v_xor_b32_e32 v10, v10, v12
	v_cndmask_b32_e64 v24, 0x7ff80000, v11, s6
	s_delay_alu instid0(VALU_DEP_2)
	v_cndmask_b32_e64 v26, 0x7ff80000, v10, s6
.LBB254_157:                            ;   in Loop: Header=BB254_4 Depth=1
	s_or_b32 exec_lo, exec_lo, s8
                                        ; implicit-def: $vgpr9_vgpr10
.LBB254_158:                            ;   in Loop: Header=BB254_4 Depth=1
	s_and_not1_saveexec_b32 s7, s98
	s_cbranch_execz .LBB254_160
; %bb.159:                              ;   in Loop: Header=BB254_4 Depth=1
	s_mov_b32 s40, s42
	s_mov_b32 s89, s61
	v_mul_f64 v[11:12], v[9:10], s[40:41]
	s_mov_b32 s91, s63
	v_cmp_ngt_f64_e32 vcc_lo, 0xc0900000, v[9:10]
	v_cmp_nlt_f64_e64 s6, 0x4090cc00, v[9:10]
	s_delay_alu instid0(VALU_DEP_3) | instskip(NEXT) | instid1(VALU_DEP_1)
	v_rndne_f64_e32 v[11:12], v[11:12]
	v_fma_f64 v[25:26], v[11:12], s[44:45], -v[9:10]
	v_cvt_i32_f64_e32 v18, v[11:12]
	s_delay_alu instid0(VALU_DEP_2) | instskip(NEXT) | instid1(VALU_DEP_1)
	v_fma_f64 v[25:26], v[11:12], s[46:47], v[25:26]
	v_fma_f64 v[27:28], v[25:26], s[50:51], s[48:49]
	s_delay_alu instid0(VALU_DEP_1) | instskip(NEXT) | instid1(VALU_DEP_1)
	v_fma_f64 v[27:28], v[25:26], v[27:28], s[52:53]
	v_fma_f64 v[27:28], v[25:26], v[27:28], s[54:55]
	s_delay_alu instid0(VALU_DEP_1) | instskip(NEXT) | instid1(VALU_DEP_1)
	;; [unrolled: 3-line block ×5, first 2 shown]
	v_fma_f64 v[27:28], v[25:26], v[27:28], 1.0
	v_fma_f64 v[11:12], v[25:26], v[27:28], 1.0
	s_delay_alu instid0(VALU_DEP_1) | instskip(NEXT) | instid1(VALU_DEP_1)
	v_ldexp_f64 v[11:12], v[11:12], v18
	v_cndmask_b32_e32 v12, 0x7ff00000, v12, vcc_lo
	s_and_b32 vcc_lo, s6, vcc_lo
	s_delay_alu instid0(VALU_DEP_2) | instskip(NEXT) | instid1(VALU_DEP_2)
	v_cndmask_b32_e32 v25, 0, v11, vcc_lo
	v_cndmask_b32_e64 v26, 0, v12, s6
.LBB254_160:                            ;   in Loop: Header=BB254_4 Depth=1
	s_or_b32 exec_lo, exec_lo, s7
	s_delay_alu instid0(VALU_DEP_1) | instskip(NEXT) | instid1(VALU_DEP_2)
	v_add_f64 v[25:26], s[12:13], v[25:26]
	v_add_f64 v[23:24], s[14:15], v[23:24]
                                        ; implicit-def: $vgpr11_vgpr12
	s_delay_alu instid0(VALU_DEP_2) | instskip(NEXT) | instid1(VALU_DEP_2)
	v_cmp_gt_f64_e32 vcc_lo, 0, v[25:26]
	v_cmp_gt_f64_e64 s6, 0, v[23:24]
	v_xor_b32_e32 v9, 0x80000000, v26
	v_xor_b32_e32 v10, 0x80000000, v24
	s_delay_alu instid0(VALU_DEP_2) | instskip(NEXT) | instid1(VALU_DEP_2)
	v_cndmask_b32_e32 v28, v26, v9, vcc_lo
	v_cndmask_b32_e64 v30, v24, v10, s6
	v_cndmask_b32_e32 v27, v25, v25, vcc_lo
	v_cndmask_b32_e64 v29, v23, v23, s6
	s_mov_b32 s6, exec_lo
	s_delay_alu instid0(VALU_DEP_1)
	v_cmpx_ge_f64_e32 v[27:28], v[29:30]
	s_xor_b32 s7, exec_lo, s6
	s_cbranch_execz .LBB254_166
; %bb.161:                              ;   in Loop: Header=BB254_4 Depth=1
	v_cmp_neq_f64_e32 vcc_lo, 0, v[25:26]
	v_cmp_neq_f64_e64 s6, 0, v[23:24]
                                        ; implicit-def: $vgpr11_vgpr12
	s_delay_alu instid0(VALU_DEP_1) | instskip(NEXT) | instid1(SALU_CYCLE_1)
	s_or_b32 s6, vcc_lo, s6
	s_and_saveexec_b32 s8, s6
	s_delay_alu instid0(SALU_CYCLE_1)
	s_xor_b32 s6, exec_lo, s8
	s_cbranch_execz .LBB254_163
; %bb.162:                              ;   in Loop: Header=BB254_4 Depth=1
	v_div_scale_f64 v[9:10], null, v[25:26], v[25:26], v[23:24]
	v_div_scale_f64 v[29:30], vcc_lo, v[23:24], v[25:26], v[23:24]
	s_delay_alu instid0(VALU_DEP_2) | instskip(SKIP_2) | instid1(VALU_DEP_1)
	v_rcp_f64_e32 v[11:12], v[9:10]
	s_waitcnt_depctr 0xfff
	v_fma_f64 v[27:28], -v[9:10], v[11:12], 1.0
	v_fma_f64 v[11:12], v[11:12], v[27:28], v[11:12]
	s_delay_alu instid0(VALU_DEP_1) | instskip(NEXT) | instid1(VALU_DEP_1)
	v_fma_f64 v[27:28], -v[9:10], v[11:12], 1.0
	v_fma_f64 v[11:12], v[11:12], v[27:28], v[11:12]
	s_delay_alu instid0(VALU_DEP_1) | instskip(NEXT) | instid1(VALU_DEP_1)
	v_mul_f64 v[27:28], v[29:30], v[11:12]
	v_fma_f64 v[9:10], -v[9:10], v[27:28], v[29:30]
	s_delay_alu instid0(VALU_DEP_1) | instskip(NEXT) | instid1(VALU_DEP_1)
	v_div_fmas_f64 v[9:10], v[9:10], v[11:12], v[27:28]
	v_div_fixup_f64 v[9:10], v[9:10], v[25:26], v[23:24]
	s_delay_alu instid0(VALU_DEP_1) | instskip(NEXT) | instid1(VALU_DEP_1)
	v_fma_f64 v[11:12], v[23:24], v[9:10], v[25:26]
	v_div_scale_f64 v[23:24], null, v[11:12], v[11:12], 1.0
	v_div_scale_f64 v[29:30], vcc_lo, 1.0, v[11:12], 1.0
	s_delay_alu instid0(VALU_DEP_2) | instskip(SKIP_2) | instid1(VALU_DEP_1)
	v_rcp_f64_e32 v[25:26], v[23:24]
	s_waitcnt_depctr 0xfff
	v_fma_f64 v[27:28], -v[23:24], v[25:26], 1.0
	v_fma_f64 v[25:26], v[25:26], v[27:28], v[25:26]
	s_delay_alu instid0(VALU_DEP_1) | instskip(NEXT) | instid1(VALU_DEP_1)
	v_fma_f64 v[27:28], -v[23:24], v[25:26], 1.0
	v_fma_f64 v[25:26], v[25:26], v[27:28], v[25:26]
	s_delay_alu instid0(VALU_DEP_1) | instskip(NEXT) | instid1(VALU_DEP_1)
	v_mul_f64 v[27:28], v[29:30], v[25:26]
	v_fma_f64 v[23:24], -v[23:24], v[27:28], v[29:30]
                                        ; implicit-def: $vgpr29_vgpr30
	s_delay_alu instid0(VALU_DEP_1) | instskip(SKIP_1) | instid1(VALU_DEP_2)
	v_div_fmas_f64 v[23:24], v[23:24], v[25:26], v[27:28]
	v_fma_f64 v[25:26], s[14:15], v[9:10], s[12:13]
                                        ; implicit-def: $vgpr27_vgpr28
	v_div_fixup_f64 v[11:12], v[23:24], v[11:12], 1.0
	v_fma_f64 v[23:24], -s[12:13], v[9:10], s[14:15]
	s_delay_alu instid0(VALU_DEP_2) | instskip(NEXT) | instid1(VALU_DEP_2)
	v_mul_f64 v[9:10], v[25:26], v[11:12]
	v_mul_f64 v[11:12], v[23:24], v[11:12]
.LBB254_163:                            ;   in Loop: Header=BB254_4 Depth=1
	s_and_not1_saveexec_b32 s8, s6
	s_cbranch_execz .LBB254_165
; %bb.164:                              ;   in Loop: Header=BB254_4 Depth=1
	v_div_scale_f64 v[9:10], null, v[27:28], v[27:28], s[12:13]
	v_div_scale_f64 v[11:12], null, v[29:30], v[29:30], s[14:15]
	v_div_scale_f64 v[35:36], vcc_lo, s[12:13], v[27:28], s[12:13]
	s_delay_alu instid0(VALU_DEP_3) | instskip(NEXT) | instid1(VALU_DEP_2)
	v_rcp_f64_e32 v[23:24], v[9:10]
	v_rcp_f64_e32 v[25:26], v[11:12]
	s_waitcnt_depctr 0xfff
	v_fma_f64 v[31:32], -v[9:10], v[23:24], 1.0
	v_fma_f64 v[33:34], -v[11:12], v[25:26], 1.0
	s_delay_alu instid0(VALU_DEP_2) | instskip(NEXT) | instid1(VALU_DEP_2)
	v_fma_f64 v[23:24], v[23:24], v[31:32], v[23:24]
	v_fma_f64 v[25:26], v[25:26], v[33:34], v[25:26]
	s_delay_alu instid0(VALU_DEP_2) | instskip(NEXT) | instid1(VALU_DEP_2)
	v_fma_f64 v[31:32], -v[9:10], v[23:24], 1.0
	v_fma_f64 v[33:34], -v[11:12], v[25:26], 1.0
	s_delay_alu instid0(VALU_DEP_2) | instskip(SKIP_1) | instid1(VALU_DEP_3)
	v_fma_f64 v[23:24], v[23:24], v[31:32], v[23:24]
	v_div_scale_f64 v[31:32], s6, s[14:15], v[29:30], s[14:15]
	v_fma_f64 v[25:26], v[25:26], v[33:34], v[25:26]
	s_delay_alu instid0(VALU_DEP_3) | instskip(NEXT) | instid1(VALU_DEP_2)
	v_mul_f64 v[33:34], v[35:36], v[23:24]
	v_mul_f64 v[37:38], v[31:32], v[25:26]
	s_delay_alu instid0(VALU_DEP_2) | instskip(NEXT) | instid1(VALU_DEP_2)
	v_fma_f64 v[9:10], -v[9:10], v[33:34], v[35:36]
	v_fma_f64 v[11:12], -v[11:12], v[37:38], v[31:32]
	s_delay_alu instid0(VALU_DEP_2) | instskip(SKIP_1) | instid1(VALU_DEP_2)
	v_div_fmas_f64 v[9:10], v[9:10], v[23:24], v[33:34]
	s_mov_b32 vcc_lo, s6
	v_div_fmas_f64 v[11:12], v[11:12], v[25:26], v[37:38]
	s_delay_alu instid0(VALU_DEP_2) | instskip(NEXT) | instid1(VALU_DEP_2)
	v_div_fixup_f64 v[9:10], v[9:10], v[27:28], s[12:13]
	v_div_fixup_f64 v[11:12], v[11:12], v[29:30], s[14:15]
.LBB254_165:                            ;   in Loop: Header=BB254_4 Depth=1
	s_or_b32 exec_lo, exec_lo, s8
                                        ; implicit-def: $vgpr23_vgpr24
                                        ; implicit-def: $vgpr25_vgpr26
.LBB254_166:                            ;   in Loop: Header=BB254_4 Depth=1
	s_and_not1_saveexec_b32 s6, s7
	s_cbranch_execz .LBB254_168
; %bb.167:                              ;   in Loop: Header=BB254_4 Depth=1
	v_div_scale_f64 v[9:10], null, v[23:24], v[23:24], v[25:26]
	v_div_scale_f64 v[29:30], vcc_lo, v[25:26], v[23:24], v[25:26]
	s_delay_alu instid0(VALU_DEP_2) | instskip(SKIP_2) | instid1(VALU_DEP_1)
	v_rcp_f64_e32 v[11:12], v[9:10]
	s_waitcnt_depctr 0xfff
	v_fma_f64 v[27:28], -v[9:10], v[11:12], 1.0
	v_fma_f64 v[11:12], v[11:12], v[27:28], v[11:12]
	s_delay_alu instid0(VALU_DEP_1) | instskip(NEXT) | instid1(VALU_DEP_1)
	v_fma_f64 v[27:28], -v[9:10], v[11:12], 1.0
	v_fma_f64 v[11:12], v[11:12], v[27:28], v[11:12]
	s_delay_alu instid0(VALU_DEP_1) | instskip(NEXT) | instid1(VALU_DEP_1)
	v_mul_f64 v[27:28], v[29:30], v[11:12]
	v_fma_f64 v[9:10], -v[9:10], v[27:28], v[29:30]
	s_delay_alu instid0(VALU_DEP_1) | instskip(NEXT) | instid1(VALU_DEP_1)
	v_div_fmas_f64 v[9:10], v[9:10], v[11:12], v[27:28]
	v_div_fixup_f64 v[9:10], v[9:10], v[23:24], v[25:26]
	s_delay_alu instid0(VALU_DEP_1) | instskip(NEXT) | instid1(VALU_DEP_1)
	v_fma_f64 v[11:12], v[25:26], v[9:10], v[23:24]
	v_div_scale_f64 v[23:24], null, v[11:12], v[11:12], 1.0
	v_div_scale_f64 v[29:30], vcc_lo, 1.0, v[11:12], 1.0
	s_delay_alu instid0(VALU_DEP_2) | instskip(SKIP_2) | instid1(VALU_DEP_1)
	v_rcp_f64_e32 v[25:26], v[23:24]
	s_waitcnt_depctr 0xfff
	v_fma_f64 v[27:28], -v[23:24], v[25:26], 1.0
	v_fma_f64 v[25:26], v[25:26], v[27:28], v[25:26]
	s_delay_alu instid0(VALU_DEP_1) | instskip(NEXT) | instid1(VALU_DEP_1)
	v_fma_f64 v[27:28], -v[23:24], v[25:26], 1.0
	v_fma_f64 v[25:26], v[25:26], v[27:28], v[25:26]
	s_delay_alu instid0(VALU_DEP_1) | instskip(NEXT) | instid1(VALU_DEP_1)
	v_mul_f64 v[27:28], v[29:30], v[25:26]
	v_fma_f64 v[23:24], -v[23:24], v[27:28], v[29:30]
	s_delay_alu instid0(VALU_DEP_1) | instskip(SKIP_1) | instid1(VALU_DEP_2)
	v_div_fmas_f64 v[23:24], v[23:24], v[25:26], v[27:28]
	v_fma_f64 v[25:26], s[12:13], v[9:10], s[14:15]
	v_div_fixup_f64 v[11:12], v[23:24], v[11:12], 1.0
	v_fma_f64 v[23:24], s[14:15], v[9:10], -s[12:13]
	s_delay_alu instid0(VALU_DEP_2) | instskip(NEXT) | instid1(VALU_DEP_2)
	v_mul_f64 v[9:10], v[25:26], v[11:12]
	v_mul_f64 v[11:12], v[23:24], v[11:12]
.LBB254_168:                            ;   in Loop: Header=BB254_4 Depth=1
	s_or_b32 exec_lo, exec_lo, s6
	v_xor_b32_e32 v24, 0x80000000, v4
	v_mov_b32_e32 v23, v3
                                        ; implicit-def: $vgpr25_vgpr26
	s_mov_b32 s6, exec_lo
	s_delay_alu instid0(VALU_DEP_2) | instskip(NEXT) | instid1(VALU_DEP_1)
	v_and_b32_e32 v29, 0x7fffffff, v24
	v_or_b32_e32 v18, v29, v23
	s_delay_alu instid0(VALU_DEP_1)
	v_cmpx_ne_u32_e32 0, v18
	s_xor_b32 s98, exec_lo, s6
	s_cbranch_execz .LBB254_210
; %bb.169:                              ;   in Loop: Header=BB254_4 Depth=1
	v_xor_b32_e32 v28, 0x80000000, v2
	v_mov_b32_e32 v27, v1
                                        ; implicit-def: $vgpr25_vgpr26
	s_mov_b32 s6, exec_lo
	s_delay_alu instid0(VALU_DEP_2) | instskip(NEXT) | instid1(VALU_DEP_1)
	v_and_b32_e32 v18, 0x7fffffff, v28
	v_or_b32_e32 v23, v18, v27
	s_delay_alu instid0(VALU_DEP_1)
	v_cmpx_ne_u32_e32 0, v23
	s_xor_b32 s99, exec_lo, s6
	s_cbranch_execz .LBB254_199
; %bb.170:                              ;   in Loop: Header=BB254_4 Depth=1
                                        ; implicit-def: $vgpr25_vgpr26
	s_mov_b32 s6, exec_lo
	v_cmpx_gt_u32_e32 0x7ff00000, v29
	s_xor_b32 s100, exec_lo, s6
	s_cbranch_execz .LBB254_192
; %bb.171:                              ;   in Loop: Header=BB254_4 Depth=1
	v_add_nc_u32_e32 v18, 0xbf79d1be, v28
                                        ; implicit-def: $vgpr25_vgpr26
	s_mov_b32 s6, exec_lo
	s_delay_alu instid0(VALU_DEP_1)
	v_cmpx_lt_u32_e32 0x108aa2, v18
	s_xor_b32 s101, exec_lo, s6
	s_cbranch_execz .LBB254_181
; %bb.172:                              ;   in Loop: Header=BB254_4 Depth=1
	v_cmp_ngt_f64_e64 s7, 0x41d00000, |v[3:4]|
                                        ; implicit-def: $vgpr23
                                        ; implicit-def: $vgpr25_vgpr26
                                        ; implicit-def: $vgpr27_vgpr28
	s_delay_alu instid0(VALU_DEP_1) | instskip(NEXT) | instid1(SALU_CYCLE_1)
	s_and_saveexec_b32 s6, s7
	s_xor_b32 s8, exec_lo, s6
	s_cbranch_execz .LBB254_174
; %bb.173:                              ;   in Loop: Header=BB254_4 Depth=1
	v_ldexp_f64 v[25:26], |v[3:4]|, 0xffffff80
	v_cmp_le_f64_e64 vcc_lo, 0x7b000000, |v[3:4]|
	v_trig_preop_f64 v[27:28], |v[3:4]|, 0
	v_and_b32_e32 v18, 0x7fffffff, v4
	v_trig_preop_f64 v[29:30], |v[3:4]|, 1
	v_trig_preop_f64 v[47:48], |v[3:4]|, 2
	s_mov_b32 s24, s26
	s_mov_b32 s31, s29
	v_dual_cndmask_b32 v25, v3, v25 :: v_dual_cndmask_b32 v26, v18, v26
	s_delay_alu instid0(VALU_DEP_1) | instskip(NEXT) | instid1(VALU_DEP_4)
	v_mul_f64 v[31:32], v[27:28], v[25:26]
	v_mul_f64 v[33:34], v[29:30], v[25:26]
	s_delay_alu instid0(VALU_DEP_2) | instskip(NEXT) | instid1(VALU_DEP_2)
	v_fma_f64 v[27:28], v[27:28], v[25:26], -v[31:32]
	v_fma_f64 v[29:30], v[29:30], v[25:26], -v[33:34]
	s_delay_alu instid0(VALU_DEP_2) | instskip(NEXT) | instid1(VALU_DEP_1)
	v_add_f64 v[35:36], v[33:34], v[27:28]
	v_add_f64 v[37:38], v[35:36], -v[33:34]
	v_add_f64 v[51:52], v[31:32], v[35:36]
	s_delay_alu instid0(VALU_DEP_2) | instskip(SKIP_1) | instid1(VALU_DEP_3)
	v_add_f64 v[49:50], v[35:36], -v[37:38]
	v_add_f64 v[27:28], v[27:28], -v[37:38]
	v_ldexp_f64 v[37:38], v[51:52], -2
	v_add_f64 v[31:32], v[51:52], -v[31:32]
	s_delay_alu instid0(VALU_DEP_4) | instskip(NEXT) | instid1(VALU_DEP_3)
	v_add_f64 v[33:34], v[33:34], -v[49:50]
	v_cmp_neq_f64_e64 vcc_lo, 0x7ff00000, |v[37:38]|
	s_delay_alu instid0(VALU_DEP_3) | instskip(NEXT) | instid1(VALU_DEP_3)
	v_add_f64 v[31:32], v[35:36], -v[31:32]
	v_add_f64 v[27:28], v[27:28], v[33:34]
	v_fract_f64_e32 v[33:34], v[37:38]
	s_delay_alu instid0(VALU_DEP_1) | instskip(SKIP_1) | instid1(VALU_DEP_3)
	v_cndmask_b32_e32 v33, 0, v33, vcc_lo
	v_mul_f64 v[53:54], v[47:48], v[25:26]
	v_cndmask_b32_e32 v34, 0, v34, vcc_lo
	s_delay_alu instid0(VALU_DEP_1) | instskip(NEXT) | instid1(VALU_DEP_3)
	v_ldexp_f64 v[33:34], v[33:34], 2
	v_add_f64 v[49:50], v[53:54], v[29:30]
	v_fma_f64 v[25:26], v[47:48], v[25:26], -v[53:54]
	s_delay_alu instid0(VALU_DEP_2) | instskip(NEXT) | instid1(VALU_DEP_1)
	v_add_f64 v[35:36], v[49:50], v[27:28]
	v_add_f64 v[37:38], v[31:32], v[35:36]
	v_add_f64 v[55:56], v[35:36], -v[49:50]
	s_delay_alu instid0(VALU_DEP_2) | instskip(NEXT) | instid1(VALU_DEP_2)
	v_add_f64 v[51:52], v[37:38], v[33:34]
	v_add_f64 v[61:62], v[35:36], -v[55:56]
	v_add_f64 v[27:28], v[27:28], -v[55:56]
	;; [unrolled: 1-line block ×3, first 2 shown]
	s_delay_alu instid0(VALU_DEP_4) | instskip(SKIP_1) | instid1(VALU_DEP_3)
	v_cmp_gt_f64_e32 vcc_lo, 0, v[51:52]
	v_add_f64 v[51:52], v[49:50], -v[53:54]
	v_add_f64 v[31:32], v[35:36], -v[31:32]
	v_cndmask_b32_e64 v18, 0, 0x40100000, vcc_lo
	s_delay_alu instid0(VALU_DEP_3) | instskip(SKIP_2) | instid1(VALU_DEP_4)
	v_add_f64 v[59:60], v[49:50], -v[51:52]
	v_add_f64 v[29:30], v[29:30], -v[51:52]
	;; [unrolled: 1-line block ×3, first 2 shown]
	v_add_f64 v[33:34], v[33:34], v[17:18]
	s_delay_alu instid0(VALU_DEP_4) | instskip(NEXT) | instid1(VALU_DEP_3)
	v_add_f64 v[51:52], v[53:54], -v[59:60]
	v_add_f64 v[27:28], v[27:28], v[49:50]
	s_delay_alu instid0(VALU_DEP_3) | instskip(NEXT) | instid1(VALU_DEP_3)
	v_add_f64 v[57:58], v[37:38], v[33:34]
	v_add_f64 v[29:30], v[29:30], v[51:52]
	s_delay_alu instid0(VALU_DEP_2) | instskip(NEXT) | instid1(VALU_DEP_2)
	v_cvt_i32_f64_e32 v18, v[57:58]
	v_add_f64 v[27:28], v[29:30], v[27:28]
	s_delay_alu instid0(VALU_DEP_2) | instskip(NEXT) | instid1(VALU_DEP_2)
	v_cvt_f64_i32_e32 v[55:56], v18
	v_add_f64 v[25:26], v[25:26], v[27:28]
	s_delay_alu instid0(VALU_DEP_2) | instskip(NEXT) | instid1(VALU_DEP_2)
	v_add_f64 v[33:34], v[33:34], -v[55:56]
	v_add_f64 v[25:26], v[31:32], v[25:26]
	s_delay_alu instid0(VALU_DEP_2) | instskip(NEXT) | instid1(VALU_DEP_1)
	v_add_f64 v[29:30], v[37:38], v[33:34]
	v_add_f64 v[27:28], v[29:30], -v[33:34]
	v_cmp_le_f64_e32 vcc_lo, 0.5, v[29:30]
	s_delay_alu instid0(VALU_DEP_2) | instskip(SKIP_2) | instid1(VALU_DEP_3)
	v_add_f64 v[27:28], v[37:38], -v[27:28]
	v_add_co_ci_u32_e64 v23, s6, 0, v18, vcc_lo
	v_cndmask_b32_e64 v18, 0, 0x3ff00000, vcc_lo
	v_add_f64 v[25:26], v[25:26], v[27:28]
	s_delay_alu instid0(VALU_DEP_2) | instskip(NEXT) | instid1(VALU_DEP_1)
	v_add_f64 v[27:28], v[29:30], -v[17:18]
	v_add_f64 v[29:30], v[27:28], v[25:26]
	s_delay_alu instid0(VALU_DEP_1) | instskip(SKIP_1) | instid1(VALU_DEP_2)
	v_mul_f64 v[31:32], v[29:30], s[24:25]
	v_add_f64 v[27:28], v[29:30], -v[27:28]
	v_fma_f64 v[33:34], v[29:30], s[24:25], -v[31:32]
	s_delay_alu instid0(VALU_DEP_2) | instskip(NEXT) | instid1(VALU_DEP_2)
	v_add_f64 v[25:26], v[25:26], -v[27:28]
	v_fma_f64 v[27:28], v[29:30], s[30:31], v[33:34]
	s_delay_alu instid0(VALU_DEP_1) | instskip(NEXT) | instid1(VALU_DEP_1)
	v_fma_f64 v[27:28], v[25:26], s[24:25], v[27:28]
	v_add_f64 v[25:26], v[31:32], v[27:28]
	s_delay_alu instid0(VALU_DEP_1) | instskip(NEXT) | instid1(VALU_DEP_1)
	v_add_f64 v[29:30], v[25:26], -v[31:32]
	v_add_f64 v[27:28], v[27:28], -v[29:30]
	s_and_not1_saveexec_b32 s6, s8
	s_cbranch_execz .LBB254_176
	s_branch .LBB254_175
.LBB254_174:                            ;   in Loop: Header=BB254_4 Depth=1
	s_and_not1_saveexec_b32 s6, s8
	s_cbranch_execz .LBB254_176
.LBB254_175:                            ;   in Loop: Header=BB254_4 Depth=1
	v_mul_f64 v[25:26], |v[3:4]|, s[34:35]
	s_mov_b32 s28, s36
	s_delay_alu instid0(VALU_DEP_1) | instskip(NEXT) | instid1(VALU_DEP_1)
	v_rndne_f64_e32 v[29:30], v[25:26]
	v_fma_f64 v[25:26], v[29:30], s[26:27], |v[3:4]|
	v_mul_f64 v[27:28], v[29:30], s[36:37]
	v_cvt_i32_f64_e32 v23, v[29:30]
	s_delay_alu instid0(VALU_DEP_3) | instskip(NEXT) | instid1(VALU_DEP_3)
	v_fma_f64 v[33:34], v[29:30], s[36:37], v[25:26]
	v_add_f64 v[31:32], v[25:26], v[27:28]
	s_delay_alu instid0(VALU_DEP_1) | instskip(NEXT) | instid1(VALU_DEP_3)
	v_add_f64 v[25:26], v[25:26], -v[31:32]
	v_add_f64 v[31:32], v[31:32], -v[33:34]
	s_delay_alu instid0(VALU_DEP_2) | instskip(SKIP_1) | instid1(VALU_DEP_2)
	v_add_f64 v[25:26], v[25:26], v[27:28]
	v_fma_f64 v[27:28], v[29:30], s[28:29], v[27:28]
	v_add_f64 v[25:26], v[31:32], v[25:26]
	s_delay_alu instid0(VALU_DEP_1) | instskip(NEXT) | instid1(VALU_DEP_1)
	v_add_f64 v[25:26], v[25:26], -v[27:28]
	v_fma_f64 v[27:28], v[29:30], s[38:39], v[25:26]
	s_delay_alu instid0(VALU_DEP_1) | instskip(NEXT) | instid1(VALU_DEP_1)
	v_add_f64 v[25:26], v[33:34], v[27:28]
	v_add_f64 v[31:32], v[25:26], -v[33:34]
	s_delay_alu instid0(VALU_DEP_1)
	v_add_f64 v[27:28], v[27:28], -v[31:32]
.LBB254_176:                            ;   in Loop: Header=BB254_4 Depth=1
	s_or_b32 exec_lo, exec_lo, s6
                                        ; implicit-def: $vgpr33
                                        ; implicit-def: $vgpr29_vgpr30
                                        ; implicit-def: $vgpr31_vgpr32
	s_and_saveexec_b32 s6, s7
	s_delay_alu instid0(SALU_CYCLE_1)
	s_xor_b32 s7, exec_lo, s6
	s_cbranch_execz .LBB254_178
; %bb.177:                              ;   in Loop: Header=BB254_4 Depth=1
	v_ldexp_f64 v[29:30], |v[3:4]|, 0xffffff80
	v_cmp_le_f64_e64 vcc_lo, 0x7b000000, |v[3:4]|
	v_trig_preop_f64 v[31:32], |v[3:4]|, 0
	v_and_b32_e32 v18, 0x7fffffff, v4
	v_trig_preop_f64 v[33:34], |v[3:4]|, 1
	v_trig_preop_f64 v[51:52], |v[3:4]|, 2
	s_mov_b32 s24, s26
	s_mov_b32 s31, s29
	v_dual_cndmask_b32 v29, v3, v29 :: v_dual_cndmask_b32 v30, v18, v30
	s_delay_alu instid0(VALU_DEP_1) | instskip(NEXT) | instid1(VALU_DEP_4)
	v_mul_f64 v[35:36], v[31:32], v[29:30]
	v_mul_f64 v[37:38], v[33:34], v[29:30]
	s_delay_alu instid0(VALU_DEP_2) | instskip(NEXT) | instid1(VALU_DEP_2)
	v_fma_f64 v[31:32], v[31:32], v[29:30], -v[35:36]
	v_fma_f64 v[33:34], v[33:34], v[29:30], -v[37:38]
	s_delay_alu instid0(VALU_DEP_2) | instskip(NEXT) | instid1(VALU_DEP_1)
	v_add_f64 v[47:48], v[37:38], v[31:32]
	v_add_f64 v[49:50], v[47:48], -v[37:38]
	v_add_f64 v[55:56], v[35:36], v[47:48]
	s_delay_alu instid0(VALU_DEP_2) | instskip(SKIP_1) | instid1(VALU_DEP_3)
	v_add_f64 v[53:54], v[47:48], -v[49:50]
	v_add_f64 v[31:32], v[31:32], -v[49:50]
	v_ldexp_f64 v[49:50], v[55:56], -2
	v_add_f64 v[35:36], v[55:56], -v[35:36]
	s_delay_alu instid0(VALU_DEP_4) | instskip(NEXT) | instid1(VALU_DEP_3)
	v_add_f64 v[37:38], v[37:38], -v[53:54]
	v_cmp_neq_f64_e64 vcc_lo, 0x7ff00000, |v[49:50]|
	s_delay_alu instid0(VALU_DEP_3) | instskip(NEXT) | instid1(VALU_DEP_3)
	v_add_f64 v[35:36], v[47:48], -v[35:36]
	v_add_f64 v[31:32], v[31:32], v[37:38]
	v_fract_f64_e32 v[37:38], v[49:50]
	s_delay_alu instid0(VALU_DEP_1) | instskip(SKIP_1) | instid1(VALU_DEP_3)
	v_cndmask_b32_e32 v37, 0, v37, vcc_lo
	v_mul_f64 v[57:58], v[51:52], v[29:30]
	v_cndmask_b32_e32 v38, 0, v38, vcc_lo
	s_delay_alu instid0(VALU_DEP_1) | instskip(NEXT) | instid1(VALU_DEP_3)
	v_ldexp_f64 v[37:38], v[37:38], 2
	v_add_f64 v[53:54], v[57:58], v[33:34]
	v_fma_f64 v[29:30], v[51:52], v[29:30], -v[57:58]
	s_delay_alu instid0(VALU_DEP_2) | instskip(NEXT) | instid1(VALU_DEP_1)
	v_add_f64 v[47:48], v[53:54], v[31:32]
	v_add_f64 v[49:50], v[35:36], v[47:48]
	v_add_f64 v[59:60], v[47:48], -v[53:54]
	s_delay_alu instid0(VALU_DEP_2) | instskip(NEXT) | instid1(VALU_DEP_2)
	v_add_f64 v[55:56], v[49:50], v[37:38]
	v_add_f64 v[65:66], v[47:48], -v[59:60]
	v_add_f64 v[31:32], v[31:32], -v[59:60]
	;; [unrolled: 1-line block ×3, first 2 shown]
	s_delay_alu instid0(VALU_DEP_4) | instskip(SKIP_2) | instid1(VALU_DEP_2)
	v_cmp_gt_f64_e32 vcc_lo, 0, v[55:56]
	v_add_f64 v[55:56], v[53:54], -v[57:58]
	v_cndmask_b32_e64 v18, 0, 0x40100000, vcc_lo
	v_add_f64 v[63:64], v[53:54], -v[55:56]
	v_add_f64 v[33:34], v[33:34], -v[55:56]
	;; [unrolled: 1-line block ×3, first 2 shown]
	s_delay_alu instid0(VALU_DEP_4) | instskip(NEXT) | instid1(VALU_DEP_4)
	v_add_f64 v[37:38], v[37:38], v[17:18]
	v_add_f64 v[55:56], v[57:58], -v[63:64]
	s_delay_alu instid0(VALU_DEP_3) | instskip(NEXT) | instid1(VALU_DEP_3)
	v_add_f64 v[31:32], v[31:32], v[53:54]
	v_add_f64 v[61:62], v[49:50], v[37:38]
	s_delay_alu instid0(VALU_DEP_3) | instskip(NEXT) | instid1(VALU_DEP_2)
	v_add_f64 v[33:34], v[33:34], v[55:56]
	v_cvt_i32_f64_e32 v18, v[61:62]
	s_delay_alu instid0(VALU_DEP_2) | instskip(SKIP_1) | instid1(VALU_DEP_3)
	v_add_f64 v[31:32], v[33:34], v[31:32]
	v_add_f64 v[33:34], v[47:48], -v[35:36]
	v_cvt_f64_i32_e32 v[59:60], v18
	s_delay_alu instid0(VALU_DEP_3) | instskip(NEXT) | instid1(VALU_DEP_2)
	v_add_f64 v[29:30], v[29:30], v[31:32]
	v_add_f64 v[37:38], v[37:38], -v[59:60]
	s_delay_alu instid0(VALU_DEP_2) | instskip(NEXT) | instid1(VALU_DEP_2)
	v_add_f64 v[29:30], v[33:34], v[29:30]
	v_add_f64 v[51:52], v[49:50], v[37:38]
	s_delay_alu instid0(VALU_DEP_1) | instskip(SKIP_1) | instid1(VALU_DEP_2)
	v_add_f64 v[31:32], v[51:52], -v[37:38]
	v_cmp_le_f64_e32 vcc_lo, 0.5, v[51:52]
	v_add_f64 v[31:32], v[49:50], -v[31:32]
	v_add_co_ci_u32_e64 v33, s6, 0, v18, vcc_lo
	v_cndmask_b32_e64 v18, 0, 0x3ff00000, vcc_lo
	s_delay_alu instid0(VALU_DEP_3) | instskip(NEXT) | instid1(VALU_DEP_2)
	v_add_f64 v[29:30], v[29:30], v[31:32]
	v_add_f64 v[31:32], v[51:52], -v[17:18]
	s_delay_alu instid0(VALU_DEP_1) | instskip(NEXT) | instid1(VALU_DEP_1)
	v_add_f64 v[34:35], v[31:32], v[29:30]
	v_mul_f64 v[36:37], v[34:35], s[24:25]
	v_add_f64 v[31:32], v[34:35], -v[31:32]
	s_delay_alu instid0(VALU_DEP_2) | instskip(NEXT) | instid1(VALU_DEP_2)
	v_fma_f64 v[47:48], v[34:35], s[24:25], -v[36:37]
	v_add_f64 v[29:30], v[29:30], -v[31:32]
	s_delay_alu instid0(VALU_DEP_2) | instskip(NEXT) | instid1(VALU_DEP_1)
	v_fma_f64 v[31:32], v[34:35], s[30:31], v[47:48]
	v_fma_f64 v[31:32], v[29:30], s[24:25], v[31:32]
	s_delay_alu instid0(VALU_DEP_1) | instskip(NEXT) | instid1(VALU_DEP_1)
	v_add_f64 v[29:30], v[36:37], v[31:32]
	v_add_f64 v[34:35], v[29:30], -v[36:37]
	s_delay_alu instid0(VALU_DEP_1)
	v_add_f64 v[31:32], v[31:32], -v[34:35]
	s_and_not1_saveexec_b32 s6, s7
	s_cbranch_execnz .LBB254_179
	s_branch .LBB254_180
.LBB254_178:                            ;   in Loop: Header=BB254_4 Depth=1
	s_and_not1_saveexec_b32 s6, s7
	s_cbranch_execz .LBB254_180
.LBB254_179:                            ;   in Loop: Header=BB254_4 Depth=1
	v_mul_f64 v[29:30], |v[3:4]|, s[34:35]
	s_mov_b32 s28, s36
	s_delay_alu instid0(VALU_DEP_1) | instskip(NEXT) | instid1(VALU_DEP_1)
	v_rndne_f64_e32 v[33:34], v[29:30]
	v_fma_f64 v[29:30], v[33:34], s[26:27], |v[3:4]|
	v_mul_f64 v[31:32], v[33:34], s[36:37]
	s_delay_alu instid0(VALU_DEP_2) | instskip(NEXT) | instid1(VALU_DEP_2)
	v_fma_f64 v[37:38], v[33:34], s[36:37], v[29:30]
	v_add_f64 v[35:36], v[29:30], v[31:32]
	s_delay_alu instid0(VALU_DEP_1) | instskip(NEXT) | instid1(VALU_DEP_3)
	v_add_f64 v[29:30], v[29:30], -v[35:36]
	v_add_f64 v[35:36], v[35:36], -v[37:38]
	s_delay_alu instid0(VALU_DEP_2) | instskip(SKIP_1) | instid1(VALU_DEP_2)
	v_add_f64 v[29:30], v[29:30], v[31:32]
	v_fma_f64 v[31:32], v[33:34], s[28:29], v[31:32]
	v_add_f64 v[29:30], v[35:36], v[29:30]
	s_delay_alu instid0(VALU_DEP_1) | instskip(NEXT) | instid1(VALU_DEP_1)
	v_add_f64 v[29:30], v[29:30], -v[31:32]
	v_fma_f64 v[31:32], v[33:34], s[38:39], v[29:30]
	v_cvt_i32_f64_e32 v33, v[33:34]
	s_delay_alu instid0(VALU_DEP_2) | instskip(NEXT) | instid1(VALU_DEP_1)
	v_add_f64 v[29:30], v[37:38], v[31:32]
	v_add_f64 v[35:36], v[29:30], -v[37:38]
	s_delay_alu instid0(VALU_DEP_1)
	v_add_f64 v[31:32], v[31:32], -v[35:36]
.LBB254_180:                            ;   in Loop: Header=BB254_4 Depth=1
	s_or_b32 exec_lo, exec_lo, s6
	s_mov_b32 s40, s42
	v_mul_f64 v[49:50], v[25:26], v[25:26]
	v_mul_f64 v[34:35], v[1:2], s[40:41]
	;; [unrolled: 1-line block ×3, first 2 shown]
	s_mov_b32 s89, s61
	s_mov_b32 s91, s63
	s_delay_alu instid0(VALU_DEP_4)
	v_mul_f64 v[69:70], v[27:28], 0.5
	v_mul_f64 v[75:76], v[31:32], 0.5
	s_mov_b32 s92, s62
	v_cmp_ngt_f64_e64 s7, 0xc0900000, v[1:2]
	v_cmp_nlt_f64_e64 s8, 0x4090cc00, v[1:2]
	v_cmp_class_f64_e64 s6, v[3:4], 0x1f8
	v_and_b32_e32 v3, 1, v33
	s_delay_alu instid0(VALU_DEP_1)
	v_cmp_eq_u32_e64 s9, 0, v3
	v_fma_f64 v[53:54], v[49:50], s[80:81], s[78:79]
	v_rndne_f64_e32 v[34:35], v[34:35]
	v_fma_f64 v[55:56], v[51:52], s[80:81], s[78:79]
	v_fma_f64 v[57:58], v[49:50], s[70:71], s[68:69]
	v_mul_f64 v[59:60], v[49:50], 0.5
	v_fma_f64 v[61:62], v[51:52], s[70:71], s[68:69]
	v_mul_f64 v[63:64], v[51:52], 0.5
	v_mul_f64 v[71:72], v[25:26], -v[49:50]
	v_mul_f64 v[77:78], v[29:30], -v[51:52]
	v_fma_f64 v[53:54], v[49:50], v[53:54], s[82:83]
	v_fma_f64 v[36:37], v[34:35], s[44:45], -v[1:2]
	v_fma_f64 v[55:56], v[51:52], v[55:56], s[82:83]
	v_fma_f64 v[57:58], v[49:50], v[57:58], s[72:73]
	v_add_f64 v[65:66], -v[59:60], 1.0
	v_fma_f64 v[61:62], v[51:52], v[61:62], s[72:73]
	v_add_f64 v[67:68], -v[63:64], 1.0
	v_cvt_i32_f64_e32 v18, v[34:35]
	v_lshlrev_b32_e32 v2, 30, v23
	v_lshlrev_b32_e32 v1, 30, v33
	s_delay_alu instid0(VALU_DEP_1)
	v_xor_b32_e32 v1, v1, v24
	v_fma_f64 v[53:54], v[49:50], v[53:54], s[84:85]
	v_fma_f64 v[36:37], v[34:35], s[46:47], v[36:37]
	v_fma_f64 v[55:56], v[51:52], v[55:56], s[84:85]
	v_fma_f64 v[57:58], v[49:50], v[57:58], s[74:75]
	v_add_f64 v[73:74], -v[65:66], 1.0
	v_fma_f64 v[61:62], v[51:52], v[61:62], s[74:75]
	v_add_f64 v[79:80], -v[67:68], 1.0
	v_fma_f64 v[53:54], v[49:50], v[53:54], s[60:61]
	v_fma_f64 v[47:48], v[36:37], s[50:51], s[48:49]
	;; [unrolled: 1-line block ×4, first 2 shown]
	v_add_f64 v[59:60], v[73:74], -v[59:60]
	v_fma_f64 v[61:62], v[51:52], v[61:62], s[76:77]
	v_add_f64 v[63:64], v[79:80], -v[63:64]
	v_fma_f64 v[53:54], v[71:72], v[53:54], v[69:70]
	v_fma_f64 v[47:48], v[36:37], v[47:48], s[52:53]
	;; [unrolled: 1-line block ×3, first 2 shown]
	v_mul_f64 v[69:70], v[49:50], v[49:50]
	v_fma_f64 v[57:58], v[49:50], v[57:58], s[62:63]
	v_fma_f64 v[59:60], v[25:26], -v[27:28], v[59:60]
	v_fma_f64 v[27:28], v[49:50], v[53:54], -v[27:28]
	v_fma_f64 v[47:48], v[36:37], v[47:48], s[54:55]
	v_mul_f64 v[49:50], v[51:52], v[51:52]
	v_fma_f64 v[53:54], v[51:52], v[61:62], s[62:63]
	v_fma_f64 v[61:62], v[29:30], -v[31:32], v[63:64]
	v_fma_f64 v[31:32], v[51:52], v[55:56], -v[31:32]
	v_fma_f64 v[51:52], v[69:70], v[57:58], v[59:60]
	v_fma_f64 v[27:28], v[71:72], s[92:93], v[27:28]
	v_fma_f64 v[47:48], v[36:37], v[47:48], s[56:57]
	s_delay_alu instid0(VALU_DEP_4) | instskip(NEXT) | instid1(VALU_DEP_3)
	v_fma_f64 v[31:32], v[77:78], s[92:93], v[31:32]
	v_add_f64 v[25:26], v[25:26], -v[27:28]
	s_delay_alu instid0(VALU_DEP_3) | instskip(NEXT) | instid1(VALU_DEP_3)
	v_fma_f64 v[47:48], v[36:37], v[47:48], s[58:59]
	v_add_f64 v[29:30], v[29:30], -v[31:32]
	s_delay_alu instid0(VALU_DEP_2) | instskip(NEXT) | instid1(VALU_DEP_1)
	v_fma_f64 v[47:48], v[36:37], v[47:48], s[88:89]
	v_fma_f64 v[47:48], v[36:37], v[47:48], s[90:91]
	s_delay_alu instid0(VALU_DEP_1) | instskip(NEXT) | instid1(VALU_DEP_1)
	v_fma_f64 v[47:48], v[36:37], v[47:48], s[64:65]
	v_fma_f64 v[47:48], v[36:37], v[47:48], s[66:67]
	s_delay_alu instid0(VALU_DEP_1) | instskip(NEXT) | instid1(VALU_DEP_1)
	v_fma_f64 v[47:48], v[36:37], v[47:48], 1.0
	v_fma_f64 v[34:35], v[36:37], v[47:48], 1.0
	v_fma_f64 v[36:37], v[49:50], v[53:54], v[61:62]
	v_add_f64 v[47:48], v[65:66], v[51:52]
	s_delay_alu instid0(VALU_DEP_3) | instskip(NEXT) | instid1(VALU_DEP_3)
	v_ldexp_f64 v[27:28], v[34:35], v18
	v_add_f64 v[34:35], v[67:68], v[36:37]
	v_and_b32_e32 v18, 1, v23
	v_xor_b32_e32 v23, 0x80000000, v26
	s_delay_alu instid0(VALU_DEP_2) | instskip(NEXT) | instid1(VALU_DEP_2)
	v_cmp_eq_u32_e32 vcc_lo, 0, v18
	v_dual_cndmask_b32 v3, v23, v48 :: v_dual_cndmask_b32 v18, v25, v47
	s_and_b32 vcc_lo, s8, s7
	v_and_b32_e32 v2, 0x80000000, v2
	v_and_b32_e32 v23, 0x80000000, v1
	s_delay_alu instid0(VALU_DEP_3) | instskip(SKIP_3) | instid1(VALU_DEP_2)
	v_cndmask_b32_e64 v1, 0, v18, s6
	v_cndmask_b32_e64 v4, 0x7ff00000, v28, s7
	;; [unrolled: 1-line block ×4, first 2 shown]
	v_xor_b32_e32 v18, v25, v23
	v_cndmask_b32_e32 v23, 0, v27, vcc_lo
	v_xor_b32_e32 v2, v3, v2
	s_delay_alu instid0(VALU_DEP_4) | instskip(SKIP_2) | instid1(VALU_DEP_4)
	v_cndmask_b32_e64 v3, 0, v24, s6
	v_cndmask_b32_e64 v24, 0, v4, s8
	;; [unrolled: 1-line block ×4, first 2 shown]
	s_delay_alu instid0(VALU_DEP_1) | instskip(NEXT) | instid1(VALU_DEP_3)
	v_mul_f64 v[25:26], v[23:24], v[1:2]
	v_mul_f64 v[23:24], v[23:24], v[3:4]
                                        ; implicit-def: $vgpr3_vgpr4
.LBB254_181:                            ;   in Loop: Header=BB254_4 Depth=1
	s_and_not1_saveexec_b32 s40, s101
	s_cbranch_execz .LBB254_191
; %bb.182:                              ;   in Loop: Header=BB254_4 Depth=1
	v_cmp_ngt_f64_e64 s7, 0x41d00000, |v[3:4]|
                                        ; implicit-def: $vgpr23
                                        ; implicit-def: $vgpr25_vgpr26
                                        ; implicit-def: $vgpr27_vgpr28
	s_delay_alu instid0(VALU_DEP_1) | instskip(NEXT) | instid1(SALU_CYCLE_1)
	s_and_saveexec_b32 s6, s7
	s_xor_b32 s8, exec_lo, s6
	s_cbranch_execz .LBB254_184
; %bb.183:                              ;   in Loop: Header=BB254_4 Depth=1
	v_ldexp_f64 v[25:26], |v[3:4]|, 0xffffff80
	v_cmp_le_f64_e64 vcc_lo, 0x7b000000, |v[3:4]|
	v_trig_preop_f64 v[27:28], |v[3:4]|, 0
	v_and_b32_e32 v18, 0x7fffffff, v4
	v_trig_preop_f64 v[29:30], |v[3:4]|, 1
	v_trig_preop_f64 v[47:48], |v[3:4]|, 2
	s_mov_b32 s24, s26
	s_mov_b32 s31, s29
	v_dual_cndmask_b32 v25, v3, v25 :: v_dual_cndmask_b32 v26, v18, v26
	s_delay_alu instid0(VALU_DEP_1) | instskip(NEXT) | instid1(VALU_DEP_4)
	v_mul_f64 v[31:32], v[27:28], v[25:26]
	v_mul_f64 v[33:34], v[29:30], v[25:26]
	s_delay_alu instid0(VALU_DEP_2) | instskip(NEXT) | instid1(VALU_DEP_2)
	v_fma_f64 v[27:28], v[27:28], v[25:26], -v[31:32]
	v_fma_f64 v[29:30], v[29:30], v[25:26], -v[33:34]
	s_delay_alu instid0(VALU_DEP_2) | instskip(NEXT) | instid1(VALU_DEP_1)
	v_add_f64 v[35:36], v[33:34], v[27:28]
	v_add_f64 v[37:38], v[35:36], -v[33:34]
	v_add_f64 v[51:52], v[31:32], v[35:36]
	s_delay_alu instid0(VALU_DEP_2) | instskip(SKIP_1) | instid1(VALU_DEP_3)
	v_add_f64 v[49:50], v[35:36], -v[37:38]
	v_add_f64 v[27:28], v[27:28], -v[37:38]
	v_ldexp_f64 v[37:38], v[51:52], -2
	v_add_f64 v[31:32], v[51:52], -v[31:32]
	s_delay_alu instid0(VALU_DEP_4) | instskip(NEXT) | instid1(VALU_DEP_3)
	v_add_f64 v[33:34], v[33:34], -v[49:50]
	v_cmp_neq_f64_e64 vcc_lo, 0x7ff00000, |v[37:38]|
	s_delay_alu instid0(VALU_DEP_3) | instskip(NEXT) | instid1(VALU_DEP_3)
	v_add_f64 v[31:32], v[35:36], -v[31:32]
	v_add_f64 v[27:28], v[27:28], v[33:34]
	v_fract_f64_e32 v[33:34], v[37:38]
	s_delay_alu instid0(VALU_DEP_1) | instskip(SKIP_1) | instid1(VALU_DEP_3)
	v_cndmask_b32_e32 v33, 0, v33, vcc_lo
	v_mul_f64 v[53:54], v[47:48], v[25:26]
	v_cndmask_b32_e32 v34, 0, v34, vcc_lo
	s_delay_alu instid0(VALU_DEP_1) | instskip(NEXT) | instid1(VALU_DEP_3)
	v_ldexp_f64 v[33:34], v[33:34], 2
	v_add_f64 v[49:50], v[53:54], v[29:30]
	v_fma_f64 v[25:26], v[47:48], v[25:26], -v[53:54]
	s_delay_alu instid0(VALU_DEP_2) | instskip(NEXT) | instid1(VALU_DEP_1)
	v_add_f64 v[35:36], v[49:50], v[27:28]
	v_add_f64 v[37:38], v[31:32], v[35:36]
	v_add_f64 v[55:56], v[35:36], -v[49:50]
	s_delay_alu instid0(VALU_DEP_2) | instskip(NEXT) | instid1(VALU_DEP_2)
	v_add_f64 v[51:52], v[37:38], v[33:34]
	v_add_f64 v[61:62], v[35:36], -v[55:56]
	v_add_f64 v[27:28], v[27:28], -v[55:56]
	;; [unrolled: 1-line block ×3, first 2 shown]
	s_delay_alu instid0(VALU_DEP_4) | instskip(SKIP_1) | instid1(VALU_DEP_3)
	v_cmp_gt_f64_e32 vcc_lo, 0, v[51:52]
	v_add_f64 v[51:52], v[49:50], -v[53:54]
	v_add_f64 v[31:32], v[35:36], -v[31:32]
	v_cndmask_b32_e64 v18, 0, 0x40100000, vcc_lo
	s_delay_alu instid0(VALU_DEP_3) | instskip(SKIP_2) | instid1(VALU_DEP_4)
	v_add_f64 v[59:60], v[49:50], -v[51:52]
	v_add_f64 v[29:30], v[29:30], -v[51:52]
	;; [unrolled: 1-line block ×3, first 2 shown]
	v_add_f64 v[33:34], v[33:34], v[17:18]
	s_delay_alu instid0(VALU_DEP_4) | instskip(NEXT) | instid1(VALU_DEP_3)
	v_add_f64 v[51:52], v[53:54], -v[59:60]
	v_add_f64 v[27:28], v[27:28], v[49:50]
	s_delay_alu instid0(VALU_DEP_3) | instskip(NEXT) | instid1(VALU_DEP_3)
	v_add_f64 v[57:58], v[37:38], v[33:34]
	v_add_f64 v[29:30], v[29:30], v[51:52]
	s_delay_alu instid0(VALU_DEP_2) | instskip(NEXT) | instid1(VALU_DEP_2)
	v_cvt_i32_f64_e32 v18, v[57:58]
	v_add_f64 v[27:28], v[29:30], v[27:28]
	s_delay_alu instid0(VALU_DEP_2) | instskip(NEXT) | instid1(VALU_DEP_2)
	v_cvt_f64_i32_e32 v[55:56], v18
	v_add_f64 v[25:26], v[25:26], v[27:28]
	s_delay_alu instid0(VALU_DEP_2) | instskip(NEXT) | instid1(VALU_DEP_2)
	v_add_f64 v[33:34], v[33:34], -v[55:56]
	v_add_f64 v[25:26], v[31:32], v[25:26]
	s_delay_alu instid0(VALU_DEP_2) | instskip(NEXT) | instid1(VALU_DEP_1)
	v_add_f64 v[29:30], v[37:38], v[33:34]
	v_add_f64 v[27:28], v[29:30], -v[33:34]
	v_cmp_le_f64_e32 vcc_lo, 0.5, v[29:30]
	s_delay_alu instid0(VALU_DEP_2) | instskip(SKIP_2) | instid1(VALU_DEP_3)
	v_add_f64 v[27:28], v[37:38], -v[27:28]
	v_add_co_ci_u32_e64 v23, s6, 0, v18, vcc_lo
	v_cndmask_b32_e64 v18, 0, 0x3ff00000, vcc_lo
	v_add_f64 v[25:26], v[25:26], v[27:28]
	s_delay_alu instid0(VALU_DEP_2) | instskip(NEXT) | instid1(VALU_DEP_1)
	v_add_f64 v[27:28], v[29:30], -v[17:18]
	v_add_f64 v[29:30], v[27:28], v[25:26]
	s_delay_alu instid0(VALU_DEP_1) | instskip(SKIP_1) | instid1(VALU_DEP_2)
	v_mul_f64 v[31:32], v[29:30], s[24:25]
	v_add_f64 v[27:28], v[29:30], -v[27:28]
	v_fma_f64 v[33:34], v[29:30], s[24:25], -v[31:32]
	s_delay_alu instid0(VALU_DEP_2) | instskip(NEXT) | instid1(VALU_DEP_2)
	v_add_f64 v[25:26], v[25:26], -v[27:28]
	v_fma_f64 v[27:28], v[29:30], s[30:31], v[33:34]
	s_delay_alu instid0(VALU_DEP_1) | instskip(NEXT) | instid1(VALU_DEP_1)
	v_fma_f64 v[27:28], v[25:26], s[24:25], v[27:28]
	v_add_f64 v[25:26], v[31:32], v[27:28]
	s_delay_alu instid0(VALU_DEP_1) | instskip(NEXT) | instid1(VALU_DEP_1)
	v_add_f64 v[29:30], v[25:26], -v[31:32]
	v_add_f64 v[27:28], v[27:28], -v[29:30]
	s_and_not1_saveexec_b32 s6, s8
	s_cbranch_execz .LBB254_186
	s_branch .LBB254_185
.LBB254_184:                            ;   in Loop: Header=BB254_4 Depth=1
	s_and_not1_saveexec_b32 s6, s8
	s_cbranch_execz .LBB254_186
.LBB254_185:                            ;   in Loop: Header=BB254_4 Depth=1
	v_mul_f64 v[25:26], |v[3:4]|, s[34:35]
	s_mov_b32 s28, s36
	s_delay_alu instid0(VALU_DEP_1) | instskip(NEXT) | instid1(VALU_DEP_1)
	v_rndne_f64_e32 v[29:30], v[25:26]
	v_fma_f64 v[25:26], v[29:30], s[26:27], |v[3:4]|
	v_mul_f64 v[27:28], v[29:30], s[36:37]
	v_cvt_i32_f64_e32 v23, v[29:30]
	s_delay_alu instid0(VALU_DEP_3) | instskip(NEXT) | instid1(VALU_DEP_3)
	v_fma_f64 v[33:34], v[29:30], s[36:37], v[25:26]
	v_add_f64 v[31:32], v[25:26], v[27:28]
	s_delay_alu instid0(VALU_DEP_1) | instskip(NEXT) | instid1(VALU_DEP_3)
	v_add_f64 v[25:26], v[25:26], -v[31:32]
	v_add_f64 v[31:32], v[31:32], -v[33:34]
	s_delay_alu instid0(VALU_DEP_2) | instskip(SKIP_1) | instid1(VALU_DEP_2)
	v_add_f64 v[25:26], v[25:26], v[27:28]
	v_fma_f64 v[27:28], v[29:30], s[28:29], v[27:28]
	v_add_f64 v[25:26], v[31:32], v[25:26]
	s_delay_alu instid0(VALU_DEP_1) | instskip(NEXT) | instid1(VALU_DEP_1)
	v_add_f64 v[25:26], v[25:26], -v[27:28]
	v_fma_f64 v[27:28], v[29:30], s[38:39], v[25:26]
	s_delay_alu instid0(VALU_DEP_1) | instskip(NEXT) | instid1(VALU_DEP_1)
	v_add_f64 v[25:26], v[33:34], v[27:28]
	v_add_f64 v[31:32], v[25:26], -v[33:34]
	s_delay_alu instid0(VALU_DEP_1)
	v_add_f64 v[27:28], v[27:28], -v[31:32]
.LBB254_186:                            ;   in Loop: Header=BB254_4 Depth=1
	s_or_b32 exec_lo, exec_lo, s6
                                        ; implicit-def: $vgpr33
                                        ; implicit-def: $vgpr29_vgpr30
                                        ; implicit-def: $vgpr31_vgpr32
	s_and_saveexec_b32 s6, s7
	s_delay_alu instid0(SALU_CYCLE_1)
	s_xor_b32 s7, exec_lo, s6
	s_cbranch_execz .LBB254_188
; %bb.187:                              ;   in Loop: Header=BB254_4 Depth=1
	v_ldexp_f64 v[29:30], |v[3:4]|, 0xffffff80
	v_cmp_le_f64_e64 vcc_lo, 0x7b000000, |v[3:4]|
	v_trig_preop_f64 v[31:32], |v[3:4]|, 0
	v_and_b32_e32 v18, 0x7fffffff, v4
	v_trig_preop_f64 v[33:34], |v[3:4]|, 1
	v_trig_preop_f64 v[51:52], |v[3:4]|, 2
	s_mov_b32 s24, s26
	s_mov_b32 s31, s29
	v_dual_cndmask_b32 v29, v3, v29 :: v_dual_cndmask_b32 v30, v18, v30
	s_delay_alu instid0(VALU_DEP_1) | instskip(NEXT) | instid1(VALU_DEP_4)
	v_mul_f64 v[35:36], v[31:32], v[29:30]
	v_mul_f64 v[37:38], v[33:34], v[29:30]
	s_delay_alu instid0(VALU_DEP_2) | instskip(NEXT) | instid1(VALU_DEP_2)
	v_fma_f64 v[31:32], v[31:32], v[29:30], -v[35:36]
	v_fma_f64 v[33:34], v[33:34], v[29:30], -v[37:38]
	s_delay_alu instid0(VALU_DEP_2) | instskip(NEXT) | instid1(VALU_DEP_1)
	v_add_f64 v[47:48], v[37:38], v[31:32]
	v_add_f64 v[49:50], v[47:48], -v[37:38]
	v_add_f64 v[55:56], v[35:36], v[47:48]
	s_delay_alu instid0(VALU_DEP_2) | instskip(SKIP_1) | instid1(VALU_DEP_3)
	v_add_f64 v[53:54], v[47:48], -v[49:50]
	v_add_f64 v[31:32], v[31:32], -v[49:50]
	v_ldexp_f64 v[49:50], v[55:56], -2
	v_add_f64 v[35:36], v[55:56], -v[35:36]
	s_delay_alu instid0(VALU_DEP_4) | instskip(NEXT) | instid1(VALU_DEP_3)
	v_add_f64 v[37:38], v[37:38], -v[53:54]
	v_cmp_neq_f64_e64 vcc_lo, 0x7ff00000, |v[49:50]|
	s_delay_alu instid0(VALU_DEP_3) | instskip(NEXT) | instid1(VALU_DEP_3)
	v_add_f64 v[35:36], v[47:48], -v[35:36]
	v_add_f64 v[31:32], v[31:32], v[37:38]
	v_fract_f64_e32 v[37:38], v[49:50]
	s_delay_alu instid0(VALU_DEP_1) | instskip(SKIP_1) | instid1(VALU_DEP_3)
	v_cndmask_b32_e32 v37, 0, v37, vcc_lo
	v_mul_f64 v[57:58], v[51:52], v[29:30]
	v_cndmask_b32_e32 v38, 0, v38, vcc_lo
	s_delay_alu instid0(VALU_DEP_1) | instskip(NEXT) | instid1(VALU_DEP_3)
	v_ldexp_f64 v[37:38], v[37:38], 2
	v_add_f64 v[53:54], v[57:58], v[33:34]
	v_fma_f64 v[29:30], v[51:52], v[29:30], -v[57:58]
	s_delay_alu instid0(VALU_DEP_2) | instskip(NEXT) | instid1(VALU_DEP_1)
	v_add_f64 v[47:48], v[53:54], v[31:32]
	v_add_f64 v[49:50], v[35:36], v[47:48]
	v_add_f64 v[59:60], v[47:48], -v[53:54]
	s_delay_alu instid0(VALU_DEP_2) | instskip(NEXT) | instid1(VALU_DEP_2)
	v_add_f64 v[55:56], v[49:50], v[37:38]
	v_add_f64 v[65:66], v[47:48], -v[59:60]
	v_add_f64 v[31:32], v[31:32], -v[59:60]
	;; [unrolled: 1-line block ×3, first 2 shown]
	s_delay_alu instid0(VALU_DEP_4) | instskip(SKIP_2) | instid1(VALU_DEP_2)
	v_cmp_gt_f64_e32 vcc_lo, 0, v[55:56]
	v_add_f64 v[55:56], v[53:54], -v[57:58]
	v_cndmask_b32_e64 v18, 0, 0x40100000, vcc_lo
	v_add_f64 v[63:64], v[53:54], -v[55:56]
	v_add_f64 v[33:34], v[33:34], -v[55:56]
	;; [unrolled: 1-line block ×3, first 2 shown]
	s_delay_alu instid0(VALU_DEP_4) | instskip(NEXT) | instid1(VALU_DEP_4)
	v_add_f64 v[37:38], v[37:38], v[17:18]
	v_add_f64 v[55:56], v[57:58], -v[63:64]
	s_delay_alu instid0(VALU_DEP_3) | instskip(NEXT) | instid1(VALU_DEP_3)
	v_add_f64 v[31:32], v[31:32], v[53:54]
	v_add_f64 v[61:62], v[49:50], v[37:38]
	s_delay_alu instid0(VALU_DEP_3) | instskip(NEXT) | instid1(VALU_DEP_2)
	v_add_f64 v[33:34], v[33:34], v[55:56]
	v_cvt_i32_f64_e32 v18, v[61:62]
	s_delay_alu instid0(VALU_DEP_2) | instskip(SKIP_1) | instid1(VALU_DEP_3)
	v_add_f64 v[31:32], v[33:34], v[31:32]
	v_add_f64 v[33:34], v[47:48], -v[35:36]
	v_cvt_f64_i32_e32 v[59:60], v18
	s_delay_alu instid0(VALU_DEP_3) | instskip(NEXT) | instid1(VALU_DEP_2)
	v_add_f64 v[29:30], v[29:30], v[31:32]
	v_add_f64 v[37:38], v[37:38], -v[59:60]
	s_delay_alu instid0(VALU_DEP_2) | instskip(NEXT) | instid1(VALU_DEP_2)
	v_add_f64 v[29:30], v[33:34], v[29:30]
	v_add_f64 v[51:52], v[49:50], v[37:38]
	s_delay_alu instid0(VALU_DEP_1) | instskip(SKIP_1) | instid1(VALU_DEP_2)
	v_add_f64 v[31:32], v[51:52], -v[37:38]
	v_cmp_le_f64_e32 vcc_lo, 0.5, v[51:52]
	v_add_f64 v[31:32], v[49:50], -v[31:32]
	v_add_co_ci_u32_e64 v33, s6, 0, v18, vcc_lo
	v_cndmask_b32_e64 v18, 0, 0x3ff00000, vcc_lo
	s_delay_alu instid0(VALU_DEP_3) | instskip(NEXT) | instid1(VALU_DEP_2)
	v_add_f64 v[29:30], v[29:30], v[31:32]
	v_add_f64 v[31:32], v[51:52], -v[17:18]
	s_delay_alu instid0(VALU_DEP_1) | instskip(NEXT) | instid1(VALU_DEP_1)
	v_add_f64 v[34:35], v[31:32], v[29:30]
	v_mul_f64 v[36:37], v[34:35], s[24:25]
	v_add_f64 v[31:32], v[34:35], -v[31:32]
	s_delay_alu instid0(VALU_DEP_2) | instskip(NEXT) | instid1(VALU_DEP_2)
	v_fma_f64 v[47:48], v[34:35], s[24:25], -v[36:37]
	v_add_f64 v[29:30], v[29:30], -v[31:32]
	s_delay_alu instid0(VALU_DEP_2) | instskip(NEXT) | instid1(VALU_DEP_1)
	v_fma_f64 v[31:32], v[34:35], s[30:31], v[47:48]
	v_fma_f64 v[31:32], v[29:30], s[24:25], v[31:32]
	s_delay_alu instid0(VALU_DEP_1) | instskip(NEXT) | instid1(VALU_DEP_1)
	v_add_f64 v[29:30], v[36:37], v[31:32]
	v_add_f64 v[34:35], v[29:30], -v[36:37]
	s_delay_alu instid0(VALU_DEP_1)
	v_add_f64 v[31:32], v[31:32], -v[34:35]
	s_and_not1_saveexec_b32 s6, s7
	s_cbranch_execnz .LBB254_189
	s_branch .LBB254_190
.LBB254_188:                            ;   in Loop: Header=BB254_4 Depth=1
	s_and_not1_saveexec_b32 s6, s7
	s_cbranch_execz .LBB254_190
.LBB254_189:                            ;   in Loop: Header=BB254_4 Depth=1
	v_mul_f64 v[29:30], |v[3:4]|, s[34:35]
	s_mov_b32 s28, s36
	s_delay_alu instid0(VALU_DEP_1) | instskip(NEXT) | instid1(VALU_DEP_1)
	v_rndne_f64_e32 v[33:34], v[29:30]
	v_fma_f64 v[29:30], v[33:34], s[26:27], |v[3:4]|
	v_mul_f64 v[31:32], v[33:34], s[36:37]
	s_delay_alu instid0(VALU_DEP_2) | instskip(NEXT) | instid1(VALU_DEP_2)
	v_fma_f64 v[37:38], v[33:34], s[36:37], v[29:30]
	v_add_f64 v[35:36], v[29:30], v[31:32]
	s_delay_alu instid0(VALU_DEP_1) | instskip(NEXT) | instid1(VALU_DEP_3)
	v_add_f64 v[29:30], v[29:30], -v[35:36]
	v_add_f64 v[35:36], v[35:36], -v[37:38]
	s_delay_alu instid0(VALU_DEP_2) | instskip(SKIP_1) | instid1(VALU_DEP_2)
	v_add_f64 v[29:30], v[29:30], v[31:32]
	v_fma_f64 v[31:32], v[33:34], s[28:29], v[31:32]
	v_add_f64 v[29:30], v[35:36], v[29:30]
	s_delay_alu instid0(VALU_DEP_1) | instskip(NEXT) | instid1(VALU_DEP_1)
	v_add_f64 v[29:30], v[29:30], -v[31:32]
	v_fma_f64 v[31:32], v[33:34], s[38:39], v[29:30]
	v_cvt_i32_f64_e32 v33, v[33:34]
	s_delay_alu instid0(VALU_DEP_2) | instskip(NEXT) | instid1(VALU_DEP_1)
	v_add_f64 v[29:30], v[37:38], v[31:32]
	v_add_f64 v[35:36], v[29:30], -v[37:38]
	s_delay_alu instid0(VALU_DEP_1)
	v_add_f64 v[31:32], v[31:32], -v[35:36]
.LBB254_190:                            ;   in Loop: Header=BB254_4 Depth=1
	s_or_b32 exec_lo, exec_lo, s6
	v_add_f64 v[1:2], -v[1:2], s[86:87]
	s_delay_alu instid0(VALU_DEP_4) | instskip(SKIP_3) | instid1(VALU_DEP_4)
	v_mul_f64 v[49:50], v[25:26], v[25:26]
	v_mul_f64 v[51:52], v[29:30], v[29:30]
	s_mov_b32 s89, s61
	s_mov_b32 s91, s63
	v_mul_f64 v[69:70], v[27:28], 0.5
	v_mul_f64 v[75:76], v[31:32], 0.5
	s_mov_b32 s92, s62
	v_cmp_class_f64_e64 s6, v[3:4], 0x1f8
	v_mul_f64 v[34:35], v[1:2], s[42:43]
	v_fma_f64 v[53:54], v[49:50], s[80:81], s[78:79]
	v_fma_f64 v[55:56], v[51:52], s[80:81], s[78:79]
	;; [unrolled: 1-line block ×3, first 2 shown]
	v_mul_f64 v[59:60], v[49:50], 0.5
	v_fma_f64 v[61:62], v[51:52], s[70:71], s[68:69]
	v_mul_f64 v[63:64], v[51:52], 0.5
	v_mul_f64 v[71:72], v[25:26], -v[49:50]
	v_mul_f64 v[77:78], v[29:30], -v[51:52]
	v_cmp_nlt_f64_e64 s7, 0x40900000, v[1:2]
	v_cmp_ngt_f64_e64 s8, 0xc090cc00, v[1:2]
	v_rndne_f64_e32 v[34:35], v[34:35]
	v_fma_f64 v[53:54], v[49:50], v[53:54], s[82:83]
	v_fma_f64 v[55:56], v[51:52], v[55:56], s[82:83]
	;; [unrolled: 1-line block ×3, first 2 shown]
	v_add_f64 v[65:66], -v[59:60], 1.0
	v_fma_f64 v[61:62], v[51:52], v[61:62], s[72:73]
	v_add_f64 v[67:68], -v[63:64], 1.0
	v_fma_f64 v[36:37], v[34:35], s[44:45], v[1:2]
	v_fma_f64 v[53:54], v[49:50], v[53:54], s[84:85]
	v_fma_f64 v[55:56], v[51:52], v[55:56], s[84:85]
	v_fma_f64 v[57:58], v[49:50], v[57:58], s[74:75]
	v_add_f64 v[73:74], -v[65:66], 1.0
	v_fma_f64 v[61:62], v[51:52], v[61:62], s[74:75]
	v_add_f64 v[79:80], -v[67:68], 1.0
	v_cvt_i32_f64_e32 v18, v[34:35]
	v_lshlrev_b32_e32 v2, 30, v23
	v_lshlrev_b32_e32 v1, 30, v33
	s_delay_alu instid0(VALU_DEP_2) | instskip(NEXT) | instid1(VALU_DEP_2)
	v_and_b32_e32 v2, 0x80000000, v2
	v_xor_b32_e32 v1, v1, v24
	v_fma_f64 v[36:37], v[34:35], s[46:47], v[36:37]
	v_fma_f64 v[53:54], v[49:50], v[53:54], s[60:61]
	;; [unrolled: 1-line block ×4, first 2 shown]
	v_add_f64 v[59:60], v[73:74], -v[59:60]
	v_fma_f64 v[61:62], v[51:52], v[61:62], s[76:77]
	v_add_f64 v[63:64], v[79:80], -v[63:64]
	v_fma_f64 v[47:48], v[36:37], s[50:51], s[48:49]
	v_fma_f64 v[53:54], v[71:72], v[53:54], v[69:70]
	;; [unrolled: 1-line block ×3, first 2 shown]
	v_mul_f64 v[69:70], v[49:50], v[49:50]
	v_fma_f64 v[57:58], v[49:50], v[57:58], s[62:63]
	v_fma_f64 v[59:60], v[25:26], -v[27:28], v[59:60]
	v_fma_f64 v[47:48], v[36:37], v[47:48], s[52:53]
	v_fma_f64 v[27:28], v[49:50], v[53:54], -v[27:28]
	v_mul_f64 v[49:50], v[51:52], v[51:52]
	v_fma_f64 v[53:54], v[51:52], v[61:62], s[62:63]
	v_fma_f64 v[61:62], v[29:30], -v[31:32], v[63:64]
	v_fma_f64 v[31:32], v[51:52], v[55:56], -v[31:32]
	v_fma_f64 v[51:52], v[69:70], v[57:58], v[59:60]
	v_fma_f64 v[47:48], v[36:37], v[47:48], s[54:55]
	;; [unrolled: 1-line block ×3, first 2 shown]
	s_delay_alu instid0(VALU_DEP_4) | instskip(NEXT) | instid1(VALU_DEP_3)
	v_fma_f64 v[31:32], v[77:78], s[92:93], v[31:32]
	v_fma_f64 v[47:48], v[36:37], v[47:48], s[56:57]
	s_delay_alu instid0(VALU_DEP_3) | instskip(NEXT) | instid1(VALU_DEP_3)
	v_add_f64 v[25:26], v[25:26], -v[27:28]
	v_add_f64 v[29:30], v[29:30], -v[31:32]
	s_delay_alu instid0(VALU_DEP_3) | instskip(NEXT) | instid1(VALU_DEP_1)
	v_fma_f64 v[47:48], v[36:37], v[47:48], s[58:59]
	v_fma_f64 v[47:48], v[36:37], v[47:48], s[88:89]
	s_delay_alu instid0(VALU_DEP_1) | instskip(NEXT) | instid1(VALU_DEP_1)
	v_fma_f64 v[47:48], v[36:37], v[47:48], s[90:91]
	v_fma_f64 v[47:48], v[36:37], v[47:48], s[64:65]
	s_delay_alu instid0(VALU_DEP_1) | instskip(NEXT) | instid1(VALU_DEP_1)
	v_fma_f64 v[47:48], v[36:37], v[47:48], s[66:67]
	v_fma_f64 v[47:48], v[36:37], v[47:48], 1.0
	s_delay_alu instid0(VALU_DEP_1) | instskip(SKIP_2) | instid1(VALU_DEP_3)
	v_fma_f64 v[34:35], v[36:37], v[47:48], 1.0
	v_fma_f64 v[36:37], v[49:50], v[53:54], v[61:62]
	v_add_f64 v[47:48], v[65:66], v[51:52]
	v_ldexp_f64 v[27:28], v[34:35], v18
	s_delay_alu instid0(VALU_DEP_3) | instskip(SKIP_3) | instid1(VALU_DEP_3)
	v_add_f64 v[34:35], v[67:68], v[36:37]
	v_and_b32_e32 v18, 1, v23
	v_and_b32_e32 v4, 1, v33
	v_xor_b32_e32 v23, 0x80000000, v26
	v_cmp_eq_u32_e32 vcc_lo, 0, v18
	s_delay_alu instid0(VALU_DEP_3) | instskip(SKIP_1) | instid1(VALU_DEP_4)
	v_cmp_eq_u32_e64 s9, 0, v4
	v_cndmask_b32_e32 v18, v25, v47, vcc_lo
	v_dual_cndmask_b32 v4, v23, v48 :: v_dual_and_b32 v23, 0x80000000, v1
	s_and_b32 vcc_lo, s8, s7
	s_delay_alu instid0(VALU_DEP_2) | instskip(NEXT) | instid1(VALU_DEP_2)
	v_cndmask_b32_e64 v1, 0, v18, s6
	v_xor_b32_e32 v2, v4, v2
	s_delay_alu instid0(VALU_DEP_1) | instskip(SKIP_3) | instid1(VALU_DEP_3)
	v_cndmask_b32_e64 v2, 0x7ff80000, v2, s6
	v_cndmask_b32_e64 v3, 0x7ff00000, v28, s7
	;; [unrolled: 1-line block ×5, first 2 shown]
	s_delay_alu instid0(VALU_DEP_3) | instskip(NEXT) | instid1(VALU_DEP_3)
	v_xor_b32_e32 v4, v25, v23
	v_cndmask_b32_e64 v3, 0, v24, s6
	v_cndmask_b32_e32 v23, 0, v27, vcc_lo
	s_delay_alu instid0(VALU_DEP_4) | instskip(NEXT) | instid1(VALU_DEP_4)
	v_and_or_b32 v24, v26, s97, 0x7fe00000
	v_cndmask_b32_e64 v4, 0x7ff80000, v4, s6
	v_lshrrev_b32_e32 v18, 20, v26
	s_delay_alu instid0(VALU_DEP_3) | instskip(NEXT) | instid1(VALU_DEP_3)
	v_mul_f64 v[1:2], v[23:24], v[1:2]
	v_mul_f64 v[3:4], v[23:24], v[3:4]
	s_delay_alu instid0(VALU_DEP_3) | instskip(NEXT) | instid1(VALU_DEP_1)
	v_add_nc_u32_e32 v23, 0xffffff09, v18
	v_lshrrev_b16 v18, 15, v23
	s_delay_alu instid0(VALU_DEP_1) | instskip(NEXT) | instid1(VALU_DEP_1)
	v_add_nc_u16 v18, v23, v18
	v_ashrrev_i16 v18, 1, v18
	s_delay_alu instid0(VALU_DEP_1) | instskip(NEXT) | instid1(VALU_DEP_1)
	v_bfe_i32 v24, v18, 0, 16
	v_lshl_add_u32 v18, v24, 20, 0x3ff00000
	s_delay_alu instid0(VALU_DEP_1) | instskip(SKIP_3) | instid1(VALU_DEP_2)
	v_mul_f64 v[1:2], v[1:2], v[17:18]
	v_mul_f64 v[3:4], v[3:4], v[17:18]
	v_sub_nc_u32_e32 v18, v23, v24
	v_mov_b32_e32 v23, v17
	v_lshl_add_u32 v24, v18, 20, 0x3ff00000
	s_delay_alu instid0(VALU_DEP_1)
	v_mul_f64 v[25:26], v[1:2], v[23:24]
	v_mul_f64 v[23:24], v[3:4], v[23:24]
.LBB254_191:                            ;   in Loop: Header=BB254_4 Depth=1
	s_or_b32 exec_lo, exec_lo, s40
                                        ; implicit-def: $vgpr27_vgpr28
                                        ; implicit-def: $vgpr1_vgpr2
                                        ; implicit-def: $vgpr18
.LBB254_192:                            ;   in Loop: Header=BB254_4 Depth=1
	s_and_not1_saveexec_b32 s7, s100
	s_cbranch_execz .LBB254_198
; %bb.193:                              ;   in Loop: Header=BB254_4 Depth=1
	v_add_f64 v[23:24], v[3:4], -v[3:4]
	v_cmp_ne_u32_e32 vcc_lo, 0, v27
	v_cmp_ne_u32_e64 s6, 0x7ff00000, v18
	s_delay_alu instid0(VALU_DEP_1) | instskip(NEXT) | instid1(SALU_CYCLE_1)
	s_or_b32 s6, vcc_lo, s6
	s_and_saveexec_b32 s8, s6
	s_delay_alu instid0(SALU_CYCLE_1)
	s_xor_b32 s6, exec_lo, s8
; %bb.194:                              ;   in Loop: Header=BB254_4 Depth=1
                                        ; implicit-def: $vgpr27_vgpr28
                                        ; implicit-def: $vgpr1_vgpr2
; %bb.195:                              ;   in Loop: Header=BB254_4 Depth=1
	s_delay_alu instid0(SALU_CYCLE_1) | instskip(NEXT) | instid1(VALU_DEP_3)
	s_or_saveexec_b32 s6, s6
	v_dual_mov_b32 v26, v24 :: v_dual_mov_b32 v25, v23
	s_xor_b32 exec_lo, exec_lo, s6
; %bb.196:                              ;   in Loop: Header=BB254_4 Depth=1
	v_cmp_lt_i64_e32 vcc_lo, -1, v[27:28]
	v_dual_cndmask_b32 v26, 0, v28 :: v_dual_cndmask_b32 v25, 0, v1
	v_dual_cndmask_b32 v24, 0, v24 :: v_dual_cndmask_b32 v23, 0, v23
; %bb.197:                              ;   in Loop: Header=BB254_4 Depth=1
	s_or_b32 exec_lo, exec_lo, s6
.LBB254_198:                            ;   in Loop: Header=BB254_4 Depth=1
	s_delay_alu instid0(SALU_CYCLE_1)
	s_or_b32 exec_lo, exec_lo, s7
                                        ; implicit-def: $vgpr3_vgpr4
.LBB254_199:                            ;   in Loop: Header=BB254_4 Depth=1
	s_and_not1_saveexec_b32 s8, s99
	s_cbranch_execz .LBB254_209
; %bb.200:                              ;   in Loop: Header=BB254_4 Depth=1
	v_cmp_ngt_f64_e64 s7, 0x41d00000, |v[3:4]|
	v_trig_preop_f64 v[31:32], |v[3:4]|, 0
	v_trig_preop_f64 v[29:30], |v[3:4]|, 1
	v_ldexp_f64 v[33:34], |v[3:4]|, 0xffffff80
	v_trig_preop_f64 v[27:28], |v[3:4]|, 2
	v_and_b32_e32 v47, 0x7fffffff, v4
                                        ; implicit-def: $vgpr23
                                        ; implicit-def: $vgpr1_vgpr2
                                        ; implicit-def: $vgpr25_vgpr26
	s_and_saveexec_b32 s6, s7
	s_delay_alu instid0(SALU_CYCLE_1)
	s_xor_b32 s9, exec_lo, s6
	s_cbranch_execz .LBB254_202
; %bb.201:                              ;   in Loop: Header=BB254_4 Depth=1
	v_cmp_le_f64_e64 vcc_lo, 0x7b000000, |v[3:4]|
	s_mov_b32 s24, s26
	s_mov_b32 s31, s29
	s_delay_alu instid0(VALU_DEP_4) | instskip(SKIP_1) | instid1(VALU_DEP_1)
	v_cndmask_b32_e32 v2, v47, v34, vcc_lo
	v_cndmask_b32_e32 v1, v3, v33, vcc_lo
	v_mul_f64 v[25:26], v[31:32], v[1:2]
	v_mul_f64 v[35:36], v[29:30], v[1:2]
	s_delay_alu instid0(VALU_DEP_2) | instskip(NEXT) | instid1(VALU_DEP_2)
	v_fma_f64 v[37:38], v[31:32], v[1:2], -v[25:26]
	v_fma_f64 v[58:59], v[29:30], v[1:2], -v[35:36]
	s_delay_alu instid0(VALU_DEP_2) | instskip(NEXT) | instid1(VALU_DEP_1)
	v_add_f64 v[48:49], v[35:36], v[37:38]
	v_add_f64 v[50:51], v[48:49], -v[35:36]
	v_add_f64 v[54:55], v[25:26], v[48:49]
	s_delay_alu instid0(VALU_DEP_2) | instskip(SKIP_1) | instid1(VALU_DEP_3)
	v_add_f64 v[52:53], v[48:49], -v[50:51]
	v_add_f64 v[37:38], v[37:38], -v[50:51]
	v_ldexp_f64 v[50:51], v[54:55], -2
	v_add_f64 v[25:26], v[54:55], -v[25:26]
	s_delay_alu instid0(VALU_DEP_4) | instskip(NEXT) | instid1(VALU_DEP_3)
	v_add_f64 v[35:36], v[35:36], -v[52:53]
	v_cmp_neq_f64_e64 vcc_lo, 0x7ff00000, |v[50:51]|
	s_delay_alu instid0(VALU_DEP_3) | instskip(NEXT) | instid1(VALU_DEP_3)
	v_add_f64 v[25:26], v[48:49], -v[25:26]
	v_add_f64 v[35:36], v[37:38], v[35:36]
	v_fract_f64_e32 v[37:38], v[50:51]
	s_delay_alu instid0(VALU_DEP_1) | instskip(SKIP_1) | instid1(VALU_DEP_2)
	v_dual_cndmask_b32 v38, 0, v38 :: v_dual_cndmask_b32 v37, 0, v37
	v_mul_f64 v[56:57], v[27:28], v[1:2]
	v_ldexp_f64 v[37:38], v[37:38], 2
	s_delay_alu instid0(VALU_DEP_2) | instskip(SKIP_1) | instid1(VALU_DEP_2)
	v_add_f64 v[52:53], v[56:57], v[58:59]
	v_fma_f64 v[1:2], v[27:28], v[1:2], -v[56:57]
	v_add_f64 v[48:49], v[52:53], v[35:36]
	s_delay_alu instid0(VALU_DEP_1) | instskip(SKIP_1) | instid1(VALU_DEP_2)
	v_add_f64 v[50:51], v[25:26], v[48:49]
	v_add_f64 v[60:61], v[48:49], -v[52:53]
	v_add_f64 v[54:55], v[50:51], v[37:38]
	s_delay_alu instid0(VALU_DEP_2) | instskip(SKIP_2) | instid1(VALU_DEP_4)
	v_add_f64 v[66:67], v[48:49], -v[60:61]
	v_add_f64 v[35:36], v[35:36], -v[60:61]
	;; [unrolled: 1-line block ×3, first 2 shown]
	v_cmp_gt_f64_e32 vcc_lo, 0, v[54:55]
	v_add_f64 v[54:55], v[52:53], -v[56:57]
	s_delay_alu instid0(VALU_DEP_3) | instskip(SKIP_1) | instid1(VALU_DEP_3)
	v_add_f64 v[25:26], v[48:49], -v[25:26]
	v_cndmask_b32_e64 v18, 0, 0x40100000, vcc_lo
	v_add_f64 v[64:65], v[52:53], -v[54:55]
	v_add_f64 v[54:55], v[58:59], -v[54:55]
	;; [unrolled: 1-line block ×3, first 2 shown]
	s_delay_alu instid0(VALU_DEP_4) | instskip(NEXT) | instid1(VALU_DEP_4)
	v_add_f64 v[37:38], v[37:38], v[17:18]
	v_add_f64 v[58:59], v[56:57], -v[64:65]
	s_delay_alu instid0(VALU_DEP_3) | instskip(NEXT) | instid1(VALU_DEP_3)
	v_add_f64 v[35:36], v[35:36], v[52:53]
	v_add_f64 v[62:63], v[50:51], v[37:38]
	s_delay_alu instid0(VALU_DEP_3) | instskip(NEXT) | instid1(VALU_DEP_2)
	v_add_f64 v[54:55], v[54:55], v[58:59]
	v_cvt_i32_f64_e32 v18, v[62:63]
	s_delay_alu instid0(VALU_DEP_2) | instskip(NEXT) | instid1(VALU_DEP_2)
	v_add_f64 v[35:36], v[54:55], v[35:36]
	v_cvt_f64_i32_e32 v[60:61], v18
	s_delay_alu instid0(VALU_DEP_2) | instskip(NEXT) | instid1(VALU_DEP_2)
	v_add_f64 v[1:2], v[1:2], v[35:36]
	v_add_f64 v[37:38], v[37:38], -v[60:61]
	s_delay_alu instid0(VALU_DEP_2) | instskip(NEXT) | instid1(VALU_DEP_2)
	v_add_f64 v[1:2], v[25:26], v[1:2]
	v_add_f64 v[52:53], v[50:51], v[37:38]
	s_delay_alu instid0(VALU_DEP_1) | instskip(SKIP_1) | instid1(VALU_DEP_2)
	v_add_f64 v[35:36], v[52:53], -v[37:38]
	v_cmp_le_f64_e32 vcc_lo, 0.5, v[52:53]
	v_add_f64 v[25:26], v[50:51], -v[35:36]
	v_add_co_ci_u32_e64 v23, s6, 0, v18, vcc_lo
	v_cndmask_b32_e64 v18, 0, 0x3ff00000, vcc_lo
	s_delay_alu instid0(VALU_DEP_3) | instskip(NEXT) | instid1(VALU_DEP_2)
	v_add_f64 v[1:2], v[1:2], v[25:26]
	v_add_f64 v[25:26], v[52:53], -v[17:18]
	s_delay_alu instid0(VALU_DEP_1) | instskip(NEXT) | instid1(VALU_DEP_1)
	v_add_f64 v[35:36], v[25:26], v[1:2]
	v_mul_f64 v[37:38], v[35:36], s[24:25]
	v_add_f64 v[25:26], v[35:36], -v[25:26]
	s_delay_alu instid0(VALU_DEP_2) | instskip(NEXT) | instid1(VALU_DEP_2)
	v_fma_f64 v[48:49], v[35:36], s[24:25], -v[37:38]
	v_add_f64 v[1:2], v[1:2], -v[25:26]
	s_delay_alu instid0(VALU_DEP_2) | instskip(NEXT) | instid1(VALU_DEP_1)
	v_fma_f64 v[25:26], v[35:36], s[30:31], v[48:49]
	v_fma_f64 v[25:26], v[1:2], s[24:25], v[25:26]
	s_delay_alu instid0(VALU_DEP_1) | instskip(NEXT) | instid1(VALU_DEP_1)
	v_add_f64 v[1:2], v[37:38], v[25:26]
	v_add_f64 v[35:36], v[1:2], -v[37:38]
	s_delay_alu instid0(VALU_DEP_1)
	v_add_f64 v[25:26], v[25:26], -v[35:36]
	s_and_not1_saveexec_b32 s6, s9
	s_cbranch_execz .LBB254_204
	s_branch .LBB254_203
.LBB254_202:                            ;   in Loop: Header=BB254_4 Depth=1
	s_and_not1_saveexec_b32 s6, s9
	s_cbranch_execz .LBB254_204
.LBB254_203:                            ;   in Loop: Header=BB254_4 Depth=1
	v_mul_f64 v[1:2], |v[3:4]|, s[34:35]
	s_mov_b32 s28, s36
	s_delay_alu instid0(VALU_DEP_1) | instskip(NEXT) | instid1(VALU_DEP_1)
	v_rndne_f64_e32 v[35:36], v[1:2]
	v_fma_f64 v[1:2], v[35:36], s[26:27], |v[3:4]|
	v_mul_f64 v[25:26], v[35:36], s[36:37]
	v_cvt_i32_f64_e32 v23, v[35:36]
	s_delay_alu instid0(VALU_DEP_3) | instskip(NEXT) | instid1(VALU_DEP_3)
	v_fma_f64 v[48:49], v[35:36], s[36:37], v[1:2]
	v_add_f64 v[37:38], v[1:2], v[25:26]
	s_delay_alu instid0(VALU_DEP_1) | instskip(NEXT) | instid1(VALU_DEP_3)
	v_add_f64 v[1:2], v[1:2], -v[37:38]
	v_add_f64 v[37:38], v[37:38], -v[48:49]
	s_delay_alu instid0(VALU_DEP_2) | instskip(SKIP_1) | instid1(VALU_DEP_2)
	v_add_f64 v[1:2], v[1:2], v[25:26]
	v_fma_f64 v[25:26], v[35:36], s[28:29], v[25:26]
	v_add_f64 v[1:2], v[37:38], v[1:2]
	s_delay_alu instid0(VALU_DEP_1) | instskip(NEXT) | instid1(VALU_DEP_1)
	v_add_f64 v[1:2], v[1:2], -v[25:26]
	v_fma_f64 v[25:26], v[35:36], s[38:39], v[1:2]
	s_delay_alu instid0(VALU_DEP_1) | instskip(NEXT) | instid1(VALU_DEP_1)
	v_add_f64 v[1:2], v[48:49], v[25:26]
	v_add_f64 v[37:38], v[1:2], -v[48:49]
	s_delay_alu instid0(VALU_DEP_1)
	v_add_f64 v[25:26], v[25:26], -v[37:38]
.LBB254_204:                            ;   in Loop: Header=BB254_4 Depth=1
	s_or_b32 exec_lo, exec_lo, s6
                                        ; implicit-def: $vgpr48
                                        ; implicit-def: $vgpr35_vgpr36
                                        ; implicit-def: $vgpr37_vgpr38
	s_and_saveexec_b32 s6, s7
	s_delay_alu instid0(SALU_CYCLE_1)
	s_xor_b32 s7, exec_lo, s6
	s_cbranch_execz .LBB254_206
; %bb.205:                              ;   in Loop: Header=BB254_4 Depth=1
	v_cmp_le_f64_e64 vcc_lo, 0x7b000000, |v[3:4]|
	s_mov_b32 s24, s26
	s_mov_b32 s31, s29
	s_delay_alu instid0(VALU_DEP_4) | instskip(SKIP_1) | instid1(VALU_DEP_1)
	v_cndmask_b32_e32 v34, v47, v34, vcc_lo
	v_cndmask_b32_e32 v33, v3, v33, vcc_lo
	v_mul_f64 v[35:36], v[31:32], v[33:34]
	v_mul_f64 v[37:38], v[29:30], v[33:34]
	s_delay_alu instid0(VALU_DEP_2) | instskip(NEXT) | instid1(VALU_DEP_2)
	v_fma_f64 v[31:32], v[31:32], v[33:34], -v[35:36]
	v_fma_f64 v[29:30], v[29:30], v[33:34], -v[37:38]
	s_delay_alu instid0(VALU_DEP_2) | instskip(NEXT) | instid1(VALU_DEP_1)
	v_add_f64 v[47:48], v[37:38], v[31:32]
	v_add_f64 v[49:50], v[47:48], -v[37:38]
	v_add_f64 v[53:54], v[35:36], v[47:48]
	s_delay_alu instid0(VALU_DEP_2) | instskip(SKIP_1) | instid1(VALU_DEP_3)
	v_add_f64 v[51:52], v[47:48], -v[49:50]
	v_add_f64 v[31:32], v[31:32], -v[49:50]
	v_ldexp_f64 v[49:50], v[53:54], -2
	v_add_f64 v[35:36], v[53:54], -v[35:36]
	s_delay_alu instid0(VALU_DEP_4) | instskip(NEXT) | instid1(VALU_DEP_3)
	v_add_f64 v[37:38], v[37:38], -v[51:52]
	v_cmp_neq_f64_e64 vcc_lo, 0x7ff00000, |v[49:50]|
	s_delay_alu instid0(VALU_DEP_3) | instskip(NEXT) | instid1(VALU_DEP_3)
	v_add_f64 v[35:36], v[47:48], -v[35:36]
	v_add_f64 v[31:32], v[31:32], v[37:38]
	v_fract_f64_e32 v[37:38], v[49:50]
	s_delay_alu instid0(VALU_DEP_1) | instskip(SKIP_1) | instid1(VALU_DEP_2)
	v_dual_cndmask_b32 v38, 0, v38 :: v_dual_cndmask_b32 v37, 0, v37
	v_mul_f64 v[55:56], v[27:28], v[33:34]
	v_ldexp_f64 v[37:38], v[37:38], 2
	s_delay_alu instid0(VALU_DEP_2) | instskip(SKIP_1) | instid1(VALU_DEP_2)
	v_add_f64 v[51:52], v[55:56], v[29:30]
	v_fma_f64 v[27:28], v[27:28], v[33:34], -v[55:56]
	v_add_f64 v[47:48], v[51:52], v[31:32]
	s_delay_alu instid0(VALU_DEP_1) | instskip(SKIP_1) | instid1(VALU_DEP_2)
	v_add_f64 v[49:50], v[35:36], v[47:48]
	v_add_f64 v[57:58], v[47:48], -v[51:52]
	v_add_f64 v[53:54], v[49:50], v[37:38]
	s_delay_alu instid0(VALU_DEP_2) | instskip(SKIP_2) | instid1(VALU_DEP_4)
	v_add_f64 v[63:64], v[47:48], -v[57:58]
	v_add_f64 v[31:32], v[31:32], -v[57:58]
	v_add_f64 v[33:34], v[49:50], -v[35:36]
	v_cmp_gt_f64_e32 vcc_lo, 0, v[53:54]
	v_add_f64 v[53:54], v[51:52], -v[55:56]
	s_delay_alu instid0(VALU_DEP_3) | instskip(SKIP_1) | instid1(VALU_DEP_3)
	v_add_f64 v[33:34], v[47:48], -v[33:34]
	v_cndmask_b32_e64 v18, 0, 0x40100000, vcc_lo
	v_add_f64 v[61:62], v[51:52], -v[53:54]
	v_add_f64 v[29:30], v[29:30], -v[53:54]
	;; [unrolled: 1-line block ×3, first 2 shown]
	s_delay_alu instid0(VALU_DEP_4) | instskip(NEXT) | instid1(VALU_DEP_4)
	v_add_f64 v[37:38], v[37:38], v[17:18]
	v_add_f64 v[53:54], v[55:56], -v[61:62]
	s_delay_alu instid0(VALU_DEP_3) | instskip(NEXT) | instid1(VALU_DEP_3)
	v_add_f64 v[31:32], v[31:32], v[51:52]
	v_add_f64 v[59:60], v[49:50], v[37:38]
	s_delay_alu instid0(VALU_DEP_3) | instskip(NEXT) | instid1(VALU_DEP_2)
	v_add_f64 v[29:30], v[29:30], v[53:54]
	v_cvt_i32_f64_e32 v18, v[59:60]
	s_delay_alu instid0(VALU_DEP_2) | instskip(NEXT) | instid1(VALU_DEP_2)
	v_add_f64 v[29:30], v[29:30], v[31:32]
	v_cvt_f64_i32_e32 v[57:58], v18
	s_delay_alu instid0(VALU_DEP_2) | instskip(NEXT) | instid1(VALU_DEP_2)
	v_add_f64 v[27:28], v[27:28], v[29:30]
	v_add_f64 v[37:38], v[37:38], -v[57:58]
	s_delay_alu instid0(VALU_DEP_2) | instskip(NEXT) | instid1(VALU_DEP_2)
	v_add_f64 v[27:28], v[33:34], v[27:28]
	v_add_f64 v[31:32], v[49:50], v[37:38]
	s_delay_alu instid0(VALU_DEP_1) | instskip(SKIP_1) | instid1(VALU_DEP_2)
	v_add_f64 v[29:30], v[31:32], -v[37:38]
	v_cmp_le_f64_e32 vcc_lo, 0.5, v[31:32]
	v_add_f64 v[29:30], v[49:50], -v[29:30]
	v_add_co_ci_u32_e64 v48, s6, 0, v18, vcc_lo
	v_cndmask_b32_e64 v18, 0, 0x3ff00000, vcc_lo
	s_delay_alu instid0(VALU_DEP_3) | instskip(NEXT) | instid1(VALU_DEP_2)
	v_add_f64 v[27:28], v[27:28], v[29:30]
	v_add_f64 v[29:30], v[31:32], -v[17:18]
	s_delay_alu instid0(VALU_DEP_1) | instskip(NEXT) | instid1(VALU_DEP_1)
	v_add_f64 v[31:32], v[29:30], v[27:28]
	v_mul_f64 v[33:34], v[31:32], s[24:25]
	v_add_f64 v[29:30], v[31:32], -v[29:30]
	s_delay_alu instid0(VALU_DEP_2) | instskip(NEXT) | instid1(VALU_DEP_2)
	v_fma_f64 v[35:36], v[31:32], s[24:25], -v[33:34]
	v_add_f64 v[27:28], v[27:28], -v[29:30]
	s_delay_alu instid0(VALU_DEP_2) | instskip(NEXT) | instid1(VALU_DEP_1)
	v_fma_f64 v[29:30], v[31:32], s[30:31], v[35:36]
	v_fma_f64 v[27:28], v[27:28], s[24:25], v[29:30]
	s_delay_alu instid0(VALU_DEP_1) | instskip(NEXT) | instid1(VALU_DEP_1)
	v_add_f64 v[35:36], v[33:34], v[27:28]
	v_add_f64 v[29:30], v[35:36], -v[33:34]
	s_delay_alu instid0(VALU_DEP_1)
	v_add_f64 v[37:38], v[27:28], -v[29:30]
	s_and_not1_saveexec_b32 s6, s7
	s_cbranch_execnz .LBB254_207
	s_branch .LBB254_208
.LBB254_206:                            ;   in Loop: Header=BB254_4 Depth=1
	s_and_not1_saveexec_b32 s6, s7
	s_cbranch_execz .LBB254_208
.LBB254_207:                            ;   in Loop: Header=BB254_4 Depth=1
	v_mul_f64 v[27:28], |v[3:4]|, s[34:35]
	s_mov_b32 s28, s36
	s_delay_alu instid0(VALU_DEP_1) | instskip(NEXT) | instid1(VALU_DEP_1)
	v_rndne_f64_e32 v[27:28], v[27:28]
	v_fma_f64 v[29:30], v[27:28], s[26:27], |v[3:4]|
	v_mul_f64 v[31:32], v[27:28], s[36:37]
	v_cvt_i32_f64_e32 v48, v[27:28]
	s_delay_alu instid0(VALU_DEP_3) | instskip(NEXT) | instid1(VALU_DEP_3)
	v_fma_f64 v[37:38], v[27:28], s[36:37], v[29:30]
	v_add_f64 v[33:34], v[29:30], v[31:32]
	s_delay_alu instid0(VALU_DEP_1) | instskip(NEXT) | instid1(VALU_DEP_3)
	v_add_f64 v[29:30], v[29:30], -v[33:34]
	v_add_f64 v[33:34], v[33:34], -v[37:38]
	s_delay_alu instid0(VALU_DEP_2) | instskip(SKIP_1) | instid1(VALU_DEP_2)
	v_add_f64 v[29:30], v[29:30], v[31:32]
	v_fma_f64 v[31:32], v[27:28], s[28:29], v[31:32]
	v_add_f64 v[29:30], v[33:34], v[29:30]
	s_delay_alu instid0(VALU_DEP_1) | instskip(NEXT) | instid1(VALU_DEP_1)
	v_add_f64 v[29:30], v[29:30], -v[31:32]
	v_fma_f64 v[29:30], v[27:28], s[38:39], v[29:30]
	s_delay_alu instid0(VALU_DEP_1) | instskip(NEXT) | instid1(VALU_DEP_1)
	v_add_f64 v[35:36], v[37:38], v[29:30]
	v_add_f64 v[31:32], v[35:36], -v[37:38]
	s_delay_alu instid0(VALU_DEP_1)
	v_add_f64 v[37:38], v[29:30], -v[31:32]
.LBB254_208:                            ;   in Loop: Header=BB254_4 Depth=1
	s_or_b32 exec_lo, exec_lo, s6
	v_mul_f64 v[27:28], v[1:2], v[1:2]
	v_mul_f64 v[29:30], v[35:36], v[35:36]
	s_delay_alu instid0(VALU_DEP_3) | instskip(NEXT) | instid1(VALU_DEP_4)
	v_mul_f64 v[61:62], v[25:26], 0.5
	v_mul_f64 v[67:68], v[37:38], 0.5
	s_mov_b32 s92, s62
	v_cmp_class_f64_e64 s6, v[3:4], 0x1f8
	v_and_b32_e32 v18, 1, v23
	v_lshlrev_b32_e32 v3, 30, v48
	v_and_b32_e32 v4, 1, v48
	s_delay_alu instid0(VALU_DEP_3) | instskip(SKIP_1) | instid1(VALU_DEP_4)
	v_cmp_eq_u32_e32 vcc_lo, 0, v18
	v_lshlrev_b32_e32 v18, 30, v23
	v_xor_b32_e32 v3, v3, v24
	s_delay_alu instid0(VALU_DEP_4) | instskip(NEXT) | instid1(VALU_DEP_3)
	v_cmp_eq_u32_e64 s7, 0, v4
	v_and_b32_e32 v4, 0x80000000, v18
	v_fma_f64 v[31:32], v[27:28], s[80:81], s[78:79]
	v_fma_f64 v[33:34], v[29:30], s[80:81], s[78:79]
	;; [unrolled: 1-line block ×3, first 2 shown]
	v_mul_f64 v[51:52], v[27:28], 0.5
	v_fma_f64 v[53:54], v[29:30], s[70:71], s[68:69]
	v_mul_f64 v[55:56], v[29:30], 0.5
	v_mul_f64 v[63:64], v[1:2], -v[27:28]
	v_mul_f64 v[69:70], v[35:36], -v[29:30]
	v_fma_f64 v[31:32], v[27:28], v[31:32], s[82:83]
	v_fma_f64 v[33:34], v[29:30], v[33:34], s[82:83]
	;; [unrolled: 1-line block ×3, first 2 shown]
	v_add_f64 v[57:58], -v[51:52], 1.0
	v_fma_f64 v[53:54], v[29:30], v[53:54], s[72:73]
	v_add_f64 v[59:60], -v[55:56], 1.0
	v_fma_f64 v[31:32], v[27:28], v[31:32], s[84:85]
	v_fma_f64 v[33:34], v[29:30], v[33:34], s[84:85]
	v_fma_f64 v[49:50], v[27:28], v[49:50], s[74:75]
	v_add_f64 v[65:66], -v[57:58], 1.0
	v_fma_f64 v[53:54], v[29:30], v[53:54], s[74:75]
	v_add_f64 v[71:72], -v[59:60], 1.0
	v_fma_f64 v[31:32], v[27:28], v[31:32], s[60:61]
	v_fma_f64 v[33:34], v[29:30], v[33:34], s[60:61]
	;; [unrolled: 1-line block ×3, first 2 shown]
	v_add_f64 v[51:52], v[65:66], -v[51:52]
	v_fma_f64 v[53:54], v[29:30], v[53:54], s[76:77]
	v_add_f64 v[55:56], v[71:72], -v[55:56]
	v_fma_f64 v[31:32], v[63:64], v[31:32], v[61:62]
	v_fma_f64 v[33:34], v[69:70], v[33:34], v[67:68]
	v_mul_f64 v[61:62], v[27:28], v[27:28]
	v_fma_f64 v[49:50], v[27:28], v[49:50], s[62:63]
	v_fma_f64 v[51:52], v[1:2], -v[25:26], v[51:52]
	v_fma_f64 v[25:26], v[27:28], v[31:32], -v[25:26]
	v_mul_f64 v[27:28], v[29:30], v[29:30]
	v_fma_f64 v[31:32], v[29:30], v[53:54], s[62:63]
	v_fma_f64 v[53:54], v[35:36], -v[37:38], v[55:56]
	v_fma_f64 v[29:30], v[29:30], v[33:34], -v[37:38]
	v_fma_f64 v[33:34], v[61:62], v[49:50], v[51:52]
	v_fma_f64 v[25:26], v[63:64], s[92:93], v[25:26]
	s_delay_alu instid0(VALU_DEP_4) | instskip(NEXT) | instid1(VALU_DEP_4)
	v_fma_f64 v[27:28], v[27:28], v[31:32], v[53:54]
	v_fma_f64 v[29:30], v[69:70], s[92:93], v[29:30]
	s_delay_alu instid0(VALU_DEP_4) | instskip(NEXT) | instid1(VALU_DEP_4)
	v_add_f64 v[31:32], v[57:58], v[33:34]
	v_add_f64 v[1:2], v[1:2], -v[25:26]
	s_delay_alu instid0(VALU_DEP_4) | instskip(NEXT) | instid1(VALU_DEP_4)
	v_add_f64 v[25:26], v[59:60], v[27:28]
	v_add_f64 v[27:28], v[35:36], -v[29:30]
	s_delay_alu instid0(VALU_DEP_3) | instskip(NEXT) | instid1(VALU_DEP_4)
	v_cndmask_b32_e32 v1, v1, v31, vcc_lo
	v_xor_b32_e32 v2, 0x80000000, v2
	v_and_b32_e32 v3, 0x80000000, v3
	s_delay_alu instid0(VALU_DEP_4) | instskip(SKIP_1) | instid1(VALU_DEP_4)
	v_cndmask_b32_e64 v23, v26, v28, s7
	v_cndmask_b32_e64 v18, v25, v27, s7
	v_cndmask_b32_e32 v2, v2, v32, vcc_lo
	v_cndmask_b32_e64 v25, 0, v1, s6
	s_delay_alu instid0(VALU_DEP_4) | instskip(NEXT) | instid1(VALU_DEP_4)
	v_xor_b32_e32 v3, v23, v3
	v_cndmask_b32_e64 v23, 0, v18, s6
	s_delay_alu instid0(VALU_DEP_4) | instskip(NEXT) | instid1(VALU_DEP_3)
	v_xor_b32_e32 v2, v2, v4
	v_cndmask_b32_e64 v24, 0x7ff80000, v3, s6
	s_delay_alu instid0(VALU_DEP_2)
	v_cndmask_b32_e64 v26, 0x7ff80000, v2, s6
.LBB254_209:                            ;   in Loop: Header=BB254_4 Depth=1
	s_or_b32 exec_lo, exec_lo, s8
                                        ; implicit-def: $vgpr1_vgpr2
.LBB254_210:                            ;   in Loop: Header=BB254_4 Depth=1
	s_and_not1_saveexec_b32 s7, s98
	s_cbranch_execz .LBB254_212
; %bb.211:                              ;   in Loop: Header=BB254_4 Depth=1
	s_mov_b32 s40, s42
	s_mov_b32 s89, s61
	v_mul_f64 v[3:4], v[1:2], s[40:41]
	s_mov_b32 s91, s63
	v_cmp_ngt_f64_e32 vcc_lo, 0xc0900000, v[1:2]
	v_cmp_nlt_f64_e64 s6, 0x4090cc00, v[1:2]
	s_delay_alu instid0(VALU_DEP_3) | instskip(NEXT) | instid1(VALU_DEP_1)
	v_rndne_f64_e32 v[3:4], v[3:4]
	v_fma_f64 v[25:26], v[3:4], s[44:45], -v[1:2]
	v_cvt_i32_f64_e32 v18, v[3:4]
	s_delay_alu instid0(VALU_DEP_2) | instskip(NEXT) | instid1(VALU_DEP_1)
	v_fma_f64 v[25:26], v[3:4], s[46:47], v[25:26]
	v_fma_f64 v[27:28], v[25:26], s[50:51], s[48:49]
	s_delay_alu instid0(VALU_DEP_1) | instskip(NEXT) | instid1(VALU_DEP_1)
	v_fma_f64 v[27:28], v[25:26], v[27:28], s[52:53]
	v_fma_f64 v[27:28], v[25:26], v[27:28], s[54:55]
	s_delay_alu instid0(VALU_DEP_1) | instskip(NEXT) | instid1(VALU_DEP_1)
	;; [unrolled: 3-line block ×5, first 2 shown]
	v_fma_f64 v[27:28], v[25:26], v[27:28], 1.0
	v_fma_f64 v[3:4], v[25:26], v[27:28], 1.0
	s_delay_alu instid0(VALU_DEP_1) | instskip(NEXT) | instid1(VALU_DEP_1)
	v_ldexp_f64 v[3:4], v[3:4], v18
	v_cndmask_b32_e32 v4, 0x7ff00000, v4, vcc_lo
	s_and_b32 vcc_lo, s6, vcc_lo
	s_delay_alu instid0(VALU_DEP_2) | instskip(NEXT) | instid1(VALU_DEP_2)
	v_cndmask_b32_e32 v25, 0, v3, vcc_lo
	v_cndmask_b32_e64 v26, 0, v4, s6
.LBB254_212:                            ;   in Loop: Header=BB254_4 Depth=1
	s_or_b32 exec_lo, exec_lo, s7
	s_delay_alu instid0(VALU_DEP_1) | instskip(NEXT) | instid1(VALU_DEP_2)
	v_add_f64 v[25:26], s[12:13], v[25:26]
	v_add_f64 v[23:24], s[14:15], v[23:24]
                                        ; implicit-def: $vgpr3_vgpr4
	s_delay_alu instid0(VALU_DEP_2) | instskip(NEXT) | instid1(VALU_DEP_2)
	v_cmp_gt_f64_e32 vcc_lo, 0, v[25:26]
	v_cmp_gt_f64_e64 s6, 0, v[23:24]
	v_xor_b32_e32 v1, 0x80000000, v26
	v_xor_b32_e32 v2, 0x80000000, v24
	s_delay_alu instid0(VALU_DEP_2) | instskip(NEXT) | instid1(VALU_DEP_2)
	v_cndmask_b32_e32 v28, v26, v1, vcc_lo
	v_cndmask_b32_e64 v30, v24, v2, s6
	v_cndmask_b32_e32 v27, v25, v25, vcc_lo
	v_cndmask_b32_e64 v29, v23, v23, s6
	s_mov_b32 s6, exec_lo
	s_delay_alu instid0(VALU_DEP_1)
	v_cmpx_ge_f64_e32 v[27:28], v[29:30]
	s_xor_b32 s7, exec_lo, s6
	s_cbranch_execz .LBB254_222
; %bb.213:                              ;   in Loop: Header=BB254_4 Depth=1
	v_cmp_neq_f64_e32 vcc_lo, 0, v[25:26]
	v_cmp_neq_f64_e64 s6, 0, v[23:24]
                                        ; implicit-def: $vgpr3_vgpr4
	s_delay_alu instid0(VALU_DEP_1) | instskip(NEXT) | instid1(SALU_CYCLE_1)
	s_or_b32 s6, vcc_lo, s6
	s_and_saveexec_b32 s8, s6
	s_delay_alu instid0(SALU_CYCLE_1)
	s_xor_b32 s6, exec_lo, s8
	s_cbranch_execz .LBB254_215
; %bb.214:                              ;   in Loop: Header=BB254_4 Depth=1
	v_div_scale_f64 v[1:2], null, v[25:26], v[25:26], v[23:24]
	v_div_scale_f64 v[29:30], vcc_lo, v[23:24], v[25:26], v[23:24]
	s_delay_alu instid0(VALU_DEP_2) | instskip(SKIP_2) | instid1(VALU_DEP_1)
	v_rcp_f64_e32 v[3:4], v[1:2]
	s_waitcnt_depctr 0xfff
	v_fma_f64 v[27:28], -v[1:2], v[3:4], 1.0
	v_fma_f64 v[3:4], v[3:4], v[27:28], v[3:4]
	s_delay_alu instid0(VALU_DEP_1) | instskip(NEXT) | instid1(VALU_DEP_1)
	v_fma_f64 v[27:28], -v[1:2], v[3:4], 1.0
	v_fma_f64 v[3:4], v[3:4], v[27:28], v[3:4]
	s_delay_alu instid0(VALU_DEP_1) | instskip(NEXT) | instid1(VALU_DEP_1)
	v_mul_f64 v[27:28], v[29:30], v[3:4]
	v_fma_f64 v[1:2], -v[1:2], v[27:28], v[29:30]
	s_delay_alu instid0(VALU_DEP_1) | instskip(NEXT) | instid1(VALU_DEP_1)
	v_div_fmas_f64 v[1:2], v[1:2], v[3:4], v[27:28]
	v_div_fixup_f64 v[1:2], v[1:2], v[25:26], v[23:24]
	s_delay_alu instid0(VALU_DEP_1) | instskip(NEXT) | instid1(VALU_DEP_1)
	v_fma_f64 v[3:4], v[23:24], v[1:2], v[25:26]
	v_div_scale_f64 v[23:24], null, v[3:4], v[3:4], 1.0
	v_div_scale_f64 v[29:30], vcc_lo, 1.0, v[3:4], 1.0
	s_delay_alu instid0(VALU_DEP_2) | instskip(SKIP_2) | instid1(VALU_DEP_1)
	v_rcp_f64_e32 v[25:26], v[23:24]
	s_waitcnt_depctr 0xfff
	v_fma_f64 v[27:28], -v[23:24], v[25:26], 1.0
	v_fma_f64 v[25:26], v[25:26], v[27:28], v[25:26]
	s_delay_alu instid0(VALU_DEP_1) | instskip(NEXT) | instid1(VALU_DEP_1)
	v_fma_f64 v[27:28], -v[23:24], v[25:26], 1.0
	v_fma_f64 v[25:26], v[25:26], v[27:28], v[25:26]
	s_delay_alu instid0(VALU_DEP_1) | instskip(NEXT) | instid1(VALU_DEP_1)
	v_mul_f64 v[27:28], v[29:30], v[25:26]
	v_fma_f64 v[23:24], -v[23:24], v[27:28], v[29:30]
                                        ; implicit-def: $vgpr29_vgpr30
	s_delay_alu instid0(VALU_DEP_1) | instskip(SKIP_1) | instid1(VALU_DEP_2)
	v_div_fmas_f64 v[23:24], v[23:24], v[25:26], v[27:28]
	v_fma_f64 v[25:26], s[14:15], v[1:2], s[12:13]
                                        ; implicit-def: $vgpr27_vgpr28
	v_div_fixup_f64 v[3:4], v[23:24], v[3:4], 1.0
	v_fma_f64 v[23:24], -s[12:13], v[1:2], s[14:15]
	s_delay_alu instid0(VALU_DEP_2) | instskip(NEXT) | instid1(VALU_DEP_2)
	v_mul_f64 v[1:2], v[25:26], v[3:4]
	v_mul_f64 v[3:4], v[23:24], v[3:4]
.LBB254_215:                            ;   in Loop: Header=BB254_4 Depth=1
	s_and_not1_saveexec_b32 s8, s6
	s_cbranch_execz .LBB254_217
; %bb.216:                              ;   in Loop: Header=BB254_4 Depth=1
	v_div_scale_f64 v[1:2], null, v[27:28], v[27:28], s[12:13]
	v_div_scale_f64 v[3:4], null, v[29:30], v[29:30], s[14:15]
	v_div_scale_f64 v[35:36], vcc_lo, s[12:13], v[27:28], s[12:13]
	s_delay_alu instid0(VALU_DEP_3) | instskip(NEXT) | instid1(VALU_DEP_2)
	v_rcp_f64_e32 v[23:24], v[1:2]
	v_rcp_f64_e32 v[25:26], v[3:4]
	s_waitcnt_depctr 0xfff
	v_fma_f64 v[31:32], -v[1:2], v[23:24], 1.0
	v_fma_f64 v[33:34], -v[3:4], v[25:26], 1.0
	s_delay_alu instid0(VALU_DEP_2) | instskip(NEXT) | instid1(VALU_DEP_2)
	v_fma_f64 v[23:24], v[23:24], v[31:32], v[23:24]
	v_fma_f64 v[25:26], v[25:26], v[33:34], v[25:26]
	s_delay_alu instid0(VALU_DEP_2) | instskip(NEXT) | instid1(VALU_DEP_2)
	v_fma_f64 v[31:32], -v[1:2], v[23:24], 1.0
	v_fma_f64 v[33:34], -v[3:4], v[25:26], 1.0
	s_delay_alu instid0(VALU_DEP_2) | instskip(SKIP_1) | instid1(VALU_DEP_3)
	v_fma_f64 v[23:24], v[23:24], v[31:32], v[23:24]
	v_div_scale_f64 v[31:32], s6, s[14:15], v[29:30], s[14:15]
	v_fma_f64 v[25:26], v[25:26], v[33:34], v[25:26]
	s_delay_alu instid0(VALU_DEP_3) | instskip(NEXT) | instid1(VALU_DEP_2)
	v_mul_f64 v[33:34], v[35:36], v[23:24]
	v_mul_f64 v[37:38], v[31:32], v[25:26]
	s_delay_alu instid0(VALU_DEP_2) | instskip(NEXT) | instid1(VALU_DEP_2)
	v_fma_f64 v[1:2], -v[1:2], v[33:34], v[35:36]
	v_fma_f64 v[3:4], -v[3:4], v[37:38], v[31:32]
	s_delay_alu instid0(VALU_DEP_2) | instskip(SKIP_1) | instid1(VALU_DEP_2)
	v_div_fmas_f64 v[1:2], v[1:2], v[23:24], v[33:34]
	s_mov_b32 vcc_lo, s6
	v_div_fmas_f64 v[3:4], v[3:4], v[25:26], v[37:38]
	s_delay_alu instid0(VALU_DEP_2) | instskip(NEXT) | instid1(VALU_DEP_2)
	v_div_fixup_f64 v[1:2], v[1:2], v[27:28], s[12:13]
	v_div_fixup_f64 v[3:4], v[3:4], v[29:30], s[14:15]
.LBB254_217:                            ;   in Loop: Header=BB254_4 Depth=1
	s_or_b32 exec_lo, exec_lo, s8
                                        ; implicit-def: $vgpr23_vgpr24
                                        ; implicit-def: $vgpr25_vgpr26
	s_and_not1_saveexec_b32 s6, s7
	s_cbranch_execnz .LBB254_223
.LBB254_218:                            ;   in Loop: Header=BB254_4 Depth=1
	s_or_b32 exec_lo, exec_lo, s6
	s_and_saveexec_b32 s6, s2
	s_delay_alu instid0(SALU_CYCLE_1)
	s_xor_b32 s2, exec_lo, s6
	s_cbranch_execz .LBB254_224
.LBB254_219:                            ;   in Loop: Header=BB254_4 Depth=1
	v_add_co_u32 v23, s6, s33, v19
	s_delay_alu instid0(VALU_DEP_1)
	v_add_co_ci_u32_e64 v24, null, s94, 0, s6
	global_store_b128 v[23:24], v[5:8], off
	s_or_b32 exec_lo, exec_lo, s2
	s_and_saveexec_b32 s2, s3
	s_cbranch_execnz .LBB254_225
.LBB254_220:                            ;   in Loop: Header=BB254_4 Depth=1
	s_or_b32 exec_lo, exec_lo, s2
	s_and_saveexec_b32 s2, s4
	s_cbranch_execz .LBB254_226
.LBB254_221:                            ;   in Loop: Header=BB254_4 Depth=1
	v_add_co_u32 v5, vcc_lo, s33, v44
	v_add_co_ci_u32_e32 v6, vcc_lo, s94, v42, vcc_lo
	global_store_b128 v[5:6], v[9:12], off offset:-8
	s_or_b32 exec_lo, exec_lo, s2
	s_and_saveexec_b32 s2, s5
	s_cbranch_execz .LBB254_3
	s_branch .LBB254_227
.LBB254_222:                            ;   in Loop: Header=BB254_4 Depth=1
	s_and_not1_saveexec_b32 s6, s7
	s_cbranch_execz .LBB254_218
.LBB254_223:                            ;   in Loop: Header=BB254_4 Depth=1
	v_div_scale_f64 v[1:2], null, v[23:24], v[23:24], v[25:26]
	v_div_scale_f64 v[29:30], vcc_lo, v[25:26], v[23:24], v[25:26]
	s_delay_alu instid0(VALU_DEP_2) | instskip(SKIP_2) | instid1(VALU_DEP_1)
	v_rcp_f64_e32 v[3:4], v[1:2]
	s_waitcnt_depctr 0xfff
	v_fma_f64 v[27:28], -v[1:2], v[3:4], 1.0
	v_fma_f64 v[3:4], v[3:4], v[27:28], v[3:4]
	s_delay_alu instid0(VALU_DEP_1) | instskip(NEXT) | instid1(VALU_DEP_1)
	v_fma_f64 v[27:28], -v[1:2], v[3:4], 1.0
	v_fma_f64 v[3:4], v[3:4], v[27:28], v[3:4]
	s_delay_alu instid0(VALU_DEP_1) | instskip(NEXT) | instid1(VALU_DEP_1)
	v_mul_f64 v[27:28], v[29:30], v[3:4]
	v_fma_f64 v[1:2], -v[1:2], v[27:28], v[29:30]
	s_delay_alu instid0(VALU_DEP_1) | instskip(NEXT) | instid1(VALU_DEP_1)
	v_div_fmas_f64 v[1:2], v[1:2], v[3:4], v[27:28]
	v_div_fixup_f64 v[1:2], v[1:2], v[23:24], v[25:26]
	s_delay_alu instid0(VALU_DEP_1) | instskip(NEXT) | instid1(VALU_DEP_1)
	v_fma_f64 v[3:4], v[25:26], v[1:2], v[23:24]
	v_div_scale_f64 v[23:24], null, v[3:4], v[3:4], 1.0
	v_div_scale_f64 v[29:30], vcc_lo, 1.0, v[3:4], 1.0
	s_delay_alu instid0(VALU_DEP_2) | instskip(SKIP_2) | instid1(VALU_DEP_1)
	v_rcp_f64_e32 v[25:26], v[23:24]
	s_waitcnt_depctr 0xfff
	v_fma_f64 v[27:28], -v[23:24], v[25:26], 1.0
	v_fma_f64 v[25:26], v[25:26], v[27:28], v[25:26]
	s_delay_alu instid0(VALU_DEP_1) | instskip(NEXT) | instid1(VALU_DEP_1)
	v_fma_f64 v[27:28], -v[23:24], v[25:26], 1.0
	v_fma_f64 v[25:26], v[25:26], v[27:28], v[25:26]
	s_delay_alu instid0(VALU_DEP_1) | instskip(NEXT) | instid1(VALU_DEP_1)
	v_mul_f64 v[27:28], v[29:30], v[25:26]
	v_fma_f64 v[23:24], -v[23:24], v[27:28], v[29:30]
	s_delay_alu instid0(VALU_DEP_1) | instskip(SKIP_1) | instid1(VALU_DEP_2)
	v_div_fmas_f64 v[23:24], v[23:24], v[25:26], v[27:28]
	v_fma_f64 v[25:26], s[12:13], v[1:2], s[14:15]
	v_div_fixup_f64 v[3:4], v[23:24], v[3:4], 1.0
	v_fma_f64 v[23:24], s[14:15], v[1:2], -s[12:13]
	s_delay_alu instid0(VALU_DEP_2) | instskip(NEXT) | instid1(VALU_DEP_2)
	v_mul_f64 v[1:2], v[25:26], v[3:4]
	v_mul_f64 v[3:4], v[23:24], v[3:4]
	s_or_b32 exec_lo, exec_lo, s6
	s_and_saveexec_b32 s6, s2
	s_delay_alu instid0(SALU_CYCLE_1)
	s_xor_b32 s2, exec_lo, s6
	s_cbranch_execnz .LBB254_219
.LBB254_224:                            ;   in Loop: Header=BB254_4 Depth=1
	s_or_b32 exec_lo, exec_lo, s2
	s_and_saveexec_b32 s2, s3
	s_cbranch_execz .LBB254_220
.LBB254_225:                            ;   in Loop: Header=BB254_4 Depth=1
	v_add_co_u32 v5, s3, s33, v43
	s_delay_alu instid0(VALU_DEP_1)
	v_add_co_ci_u32_e64 v6, null, s94, 0, s3
	global_store_b128 v[5:6], v[13:16], off
	s_or_b32 exec_lo, exec_lo, s2
	s_and_saveexec_b32 s2, s4
	s_cbranch_execnz .LBB254_221
.LBB254_226:                            ;   in Loop: Header=BB254_4 Depth=1
	s_or_b32 exec_lo, exec_lo, s2
	s_and_saveexec_b32 s2, s5
	s_cbranch_execz .LBB254_3
.LBB254_227:                            ;   in Loop: Header=BB254_4 Depth=1
	v_add_co_u32 v5, vcc_lo, s33, v21
	v_add_co_ci_u32_e32 v6, vcc_lo, s94, v22, vcc_lo
	global_store_b128 v[5:6], v[1:4], off offset:-8
	s_branch .LBB254_3
.LBB254_228:
	s_cbranch_execz .LBB254_230
	s_branch .LBB254_441
.LBB254_229:
.LBB254_230:
	v_dual_mov_b32 v16, 0 :: v_dual_lshlrev_b32 v1, 2, v0
	s_mov_b32 s33, 0
	s_mov_b32 s2, exec_lo
	s_delay_alu instid0(VALU_DEP_1) | instskip(NEXT) | instid1(VALU_DEP_1)
	v_mov_b32_e32 v2, v16
	v_cmpx_gt_i64_e64 s[10:11], v[1:2]
	s_cbranch_execz .LBB254_441
; %bb.231:
	s_load_b32 s0, s[0:1], 0xd4c
	v_lshlrev_b32_e32 v1, 6, v0
	v_mov_b32_e32 v19, v16
	s_mov_b32 s6, 0x54442d18
	s_mov_b32 s22, 0x6dc9c883
	;; [unrolled: 1-line block ×17, first 2 shown]
	s_waitcnt lgkmcnt(0)
	s_and_b32 s0, s0, 0xffff
	s_mov_b32 s58, 0xa17f65f6
	s_lshl_b32 s80, s0, 2
	s_add_u32 s1, s16, s18
	v_add_lshl_u32 v18, v0, s0, 2
	s_addc_u32 s2, s17, s19
	s_lshl_b32 s81, s0, 6
	v_add_co_u32 v20, s0, s1, v1
	s_delay_alu instid0(VALU_DEP_1)
	v_add_co_ci_u32_e64 v21, null, s2, 0, s0
	s_mov_b32 s16, 0xfefa39ef
	s_mov_b32 s18, 0x3b39803f
	;; [unrolled: 1-line block ×44, first 2 shown]
	s_branch .LBB254_233
.LBB254_232:                            ;   in Loop: Header=BB254_233 Depth=1
	s_or_b32 exec_lo, exec_lo, s0
	v_cmp_le_i64_e32 vcc_lo, s[10:11], v[18:19]
	v_cmp_lt_u64_e64 s0, 0xffff, v[18:19]
	s_clause 0x3
	global_store_b128 v[20:21], v[4:7], off
	global_store_b128 v[20:21], v[12:15], off offset:16
	global_store_b128 v[20:21], v[8:11], off offset:32
	global_store_b128 v[20:21], v[0:3], off offset:48
	s_or_b32 s0, vcc_lo, s0
	v_add_co_u32 v18, vcc_lo, v18, s80
	v_add_co_ci_u32_e32 v19, vcc_lo, 0, v19, vcc_lo
	v_add_co_u32 v20, vcc_lo, v20, s81
	v_add_co_ci_u32_e32 v21, vcc_lo, 0, v21, vcc_lo
	s_and_b32 s0, exec_lo, s0
	s_delay_alu instid0(SALU_CYCLE_1) | instskip(NEXT) | instid1(SALU_CYCLE_1)
	s_or_b32 s33, s0, s33
	s_and_not1_b32 exec_lo, exec_lo, s33
	s_cbranch_execz .LBB254_441
.LBB254_233:                            ; =>This Inner Loop Header: Depth=1
	s_clause 0x3
	global_load_b128 v[4:7], v[20:21], off
	global_load_b128 v[12:15], v[20:21], off offset:16
	global_load_b128 v[0:3], v[20:21], off offset:48
	;; [unrolled: 1-line block ×3, first 2 shown]
                                        ; implicit-def: $vgpr24_vgpr25
	s_mov_b32 s0, exec_lo
	s_waitcnt vmcnt(3)
	v_xor_b32_e32 v23, 0x80000000, v7
	v_mov_b32_e32 v22, v6
	s_delay_alu instid0(VALU_DEP_2) | instskip(NEXT) | instid1(VALU_DEP_1)
	v_and_b32_e32 v28, 0x7fffffff, v23
	v_or_b32_e32 v17, v28, v6
	s_delay_alu instid0(VALU_DEP_1)
	v_cmpx_ne_u32_e32 0, v17
	s_xor_b32 s83, exec_lo, s0
	s_cbranch_execz .LBB254_275
; %bb.234:                              ;   in Loop: Header=BB254_233 Depth=1
	v_xor_b32_e32 v27, 0x80000000, v5
	v_mov_b32_e32 v26, v4
                                        ; implicit-def: $vgpr24_vgpr25
	s_mov_b32 s0, exec_lo
	s_delay_alu instid0(VALU_DEP_2) | instskip(NEXT) | instid1(VALU_DEP_1)
	v_and_b32_e32 v17, 0x7fffffff, v27
	v_or_b32_e32 v22, v17, v26
	s_delay_alu instid0(VALU_DEP_1)
	v_cmpx_ne_u32_e32 0, v22
	s_xor_b32 s84, exec_lo, s0
	s_cbranch_execz .LBB254_264
; %bb.235:                              ;   in Loop: Header=BB254_233 Depth=1
                                        ; implicit-def: $vgpr24_vgpr25
	s_mov_b32 s0, exec_lo
	v_cmpx_gt_u32_e32 0x7ff00000, v28
	s_xor_b32 s85, exec_lo, s0
	s_cbranch_execz .LBB254_257
; %bb.236:                              ;   in Loop: Header=BB254_233 Depth=1
	v_add_nc_u32_e32 v17, 0xbf79d1be, v27
                                        ; implicit-def: $vgpr24_vgpr25
	s_mov_b32 s0, exec_lo
	s_delay_alu instid0(VALU_DEP_1)
	v_cmpx_lt_u32_e32 0x108aa2, v17
	s_xor_b32 s86, exec_lo, s0
	s_cbranch_execz .LBB254_246
; %bb.237:                              ;   in Loop: Header=BB254_233 Depth=1
	v_cmp_ngt_f64_e64 s1, 0x41d00000, |v[6:7]|
                                        ; implicit-def: $vgpr22
                                        ; implicit-def: $vgpr24_vgpr25
                                        ; implicit-def: $vgpr26_vgpr27
	s_delay_alu instid0(VALU_DEP_1) | instskip(NEXT) | instid1(SALU_CYCLE_1)
	s_and_saveexec_b32 s0, s1
	s_xor_b32 s2, exec_lo, s0
	s_cbranch_execz .LBB254_239
; %bb.238:                              ;   in Loop: Header=BB254_233 Depth=1
	v_ldexp_f64 v[24:25], |v[6:7]|, 0xffffff80
	v_cmp_le_f64_e64 vcc_lo, 0x7b000000, |v[6:7]|
	v_trig_preop_f64 v[26:27], |v[6:7]|, 0
	v_and_b32_e32 v17, 0x7fffffff, v7
	v_trig_preop_f64 v[28:29], |v[6:7]|, 1
	v_trig_preop_f64 v[38:39], |v[6:7]|, 2
	s_mov_b32 s4, s6
	s_mov_b32 s21, s9
	v_dual_cndmask_b32 v24, v6, v24 :: v_dual_cndmask_b32 v25, v17, v25
	s_delay_alu instid0(VALU_DEP_1) | instskip(NEXT) | instid1(VALU_DEP_4)
	v_mul_f64 v[30:31], v[26:27], v[24:25]
	v_mul_f64 v[32:33], v[28:29], v[24:25]
	s_delay_alu instid0(VALU_DEP_2) | instskip(NEXT) | instid1(VALU_DEP_2)
	v_fma_f64 v[26:27], v[26:27], v[24:25], -v[30:31]
	v_fma_f64 v[28:29], v[28:29], v[24:25], -v[32:33]
	s_delay_alu instid0(VALU_DEP_2) | instskip(NEXT) | instid1(VALU_DEP_1)
	v_add_f64 v[34:35], v[32:33], v[26:27]
	v_add_f64 v[36:37], v[34:35], -v[32:33]
	v_add_f64 v[42:43], v[30:31], v[34:35]
	s_delay_alu instid0(VALU_DEP_2) | instskip(SKIP_1) | instid1(VALU_DEP_3)
	v_add_f64 v[40:41], v[34:35], -v[36:37]
	v_add_f64 v[26:27], v[26:27], -v[36:37]
	v_ldexp_f64 v[36:37], v[42:43], -2
	v_add_f64 v[30:31], v[42:43], -v[30:31]
	s_delay_alu instid0(VALU_DEP_4) | instskip(NEXT) | instid1(VALU_DEP_3)
	v_add_f64 v[32:33], v[32:33], -v[40:41]
	v_cmp_neq_f64_e64 vcc_lo, 0x7ff00000, |v[36:37]|
	s_delay_alu instid0(VALU_DEP_3) | instskip(NEXT) | instid1(VALU_DEP_3)
	v_add_f64 v[30:31], v[34:35], -v[30:31]
	v_add_f64 v[26:27], v[26:27], v[32:33]
	v_fract_f64_e32 v[32:33], v[36:37]
	s_delay_alu instid0(VALU_DEP_1) | instskip(SKIP_1) | instid1(VALU_DEP_3)
	v_cndmask_b32_e32 v32, 0, v32, vcc_lo
	v_mul_f64 v[44:45], v[38:39], v[24:25]
	v_cndmask_b32_e32 v33, 0, v33, vcc_lo
	s_delay_alu instid0(VALU_DEP_1) | instskip(NEXT) | instid1(VALU_DEP_3)
	v_ldexp_f64 v[32:33], v[32:33], 2
	v_add_f64 v[40:41], v[44:45], v[28:29]
	v_fma_f64 v[24:25], v[38:39], v[24:25], -v[44:45]
	s_delay_alu instid0(VALU_DEP_2) | instskip(NEXT) | instid1(VALU_DEP_1)
	v_add_f64 v[34:35], v[40:41], v[26:27]
	v_add_f64 v[36:37], v[30:31], v[34:35]
	v_add_f64 v[46:47], v[34:35], -v[40:41]
	s_delay_alu instid0(VALU_DEP_2) | instskip(NEXT) | instid1(VALU_DEP_2)
	v_add_f64 v[42:43], v[36:37], v[32:33]
	v_add_f64 v[52:53], v[34:35], -v[46:47]
	v_add_f64 v[26:27], v[26:27], -v[46:47]
	v_add_f64 v[30:31], v[36:37], -v[30:31]
	s_delay_alu instid0(VALU_DEP_4) | instskip(SKIP_1) | instid1(VALU_DEP_3)
	v_cmp_gt_f64_e32 vcc_lo, 0, v[42:43]
	v_add_f64 v[42:43], v[40:41], -v[44:45]
	v_add_f64 v[30:31], v[34:35], -v[30:31]
	v_cndmask_b32_e64 v17, 0, 0x40100000, vcc_lo
	s_delay_alu instid0(VALU_DEP_3) | instskip(SKIP_2) | instid1(VALU_DEP_4)
	v_add_f64 v[50:51], v[40:41], -v[42:43]
	v_add_f64 v[28:29], v[28:29], -v[42:43]
	;; [unrolled: 1-line block ×3, first 2 shown]
	v_add_f64 v[32:33], v[32:33], v[16:17]
	s_delay_alu instid0(VALU_DEP_4) | instskip(NEXT) | instid1(VALU_DEP_3)
	v_add_f64 v[42:43], v[44:45], -v[50:51]
	v_add_f64 v[26:27], v[26:27], v[40:41]
	s_delay_alu instid0(VALU_DEP_3) | instskip(NEXT) | instid1(VALU_DEP_3)
	v_add_f64 v[48:49], v[36:37], v[32:33]
	v_add_f64 v[28:29], v[28:29], v[42:43]
	s_delay_alu instid0(VALU_DEP_2) | instskip(NEXT) | instid1(VALU_DEP_2)
	v_cvt_i32_f64_e32 v17, v[48:49]
	v_add_f64 v[26:27], v[28:29], v[26:27]
	s_delay_alu instid0(VALU_DEP_2) | instskip(NEXT) | instid1(VALU_DEP_2)
	v_cvt_f64_i32_e32 v[46:47], v17
	v_add_f64 v[24:25], v[24:25], v[26:27]
	s_delay_alu instid0(VALU_DEP_2) | instskip(NEXT) | instid1(VALU_DEP_2)
	v_add_f64 v[32:33], v[32:33], -v[46:47]
	v_add_f64 v[24:25], v[30:31], v[24:25]
	s_delay_alu instid0(VALU_DEP_2) | instskip(NEXT) | instid1(VALU_DEP_1)
	v_add_f64 v[28:29], v[36:37], v[32:33]
	v_add_f64 v[26:27], v[28:29], -v[32:33]
	v_cmp_le_f64_e32 vcc_lo, 0.5, v[28:29]
	s_delay_alu instid0(VALU_DEP_2) | instskip(SKIP_2) | instid1(VALU_DEP_3)
	v_add_f64 v[26:27], v[36:37], -v[26:27]
	v_add_co_ci_u32_e64 v22, s0, 0, v17, vcc_lo
	v_cndmask_b32_e64 v17, 0, 0x3ff00000, vcc_lo
	v_add_f64 v[24:25], v[24:25], v[26:27]
	s_delay_alu instid0(VALU_DEP_2) | instskip(NEXT) | instid1(VALU_DEP_1)
	v_add_f64 v[26:27], v[28:29], -v[16:17]
	v_add_f64 v[28:29], v[26:27], v[24:25]
	s_delay_alu instid0(VALU_DEP_1) | instskip(SKIP_1) | instid1(VALU_DEP_2)
	v_mul_f64 v[30:31], v[28:29], s[4:5]
	v_add_f64 v[26:27], v[28:29], -v[26:27]
	v_fma_f64 v[32:33], v[28:29], s[4:5], -v[30:31]
	s_delay_alu instid0(VALU_DEP_2) | instskip(NEXT) | instid1(VALU_DEP_2)
	v_add_f64 v[24:25], v[24:25], -v[26:27]
	v_fma_f64 v[26:27], v[28:29], s[20:21], v[32:33]
	s_delay_alu instid0(VALU_DEP_1) | instskip(NEXT) | instid1(VALU_DEP_1)
	v_fma_f64 v[26:27], v[24:25], s[4:5], v[26:27]
	v_add_f64 v[24:25], v[30:31], v[26:27]
	s_delay_alu instid0(VALU_DEP_1) | instskip(NEXT) | instid1(VALU_DEP_1)
	v_add_f64 v[28:29], v[24:25], -v[30:31]
	v_add_f64 v[26:27], v[26:27], -v[28:29]
	s_and_not1_saveexec_b32 s0, s2
	s_cbranch_execz .LBB254_241
	s_branch .LBB254_240
.LBB254_239:                            ;   in Loop: Header=BB254_233 Depth=1
	s_and_not1_saveexec_b32 s0, s2
	s_cbranch_execz .LBB254_241
.LBB254_240:                            ;   in Loop: Header=BB254_233 Depth=1
	v_mul_f64 v[24:25], |v[6:7]|, s[22:23]
	s_mov_b32 s8, s24
	s_delay_alu instid0(VALU_DEP_1) | instskip(NEXT) | instid1(VALU_DEP_1)
	v_rndne_f64_e32 v[28:29], v[24:25]
	v_fma_f64 v[24:25], v[28:29], s[6:7], |v[6:7]|
	v_mul_f64 v[26:27], v[28:29], s[24:25]
	v_cvt_i32_f64_e32 v22, v[28:29]
	s_delay_alu instid0(VALU_DEP_3) | instskip(NEXT) | instid1(VALU_DEP_3)
	v_fma_f64 v[32:33], v[28:29], s[24:25], v[24:25]
	v_add_f64 v[30:31], v[24:25], v[26:27]
	s_delay_alu instid0(VALU_DEP_1) | instskip(NEXT) | instid1(VALU_DEP_3)
	v_add_f64 v[24:25], v[24:25], -v[30:31]
	v_add_f64 v[30:31], v[30:31], -v[32:33]
	s_delay_alu instid0(VALU_DEP_2) | instskip(SKIP_1) | instid1(VALU_DEP_2)
	v_add_f64 v[24:25], v[24:25], v[26:27]
	v_fma_f64 v[26:27], v[28:29], s[8:9], v[26:27]
	v_add_f64 v[24:25], v[30:31], v[24:25]
	s_delay_alu instid0(VALU_DEP_1) | instskip(NEXT) | instid1(VALU_DEP_1)
	v_add_f64 v[24:25], v[24:25], -v[26:27]
	v_fma_f64 v[26:27], v[28:29], s[26:27], v[24:25]
	s_delay_alu instid0(VALU_DEP_1) | instskip(NEXT) | instid1(VALU_DEP_1)
	v_add_f64 v[24:25], v[32:33], v[26:27]
	v_add_f64 v[30:31], v[24:25], -v[32:33]
	s_delay_alu instid0(VALU_DEP_1)
	v_add_f64 v[26:27], v[26:27], -v[30:31]
.LBB254_241:                            ;   in Loop: Header=BB254_233 Depth=1
	s_or_b32 exec_lo, exec_lo, s0
                                        ; implicit-def: $vgpr32
                                        ; implicit-def: $vgpr28_vgpr29
                                        ; implicit-def: $vgpr30_vgpr31
	s_and_saveexec_b32 s0, s1
	s_delay_alu instid0(SALU_CYCLE_1)
	s_xor_b32 s1, exec_lo, s0
	s_cbranch_execz .LBB254_243
; %bb.242:                              ;   in Loop: Header=BB254_233 Depth=1
	v_ldexp_f64 v[28:29], |v[6:7]|, 0xffffff80
	v_cmp_le_f64_e64 vcc_lo, 0x7b000000, |v[6:7]|
	v_trig_preop_f64 v[30:31], |v[6:7]|, 0
	v_and_b32_e32 v17, 0x7fffffff, v7
	v_trig_preop_f64 v[32:33], |v[6:7]|, 1
	v_trig_preop_f64 v[42:43], |v[6:7]|, 2
	s_mov_b32 s4, s6
	s_mov_b32 s21, s9
	v_dual_cndmask_b32 v28, v6, v28 :: v_dual_cndmask_b32 v29, v17, v29
	s_delay_alu instid0(VALU_DEP_1) | instskip(NEXT) | instid1(VALU_DEP_4)
	v_mul_f64 v[34:35], v[30:31], v[28:29]
	v_mul_f64 v[36:37], v[32:33], v[28:29]
	s_delay_alu instid0(VALU_DEP_2) | instskip(NEXT) | instid1(VALU_DEP_2)
	v_fma_f64 v[30:31], v[30:31], v[28:29], -v[34:35]
	v_fma_f64 v[32:33], v[32:33], v[28:29], -v[36:37]
	s_delay_alu instid0(VALU_DEP_2) | instskip(NEXT) | instid1(VALU_DEP_1)
	v_add_f64 v[38:39], v[36:37], v[30:31]
	v_add_f64 v[40:41], v[38:39], -v[36:37]
	v_add_f64 v[46:47], v[34:35], v[38:39]
	s_delay_alu instid0(VALU_DEP_2) | instskip(SKIP_1) | instid1(VALU_DEP_3)
	v_add_f64 v[44:45], v[38:39], -v[40:41]
	v_add_f64 v[30:31], v[30:31], -v[40:41]
	v_ldexp_f64 v[40:41], v[46:47], -2
	v_add_f64 v[34:35], v[46:47], -v[34:35]
	s_delay_alu instid0(VALU_DEP_4) | instskip(NEXT) | instid1(VALU_DEP_3)
	v_add_f64 v[36:37], v[36:37], -v[44:45]
	v_cmp_neq_f64_e64 vcc_lo, 0x7ff00000, |v[40:41]|
	s_delay_alu instid0(VALU_DEP_3) | instskip(NEXT) | instid1(VALU_DEP_3)
	v_add_f64 v[34:35], v[38:39], -v[34:35]
	v_add_f64 v[30:31], v[30:31], v[36:37]
	v_fract_f64_e32 v[36:37], v[40:41]
	s_delay_alu instid0(VALU_DEP_1) | instskip(SKIP_1) | instid1(VALU_DEP_3)
	v_cndmask_b32_e32 v36, 0, v36, vcc_lo
	v_mul_f64 v[48:49], v[42:43], v[28:29]
	v_cndmask_b32_e32 v37, 0, v37, vcc_lo
	s_delay_alu instid0(VALU_DEP_1) | instskip(NEXT) | instid1(VALU_DEP_3)
	v_ldexp_f64 v[36:37], v[36:37], 2
	v_add_f64 v[44:45], v[48:49], v[32:33]
	v_fma_f64 v[28:29], v[42:43], v[28:29], -v[48:49]
	s_delay_alu instid0(VALU_DEP_2) | instskip(NEXT) | instid1(VALU_DEP_1)
	v_add_f64 v[38:39], v[44:45], v[30:31]
	v_add_f64 v[40:41], v[34:35], v[38:39]
	v_add_f64 v[50:51], v[38:39], -v[44:45]
	s_delay_alu instid0(VALU_DEP_2) | instskip(NEXT) | instid1(VALU_DEP_2)
	v_add_f64 v[46:47], v[40:41], v[36:37]
	v_add_f64 v[56:57], v[38:39], -v[50:51]
	v_add_f64 v[30:31], v[30:31], -v[50:51]
	;; [unrolled: 1-line block ×3, first 2 shown]
	s_delay_alu instid0(VALU_DEP_4) | instskip(SKIP_2) | instid1(VALU_DEP_2)
	v_cmp_gt_f64_e32 vcc_lo, 0, v[46:47]
	v_add_f64 v[46:47], v[44:45], -v[48:49]
	v_cndmask_b32_e64 v17, 0, 0x40100000, vcc_lo
	v_add_f64 v[54:55], v[44:45], -v[46:47]
	v_add_f64 v[32:33], v[32:33], -v[46:47]
	v_add_f64 v[44:45], v[44:45], -v[56:57]
	s_delay_alu instid0(VALU_DEP_4) | instskip(NEXT) | instid1(VALU_DEP_4)
	v_add_f64 v[36:37], v[36:37], v[16:17]
	v_add_f64 v[46:47], v[48:49], -v[54:55]
	s_delay_alu instid0(VALU_DEP_3) | instskip(NEXT) | instid1(VALU_DEP_3)
	v_add_f64 v[30:31], v[30:31], v[44:45]
	v_add_f64 v[52:53], v[40:41], v[36:37]
	s_delay_alu instid0(VALU_DEP_3) | instskip(NEXT) | instid1(VALU_DEP_2)
	v_add_f64 v[32:33], v[32:33], v[46:47]
	v_cvt_i32_f64_e32 v17, v[52:53]
	s_delay_alu instid0(VALU_DEP_2) | instskip(SKIP_1) | instid1(VALU_DEP_3)
	v_add_f64 v[30:31], v[32:33], v[30:31]
	v_add_f64 v[32:33], v[38:39], -v[34:35]
	v_cvt_f64_i32_e32 v[50:51], v17
	s_delay_alu instid0(VALU_DEP_3) | instskip(NEXT) | instid1(VALU_DEP_2)
	v_add_f64 v[28:29], v[28:29], v[30:31]
	v_add_f64 v[36:37], v[36:37], -v[50:51]
	s_delay_alu instid0(VALU_DEP_2) | instskip(NEXT) | instid1(VALU_DEP_2)
	v_add_f64 v[28:29], v[32:33], v[28:29]
	v_add_f64 v[42:43], v[40:41], v[36:37]
	s_delay_alu instid0(VALU_DEP_1) | instskip(SKIP_1) | instid1(VALU_DEP_2)
	v_add_f64 v[30:31], v[42:43], -v[36:37]
	v_cmp_le_f64_e32 vcc_lo, 0.5, v[42:43]
	v_add_f64 v[30:31], v[40:41], -v[30:31]
	v_add_co_ci_u32_e64 v32, s0, 0, v17, vcc_lo
	v_cndmask_b32_e64 v17, 0, 0x3ff00000, vcc_lo
	s_delay_alu instid0(VALU_DEP_3) | instskip(NEXT) | instid1(VALU_DEP_2)
	v_add_f64 v[28:29], v[28:29], v[30:31]
	v_add_f64 v[30:31], v[42:43], -v[16:17]
	s_delay_alu instid0(VALU_DEP_1) | instskip(NEXT) | instid1(VALU_DEP_1)
	v_add_f64 v[33:34], v[30:31], v[28:29]
	v_mul_f64 v[35:36], v[33:34], s[4:5]
	v_add_f64 v[30:31], v[33:34], -v[30:31]
	s_delay_alu instid0(VALU_DEP_2) | instskip(NEXT) | instid1(VALU_DEP_2)
	v_fma_f64 v[37:38], v[33:34], s[4:5], -v[35:36]
	v_add_f64 v[28:29], v[28:29], -v[30:31]
	s_delay_alu instid0(VALU_DEP_2) | instskip(NEXT) | instid1(VALU_DEP_1)
	v_fma_f64 v[30:31], v[33:34], s[20:21], v[37:38]
	v_fma_f64 v[30:31], v[28:29], s[4:5], v[30:31]
	s_delay_alu instid0(VALU_DEP_1) | instskip(NEXT) | instid1(VALU_DEP_1)
	v_add_f64 v[28:29], v[35:36], v[30:31]
	v_add_f64 v[33:34], v[28:29], -v[35:36]
	s_delay_alu instid0(VALU_DEP_1)
	v_add_f64 v[30:31], v[30:31], -v[33:34]
	s_and_not1_saveexec_b32 s0, s1
	s_cbranch_execnz .LBB254_244
	s_branch .LBB254_245
.LBB254_243:                            ;   in Loop: Header=BB254_233 Depth=1
	s_and_not1_saveexec_b32 s0, s1
	s_cbranch_execz .LBB254_245
.LBB254_244:                            ;   in Loop: Header=BB254_233 Depth=1
	v_mul_f64 v[28:29], |v[6:7]|, s[22:23]
	s_mov_b32 s8, s24
	s_delay_alu instid0(VALU_DEP_1) | instskip(NEXT) | instid1(VALU_DEP_1)
	v_rndne_f64_e32 v[32:33], v[28:29]
	v_fma_f64 v[28:29], v[32:33], s[6:7], |v[6:7]|
	v_mul_f64 v[30:31], v[32:33], s[24:25]
	s_delay_alu instid0(VALU_DEP_2) | instskip(NEXT) | instid1(VALU_DEP_2)
	v_fma_f64 v[36:37], v[32:33], s[24:25], v[28:29]
	v_add_f64 v[34:35], v[28:29], v[30:31]
	s_delay_alu instid0(VALU_DEP_1) | instskip(NEXT) | instid1(VALU_DEP_3)
	v_add_f64 v[28:29], v[28:29], -v[34:35]
	v_add_f64 v[34:35], v[34:35], -v[36:37]
	s_delay_alu instid0(VALU_DEP_2) | instskip(SKIP_1) | instid1(VALU_DEP_2)
	v_add_f64 v[28:29], v[28:29], v[30:31]
	v_fma_f64 v[30:31], v[32:33], s[8:9], v[30:31]
	v_add_f64 v[28:29], v[34:35], v[28:29]
	s_delay_alu instid0(VALU_DEP_1) | instskip(NEXT) | instid1(VALU_DEP_1)
	v_add_f64 v[28:29], v[28:29], -v[30:31]
	v_fma_f64 v[30:31], v[32:33], s[26:27], v[28:29]
	v_cvt_i32_f64_e32 v32, v[32:33]
	s_delay_alu instid0(VALU_DEP_2) | instskip(NEXT) | instid1(VALU_DEP_1)
	v_add_f64 v[28:29], v[36:37], v[30:31]
	v_add_f64 v[34:35], v[28:29], -v[36:37]
	s_delay_alu instid0(VALU_DEP_1)
	v_add_f64 v[30:31], v[30:31], -v[34:35]
.LBB254_245:                            ;   in Loop: Header=BB254_233 Depth=1
	s_or_b32 exec_lo, exec_lo, s0
	s_mov_b32 s28, s30
	v_mul_f64 v[39:40], v[24:25], v[24:25]
	v_mul_f64 v[33:34], v[4:5], s[28:29]
	;; [unrolled: 1-line block ×3, first 2 shown]
	s_mov_b32 s75, s47
	s_mov_b32 s77, s49
	s_delay_alu instid0(VALU_DEP_4)
	v_mul_f64 v[59:60], v[26:27], 0.5
	v_mul_f64 v[65:66], v[30:31], 0.5
	s_mov_b32 s78, s48
	v_cmp_class_f64_e64 s0, v[6:7], 0x1f8
	v_cmp_ngt_f64_e64 s1, 0xc0900000, v[4:5]
	v_cmp_nlt_f64_e64 s2, 0x4090cc00, v[4:5]
	v_and_b32_e32 v6, 1, v32
	s_delay_alu instid0(VALU_DEP_1)
	v_cmp_eq_u32_e64 s3, 0, v6
	v_fma_f64 v[43:44], v[39:40], s[66:67], s[64:65]
	v_rndne_f64_e32 v[33:34], v[33:34]
	v_fma_f64 v[45:46], v[41:42], s[66:67], s[64:65]
	v_fma_f64 v[47:48], v[39:40], s[56:57], s[54:55]
	v_mul_f64 v[49:50], v[39:40], 0.5
	v_fma_f64 v[51:52], v[41:42], s[56:57], s[54:55]
	v_mul_f64 v[53:54], v[41:42], 0.5
	v_mul_f64 v[61:62], v[24:25], -v[39:40]
	v_mul_f64 v[67:68], v[28:29], -v[41:42]
	v_fma_f64 v[43:44], v[39:40], v[43:44], s[68:69]
	v_fma_f64 v[35:36], v[33:34], s[16:17], -v[4:5]
	v_fma_f64 v[45:46], v[41:42], v[45:46], s[68:69]
	v_fma_f64 v[47:48], v[39:40], v[47:48], s[58:59]
	v_add_f64 v[55:56], -v[49:50], 1.0
	v_fma_f64 v[51:52], v[41:42], v[51:52], s[58:59]
	v_add_f64 v[57:58], -v[53:54], 1.0
	v_cvt_i32_f64_e32 v17, v[33:34]
	v_lshlrev_b32_e32 v5, 30, v22
	v_lshlrev_b32_e32 v4, 30, v32
	s_delay_alu instid0(VALU_DEP_1)
	v_xor_b32_e32 v4, v4, v23
	v_fma_f64 v[43:44], v[39:40], v[43:44], s[70:71]
	v_fma_f64 v[35:36], v[33:34], s[18:19], v[35:36]
	;; [unrolled: 1-line block ×4, first 2 shown]
	v_add_f64 v[63:64], -v[55:56], 1.0
	v_fma_f64 v[51:52], v[41:42], v[51:52], s[60:61]
	v_add_f64 v[69:70], -v[57:58], 1.0
	v_fma_f64 v[43:44], v[39:40], v[43:44], s[46:47]
	v_fma_f64 v[37:38], v[35:36], s[36:37], s[34:35]
	;; [unrolled: 1-line block ×4, first 2 shown]
	v_add_f64 v[49:50], v[63:64], -v[49:50]
	v_fma_f64 v[51:52], v[41:42], v[51:52], s[62:63]
	v_add_f64 v[53:54], v[69:70], -v[53:54]
	v_fma_f64 v[43:44], v[61:62], v[43:44], v[59:60]
	v_fma_f64 v[37:38], v[35:36], v[37:38], s[38:39]
	;; [unrolled: 1-line block ×3, first 2 shown]
	v_mul_f64 v[59:60], v[39:40], v[39:40]
	v_fma_f64 v[47:48], v[39:40], v[47:48], s[48:49]
	v_fma_f64 v[49:50], v[24:25], -v[26:27], v[49:50]
	v_fma_f64 v[26:27], v[39:40], v[43:44], -v[26:27]
	v_fma_f64 v[37:38], v[35:36], v[37:38], s[40:41]
	v_mul_f64 v[39:40], v[41:42], v[41:42]
	v_fma_f64 v[43:44], v[41:42], v[51:52], s[48:49]
	v_fma_f64 v[51:52], v[28:29], -v[30:31], v[53:54]
	v_fma_f64 v[30:31], v[41:42], v[45:46], -v[30:31]
	v_fma_f64 v[41:42], v[59:60], v[47:48], v[49:50]
	v_fma_f64 v[26:27], v[61:62], s[78:79], v[26:27]
	;; [unrolled: 1-line block ×3, first 2 shown]
	s_delay_alu instid0(VALU_DEP_4) | instskip(NEXT) | instid1(VALU_DEP_3)
	v_fma_f64 v[30:31], v[67:68], s[78:79], v[30:31]
	v_add_f64 v[24:25], v[24:25], -v[26:27]
	s_delay_alu instid0(VALU_DEP_3) | instskip(NEXT) | instid1(VALU_DEP_3)
	v_fma_f64 v[37:38], v[35:36], v[37:38], s[44:45]
	v_add_f64 v[28:29], v[28:29], -v[30:31]
	s_delay_alu instid0(VALU_DEP_2) | instskip(NEXT) | instid1(VALU_DEP_1)
	v_fma_f64 v[37:38], v[35:36], v[37:38], s[74:75]
	v_fma_f64 v[37:38], v[35:36], v[37:38], s[76:77]
	s_delay_alu instid0(VALU_DEP_1) | instskip(NEXT) | instid1(VALU_DEP_1)
	v_fma_f64 v[37:38], v[35:36], v[37:38], s[50:51]
	v_fma_f64 v[37:38], v[35:36], v[37:38], s[52:53]
	s_delay_alu instid0(VALU_DEP_1) | instskip(NEXT) | instid1(VALU_DEP_1)
	v_fma_f64 v[37:38], v[35:36], v[37:38], 1.0
	v_fma_f64 v[33:34], v[35:36], v[37:38], 1.0
	v_fma_f64 v[35:36], v[39:40], v[43:44], v[51:52]
	v_add_f64 v[37:38], v[55:56], v[41:42]
	s_delay_alu instid0(VALU_DEP_3) | instskip(NEXT) | instid1(VALU_DEP_3)
	v_ldexp_f64 v[26:27], v[33:34], v17
	v_add_f64 v[33:34], v[57:58], v[35:36]
	v_and_b32_e32 v17, 1, v22
	v_xor_b32_e32 v22, 0x80000000, v25
	s_delay_alu instid0(VALU_DEP_2) | instskip(NEXT) | instid1(VALU_DEP_2)
	v_cmp_eq_u32_e32 vcc_lo, 0, v17
	v_dual_cndmask_b32 v6, v22, v38 :: v_dual_and_b32 v5, 0x80000000, v5
	v_cndmask_b32_e32 v17, v24, v37, vcc_lo
	s_and_b32 vcc_lo, s2, s1
	v_and_b32_e32 v22, 0x80000000, v4
	s_delay_alu instid0(VALU_DEP_3) | instskip(NEXT) | instid1(VALU_DEP_3)
	v_xor_b32_e32 v5, v6, v5
	v_cndmask_b32_e64 v4, 0, v17, s0
	s_delay_alu instid0(VALU_DEP_2) | instskip(SKIP_3) | instid1(VALU_DEP_2)
	v_cndmask_b32_e64 v5, 0x7ff80000, v5, s0
	v_cndmask_b32_e64 v7, 0x7ff00000, v27, s1
	;; [unrolled: 1-line block ×4, first 2 shown]
	v_xor_b32_e32 v17, v24, v22
	s_delay_alu instid0(VALU_DEP_2) | instskip(SKIP_2) | instid1(VALU_DEP_4)
	v_cndmask_b32_e64 v6, 0, v23, s0
	v_cndmask_b32_e64 v23, 0, v7, s2
	v_cndmask_b32_e32 v22, 0, v26, vcc_lo
	v_cndmask_b32_e64 v7, 0x7ff80000, v17, s0
	s_delay_alu instid0(VALU_DEP_2) | instskip(NEXT) | instid1(VALU_DEP_2)
	v_mul_f64 v[24:25], v[22:23], v[4:5]
	v_mul_f64 v[22:23], v[22:23], v[6:7]
                                        ; implicit-def: $vgpr6_vgpr7
.LBB254_246:                            ;   in Loop: Header=BB254_233 Depth=1
	s_and_not1_saveexec_b32 s28, s86
	s_cbranch_execz .LBB254_249
; %bb.247:                              ;   in Loop: Header=BB254_233 Depth=1
	v_cmp_ngt_f64_e64 s1, 0x41d00000, |v[6:7]|
                                        ; implicit-def: $vgpr22
                                        ; implicit-def: $vgpr24_vgpr25
                                        ; implicit-def: $vgpr26_vgpr27
	s_delay_alu instid0(VALU_DEP_1) | instskip(NEXT) | instid1(SALU_CYCLE_1)
	s_and_saveexec_b32 s0, s1
	s_xor_b32 s2, exec_lo, s0
	s_cbranch_execz .LBB254_250
; %bb.248:                              ;   in Loop: Header=BB254_233 Depth=1
	v_ldexp_f64 v[24:25], |v[6:7]|, 0xffffff80
	v_cmp_le_f64_e64 vcc_lo, 0x7b000000, |v[6:7]|
	v_trig_preop_f64 v[26:27], |v[6:7]|, 0
	v_and_b32_e32 v17, 0x7fffffff, v7
	v_trig_preop_f64 v[28:29], |v[6:7]|, 1
	v_trig_preop_f64 v[38:39], |v[6:7]|, 2
	s_mov_b32 s4, s6
	s_mov_b32 s21, s9
	v_dual_cndmask_b32 v24, v6, v24 :: v_dual_cndmask_b32 v25, v17, v25
	s_delay_alu instid0(VALU_DEP_1) | instskip(NEXT) | instid1(VALU_DEP_4)
	v_mul_f64 v[30:31], v[26:27], v[24:25]
	v_mul_f64 v[32:33], v[28:29], v[24:25]
	s_delay_alu instid0(VALU_DEP_2) | instskip(NEXT) | instid1(VALU_DEP_2)
	v_fma_f64 v[26:27], v[26:27], v[24:25], -v[30:31]
	v_fma_f64 v[28:29], v[28:29], v[24:25], -v[32:33]
	s_delay_alu instid0(VALU_DEP_2) | instskip(NEXT) | instid1(VALU_DEP_1)
	v_add_f64 v[34:35], v[32:33], v[26:27]
	v_add_f64 v[36:37], v[34:35], -v[32:33]
	v_add_f64 v[42:43], v[30:31], v[34:35]
	s_delay_alu instid0(VALU_DEP_2) | instskip(SKIP_1) | instid1(VALU_DEP_3)
	v_add_f64 v[40:41], v[34:35], -v[36:37]
	v_add_f64 v[26:27], v[26:27], -v[36:37]
	v_ldexp_f64 v[36:37], v[42:43], -2
	v_add_f64 v[30:31], v[42:43], -v[30:31]
	s_delay_alu instid0(VALU_DEP_4) | instskip(NEXT) | instid1(VALU_DEP_3)
	v_add_f64 v[32:33], v[32:33], -v[40:41]
	v_cmp_neq_f64_e64 vcc_lo, 0x7ff00000, |v[36:37]|
	s_delay_alu instid0(VALU_DEP_3) | instskip(NEXT) | instid1(VALU_DEP_3)
	v_add_f64 v[30:31], v[34:35], -v[30:31]
	v_add_f64 v[26:27], v[26:27], v[32:33]
	v_fract_f64_e32 v[32:33], v[36:37]
	s_delay_alu instid0(VALU_DEP_1) | instskip(SKIP_1) | instid1(VALU_DEP_3)
	v_cndmask_b32_e32 v32, 0, v32, vcc_lo
	v_mul_f64 v[44:45], v[38:39], v[24:25]
	v_cndmask_b32_e32 v33, 0, v33, vcc_lo
	s_delay_alu instid0(VALU_DEP_1) | instskip(NEXT) | instid1(VALU_DEP_3)
	v_ldexp_f64 v[32:33], v[32:33], 2
	v_add_f64 v[40:41], v[44:45], v[28:29]
	v_fma_f64 v[24:25], v[38:39], v[24:25], -v[44:45]
	s_delay_alu instid0(VALU_DEP_2) | instskip(NEXT) | instid1(VALU_DEP_1)
	v_add_f64 v[34:35], v[40:41], v[26:27]
	v_add_f64 v[36:37], v[30:31], v[34:35]
	v_add_f64 v[46:47], v[34:35], -v[40:41]
	s_delay_alu instid0(VALU_DEP_2) | instskip(NEXT) | instid1(VALU_DEP_2)
	v_add_f64 v[42:43], v[36:37], v[32:33]
	v_add_f64 v[52:53], v[34:35], -v[46:47]
	v_add_f64 v[26:27], v[26:27], -v[46:47]
	;; [unrolled: 1-line block ×3, first 2 shown]
	s_delay_alu instid0(VALU_DEP_4) | instskip(SKIP_1) | instid1(VALU_DEP_3)
	v_cmp_gt_f64_e32 vcc_lo, 0, v[42:43]
	v_add_f64 v[42:43], v[40:41], -v[44:45]
	v_add_f64 v[30:31], v[34:35], -v[30:31]
	v_cndmask_b32_e64 v17, 0, 0x40100000, vcc_lo
	s_delay_alu instid0(VALU_DEP_3) | instskip(SKIP_2) | instid1(VALU_DEP_4)
	v_add_f64 v[50:51], v[40:41], -v[42:43]
	v_add_f64 v[28:29], v[28:29], -v[42:43]
	;; [unrolled: 1-line block ×3, first 2 shown]
	v_add_f64 v[32:33], v[32:33], v[16:17]
	s_delay_alu instid0(VALU_DEP_4) | instskip(NEXT) | instid1(VALU_DEP_3)
	v_add_f64 v[42:43], v[44:45], -v[50:51]
	v_add_f64 v[26:27], v[26:27], v[40:41]
	s_delay_alu instid0(VALU_DEP_3) | instskip(NEXT) | instid1(VALU_DEP_3)
	v_add_f64 v[48:49], v[36:37], v[32:33]
	v_add_f64 v[28:29], v[28:29], v[42:43]
	s_delay_alu instid0(VALU_DEP_2) | instskip(NEXT) | instid1(VALU_DEP_2)
	v_cvt_i32_f64_e32 v17, v[48:49]
	v_add_f64 v[26:27], v[28:29], v[26:27]
	s_delay_alu instid0(VALU_DEP_2) | instskip(NEXT) | instid1(VALU_DEP_2)
	v_cvt_f64_i32_e32 v[46:47], v17
	v_add_f64 v[24:25], v[24:25], v[26:27]
	s_delay_alu instid0(VALU_DEP_2) | instskip(NEXT) | instid1(VALU_DEP_2)
	v_add_f64 v[32:33], v[32:33], -v[46:47]
	v_add_f64 v[24:25], v[30:31], v[24:25]
	s_delay_alu instid0(VALU_DEP_2) | instskip(NEXT) | instid1(VALU_DEP_1)
	v_add_f64 v[28:29], v[36:37], v[32:33]
	v_add_f64 v[26:27], v[28:29], -v[32:33]
	v_cmp_le_f64_e32 vcc_lo, 0.5, v[28:29]
	s_delay_alu instid0(VALU_DEP_2) | instskip(SKIP_2) | instid1(VALU_DEP_3)
	v_add_f64 v[26:27], v[36:37], -v[26:27]
	v_add_co_ci_u32_e64 v22, s0, 0, v17, vcc_lo
	v_cndmask_b32_e64 v17, 0, 0x3ff00000, vcc_lo
	v_add_f64 v[24:25], v[24:25], v[26:27]
	s_delay_alu instid0(VALU_DEP_2) | instskip(NEXT) | instid1(VALU_DEP_1)
	v_add_f64 v[26:27], v[28:29], -v[16:17]
	v_add_f64 v[28:29], v[26:27], v[24:25]
	s_delay_alu instid0(VALU_DEP_1) | instskip(SKIP_1) | instid1(VALU_DEP_2)
	v_mul_f64 v[30:31], v[28:29], s[4:5]
	v_add_f64 v[26:27], v[28:29], -v[26:27]
	v_fma_f64 v[32:33], v[28:29], s[4:5], -v[30:31]
	s_delay_alu instid0(VALU_DEP_2) | instskip(NEXT) | instid1(VALU_DEP_2)
	v_add_f64 v[24:25], v[24:25], -v[26:27]
	v_fma_f64 v[26:27], v[28:29], s[20:21], v[32:33]
	s_delay_alu instid0(VALU_DEP_1) | instskip(NEXT) | instid1(VALU_DEP_1)
	v_fma_f64 v[26:27], v[24:25], s[4:5], v[26:27]
	v_add_f64 v[24:25], v[30:31], v[26:27]
	s_delay_alu instid0(VALU_DEP_1) | instskip(NEXT) | instid1(VALU_DEP_1)
	v_add_f64 v[28:29], v[24:25], -v[30:31]
	v_add_f64 v[26:27], v[26:27], -v[28:29]
	s_and_not1_saveexec_b32 s0, s2
	s_cbranch_execz .LBB254_252
	s_branch .LBB254_251
.LBB254_249:                            ;   in Loop: Header=BB254_233 Depth=1
	s_or_b32 exec_lo, exec_lo, s28
                                        ; implicit-def: $vgpr26_vgpr27
                                        ; implicit-def: $vgpr4_vgpr5
                                        ; implicit-def: $vgpr17
	s_and_not1_saveexec_b32 s1, s85
	s_cbranch_execnz .LBB254_258
	s_branch .LBB254_263
.LBB254_250:                            ;   in Loop: Header=BB254_233 Depth=1
	s_and_not1_saveexec_b32 s0, s2
	s_cbranch_execz .LBB254_252
.LBB254_251:                            ;   in Loop: Header=BB254_233 Depth=1
	v_mul_f64 v[24:25], |v[6:7]|, s[22:23]
	s_mov_b32 s8, s24
	s_delay_alu instid0(VALU_DEP_1) | instskip(NEXT) | instid1(VALU_DEP_1)
	v_rndne_f64_e32 v[28:29], v[24:25]
	v_fma_f64 v[24:25], v[28:29], s[6:7], |v[6:7]|
	v_mul_f64 v[26:27], v[28:29], s[24:25]
	v_cvt_i32_f64_e32 v22, v[28:29]
	s_delay_alu instid0(VALU_DEP_3) | instskip(NEXT) | instid1(VALU_DEP_3)
	v_fma_f64 v[32:33], v[28:29], s[24:25], v[24:25]
	v_add_f64 v[30:31], v[24:25], v[26:27]
	s_delay_alu instid0(VALU_DEP_1) | instskip(NEXT) | instid1(VALU_DEP_3)
	v_add_f64 v[24:25], v[24:25], -v[30:31]
	v_add_f64 v[30:31], v[30:31], -v[32:33]
	s_delay_alu instid0(VALU_DEP_2) | instskip(SKIP_1) | instid1(VALU_DEP_2)
	v_add_f64 v[24:25], v[24:25], v[26:27]
	v_fma_f64 v[26:27], v[28:29], s[8:9], v[26:27]
	v_add_f64 v[24:25], v[30:31], v[24:25]
	s_delay_alu instid0(VALU_DEP_1) | instskip(NEXT) | instid1(VALU_DEP_1)
	v_add_f64 v[24:25], v[24:25], -v[26:27]
	v_fma_f64 v[26:27], v[28:29], s[26:27], v[24:25]
	s_delay_alu instid0(VALU_DEP_1) | instskip(NEXT) | instid1(VALU_DEP_1)
	v_add_f64 v[24:25], v[32:33], v[26:27]
	v_add_f64 v[30:31], v[24:25], -v[32:33]
	s_delay_alu instid0(VALU_DEP_1)
	v_add_f64 v[26:27], v[26:27], -v[30:31]
.LBB254_252:                            ;   in Loop: Header=BB254_233 Depth=1
	s_or_b32 exec_lo, exec_lo, s0
                                        ; implicit-def: $vgpr32
                                        ; implicit-def: $vgpr28_vgpr29
                                        ; implicit-def: $vgpr30_vgpr31
	s_and_saveexec_b32 s0, s1
	s_delay_alu instid0(SALU_CYCLE_1)
	s_xor_b32 s1, exec_lo, s0
	s_cbranch_execz .LBB254_254
; %bb.253:                              ;   in Loop: Header=BB254_233 Depth=1
	v_ldexp_f64 v[28:29], |v[6:7]|, 0xffffff80
	v_cmp_le_f64_e64 vcc_lo, 0x7b000000, |v[6:7]|
	v_trig_preop_f64 v[30:31], |v[6:7]|, 0
	v_and_b32_e32 v17, 0x7fffffff, v7
	v_trig_preop_f64 v[32:33], |v[6:7]|, 1
	v_trig_preop_f64 v[42:43], |v[6:7]|, 2
	s_mov_b32 s4, s6
	s_mov_b32 s21, s9
	v_dual_cndmask_b32 v28, v6, v28 :: v_dual_cndmask_b32 v29, v17, v29
	s_delay_alu instid0(VALU_DEP_1) | instskip(NEXT) | instid1(VALU_DEP_4)
	v_mul_f64 v[34:35], v[30:31], v[28:29]
	v_mul_f64 v[36:37], v[32:33], v[28:29]
	s_delay_alu instid0(VALU_DEP_2) | instskip(NEXT) | instid1(VALU_DEP_2)
	v_fma_f64 v[30:31], v[30:31], v[28:29], -v[34:35]
	v_fma_f64 v[32:33], v[32:33], v[28:29], -v[36:37]
	s_delay_alu instid0(VALU_DEP_2) | instskip(NEXT) | instid1(VALU_DEP_1)
	v_add_f64 v[38:39], v[36:37], v[30:31]
	v_add_f64 v[40:41], v[38:39], -v[36:37]
	v_add_f64 v[46:47], v[34:35], v[38:39]
	s_delay_alu instid0(VALU_DEP_2) | instskip(SKIP_1) | instid1(VALU_DEP_3)
	v_add_f64 v[44:45], v[38:39], -v[40:41]
	v_add_f64 v[30:31], v[30:31], -v[40:41]
	v_ldexp_f64 v[40:41], v[46:47], -2
	v_add_f64 v[34:35], v[46:47], -v[34:35]
	s_delay_alu instid0(VALU_DEP_4) | instskip(NEXT) | instid1(VALU_DEP_3)
	v_add_f64 v[36:37], v[36:37], -v[44:45]
	v_cmp_neq_f64_e64 vcc_lo, 0x7ff00000, |v[40:41]|
	s_delay_alu instid0(VALU_DEP_3) | instskip(NEXT) | instid1(VALU_DEP_3)
	v_add_f64 v[34:35], v[38:39], -v[34:35]
	v_add_f64 v[30:31], v[30:31], v[36:37]
	v_fract_f64_e32 v[36:37], v[40:41]
	s_delay_alu instid0(VALU_DEP_1) | instskip(SKIP_1) | instid1(VALU_DEP_3)
	v_cndmask_b32_e32 v36, 0, v36, vcc_lo
	v_mul_f64 v[48:49], v[42:43], v[28:29]
	v_cndmask_b32_e32 v37, 0, v37, vcc_lo
	s_delay_alu instid0(VALU_DEP_1) | instskip(NEXT) | instid1(VALU_DEP_3)
	v_ldexp_f64 v[36:37], v[36:37], 2
	v_add_f64 v[44:45], v[48:49], v[32:33]
	v_fma_f64 v[28:29], v[42:43], v[28:29], -v[48:49]
	s_delay_alu instid0(VALU_DEP_2) | instskip(NEXT) | instid1(VALU_DEP_1)
	v_add_f64 v[38:39], v[44:45], v[30:31]
	v_add_f64 v[40:41], v[34:35], v[38:39]
	v_add_f64 v[50:51], v[38:39], -v[44:45]
	s_delay_alu instid0(VALU_DEP_2) | instskip(NEXT) | instid1(VALU_DEP_2)
	v_add_f64 v[46:47], v[40:41], v[36:37]
	v_add_f64 v[56:57], v[38:39], -v[50:51]
	v_add_f64 v[30:31], v[30:31], -v[50:51]
	;; [unrolled: 1-line block ×3, first 2 shown]
	s_delay_alu instid0(VALU_DEP_4) | instskip(SKIP_2) | instid1(VALU_DEP_2)
	v_cmp_gt_f64_e32 vcc_lo, 0, v[46:47]
	v_add_f64 v[46:47], v[44:45], -v[48:49]
	v_cndmask_b32_e64 v17, 0, 0x40100000, vcc_lo
	v_add_f64 v[54:55], v[44:45], -v[46:47]
	v_add_f64 v[32:33], v[32:33], -v[46:47]
	;; [unrolled: 1-line block ×3, first 2 shown]
	s_delay_alu instid0(VALU_DEP_4) | instskip(NEXT) | instid1(VALU_DEP_4)
	v_add_f64 v[36:37], v[36:37], v[16:17]
	v_add_f64 v[46:47], v[48:49], -v[54:55]
	s_delay_alu instid0(VALU_DEP_3) | instskip(NEXT) | instid1(VALU_DEP_3)
	v_add_f64 v[30:31], v[30:31], v[44:45]
	v_add_f64 v[52:53], v[40:41], v[36:37]
	s_delay_alu instid0(VALU_DEP_3) | instskip(NEXT) | instid1(VALU_DEP_2)
	v_add_f64 v[32:33], v[32:33], v[46:47]
	v_cvt_i32_f64_e32 v17, v[52:53]
	s_delay_alu instid0(VALU_DEP_2) | instskip(SKIP_1) | instid1(VALU_DEP_3)
	v_add_f64 v[30:31], v[32:33], v[30:31]
	v_add_f64 v[32:33], v[38:39], -v[34:35]
	v_cvt_f64_i32_e32 v[50:51], v17
	s_delay_alu instid0(VALU_DEP_3) | instskip(NEXT) | instid1(VALU_DEP_2)
	v_add_f64 v[28:29], v[28:29], v[30:31]
	v_add_f64 v[36:37], v[36:37], -v[50:51]
	s_delay_alu instid0(VALU_DEP_2) | instskip(NEXT) | instid1(VALU_DEP_2)
	v_add_f64 v[28:29], v[32:33], v[28:29]
	v_add_f64 v[42:43], v[40:41], v[36:37]
	s_delay_alu instid0(VALU_DEP_1) | instskip(SKIP_1) | instid1(VALU_DEP_2)
	v_add_f64 v[30:31], v[42:43], -v[36:37]
	v_cmp_le_f64_e32 vcc_lo, 0.5, v[42:43]
	v_add_f64 v[30:31], v[40:41], -v[30:31]
	v_add_co_ci_u32_e64 v32, s0, 0, v17, vcc_lo
	v_cndmask_b32_e64 v17, 0, 0x3ff00000, vcc_lo
	s_delay_alu instid0(VALU_DEP_3) | instskip(NEXT) | instid1(VALU_DEP_2)
	v_add_f64 v[28:29], v[28:29], v[30:31]
	v_add_f64 v[30:31], v[42:43], -v[16:17]
	s_delay_alu instid0(VALU_DEP_1) | instskip(NEXT) | instid1(VALU_DEP_1)
	v_add_f64 v[33:34], v[30:31], v[28:29]
	v_mul_f64 v[35:36], v[33:34], s[4:5]
	v_add_f64 v[30:31], v[33:34], -v[30:31]
	s_delay_alu instid0(VALU_DEP_2) | instskip(NEXT) | instid1(VALU_DEP_2)
	v_fma_f64 v[37:38], v[33:34], s[4:5], -v[35:36]
	v_add_f64 v[28:29], v[28:29], -v[30:31]
	s_delay_alu instid0(VALU_DEP_2) | instskip(NEXT) | instid1(VALU_DEP_1)
	v_fma_f64 v[30:31], v[33:34], s[20:21], v[37:38]
	v_fma_f64 v[30:31], v[28:29], s[4:5], v[30:31]
	s_delay_alu instid0(VALU_DEP_1) | instskip(NEXT) | instid1(VALU_DEP_1)
	v_add_f64 v[28:29], v[35:36], v[30:31]
	v_add_f64 v[33:34], v[28:29], -v[35:36]
	s_delay_alu instid0(VALU_DEP_1)
	v_add_f64 v[30:31], v[30:31], -v[33:34]
	s_and_not1_saveexec_b32 s0, s1
	s_cbranch_execnz .LBB254_255
	s_branch .LBB254_256
.LBB254_254:                            ;   in Loop: Header=BB254_233 Depth=1
	s_and_not1_saveexec_b32 s0, s1
	s_cbranch_execz .LBB254_256
.LBB254_255:                            ;   in Loop: Header=BB254_233 Depth=1
	v_mul_f64 v[28:29], |v[6:7]|, s[22:23]
	s_mov_b32 s8, s24
	s_delay_alu instid0(VALU_DEP_1) | instskip(NEXT) | instid1(VALU_DEP_1)
	v_rndne_f64_e32 v[32:33], v[28:29]
	v_fma_f64 v[28:29], v[32:33], s[6:7], |v[6:7]|
	v_mul_f64 v[30:31], v[32:33], s[24:25]
	s_delay_alu instid0(VALU_DEP_2) | instskip(NEXT) | instid1(VALU_DEP_2)
	v_fma_f64 v[36:37], v[32:33], s[24:25], v[28:29]
	v_add_f64 v[34:35], v[28:29], v[30:31]
	s_delay_alu instid0(VALU_DEP_1) | instskip(NEXT) | instid1(VALU_DEP_3)
	v_add_f64 v[28:29], v[28:29], -v[34:35]
	v_add_f64 v[34:35], v[34:35], -v[36:37]
	s_delay_alu instid0(VALU_DEP_2) | instskip(SKIP_1) | instid1(VALU_DEP_2)
	v_add_f64 v[28:29], v[28:29], v[30:31]
	v_fma_f64 v[30:31], v[32:33], s[8:9], v[30:31]
	v_add_f64 v[28:29], v[34:35], v[28:29]
	s_delay_alu instid0(VALU_DEP_1) | instskip(NEXT) | instid1(VALU_DEP_1)
	v_add_f64 v[28:29], v[28:29], -v[30:31]
	v_fma_f64 v[30:31], v[32:33], s[26:27], v[28:29]
	v_cvt_i32_f64_e32 v32, v[32:33]
	s_delay_alu instid0(VALU_DEP_2) | instskip(NEXT) | instid1(VALU_DEP_1)
	v_add_f64 v[28:29], v[36:37], v[30:31]
	v_add_f64 v[34:35], v[28:29], -v[36:37]
	s_delay_alu instid0(VALU_DEP_1)
	v_add_f64 v[30:31], v[30:31], -v[34:35]
.LBB254_256:                            ;   in Loop: Header=BB254_233 Depth=1
	s_or_b32 exec_lo, exec_lo, s0
	v_add_f64 v[4:5], -v[4:5], s[72:73]
	s_delay_alu instid0(VALU_DEP_4) | instskip(SKIP_3) | instid1(VALU_DEP_4)
	v_mul_f64 v[39:40], v[24:25], v[24:25]
	v_mul_f64 v[41:42], v[28:29], v[28:29]
	s_mov_b32 s75, s47
	s_mov_b32 s77, s49
	v_mul_f64 v[59:60], v[26:27], 0.5
	v_mul_f64 v[65:66], v[30:31], 0.5
	s_mov_b32 s78, s48
	v_cmp_class_f64_e64 s0, v[6:7], 0x1f8
	v_mul_f64 v[33:34], v[4:5], s[30:31]
	v_fma_f64 v[43:44], v[39:40], s[66:67], s[64:65]
	v_fma_f64 v[45:46], v[41:42], s[66:67], s[64:65]
	;; [unrolled: 1-line block ×3, first 2 shown]
	v_mul_f64 v[49:50], v[39:40], 0.5
	v_fma_f64 v[51:52], v[41:42], s[56:57], s[54:55]
	v_mul_f64 v[53:54], v[41:42], 0.5
	v_mul_f64 v[61:62], v[24:25], -v[39:40]
	v_mul_f64 v[67:68], v[28:29], -v[41:42]
	v_cmp_nlt_f64_e64 s1, 0x40900000, v[4:5]
	v_cmp_ngt_f64_e64 s2, 0xc090cc00, v[4:5]
	v_rndne_f64_e32 v[33:34], v[33:34]
	v_fma_f64 v[43:44], v[39:40], v[43:44], s[68:69]
	v_fma_f64 v[45:46], v[41:42], v[45:46], s[68:69]
	;; [unrolled: 1-line block ×3, first 2 shown]
	v_add_f64 v[55:56], -v[49:50], 1.0
	v_fma_f64 v[51:52], v[41:42], v[51:52], s[58:59]
	v_add_f64 v[57:58], -v[53:54], 1.0
	v_fma_f64 v[35:36], v[33:34], s[16:17], v[4:5]
	v_fma_f64 v[43:44], v[39:40], v[43:44], s[70:71]
	;; [unrolled: 1-line block ×4, first 2 shown]
	v_add_f64 v[63:64], -v[55:56], 1.0
	v_fma_f64 v[51:52], v[41:42], v[51:52], s[60:61]
	v_add_f64 v[69:70], -v[57:58], 1.0
	v_cvt_i32_f64_e32 v17, v[33:34]
	v_lshlrev_b32_e32 v5, 30, v22
	v_lshlrev_b32_e32 v4, 30, v32
	s_delay_alu instid0(VALU_DEP_2) | instskip(NEXT) | instid1(VALU_DEP_2)
	v_and_b32_e32 v5, 0x80000000, v5
	v_xor_b32_e32 v4, v4, v23
	v_fma_f64 v[35:36], v[33:34], s[18:19], v[35:36]
	v_fma_f64 v[43:44], v[39:40], v[43:44], s[46:47]
	;; [unrolled: 1-line block ×4, first 2 shown]
	v_add_f64 v[49:50], v[63:64], -v[49:50]
	v_fma_f64 v[51:52], v[41:42], v[51:52], s[62:63]
	v_add_f64 v[53:54], v[69:70], -v[53:54]
	v_fma_f64 v[37:38], v[35:36], s[36:37], s[34:35]
	v_fma_f64 v[43:44], v[61:62], v[43:44], v[59:60]
	;; [unrolled: 1-line block ×3, first 2 shown]
	v_mul_f64 v[59:60], v[39:40], v[39:40]
	v_fma_f64 v[47:48], v[39:40], v[47:48], s[48:49]
	v_fma_f64 v[49:50], v[24:25], -v[26:27], v[49:50]
	v_fma_f64 v[37:38], v[35:36], v[37:38], s[38:39]
	v_fma_f64 v[26:27], v[39:40], v[43:44], -v[26:27]
	v_mul_f64 v[39:40], v[41:42], v[41:42]
	v_fma_f64 v[43:44], v[41:42], v[51:52], s[48:49]
	v_fma_f64 v[51:52], v[28:29], -v[30:31], v[53:54]
	v_fma_f64 v[30:31], v[41:42], v[45:46], -v[30:31]
	v_fma_f64 v[41:42], v[59:60], v[47:48], v[49:50]
	v_fma_f64 v[37:38], v[35:36], v[37:38], s[40:41]
	;; [unrolled: 1-line block ×3, first 2 shown]
	s_delay_alu instid0(VALU_DEP_4) | instskip(NEXT) | instid1(VALU_DEP_3)
	v_fma_f64 v[30:31], v[67:68], s[78:79], v[30:31]
	v_fma_f64 v[37:38], v[35:36], v[37:38], s[42:43]
	s_delay_alu instid0(VALU_DEP_3) | instskip(NEXT) | instid1(VALU_DEP_3)
	v_add_f64 v[24:25], v[24:25], -v[26:27]
	v_add_f64 v[28:29], v[28:29], -v[30:31]
	s_delay_alu instid0(VALU_DEP_3) | instskip(NEXT) | instid1(VALU_DEP_1)
	v_fma_f64 v[37:38], v[35:36], v[37:38], s[44:45]
	v_fma_f64 v[37:38], v[35:36], v[37:38], s[74:75]
	s_delay_alu instid0(VALU_DEP_1) | instskip(NEXT) | instid1(VALU_DEP_1)
	v_fma_f64 v[37:38], v[35:36], v[37:38], s[76:77]
	v_fma_f64 v[37:38], v[35:36], v[37:38], s[50:51]
	s_delay_alu instid0(VALU_DEP_1) | instskip(NEXT) | instid1(VALU_DEP_1)
	v_fma_f64 v[37:38], v[35:36], v[37:38], s[52:53]
	v_fma_f64 v[37:38], v[35:36], v[37:38], 1.0
	s_delay_alu instid0(VALU_DEP_1) | instskip(SKIP_2) | instid1(VALU_DEP_3)
	v_fma_f64 v[33:34], v[35:36], v[37:38], 1.0
	v_fma_f64 v[35:36], v[39:40], v[43:44], v[51:52]
	v_add_f64 v[37:38], v[55:56], v[41:42]
	v_ldexp_f64 v[26:27], v[33:34], v17
	s_delay_alu instid0(VALU_DEP_3) | instskip(SKIP_3) | instid1(VALU_DEP_3)
	v_add_f64 v[33:34], v[57:58], v[35:36]
	v_and_b32_e32 v17, 1, v22
	v_and_b32_e32 v7, 1, v32
	v_xor_b32_e32 v22, 0x80000000, v25
	v_cmp_eq_u32_e32 vcc_lo, 0, v17
	s_delay_alu instid0(VALU_DEP_3) | instskip(SKIP_1) | instid1(VALU_DEP_4)
	v_cmp_eq_u32_e64 s3, 0, v7
	v_cndmask_b32_e32 v17, v24, v37, vcc_lo
	v_dual_cndmask_b32 v7, v22, v38 :: v_dual_and_b32 v22, 0x80000000, v4
	s_and_b32 vcc_lo, s2, s1
	s_delay_alu instid0(VALU_DEP_2) | instskip(NEXT) | instid1(VALU_DEP_2)
	v_cndmask_b32_e64 v4, 0, v17, s0
	v_xor_b32_e32 v5, v7, v5
	s_delay_alu instid0(VALU_DEP_1) | instskip(SKIP_3) | instid1(VALU_DEP_3)
	v_cndmask_b32_e64 v5, 0x7ff80000, v5, s0
	v_cndmask_b32_e64 v6, 0x7ff00000, v27, s1
	;; [unrolled: 1-line block ×5, first 2 shown]
	s_delay_alu instid0(VALU_DEP_3) | instskip(NEXT) | instid1(VALU_DEP_3)
	v_xor_b32_e32 v7, v24, v22
	v_cndmask_b32_e64 v6, 0, v23, s0
	v_cndmask_b32_e32 v22, 0, v26, vcc_lo
	s_delay_alu instid0(VALU_DEP_4) | instskip(NEXT) | instid1(VALU_DEP_4)
	v_and_or_b32 v23, v25, s82, 0x7fe00000
	v_cndmask_b32_e64 v7, 0x7ff80000, v7, s0
	v_lshrrev_b32_e32 v17, 20, v25
	s_delay_alu instid0(VALU_DEP_3) | instskip(NEXT) | instid1(VALU_DEP_3)
	v_mul_f64 v[4:5], v[22:23], v[4:5]
	v_mul_f64 v[6:7], v[22:23], v[6:7]
	s_delay_alu instid0(VALU_DEP_3) | instskip(NEXT) | instid1(VALU_DEP_1)
	v_add_nc_u32_e32 v22, 0xffffff09, v17
	v_lshrrev_b16 v17, 15, v22
	s_delay_alu instid0(VALU_DEP_1) | instskip(NEXT) | instid1(VALU_DEP_1)
	v_add_nc_u16 v17, v22, v17
	v_ashrrev_i16 v17, 1, v17
	s_delay_alu instid0(VALU_DEP_1) | instskip(NEXT) | instid1(VALU_DEP_1)
	v_bfe_i32 v23, v17, 0, 16
	v_lshl_add_u32 v17, v23, 20, 0x3ff00000
	s_delay_alu instid0(VALU_DEP_1) | instskip(SKIP_3) | instid1(VALU_DEP_2)
	v_mul_f64 v[4:5], v[4:5], v[16:17]
	v_mul_f64 v[6:7], v[6:7], v[16:17]
	v_sub_nc_u32_e32 v17, v22, v23
	v_mov_b32_e32 v22, v16
	v_lshl_add_u32 v23, v17, 20, 0x3ff00000
	s_delay_alu instid0(VALU_DEP_1)
	v_mul_f64 v[24:25], v[4:5], v[22:23]
	v_mul_f64 v[22:23], v[6:7], v[22:23]
	s_or_b32 exec_lo, exec_lo, s28
                                        ; implicit-def: $vgpr26_vgpr27
                                        ; implicit-def: $vgpr4_vgpr5
                                        ; implicit-def: $vgpr17
.LBB254_257:                            ;   in Loop: Header=BB254_233 Depth=1
	s_and_not1_saveexec_b32 s1, s85
	s_cbranch_execz .LBB254_263
.LBB254_258:                            ;   in Loop: Header=BB254_233 Depth=1
	v_add_f64 v[22:23], v[6:7], -v[6:7]
	v_cmp_ne_u32_e32 vcc_lo, 0, v26
	v_cmp_ne_u32_e64 s0, 0x7ff00000, v17
	s_delay_alu instid0(VALU_DEP_1) | instskip(NEXT) | instid1(SALU_CYCLE_1)
	s_or_b32 s0, vcc_lo, s0
	s_and_saveexec_b32 s2, s0
	s_delay_alu instid0(SALU_CYCLE_1)
	s_xor_b32 s0, exec_lo, s2
; %bb.259:                              ;   in Loop: Header=BB254_233 Depth=1
                                        ; implicit-def: $vgpr26_vgpr27
                                        ; implicit-def: $vgpr4_vgpr5
; %bb.260:                              ;   in Loop: Header=BB254_233 Depth=1
	s_delay_alu instid0(SALU_CYCLE_1) | instskip(NEXT) | instid1(VALU_DEP_3)
	s_or_saveexec_b32 s0, s0
	v_dual_mov_b32 v25, v23 :: v_dual_mov_b32 v24, v22
	s_xor_b32 exec_lo, exec_lo, s0
; %bb.261:                              ;   in Loop: Header=BB254_233 Depth=1
	v_cmp_lt_i64_e32 vcc_lo, -1, v[26:27]
	v_dual_cndmask_b32 v25, 0, v27 :: v_dual_cndmask_b32 v24, 0, v4
	v_dual_cndmask_b32 v23, 0, v23 :: v_dual_cndmask_b32 v22, 0, v22
; %bb.262:                              ;   in Loop: Header=BB254_233 Depth=1
	s_or_b32 exec_lo, exec_lo, s0
.LBB254_263:                            ;   in Loop: Header=BB254_233 Depth=1
	s_delay_alu instid0(SALU_CYCLE_1)
	s_or_b32 exec_lo, exec_lo, s1
                                        ; implicit-def: $vgpr6_vgpr7
.LBB254_264:                            ;   in Loop: Header=BB254_233 Depth=1
	s_and_not1_saveexec_b32 s2, s84
	s_cbranch_execz .LBB254_274
; %bb.265:                              ;   in Loop: Header=BB254_233 Depth=1
	v_cmp_ngt_f64_e64 s1, 0x41d00000, |v[6:7]|
                                        ; implicit-def: $vgpr22
                                        ; implicit-def: $vgpr4_vgpr5
                                        ; implicit-def: $vgpr24_vgpr25
	s_delay_alu instid0(VALU_DEP_1) | instskip(NEXT) | instid1(SALU_CYCLE_1)
	s_and_saveexec_b32 s0, s1
	s_xor_b32 s3, exec_lo, s0
	s_cbranch_execz .LBB254_267
; %bb.266:                              ;   in Loop: Header=BB254_233 Depth=1
	v_ldexp_f64 v[4:5], |v[6:7]|, 0xffffff80
	v_cmp_le_f64_e64 vcc_lo, 0x7b000000, |v[6:7]|
	v_trig_preop_f64 v[24:25], |v[6:7]|, 0
	v_and_b32_e32 v17, 0x7fffffff, v7
	v_trig_preop_f64 v[26:27], |v[6:7]|, 1
	v_trig_preop_f64 v[36:37], |v[6:7]|, 2
	s_mov_b32 s4, s6
	s_mov_b32 s21, s9
	v_dual_cndmask_b32 v4, v6, v4 :: v_dual_cndmask_b32 v5, v17, v5
	s_delay_alu instid0(VALU_DEP_1) | instskip(NEXT) | instid1(VALU_DEP_4)
	v_mul_f64 v[28:29], v[24:25], v[4:5]
	v_mul_f64 v[30:31], v[26:27], v[4:5]
	s_delay_alu instid0(VALU_DEP_2) | instskip(NEXT) | instid1(VALU_DEP_2)
	v_fma_f64 v[24:25], v[24:25], v[4:5], -v[28:29]
	v_fma_f64 v[26:27], v[26:27], v[4:5], -v[30:31]
	s_delay_alu instid0(VALU_DEP_2) | instskip(NEXT) | instid1(VALU_DEP_1)
	v_add_f64 v[32:33], v[30:31], v[24:25]
	v_add_f64 v[34:35], v[32:33], -v[30:31]
	v_add_f64 v[40:41], v[28:29], v[32:33]
	s_delay_alu instid0(VALU_DEP_2) | instskip(SKIP_1) | instid1(VALU_DEP_3)
	v_add_f64 v[38:39], v[32:33], -v[34:35]
	v_add_f64 v[24:25], v[24:25], -v[34:35]
	v_ldexp_f64 v[34:35], v[40:41], -2
	v_add_f64 v[28:29], v[40:41], -v[28:29]
	s_delay_alu instid0(VALU_DEP_4) | instskip(NEXT) | instid1(VALU_DEP_3)
	v_add_f64 v[30:31], v[30:31], -v[38:39]
	v_cmp_neq_f64_e64 vcc_lo, 0x7ff00000, |v[34:35]|
	s_delay_alu instid0(VALU_DEP_3) | instskip(NEXT) | instid1(VALU_DEP_3)
	v_add_f64 v[28:29], v[32:33], -v[28:29]
	v_add_f64 v[24:25], v[24:25], v[30:31]
	v_fract_f64_e32 v[30:31], v[34:35]
	s_delay_alu instid0(VALU_DEP_1) | instskip(SKIP_1) | instid1(VALU_DEP_3)
	v_cndmask_b32_e32 v30, 0, v30, vcc_lo
	v_mul_f64 v[42:43], v[36:37], v[4:5]
	v_cndmask_b32_e32 v31, 0, v31, vcc_lo
	s_delay_alu instid0(VALU_DEP_1) | instskip(NEXT) | instid1(VALU_DEP_3)
	v_ldexp_f64 v[30:31], v[30:31], 2
	v_add_f64 v[38:39], v[42:43], v[26:27]
	v_fma_f64 v[4:5], v[36:37], v[4:5], -v[42:43]
	s_delay_alu instid0(VALU_DEP_2) | instskip(NEXT) | instid1(VALU_DEP_1)
	v_add_f64 v[32:33], v[38:39], v[24:25]
	v_add_f64 v[34:35], v[28:29], v[32:33]
	v_add_f64 v[44:45], v[32:33], -v[38:39]
	s_delay_alu instid0(VALU_DEP_2) | instskip(NEXT) | instid1(VALU_DEP_2)
	v_add_f64 v[40:41], v[34:35], v[30:31]
	v_add_f64 v[50:51], v[32:33], -v[44:45]
	v_add_f64 v[24:25], v[24:25], -v[44:45]
	;; [unrolled: 1-line block ×3, first 2 shown]
	s_delay_alu instid0(VALU_DEP_4) | instskip(SKIP_1) | instid1(VALU_DEP_3)
	v_cmp_gt_f64_e32 vcc_lo, 0, v[40:41]
	v_add_f64 v[40:41], v[38:39], -v[42:43]
	v_add_f64 v[28:29], v[32:33], -v[28:29]
	v_cndmask_b32_e64 v17, 0, 0x40100000, vcc_lo
	s_delay_alu instid0(VALU_DEP_3) | instskip(SKIP_2) | instid1(VALU_DEP_4)
	v_add_f64 v[48:49], v[38:39], -v[40:41]
	v_add_f64 v[26:27], v[26:27], -v[40:41]
	;; [unrolled: 1-line block ×3, first 2 shown]
	v_add_f64 v[30:31], v[30:31], v[16:17]
	s_delay_alu instid0(VALU_DEP_4) | instskip(NEXT) | instid1(VALU_DEP_3)
	v_add_f64 v[40:41], v[42:43], -v[48:49]
	v_add_f64 v[24:25], v[24:25], v[38:39]
	s_delay_alu instid0(VALU_DEP_3) | instskip(NEXT) | instid1(VALU_DEP_3)
	v_add_f64 v[46:47], v[34:35], v[30:31]
	v_add_f64 v[26:27], v[26:27], v[40:41]
	s_delay_alu instid0(VALU_DEP_2) | instskip(NEXT) | instid1(VALU_DEP_2)
	v_cvt_i32_f64_e32 v17, v[46:47]
	v_add_f64 v[24:25], v[26:27], v[24:25]
	s_delay_alu instid0(VALU_DEP_2) | instskip(NEXT) | instid1(VALU_DEP_2)
	v_cvt_f64_i32_e32 v[44:45], v17
	v_add_f64 v[4:5], v[4:5], v[24:25]
	s_delay_alu instid0(VALU_DEP_2) | instskip(NEXT) | instid1(VALU_DEP_2)
	v_add_f64 v[30:31], v[30:31], -v[44:45]
	v_add_f64 v[4:5], v[28:29], v[4:5]
	s_delay_alu instid0(VALU_DEP_2) | instskip(NEXT) | instid1(VALU_DEP_1)
	v_add_f64 v[26:27], v[34:35], v[30:31]
	v_add_f64 v[24:25], v[26:27], -v[30:31]
	v_cmp_le_f64_e32 vcc_lo, 0.5, v[26:27]
	s_delay_alu instid0(VALU_DEP_2) | instskip(SKIP_2) | instid1(VALU_DEP_3)
	v_add_f64 v[24:25], v[34:35], -v[24:25]
	v_add_co_ci_u32_e64 v22, s0, 0, v17, vcc_lo
	v_cndmask_b32_e64 v17, 0, 0x3ff00000, vcc_lo
	v_add_f64 v[4:5], v[4:5], v[24:25]
	s_delay_alu instid0(VALU_DEP_2) | instskip(NEXT) | instid1(VALU_DEP_1)
	v_add_f64 v[24:25], v[26:27], -v[16:17]
	v_add_f64 v[26:27], v[24:25], v[4:5]
	s_delay_alu instid0(VALU_DEP_1) | instskip(SKIP_1) | instid1(VALU_DEP_2)
	v_mul_f64 v[28:29], v[26:27], s[4:5]
	v_add_f64 v[24:25], v[26:27], -v[24:25]
	v_fma_f64 v[30:31], v[26:27], s[4:5], -v[28:29]
	s_delay_alu instid0(VALU_DEP_2) | instskip(NEXT) | instid1(VALU_DEP_2)
	v_add_f64 v[4:5], v[4:5], -v[24:25]
	v_fma_f64 v[24:25], v[26:27], s[20:21], v[30:31]
	s_delay_alu instid0(VALU_DEP_1) | instskip(NEXT) | instid1(VALU_DEP_1)
	v_fma_f64 v[24:25], v[4:5], s[4:5], v[24:25]
	v_add_f64 v[4:5], v[28:29], v[24:25]
	s_delay_alu instid0(VALU_DEP_1) | instskip(NEXT) | instid1(VALU_DEP_1)
	v_add_f64 v[26:27], v[4:5], -v[28:29]
	v_add_f64 v[24:25], v[24:25], -v[26:27]
	s_and_not1_saveexec_b32 s0, s3
	s_cbranch_execz .LBB254_269
	s_branch .LBB254_268
.LBB254_267:                            ;   in Loop: Header=BB254_233 Depth=1
	s_and_not1_saveexec_b32 s0, s3
	s_cbranch_execz .LBB254_269
.LBB254_268:                            ;   in Loop: Header=BB254_233 Depth=1
	v_mul_f64 v[4:5], |v[6:7]|, s[22:23]
	s_mov_b32 s8, s24
	s_delay_alu instid0(VALU_DEP_1) | instskip(NEXT) | instid1(VALU_DEP_1)
	v_rndne_f64_e32 v[26:27], v[4:5]
	v_fma_f64 v[4:5], v[26:27], s[6:7], |v[6:7]|
	v_mul_f64 v[24:25], v[26:27], s[24:25]
	v_cvt_i32_f64_e32 v22, v[26:27]
	s_delay_alu instid0(VALU_DEP_3) | instskip(NEXT) | instid1(VALU_DEP_3)
	v_fma_f64 v[30:31], v[26:27], s[24:25], v[4:5]
	v_add_f64 v[28:29], v[4:5], v[24:25]
	s_delay_alu instid0(VALU_DEP_1) | instskip(NEXT) | instid1(VALU_DEP_3)
	v_add_f64 v[4:5], v[4:5], -v[28:29]
	v_add_f64 v[28:29], v[28:29], -v[30:31]
	s_delay_alu instid0(VALU_DEP_2) | instskip(SKIP_1) | instid1(VALU_DEP_2)
	v_add_f64 v[4:5], v[4:5], v[24:25]
	v_fma_f64 v[24:25], v[26:27], s[8:9], v[24:25]
	v_add_f64 v[4:5], v[28:29], v[4:5]
	s_delay_alu instid0(VALU_DEP_1) | instskip(NEXT) | instid1(VALU_DEP_1)
	v_add_f64 v[4:5], v[4:5], -v[24:25]
	v_fma_f64 v[24:25], v[26:27], s[26:27], v[4:5]
	s_delay_alu instid0(VALU_DEP_1) | instskip(NEXT) | instid1(VALU_DEP_1)
	v_add_f64 v[4:5], v[30:31], v[24:25]
	v_add_f64 v[28:29], v[4:5], -v[30:31]
	s_delay_alu instid0(VALU_DEP_1)
	v_add_f64 v[24:25], v[24:25], -v[28:29]
.LBB254_269:                            ;   in Loop: Header=BB254_233 Depth=1
	s_or_b32 exec_lo, exec_lo, s0
                                        ; implicit-def: $vgpr30
                                        ; implicit-def: $vgpr26_vgpr27
                                        ; implicit-def: $vgpr28_vgpr29
	s_and_saveexec_b32 s0, s1
	s_delay_alu instid0(SALU_CYCLE_1)
	s_xor_b32 s1, exec_lo, s0
	s_cbranch_execz .LBB254_271
; %bb.270:                              ;   in Loop: Header=BB254_233 Depth=1
	v_ldexp_f64 v[26:27], |v[6:7]|, 0xffffff80
	v_cmp_le_f64_e64 vcc_lo, 0x7b000000, |v[6:7]|
	v_trig_preop_f64 v[28:29], |v[6:7]|, 0
	v_and_b32_e32 v17, 0x7fffffff, v7
	v_trig_preop_f64 v[30:31], |v[6:7]|, 1
	v_trig_preop_f64 v[40:41], |v[6:7]|, 2
	s_mov_b32 s4, s6
	s_mov_b32 s21, s9
	v_dual_cndmask_b32 v26, v6, v26 :: v_dual_cndmask_b32 v27, v17, v27
	s_delay_alu instid0(VALU_DEP_1) | instskip(NEXT) | instid1(VALU_DEP_4)
	v_mul_f64 v[32:33], v[28:29], v[26:27]
	v_mul_f64 v[34:35], v[30:31], v[26:27]
	s_delay_alu instid0(VALU_DEP_2) | instskip(NEXT) | instid1(VALU_DEP_2)
	v_fma_f64 v[28:29], v[28:29], v[26:27], -v[32:33]
	v_fma_f64 v[30:31], v[30:31], v[26:27], -v[34:35]
	s_delay_alu instid0(VALU_DEP_2) | instskip(NEXT) | instid1(VALU_DEP_1)
	v_add_f64 v[36:37], v[34:35], v[28:29]
	v_add_f64 v[38:39], v[36:37], -v[34:35]
	v_add_f64 v[44:45], v[32:33], v[36:37]
	s_delay_alu instid0(VALU_DEP_2) | instskip(SKIP_1) | instid1(VALU_DEP_3)
	v_add_f64 v[42:43], v[36:37], -v[38:39]
	v_add_f64 v[28:29], v[28:29], -v[38:39]
	v_ldexp_f64 v[38:39], v[44:45], -2
	v_add_f64 v[32:33], v[44:45], -v[32:33]
	s_delay_alu instid0(VALU_DEP_4) | instskip(NEXT) | instid1(VALU_DEP_3)
	v_add_f64 v[34:35], v[34:35], -v[42:43]
	v_cmp_neq_f64_e64 vcc_lo, 0x7ff00000, |v[38:39]|
	s_delay_alu instid0(VALU_DEP_3) | instskip(NEXT) | instid1(VALU_DEP_3)
	v_add_f64 v[32:33], v[36:37], -v[32:33]
	v_add_f64 v[28:29], v[28:29], v[34:35]
	v_fract_f64_e32 v[34:35], v[38:39]
	s_delay_alu instid0(VALU_DEP_1) | instskip(SKIP_1) | instid1(VALU_DEP_3)
	v_cndmask_b32_e32 v34, 0, v34, vcc_lo
	v_mul_f64 v[46:47], v[40:41], v[26:27]
	v_cndmask_b32_e32 v35, 0, v35, vcc_lo
	s_delay_alu instid0(VALU_DEP_1) | instskip(NEXT) | instid1(VALU_DEP_3)
	v_ldexp_f64 v[34:35], v[34:35], 2
	v_add_f64 v[42:43], v[46:47], v[30:31]
	v_fma_f64 v[26:27], v[40:41], v[26:27], -v[46:47]
	s_delay_alu instid0(VALU_DEP_2) | instskip(NEXT) | instid1(VALU_DEP_1)
	v_add_f64 v[36:37], v[42:43], v[28:29]
	v_add_f64 v[38:39], v[32:33], v[36:37]
	v_add_f64 v[48:49], v[36:37], -v[42:43]
	s_delay_alu instid0(VALU_DEP_2) | instskip(NEXT) | instid1(VALU_DEP_2)
	v_add_f64 v[44:45], v[38:39], v[34:35]
	v_add_f64 v[54:55], v[36:37], -v[48:49]
	v_add_f64 v[28:29], v[28:29], -v[48:49]
	;; [unrolled: 1-line block ×3, first 2 shown]
	s_delay_alu instid0(VALU_DEP_4) | instskip(SKIP_2) | instid1(VALU_DEP_2)
	v_cmp_gt_f64_e32 vcc_lo, 0, v[44:45]
	v_add_f64 v[44:45], v[42:43], -v[46:47]
	v_cndmask_b32_e64 v17, 0, 0x40100000, vcc_lo
	v_add_f64 v[52:53], v[42:43], -v[44:45]
	v_add_f64 v[30:31], v[30:31], -v[44:45]
	;; [unrolled: 1-line block ×3, first 2 shown]
	s_delay_alu instid0(VALU_DEP_4) | instskip(NEXT) | instid1(VALU_DEP_4)
	v_add_f64 v[34:35], v[34:35], v[16:17]
	v_add_f64 v[44:45], v[46:47], -v[52:53]
	s_delay_alu instid0(VALU_DEP_3) | instskip(NEXT) | instid1(VALU_DEP_3)
	v_add_f64 v[28:29], v[28:29], v[42:43]
	v_add_f64 v[50:51], v[38:39], v[34:35]
	s_delay_alu instid0(VALU_DEP_3) | instskip(NEXT) | instid1(VALU_DEP_2)
	v_add_f64 v[30:31], v[30:31], v[44:45]
	v_cvt_i32_f64_e32 v17, v[50:51]
	s_delay_alu instid0(VALU_DEP_2) | instskip(SKIP_1) | instid1(VALU_DEP_3)
	v_add_f64 v[28:29], v[30:31], v[28:29]
	v_add_f64 v[30:31], v[36:37], -v[32:33]
	v_cvt_f64_i32_e32 v[48:49], v17
	s_delay_alu instid0(VALU_DEP_3) | instskip(NEXT) | instid1(VALU_DEP_2)
	v_add_f64 v[26:27], v[26:27], v[28:29]
	v_add_f64 v[34:35], v[34:35], -v[48:49]
	s_delay_alu instid0(VALU_DEP_2) | instskip(NEXT) | instid1(VALU_DEP_2)
	v_add_f64 v[26:27], v[30:31], v[26:27]
	v_add_f64 v[40:41], v[38:39], v[34:35]
	s_delay_alu instid0(VALU_DEP_1) | instskip(SKIP_1) | instid1(VALU_DEP_2)
	v_add_f64 v[28:29], v[40:41], -v[34:35]
	v_cmp_le_f64_e32 vcc_lo, 0.5, v[40:41]
	v_add_f64 v[28:29], v[38:39], -v[28:29]
	v_add_co_ci_u32_e64 v30, s0, 0, v17, vcc_lo
	v_cndmask_b32_e64 v17, 0, 0x3ff00000, vcc_lo
	s_delay_alu instid0(VALU_DEP_3) | instskip(NEXT) | instid1(VALU_DEP_2)
	v_add_f64 v[26:27], v[26:27], v[28:29]
	v_add_f64 v[28:29], v[40:41], -v[16:17]
	s_delay_alu instid0(VALU_DEP_1) | instskip(NEXT) | instid1(VALU_DEP_1)
	v_add_f64 v[31:32], v[28:29], v[26:27]
	v_mul_f64 v[33:34], v[31:32], s[4:5]
	v_add_f64 v[28:29], v[31:32], -v[28:29]
	s_delay_alu instid0(VALU_DEP_2) | instskip(NEXT) | instid1(VALU_DEP_2)
	v_fma_f64 v[35:36], v[31:32], s[4:5], -v[33:34]
	v_add_f64 v[26:27], v[26:27], -v[28:29]
	s_delay_alu instid0(VALU_DEP_2) | instskip(NEXT) | instid1(VALU_DEP_1)
	v_fma_f64 v[28:29], v[31:32], s[20:21], v[35:36]
	v_fma_f64 v[28:29], v[26:27], s[4:5], v[28:29]
	s_delay_alu instid0(VALU_DEP_1) | instskip(NEXT) | instid1(VALU_DEP_1)
	v_add_f64 v[26:27], v[33:34], v[28:29]
	v_add_f64 v[31:32], v[26:27], -v[33:34]
	s_delay_alu instid0(VALU_DEP_1)
	v_add_f64 v[28:29], v[28:29], -v[31:32]
	s_and_not1_saveexec_b32 s0, s1
	s_cbranch_execnz .LBB254_272
	s_branch .LBB254_273
.LBB254_271:                            ;   in Loop: Header=BB254_233 Depth=1
	s_and_not1_saveexec_b32 s0, s1
	s_cbranch_execz .LBB254_273
.LBB254_272:                            ;   in Loop: Header=BB254_233 Depth=1
	v_mul_f64 v[26:27], |v[6:7]|, s[22:23]
	s_mov_b32 s8, s24
	s_delay_alu instid0(VALU_DEP_1) | instskip(NEXT) | instid1(VALU_DEP_1)
	v_rndne_f64_e32 v[30:31], v[26:27]
	v_fma_f64 v[26:27], v[30:31], s[6:7], |v[6:7]|
	v_mul_f64 v[28:29], v[30:31], s[24:25]
	s_delay_alu instid0(VALU_DEP_2) | instskip(NEXT) | instid1(VALU_DEP_2)
	v_fma_f64 v[34:35], v[30:31], s[24:25], v[26:27]
	v_add_f64 v[32:33], v[26:27], v[28:29]
	s_delay_alu instid0(VALU_DEP_1) | instskip(NEXT) | instid1(VALU_DEP_3)
	v_add_f64 v[26:27], v[26:27], -v[32:33]
	v_add_f64 v[32:33], v[32:33], -v[34:35]
	s_delay_alu instid0(VALU_DEP_2) | instskip(SKIP_1) | instid1(VALU_DEP_2)
	v_add_f64 v[26:27], v[26:27], v[28:29]
	v_fma_f64 v[28:29], v[30:31], s[8:9], v[28:29]
	v_add_f64 v[26:27], v[32:33], v[26:27]
	s_delay_alu instid0(VALU_DEP_1) | instskip(NEXT) | instid1(VALU_DEP_1)
	v_add_f64 v[26:27], v[26:27], -v[28:29]
	v_fma_f64 v[28:29], v[30:31], s[26:27], v[26:27]
	v_cvt_i32_f64_e32 v30, v[30:31]
	s_delay_alu instid0(VALU_DEP_2) | instskip(NEXT) | instid1(VALU_DEP_1)
	v_add_f64 v[26:27], v[34:35], v[28:29]
	v_add_f64 v[32:33], v[26:27], -v[34:35]
	s_delay_alu instid0(VALU_DEP_1)
	v_add_f64 v[28:29], v[28:29], -v[32:33]
.LBB254_273:                            ;   in Loop: Header=BB254_233 Depth=1
	s_or_b32 exec_lo, exec_lo, s0
	v_mul_f64 v[31:32], v[4:5], v[4:5]
	v_mul_f64 v[33:34], v[26:27], v[26:27]
	s_delay_alu instid0(VALU_DEP_3) | instskip(NEXT) | instid1(VALU_DEP_4)
	v_mul_f64 v[51:52], v[24:25], 0.5
	v_mul_f64 v[57:58], v[28:29], 0.5
	s_mov_b32 s78, s48
	v_cmp_class_f64_e64 s0, v[6:7], 0x1f8
	v_lshlrev_b32_e32 v6, 30, v30
	v_and_b32_e32 v7, 1, v30
	s_delay_alu instid0(VALU_DEP_2) | instskip(NEXT) | instid1(VALU_DEP_2)
	v_xor_b32_e32 v6, v6, v23
	v_cmp_eq_u32_e64 s1, 0, v7
	s_delay_alu instid0(VALU_DEP_2)
	v_and_b32_e32 v6, 0x80000000, v6
	v_fma_f64 v[35:36], v[31:32], s[66:67], s[64:65]
	v_fma_f64 v[37:38], v[33:34], s[66:67], s[64:65]
	v_mul_f64 v[41:42], v[31:32], 0.5
	v_fma_f64 v[39:40], v[31:32], s[56:57], s[54:55]
	v_fma_f64 v[43:44], v[33:34], s[56:57], s[54:55]
	v_mul_f64 v[45:46], v[33:34], 0.5
	v_mul_f64 v[53:54], v[4:5], -v[31:32]
	v_mul_f64 v[59:60], v[26:27], -v[33:34]
	v_fma_f64 v[35:36], v[31:32], v[35:36], s[68:69]
	v_fma_f64 v[37:38], v[33:34], v[37:38], s[68:69]
	v_add_f64 v[47:48], -v[41:42], 1.0
	v_fma_f64 v[39:40], v[31:32], v[39:40], s[58:59]
	v_fma_f64 v[43:44], v[33:34], v[43:44], s[58:59]
	v_add_f64 v[49:50], -v[45:46], 1.0
	;; [unrolled: 3-line block ×4, first 2 shown]
	v_fma_f64 v[35:36], v[31:32], v[35:36], s[46:47]
	v_fma_f64 v[37:38], v[33:34], v[37:38], s[46:47]
	v_add_f64 v[41:42], v[55:56], -v[41:42]
	v_fma_f64 v[39:40], v[31:32], v[39:40], s[62:63]
	v_fma_f64 v[43:44], v[33:34], v[43:44], s[62:63]
	v_add_f64 v[45:46], v[61:62], -v[45:46]
	v_fma_f64 v[35:36], v[53:54], v[35:36], v[51:52]
	v_fma_f64 v[37:38], v[59:60], v[37:38], v[57:58]
	v_fma_f64 v[41:42], v[4:5], -v[24:25], v[41:42]
	v_mul_f64 v[51:52], v[31:32], v[31:32]
	v_fma_f64 v[39:40], v[31:32], v[39:40], s[48:49]
	v_fma_f64 v[24:25], v[31:32], v[35:36], -v[24:25]
	v_mul_f64 v[31:32], v[33:34], v[33:34]
	v_fma_f64 v[35:36], v[33:34], v[43:44], s[48:49]
	v_fma_f64 v[43:44], v[26:27], -v[28:29], v[45:46]
	v_fma_f64 v[28:29], v[33:34], v[37:38], -v[28:29]
	v_fma_f64 v[33:34], v[51:52], v[39:40], v[41:42]
	v_fma_f64 v[24:25], v[53:54], s[78:79], v[24:25]
	s_delay_alu instid0(VALU_DEP_4) | instskip(NEXT) | instid1(VALU_DEP_4)
	v_fma_f64 v[31:32], v[31:32], v[35:36], v[43:44]
	v_fma_f64 v[28:29], v[59:60], s[78:79], v[28:29]
	s_delay_alu instid0(VALU_DEP_4) | instskip(NEXT) | instid1(VALU_DEP_4)
	v_add_f64 v[33:34], v[47:48], v[33:34]
	v_add_f64 v[4:5], v[4:5], -v[24:25]
	v_and_b32_e32 v17, 1, v22
	v_add_f64 v[24:25], v[49:50], v[31:32]
	v_add_f64 v[26:27], v[26:27], -v[28:29]
	s_delay_alu instid0(VALU_DEP_3) | instskip(SKIP_1) | instid1(VALU_DEP_1)
	v_cmp_eq_u32_e32 vcc_lo, 0, v17
	v_lshlrev_b32_e32 v17, 30, v22
	v_and_b32_e32 v7, 0x80000000, v17
	v_cndmask_b32_e32 v4, v4, v33, vcc_lo
	v_xor_b32_e32 v5, 0x80000000, v5
	v_cndmask_b32_e64 v22, v25, v27, s1
	v_cndmask_b32_e64 v17, v24, v26, s1
	s_delay_alu instid0(VALU_DEP_3) | instskip(SKIP_1) | instid1(VALU_DEP_4)
	v_cndmask_b32_e32 v5, v5, v34, vcc_lo
	v_cndmask_b32_e64 v24, 0, v4, s0
	v_xor_b32_e32 v6, v22, v6
	s_delay_alu instid0(VALU_DEP_4) | instskip(NEXT) | instid1(VALU_DEP_4)
	v_cndmask_b32_e64 v22, 0, v17, s0
	v_xor_b32_e32 v5, v5, v7
	s_delay_alu instid0(VALU_DEP_3) | instskip(NEXT) | instid1(VALU_DEP_2)
	v_cndmask_b32_e64 v23, 0x7ff80000, v6, s0
	v_cndmask_b32_e64 v25, 0x7ff80000, v5, s0
.LBB254_274:                            ;   in Loop: Header=BB254_233 Depth=1
	s_or_b32 exec_lo, exec_lo, s2
                                        ; implicit-def: $vgpr4_vgpr5
.LBB254_275:                            ;   in Loop: Header=BB254_233 Depth=1
	s_and_not1_saveexec_b32 s1, s83
	s_cbranch_execz .LBB254_277
; %bb.276:                              ;   in Loop: Header=BB254_233 Depth=1
	s_mov_b32 s28, s30
	s_mov_b32 s75, s47
	v_mul_f64 v[6:7], v[4:5], s[28:29]
	s_mov_b32 s77, s49
	v_cmp_ngt_f64_e32 vcc_lo, 0xc0900000, v[4:5]
	v_cmp_nlt_f64_e64 s0, 0x4090cc00, v[4:5]
	s_delay_alu instid0(VALU_DEP_3) | instskip(NEXT) | instid1(VALU_DEP_1)
	v_rndne_f64_e32 v[6:7], v[6:7]
	v_fma_f64 v[24:25], v[6:7], s[16:17], -v[4:5]
	v_cvt_i32_f64_e32 v17, v[6:7]
	s_delay_alu instid0(VALU_DEP_2) | instskip(NEXT) | instid1(VALU_DEP_1)
	v_fma_f64 v[24:25], v[6:7], s[18:19], v[24:25]
	v_fma_f64 v[26:27], v[24:25], s[36:37], s[34:35]
	s_delay_alu instid0(VALU_DEP_1) | instskip(NEXT) | instid1(VALU_DEP_1)
	v_fma_f64 v[26:27], v[24:25], v[26:27], s[38:39]
	v_fma_f64 v[26:27], v[24:25], v[26:27], s[40:41]
	s_delay_alu instid0(VALU_DEP_1) | instskip(NEXT) | instid1(VALU_DEP_1)
	;; [unrolled: 3-line block ×5, first 2 shown]
	v_fma_f64 v[26:27], v[24:25], v[26:27], 1.0
	v_fma_f64 v[6:7], v[24:25], v[26:27], 1.0
	s_delay_alu instid0(VALU_DEP_1) | instskip(NEXT) | instid1(VALU_DEP_1)
	v_ldexp_f64 v[6:7], v[6:7], v17
	v_cndmask_b32_e32 v7, 0x7ff00000, v7, vcc_lo
	s_and_b32 vcc_lo, s0, vcc_lo
	s_delay_alu instid0(VALU_DEP_2) | instskip(NEXT) | instid1(VALU_DEP_2)
	v_cndmask_b32_e32 v24, 0, v6, vcc_lo
	v_cndmask_b32_e64 v25, 0, v7, s0
.LBB254_277:                            ;   in Loop: Header=BB254_233 Depth=1
	s_or_b32 exec_lo, exec_lo, s1
	s_delay_alu instid0(VALU_DEP_1) | instskip(NEXT) | instid1(VALU_DEP_2)
	v_add_f64 v[24:25], s[12:13], v[24:25]
	v_add_f64 v[22:23], s[14:15], v[22:23]
                                        ; implicit-def: $vgpr6_vgpr7
	s_delay_alu instid0(VALU_DEP_2) | instskip(NEXT) | instid1(VALU_DEP_2)
	v_cmp_gt_f64_e32 vcc_lo, 0, v[24:25]
	v_cmp_gt_f64_e64 s0, 0, v[22:23]
	v_xor_b32_e32 v4, 0x80000000, v25
	v_xor_b32_e32 v5, 0x80000000, v23
	s_delay_alu instid0(VALU_DEP_2) | instskip(NEXT) | instid1(VALU_DEP_2)
	v_cndmask_b32_e32 v27, v25, v4, vcc_lo
	v_cndmask_b32_e64 v29, v23, v5, s0
	v_cndmask_b32_e32 v26, v24, v24, vcc_lo
	v_cndmask_b32_e64 v28, v22, v22, s0
	s_mov_b32 s0, exec_lo
	s_delay_alu instid0(VALU_DEP_1)
	v_cmpx_ge_f64_e32 v[26:27], v[28:29]
	s_xor_b32 s1, exec_lo, s0
	s_cbranch_execz .LBB254_283
; %bb.278:                              ;   in Loop: Header=BB254_233 Depth=1
	v_cmp_neq_f64_e32 vcc_lo, 0, v[24:25]
	v_cmp_neq_f64_e64 s0, 0, v[22:23]
                                        ; implicit-def: $vgpr6_vgpr7
	s_delay_alu instid0(VALU_DEP_1) | instskip(NEXT) | instid1(SALU_CYCLE_1)
	s_or_b32 s0, vcc_lo, s0
	s_and_saveexec_b32 s2, s0
	s_delay_alu instid0(SALU_CYCLE_1)
	s_xor_b32 s0, exec_lo, s2
	s_cbranch_execz .LBB254_280
; %bb.279:                              ;   in Loop: Header=BB254_233 Depth=1
	v_div_scale_f64 v[4:5], null, v[24:25], v[24:25], v[22:23]
	v_div_scale_f64 v[28:29], vcc_lo, v[22:23], v[24:25], v[22:23]
	s_delay_alu instid0(VALU_DEP_2) | instskip(SKIP_2) | instid1(VALU_DEP_1)
	v_rcp_f64_e32 v[6:7], v[4:5]
	s_waitcnt_depctr 0xfff
	v_fma_f64 v[26:27], -v[4:5], v[6:7], 1.0
	v_fma_f64 v[6:7], v[6:7], v[26:27], v[6:7]
	s_delay_alu instid0(VALU_DEP_1) | instskip(NEXT) | instid1(VALU_DEP_1)
	v_fma_f64 v[26:27], -v[4:5], v[6:7], 1.0
	v_fma_f64 v[6:7], v[6:7], v[26:27], v[6:7]
	s_delay_alu instid0(VALU_DEP_1) | instskip(NEXT) | instid1(VALU_DEP_1)
	v_mul_f64 v[26:27], v[28:29], v[6:7]
	v_fma_f64 v[4:5], -v[4:5], v[26:27], v[28:29]
	s_delay_alu instid0(VALU_DEP_1) | instskip(NEXT) | instid1(VALU_DEP_1)
	v_div_fmas_f64 v[4:5], v[4:5], v[6:7], v[26:27]
	v_div_fixup_f64 v[4:5], v[4:5], v[24:25], v[22:23]
	s_delay_alu instid0(VALU_DEP_1) | instskip(NEXT) | instid1(VALU_DEP_1)
	v_fma_f64 v[6:7], v[22:23], v[4:5], v[24:25]
	v_div_scale_f64 v[22:23], null, v[6:7], v[6:7], 1.0
	v_div_scale_f64 v[28:29], vcc_lo, 1.0, v[6:7], 1.0
	s_delay_alu instid0(VALU_DEP_2) | instskip(SKIP_2) | instid1(VALU_DEP_1)
	v_rcp_f64_e32 v[24:25], v[22:23]
	s_waitcnt_depctr 0xfff
	v_fma_f64 v[26:27], -v[22:23], v[24:25], 1.0
	v_fma_f64 v[24:25], v[24:25], v[26:27], v[24:25]
	s_delay_alu instid0(VALU_DEP_1) | instskip(NEXT) | instid1(VALU_DEP_1)
	v_fma_f64 v[26:27], -v[22:23], v[24:25], 1.0
	v_fma_f64 v[24:25], v[24:25], v[26:27], v[24:25]
	s_delay_alu instid0(VALU_DEP_1) | instskip(NEXT) | instid1(VALU_DEP_1)
	v_mul_f64 v[26:27], v[28:29], v[24:25]
	v_fma_f64 v[22:23], -v[22:23], v[26:27], v[28:29]
                                        ; implicit-def: $vgpr28_vgpr29
	s_delay_alu instid0(VALU_DEP_1) | instskip(SKIP_1) | instid1(VALU_DEP_2)
	v_div_fmas_f64 v[22:23], v[22:23], v[24:25], v[26:27]
	v_fma_f64 v[24:25], s[14:15], v[4:5], s[12:13]
                                        ; implicit-def: $vgpr26_vgpr27
	v_div_fixup_f64 v[6:7], v[22:23], v[6:7], 1.0
	v_fma_f64 v[22:23], -s[12:13], v[4:5], s[14:15]
	s_delay_alu instid0(VALU_DEP_2) | instskip(NEXT) | instid1(VALU_DEP_2)
	v_mul_f64 v[4:5], v[24:25], v[6:7]
	v_mul_f64 v[6:7], v[22:23], v[6:7]
.LBB254_280:                            ;   in Loop: Header=BB254_233 Depth=1
	s_and_not1_saveexec_b32 s2, s0
	s_cbranch_execz .LBB254_282
; %bb.281:                              ;   in Loop: Header=BB254_233 Depth=1
	v_div_scale_f64 v[4:5], null, v[26:27], v[26:27], s[12:13]
	v_div_scale_f64 v[6:7], null, v[28:29], v[28:29], s[14:15]
	v_div_scale_f64 v[34:35], vcc_lo, s[12:13], v[26:27], s[12:13]
	s_delay_alu instid0(VALU_DEP_3) | instskip(NEXT) | instid1(VALU_DEP_2)
	v_rcp_f64_e32 v[22:23], v[4:5]
	v_rcp_f64_e32 v[24:25], v[6:7]
	s_waitcnt_depctr 0xfff
	v_fma_f64 v[30:31], -v[4:5], v[22:23], 1.0
	v_fma_f64 v[32:33], -v[6:7], v[24:25], 1.0
	s_delay_alu instid0(VALU_DEP_2) | instskip(NEXT) | instid1(VALU_DEP_2)
	v_fma_f64 v[22:23], v[22:23], v[30:31], v[22:23]
	v_fma_f64 v[24:25], v[24:25], v[32:33], v[24:25]
	s_delay_alu instid0(VALU_DEP_2) | instskip(NEXT) | instid1(VALU_DEP_2)
	v_fma_f64 v[30:31], -v[4:5], v[22:23], 1.0
	v_fma_f64 v[32:33], -v[6:7], v[24:25], 1.0
	s_delay_alu instid0(VALU_DEP_2) | instskip(SKIP_1) | instid1(VALU_DEP_3)
	v_fma_f64 v[22:23], v[22:23], v[30:31], v[22:23]
	v_div_scale_f64 v[30:31], s0, s[14:15], v[28:29], s[14:15]
	v_fma_f64 v[24:25], v[24:25], v[32:33], v[24:25]
	s_delay_alu instid0(VALU_DEP_3) | instskip(NEXT) | instid1(VALU_DEP_2)
	v_mul_f64 v[32:33], v[34:35], v[22:23]
	v_mul_f64 v[36:37], v[30:31], v[24:25]
	s_delay_alu instid0(VALU_DEP_2) | instskip(NEXT) | instid1(VALU_DEP_2)
	v_fma_f64 v[4:5], -v[4:5], v[32:33], v[34:35]
	v_fma_f64 v[6:7], -v[6:7], v[36:37], v[30:31]
	s_delay_alu instid0(VALU_DEP_2) | instskip(SKIP_1) | instid1(VALU_DEP_2)
	v_div_fmas_f64 v[4:5], v[4:5], v[22:23], v[32:33]
	s_mov_b32 vcc_lo, s0
	v_div_fmas_f64 v[6:7], v[6:7], v[24:25], v[36:37]
	s_delay_alu instid0(VALU_DEP_2) | instskip(NEXT) | instid1(VALU_DEP_2)
	v_div_fixup_f64 v[4:5], v[4:5], v[26:27], s[12:13]
	v_div_fixup_f64 v[6:7], v[6:7], v[28:29], s[14:15]
.LBB254_282:                            ;   in Loop: Header=BB254_233 Depth=1
	s_or_b32 exec_lo, exec_lo, s2
                                        ; implicit-def: $vgpr22_vgpr23
                                        ; implicit-def: $vgpr24_vgpr25
.LBB254_283:                            ;   in Loop: Header=BB254_233 Depth=1
	s_and_not1_saveexec_b32 s0, s1
	s_cbranch_execz .LBB254_285
; %bb.284:                              ;   in Loop: Header=BB254_233 Depth=1
	v_div_scale_f64 v[4:5], null, v[22:23], v[22:23], v[24:25]
	v_div_scale_f64 v[28:29], vcc_lo, v[24:25], v[22:23], v[24:25]
	s_delay_alu instid0(VALU_DEP_2) | instskip(SKIP_2) | instid1(VALU_DEP_1)
	v_rcp_f64_e32 v[6:7], v[4:5]
	s_waitcnt_depctr 0xfff
	v_fma_f64 v[26:27], -v[4:5], v[6:7], 1.0
	v_fma_f64 v[6:7], v[6:7], v[26:27], v[6:7]
	s_delay_alu instid0(VALU_DEP_1) | instskip(NEXT) | instid1(VALU_DEP_1)
	v_fma_f64 v[26:27], -v[4:5], v[6:7], 1.0
	v_fma_f64 v[6:7], v[6:7], v[26:27], v[6:7]
	s_delay_alu instid0(VALU_DEP_1) | instskip(NEXT) | instid1(VALU_DEP_1)
	v_mul_f64 v[26:27], v[28:29], v[6:7]
	v_fma_f64 v[4:5], -v[4:5], v[26:27], v[28:29]
	s_delay_alu instid0(VALU_DEP_1) | instskip(NEXT) | instid1(VALU_DEP_1)
	v_div_fmas_f64 v[4:5], v[4:5], v[6:7], v[26:27]
	v_div_fixup_f64 v[4:5], v[4:5], v[22:23], v[24:25]
	s_delay_alu instid0(VALU_DEP_1) | instskip(NEXT) | instid1(VALU_DEP_1)
	v_fma_f64 v[6:7], v[24:25], v[4:5], v[22:23]
	v_div_scale_f64 v[22:23], null, v[6:7], v[6:7], 1.0
	v_div_scale_f64 v[28:29], vcc_lo, 1.0, v[6:7], 1.0
	s_delay_alu instid0(VALU_DEP_2) | instskip(SKIP_2) | instid1(VALU_DEP_1)
	v_rcp_f64_e32 v[24:25], v[22:23]
	s_waitcnt_depctr 0xfff
	v_fma_f64 v[26:27], -v[22:23], v[24:25], 1.0
	v_fma_f64 v[24:25], v[24:25], v[26:27], v[24:25]
	s_delay_alu instid0(VALU_DEP_1) | instskip(NEXT) | instid1(VALU_DEP_1)
	v_fma_f64 v[26:27], -v[22:23], v[24:25], 1.0
	v_fma_f64 v[24:25], v[24:25], v[26:27], v[24:25]
	s_delay_alu instid0(VALU_DEP_1) | instskip(NEXT) | instid1(VALU_DEP_1)
	v_mul_f64 v[26:27], v[28:29], v[24:25]
	v_fma_f64 v[22:23], -v[22:23], v[26:27], v[28:29]
	s_delay_alu instid0(VALU_DEP_1) | instskip(SKIP_1) | instid1(VALU_DEP_2)
	v_div_fmas_f64 v[22:23], v[22:23], v[24:25], v[26:27]
	v_fma_f64 v[24:25], s[12:13], v[4:5], s[14:15]
	v_div_fixup_f64 v[6:7], v[22:23], v[6:7], 1.0
	v_fma_f64 v[22:23], s[14:15], v[4:5], -s[12:13]
	s_delay_alu instid0(VALU_DEP_2) | instskip(NEXT) | instid1(VALU_DEP_2)
	v_mul_f64 v[4:5], v[24:25], v[6:7]
	v_mul_f64 v[6:7], v[22:23], v[6:7]
.LBB254_285:                            ;   in Loop: Header=BB254_233 Depth=1
	s_or_b32 exec_lo, exec_lo, s0
	s_waitcnt vmcnt(2)
	v_xor_b32_e32 v23, 0x80000000, v15
	v_mov_b32_e32 v22, v14
                                        ; implicit-def: $vgpr24_vgpr25
	s_mov_b32 s0, exec_lo
	s_delay_alu instid0(VALU_DEP_2) | instskip(NEXT) | instid1(VALU_DEP_1)
	v_and_b32_e32 v28, 0x7fffffff, v23
	v_or_b32_e32 v17, v28, v14
	s_delay_alu instid0(VALU_DEP_1)
	v_cmpx_ne_u32_e32 0, v17
	s_xor_b32 s83, exec_lo, s0
	s_cbranch_execz .LBB254_327
; %bb.286:                              ;   in Loop: Header=BB254_233 Depth=1
	v_xor_b32_e32 v27, 0x80000000, v13
	v_mov_b32_e32 v26, v12
                                        ; implicit-def: $vgpr24_vgpr25
	s_mov_b32 s0, exec_lo
	s_delay_alu instid0(VALU_DEP_2) | instskip(NEXT) | instid1(VALU_DEP_1)
	v_and_b32_e32 v17, 0x7fffffff, v27
	v_or_b32_e32 v22, v17, v26
	s_delay_alu instid0(VALU_DEP_1)
	v_cmpx_ne_u32_e32 0, v22
	s_xor_b32 s84, exec_lo, s0
	s_cbranch_execz .LBB254_316
; %bb.287:                              ;   in Loop: Header=BB254_233 Depth=1
                                        ; implicit-def: $vgpr24_vgpr25
	s_mov_b32 s0, exec_lo
	v_cmpx_gt_u32_e32 0x7ff00000, v28
	s_xor_b32 s85, exec_lo, s0
	s_cbranch_execz .LBB254_309
; %bb.288:                              ;   in Loop: Header=BB254_233 Depth=1
	v_add_nc_u32_e32 v17, 0xbf79d1be, v27
                                        ; implicit-def: $vgpr24_vgpr25
	s_mov_b32 s0, exec_lo
	s_delay_alu instid0(VALU_DEP_1)
	v_cmpx_lt_u32_e32 0x108aa2, v17
	s_xor_b32 s86, exec_lo, s0
	s_cbranch_execz .LBB254_298
; %bb.289:                              ;   in Loop: Header=BB254_233 Depth=1
	v_cmp_ngt_f64_e64 s1, 0x41d00000, |v[14:15]|
                                        ; implicit-def: $vgpr22
                                        ; implicit-def: $vgpr24_vgpr25
                                        ; implicit-def: $vgpr26_vgpr27
	s_delay_alu instid0(VALU_DEP_1) | instskip(NEXT) | instid1(SALU_CYCLE_1)
	s_and_saveexec_b32 s0, s1
	s_xor_b32 s2, exec_lo, s0
	s_cbranch_execz .LBB254_291
; %bb.290:                              ;   in Loop: Header=BB254_233 Depth=1
	v_ldexp_f64 v[24:25], |v[14:15]|, 0xffffff80
	v_cmp_le_f64_e64 vcc_lo, 0x7b000000, |v[14:15]|
	v_trig_preop_f64 v[26:27], |v[14:15]|, 0
	v_and_b32_e32 v17, 0x7fffffff, v15
	v_trig_preop_f64 v[28:29], |v[14:15]|, 1
	v_trig_preop_f64 v[38:39], |v[14:15]|, 2
	s_mov_b32 s4, s6
	s_mov_b32 s21, s9
	v_dual_cndmask_b32 v24, v14, v24 :: v_dual_cndmask_b32 v25, v17, v25
	s_delay_alu instid0(VALU_DEP_1) | instskip(NEXT) | instid1(VALU_DEP_4)
	v_mul_f64 v[30:31], v[26:27], v[24:25]
	v_mul_f64 v[32:33], v[28:29], v[24:25]
	s_delay_alu instid0(VALU_DEP_2) | instskip(NEXT) | instid1(VALU_DEP_2)
	v_fma_f64 v[26:27], v[26:27], v[24:25], -v[30:31]
	v_fma_f64 v[28:29], v[28:29], v[24:25], -v[32:33]
	s_delay_alu instid0(VALU_DEP_2) | instskip(NEXT) | instid1(VALU_DEP_1)
	v_add_f64 v[34:35], v[32:33], v[26:27]
	v_add_f64 v[36:37], v[34:35], -v[32:33]
	v_add_f64 v[42:43], v[30:31], v[34:35]
	s_delay_alu instid0(VALU_DEP_2) | instskip(SKIP_1) | instid1(VALU_DEP_3)
	v_add_f64 v[40:41], v[34:35], -v[36:37]
	v_add_f64 v[26:27], v[26:27], -v[36:37]
	v_ldexp_f64 v[36:37], v[42:43], -2
	v_add_f64 v[30:31], v[42:43], -v[30:31]
	s_delay_alu instid0(VALU_DEP_4) | instskip(NEXT) | instid1(VALU_DEP_3)
	v_add_f64 v[32:33], v[32:33], -v[40:41]
	v_cmp_neq_f64_e64 vcc_lo, 0x7ff00000, |v[36:37]|
	s_delay_alu instid0(VALU_DEP_3) | instskip(NEXT) | instid1(VALU_DEP_3)
	v_add_f64 v[30:31], v[34:35], -v[30:31]
	v_add_f64 v[26:27], v[26:27], v[32:33]
	v_fract_f64_e32 v[32:33], v[36:37]
	s_delay_alu instid0(VALU_DEP_1) | instskip(SKIP_1) | instid1(VALU_DEP_3)
	v_cndmask_b32_e32 v32, 0, v32, vcc_lo
	v_mul_f64 v[44:45], v[38:39], v[24:25]
	v_cndmask_b32_e32 v33, 0, v33, vcc_lo
	s_delay_alu instid0(VALU_DEP_1) | instskip(NEXT) | instid1(VALU_DEP_3)
	v_ldexp_f64 v[32:33], v[32:33], 2
	v_add_f64 v[40:41], v[44:45], v[28:29]
	v_fma_f64 v[24:25], v[38:39], v[24:25], -v[44:45]
	s_delay_alu instid0(VALU_DEP_2) | instskip(NEXT) | instid1(VALU_DEP_1)
	v_add_f64 v[34:35], v[40:41], v[26:27]
	v_add_f64 v[36:37], v[30:31], v[34:35]
	v_add_f64 v[46:47], v[34:35], -v[40:41]
	s_delay_alu instid0(VALU_DEP_2) | instskip(NEXT) | instid1(VALU_DEP_2)
	v_add_f64 v[42:43], v[36:37], v[32:33]
	v_add_f64 v[52:53], v[34:35], -v[46:47]
	v_add_f64 v[26:27], v[26:27], -v[46:47]
	;; [unrolled: 1-line block ×3, first 2 shown]
	s_delay_alu instid0(VALU_DEP_4) | instskip(SKIP_1) | instid1(VALU_DEP_3)
	v_cmp_gt_f64_e32 vcc_lo, 0, v[42:43]
	v_add_f64 v[42:43], v[40:41], -v[44:45]
	v_add_f64 v[30:31], v[34:35], -v[30:31]
	v_cndmask_b32_e64 v17, 0, 0x40100000, vcc_lo
	s_delay_alu instid0(VALU_DEP_3) | instskip(SKIP_2) | instid1(VALU_DEP_4)
	v_add_f64 v[50:51], v[40:41], -v[42:43]
	v_add_f64 v[28:29], v[28:29], -v[42:43]
	;; [unrolled: 1-line block ×3, first 2 shown]
	v_add_f64 v[32:33], v[32:33], v[16:17]
	s_delay_alu instid0(VALU_DEP_4) | instskip(NEXT) | instid1(VALU_DEP_3)
	v_add_f64 v[42:43], v[44:45], -v[50:51]
	v_add_f64 v[26:27], v[26:27], v[40:41]
	s_delay_alu instid0(VALU_DEP_3) | instskip(NEXT) | instid1(VALU_DEP_3)
	v_add_f64 v[48:49], v[36:37], v[32:33]
	v_add_f64 v[28:29], v[28:29], v[42:43]
	s_delay_alu instid0(VALU_DEP_2) | instskip(NEXT) | instid1(VALU_DEP_2)
	v_cvt_i32_f64_e32 v17, v[48:49]
	v_add_f64 v[26:27], v[28:29], v[26:27]
	s_delay_alu instid0(VALU_DEP_2) | instskip(NEXT) | instid1(VALU_DEP_2)
	v_cvt_f64_i32_e32 v[46:47], v17
	v_add_f64 v[24:25], v[24:25], v[26:27]
	s_delay_alu instid0(VALU_DEP_2) | instskip(NEXT) | instid1(VALU_DEP_2)
	v_add_f64 v[32:33], v[32:33], -v[46:47]
	v_add_f64 v[24:25], v[30:31], v[24:25]
	s_delay_alu instid0(VALU_DEP_2) | instskip(NEXT) | instid1(VALU_DEP_1)
	v_add_f64 v[28:29], v[36:37], v[32:33]
	v_add_f64 v[26:27], v[28:29], -v[32:33]
	v_cmp_le_f64_e32 vcc_lo, 0.5, v[28:29]
	s_delay_alu instid0(VALU_DEP_2) | instskip(SKIP_2) | instid1(VALU_DEP_3)
	v_add_f64 v[26:27], v[36:37], -v[26:27]
	v_add_co_ci_u32_e64 v22, s0, 0, v17, vcc_lo
	v_cndmask_b32_e64 v17, 0, 0x3ff00000, vcc_lo
	v_add_f64 v[24:25], v[24:25], v[26:27]
	s_delay_alu instid0(VALU_DEP_2) | instskip(NEXT) | instid1(VALU_DEP_1)
	v_add_f64 v[26:27], v[28:29], -v[16:17]
	v_add_f64 v[28:29], v[26:27], v[24:25]
	s_delay_alu instid0(VALU_DEP_1) | instskip(SKIP_1) | instid1(VALU_DEP_2)
	v_mul_f64 v[30:31], v[28:29], s[4:5]
	v_add_f64 v[26:27], v[28:29], -v[26:27]
	v_fma_f64 v[32:33], v[28:29], s[4:5], -v[30:31]
	s_delay_alu instid0(VALU_DEP_2) | instskip(NEXT) | instid1(VALU_DEP_2)
	v_add_f64 v[24:25], v[24:25], -v[26:27]
	v_fma_f64 v[26:27], v[28:29], s[20:21], v[32:33]
	s_delay_alu instid0(VALU_DEP_1) | instskip(NEXT) | instid1(VALU_DEP_1)
	v_fma_f64 v[26:27], v[24:25], s[4:5], v[26:27]
	v_add_f64 v[24:25], v[30:31], v[26:27]
	s_delay_alu instid0(VALU_DEP_1) | instskip(NEXT) | instid1(VALU_DEP_1)
	v_add_f64 v[28:29], v[24:25], -v[30:31]
	v_add_f64 v[26:27], v[26:27], -v[28:29]
	s_and_not1_saveexec_b32 s0, s2
	s_cbranch_execz .LBB254_293
	s_branch .LBB254_292
.LBB254_291:                            ;   in Loop: Header=BB254_233 Depth=1
	s_and_not1_saveexec_b32 s0, s2
	s_cbranch_execz .LBB254_293
.LBB254_292:                            ;   in Loop: Header=BB254_233 Depth=1
	v_mul_f64 v[24:25], |v[14:15]|, s[22:23]
	s_mov_b32 s8, s24
	s_delay_alu instid0(VALU_DEP_1) | instskip(NEXT) | instid1(VALU_DEP_1)
	v_rndne_f64_e32 v[28:29], v[24:25]
	v_fma_f64 v[24:25], v[28:29], s[6:7], |v[14:15]|
	v_mul_f64 v[26:27], v[28:29], s[24:25]
	v_cvt_i32_f64_e32 v22, v[28:29]
	s_delay_alu instid0(VALU_DEP_3) | instskip(NEXT) | instid1(VALU_DEP_3)
	v_fma_f64 v[32:33], v[28:29], s[24:25], v[24:25]
	v_add_f64 v[30:31], v[24:25], v[26:27]
	s_delay_alu instid0(VALU_DEP_1) | instskip(NEXT) | instid1(VALU_DEP_3)
	v_add_f64 v[24:25], v[24:25], -v[30:31]
	v_add_f64 v[30:31], v[30:31], -v[32:33]
	s_delay_alu instid0(VALU_DEP_2) | instskip(SKIP_1) | instid1(VALU_DEP_2)
	v_add_f64 v[24:25], v[24:25], v[26:27]
	v_fma_f64 v[26:27], v[28:29], s[8:9], v[26:27]
	v_add_f64 v[24:25], v[30:31], v[24:25]
	s_delay_alu instid0(VALU_DEP_1) | instskip(NEXT) | instid1(VALU_DEP_1)
	v_add_f64 v[24:25], v[24:25], -v[26:27]
	v_fma_f64 v[26:27], v[28:29], s[26:27], v[24:25]
	s_delay_alu instid0(VALU_DEP_1) | instskip(NEXT) | instid1(VALU_DEP_1)
	v_add_f64 v[24:25], v[32:33], v[26:27]
	v_add_f64 v[30:31], v[24:25], -v[32:33]
	s_delay_alu instid0(VALU_DEP_1)
	v_add_f64 v[26:27], v[26:27], -v[30:31]
.LBB254_293:                            ;   in Loop: Header=BB254_233 Depth=1
	s_or_b32 exec_lo, exec_lo, s0
                                        ; implicit-def: $vgpr32
                                        ; implicit-def: $vgpr28_vgpr29
                                        ; implicit-def: $vgpr30_vgpr31
	s_and_saveexec_b32 s0, s1
	s_delay_alu instid0(SALU_CYCLE_1)
	s_xor_b32 s1, exec_lo, s0
	s_cbranch_execz .LBB254_295
; %bb.294:                              ;   in Loop: Header=BB254_233 Depth=1
	v_ldexp_f64 v[28:29], |v[14:15]|, 0xffffff80
	v_cmp_le_f64_e64 vcc_lo, 0x7b000000, |v[14:15]|
	v_trig_preop_f64 v[30:31], |v[14:15]|, 0
	v_and_b32_e32 v17, 0x7fffffff, v15
	v_trig_preop_f64 v[32:33], |v[14:15]|, 1
	v_trig_preop_f64 v[42:43], |v[14:15]|, 2
	s_mov_b32 s4, s6
	s_mov_b32 s21, s9
	v_dual_cndmask_b32 v28, v14, v28 :: v_dual_cndmask_b32 v29, v17, v29
	s_delay_alu instid0(VALU_DEP_1) | instskip(NEXT) | instid1(VALU_DEP_4)
	v_mul_f64 v[34:35], v[30:31], v[28:29]
	v_mul_f64 v[36:37], v[32:33], v[28:29]
	s_delay_alu instid0(VALU_DEP_2) | instskip(NEXT) | instid1(VALU_DEP_2)
	v_fma_f64 v[30:31], v[30:31], v[28:29], -v[34:35]
	v_fma_f64 v[32:33], v[32:33], v[28:29], -v[36:37]
	s_delay_alu instid0(VALU_DEP_2) | instskip(NEXT) | instid1(VALU_DEP_1)
	v_add_f64 v[38:39], v[36:37], v[30:31]
	v_add_f64 v[40:41], v[38:39], -v[36:37]
	v_add_f64 v[46:47], v[34:35], v[38:39]
	s_delay_alu instid0(VALU_DEP_2) | instskip(SKIP_1) | instid1(VALU_DEP_3)
	v_add_f64 v[44:45], v[38:39], -v[40:41]
	v_add_f64 v[30:31], v[30:31], -v[40:41]
	v_ldexp_f64 v[40:41], v[46:47], -2
	v_add_f64 v[34:35], v[46:47], -v[34:35]
	s_delay_alu instid0(VALU_DEP_4) | instskip(NEXT) | instid1(VALU_DEP_3)
	v_add_f64 v[36:37], v[36:37], -v[44:45]
	v_cmp_neq_f64_e64 vcc_lo, 0x7ff00000, |v[40:41]|
	s_delay_alu instid0(VALU_DEP_3) | instskip(NEXT) | instid1(VALU_DEP_3)
	v_add_f64 v[34:35], v[38:39], -v[34:35]
	v_add_f64 v[30:31], v[30:31], v[36:37]
	v_fract_f64_e32 v[36:37], v[40:41]
	s_delay_alu instid0(VALU_DEP_1) | instskip(SKIP_1) | instid1(VALU_DEP_3)
	v_cndmask_b32_e32 v36, 0, v36, vcc_lo
	v_mul_f64 v[48:49], v[42:43], v[28:29]
	v_cndmask_b32_e32 v37, 0, v37, vcc_lo
	s_delay_alu instid0(VALU_DEP_1) | instskip(NEXT) | instid1(VALU_DEP_3)
	v_ldexp_f64 v[36:37], v[36:37], 2
	v_add_f64 v[44:45], v[48:49], v[32:33]
	v_fma_f64 v[28:29], v[42:43], v[28:29], -v[48:49]
	s_delay_alu instid0(VALU_DEP_2) | instskip(NEXT) | instid1(VALU_DEP_1)
	v_add_f64 v[38:39], v[44:45], v[30:31]
	v_add_f64 v[40:41], v[34:35], v[38:39]
	v_add_f64 v[50:51], v[38:39], -v[44:45]
	s_delay_alu instid0(VALU_DEP_2) | instskip(NEXT) | instid1(VALU_DEP_2)
	v_add_f64 v[46:47], v[40:41], v[36:37]
	v_add_f64 v[56:57], v[38:39], -v[50:51]
	v_add_f64 v[30:31], v[30:31], -v[50:51]
	;; [unrolled: 1-line block ×3, first 2 shown]
	s_delay_alu instid0(VALU_DEP_4) | instskip(SKIP_2) | instid1(VALU_DEP_2)
	v_cmp_gt_f64_e32 vcc_lo, 0, v[46:47]
	v_add_f64 v[46:47], v[44:45], -v[48:49]
	v_cndmask_b32_e64 v17, 0, 0x40100000, vcc_lo
	v_add_f64 v[54:55], v[44:45], -v[46:47]
	v_add_f64 v[32:33], v[32:33], -v[46:47]
	;; [unrolled: 1-line block ×3, first 2 shown]
	s_delay_alu instid0(VALU_DEP_4) | instskip(NEXT) | instid1(VALU_DEP_4)
	v_add_f64 v[36:37], v[36:37], v[16:17]
	v_add_f64 v[46:47], v[48:49], -v[54:55]
	s_delay_alu instid0(VALU_DEP_3) | instskip(NEXT) | instid1(VALU_DEP_3)
	v_add_f64 v[30:31], v[30:31], v[44:45]
	v_add_f64 v[52:53], v[40:41], v[36:37]
	s_delay_alu instid0(VALU_DEP_3) | instskip(NEXT) | instid1(VALU_DEP_2)
	v_add_f64 v[32:33], v[32:33], v[46:47]
	v_cvt_i32_f64_e32 v17, v[52:53]
	s_delay_alu instid0(VALU_DEP_2) | instskip(SKIP_1) | instid1(VALU_DEP_3)
	v_add_f64 v[30:31], v[32:33], v[30:31]
	v_add_f64 v[32:33], v[38:39], -v[34:35]
	v_cvt_f64_i32_e32 v[50:51], v17
	s_delay_alu instid0(VALU_DEP_3) | instskip(NEXT) | instid1(VALU_DEP_2)
	v_add_f64 v[28:29], v[28:29], v[30:31]
	v_add_f64 v[36:37], v[36:37], -v[50:51]
	s_delay_alu instid0(VALU_DEP_2) | instskip(NEXT) | instid1(VALU_DEP_2)
	v_add_f64 v[28:29], v[32:33], v[28:29]
	v_add_f64 v[42:43], v[40:41], v[36:37]
	s_delay_alu instid0(VALU_DEP_1) | instskip(SKIP_1) | instid1(VALU_DEP_2)
	v_add_f64 v[30:31], v[42:43], -v[36:37]
	v_cmp_le_f64_e32 vcc_lo, 0.5, v[42:43]
	v_add_f64 v[30:31], v[40:41], -v[30:31]
	v_add_co_ci_u32_e64 v32, s0, 0, v17, vcc_lo
	v_cndmask_b32_e64 v17, 0, 0x3ff00000, vcc_lo
	s_delay_alu instid0(VALU_DEP_3) | instskip(NEXT) | instid1(VALU_DEP_2)
	v_add_f64 v[28:29], v[28:29], v[30:31]
	v_add_f64 v[30:31], v[42:43], -v[16:17]
	s_delay_alu instid0(VALU_DEP_1) | instskip(NEXT) | instid1(VALU_DEP_1)
	v_add_f64 v[33:34], v[30:31], v[28:29]
	v_mul_f64 v[35:36], v[33:34], s[4:5]
	v_add_f64 v[30:31], v[33:34], -v[30:31]
	s_delay_alu instid0(VALU_DEP_2) | instskip(NEXT) | instid1(VALU_DEP_2)
	v_fma_f64 v[37:38], v[33:34], s[4:5], -v[35:36]
	v_add_f64 v[28:29], v[28:29], -v[30:31]
	s_delay_alu instid0(VALU_DEP_2) | instskip(NEXT) | instid1(VALU_DEP_1)
	v_fma_f64 v[30:31], v[33:34], s[20:21], v[37:38]
	v_fma_f64 v[30:31], v[28:29], s[4:5], v[30:31]
	s_delay_alu instid0(VALU_DEP_1) | instskip(NEXT) | instid1(VALU_DEP_1)
	v_add_f64 v[28:29], v[35:36], v[30:31]
	v_add_f64 v[33:34], v[28:29], -v[35:36]
	s_delay_alu instid0(VALU_DEP_1)
	v_add_f64 v[30:31], v[30:31], -v[33:34]
	s_and_not1_saveexec_b32 s0, s1
	s_cbranch_execnz .LBB254_296
	s_branch .LBB254_297
.LBB254_295:                            ;   in Loop: Header=BB254_233 Depth=1
	s_and_not1_saveexec_b32 s0, s1
	s_cbranch_execz .LBB254_297
.LBB254_296:                            ;   in Loop: Header=BB254_233 Depth=1
	v_mul_f64 v[28:29], |v[14:15]|, s[22:23]
	s_mov_b32 s8, s24
	s_delay_alu instid0(VALU_DEP_1) | instskip(NEXT) | instid1(VALU_DEP_1)
	v_rndne_f64_e32 v[32:33], v[28:29]
	v_fma_f64 v[28:29], v[32:33], s[6:7], |v[14:15]|
	v_mul_f64 v[30:31], v[32:33], s[24:25]
	s_delay_alu instid0(VALU_DEP_2) | instskip(NEXT) | instid1(VALU_DEP_2)
	v_fma_f64 v[36:37], v[32:33], s[24:25], v[28:29]
	v_add_f64 v[34:35], v[28:29], v[30:31]
	s_delay_alu instid0(VALU_DEP_1) | instskip(NEXT) | instid1(VALU_DEP_3)
	v_add_f64 v[28:29], v[28:29], -v[34:35]
	v_add_f64 v[34:35], v[34:35], -v[36:37]
	s_delay_alu instid0(VALU_DEP_2) | instskip(SKIP_1) | instid1(VALU_DEP_2)
	v_add_f64 v[28:29], v[28:29], v[30:31]
	v_fma_f64 v[30:31], v[32:33], s[8:9], v[30:31]
	v_add_f64 v[28:29], v[34:35], v[28:29]
	s_delay_alu instid0(VALU_DEP_1) | instskip(NEXT) | instid1(VALU_DEP_1)
	v_add_f64 v[28:29], v[28:29], -v[30:31]
	v_fma_f64 v[30:31], v[32:33], s[26:27], v[28:29]
	v_cvt_i32_f64_e32 v32, v[32:33]
	s_delay_alu instid0(VALU_DEP_2) | instskip(NEXT) | instid1(VALU_DEP_1)
	v_add_f64 v[28:29], v[36:37], v[30:31]
	v_add_f64 v[34:35], v[28:29], -v[36:37]
	s_delay_alu instid0(VALU_DEP_1)
	v_add_f64 v[30:31], v[30:31], -v[34:35]
.LBB254_297:                            ;   in Loop: Header=BB254_233 Depth=1
	s_or_b32 exec_lo, exec_lo, s0
	s_mov_b32 s28, s30
	v_mul_f64 v[39:40], v[24:25], v[24:25]
	v_mul_f64 v[33:34], v[12:13], s[28:29]
	;; [unrolled: 1-line block ×3, first 2 shown]
	s_mov_b32 s75, s47
	s_mov_b32 s77, s49
	s_delay_alu instid0(VALU_DEP_4)
	v_mul_f64 v[59:60], v[26:27], 0.5
	v_mul_f64 v[65:66], v[30:31], 0.5
	s_mov_b32 s78, s48
	v_cmp_class_f64_e64 s0, v[14:15], 0x1f8
	v_cmp_ngt_f64_e64 s1, 0xc0900000, v[12:13]
	v_cmp_nlt_f64_e64 s2, 0x4090cc00, v[12:13]
	v_and_b32_e32 v14, 1, v32
	s_delay_alu instid0(VALU_DEP_1)
	v_cmp_eq_u32_e64 s3, 0, v14
	v_fma_f64 v[43:44], v[39:40], s[66:67], s[64:65]
	v_rndne_f64_e32 v[33:34], v[33:34]
	v_fma_f64 v[45:46], v[41:42], s[66:67], s[64:65]
	v_fma_f64 v[47:48], v[39:40], s[56:57], s[54:55]
	v_mul_f64 v[49:50], v[39:40], 0.5
	v_fma_f64 v[51:52], v[41:42], s[56:57], s[54:55]
	v_mul_f64 v[53:54], v[41:42], 0.5
	v_mul_f64 v[61:62], v[24:25], -v[39:40]
	v_mul_f64 v[67:68], v[28:29], -v[41:42]
	v_fma_f64 v[43:44], v[39:40], v[43:44], s[68:69]
	v_fma_f64 v[35:36], v[33:34], s[16:17], -v[12:13]
	v_fma_f64 v[45:46], v[41:42], v[45:46], s[68:69]
	v_fma_f64 v[47:48], v[39:40], v[47:48], s[58:59]
	v_add_f64 v[55:56], -v[49:50], 1.0
	v_fma_f64 v[51:52], v[41:42], v[51:52], s[58:59]
	v_add_f64 v[57:58], -v[53:54], 1.0
	v_cvt_i32_f64_e32 v17, v[33:34]
	v_lshlrev_b32_e32 v13, 30, v22
	v_lshlrev_b32_e32 v12, 30, v32
	s_delay_alu instid0(VALU_DEP_1)
	v_xor_b32_e32 v12, v12, v23
	v_fma_f64 v[43:44], v[39:40], v[43:44], s[70:71]
	v_fma_f64 v[35:36], v[33:34], s[18:19], v[35:36]
	;; [unrolled: 1-line block ×4, first 2 shown]
	v_add_f64 v[63:64], -v[55:56], 1.0
	v_fma_f64 v[51:52], v[41:42], v[51:52], s[60:61]
	v_add_f64 v[69:70], -v[57:58], 1.0
	v_fma_f64 v[43:44], v[39:40], v[43:44], s[46:47]
	v_fma_f64 v[37:38], v[35:36], s[36:37], s[34:35]
	;; [unrolled: 1-line block ×4, first 2 shown]
	v_add_f64 v[49:50], v[63:64], -v[49:50]
	v_fma_f64 v[51:52], v[41:42], v[51:52], s[62:63]
	v_add_f64 v[53:54], v[69:70], -v[53:54]
	v_fma_f64 v[43:44], v[61:62], v[43:44], v[59:60]
	v_fma_f64 v[37:38], v[35:36], v[37:38], s[38:39]
	v_fma_f64 v[45:46], v[67:68], v[45:46], v[65:66]
	v_mul_f64 v[59:60], v[39:40], v[39:40]
	v_fma_f64 v[47:48], v[39:40], v[47:48], s[48:49]
	v_fma_f64 v[49:50], v[24:25], -v[26:27], v[49:50]
	v_fma_f64 v[26:27], v[39:40], v[43:44], -v[26:27]
	v_fma_f64 v[37:38], v[35:36], v[37:38], s[40:41]
	v_mul_f64 v[39:40], v[41:42], v[41:42]
	v_fma_f64 v[43:44], v[41:42], v[51:52], s[48:49]
	v_fma_f64 v[51:52], v[28:29], -v[30:31], v[53:54]
	v_fma_f64 v[30:31], v[41:42], v[45:46], -v[30:31]
	v_fma_f64 v[41:42], v[59:60], v[47:48], v[49:50]
	v_fma_f64 v[26:27], v[61:62], s[78:79], v[26:27]
	;; [unrolled: 1-line block ×3, first 2 shown]
	s_delay_alu instid0(VALU_DEP_4) | instskip(NEXT) | instid1(VALU_DEP_3)
	v_fma_f64 v[30:31], v[67:68], s[78:79], v[30:31]
	v_add_f64 v[24:25], v[24:25], -v[26:27]
	s_delay_alu instid0(VALU_DEP_3) | instskip(NEXT) | instid1(VALU_DEP_3)
	v_fma_f64 v[37:38], v[35:36], v[37:38], s[44:45]
	v_add_f64 v[28:29], v[28:29], -v[30:31]
	s_delay_alu instid0(VALU_DEP_2) | instskip(NEXT) | instid1(VALU_DEP_1)
	v_fma_f64 v[37:38], v[35:36], v[37:38], s[74:75]
	v_fma_f64 v[37:38], v[35:36], v[37:38], s[76:77]
	s_delay_alu instid0(VALU_DEP_1) | instskip(NEXT) | instid1(VALU_DEP_1)
	v_fma_f64 v[37:38], v[35:36], v[37:38], s[50:51]
	v_fma_f64 v[37:38], v[35:36], v[37:38], s[52:53]
	s_delay_alu instid0(VALU_DEP_1) | instskip(NEXT) | instid1(VALU_DEP_1)
	v_fma_f64 v[37:38], v[35:36], v[37:38], 1.0
	v_fma_f64 v[33:34], v[35:36], v[37:38], 1.0
	v_fma_f64 v[35:36], v[39:40], v[43:44], v[51:52]
	v_add_f64 v[37:38], v[55:56], v[41:42]
	s_delay_alu instid0(VALU_DEP_3) | instskip(NEXT) | instid1(VALU_DEP_3)
	v_ldexp_f64 v[26:27], v[33:34], v17
	v_add_f64 v[33:34], v[57:58], v[35:36]
	v_and_b32_e32 v17, 1, v22
	v_xor_b32_e32 v22, 0x80000000, v25
	s_delay_alu instid0(VALU_DEP_2) | instskip(NEXT) | instid1(VALU_DEP_2)
	v_cmp_eq_u32_e32 vcc_lo, 0, v17
	v_dual_cndmask_b32 v14, v22, v38 :: v_dual_and_b32 v13, 0x80000000, v13
	v_cndmask_b32_e32 v17, v24, v37, vcc_lo
	s_and_b32 vcc_lo, s2, s1
	v_and_b32_e32 v22, 0x80000000, v12
	s_delay_alu instid0(VALU_DEP_3) | instskip(NEXT) | instid1(VALU_DEP_3)
	v_xor_b32_e32 v13, v14, v13
	v_cndmask_b32_e64 v12, 0, v17, s0
	s_delay_alu instid0(VALU_DEP_2) | instskip(SKIP_3) | instid1(VALU_DEP_2)
	v_cndmask_b32_e64 v13, 0x7ff80000, v13, s0
	v_cndmask_b32_e64 v15, 0x7ff00000, v27, s1
	;; [unrolled: 1-line block ×4, first 2 shown]
	v_xor_b32_e32 v17, v24, v22
	s_delay_alu instid0(VALU_DEP_2) | instskip(SKIP_2) | instid1(VALU_DEP_4)
	v_cndmask_b32_e64 v14, 0, v23, s0
	v_cndmask_b32_e64 v23, 0, v15, s2
	v_cndmask_b32_e32 v22, 0, v26, vcc_lo
	v_cndmask_b32_e64 v15, 0x7ff80000, v17, s0
	s_delay_alu instid0(VALU_DEP_2) | instskip(NEXT) | instid1(VALU_DEP_2)
	v_mul_f64 v[24:25], v[22:23], v[12:13]
	v_mul_f64 v[22:23], v[22:23], v[14:15]
                                        ; implicit-def: $vgpr14_vgpr15
.LBB254_298:                            ;   in Loop: Header=BB254_233 Depth=1
	s_and_not1_saveexec_b32 s28, s86
	s_cbranch_execz .LBB254_308
; %bb.299:                              ;   in Loop: Header=BB254_233 Depth=1
	v_cmp_ngt_f64_e64 s1, 0x41d00000, |v[14:15]|
                                        ; implicit-def: $vgpr22
                                        ; implicit-def: $vgpr24_vgpr25
                                        ; implicit-def: $vgpr26_vgpr27
	s_delay_alu instid0(VALU_DEP_1) | instskip(NEXT) | instid1(SALU_CYCLE_1)
	s_and_saveexec_b32 s0, s1
	s_xor_b32 s2, exec_lo, s0
	s_cbranch_execz .LBB254_301
; %bb.300:                              ;   in Loop: Header=BB254_233 Depth=1
	v_ldexp_f64 v[24:25], |v[14:15]|, 0xffffff80
	v_cmp_le_f64_e64 vcc_lo, 0x7b000000, |v[14:15]|
	v_trig_preop_f64 v[26:27], |v[14:15]|, 0
	v_and_b32_e32 v17, 0x7fffffff, v15
	v_trig_preop_f64 v[28:29], |v[14:15]|, 1
	v_trig_preop_f64 v[38:39], |v[14:15]|, 2
	s_mov_b32 s4, s6
	s_mov_b32 s21, s9
	v_dual_cndmask_b32 v24, v14, v24 :: v_dual_cndmask_b32 v25, v17, v25
	s_delay_alu instid0(VALU_DEP_1) | instskip(NEXT) | instid1(VALU_DEP_4)
	v_mul_f64 v[30:31], v[26:27], v[24:25]
	v_mul_f64 v[32:33], v[28:29], v[24:25]
	s_delay_alu instid0(VALU_DEP_2) | instskip(NEXT) | instid1(VALU_DEP_2)
	v_fma_f64 v[26:27], v[26:27], v[24:25], -v[30:31]
	v_fma_f64 v[28:29], v[28:29], v[24:25], -v[32:33]
	s_delay_alu instid0(VALU_DEP_2) | instskip(NEXT) | instid1(VALU_DEP_1)
	v_add_f64 v[34:35], v[32:33], v[26:27]
	v_add_f64 v[36:37], v[34:35], -v[32:33]
	v_add_f64 v[42:43], v[30:31], v[34:35]
	s_delay_alu instid0(VALU_DEP_2) | instskip(SKIP_1) | instid1(VALU_DEP_3)
	v_add_f64 v[40:41], v[34:35], -v[36:37]
	v_add_f64 v[26:27], v[26:27], -v[36:37]
	v_ldexp_f64 v[36:37], v[42:43], -2
	v_add_f64 v[30:31], v[42:43], -v[30:31]
	s_delay_alu instid0(VALU_DEP_4) | instskip(NEXT) | instid1(VALU_DEP_3)
	v_add_f64 v[32:33], v[32:33], -v[40:41]
	v_cmp_neq_f64_e64 vcc_lo, 0x7ff00000, |v[36:37]|
	s_delay_alu instid0(VALU_DEP_3) | instskip(NEXT) | instid1(VALU_DEP_3)
	v_add_f64 v[30:31], v[34:35], -v[30:31]
	v_add_f64 v[26:27], v[26:27], v[32:33]
	v_fract_f64_e32 v[32:33], v[36:37]
	s_delay_alu instid0(VALU_DEP_1) | instskip(SKIP_1) | instid1(VALU_DEP_3)
	v_cndmask_b32_e32 v32, 0, v32, vcc_lo
	v_mul_f64 v[44:45], v[38:39], v[24:25]
	v_cndmask_b32_e32 v33, 0, v33, vcc_lo
	s_delay_alu instid0(VALU_DEP_1) | instskip(NEXT) | instid1(VALU_DEP_3)
	v_ldexp_f64 v[32:33], v[32:33], 2
	v_add_f64 v[40:41], v[44:45], v[28:29]
	v_fma_f64 v[24:25], v[38:39], v[24:25], -v[44:45]
	s_delay_alu instid0(VALU_DEP_2) | instskip(NEXT) | instid1(VALU_DEP_1)
	v_add_f64 v[34:35], v[40:41], v[26:27]
	v_add_f64 v[36:37], v[30:31], v[34:35]
	v_add_f64 v[46:47], v[34:35], -v[40:41]
	s_delay_alu instid0(VALU_DEP_2) | instskip(NEXT) | instid1(VALU_DEP_2)
	v_add_f64 v[42:43], v[36:37], v[32:33]
	v_add_f64 v[52:53], v[34:35], -v[46:47]
	v_add_f64 v[26:27], v[26:27], -v[46:47]
	;; [unrolled: 1-line block ×3, first 2 shown]
	s_delay_alu instid0(VALU_DEP_4) | instskip(SKIP_1) | instid1(VALU_DEP_3)
	v_cmp_gt_f64_e32 vcc_lo, 0, v[42:43]
	v_add_f64 v[42:43], v[40:41], -v[44:45]
	v_add_f64 v[30:31], v[34:35], -v[30:31]
	v_cndmask_b32_e64 v17, 0, 0x40100000, vcc_lo
	s_delay_alu instid0(VALU_DEP_3) | instskip(SKIP_2) | instid1(VALU_DEP_4)
	v_add_f64 v[50:51], v[40:41], -v[42:43]
	v_add_f64 v[28:29], v[28:29], -v[42:43]
	;; [unrolled: 1-line block ×3, first 2 shown]
	v_add_f64 v[32:33], v[32:33], v[16:17]
	s_delay_alu instid0(VALU_DEP_4) | instskip(NEXT) | instid1(VALU_DEP_3)
	v_add_f64 v[42:43], v[44:45], -v[50:51]
	v_add_f64 v[26:27], v[26:27], v[40:41]
	s_delay_alu instid0(VALU_DEP_3) | instskip(NEXT) | instid1(VALU_DEP_3)
	v_add_f64 v[48:49], v[36:37], v[32:33]
	v_add_f64 v[28:29], v[28:29], v[42:43]
	s_delay_alu instid0(VALU_DEP_2) | instskip(NEXT) | instid1(VALU_DEP_2)
	v_cvt_i32_f64_e32 v17, v[48:49]
	v_add_f64 v[26:27], v[28:29], v[26:27]
	s_delay_alu instid0(VALU_DEP_2) | instskip(NEXT) | instid1(VALU_DEP_2)
	v_cvt_f64_i32_e32 v[46:47], v17
	v_add_f64 v[24:25], v[24:25], v[26:27]
	s_delay_alu instid0(VALU_DEP_2) | instskip(NEXT) | instid1(VALU_DEP_2)
	v_add_f64 v[32:33], v[32:33], -v[46:47]
	v_add_f64 v[24:25], v[30:31], v[24:25]
	s_delay_alu instid0(VALU_DEP_2) | instskip(NEXT) | instid1(VALU_DEP_1)
	v_add_f64 v[28:29], v[36:37], v[32:33]
	v_add_f64 v[26:27], v[28:29], -v[32:33]
	v_cmp_le_f64_e32 vcc_lo, 0.5, v[28:29]
	s_delay_alu instid0(VALU_DEP_2) | instskip(SKIP_2) | instid1(VALU_DEP_3)
	v_add_f64 v[26:27], v[36:37], -v[26:27]
	v_add_co_ci_u32_e64 v22, s0, 0, v17, vcc_lo
	v_cndmask_b32_e64 v17, 0, 0x3ff00000, vcc_lo
	v_add_f64 v[24:25], v[24:25], v[26:27]
	s_delay_alu instid0(VALU_DEP_2) | instskip(NEXT) | instid1(VALU_DEP_1)
	v_add_f64 v[26:27], v[28:29], -v[16:17]
	v_add_f64 v[28:29], v[26:27], v[24:25]
	s_delay_alu instid0(VALU_DEP_1) | instskip(SKIP_1) | instid1(VALU_DEP_2)
	v_mul_f64 v[30:31], v[28:29], s[4:5]
	v_add_f64 v[26:27], v[28:29], -v[26:27]
	v_fma_f64 v[32:33], v[28:29], s[4:5], -v[30:31]
	s_delay_alu instid0(VALU_DEP_2) | instskip(NEXT) | instid1(VALU_DEP_2)
	v_add_f64 v[24:25], v[24:25], -v[26:27]
	v_fma_f64 v[26:27], v[28:29], s[20:21], v[32:33]
	s_delay_alu instid0(VALU_DEP_1) | instskip(NEXT) | instid1(VALU_DEP_1)
	v_fma_f64 v[26:27], v[24:25], s[4:5], v[26:27]
	v_add_f64 v[24:25], v[30:31], v[26:27]
	s_delay_alu instid0(VALU_DEP_1) | instskip(NEXT) | instid1(VALU_DEP_1)
	v_add_f64 v[28:29], v[24:25], -v[30:31]
	v_add_f64 v[26:27], v[26:27], -v[28:29]
	s_and_not1_saveexec_b32 s0, s2
	s_cbranch_execz .LBB254_303
	s_branch .LBB254_302
.LBB254_301:                            ;   in Loop: Header=BB254_233 Depth=1
	s_and_not1_saveexec_b32 s0, s2
	s_cbranch_execz .LBB254_303
.LBB254_302:                            ;   in Loop: Header=BB254_233 Depth=1
	v_mul_f64 v[24:25], |v[14:15]|, s[22:23]
	s_mov_b32 s8, s24
	s_delay_alu instid0(VALU_DEP_1) | instskip(NEXT) | instid1(VALU_DEP_1)
	v_rndne_f64_e32 v[28:29], v[24:25]
	v_fma_f64 v[24:25], v[28:29], s[6:7], |v[14:15]|
	v_mul_f64 v[26:27], v[28:29], s[24:25]
	v_cvt_i32_f64_e32 v22, v[28:29]
	s_delay_alu instid0(VALU_DEP_3) | instskip(NEXT) | instid1(VALU_DEP_3)
	v_fma_f64 v[32:33], v[28:29], s[24:25], v[24:25]
	v_add_f64 v[30:31], v[24:25], v[26:27]
	s_delay_alu instid0(VALU_DEP_1) | instskip(NEXT) | instid1(VALU_DEP_3)
	v_add_f64 v[24:25], v[24:25], -v[30:31]
	v_add_f64 v[30:31], v[30:31], -v[32:33]
	s_delay_alu instid0(VALU_DEP_2) | instskip(SKIP_1) | instid1(VALU_DEP_2)
	v_add_f64 v[24:25], v[24:25], v[26:27]
	v_fma_f64 v[26:27], v[28:29], s[8:9], v[26:27]
	v_add_f64 v[24:25], v[30:31], v[24:25]
	s_delay_alu instid0(VALU_DEP_1) | instskip(NEXT) | instid1(VALU_DEP_1)
	v_add_f64 v[24:25], v[24:25], -v[26:27]
	v_fma_f64 v[26:27], v[28:29], s[26:27], v[24:25]
	s_delay_alu instid0(VALU_DEP_1) | instskip(NEXT) | instid1(VALU_DEP_1)
	v_add_f64 v[24:25], v[32:33], v[26:27]
	v_add_f64 v[30:31], v[24:25], -v[32:33]
	s_delay_alu instid0(VALU_DEP_1)
	v_add_f64 v[26:27], v[26:27], -v[30:31]
.LBB254_303:                            ;   in Loop: Header=BB254_233 Depth=1
	s_or_b32 exec_lo, exec_lo, s0
                                        ; implicit-def: $vgpr32
                                        ; implicit-def: $vgpr28_vgpr29
                                        ; implicit-def: $vgpr30_vgpr31
	s_and_saveexec_b32 s0, s1
	s_delay_alu instid0(SALU_CYCLE_1)
	s_xor_b32 s1, exec_lo, s0
	s_cbranch_execz .LBB254_305
; %bb.304:                              ;   in Loop: Header=BB254_233 Depth=1
	v_ldexp_f64 v[28:29], |v[14:15]|, 0xffffff80
	v_cmp_le_f64_e64 vcc_lo, 0x7b000000, |v[14:15]|
	v_trig_preop_f64 v[30:31], |v[14:15]|, 0
	v_and_b32_e32 v17, 0x7fffffff, v15
	v_trig_preop_f64 v[32:33], |v[14:15]|, 1
	v_trig_preop_f64 v[42:43], |v[14:15]|, 2
	s_mov_b32 s4, s6
	s_mov_b32 s21, s9
	v_dual_cndmask_b32 v28, v14, v28 :: v_dual_cndmask_b32 v29, v17, v29
	s_delay_alu instid0(VALU_DEP_1) | instskip(NEXT) | instid1(VALU_DEP_4)
	v_mul_f64 v[34:35], v[30:31], v[28:29]
	v_mul_f64 v[36:37], v[32:33], v[28:29]
	s_delay_alu instid0(VALU_DEP_2) | instskip(NEXT) | instid1(VALU_DEP_2)
	v_fma_f64 v[30:31], v[30:31], v[28:29], -v[34:35]
	v_fma_f64 v[32:33], v[32:33], v[28:29], -v[36:37]
	s_delay_alu instid0(VALU_DEP_2) | instskip(NEXT) | instid1(VALU_DEP_1)
	v_add_f64 v[38:39], v[36:37], v[30:31]
	v_add_f64 v[40:41], v[38:39], -v[36:37]
	v_add_f64 v[46:47], v[34:35], v[38:39]
	s_delay_alu instid0(VALU_DEP_2) | instskip(SKIP_1) | instid1(VALU_DEP_3)
	v_add_f64 v[44:45], v[38:39], -v[40:41]
	v_add_f64 v[30:31], v[30:31], -v[40:41]
	v_ldexp_f64 v[40:41], v[46:47], -2
	v_add_f64 v[34:35], v[46:47], -v[34:35]
	s_delay_alu instid0(VALU_DEP_4) | instskip(NEXT) | instid1(VALU_DEP_3)
	v_add_f64 v[36:37], v[36:37], -v[44:45]
	v_cmp_neq_f64_e64 vcc_lo, 0x7ff00000, |v[40:41]|
	s_delay_alu instid0(VALU_DEP_3) | instskip(NEXT) | instid1(VALU_DEP_3)
	v_add_f64 v[34:35], v[38:39], -v[34:35]
	v_add_f64 v[30:31], v[30:31], v[36:37]
	v_fract_f64_e32 v[36:37], v[40:41]
	s_delay_alu instid0(VALU_DEP_1) | instskip(SKIP_1) | instid1(VALU_DEP_3)
	v_cndmask_b32_e32 v36, 0, v36, vcc_lo
	v_mul_f64 v[48:49], v[42:43], v[28:29]
	v_cndmask_b32_e32 v37, 0, v37, vcc_lo
	s_delay_alu instid0(VALU_DEP_1) | instskip(NEXT) | instid1(VALU_DEP_3)
	v_ldexp_f64 v[36:37], v[36:37], 2
	v_add_f64 v[44:45], v[48:49], v[32:33]
	v_fma_f64 v[28:29], v[42:43], v[28:29], -v[48:49]
	s_delay_alu instid0(VALU_DEP_2) | instskip(NEXT) | instid1(VALU_DEP_1)
	v_add_f64 v[38:39], v[44:45], v[30:31]
	v_add_f64 v[40:41], v[34:35], v[38:39]
	v_add_f64 v[50:51], v[38:39], -v[44:45]
	s_delay_alu instid0(VALU_DEP_2) | instskip(NEXT) | instid1(VALU_DEP_2)
	v_add_f64 v[46:47], v[40:41], v[36:37]
	v_add_f64 v[56:57], v[38:39], -v[50:51]
	v_add_f64 v[30:31], v[30:31], -v[50:51]
	;; [unrolled: 1-line block ×3, first 2 shown]
	s_delay_alu instid0(VALU_DEP_4) | instskip(SKIP_2) | instid1(VALU_DEP_2)
	v_cmp_gt_f64_e32 vcc_lo, 0, v[46:47]
	v_add_f64 v[46:47], v[44:45], -v[48:49]
	v_cndmask_b32_e64 v17, 0, 0x40100000, vcc_lo
	v_add_f64 v[54:55], v[44:45], -v[46:47]
	v_add_f64 v[32:33], v[32:33], -v[46:47]
	;; [unrolled: 1-line block ×3, first 2 shown]
	s_delay_alu instid0(VALU_DEP_4) | instskip(NEXT) | instid1(VALU_DEP_4)
	v_add_f64 v[36:37], v[36:37], v[16:17]
	v_add_f64 v[46:47], v[48:49], -v[54:55]
	s_delay_alu instid0(VALU_DEP_3) | instskip(NEXT) | instid1(VALU_DEP_3)
	v_add_f64 v[30:31], v[30:31], v[44:45]
	v_add_f64 v[52:53], v[40:41], v[36:37]
	s_delay_alu instid0(VALU_DEP_3) | instskip(NEXT) | instid1(VALU_DEP_2)
	v_add_f64 v[32:33], v[32:33], v[46:47]
	v_cvt_i32_f64_e32 v17, v[52:53]
	s_delay_alu instid0(VALU_DEP_2) | instskip(SKIP_1) | instid1(VALU_DEP_3)
	v_add_f64 v[30:31], v[32:33], v[30:31]
	v_add_f64 v[32:33], v[38:39], -v[34:35]
	v_cvt_f64_i32_e32 v[50:51], v17
	s_delay_alu instid0(VALU_DEP_3) | instskip(NEXT) | instid1(VALU_DEP_2)
	v_add_f64 v[28:29], v[28:29], v[30:31]
	v_add_f64 v[36:37], v[36:37], -v[50:51]
	s_delay_alu instid0(VALU_DEP_2) | instskip(NEXT) | instid1(VALU_DEP_2)
	v_add_f64 v[28:29], v[32:33], v[28:29]
	v_add_f64 v[42:43], v[40:41], v[36:37]
	s_delay_alu instid0(VALU_DEP_1) | instskip(SKIP_1) | instid1(VALU_DEP_2)
	v_add_f64 v[30:31], v[42:43], -v[36:37]
	v_cmp_le_f64_e32 vcc_lo, 0.5, v[42:43]
	v_add_f64 v[30:31], v[40:41], -v[30:31]
	v_add_co_ci_u32_e64 v32, s0, 0, v17, vcc_lo
	v_cndmask_b32_e64 v17, 0, 0x3ff00000, vcc_lo
	s_delay_alu instid0(VALU_DEP_3) | instskip(NEXT) | instid1(VALU_DEP_2)
	v_add_f64 v[28:29], v[28:29], v[30:31]
	v_add_f64 v[30:31], v[42:43], -v[16:17]
	s_delay_alu instid0(VALU_DEP_1) | instskip(NEXT) | instid1(VALU_DEP_1)
	v_add_f64 v[33:34], v[30:31], v[28:29]
	v_mul_f64 v[35:36], v[33:34], s[4:5]
	v_add_f64 v[30:31], v[33:34], -v[30:31]
	s_delay_alu instid0(VALU_DEP_2) | instskip(NEXT) | instid1(VALU_DEP_2)
	v_fma_f64 v[37:38], v[33:34], s[4:5], -v[35:36]
	v_add_f64 v[28:29], v[28:29], -v[30:31]
	s_delay_alu instid0(VALU_DEP_2) | instskip(NEXT) | instid1(VALU_DEP_1)
	v_fma_f64 v[30:31], v[33:34], s[20:21], v[37:38]
	v_fma_f64 v[30:31], v[28:29], s[4:5], v[30:31]
	s_delay_alu instid0(VALU_DEP_1) | instskip(NEXT) | instid1(VALU_DEP_1)
	v_add_f64 v[28:29], v[35:36], v[30:31]
	v_add_f64 v[33:34], v[28:29], -v[35:36]
	s_delay_alu instid0(VALU_DEP_1)
	v_add_f64 v[30:31], v[30:31], -v[33:34]
	s_and_not1_saveexec_b32 s0, s1
	s_cbranch_execnz .LBB254_306
	s_branch .LBB254_307
.LBB254_305:                            ;   in Loop: Header=BB254_233 Depth=1
	s_and_not1_saveexec_b32 s0, s1
	s_cbranch_execz .LBB254_307
.LBB254_306:                            ;   in Loop: Header=BB254_233 Depth=1
	v_mul_f64 v[28:29], |v[14:15]|, s[22:23]
	s_mov_b32 s8, s24
	s_delay_alu instid0(VALU_DEP_1) | instskip(NEXT) | instid1(VALU_DEP_1)
	v_rndne_f64_e32 v[32:33], v[28:29]
	v_fma_f64 v[28:29], v[32:33], s[6:7], |v[14:15]|
	v_mul_f64 v[30:31], v[32:33], s[24:25]
	s_delay_alu instid0(VALU_DEP_2) | instskip(NEXT) | instid1(VALU_DEP_2)
	v_fma_f64 v[36:37], v[32:33], s[24:25], v[28:29]
	v_add_f64 v[34:35], v[28:29], v[30:31]
	s_delay_alu instid0(VALU_DEP_1) | instskip(NEXT) | instid1(VALU_DEP_3)
	v_add_f64 v[28:29], v[28:29], -v[34:35]
	v_add_f64 v[34:35], v[34:35], -v[36:37]
	s_delay_alu instid0(VALU_DEP_2) | instskip(SKIP_1) | instid1(VALU_DEP_2)
	v_add_f64 v[28:29], v[28:29], v[30:31]
	v_fma_f64 v[30:31], v[32:33], s[8:9], v[30:31]
	v_add_f64 v[28:29], v[34:35], v[28:29]
	s_delay_alu instid0(VALU_DEP_1) | instskip(NEXT) | instid1(VALU_DEP_1)
	v_add_f64 v[28:29], v[28:29], -v[30:31]
	v_fma_f64 v[30:31], v[32:33], s[26:27], v[28:29]
	v_cvt_i32_f64_e32 v32, v[32:33]
	s_delay_alu instid0(VALU_DEP_2) | instskip(NEXT) | instid1(VALU_DEP_1)
	v_add_f64 v[28:29], v[36:37], v[30:31]
	v_add_f64 v[34:35], v[28:29], -v[36:37]
	s_delay_alu instid0(VALU_DEP_1)
	v_add_f64 v[30:31], v[30:31], -v[34:35]
.LBB254_307:                            ;   in Loop: Header=BB254_233 Depth=1
	s_or_b32 exec_lo, exec_lo, s0
	v_add_f64 v[12:13], -v[12:13], s[72:73]
	s_delay_alu instid0(VALU_DEP_4) | instskip(SKIP_3) | instid1(VALU_DEP_4)
	v_mul_f64 v[39:40], v[24:25], v[24:25]
	v_mul_f64 v[41:42], v[28:29], v[28:29]
	s_mov_b32 s75, s47
	s_mov_b32 s77, s49
	v_mul_f64 v[59:60], v[26:27], 0.5
	v_mul_f64 v[65:66], v[30:31], 0.5
	s_mov_b32 s78, s48
	v_cmp_class_f64_e64 s0, v[14:15], 0x1f8
	v_mul_f64 v[33:34], v[12:13], s[30:31]
	v_fma_f64 v[43:44], v[39:40], s[66:67], s[64:65]
	v_fma_f64 v[45:46], v[41:42], s[66:67], s[64:65]
	;; [unrolled: 1-line block ×3, first 2 shown]
	v_mul_f64 v[49:50], v[39:40], 0.5
	v_fma_f64 v[51:52], v[41:42], s[56:57], s[54:55]
	v_mul_f64 v[53:54], v[41:42], 0.5
	v_mul_f64 v[61:62], v[24:25], -v[39:40]
	v_mul_f64 v[67:68], v[28:29], -v[41:42]
	v_cmp_nlt_f64_e64 s1, 0x40900000, v[12:13]
	v_cmp_ngt_f64_e64 s2, 0xc090cc00, v[12:13]
	v_rndne_f64_e32 v[33:34], v[33:34]
	v_fma_f64 v[43:44], v[39:40], v[43:44], s[68:69]
	v_fma_f64 v[45:46], v[41:42], v[45:46], s[68:69]
	;; [unrolled: 1-line block ×3, first 2 shown]
	v_add_f64 v[55:56], -v[49:50], 1.0
	v_fma_f64 v[51:52], v[41:42], v[51:52], s[58:59]
	v_add_f64 v[57:58], -v[53:54], 1.0
	v_fma_f64 v[35:36], v[33:34], s[16:17], v[12:13]
	v_fma_f64 v[43:44], v[39:40], v[43:44], s[70:71]
	;; [unrolled: 1-line block ×4, first 2 shown]
	v_add_f64 v[63:64], -v[55:56], 1.0
	v_fma_f64 v[51:52], v[41:42], v[51:52], s[60:61]
	v_add_f64 v[69:70], -v[57:58], 1.0
	v_cvt_i32_f64_e32 v17, v[33:34]
	v_lshlrev_b32_e32 v13, 30, v22
	v_lshlrev_b32_e32 v12, 30, v32
	s_delay_alu instid0(VALU_DEP_2) | instskip(NEXT) | instid1(VALU_DEP_2)
	v_and_b32_e32 v13, 0x80000000, v13
	v_xor_b32_e32 v12, v12, v23
	v_fma_f64 v[35:36], v[33:34], s[18:19], v[35:36]
	v_fma_f64 v[43:44], v[39:40], v[43:44], s[46:47]
	;; [unrolled: 1-line block ×4, first 2 shown]
	v_add_f64 v[49:50], v[63:64], -v[49:50]
	v_fma_f64 v[51:52], v[41:42], v[51:52], s[62:63]
	v_add_f64 v[53:54], v[69:70], -v[53:54]
	v_fma_f64 v[37:38], v[35:36], s[36:37], s[34:35]
	v_fma_f64 v[43:44], v[61:62], v[43:44], v[59:60]
	;; [unrolled: 1-line block ×3, first 2 shown]
	v_mul_f64 v[59:60], v[39:40], v[39:40]
	v_fma_f64 v[47:48], v[39:40], v[47:48], s[48:49]
	v_fma_f64 v[49:50], v[24:25], -v[26:27], v[49:50]
	v_fma_f64 v[37:38], v[35:36], v[37:38], s[38:39]
	v_fma_f64 v[26:27], v[39:40], v[43:44], -v[26:27]
	v_mul_f64 v[39:40], v[41:42], v[41:42]
	v_fma_f64 v[43:44], v[41:42], v[51:52], s[48:49]
	v_fma_f64 v[51:52], v[28:29], -v[30:31], v[53:54]
	v_fma_f64 v[30:31], v[41:42], v[45:46], -v[30:31]
	v_fma_f64 v[41:42], v[59:60], v[47:48], v[49:50]
	v_fma_f64 v[37:38], v[35:36], v[37:38], s[40:41]
	;; [unrolled: 1-line block ×3, first 2 shown]
	s_delay_alu instid0(VALU_DEP_4) | instskip(NEXT) | instid1(VALU_DEP_3)
	v_fma_f64 v[30:31], v[67:68], s[78:79], v[30:31]
	v_fma_f64 v[37:38], v[35:36], v[37:38], s[42:43]
	s_delay_alu instid0(VALU_DEP_3) | instskip(NEXT) | instid1(VALU_DEP_3)
	v_add_f64 v[24:25], v[24:25], -v[26:27]
	v_add_f64 v[28:29], v[28:29], -v[30:31]
	s_delay_alu instid0(VALU_DEP_3) | instskip(NEXT) | instid1(VALU_DEP_1)
	v_fma_f64 v[37:38], v[35:36], v[37:38], s[44:45]
	v_fma_f64 v[37:38], v[35:36], v[37:38], s[74:75]
	s_delay_alu instid0(VALU_DEP_1) | instskip(NEXT) | instid1(VALU_DEP_1)
	v_fma_f64 v[37:38], v[35:36], v[37:38], s[76:77]
	v_fma_f64 v[37:38], v[35:36], v[37:38], s[50:51]
	s_delay_alu instid0(VALU_DEP_1) | instskip(NEXT) | instid1(VALU_DEP_1)
	v_fma_f64 v[37:38], v[35:36], v[37:38], s[52:53]
	v_fma_f64 v[37:38], v[35:36], v[37:38], 1.0
	s_delay_alu instid0(VALU_DEP_1) | instskip(SKIP_2) | instid1(VALU_DEP_3)
	v_fma_f64 v[33:34], v[35:36], v[37:38], 1.0
	v_fma_f64 v[35:36], v[39:40], v[43:44], v[51:52]
	v_add_f64 v[37:38], v[55:56], v[41:42]
	v_ldexp_f64 v[26:27], v[33:34], v17
	s_delay_alu instid0(VALU_DEP_3) | instskip(SKIP_3) | instid1(VALU_DEP_3)
	v_add_f64 v[33:34], v[57:58], v[35:36]
	v_and_b32_e32 v17, 1, v22
	v_and_b32_e32 v15, 1, v32
	v_xor_b32_e32 v22, 0x80000000, v25
	v_cmp_eq_u32_e32 vcc_lo, 0, v17
	s_delay_alu instid0(VALU_DEP_3) | instskip(SKIP_1) | instid1(VALU_DEP_4)
	v_cmp_eq_u32_e64 s3, 0, v15
	v_cndmask_b32_e32 v17, v24, v37, vcc_lo
	v_dual_cndmask_b32 v15, v22, v38 :: v_dual_and_b32 v22, 0x80000000, v12
	s_and_b32 vcc_lo, s2, s1
	s_delay_alu instid0(VALU_DEP_2) | instskip(NEXT) | instid1(VALU_DEP_2)
	v_cndmask_b32_e64 v12, 0, v17, s0
	v_xor_b32_e32 v13, v15, v13
	s_delay_alu instid0(VALU_DEP_1) | instskip(SKIP_3) | instid1(VALU_DEP_3)
	v_cndmask_b32_e64 v13, 0x7ff80000, v13, s0
	v_cndmask_b32_e64 v14, 0x7ff00000, v27, s1
	;; [unrolled: 1-line block ×5, first 2 shown]
	s_delay_alu instid0(VALU_DEP_3) | instskip(NEXT) | instid1(VALU_DEP_3)
	v_xor_b32_e32 v15, v24, v22
	v_cndmask_b32_e64 v14, 0, v23, s0
	v_cndmask_b32_e32 v22, 0, v26, vcc_lo
	s_delay_alu instid0(VALU_DEP_4) | instskip(NEXT) | instid1(VALU_DEP_4)
	v_and_or_b32 v23, v25, s82, 0x7fe00000
	v_cndmask_b32_e64 v15, 0x7ff80000, v15, s0
	v_lshrrev_b32_e32 v17, 20, v25
	s_delay_alu instid0(VALU_DEP_3) | instskip(NEXT) | instid1(VALU_DEP_3)
	v_mul_f64 v[12:13], v[22:23], v[12:13]
	v_mul_f64 v[14:15], v[22:23], v[14:15]
	s_delay_alu instid0(VALU_DEP_3) | instskip(NEXT) | instid1(VALU_DEP_1)
	v_add_nc_u32_e32 v22, 0xffffff09, v17
	v_lshrrev_b16 v17, 15, v22
	s_delay_alu instid0(VALU_DEP_1) | instskip(NEXT) | instid1(VALU_DEP_1)
	v_add_nc_u16 v17, v22, v17
	v_ashrrev_i16 v17, 1, v17
	s_delay_alu instid0(VALU_DEP_1) | instskip(NEXT) | instid1(VALU_DEP_1)
	v_bfe_i32 v23, v17, 0, 16
	v_lshl_add_u32 v17, v23, 20, 0x3ff00000
	s_delay_alu instid0(VALU_DEP_1) | instskip(SKIP_3) | instid1(VALU_DEP_2)
	v_mul_f64 v[12:13], v[12:13], v[16:17]
	v_mul_f64 v[14:15], v[14:15], v[16:17]
	v_sub_nc_u32_e32 v17, v22, v23
	v_mov_b32_e32 v22, v16
	v_lshl_add_u32 v23, v17, 20, 0x3ff00000
	s_delay_alu instid0(VALU_DEP_1)
	v_mul_f64 v[24:25], v[12:13], v[22:23]
	v_mul_f64 v[22:23], v[14:15], v[22:23]
.LBB254_308:                            ;   in Loop: Header=BB254_233 Depth=1
	s_or_b32 exec_lo, exec_lo, s28
                                        ; implicit-def: $vgpr26_vgpr27
                                        ; implicit-def: $vgpr12_vgpr13
                                        ; implicit-def: $vgpr17
.LBB254_309:                            ;   in Loop: Header=BB254_233 Depth=1
	s_and_not1_saveexec_b32 s1, s85
	s_cbranch_execz .LBB254_315
; %bb.310:                              ;   in Loop: Header=BB254_233 Depth=1
	v_add_f64 v[22:23], v[14:15], -v[14:15]
	v_cmp_ne_u32_e32 vcc_lo, 0, v26
	v_cmp_ne_u32_e64 s0, 0x7ff00000, v17
	s_delay_alu instid0(VALU_DEP_1) | instskip(NEXT) | instid1(SALU_CYCLE_1)
	s_or_b32 s0, vcc_lo, s0
	s_and_saveexec_b32 s2, s0
	s_delay_alu instid0(SALU_CYCLE_1)
	s_xor_b32 s0, exec_lo, s2
; %bb.311:                              ;   in Loop: Header=BB254_233 Depth=1
                                        ; implicit-def: $vgpr26_vgpr27
                                        ; implicit-def: $vgpr12_vgpr13
; %bb.312:                              ;   in Loop: Header=BB254_233 Depth=1
	s_delay_alu instid0(SALU_CYCLE_1) | instskip(NEXT) | instid1(VALU_DEP_3)
	s_or_saveexec_b32 s0, s0
	v_dual_mov_b32 v25, v23 :: v_dual_mov_b32 v24, v22
	s_xor_b32 exec_lo, exec_lo, s0
; %bb.313:                              ;   in Loop: Header=BB254_233 Depth=1
	v_cmp_lt_i64_e32 vcc_lo, -1, v[26:27]
	v_dual_cndmask_b32 v25, 0, v27 :: v_dual_cndmask_b32 v24, 0, v12
	v_dual_cndmask_b32 v23, 0, v23 :: v_dual_cndmask_b32 v22, 0, v22
; %bb.314:                              ;   in Loop: Header=BB254_233 Depth=1
	s_or_b32 exec_lo, exec_lo, s0
.LBB254_315:                            ;   in Loop: Header=BB254_233 Depth=1
	s_delay_alu instid0(SALU_CYCLE_1)
	s_or_b32 exec_lo, exec_lo, s1
                                        ; implicit-def: $vgpr14_vgpr15
.LBB254_316:                            ;   in Loop: Header=BB254_233 Depth=1
	s_and_not1_saveexec_b32 s2, s84
	s_cbranch_execz .LBB254_326
; %bb.317:                              ;   in Loop: Header=BB254_233 Depth=1
	v_cmp_ngt_f64_e64 s1, 0x41d00000, |v[14:15]|
                                        ; implicit-def: $vgpr22
                                        ; implicit-def: $vgpr12_vgpr13
                                        ; implicit-def: $vgpr24_vgpr25
	s_delay_alu instid0(VALU_DEP_1) | instskip(NEXT) | instid1(SALU_CYCLE_1)
	s_and_saveexec_b32 s0, s1
	s_xor_b32 s3, exec_lo, s0
	s_cbranch_execz .LBB254_319
; %bb.318:                              ;   in Loop: Header=BB254_233 Depth=1
	v_ldexp_f64 v[12:13], |v[14:15]|, 0xffffff80
	v_cmp_le_f64_e64 vcc_lo, 0x7b000000, |v[14:15]|
	v_trig_preop_f64 v[24:25], |v[14:15]|, 0
	v_and_b32_e32 v17, 0x7fffffff, v15
	v_trig_preop_f64 v[26:27], |v[14:15]|, 1
	v_trig_preop_f64 v[36:37], |v[14:15]|, 2
	s_mov_b32 s4, s6
	s_mov_b32 s21, s9
	v_dual_cndmask_b32 v12, v14, v12 :: v_dual_cndmask_b32 v13, v17, v13
	s_delay_alu instid0(VALU_DEP_1) | instskip(NEXT) | instid1(VALU_DEP_4)
	v_mul_f64 v[28:29], v[24:25], v[12:13]
	v_mul_f64 v[30:31], v[26:27], v[12:13]
	s_delay_alu instid0(VALU_DEP_2) | instskip(NEXT) | instid1(VALU_DEP_2)
	v_fma_f64 v[24:25], v[24:25], v[12:13], -v[28:29]
	v_fma_f64 v[26:27], v[26:27], v[12:13], -v[30:31]
	s_delay_alu instid0(VALU_DEP_2) | instskip(NEXT) | instid1(VALU_DEP_1)
	v_add_f64 v[32:33], v[30:31], v[24:25]
	v_add_f64 v[34:35], v[32:33], -v[30:31]
	v_add_f64 v[40:41], v[28:29], v[32:33]
	s_delay_alu instid0(VALU_DEP_2) | instskip(SKIP_1) | instid1(VALU_DEP_3)
	v_add_f64 v[38:39], v[32:33], -v[34:35]
	v_add_f64 v[24:25], v[24:25], -v[34:35]
	v_ldexp_f64 v[34:35], v[40:41], -2
	v_add_f64 v[28:29], v[40:41], -v[28:29]
	s_delay_alu instid0(VALU_DEP_4) | instskip(NEXT) | instid1(VALU_DEP_3)
	v_add_f64 v[30:31], v[30:31], -v[38:39]
	v_cmp_neq_f64_e64 vcc_lo, 0x7ff00000, |v[34:35]|
	s_delay_alu instid0(VALU_DEP_3) | instskip(NEXT) | instid1(VALU_DEP_3)
	v_add_f64 v[28:29], v[32:33], -v[28:29]
	v_add_f64 v[24:25], v[24:25], v[30:31]
	v_fract_f64_e32 v[30:31], v[34:35]
	s_delay_alu instid0(VALU_DEP_1) | instskip(SKIP_1) | instid1(VALU_DEP_3)
	v_cndmask_b32_e32 v30, 0, v30, vcc_lo
	v_mul_f64 v[42:43], v[36:37], v[12:13]
	v_cndmask_b32_e32 v31, 0, v31, vcc_lo
	s_delay_alu instid0(VALU_DEP_1) | instskip(NEXT) | instid1(VALU_DEP_3)
	v_ldexp_f64 v[30:31], v[30:31], 2
	v_add_f64 v[38:39], v[42:43], v[26:27]
	v_fma_f64 v[12:13], v[36:37], v[12:13], -v[42:43]
	s_delay_alu instid0(VALU_DEP_2) | instskip(NEXT) | instid1(VALU_DEP_1)
	v_add_f64 v[32:33], v[38:39], v[24:25]
	v_add_f64 v[34:35], v[28:29], v[32:33]
	v_add_f64 v[44:45], v[32:33], -v[38:39]
	s_delay_alu instid0(VALU_DEP_2) | instskip(NEXT) | instid1(VALU_DEP_2)
	v_add_f64 v[40:41], v[34:35], v[30:31]
	v_add_f64 v[50:51], v[32:33], -v[44:45]
	v_add_f64 v[24:25], v[24:25], -v[44:45]
	;; [unrolled: 1-line block ×3, first 2 shown]
	s_delay_alu instid0(VALU_DEP_4) | instskip(SKIP_1) | instid1(VALU_DEP_3)
	v_cmp_gt_f64_e32 vcc_lo, 0, v[40:41]
	v_add_f64 v[40:41], v[38:39], -v[42:43]
	v_add_f64 v[28:29], v[32:33], -v[28:29]
	v_cndmask_b32_e64 v17, 0, 0x40100000, vcc_lo
	s_delay_alu instid0(VALU_DEP_3) | instskip(SKIP_2) | instid1(VALU_DEP_4)
	v_add_f64 v[48:49], v[38:39], -v[40:41]
	v_add_f64 v[26:27], v[26:27], -v[40:41]
	;; [unrolled: 1-line block ×3, first 2 shown]
	v_add_f64 v[30:31], v[30:31], v[16:17]
	s_delay_alu instid0(VALU_DEP_4) | instskip(NEXT) | instid1(VALU_DEP_3)
	v_add_f64 v[40:41], v[42:43], -v[48:49]
	v_add_f64 v[24:25], v[24:25], v[38:39]
	s_delay_alu instid0(VALU_DEP_3) | instskip(NEXT) | instid1(VALU_DEP_3)
	v_add_f64 v[46:47], v[34:35], v[30:31]
	v_add_f64 v[26:27], v[26:27], v[40:41]
	s_delay_alu instid0(VALU_DEP_2) | instskip(NEXT) | instid1(VALU_DEP_2)
	v_cvt_i32_f64_e32 v17, v[46:47]
	v_add_f64 v[24:25], v[26:27], v[24:25]
	s_delay_alu instid0(VALU_DEP_2) | instskip(NEXT) | instid1(VALU_DEP_2)
	v_cvt_f64_i32_e32 v[44:45], v17
	v_add_f64 v[12:13], v[12:13], v[24:25]
	s_delay_alu instid0(VALU_DEP_2) | instskip(NEXT) | instid1(VALU_DEP_2)
	v_add_f64 v[30:31], v[30:31], -v[44:45]
	v_add_f64 v[12:13], v[28:29], v[12:13]
	s_delay_alu instid0(VALU_DEP_2) | instskip(NEXT) | instid1(VALU_DEP_1)
	v_add_f64 v[26:27], v[34:35], v[30:31]
	v_add_f64 v[24:25], v[26:27], -v[30:31]
	v_cmp_le_f64_e32 vcc_lo, 0.5, v[26:27]
	s_delay_alu instid0(VALU_DEP_2) | instskip(SKIP_2) | instid1(VALU_DEP_3)
	v_add_f64 v[24:25], v[34:35], -v[24:25]
	v_add_co_ci_u32_e64 v22, s0, 0, v17, vcc_lo
	v_cndmask_b32_e64 v17, 0, 0x3ff00000, vcc_lo
	v_add_f64 v[12:13], v[12:13], v[24:25]
	s_delay_alu instid0(VALU_DEP_2) | instskip(NEXT) | instid1(VALU_DEP_1)
	v_add_f64 v[24:25], v[26:27], -v[16:17]
	v_add_f64 v[26:27], v[24:25], v[12:13]
	s_delay_alu instid0(VALU_DEP_1) | instskip(SKIP_1) | instid1(VALU_DEP_2)
	v_mul_f64 v[28:29], v[26:27], s[4:5]
	v_add_f64 v[24:25], v[26:27], -v[24:25]
	v_fma_f64 v[30:31], v[26:27], s[4:5], -v[28:29]
	s_delay_alu instid0(VALU_DEP_2) | instskip(NEXT) | instid1(VALU_DEP_2)
	v_add_f64 v[12:13], v[12:13], -v[24:25]
	v_fma_f64 v[24:25], v[26:27], s[20:21], v[30:31]
	s_delay_alu instid0(VALU_DEP_1) | instskip(NEXT) | instid1(VALU_DEP_1)
	v_fma_f64 v[24:25], v[12:13], s[4:5], v[24:25]
	v_add_f64 v[12:13], v[28:29], v[24:25]
	s_delay_alu instid0(VALU_DEP_1) | instskip(NEXT) | instid1(VALU_DEP_1)
	v_add_f64 v[26:27], v[12:13], -v[28:29]
	v_add_f64 v[24:25], v[24:25], -v[26:27]
	s_and_not1_saveexec_b32 s0, s3
	s_cbranch_execz .LBB254_321
	s_branch .LBB254_320
.LBB254_319:                            ;   in Loop: Header=BB254_233 Depth=1
	s_and_not1_saveexec_b32 s0, s3
	s_cbranch_execz .LBB254_321
.LBB254_320:                            ;   in Loop: Header=BB254_233 Depth=1
	v_mul_f64 v[12:13], |v[14:15]|, s[22:23]
	s_mov_b32 s8, s24
	s_delay_alu instid0(VALU_DEP_1) | instskip(NEXT) | instid1(VALU_DEP_1)
	v_rndne_f64_e32 v[26:27], v[12:13]
	v_fma_f64 v[12:13], v[26:27], s[6:7], |v[14:15]|
	v_mul_f64 v[24:25], v[26:27], s[24:25]
	v_cvt_i32_f64_e32 v22, v[26:27]
	s_delay_alu instid0(VALU_DEP_3) | instskip(NEXT) | instid1(VALU_DEP_3)
	v_fma_f64 v[30:31], v[26:27], s[24:25], v[12:13]
	v_add_f64 v[28:29], v[12:13], v[24:25]
	s_delay_alu instid0(VALU_DEP_1) | instskip(NEXT) | instid1(VALU_DEP_3)
	v_add_f64 v[12:13], v[12:13], -v[28:29]
	v_add_f64 v[28:29], v[28:29], -v[30:31]
	s_delay_alu instid0(VALU_DEP_2) | instskip(SKIP_1) | instid1(VALU_DEP_2)
	v_add_f64 v[12:13], v[12:13], v[24:25]
	v_fma_f64 v[24:25], v[26:27], s[8:9], v[24:25]
	v_add_f64 v[12:13], v[28:29], v[12:13]
	s_delay_alu instid0(VALU_DEP_1) | instskip(NEXT) | instid1(VALU_DEP_1)
	v_add_f64 v[12:13], v[12:13], -v[24:25]
	v_fma_f64 v[24:25], v[26:27], s[26:27], v[12:13]
	s_delay_alu instid0(VALU_DEP_1) | instskip(NEXT) | instid1(VALU_DEP_1)
	v_add_f64 v[12:13], v[30:31], v[24:25]
	v_add_f64 v[28:29], v[12:13], -v[30:31]
	s_delay_alu instid0(VALU_DEP_1)
	v_add_f64 v[24:25], v[24:25], -v[28:29]
.LBB254_321:                            ;   in Loop: Header=BB254_233 Depth=1
	s_or_b32 exec_lo, exec_lo, s0
                                        ; implicit-def: $vgpr30
                                        ; implicit-def: $vgpr26_vgpr27
                                        ; implicit-def: $vgpr28_vgpr29
	s_and_saveexec_b32 s0, s1
	s_delay_alu instid0(SALU_CYCLE_1)
	s_xor_b32 s1, exec_lo, s0
	s_cbranch_execz .LBB254_323
; %bb.322:                              ;   in Loop: Header=BB254_233 Depth=1
	v_ldexp_f64 v[26:27], |v[14:15]|, 0xffffff80
	v_cmp_le_f64_e64 vcc_lo, 0x7b000000, |v[14:15]|
	v_trig_preop_f64 v[28:29], |v[14:15]|, 0
	v_and_b32_e32 v17, 0x7fffffff, v15
	v_trig_preop_f64 v[30:31], |v[14:15]|, 1
	v_trig_preop_f64 v[40:41], |v[14:15]|, 2
	s_mov_b32 s4, s6
	s_mov_b32 s21, s9
	v_dual_cndmask_b32 v26, v14, v26 :: v_dual_cndmask_b32 v27, v17, v27
	s_delay_alu instid0(VALU_DEP_1) | instskip(NEXT) | instid1(VALU_DEP_4)
	v_mul_f64 v[32:33], v[28:29], v[26:27]
	v_mul_f64 v[34:35], v[30:31], v[26:27]
	s_delay_alu instid0(VALU_DEP_2) | instskip(NEXT) | instid1(VALU_DEP_2)
	v_fma_f64 v[28:29], v[28:29], v[26:27], -v[32:33]
	v_fma_f64 v[30:31], v[30:31], v[26:27], -v[34:35]
	s_delay_alu instid0(VALU_DEP_2) | instskip(NEXT) | instid1(VALU_DEP_1)
	v_add_f64 v[36:37], v[34:35], v[28:29]
	v_add_f64 v[38:39], v[36:37], -v[34:35]
	v_add_f64 v[44:45], v[32:33], v[36:37]
	s_delay_alu instid0(VALU_DEP_2) | instskip(SKIP_1) | instid1(VALU_DEP_3)
	v_add_f64 v[42:43], v[36:37], -v[38:39]
	v_add_f64 v[28:29], v[28:29], -v[38:39]
	v_ldexp_f64 v[38:39], v[44:45], -2
	v_add_f64 v[32:33], v[44:45], -v[32:33]
	s_delay_alu instid0(VALU_DEP_4) | instskip(NEXT) | instid1(VALU_DEP_3)
	v_add_f64 v[34:35], v[34:35], -v[42:43]
	v_cmp_neq_f64_e64 vcc_lo, 0x7ff00000, |v[38:39]|
	s_delay_alu instid0(VALU_DEP_3) | instskip(NEXT) | instid1(VALU_DEP_3)
	v_add_f64 v[32:33], v[36:37], -v[32:33]
	v_add_f64 v[28:29], v[28:29], v[34:35]
	v_fract_f64_e32 v[34:35], v[38:39]
	s_delay_alu instid0(VALU_DEP_1) | instskip(SKIP_1) | instid1(VALU_DEP_3)
	v_cndmask_b32_e32 v34, 0, v34, vcc_lo
	v_mul_f64 v[46:47], v[40:41], v[26:27]
	v_cndmask_b32_e32 v35, 0, v35, vcc_lo
	s_delay_alu instid0(VALU_DEP_1) | instskip(NEXT) | instid1(VALU_DEP_3)
	v_ldexp_f64 v[34:35], v[34:35], 2
	v_add_f64 v[42:43], v[46:47], v[30:31]
	v_fma_f64 v[26:27], v[40:41], v[26:27], -v[46:47]
	s_delay_alu instid0(VALU_DEP_2) | instskip(NEXT) | instid1(VALU_DEP_1)
	v_add_f64 v[36:37], v[42:43], v[28:29]
	v_add_f64 v[38:39], v[32:33], v[36:37]
	v_add_f64 v[48:49], v[36:37], -v[42:43]
	s_delay_alu instid0(VALU_DEP_2) | instskip(NEXT) | instid1(VALU_DEP_2)
	v_add_f64 v[44:45], v[38:39], v[34:35]
	v_add_f64 v[54:55], v[36:37], -v[48:49]
	v_add_f64 v[28:29], v[28:29], -v[48:49]
	;; [unrolled: 1-line block ×3, first 2 shown]
	s_delay_alu instid0(VALU_DEP_4) | instskip(SKIP_2) | instid1(VALU_DEP_2)
	v_cmp_gt_f64_e32 vcc_lo, 0, v[44:45]
	v_add_f64 v[44:45], v[42:43], -v[46:47]
	v_cndmask_b32_e64 v17, 0, 0x40100000, vcc_lo
	v_add_f64 v[52:53], v[42:43], -v[44:45]
	v_add_f64 v[30:31], v[30:31], -v[44:45]
	;; [unrolled: 1-line block ×3, first 2 shown]
	s_delay_alu instid0(VALU_DEP_4) | instskip(NEXT) | instid1(VALU_DEP_4)
	v_add_f64 v[34:35], v[34:35], v[16:17]
	v_add_f64 v[44:45], v[46:47], -v[52:53]
	s_delay_alu instid0(VALU_DEP_3) | instskip(NEXT) | instid1(VALU_DEP_3)
	v_add_f64 v[28:29], v[28:29], v[42:43]
	v_add_f64 v[50:51], v[38:39], v[34:35]
	s_delay_alu instid0(VALU_DEP_3) | instskip(NEXT) | instid1(VALU_DEP_2)
	v_add_f64 v[30:31], v[30:31], v[44:45]
	v_cvt_i32_f64_e32 v17, v[50:51]
	s_delay_alu instid0(VALU_DEP_2) | instskip(SKIP_1) | instid1(VALU_DEP_3)
	v_add_f64 v[28:29], v[30:31], v[28:29]
	v_add_f64 v[30:31], v[36:37], -v[32:33]
	v_cvt_f64_i32_e32 v[48:49], v17
	s_delay_alu instid0(VALU_DEP_3) | instskip(NEXT) | instid1(VALU_DEP_2)
	v_add_f64 v[26:27], v[26:27], v[28:29]
	v_add_f64 v[34:35], v[34:35], -v[48:49]
	s_delay_alu instid0(VALU_DEP_2) | instskip(NEXT) | instid1(VALU_DEP_2)
	v_add_f64 v[26:27], v[30:31], v[26:27]
	v_add_f64 v[40:41], v[38:39], v[34:35]
	s_delay_alu instid0(VALU_DEP_1) | instskip(SKIP_1) | instid1(VALU_DEP_2)
	v_add_f64 v[28:29], v[40:41], -v[34:35]
	v_cmp_le_f64_e32 vcc_lo, 0.5, v[40:41]
	v_add_f64 v[28:29], v[38:39], -v[28:29]
	v_add_co_ci_u32_e64 v30, s0, 0, v17, vcc_lo
	v_cndmask_b32_e64 v17, 0, 0x3ff00000, vcc_lo
	s_delay_alu instid0(VALU_DEP_3) | instskip(NEXT) | instid1(VALU_DEP_2)
	v_add_f64 v[26:27], v[26:27], v[28:29]
	v_add_f64 v[28:29], v[40:41], -v[16:17]
	s_delay_alu instid0(VALU_DEP_1) | instskip(NEXT) | instid1(VALU_DEP_1)
	v_add_f64 v[31:32], v[28:29], v[26:27]
	v_mul_f64 v[33:34], v[31:32], s[4:5]
	v_add_f64 v[28:29], v[31:32], -v[28:29]
	s_delay_alu instid0(VALU_DEP_2) | instskip(NEXT) | instid1(VALU_DEP_2)
	v_fma_f64 v[35:36], v[31:32], s[4:5], -v[33:34]
	v_add_f64 v[26:27], v[26:27], -v[28:29]
	s_delay_alu instid0(VALU_DEP_2) | instskip(NEXT) | instid1(VALU_DEP_1)
	v_fma_f64 v[28:29], v[31:32], s[20:21], v[35:36]
	v_fma_f64 v[28:29], v[26:27], s[4:5], v[28:29]
	s_delay_alu instid0(VALU_DEP_1) | instskip(NEXT) | instid1(VALU_DEP_1)
	v_add_f64 v[26:27], v[33:34], v[28:29]
	v_add_f64 v[31:32], v[26:27], -v[33:34]
	s_delay_alu instid0(VALU_DEP_1)
	v_add_f64 v[28:29], v[28:29], -v[31:32]
	s_and_not1_saveexec_b32 s0, s1
	s_cbranch_execnz .LBB254_324
	s_branch .LBB254_325
.LBB254_323:                            ;   in Loop: Header=BB254_233 Depth=1
	s_and_not1_saveexec_b32 s0, s1
	s_cbranch_execz .LBB254_325
.LBB254_324:                            ;   in Loop: Header=BB254_233 Depth=1
	v_mul_f64 v[26:27], |v[14:15]|, s[22:23]
	s_mov_b32 s8, s24
	s_delay_alu instid0(VALU_DEP_1) | instskip(NEXT) | instid1(VALU_DEP_1)
	v_rndne_f64_e32 v[30:31], v[26:27]
	v_fma_f64 v[26:27], v[30:31], s[6:7], |v[14:15]|
	v_mul_f64 v[28:29], v[30:31], s[24:25]
	s_delay_alu instid0(VALU_DEP_2) | instskip(NEXT) | instid1(VALU_DEP_2)
	v_fma_f64 v[34:35], v[30:31], s[24:25], v[26:27]
	v_add_f64 v[32:33], v[26:27], v[28:29]
	s_delay_alu instid0(VALU_DEP_1) | instskip(NEXT) | instid1(VALU_DEP_3)
	v_add_f64 v[26:27], v[26:27], -v[32:33]
	v_add_f64 v[32:33], v[32:33], -v[34:35]
	s_delay_alu instid0(VALU_DEP_2) | instskip(SKIP_1) | instid1(VALU_DEP_2)
	v_add_f64 v[26:27], v[26:27], v[28:29]
	v_fma_f64 v[28:29], v[30:31], s[8:9], v[28:29]
	v_add_f64 v[26:27], v[32:33], v[26:27]
	s_delay_alu instid0(VALU_DEP_1) | instskip(NEXT) | instid1(VALU_DEP_1)
	v_add_f64 v[26:27], v[26:27], -v[28:29]
	v_fma_f64 v[28:29], v[30:31], s[26:27], v[26:27]
	v_cvt_i32_f64_e32 v30, v[30:31]
	s_delay_alu instid0(VALU_DEP_2) | instskip(NEXT) | instid1(VALU_DEP_1)
	v_add_f64 v[26:27], v[34:35], v[28:29]
	v_add_f64 v[32:33], v[26:27], -v[34:35]
	s_delay_alu instid0(VALU_DEP_1)
	v_add_f64 v[28:29], v[28:29], -v[32:33]
.LBB254_325:                            ;   in Loop: Header=BB254_233 Depth=1
	s_or_b32 exec_lo, exec_lo, s0
	v_mul_f64 v[31:32], v[12:13], v[12:13]
	v_mul_f64 v[33:34], v[26:27], v[26:27]
	s_delay_alu instid0(VALU_DEP_3) | instskip(NEXT) | instid1(VALU_DEP_4)
	v_mul_f64 v[51:52], v[24:25], 0.5
	v_mul_f64 v[57:58], v[28:29], 0.5
	s_mov_b32 s78, s48
	v_cmp_class_f64_e64 s0, v[14:15], 0x1f8
	v_lshlrev_b32_e32 v14, 30, v30
	v_and_b32_e32 v15, 1, v30
	s_delay_alu instid0(VALU_DEP_2) | instskip(NEXT) | instid1(VALU_DEP_2)
	v_xor_b32_e32 v14, v14, v23
	v_cmp_eq_u32_e64 s1, 0, v15
	s_delay_alu instid0(VALU_DEP_2)
	v_and_b32_e32 v14, 0x80000000, v14
	v_fma_f64 v[35:36], v[31:32], s[66:67], s[64:65]
	v_fma_f64 v[37:38], v[33:34], s[66:67], s[64:65]
	v_mul_f64 v[41:42], v[31:32], 0.5
	v_fma_f64 v[39:40], v[31:32], s[56:57], s[54:55]
	v_fma_f64 v[43:44], v[33:34], s[56:57], s[54:55]
	v_mul_f64 v[45:46], v[33:34], 0.5
	v_mul_f64 v[53:54], v[12:13], -v[31:32]
	v_mul_f64 v[59:60], v[26:27], -v[33:34]
	v_fma_f64 v[35:36], v[31:32], v[35:36], s[68:69]
	v_fma_f64 v[37:38], v[33:34], v[37:38], s[68:69]
	v_add_f64 v[47:48], -v[41:42], 1.0
	v_fma_f64 v[39:40], v[31:32], v[39:40], s[58:59]
	v_fma_f64 v[43:44], v[33:34], v[43:44], s[58:59]
	v_add_f64 v[49:50], -v[45:46], 1.0
	;; [unrolled: 3-line block ×4, first 2 shown]
	v_fma_f64 v[35:36], v[31:32], v[35:36], s[46:47]
	v_fma_f64 v[37:38], v[33:34], v[37:38], s[46:47]
	v_add_f64 v[41:42], v[55:56], -v[41:42]
	v_fma_f64 v[39:40], v[31:32], v[39:40], s[62:63]
	v_fma_f64 v[43:44], v[33:34], v[43:44], s[62:63]
	v_add_f64 v[45:46], v[61:62], -v[45:46]
	v_fma_f64 v[35:36], v[53:54], v[35:36], v[51:52]
	v_fma_f64 v[37:38], v[59:60], v[37:38], v[57:58]
	v_fma_f64 v[41:42], v[12:13], -v[24:25], v[41:42]
	v_mul_f64 v[51:52], v[31:32], v[31:32]
	v_fma_f64 v[39:40], v[31:32], v[39:40], s[48:49]
	v_fma_f64 v[24:25], v[31:32], v[35:36], -v[24:25]
	v_mul_f64 v[31:32], v[33:34], v[33:34]
	v_fma_f64 v[35:36], v[33:34], v[43:44], s[48:49]
	v_fma_f64 v[43:44], v[26:27], -v[28:29], v[45:46]
	v_fma_f64 v[28:29], v[33:34], v[37:38], -v[28:29]
	v_fma_f64 v[33:34], v[51:52], v[39:40], v[41:42]
	v_fma_f64 v[24:25], v[53:54], s[78:79], v[24:25]
	s_delay_alu instid0(VALU_DEP_4) | instskip(NEXT) | instid1(VALU_DEP_4)
	v_fma_f64 v[31:32], v[31:32], v[35:36], v[43:44]
	v_fma_f64 v[28:29], v[59:60], s[78:79], v[28:29]
	s_delay_alu instid0(VALU_DEP_4) | instskip(NEXT) | instid1(VALU_DEP_4)
	v_add_f64 v[33:34], v[47:48], v[33:34]
	v_add_f64 v[12:13], v[12:13], -v[24:25]
	v_and_b32_e32 v17, 1, v22
	v_add_f64 v[24:25], v[49:50], v[31:32]
	v_add_f64 v[26:27], v[26:27], -v[28:29]
	s_delay_alu instid0(VALU_DEP_3) | instskip(SKIP_1) | instid1(VALU_DEP_1)
	v_cmp_eq_u32_e32 vcc_lo, 0, v17
	v_lshlrev_b32_e32 v17, 30, v22
	v_and_b32_e32 v15, 0x80000000, v17
	v_cndmask_b32_e32 v12, v12, v33, vcc_lo
	v_xor_b32_e32 v13, 0x80000000, v13
	v_cndmask_b32_e64 v22, v25, v27, s1
	v_cndmask_b32_e64 v17, v24, v26, s1
	s_delay_alu instid0(VALU_DEP_3) | instskip(SKIP_1) | instid1(VALU_DEP_4)
	v_cndmask_b32_e32 v13, v13, v34, vcc_lo
	v_cndmask_b32_e64 v24, 0, v12, s0
	v_xor_b32_e32 v14, v22, v14
	s_delay_alu instid0(VALU_DEP_4) | instskip(NEXT) | instid1(VALU_DEP_4)
	v_cndmask_b32_e64 v22, 0, v17, s0
	v_xor_b32_e32 v13, v13, v15
	s_delay_alu instid0(VALU_DEP_3) | instskip(NEXT) | instid1(VALU_DEP_2)
	v_cndmask_b32_e64 v23, 0x7ff80000, v14, s0
	v_cndmask_b32_e64 v25, 0x7ff80000, v13, s0
.LBB254_326:                            ;   in Loop: Header=BB254_233 Depth=1
	s_or_b32 exec_lo, exec_lo, s2
                                        ; implicit-def: $vgpr12_vgpr13
.LBB254_327:                            ;   in Loop: Header=BB254_233 Depth=1
	s_and_not1_saveexec_b32 s1, s83
	s_cbranch_execz .LBB254_329
; %bb.328:                              ;   in Loop: Header=BB254_233 Depth=1
	s_mov_b32 s28, s30
	s_mov_b32 s75, s47
	v_mul_f64 v[14:15], v[12:13], s[28:29]
	s_mov_b32 s77, s49
	v_cmp_ngt_f64_e32 vcc_lo, 0xc0900000, v[12:13]
	v_cmp_nlt_f64_e64 s0, 0x4090cc00, v[12:13]
	s_delay_alu instid0(VALU_DEP_3) | instskip(NEXT) | instid1(VALU_DEP_1)
	v_rndne_f64_e32 v[14:15], v[14:15]
	v_fma_f64 v[24:25], v[14:15], s[16:17], -v[12:13]
	v_cvt_i32_f64_e32 v17, v[14:15]
	s_delay_alu instid0(VALU_DEP_2) | instskip(NEXT) | instid1(VALU_DEP_1)
	v_fma_f64 v[24:25], v[14:15], s[18:19], v[24:25]
	v_fma_f64 v[26:27], v[24:25], s[36:37], s[34:35]
	s_delay_alu instid0(VALU_DEP_1) | instskip(NEXT) | instid1(VALU_DEP_1)
	v_fma_f64 v[26:27], v[24:25], v[26:27], s[38:39]
	v_fma_f64 v[26:27], v[24:25], v[26:27], s[40:41]
	s_delay_alu instid0(VALU_DEP_1) | instskip(NEXT) | instid1(VALU_DEP_1)
	;; [unrolled: 3-line block ×5, first 2 shown]
	v_fma_f64 v[26:27], v[24:25], v[26:27], 1.0
	v_fma_f64 v[14:15], v[24:25], v[26:27], 1.0
	s_delay_alu instid0(VALU_DEP_1) | instskip(NEXT) | instid1(VALU_DEP_1)
	v_ldexp_f64 v[14:15], v[14:15], v17
	v_cndmask_b32_e32 v15, 0x7ff00000, v15, vcc_lo
	s_and_b32 vcc_lo, s0, vcc_lo
	s_delay_alu instid0(VALU_DEP_2) | instskip(NEXT) | instid1(VALU_DEP_2)
	v_cndmask_b32_e32 v24, 0, v14, vcc_lo
	v_cndmask_b32_e64 v25, 0, v15, s0
.LBB254_329:                            ;   in Loop: Header=BB254_233 Depth=1
	s_or_b32 exec_lo, exec_lo, s1
	s_delay_alu instid0(VALU_DEP_1) | instskip(NEXT) | instid1(VALU_DEP_2)
	v_add_f64 v[24:25], s[12:13], v[24:25]
	v_add_f64 v[22:23], s[14:15], v[22:23]
                                        ; implicit-def: $vgpr14_vgpr15
	s_delay_alu instid0(VALU_DEP_2) | instskip(NEXT) | instid1(VALU_DEP_2)
	v_cmp_gt_f64_e32 vcc_lo, 0, v[24:25]
	v_cmp_gt_f64_e64 s0, 0, v[22:23]
	v_xor_b32_e32 v12, 0x80000000, v25
	v_xor_b32_e32 v13, 0x80000000, v23
	s_delay_alu instid0(VALU_DEP_2) | instskip(NEXT) | instid1(VALU_DEP_2)
	v_cndmask_b32_e32 v27, v25, v12, vcc_lo
	v_cndmask_b32_e64 v29, v23, v13, s0
	v_cndmask_b32_e32 v26, v24, v24, vcc_lo
	v_cndmask_b32_e64 v28, v22, v22, s0
	s_mov_b32 s0, exec_lo
	s_delay_alu instid0(VALU_DEP_1)
	v_cmpx_ge_f64_e32 v[26:27], v[28:29]
	s_xor_b32 s1, exec_lo, s0
	s_cbranch_execz .LBB254_335
; %bb.330:                              ;   in Loop: Header=BB254_233 Depth=1
	v_cmp_neq_f64_e32 vcc_lo, 0, v[24:25]
	v_cmp_neq_f64_e64 s0, 0, v[22:23]
                                        ; implicit-def: $vgpr14_vgpr15
	s_delay_alu instid0(VALU_DEP_1) | instskip(NEXT) | instid1(SALU_CYCLE_1)
	s_or_b32 s0, vcc_lo, s0
	s_and_saveexec_b32 s2, s0
	s_delay_alu instid0(SALU_CYCLE_1)
	s_xor_b32 s0, exec_lo, s2
	s_cbranch_execz .LBB254_332
; %bb.331:                              ;   in Loop: Header=BB254_233 Depth=1
	v_div_scale_f64 v[12:13], null, v[24:25], v[24:25], v[22:23]
	v_div_scale_f64 v[28:29], vcc_lo, v[22:23], v[24:25], v[22:23]
	s_delay_alu instid0(VALU_DEP_2) | instskip(SKIP_2) | instid1(VALU_DEP_1)
	v_rcp_f64_e32 v[14:15], v[12:13]
	s_waitcnt_depctr 0xfff
	v_fma_f64 v[26:27], -v[12:13], v[14:15], 1.0
	v_fma_f64 v[14:15], v[14:15], v[26:27], v[14:15]
	s_delay_alu instid0(VALU_DEP_1) | instskip(NEXT) | instid1(VALU_DEP_1)
	v_fma_f64 v[26:27], -v[12:13], v[14:15], 1.0
	v_fma_f64 v[14:15], v[14:15], v[26:27], v[14:15]
	s_delay_alu instid0(VALU_DEP_1) | instskip(NEXT) | instid1(VALU_DEP_1)
	v_mul_f64 v[26:27], v[28:29], v[14:15]
	v_fma_f64 v[12:13], -v[12:13], v[26:27], v[28:29]
	s_delay_alu instid0(VALU_DEP_1) | instskip(NEXT) | instid1(VALU_DEP_1)
	v_div_fmas_f64 v[12:13], v[12:13], v[14:15], v[26:27]
	v_div_fixup_f64 v[12:13], v[12:13], v[24:25], v[22:23]
	s_delay_alu instid0(VALU_DEP_1) | instskip(NEXT) | instid1(VALU_DEP_1)
	v_fma_f64 v[14:15], v[22:23], v[12:13], v[24:25]
	v_div_scale_f64 v[22:23], null, v[14:15], v[14:15], 1.0
	v_div_scale_f64 v[28:29], vcc_lo, 1.0, v[14:15], 1.0
	s_delay_alu instid0(VALU_DEP_2) | instskip(SKIP_2) | instid1(VALU_DEP_1)
	v_rcp_f64_e32 v[24:25], v[22:23]
	s_waitcnt_depctr 0xfff
	v_fma_f64 v[26:27], -v[22:23], v[24:25], 1.0
	v_fma_f64 v[24:25], v[24:25], v[26:27], v[24:25]
	s_delay_alu instid0(VALU_DEP_1) | instskip(NEXT) | instid1(VALU_DEP_1)
	v_fma_f64 v[26:27], -v[22:23], v[24:25], 1.0
	v_fma_f64 v[24:25], v[24:25], v[26:27], v[24:25]
	s_delay_alu instid0(VALU_DEP_1) | instskip(NEXT) | instid1(VALU_DEP_1)
	v_mul_f64 v[26:27], v[28:29], v[24:25]
	v_fma_f64 v[22:23], -v[22:23], v[26:27], v[28:29]
                                        ; implicit-def: $vgpr28_vgpr29
	s_delay_alu instid0(VALU_DEP_1) | instskip(SKIP_1) | instid1(VALU_DEP_2)
	v_div_fmas_f64 v[22:23], v[22:23], v[24:25], v[26:27]
	v_fma_f64 v[24:25], s[14:15], v[12:13], s[12:13]
                                        ; implicit-def: $vgpr26_vgpr27
	v_div_fixup_f64 v[14:15], v[22:23], v[14:15], 1.0
	v_fma_f64 v[22:23], -s[12:13], v[12:13], s[14:15]
	s_delay_alu instid0(VALU_DEP_2) | instskip(NEXT) | instid1(VALU_DEP_2)
	v_mul_f64 v[12:13], v[24:25], v[14:15]
	v_mul_f64 v[14:15], v[22:23], v[14:15]
.LBB254_332:                            ;   in Loop: Header=BB254_233 Depth=1
	s_and_not1_saveexec_b32 s2, s0
	s_cbranch_execz .LBB254_334
; %bb.333:                              ;   in Loop: Header=BB254_233 Depth=1
	v_div_scale_f64 v[12:13], null, v[26:27], v[26:27], s[12:13]
	v_div_scale_f64 v[14:15], null, v[28:29], v[28:29], s[14:15]
	v_div_scale_f64 v[34:35], vcc_lo, s[12:13], v[26:27], s[12:13]
	s_delay_alu instid0(VALU_DEP_3) | instskip(NEXT) | instid1(VALU_DEP_2)
	v_rcp_f64_e32 v[22:23], v[12:13]
	v_rcp_f64_e32 v[24:25], v[14:15]
	s_waitcnt_depctr 0xfff
	v_fma_f64 v[30:31], -v[12:13], v[22:23], 1.0
	v_fma_f64 v[32:33], -v[14:15], v[24:25], 1.0
	s_delay_alu instid0(VALU_DEP_2) | instskip(NEXT) | instid1(VALU_DEP_2)
	v_fma_f64 v[22:23], v[22:23], v[30:31], v[22:23]
	v_fma_f64 v[24:25], v[24:25], v[32:33], v[24:25]
	s_delay_alu instid0(VALU_DEP_2) | instskip(NEXT) | instid1(VALU_DEP_2)
	v_fma_f64 v[30:31], -v[12:13], v[22:23], 1.0
	v_fma_f64 v[32:33], -v[14:15], v[24:25], 1.0
	s_delay_alu instid0(VALU_DEP_2) | instskip(SKIP_1) | instid1(VALU_DEP_3)
	v_fma_f64 v[22:23], v[22:23], v[30:31], v[22:23]
	v_div_scale_f64 v[30:31], s0, s[14:15], v[28:29], s[14:15]
	v_fma_f64 v[24:25], v[24:25], v[32:33], v[24:25]
	s_delay_alu instid0(VALU_DEP_3) | instskip(NEXT) | instid1(VALU_DEP_2)
	v_mul_f64 v[32:33], v[34:35], v[22:23]
	v_mul_f64 v[36:37], v[30:31], v[24:25]
	s_delay_alu instid0(VALU_DEP_2) | instskip(NEXT) | instid1(VALU_DEP_2)
	v_fma_f64 v[12:13], -v[12:13], v[32:33], v[34:35]
	v_fma_f64 v[14:15], -v[14:15], v[36:37], v[30:31]
	s_delay_alu instid0(VALU_DEP_2) | instskip(SKIP_1) | instid1(VALU_DEP_2)
	v_div_fmas_f64 v[12:13], v[12:13], v[22:23], v[32:33]
	s_mov_b32 vcc_lo, s0
	v_div_fmas_f64 v[14:15], v[14:15], v[24:25], v[36:37]
	s_delay_alu instid0(VALU_DEP_2) | instskip(NEXT) | instid1(VALU_DEP_2)
	v_div_fixup_f64 v[12:13], v[12:13], v[26:27], s[12:13]
	v_div_fixup_f64 v[14:15], v[14:15], v[28:29], s[14:15]
.LBB254_334:                            ;   in Loop: Header=BB254_233 Depth=1
	s_or_b32 exec_lo, exec_lo, s2
                                        ; implicit-def: $vgpr22_vgpr23
                                        ; implicit-def: $vgpr24_vgpr25
.LBB254_335:                            ;   in Loop: Header=BB254_233 Depth=1
	s_and_not1_saveexec_b32 s0, s1
	s_cbranch_execz .LBB254_337
; %bb.336:                              ;   in Loop: Header=BB254_233 Depth=1
	v_div_scale_f64 v[12:13], null, v[22:23], v[22:23], v[24:25]
	v_div_scale_f64 v[28:29], vcc_lo, v[24:25], v[22:23], v[24:25]
	s_delay_alu instid0(VALU_DEP_2) | instskip(SKIP_2) | instid1(VALU_DEP_1)
	v_rcp_f64_e32 v[14:15], v[12:13]
	s_waitcnt_depctr 0xfff
	v_fma_f64 v[26:27], -v[12:13], v[14:15], 1.0
	v_fma_f64 v[14:15], v[14:15], v[26:27], v[14:15]
	s_delay_alu instid0(VALU_DEP_1) | instskip(NEXT) | instid1(VALU_DEP_1)
	v_fma_f64 v[26:27], -v[12:13], v[14:15], 1.0
	v_fma_f64 v[14:15], v[14:15], v[26:27], v[14:15]
	s_delay_alu instid0(VALU_DEP_1) | instskip(NEXT) | instid1(VALU_DEP_1)
	v_mul_f64 v[26:27], v[28:29], v[14:15]
	v_fma_f64 v[12:13], -v[12:13], v[26:27], v[28:29]
	s_delay_alu instid0(VALU_DEP_1) | instskip(NEXT) | instid1(VALU_DEP_1)
	v_div_fmas_f64 v[12:13], v[12:13], v[14:15], v[26:27]
	v_div_fixup_f64 v[12:13], v[12:13], v[22:23], v[24:25]
	s_delay_alu instid0(VALU_DEP_1) | instskip(NEXT) | instid1(VALU_DEP_1)
	v_fma_f64 v[14:15], v[24:25], v[12:13], v[22:23]
	v_div_scale_f64 v[22:23], null, v[14:15], v[14:15], 1.0
	v_div_scale_f64 v[28:29], vcc_lo, 1.0, v[14:15], 1.0
	s_delay_alu instid0(VALU_DEP_2) | instskip(SKIP_2) | instid1(VALU_DEP_1)
	v_rcp_f64_e32 v[24:25], v[22:23]
	s_waitcnt_depctr 0xfff
	v_fma_f64 v[26:27], -v[22:23], v[24:25], 1.0
	v_fma_f64 v[24:25], v[24:25], v[26:27], v[24:25]
	s_delay_alu instid0(VALU_DEP_1) | instskip(NEXT) | instid1(VALU_DEP_1)
	v_fma_f64 v[26:27], -v[22:23], v[24:25], 1.0
	v_fma_f64 v[24:25], v[24:25], v[26:27], v[24:25]
	s_delay_alu instid0(VALU_DEP_1) | instskip(NEXT) | instid1(VALU_DEP_1)
	v_mul_f64 v[26:27], v[28:29], v[24:25]
	v_fma_f64 v[22:23], -v[22:23], v[26:27], v[28:29]
	s_delay_alu instid0(VALU_DEP_1) | instskip(SKIP_1) | instid1(VALU_DEP_2)
	v_div_fmas_f64 v[22:23], v[22:23], v[24:25], v[26:27]
	v_fma_f64 v[24:25], s[12:13], v[12:13], s[14:15]
	v_div_fixup_f64 v[14:15], v[22:23], v[14:15], 1.0
	v_fma_f64 v[22:23], s[14:15], v[12:13], -s[12:13]
	s_delay_alu instid0(VALU_DEP_2) | instskip(NEXT) | instid1(VALU_DEP_2)
	v_mul_f64 v[12:13], v[24:25], v[14:15]
	v_mul_f64 v[14:15], v[22:23], v[14:15]
.LBB254_337:                            ;   in Loop: Header=BB254_233 Depth=1
	s_or_b32 exec_lo, exec_lo, s0
	s_waitcnt vmcnt(0)
	v_xor_b32_e32 v23, 0x80000000, v11
	v_mov_b32_e32 v22, v10
                                        ; implicit-def: $vgpr24_vgpr25
	s_mov_b32 s0, exec_lo
	s_delay_alu instid0(VALU_DEP_2) | instskip(NEXT) | instid1(VALU_DEP_1)
	v_and_b32_e32 v28, 0x7fffffff, v23
	v_or_b32_e32 v17, v28, v10
	s_delay_alu instid0(VALU_DEP_1)
	v_cmpx_ne_u32_e32 0, v17
	s_xor_b32 s83, exec_lo, s0
	s_cbranch_execz .LBB254_379
; %bb.338:                              ;   in Loop: Header=BB254_233 Depth=1
	v_xor_b32_e32 v27, 0x80000000, v9
	v_mov_b32_e32 v26, v8
                                        ; implicit-def: $vgpr24_vgpr25
	s_mov_b32 s0, exec_lo
	s_delay_alu instid0(VALU_DEP_2) | instskip(NEXT) | instid1(VALU_DEP_1)
	v_and_b32_e32 v17, 0x7fffffff, v27
	v_or_b32_e32 v22, v17, v26
	s_delay_alu instid0(VALU_DEP_1)
	v_cmpx_ne_u32_e32 0, v22
	s_xor_b32 s84, exec_lo, s0
	s_cbranch_execz .LBB254_368
; %bb.339:                              ;   in Loop: Header=BB254_233 Depth=1
                                        ; implicit-def: $vgpr24_vgpr25
	s_mov_b32 s0, exec_lo
	v_cmpx_gt_u32_e32 0x7ff00000, v28
	s_xor_b32 s85, exec_lo, s0
	s_cbranch_execz .LBB254_361
; %bb.340:                              ;   in Loop: Header=BB254_233 Depth=1
	v_add_nc_u32_e32 v17, 0xbf79d1be, v27
                                        ; implicit-def: $vgpr24_vgpr25
	s_mov_b32 s0, exec_lo
	s_delay_alu instid0(VALU_DEP_1)
	v_cmpx_lt_u32_e32 0x108aa2, v17
	s_xor_b32 s86, exec_lo, s0
	s_cbranch_execz .LBB254_350
; %bb.341:                              ;   in Loop: Header=BB254_233 Depth=1
	v_cmp_ngt_f64_e64 s1, 0x41d00000, |v[10:11]|
                                        ; implicit-def: $vgpr22
                                        ; implicit-def: $vgpr24_vgpr25
                                        ; implicit-def: $vgpr26_vgpr27
	s_delay_alu instid0(VALU_DEP_1) | instskip(NEXT) | instid1(SALU_CYCLE_1)
	s_and_saveexec_b32 s0, s1
	s_xor_b32 s2, exec_lo, s0
	s_cbranch_execz .LBB254_343
; %bb.342:                              ;   in Loop: Header=BB254_233 Depth=1
	v_ldexp_f64 v[24:25], |v[10:11]|, 0xffffff80
	v_cmp_le_f64_e64 vcc_lo, 0x7b000000, |v[10:11]|
	v_trig_preop_f64 v[26:27], |v[10:11]|, 0
	v_and_b32_e32 v17, 0x7fffffff, v11
	v_trig_preop_f64 v[28:29], |v[10:11]|, 1
	v_trig_preop_f64 v[38:39], |v[10:11]|, 2
	s_mov_b32 s4, s6
	s_mov_b32 s21, s9
	v_dual_cndmask_b32 v24, v10, v24 :: v_dual_cndmask_b32 v25, v17, v25
	s_delay_alu instid0(VALU_DEP_1) | instskip(NEXT) | instid1(VALU_DEP_4)
	v_mul_f64 v[30:31], v[26:27], v[24:25]
	v_mul_f64 v[32:33], v[28:29], v[24:25]
	s_delay_alu instid0(VALU_DEP_2) | instskip(NEXT) | instid1(VALU_DEP_2)
	v_fma_f64 v[26:27], v[26:27], v[24:25], -v[30:31]
	v_fma_f64 v[28:29], v[28:29], v[24:25], -v[32:33]
	s_delay_alu instid0(VALU_DEP_2) | instskip(NEXT) | instid1(VALU_DEP_1)
	v_add_f64 v[34:35], v[32:33], v[26:27]
	v_add_f64 v[36:37], v[34:35], -v[32:33]
	v_add_f64 v[42:43], v[30:31], v[34:35]
	s_delay_alu instid0(VALU_DEP_2) | instskip(SKIP_1) | instid1(VALU_DEP_3)
	v_add_f64 v[40:41], v[34:35], -v[36:37]
	v_add_f64 v[26:27], v[26:27], -v[36:37]
	v_ldexp_f64 v[36:37], v[42:43], -2
	v_add_f64 v[30:31], v[42:43], -v[30:31]
	s_delay_alu instid0(VALU_DEP_4) | instskip(NEXT) | instid1(VALU_DEP_3)
	v_add_f64 v[32:33], v[32:33], -v[40:41]
	v_cmp_neq_f64_e64 vcc_lo, 0x7ff00000, |v[36:37]|
	s_delay_alu instid0(VALU_DEP_3) | instskip(NEXT) | instid1(VALU_DEP_3)
	v_add_f64 v[30:31], v[34:35], -v[30:31]
	v_add_f64 v[26:27], v[26:27], v[32:33]
	v_fract_f64_e32 v[32:33], v[36:37]
	s_delay_alu instid0(VALU_DEP_1) | instskip(SKIP_1) | instid1(VALU_DEP_3)
	v_cndmask_b32_e32 v32, 0, v32, vcc_lo
	v_mul_f64 v[44:45], v[38:39], v[24:25]
	v_cndmask_b32_e32 v33, 0, v33, vcc_lo
	s_delay_alu instid0(VALU_DEP_1) | instskip(NEXT) | instid1(VALU_DEP_3)
	v_ldexp_f64 v[32:33], v[32:33], 2
	v_add_f64 v[40:41], v[44:45], v[28:29]
	v_fma_f64 v[24:25], v[38:39], v[24:25], -v[44:45]
	s_delay_alu instid0(VALU_DEP_2) | instskip(NEXT) | instid1(VALU_DEP_1)
	v_add_f64 v[34:35], v[40:41], v[26:27]
	v_add_f64 v[36:37], v[30:31], v[34:35]
	v_add_f64 v[46:47], v[34:35], -v[40:41]
	s_delay_alu instid0(VALU_DEP_2) | instskip(NEXT) | instid1(VALU_DEP_2)
	v_add_f64 v[42:43], v[36:37], v[32:33]
	v_add_f64 v[52:53], v[34:35], -v[46:47]
	v_add_f64 v[26:27], v[26:27], -v[46:47]
	;; [unrolled: 1-line block ×3, first 2 shown]
	s_delay_alu instid0(VALU_DEP_4) | instskip(SKIP_1) | instid1(VALU_DEP_3)
	v_cmp_gt_f64_e32 vcc_lo, 0, v[42:43]
	v_add_f64 v[42:43], v[40:41], -v[44:45]
	v_add_f64 v[30:31], v[34:35], -v[30:31]
	v_cndmask_b32_e64 v17, 0, 0x40100000, vcc_lo
	s_delay_alu instid0(VALU_DEP_3) | instskip(SKIP_2) | instid1(VALU_DEP_4)
	v_add_f64 v[50:51], v[40:41], -v[42:43]
	v_add_f64 v[28:29], v[28:29], -v[42:43]
	;; [unrolled: 1-line block ×3, first 2 shown]
	v_add_f64 v[32:33], v[32:33], v[16:17]
	s_delay_alu instid0(VALU_DEP_4) | instskip(NEXT) | instid1(VALU_DEP_3)
	v_add_f64 v[42:43], v[44:45], -v[50:51]
	v_add_f64 v[26:27], v[26:27], v[40:41]
	s_delay_alu instid0(VALU_DEP_3) | instskip(NEXT) | instid1(VALU_DEP_3)
	v_add_f64 v[48:49], v[36:37], v[32:33]
	v_add_f64 v[28:29], v[28:29], v[42:43]
	s_delay_alu instid0(VALU_DEP_2) | instskip(NEXT) | instid1(VALU_DEP_2)
	v_cvt_i32_f64_e32 v17, v[48:49]
	v_add_f64 v[26:27], v[28:29], v[26:27]
	s_delay_alu instid0(VALU_DEP_2) | instskip(NEXT) | instid1(VALU_DEP_2)
	v_cvt_f64_i32_e32 v[46:47], v17
	v_add_f64 v[24:25], v[24:25], v[26:27]
	s_delay_alu instid0(VALU_DEP_2) | instskip(NEXT) | instid1(VALU_DEP_2)
	v_add_f64 v[32:33], v[32:33], -v[46:47]
	v_add_f64 v[24:25], v[30:31], v[24:25]
	s_delay_alu instid0(VALU_DEP_2) | instskip(NEXT) | instid1(VALU_DEP_1)
	v_add_f64 v[28:29], v[36:37], v[32:33]
	v_add_f64 v[26:27], v[28:29], -v[32:33]
	v_cmp_le_f64_e32 vcc_lo, 0.5, v[28:29]
	s_delay_alu instid0(VALU_DEP_2) | instskip(SKIP_2) | instid1(VALU_DEP_3)
	v_add_f64 v[26:27], v[36:37], -v[26:27]
	v_add_co_ci_u32_e64 v22, s0, 0, v17, vcc_lo
	v_cndmask_b32_e64 v17, 0, 0x3ff00000, vcc_lo
	v_add_f64 v[24:25], v[24:25], v[26:27]
	s_delay_alu instid0(VALU_DEP_2) | instskip(NEXT) | instid1(VALU_DEP_1)
	v_add_f64 v[26:27], v[28:29], -v[16:17]
	v_add_f64 v[28:29], v[26:27], v[24:25]
	s_delay_alu instid0(VALU_DEP_1) | instskip(SKIP_1) | instid1(VALU_DEP_2)
	v_mul_f64 v[30:31], v[28:29], s[4:5]
	v_add_f64 v[26:27], v[28:29], -v[26:27]
	v_fma_f64 v[32:33], v[28:29], s[4:5], -v[30:31]
	s_delay_alu instid0(VALU_DEP_2) | instskip(NEXT) | instid1(VALU_DEP_2)
	v_add_f64 v[24:25], v[24:25], -v[26:27]
	v_fma_f64 v[26:27], v[28:29], s[20:21], v[32:33]
	s_delay_alu instid0(VALU_DEP_1) | instskip(NEXT) | instid1(VALU_DEP_1)
	v_fma_f64 v[26:27], v[24:25], s[4:5], v[26:27]
	v_add_f64 v[24:25], v[30:31], v[26:27]
	s_delay_alu instid0(VALU_DEP_1) | instskip(NEXT) | instid1(VALU_DEP_1)
	v_add_f64 v[28:29], v[24:25], -v[30:31]
	v_add_f64 v[26:27], v[26:27], -v[28:29]
	s_and_not1_saveexec_b32 s0, s2
	s_cbranch_execz .LBB254_345
	s_branch .LBB254_344
.LBB254_343:                            ;   in Loop: Header=BB254_233 Depth=1
	s_and_not1_saveexec_b32 s0, s2
	s_cbranch_execz .LBB254_345
.LBB254_344:                            ;   in Loop: Header=BB254_233 Depth=1
	v_mul_f64 v[24:25], |v[10:11]|, s[22:23]
	s_mov_b32 s8, s24
	s_delay_alu instid0(VALU_DEP_1) | instskip(NEXT) | instid1(VALU_DEP_1)
	v_rndne_f64_e32 v[28:29], v[24:25]
	v_fma_f64 v[24:25], v[28:29], s[6:7], |v[10:11]|
	v_mul_f64 v[26:27], v[28:29], s[24:25]
	v_cvt_i32_f64_e32 v22, v[28:29]
	s_delay_alu instid0(VALU_DEP_3) | instskip(NEXT) | instid1(VALU_DEP_3)
	v_fma_f64 v[32:33], v[28:29], s[24:25], v[24:25]
	v_add_f64 v[30:31], v[24:25], v[26:27]
	s_delay_alu instid0(VALU_DEP_1) | instskip(NEXT) | instid1(VALU_DEP_3)
	v_add_f64 v[24:25], v[24:25], -v[30:31]
	v_add_f64 v[30:31], v[30:31], -v[32:33]
	s_delay_alu instid0(VALU_DEP_2) | instskip(SKIP_1) | instid1(VALU_DEP_2)
	v_add_f64 v[24:25], v[24:25], v[26:27]
	v_fma_f64 v[26:27], v[28:29], s[8:9], v[26:27]
	v_add_f64 v[24:25], v[30:31], v[24:25]
	s_delay_alu instid0(VALU_DEP_1) | instskip(NEXT) | instid1(VALU_DEP_1)
	v_add_f64 v[24:25], v[24:25], -v[26:27]
	v_fma_f64 v[26:27], v[28:29], s[26:27], v[24:25]
	s_delay_alu instid0(VALU_DEP_1) | instskip(NEXT) | instid1(VALU_DEP_1)
	v_add_f64 v[24:25], v[32:33], v[26:27]
	v_add_f64 v[30:31], v[24:25], -v[32:33]
	s_delay_alu instid0(VALU_DEP_1)
	v_add_f64 v[26:27], v[26:27], -v[30:31]
.LBB254_345:                            ;   in Loop: Header=BB254_233 Depth=1
	s_or_b32 exec_lo, exec_lo, s0
                                        ; implicit-def: $vgpr32
                                        ; implicit-def: $vgpr28_vgpr29
                                        ; implicit-def: $vgpr30_vgpr31
	s_and_saveexec_b32 s0, s1
	s_delay_alu instid0(SALU_CYCLE_1)
	s_xor_b32 s1, exec_lo, s0
	s_cbranch_execz .LBB254_347
; %bb.346:                              ;   in Loop: Header=BB254_233 Depth=1
	v_ldexp_f64 v[28:29], |v[10:11]|, 0xffffff80
	v_cmp_le_f64_e64 vcc_lo, 0x7b000000, |v[10:11]|
	v_trig_preop_f64 v[30:31], |v[10:11]|, 0
	v_and_b32_e32 v17, 0x7fffffff, v11
	v_trig_preop_f64 v[32:33], |v[10:11]|, 1
	v_trig_preop_f64 v[42:43], |v[10:11]|, 2
	s_mov_b32 s4, s6
	s_mov_b32 s21, s9
	v_dual_cndmask_b32 v28, v10, v28 :: v_dual_cndmask_b32 v29, v17, v29
	s_delay_alu instid0(VALU_DEP_1) | instskip(NEXT) | instid1(VALU_DEP_4)
	v_mul_f64 v[34:35], v[30:31], v[28:29]
	v_mul_f64 v[36:37], v[32:33], v[28:29]
	s_delay_alu instid0(VALU_DEP_2) | instskip(NEXT) | instid1(VALU_DEP_2)
	v_fma_f64 v[30:31], v[30:31], v[28:29], -v[34:35]
	v_fma_f64 v[32:33], v[32:33], v[28:29], -v[36:37]
	s_delay_alu instid0(VALU_DEP_2) | instskip(NEXT) | instid1(VALU_DEP_1)
	v_add_f64 v[38:39], v[36:37], v[30:31]
	v_add_f64 v[40:41], v[38:39], -v[36:37]
	v_add_f64 v[46:47], v[34:35], v[38:39]
	s_delay_alu instid0(VALU_DEP_2) | instskip(SKIP_1) | instid1(VALU_DEP_3)
	v_add_f64 v[44:45], v[38:39], -v[40:41]
	v_add_f64 v[30:31], v[30:31], -v[40:41]
	v_ldexp_f64 v[40:41], v[46:47], -2
	v_add_f64 v[34:35], v[46:47], -v[34:35]
	s_delay_alu instid0(VALU_DEP_4) | instskip(NEXT) | instid1(VALU_DEP_3)
	v_add_f64 v[36:37], v[36:37], -v[44:45]
	v_cmp_neq_f64_e64 vcc_lo, 0x7ff00000, |v[40:41]|
	s_delay_alu instid0(VALU_DEP_3) | instskip(NEXT) | instid1(VALU_DEP_3)
	v_add_f64 v[34:35], v[38:39], -v[34:35]
	v_add_f64 v[30:31], v[30:31], v[36:37]
	v_fract_f64_e32 v[36:37], v[40:41]
	s_delay_alu instid0(VALU_DEP_1) | instskip(SKIP_1) | instid1(VALU_DEP_3)
	v_cndmask_b32_e32 v36, 0, v36, vcc_lo
	v_mul_f64 v[48:49], v[42:43], v[28:29]
	v_cndmask_b32_e32 v37, 0, v37, vcc_lo
	s_delay_alu instid0(VALU_DEP_1) | instskip(NEXT) | instid1(VALU_DEP_3)
	v_ldexp_f64 v[36:37], v[36:37], 2
	v_add_f64 v[44:45], v[48:49], v[32:33]
	v_fma_f64 v[28:29], v[42:43], v[28:29], -v[48:49]
	s_delay_alu instid0(VALU_DEP_2) | instskip(NEXT) | instid1(VALU_DEP_1)
	v_add_f64 v[38:39], v[44:45], v[30:31]
	v_add_f64 v[40:41], v[34:35], v[38:39]
	v_add_f64 v[50:51], v[38:39], -v[44:45]
	s_delay_alu instid0(VALU_DEP_2) | instskip(NEXT) | instid1(VALU_DEP_2)
	v_add_f64 v[46:47], v[40:41], v[36:37]
	v_add_f64 v[56:57], v[38:39], -v[50:51]
	v_add_f64 v[30:31], v[30:31], -v[50:51]
	;; [unrolled: 1-line block ×3, first 2 shown]
	s_delay_alu instid0(VALU_DEP_4) | instskip(SKIP_2) | instid1(VALU_DEP_2)
	v_cmp_gt_f64_e32 vcc_lo, 0, v[46:47]
	v_add_f64 v[46:47], v[44:45], -v[48:49]
	v_cndmask_b32_e64 v17, 0, 0x40100000, vcc_lo
	v_add_f64 v[54:55], v[44:45], -v[46:47]
	v_add_f64 v[32:33], v[32:33], -v[46:47]
	;; [unrolled: 1-line block ×3, first 2 shown]
	s_delay_alu instid0(VALU_DEP_4) | instskip(NEXT) | instid1(VALU_DEP_4)
	v_add_f64 v[36:37], v[36:37], v[16:17]
	v_add_f64 v[46:47], v[48:49], -v[54:55]
	s_delay_alu instid0(VALU_DEP_3) | instskip(NEXT) | instid1(VALU_DEP_3)
	v_add_f64 v[30:31], v[30:31], v[44:45]
	v_add_f64 v[52:53], v[40:41], v[36:37]
	s_delay_alu instid0(VALU_DEP_3) | instskip(NEXT) | instid1(VALU_DEP_2)
	v_add_f64 v[32:33], v[32:33], v[46:47]
	v_cvt_i32_f64_e32 v17, v[52:53]
	s_delay_alu instid0(VALU_DEP_2) | instskip(SKIP_1) | instid1(VALU_DEP_3)
	v_add_f64 v[30:31], v[32:33], v[30:31]
	v_add_f64 v[32:33], v[38:39], -v[34:35]
	v_cvt_f64_i32_e32 v[50:51], v17
	s_delay_alu instid0(VALU_DEP_3) | instskip(NEXT) | instid1(VALU_DEP_2)
	v_add_f64 v[28:29], v[28:29], v[30:31]
	v_add_f64 v[36:37], v[36:37], -v[50:51]
	s_delay_alu instid0(VALU_DEP_2) | instskip(NEXT) | instid1(VALU_DEP_2)
	v_add_f64 v[28:29], v[32:33], v[28:29]
	v_add_f64 v[42:43], v[40:41], v[36:37]
	s_delay_alu instid0(VALU_DEP_1) | instskip(SKIP_1) | instid1(VALU_DEP_2)
	v_add_f64 v[30:31], v[42:43], -v[36:37]
	v_cmp_le_f64_e32 vcc_lo, 0.5, v[42:43]
	v_add_f64 v[30:31], v[40:41], -v[30:31]
	v_add_co_ci_u32_e64 v32, s0, 0, v17, vcc_lo
	v_cndmask_b32_e64 v17, 0, 0x3ff00000, vcc_lo
	s_delay_alu instid0(VALU_DEP_3) | instskip(NEXT) | instid1(VALU_DEP_2)
	v_add_f64 v[28:29], v[28:29], v[30:31]
	v_add_f64 v[30:31], v[42:43], -v[16:17]
	s_delay_alu instid0(VALU_DEP_1) | instskip(NEXT) | instid1(VALU_DEP_1)
	v_add_f64 v[33:34], v[30:31], v[28:29]
	v_mul_f64 v[35:36], v[33:34], s[4:5]
	v_add_f64 v[30:31], v[33:34], -v[30:31]
	s_delay_alu instid0(VALU_DEP_2) | instskip(NEXT) | instid1(VALU_DEP_2)
	v_fma_f64 v[37:38], v[33:34], s[4:5], -v[35:36]
	v_add_f64 v[28:29], v[28:29], -v[30:31]
	s_delay_alu instid0(VALU_DEP_2) | instskip(NEXT) | instid1(VALU_DEP_1)
	v_fma_f64 v[30:31], v[33:34], s[20:21], v[37:38]
	v_fma_f64 v[30:31], v[28:29], s[4:5], v[30:31]
	s_delay_alu instid0(VALU_DEP_1) | instskip(NEXT) | instid1(VALU_DEP_1)
	v_add_f64 v[28:29], v[35:36], v[30:31]
	v_add_f64 v[33:34], v[28:29], -v[35:36]
	s_delay_alu instid0(VALU_DEP_1)
	v_add_f64 v[30:31], v[30:31], -v[33:34]
	s_and_not1_saveexec_b32 s0, s1
	s_cbranch_execnz .LBB254_348
	s_branch .LBB254_349
.LBB254_347:                            ;   in Loop: Header=BB254_233 Depth=1
	s_and_not1_saveexec_b32 s0, s1
	s_cbranch_execz .LBB254_349
.LBB254_348:                            ;   in Loop: Header=BB254_233 Depth=1
	v_mul_f64 v[28:29], |v[10:11]|, s[22:23]
	s_mov_b32 s8, s24
	s_delay_alu instid0(VALU_DEP_1) | instskip(NEXT) | instid1(VALU_DEP_1)
	v_rndne_f64_e32 v[32:33], v[28:29]
	v_fma_f64 v[28:29], v[32:33], s[6:7], |v[10:11]|
	v_mul_f64 v[30:31], v[32:33], s[24:25]
	s_delay_alu instid0(VALU_DEP_2) | instskip(NEXT) | instid1(VALU_DEP_2)
	v_fma_f64 v[36:37], v[32:33], s[24:25], v[28:29]
	v_add_f64 v[34:35], v[28:29], v[30:31]
	s_delay_alu instid0(VALU_DEP_1) | instskip(NEXT) | instid1(VALU_DEP_3)
	v_add_f64 v[28:29], v[28:29], -v[34:35]
	v_add_f64 v[34:35], v[34:35], -v[36:37]
	s_delay_alu instid0(VALU_DEP_2) | instskip(SKIP_1) | instid1(VALU_DEP_2)
	v_add_f64 v[28:29], v[28:29], v[30:31]
	v_fma_f64 v[30:31], v[32:33], s[8:9], v[30:31]
	v_add_f64 v[28:29], v[34:35], v[28:29]
	s_delay_alu instid0(VALU_DEP_1) | instskip(NEXT) | instid1(VALU_DEP_1)
	v_add_f64 v[28:29], v[28:29], -v[30:31]
	v_fma_f64 v[30:31], v[32:33], s[26:27], v[28:29]
	v_cvt_i32_f64_e32 v32, v[32:33]
	s_delay_alu instid0(VALU_DEP_2) | instskip(NEXT) | instid1(VALU_DEP_1)
	v_add_f64 v[28:29], v[36:37], v[30:31]
	v_add_f64 v[34:35], v[28:29], -v[36:37]
	s_delay_alu instid0(VALU_DEP_1)
	v_add_f64 v[30:31], v[30:31], -v[34:35]
.LBB254_349:                            ;   in Loop: Header=BB254_233 Depth=1
	s_or_b32 exec_lo, exec_lo, s0
	s_mov_b32 s28, s30
	v_mul_f64 v[39:40], v[24:25], v[24:25]
	v_mul_f64 v[33:34], v[8:9], s[28:29]
	;; [unrolled: 1-line block ×3, first 2 shown]
	s_mov_b32 s75, s47
	s_mov_b32 s77, s49
	s_delay_alu instid0(VALU_DEP_4)
	v_mul_f64 v[59:60], v[26:27], 0.5
	v_mul_f64 v[65:66], v[30:31], 0.5
	s_mov_b32 s78, s48
	v_cmp_class_f64_e64 s0, v[10:11], 0x1f8
	v_cmp_ngt_f64_e64 s1, 0xc0900000, v[8:9]
	v_cmp_nlt_f64_e64 s2, 0x4090cc00, v[8:9]
	v_and_b32_e32 v10, 1, v32
	s_delay_alu instid0(VALU_DEP_1)
	v_cmp_eq_u32_e64 s3, 0, v10
	v_fma_f64 v[43:44], v[39:40], s[66:67], s[64:65]
	v_rndne_f64_e32 v[33:34], v[33:34]
	v_fma_f64 v[45:46], v[41:42], s[66:67], s[64:65]
	v_fma_f64 v[47:48], v[39:40], s[56:57], s[54:55]
	v_mul_f64 v[49:50], v[39:40], 0.5
	v_fma_f64 v[51:52], v[41:42], s[56:57], s[54:55]
	v_mul_f64 v[53:54], v[41:42], 0.5
	v_mul_f64 v[61:62], v[24:25], -v[39:40]
	v_mul_f64 v[67:68], v[28:29], -v[41:42]
	v_fma_f64 v[43:44], v[39:40], v[43:44], s[68:69]
	v_fma_f64 v[35:36], v[33:34], s[16:17], -v[8:9]
	v_fma_f64 v[45:46], v[41:42], v[45:46], s[68:69]
	v_fma_f64 v[47:48], v[39:40], v[47:48], s[58:59]
	v_add_f64 v[55:56], -v[49:50], 1.0
	v_fma_f64 v[51:52], v[41:42], v[51:52], s[58:59]
	v_add_f64 v[57:58], -v[53:54], 1.0
	v_cvt_i32_f64_e32 v17, v[33:34]
	v_lshlrev_b32_e32 v9, 30, v22
	v_lshlrev_b32_e32 v8, 30, v32
	s_delay_alu instid0(VALU_DEP_1)
	v_xor_b32_e32 v8, v8, v23
	v_fma_f64 v[43:44], v[39:40], v[43:44], s[70:71]
	v_fma_f64 v[35:36], v[33:34], s[18:19], v[35:36]
	v_fma_f64 v[45:46], v[41:42], v[45:46], s[70:71]
	v_fma_f64 v[47:48], v[39:40], v[47:48], s[60:61]
	v_add_f64 v[63:64], -v[55:56], 1.0
	v_fma_f64 v[51:52], v[41:42], v[51:52], s[60:61]
	v_add_f64 v[69:70], -v[57:58], 1.0
	v_fma_f64 v[43:44], v[39:40], v[43:44], s[46:47]
	v_fma_f64 v[37:38], v[35:36], s[36:37], s[34:35]
	;; [unrolled: 1-line block ×4, first 2 shown]
	v_add_f64 v[49:50], v[63:64], -v[49:50]
	v_fma_f64 v[51:52], v[41:42], v[51:52], s[62:63]
	v_add_f64 v[53:54], v[69:70], -v[53:54]
	v_fma_f64 v[43:44], v[61:62], v[43:44], v[59:60]
	v_fma_f64 v[37:38], v[35:36], v[37:38], s[38:39]
	;; [unrolled: 1-line block ×3, first 2 shown]
	v_mul_f64 v[59:60], v[39:40], v[39:40]
	v_fma_f64 v[47:48], v[39:40], v[47:48], s[48:49]
	v_fma_f64 v[49:50], v[24:25], -v[26:27], v[49:50]
	v_fma_f64 v[26:27], v[39:40], v[43:44], -v[26:27]
	v_fma_f64 v[37:38], v[35:36], v[37:38], s[40:41]
	v_mul_f64 v[39:40], v[41:42], v[41:42]
	v_fma_f64 v[43:44], v[41:42], v[51:52], s[48:49]
	v_fma_f64 v[51:52], v[28:29], -v[30:31], v[53:54]
	v_fma_f64 v[30:31], v[41:42], v[45:46], -v[30:31]
	v_fma_f64 v[41:42], v[59:60], v[47:48], v[49:50]
	v_fma_f64 v[26:27], v[61:62], s[78:79], v[26:27]
	;; [unrolled: 1-line block ×3, first 2 shown]
	s_delay_alu instid0(VALU_DEP_4) | instskip(NEXT) | instid1(VALU_DEP_3)
	v_fma_f64 v[30:31], v[67:68], s[78:79], v[30:31]
	v_add_f64 v[24:25], v[24:25], -v[26:27]
	s_delay_alu instid0(VALU_DEP_3) | instskip(NEXT) | instid1(VALU_DEP_3)
	v_fma_f64 v[37:38], v[35:36], v[37:38], s[44:45]
	v_add_f64 v[28:29], v[28:29], -v[30:31]
	s_delay_alu instid0(VALU_DEP_2) | instskip(NEXT) | instid1(VALU_DEP_1)
	v_fma_f64 v[37:38], v[35:36], v[37:38], s[74:75]
	v_fma_f64 v[37:38], v[35:36], v[37:38], s[76:77]
	s_delay_alu instid0(VALU_DEP_1) | instskip(NEXT) | instid1(VALU_DEP_1)
	v_fma_f64 v[37:38], v[35:36], v[37:38], s[50:51]
	v_fma_f64 v[37:38], v[35:36], v[37:38], s[52:53]
	s_delay_alu instid0(VALU_DEP_1) | instskip(NEXT) | instid1(VALU_DEP_1)
	v_fma_f64 v[37:38], v[35:36], v[37:38], 1.0
	v_fma_f64 v[33:34], v[35:36], v[37:38], 1.0
	v_fma_f64 v[35:36], v[39:40], v[43:44], v[51:52]
	v_add_f64 v[37:38], v[55:56], v[41:42]
	s_delay_alu instid0(VALU_DEP_3) | instskip(NEXT) | instid1(VALU_DEP_3)
	v_ldexp_f64 v[26:27], v[33:34], v17
	v_add_f64 v[33:34], v[57:58], v[35:36]
	v_and_b32_e32 v17, 1, v22
	v_xor_b32_e32 v22, 0x80000000, v25
	s_delay_alu instid0(VALU_DEP_2) | instskip(NEXT) | instid1(VALU_DEP_2)
	v_cmp_eq_u32_e32 vcc_lo, 0, v17
	v_dual_cndmask_b32 v10, v22, v38 :: v_dual_and_b32 v9, 0x80000000, v9
	v_cndmask_b32_e32 v17, v24, v37, vcc_lo
	s_and_b32 vcc_lo, s2, s1
	v_and_b32_e32 v22, 0x80000000, v8
	s_delay_alu instid0(VALU_DEP_3) | instskip(NEXT) | instid1(VALU_DEP_3)
	v_xor_b32_e32 v9, v10, v9
	v_cndmask_b32_e64 v8, 0, v17, s0
	s_delay_alu instid0(VALU_DEP_2) | instskip(SKIP_3) | instid1(VALU_DEP_2)
	v_cndmask_b32_e64 v9, 0x7ff80000, v9, s0
	v_cndmask_b32_e64 v11, 0x7ff00000, v27, s1
	;; [unrolled: 1-line block ×4, first 2 shown]
	v_xor_b32_e32 v17, v24, v22
	s_delay_alu instid0(VALU_DEP_2) | instskip(SKIP_2) | instid1(VALU_DEP_4)
	v_cndmask_b32_e64 v10, 0, v23, s0
	v_cndmask_b32_e64 v23, 0, v11, s2
	v_cndmask_b32_e32 v22, 0, v26, vcc_lo
	v_cndmask_b32_e64 v11, 0x7ff80000, v17, s0
	s_delay_alu instid0(VALU_DEP_2) | instskip(NEXT) | instid1(VALU_DEP_2)
	v_mul_f64 v[24:25], v[22:23], v[8:9]
	v_mul_f64 v[22:23], v[22:23], v[10:11]
                                        ; implicit-def: $vgpr10_vgpr11
.LBB254_350:                            ;   in Loop: Header=BB254_233 Depth=1
	s_and_not1_saveexec_b32 s28, s86
	s_cbranch_execz .LBB254_360
; %bb.351:                              ;   in Loop: Header=BB254_233 Depth=1
	v_cmp_ngt_f64_e64 s1, 0x41d00000, |v[10:11]|
                                        ; implicit-def: $vgpr22
                                        ; implicit-def: $vgpr24_vgpr25
                                        ; implicit-def: $vgpr26_vgpr27
	s_delay_alu instid0(VALU_DEP_1) | instskip(NEXT) | instid1(SALU_CYCLE_1)
	s_and_saveexec_b32 s0, s1
	s_xor_b32 s2, exec_lo, s0
	s_cbranch_execz .LBB254_353
; %bb.352:                              ;   in Loop: Header=BB254_233 Depth=1
	v_ldexp_f64 v[24:25], |v[10:11]|, 0xffffff80
	v_cmp_le_f64_e64 vcc_lo, 0x7b000000, |v[10:11]|
	v_trig_preop_f64 v[26:27], |v[10:11]|, 0
	v_and_b32_e32 v17, 0x7fffffff, v11
	v_trig_preop_f64 v[28:29], |v[10:11]|, 1
	v_trig_preop_f64 v[38:39], |v[10:11]|, 2
	s_mov_b32 s4, s6
	s_mov_b32 s21, s9
	v_dual_cndmask_b32 v24, v10, v24 :: v_dual_cndmask_b32 v25, v17, v25
	s_delay_alu instid0(VALU_DEP_1) | instskip(NEXT) | instid1(VALU_DEP_4)
	v_mul_f64 v[30:31], v[26:27], v[24:25]
	v_mul_f64 v[32:33], v[28:29], v[24:25]
	s_delay_alu instid0(VALU_DEP_2) | instskip(NEXT) | instid1(VALU_DEP_2)
	v_fma_f64 v[26:27], v[26:27], v[24:25], -v[30:31]
	v_fma_f64 v[28:29], v[28:29], v[24:25], -v[32:33]
	s_delay_alu instid0(VALU_DEP_2) | instskip(NEXT) | instid1(VALU_DEP_1)
	v_add_f64 v[34:35], v[32:33], v[26:27]
	v_add_f64 v[36:37], v[34:35], -v[32:33]
	v_add_f64 v[42:43], v[30:31], v[34:35]
	s_delay_alu instid0(VALU_DEP_2) | instskip(SKIP_1) | instid1(VALU_DEP_3)
	v_add_f64 v[40:41], v[34:35], -v[36:37]
	v_add_f64 v[26:27], v[26:27], -v[36:37]
	v_ldexp_f64 v[36:37], v[42:43], -2
	v_add_f64 v[30:31], v[42:43], -v[30:31]
	s_delay_alu instid0(VALU_DEP_4) | instskip(NEXT) | instid1(VALU_DEP_3)
	v_add_f64 v[32:33], v[32:33], -v[40:41]
	v_cmp_neq_f64_e64 vcc_lo, 0x7ff00000, |v[36:37]|
	s_delay_alu instid0(VALU_DEP_3) | instskip(NEXT) | instid1(VALU_DEP_3)
	v_add_f64 v[30:31], v[34:35], -v[30:31]
	v_add_f64 v[26:27], v[26:27], v[32:33]
	v_fract_f64_e32 v[32:33], v[36:37]
	s_delay_alu instid0(VALU_DEP_1) | instskip(SKIP_1) | instid1(VALU_DEP_3)
	v_cndmask_b32_e32 v32, 0, v32, vcc_lo
	v_mul_f64 v[44:45], v[38:39], v[24:25]
	v_cndmask_b32_e32 v33, 0, v33, vcc_lo
	s_delay_alu instid0(VALU_DEP_1) | instskip(NEXT) | instid1(VALU_DEP_3)
	v_ldexp_f64 v[32:33], v[32:33], 2
	v_add_f64 v[40:41], v[44:45], v[28:29]
	v_fma_f64 v[24:25], v[38:39], v[24:25], -v[44:45]
	s_delay_alu instid0(VALU_DEP_2) | instskip(NEXT) | instid1(VALU_DEP_1)
	v_add_f64 v[34:35], v[40:41], v[26:27]
	v_add_f64 v[36:37], v[30:31], v[34:35]
	v_add_f64 v[46:47], v[34:35], -v[40:41]
	s_delay_alu instid0(VALU_DEP_2) | instskip(NEXT) | instid1(VALU_DEP_2)
	v_add_f64 v[42:43], v[36:37], v[32:33]
	v_add_f64 v[52:53], v[34:35], -v[46:47]
	v_add_f64 v[26:27], v[26:27], -v[46:47]
	;; [unrolled: 1-line block ×3, first 2 shown]
	s_delay_alu instid0(VALU_DEP_4) | instskip(SKIP_1) | instid1(VALU_DEP_3)
	v_cmp_gt_f64_e32 vcc_lo, 0, v[42:43]
	v_add_f64 v[42:43], v[40:41], -v[44:45]
	v_add_f64 v[30:31], v[34:35], -v[30:31]
	v_cndmask_b32_e64 v17, 0, 0x40100000, vcc_lo
	s_delay_alu instid0(VALU_DEP_3) | instskip(SKIP_2) | instid1(VALU_DEP_4)
	v_add_f64 v[50:51], v[40:41], -v[42:43]
	v_add_f64 v[28:29], v[28:29], -v[42:43]
	;; [unrolled: 1-line block ×3, first 2 shown]
	v_add_f64 v[32:33], v[32:33], v[16:17]
	s_delay_alu instid0(VALU_DEP_4) | instskip(NEXT) | instid1(VALU_DEP_3)
	v_add_f64 v[42:43], v[44:45], -v[50:51]
	v_add_f64 v[26:27], v[26:27], v[40:41]
	s_delay_alu instid0(VALU_DEP_3) | instskip(NEXT) | instid1(VALU_DEP_3)
	v_add_f64 v[48:49], v[36:37], v[32:33]
	v_add_f64 v[28:29], v[28:29], v[42:43]
	s_delay_alu instid0(VALU_DEP_2) | instskip(NEXT) | instid1(VALU_DEP_2)
	v_cvt_i32_f64_e32 v17, v[48:49]
	v_add_f64 v[26:27], v[28:29], v[26:27]
	s_delay_alu instid0(VALU_DEP_2) | instskip(NEXT) | instid1(VALU_DEP_2)
	v_cvt_f64_i32_e32 v[46:47], v17
	v_add_f64 v[24:25], v[24:25], v[26:27]
	s_delay_alu instid0(VALU_DEP_2) | instskip(NEXT) | instid1(VALU_DEP_2)
	v_add_f64 v[32:33], v[32:33], -v[46:47]
	v_add_f64 v[24:25], v[30:31], v[24:25]
	s_delay_alu instid0(VALU_DEP_2) | instskip(NEXT) | instid1(VALU_DEP_1)
	v_add_f64 v[28:29], v[36:37], v[32:33]
	v_add_f64 v[26:27], v[28:29], -v[32:33]
	v_cmp_le_f64_e32 vcc_lo, 0.5, v[28:29]
	s_delay_alu instid0(VALU_DEP_2) | instskip(SKIP_2) | instid1(VALU_DEP_3)
	v_add_f64 v[26:27], v[36:37], -v[26:27]
	v_add_co_ci_u32_e64 v22, s0, 0, v17, vcc_lo
	v_cndmask_b32_e64 v17, 0, 0x3ff00000, vcc_lo
	v_add_f64 v[24:25], v[24:25], v[26:27]
	s_delay_alu instid0(VALU_DEP_2) | instskip(NEXT) | instid1(VALU_DEP_1)
	v_add_f64 v[26:27], v[28:29], -v[16:17]
	v_add_f64 v[28:29], v[26:27], v[24:25]
	s_delay_alu instid0(VALU_DEP_1) | instskip(SKIP_1) | instid1(VALU_DEP_2)
	v_mul_f64 v[30:31], v[28:29], s[4:5]
	v_add_f64 v[26:27], v[28:29], -v[26:27]
	v_fma_f64 v[32:33], v[28:29], s[4:5], -v[30:31]
	s_delay_alu instid0(VALU_DEP_2) | instskip(NEXT) | instid1(VALU_DEP_2)
	v_add_f64 v[24:25], v[24:25], -v[26:27]
	v_fma_f64 v[26:27], v[28:29], s[20:21], v[32:33]
	s_delay_alu instid0(VALU_DEP_1) | instskip(NEXT) | instid1(VALU_DEP_1)
	v_fma_f64 v[26:27], v[24:25], s[4:5], v[26:27]
	v_add_f64 v[24:25], v[30:31], v[26:27]
	s_delay_alu instid0(VALU_DEP_1) | instskip(NEXT) | instid1(VALU_DEP_1)
	v_add_f64 v[28:29], v[24:25], -v[30:31]
	v_add_f64 v[26:27], v[26:27], -v[28:29]
	s_and_not1_saveexec_b32 s0, s2
	s_cbranch_execz .LBB254_355
	s_branch .LBB254_354
.LBB254_353:                            ;   in Loop: Header=BB254_233 Depth=1
	s_and_not1_saveexec_b32 s0, s2
	s_cbranch_execz .LBB254_355
.LBB254_354:                            ;   in Loop: Header=BB254_233 Depth=1
	v_mul_f64 v[24:25], |v[10:11]|, s[22:23]
	s_mov_b32 s8, s24
	s_delay_alu instid0(VALU_DEP_1) | instskip(NEXT) | instid1(VALU_DEP_1)
	v_rndne_f64_e32 v[28:29], v[24:25]
	v_fma_f64 v[24:25], v[28:29], s[6:7], |v[10:11]|
	v_mul_f64 v[26:27], v[28:29], s[24:25]
	v_cvt_i32_f64_e32 v22, v[28:29]
	s_delay_alu instid0(VALU_DEP_3) | instskip(NEXT) | instid1(VALU_DEP_3)
	v_fma_f64 v[32:33], v[28:29], s[24:25], v[24:25]
	v_add_f64 v[30:31], v[24:25], v[26:27]
	s_delay_alu instid0(VALU_DEP_1) | instskip(NEXT) | instid1(VALU_DEP_3)
	v_add_f64 v[24:25], v[24:25], -v[30:31]
	v_add_f64 v[30:31], v[30:31], -v[32:33]
	s_delay_alu instid0(VALU_DEP_2) | instskip(SKIP_1) | instid1(VALU_DEP_2)
	v_add_f64 v[24:25], v[24:25], v[26:27]
	v_fma_f64 v[26:27], v[28:29], s[8:9], v[26:27]
	v_add_f64 v[24:25], v[30:31], v[24:25]
	s_delay_alu instid0(VALU_DEP_1) | instskip(NEXT) | instid1(VALU_DEP_1)
	v_add_f64 v[24:25], v[24:25], -v[26:27]
	v_fma_f64 v[26:27], v[28:29], s[26:27], v[24:25]
	s_delay_alu instid0(VALU_DEP_1) | instskip(NEXT) | instid1(VALU_DEP_1)
	v_add_f64 v[24:25], v[32:33], v[26:27]
	v_add_f64 v[30:31], v[24:25], -v[32:33]
	s_delay_alu instid0(VALU_DEP_1)
	v_add_f64 v[26:27], v[26:27], -v[30:31]
.LBB254_355:                            ;   in Loop: Header=BB254_233 Depth=1
	s_or_b32 exec_lo, exec_lo, s0
                                        ; implicit-def: $vgpr32
                                        ; implicit-def: $vgpr28_vgpr29
                                        ; implicit-def: $vgpr30_vgpr31
	s_and_saveexec_b32 s0, s1
	s_delay_alu instid0(SALU_CYCLE_1)
	s_xor_b32 s1, exec_lo, s0
	s_cbranch_execz .LBB254_357
; %bb.356:                              ;   in Loop: Header=BB254_233 Depth=1
	v_ldexp_f64 v[28:29], |v[10:11]|, 0xffffff80
	v_cmp_le_f64_e64 vcc_lo, 0x7b000000, |v[10:11]|
	v_trig_preop_f64 v[30:31], |v[10:11]|, 0
	v_and_b32_e32 v17, 0x7fffffff, v11
	v_trig_preop_f64 v[32:33], |v[10:11]|, 1
	v_trig_preop_f64 v[42:43], |v[10:11]|, 2
	s_mov_b32 s4, s6
	s_mov_b32 s21, s9
	v_dual_cndmask_b32 v28, v10, v28 :: v_dual_cndmask_b32 v29, v17, v29
	s_delay_alu instid0(VALU_DEP_1) | instskip(NEXT) | instid1(VALU_DEP_4)
	v_mul_f64 v[34:35], v[30:31], v[28:29]
	v_mul_f64 v[36:37], v[32:33], v[28:29]
	s_delay_alu instid0(VALU_DEP_2) | instskip(NEXT) | instid1(VALU_DEP_2)
	v_fma_f64 v[30:31], v[30:31], v[28:29], -v[34:35]
	v_fma_f64 v[32:33], v[32:33], v[28:29], -v[36:37]
	s_delay_alu instid0(VALU_DEP_2) | instskip(NEXT) | instid1(VALU_DEP_1)
	v_add_f64 v[38:39], v[36:37], v[30:31]
	v_add_f64 v[40:41], v[38:39], -v[36:37]
	v_add_f64 v[46:47], v[34:35], v[38:39]
	s_delay_alu instid0(VALU_DEP_2) | instskip(SKIP_1) | instid1(VALU_DEP_3)
	v_add_f64 v[44:45], v[38:39], -v[40:41]
	v_add_f64 v[30:31], v[30:31], -v[40:41]
	v_ldexp_f64 v[40:41], v[46:47], -2
	v_add_f64 v[34:35], v[46:47], -v[34:35]
	s_delay_alu instid0(VALU_DEP_4) | instskip(NEXT) | instid1(VALU_DEP_3)
	v_add_f64 v[36:37], v[36:37], -v[44:45]
	v_cmp_neq_f64_e64 vcc_lo, 0x7ff00000, |v[40:41]|
	s_delay_alu instid0(VALU_DEP_3) | instskip(NEXT) | instid1(VALU_DEP_3)
	v_add_f64 v[34:35], v[38:39], -v[34:35]
	v_add_f64 v[30:31], v[30:31], v[36:37]
	v_fract_f64_e32 v[36:37], v[40:41]
	s_delay_alu instid0(VALU_DEP_1) | instskip(SKIP_1) | instid1(VALU_DEP_3)
	v_cndmask_b32_e32 v36, 0, v36, vcc_lo
	v_mul_f64 v[48:49], v[42:43], v[28:29]
	v_cndmask_b32_e32 v37, 0, v37, vcc_lo
	s_delay_alu instid0(VALU_DEP_1) | instskip(NEXT) | instid1(VALU_DEP_3)
	v_ldexp_f64 v[36:37], v[36:37], 2
	v_add_f64 v[44:45], v[48:49], v[32:33]
	v_fma_f64 v[28:29], v[42:43], v[28:29], -v[48:49]
	s_delay_alu instid0(VALU_DEP_2) | instskip(NEXT) | instid1(VALU_DEP_1)
	v_add_f64 v[38:39], v[44:45], v[30:31]
	v_add_f64 v[40:41], v[34:35], v[38:39]
	v_add_f64 v[50:51], v[38:39], -v[44:45]
	s_delay_alu instid0(VALU_DEP_2) | instskip(NEXT) | instid1(VALU_DEP_2)
	v_add_f64 v[46:47], v[40:41], v[36:37]
	v_add_f64 v[56:57], v[38:39], -v[50:51]
	v_add_f64 v[30:31], v[30:31], -v[50:51]
	;; [unrolled: 1-line block ×3, first 2 shown]
	s_delay_alu instid0(VALU_DEP_4) | instskip(SKIP_2) | instid1(VALU_DEP_2)
	v_cmp_gt_f64_e32 vcc_lo, 0, v[46:47]
	v_add_f64 v[46:47], v[44:45], -v[48:49]
	v_cndmask_b32_e64 v17, 0, 0x40100000, vcc_lo
	v_add_f64 v[54:55], v[44:45], -v[46:47]
	v_add_f64 v[32:33], v[32:33], -v[46:47]
	;; [unrolled: 1-line block ×3, first 2 shown]
	s_delay_alu instid0(VALU_DEP_4) | instskip(NEXT) | instid1(VALU_DEP_4)
	v_add_f64 v[36:37], v[36:37], v[16:17]
	v_add_f64 v[46:47], v[48:49], -v[54:55]
	s_delay_alu instid0(VALU_DEP_3) | instskip(NEXT) | instid1(VALU_DEP_3)
	v_add_f64 v[30:31], v[30:31], v[44:45]
	v_add_f64 v[52:53], v[40:41], v[36:37]
	s_delay_alu instid0(VALU_DEP_3) | instskip(NEXT) | instid1(VALU_DEP_2)
	v_add_f64 v[32:33], v[32:33], v[46:47]
	v_cvt_i32_f64_e32 v17, v[52:53]
	s_delay_alu instid0(VALU_DEP_2) | instskip(SKIP_1) | instid1(VALU_DEP_3)
	v_add_f64 v[30:31], v[32:33], v[30:31]
	v_add_f64 v[32:33], v[38:39], -v[34:35]
	v_cvt_f64_i32_e32 v[50:51], v17
	s_delay_alu instid0(VALU_DEP_3) | instskip(NEXT) | instid1(VALU_DEP_2)
	v_add_f64 v[28:29], v[28:29], v[30:31]
	v_add_f64 v[36:37], v[36:37], -v[50:51]
	s_delay_alu instid0(VALU_DEP_2) | instskip(NEXT) | instid1(VALU_DEP_2)
	v_add_f64 v[28:29], v[32:33], v[28:29]
	v_add_f64 v[42:43], v[40:41], v[36:37]
	s_delay_alu instid0(VALU_DEP_1) | instskip(SKIP_1) | instid1(VALU_DEP_2)
	v_add_f64 v[30:31], v[42:43], -v[36:37]
	v_cmp_le_f64_e32 vcc_lo, 0.5, v[42:43]
	v_add_f64 v[30:31], v[40:41], -v[30:31]
	v_add_co_ci_u32_e64 v32, s0, 0, v17, vcc_lo
	v_cndmask_b32_e64 v17, 0, 0x3ff00000, vcc_lo
	s_delay_alu instid0(VALU_DEP_3) | instskip(NEXT) | instid1(VALU_DEP_2)
	v_add_f64 v[28:29], v[28:29], v[30:31]
	v_add_f64 v[30:31], v[42:43], -v[16:17]
	s_delay_alu instid0(VALU_DEP_1) | instskip(NEXT) | instid1(VALU_DEP_1)
	v_add_f64 v[33:34], v[30:31], v[28:29]
	v_mul_f64 v[35:36], v[33:34], s[4:5]
	v_add_f64 v[30:31], v[33:34], -v[30:31]
	s_delay_alu instid0(VALU_DEP_2) | instskip(NEXT) | instid1(VALU_DEP_2)
	v_fma_f64 v[37:38], v[33:34], s[4:5], -v[35:36]
	v_add_f64 v[28:29], v[28:29], -v[30:31]
	s_delay_alu instid0(VALU_DEP_2) | instskip(NEXT) | instid1(VALU_DEP_1)
	v_fma_f64 v[30:31], v[33:34], s[20:21], v[37:38]
	v_fma_f64 v[30:31], v[28:29], s[4:5], v[30:31]
	s_delay_alu instid0(VALU_DEP_1) | instskip(NEXT) | instid1(VALU_DEP_1)
	v_add_f64 v[28:29], v[35:36], v[30:31]
	v_add_f64 v[33:34], v[28:29], -v[35:36]
	s_delay_alu instid0(VALU_DEP_1)
	v_add_f64 v[30:31], v[30:31], -v[33:34]
	s_and_not1_saveexec_b32 s0, s1
	s_cbranch_execnz .LBB254_358
	s_branch .LBB254_359
.LBB254_357:                            ;   in Loop: Header=BB254_233 Depth=1
	s_and_not1_saveexec_b32 s0, s1
	s_cbranch_execz .LBB254_359
.LBB254_358:                            ;   in Loop: Header=BB254_233 Depth=1
	v_mul_f64 v[28:29], |v[10:11]|, s[22:23]
	s_mov_b32 s8, s24
	s_delay_alu instid0(VALU_DEP_1) | instskip(NEXT) | instid1(VALU_DEP_1)
	v_rndne_f64_e32 v[32:33], v[28:29]
	v_fma_f64 v[28:29], v[32:33], s[6:7], |v[10:11]|
	v_mul_f64 v[30:31], v[32:33], s[24:25]
	s_delay_alu instid0(VALU_DEP_2) | instskip(NEXT) | instid1(VALU_DEP_2)
	v_fma_f64 v[36:37], v[32:33], s[24:25], v[28:29]
	v_add_f64 v[34:35], v[28:29], v[30:31]
	s_delay_alu instid0(VALU_DEP_1) | instskip(NEXT) | instid1(VALU_DEP_3)
	v_add_f64 v[28:29], v[28:29], -v[34:35]
	v_add_f64 v[34:35], v[34:35], -v[36:37]
	s_delay_alu instid0(VALU_DEP_2) | instskip(SKIP_1) | instid1(VALU_DEP_2)
	v_add_f64 v[28:29], v[28:29], v[30:31]
	v_fma_f64 v[30:31], v[32:33], s[8:9], v[30:31]
	v_add_f64 v[28:29], v[34:35], v[28:29]
	s_delay_alu instid0(VALU_DEP_1) | instskip(NEXT) | instid1(VALU_DEP_1)
	v_add_f64 v[28:29], v[28:29], -v[30:31]
	v_fma_f64 v[30:31], v[32:33], s[26:27], v[28:29]
	v_cvt_i32_f64_e32 v32, v[32:33]
	s_delay_alu instid0(VALU_DEP_2) | instskip(NEXT) | instid1(VALU_DEP_1)
	v_add_f64 v[28:29], v[36:37], v[30:31]
	v_add_f64 v[34:35], v[28:29], -v[36:37]
	s_delay_alu instid0(VALU_DEP_1)
	v_add_f64 v[30:31], v[30:31], -v[34:35]
.LBB254_359:                            ;   in Loop: Header=BB254_233 Depth=1
	s_or_b32 exec_lo, exec_lo, s0
	v_add_f64 v[8:9], -v[8:9], s[72:73]
	s_delay_alu instid0(VALU_DEP_4) | instskip(SKIP_3) | instid1(VALU_DEP_4)
	v_mul_f64 v[39:40], v[24:25], v[24:25]
	v_mul_f64 v[41:42], v[28:29], v[28:29]
	s_mov_b32 s75, s47
	s_mov_b32 s77, s49
	v_mul_f64 v[59:60], v[26:27], 0.5
	v_mul_f64 v[65:66], v[30:31], 0.5
	s_mov_b32 s78, s48
	v_cmp_class_f64_e64 s0, v[10:11], 0x1f8
	v_mul_f64 v[33:34], v[8:9], s[30:31]
	v_fma_f64 v[43:44], v[39:40], s[66:67], s[64:65]
	v_fma_f64 v[45:46], v[41:42], s[66:67], s[64:65]
	v_fma_f64 v[47:48], v[39:40], s[56:57], s[54:55]
	v_mul_f64 v[49:50], v[39:40], 0.5
	v_fma_f64 v[51:52], v[41:42], s[56:57], s[54:55]
	v_mul_f64 v[53:54], v[41:42], 0.5
	v_mul_f64 v[61:62], v[24:25], -v[39:40]
	v_mul_f64 v[67:68], v[28:29], -v[41:42]
	v_cmp_nlt_f64_e64 s1, 0x40900000, v[8:9]
	v_cmp_ngt_f64_e64 s2, 0xc090cc00, v[8:9]
	v_rndne_f64_e32 v[33:34], v[33:34]
	v_fma_f64 v[43:44], v[39:40], v[43:44], s[68:69]
	v_fma_f64 v[45:46], v[41:42], v[45:46], s[68:69]
	;; [unrolled: 1-line block ×3, first 2 shown]
	v_add_f64 v[55:56], -v[49:50], 1.0
	v_fma_f64 v[51:52], v[41:42], v[51:52], s[58:59]
	v_add_f64 v[57:58], -v[53:54], 1.0
	v_fma_f64 v[35:36], v[33:34], s[16:17], v[8:9]
	v_fma_f64 v[43:44], v[39:40], v[43:44], s[70:71]
	;; [unrolled: 1-line block ×4, first 2 shown]
	v_add_f64 v[63:64], -v[55:56], 1.0
	v_fma_f64 v[51:52], v[41:42], v[51:52], s[60:61]
	v_add_f64 v[69:70], -v[57:58], 1.0
	v_cvt_i32_f64_e32 v17, v[33:34]
	v_lshlrev_b32_e32 v9, 30, v22
	v_lshlrev_b32_e32 v8, 30, v32
	s_delay_alu instid0(VALU_DEP_2) | instskip(NEXT) | instid1(VALU_DEP_2)
	v_and_b32_e32 v9, 0x80000000, v9
	v_xor_b32_e32 v8, v8, v23
	v_fma_f64 v[35:36], v[33:34], s[18:19], v[35:36]
	v_fma_f64 v[43:44], v[39:40], v[43:44], s[46:47]
	;; [unrolled: 1-line block ×4, first 2 shown]
	v_add_f64 v[49:50], v[63:64], -v[49:50]
	v_fma_f64 v[51:52], v[41:42], v[51:52], s[62:63]
	v_add_f64 v[53:54], v[69:70], -v[53:54]
	v_fma_f64 v[37:38], v[35:36], s[36:37], s[34:35]
	v_fma_f64 v[43:44], v[61:62], v[43:44], v[59:60]
	;; [unrolled: 1-line block ×3, first 2 shown]
	v_mul_f64 v[59:60], v[39:40], v[39:40]
	v_fma_f64 v[47:48], v[39:40], v[47:48], s[48:49]
	v_fma_f64 v[49:50], v[24:25], -v[26:27], v[49:50]
	v_fma_f64 v[37:38], v[35:36], v[37:38], s[38:39]
	v_fma_f64 v[26:27], v[39:40], v[43:44], -v[26:27]
	v_mul_f64 v[39:40], v[41:42], v[41:42]
	v_fma_f64 v[43:44], v[41:42], v[51:52], s[48:49]
	v_fma_f64 v[51:52], v[28:29], -v[30:31], v[53:54]
	v_fma_f64 v[30:31], v[41:42], v[45:46], -v[30:31]
	v_fma_f64 v[41:42], v[59:60], v[47:48], v[49:50]
	v_fma_f64 v[37:38], v[35:36], v[37:38], s[40:41]
	;; [unrolled: 1-line block ×3, first 2 shown]
	s_delay_alu instid0(VALU_DEP_4) | instskip(NEXT) | instid1(VALU_DEP_3)
	v_fma_f64 v[30:31], v[67:68], s[78:79], v[30:31]
	v_fma_f64 v[37:38], v[35:36], v[37:38], s[42:43]
	s_delay_alu instid0(VALU_DEP_3) | instskip(NEXT) | instid1(VALU_DEP_3)
	v_add_f64 v[24:25], v[24:25], -v[26:27]
	v_add_f64 v[28:29], v[28:29], -v[30:31]
	s_delay_alu instid0(VALU_DEP_3) | instskip(NEXT) | instid1(VALU_DEP_1)
	v_fma_f64 v[37:38], v[35:36], v[37:38], s[44:45]
	v_fma_f64 v[37:38], v[35:36], v[37:38], s[74:75]
	s_delay_alu instid0(VALU_DEP_1) | instskip(NEXT) | instid1(VALU_DEP_1)
	v_fma_f64 v[37:38], v[35:36], v[37:38], s[76:77]
	v_fma_f64 v[37:38], v[35:36], v[37:38], s[50:51]
	s_delay_alu instid0(VALU_DEP_1) | instskip(NEXT) | instid1(VALU_DEP_1)
	v_fma_f64 v[37:38], v[35:36], v[37:38], s[52:53]
	v_fma_f64 v[37:38], v[35:36], v[37:38], 1.0
	s_delay_alu instid0(VALU_DEP_1) | instskip(SKIP_2) | instid1(VALU_DEP_3)
	v_fma_f64 v[33:34], v[35:36], v[37:38], 1.0
	v_fma_f64 v[35:36], v[39:40], v[43:44], v[51:52]
	v_add_f64 v[37:38], v[55:56], v[41:42]
	v_ldexp_f64 v[26:27], v[33:34], v17
	s_delay_alu instid0(VALU_DEP_3) | instskip(SKIP_3) | instid1(VALU_DEP_3)
	v_add_f64 v[33:34], v[57:58], v[35:36]
	v_and_b32_e32 v17, 1, v22
	v_and_b32_e32 v11, 1, v32
	v_xor_b32_e32 v22, 0x80000000, v25
	v_cmp_eq_u32_e32 vcc_lo, 0, v17
	s_delay_alu instid0(VALU_DEP_3) | instskip(SKIP_1) | instid1(VALU_DEP_4)
	v_cmp_eq_u32_e64 s3, 0, v11
	v_cndmask_b32_e32 v17, v24, v37, vcc_lo
	v_dual_cndmask_b32 v11, v22, v38 :: v_dual_and_b32 v22, 0x80000000, v8
	s_and_b32 vcc_lo, s2, s1
	s_delay_alu instid0(VALU_DEP_2) | instskip(NEXT) | instid1(VALU_DEP_2)
	v_cndmask_b32_e64 v8, 0, v17, s0
	v_xor_b32_e32 v9, v11, v9
	s_delay_alu instid0(VALU_DEP_1) | instskip(SKIP_3) | instid1(VALU_DEP_3)
	v_cndmask_b32_e64 v9, 0x7ff80000, v9, s0
	v_cndmask_b32_e64 v10, 0x7ff00000, v27, s1
	;; [unrolled: 1-line block ×5, first 2 shown]
	s_delay_alu instid0(VALU_DEP_3) | instskip(NEXT) | instid1(VALU_DEP_3)
	v_xor_b32_e32 v11, v24, v22
	v_cndmask_b32_e64 v10, 0, v23, s0
	v_cndmask_b32_e32 v22, 0, v26, vcc_lo
	s_delay_alu instid0(VALU_DEP_4) | instskip(NEXT) | instid1(VALU_DEP_4)
	v_and_or_b32 v23, v25, s82, 0x7fe00000
	v_cndmask_b32_e64 v11, 0x7ff80000, v11, s0
	v_lshrrev_b32_e32 v17, 20, v25
	s_delay_alu instid0(VALU_DEP_3) | instskip(NEXT) | instid1(VALU_DEP_3)
	v_mul_f64 v[8:9], v[22:23], v[8:9]
	v_mul_f64 v[10:11], v[22:23], v[10:11]
	s_delay_alu instid0(VALU_DEP_3) | instskip(NEXT) | instid1(VALU_DEP_1)
	v_add_nc_u32_e32 v22, 0xffffff09, v17
	v_lshrrev_b16 v17, 15, v22
	s_delay_alu instid0(VALU_DEP_1) | instskip(NEXT) | instid1(VALU_DEP_1)
	v_add_nc_u16 v17, v22, v17
	v_ashrrev_i16 v17, 1, v17
	s_delay_alu instid0(VALU_DEP_1) | instskip(NEXT) | instid1(VALU_DEP_1)
	v_bfe_i32 v23, v17, 0, 16
	v_lshl_add_u32 v17, v23, 20, 0x3ff00000
	s_delay_alu instid0(VALU_DEP_1) | instskip(SKIP_3) | instid1(VALU_DEP_2)
	v_mul_f64 v[8:9], v[8:9], v[16:17]
	v_mul_f64 v[10:11], v[10:11], v[16:17]
	v_sub_nc_u32_e32 v17, v22, v23
	v_mov_b32_e32 v22, v16
	v_lshl_add_u32 v23, v17, 20, 0x3ff00000
	s_delay_alu instid0(VALU_DEP_1)
	v_mul_f64 v[24:25], v[8:9], v[22:23]
	v_mul_f64 v[22:23], v[10:11], v[22:23]
.LBB254_360:                            ;   in Loop: Header=BB254_233 Depth=1
	s_or_b32 exec_lo, exec_lo, s28
                                        ; implicit-def: $vgpr26_vgpr27
                                        ; implicit-def: $vgpr8_vgpr9
                                        ; implicit-def: $vgpr17
.LBB254_361:                            ;   in Loop: Header=BB254_233 Depth=1
	s_and_not1_saveexec_b32 s1, s85
	s_cbranch_execz .LBB254_367
; %bb.362:                              ;   in Loop: Header=BB254_233 Depth=1
	v_add_f64 v[22:23], v[10:11], -v[10:11]
	v_cmp_ne_u32_e32 vcc_lo, 0, v26
	v_cmp_ne_u32_e64 s0, 0x7ff00000, v17
	s_delay_alu instid0(VALU_DEP_1) | instskip(NEXT) | instid1(SALU_CYCLE_1)
	s_or_b32 s0, vcc_lo, s0
	s_and_saveexec_b32 s2, s0
	s_delay_alu instid0(SALU_CYCLE_1)
	s_xor_b32 s0, exec_lo, s2
; %bb.363:                              ;   in Loop: Header=BB254_233 Depth=1
                                        ; implicit-def: $vgpr26_vgpr27
                                        ; implicit-def: $vgpr8_vgpr9
; %bb.364:                              ;   in Loop: Header=BB254_233 Depth=1
	s_delay_alu instid0(SALU_CYCLE_1) | instskip(NEXT) | instid1(VALU_DEP_3)
	s_or_saveexec_b32 s0, s0
	v_dual_mov_b32 v25, v23 :: v_dual_mov_b32 v24, v22
	s_xor_b32 exec_lo, exec_lo, s0
; %bb.365:                              ;   in Loop: Header=BB254_233 Depth=1
	v_cmp_lt_i64_e32 vcc_lo, -1, v[26:27]
	v_dual_cndmask_b32 v25, 0, v27 :: v_dual_cndmask_b32 v24, 0, v8
	v_dual_cndmask_b32 v23, 0, v23 :: v_dual_cndmask_b32 v22, 0, v22
; %bb.366:                              ;   in Loop: Header=BB254_233 Depth=1
	s_or_b32 exec_lo, exec_lo, s0
.LBB254_367:                            ;   in Loop: Header=BB254_233 Depth=1
	s_delay_alu instid0(SALU_CYCLE_1)
	s_or_b32 exec_lo, exec_lo, s1
                                        ; implicit-def: $vgpr10_vgpr11
.LBB254_368:                            ;   in Loop: Header=BB254_233 Depth=1
	s_and_not1_saveexec_b32 s2, s84
	s_cbranch_execz .LBB254_378
; %bb.369:                              ;   in Loop: Header=BB254_233 Depth=1
	v_cmp_ngt_f64_e64 s1, 0x41d00000, |v[10:11]|
                                        ; implicit-def: $vgpr22
                                        ; implicit-def: $vgpr8_vgpr9
                                        ; implicit-def: $vgpr24_vgpr25
	s_delay_alu instid0(VALU_DEP_1) | instskip(NEXT) | instid1(SALU_CYCLE_1)
	s_and_saveexec_b32 s0, s1
	s_xor_b32 s3, exec_lo, s0
	s_cbranch_execz .LBB254_371
; %bb.370:                              ;   in Loop: Header=BB254_233 Depth=1
	v_ldexp_f64 v[8:9], |v[10:11]|, 0xffffff80
	v_cmp_le_f64_e64 vcc_lo, 0x7b000000, |v[10:11]|
	v_trig_preop_f64 v[24:25], |v[10:11]|, 0
	v_and_b32_e32 v17, 0x7fffffff, v11
	v_trig_preop_f64 v[26:27], |v[10:11]|, 1
	v_trig_preop_f64 v[36:37], |v[10:11]|, 2
	s_mov_b32 s4, s6
	s_mov_b32 s21, s9
	v_dual_cndmask_b32 v8, v10, v8 :: v_dual_cndmask_b32 v9, v17, v9
	s_delay_alu instid0(VALU_DEP_1) | instskip(NEXT) | instid1(VALU_DEP_4)
	v_mul_f64 v[28:29], v[24:25], v[8:9]
	v_mul_f64 v[30:31], v[26:27], v[8:9]
	s_delay_alu instid0(VALU_DEP_2) | instskip(NEXT) | instid1(VALU_DEP_2)
	v_fma_f64 v[24:25], v[24:25], v[8:9], -v[28:29]
	v_fma_f64 v[26:27], v[26:27], v[8:9], -v[30:31]
	s_delay_alu instid0(VALU_DEP_2) | instskip(NEXT) | instid1(VALU_DEP_1)
	v_add_f64 v[32:33], v[30:31], v[24:25]
	v_add_f64 v[34:35], v[32:33], -v[30:31]
	v_add_f64 v[40:41], v[28:29], v[32:33]
	s_delay_alu instid0(VALU_DEP_2) | instskip(SKIP_1) | instid1(VALU_DEP_3)
	v_add_f64 v[38:39], v[32:33], -v[34:35]
	v_add_f64 v[24:25], v[24:25], -v[34:35]
	v_ldexp_f64 v[34:35], v[40:41], -2
	v_add_f64 v[28:29], v[40:41], -v[28:29]
	s_delay_alu instid0(VALU_DEP_4) | instskip(NEXT) | instid1(VALU_DEP_3)
	v_add_f64 v[30:31], v[30:31], -v[38:39]
	v_cmp_neq_f64_e64 vcc_lo, 0x7ff00000, |v[34:35]|
	s_delay_alu instid0(VALU_DEP_3) | instskip(NEXT) | instid1(VALU_DEP_3)
	v_add_f64 v[28:29], v[32:33], -v[28:29]
	v_add_f64 v[24:25], v[24:25], v[30:31]
	v_fract_f64_e32 v[30:31], v[34:35]
	s_delay_alu instid0(VALU_DEP_1) | instskip(SKIP_1) | instid1(VALU_DEP_3)
	v_cndmask_b32_e32 v30, 0, v30, vcc_lo
	v_mul_f64 v[42:43], v[36:37], v[8:9]
	v_cndmask_b32_e32 v31, 0, v31, vcc_lo
	s_delay_alu instid0(VALU_DEP_1) | instskip(NEXT) | instid1(VALU_DEP_3)
	v_ldexp_f64 v[30:31], v[30:31], 2
	v_add_f64 v[38:39], v[42:43], v[26:27]
	v_fma_f64 v[8:9], v[36:37], v[8:9], -v[42:43]
	s_delay_alu instid0(VALU_DEP_2) | instskip(NEXT) | instid1(VALU_DEP_1)
	v_add_f64 v[32:33], v[38:39], v[24:25]
	v_add_f64 v[34:35], v[28:29], v[32:33]
	v_add_f64 v[44:45], v[32:33], -v[38:39]
	s_delay_alu instid0(VALU_DEP_2) | instskip(NEXT) | instid1(VALU_DEP_2)
	v_add_f64 v[40:41], v[34:35], v[30:31]
	v_add_f64 v[50:51], v[32:33], -v[44:45]
	v_add_f64 v[24:25], v[24:25], -v[44:45]
	;; [unrolled: 1-line block ×3, first 2 shown]
	s_delay_alu instid0(VALU_DEP_4) | instskip(SKIP_1) | instid1(VALU_DEP_3)
	v_cmp_gt_f64_e32 vcc_lo, 0, v[40:41]
	v_add_f64 v[40:41], v[38:39], -v[42:43]
	v_add_f64 v[28:29], v[32:33], -v[28:29]
	v_cndmask_b32_e64 v17, 0, 0x40100000, vcc_lo
	s_delay_alu instid0(VALU_DEP_3) | instskip(SKIP_2) | instid1(VALU_DEP_4)
	v_add_f64 v[48:49], v[38:39], -v[40:41]
	v_add_f64 v[26:27], v[26:27], -v[40:41]
	;; [unrolled: 1-line block ×3, first 2 shown]
	v_add_f64 v[30:31], v[30:31], v[16:17]
	s_delay_alu instid0(VALU_DEP_4) | instskip(NEXT) | instid1(VALU_DEP_3)
	v_add_f64 v[40:41], v[42:43], -v[48:49]
	v_add_f64 v[24:25], v[24:25], v[38:39]
	s_delay_alu instid0(VALU_DEP_3) | instskip(NEXT) | instid1(VALU_DEP_3)
	v_add_f64 v[46:47], v[34:35], v[30:31]
	v_add_f64 v[26:27], v[26:27], v[40:41]
	s_delay_alu instid0(VALU_DEP_2) | instskip(NEXT) | instid1(VALU_DEP_2)
	v_cvt_i32_f64_e32 v17, v[46:47]
	v_add_f64 v[24:25], v[26:27], v[24:25]
	s_delay_alu instid0(VALU_DEP_2) | instskip(NEXT) | instid1(VALU_DEP_2)
	v_cvt_f64_i32_e32 v[44:45], v17
	v_add_f64 v[8:9], v[8:9], v[24:25]
	s_delay_alu instid0(VALU_DEP_2) | instskip(NEXT) | instid1(VALU_DEP_2)
	v_add_f64 v[30:31], v[30:31], -v[44:45]
	v_add_f64 v[8:9], v[28:29], v[8:9]
	s_delay_alu instid0(VALU_DEP_2) | instskip(NEXT) | instid1(VALU_DEP_1)
	v_add_f64 v[26:27], v[34:35], v[30:31]
	v_add_f64 v[24:25], v[26:27], -v[30:31]
	v_cmp_le_f64_e32 vcc_lo, 0.5, v[26:27]
	s_delay_alu instid0(VALU_DEP_2) | instskip(SKIP_2) | instid1(VALU_DEP_3)
	v_add_f64 v[24:25], v[34:35], -v[24:25]
	v_add_co_ci_u32_e64 v22, s0, 0, v17, vcc_lo
	v_cndmask_b32_e64 v17, 0, 0x3ff00000, vcc_lo
	v_add_f64 v[8:9], v[8:9], v[24:25]
	s_delay_alu instid0(VALU_DEP_2) | instskip(NEXT) | instid1(VALU_DEP_1)
	v_add_f64 v[24:25], v[26:27], -v[16:17]
	v_add_f64 v[26:27], v[24:25], v[8:9]
	s_delay_alu instid0(VALU_DEP_1) | instskip(SKIP_1) | instid1(VALU_DEP_2)
	v_mul_f64 v[28:29], v[26:27], s[4:5]
	v_add_f64 v[24:25], v[26:27], -v[24:25]
	v_fma_f64 v[30:31], v[26:27], s[4:5], -v[28:29]
	s_delay_alu instid0(VALU_DEP_2) | instskip(NEXT) | instid1(VALU_DEP_2)
	v_add_f64 v[8:9], v[8:9], -v[24:25]
	v_fma_f64 v[24:25], v[26:27], s[20:21], v[30:31]
	s_delay_alu instid0(VALU_DEP_1) | instskip(NEXT) | instid1(VALU_DEP_1)
	v_fma_f64 v[24:25], v[8:9], s[4:5], v[24:25]
	v_add_f64 v[8:9], v[28:29], v[24:25]
	s_delay_alu instid0(VALU_DEP_1) | instskip(NEXT) | instid1(VALU_DEP_1)
	v_add_f64 v[26:27], v[8:9], -v[28:29]
	v_add_f64 v[24:25], v[24:25], -v[26:27]
	s_and_not1_saveexec_b32 s0, s3
	s_cbranch_execz .LBB254_373
	s_branch .LBB254_372
.LBB254_371:                            ;   in Loop: Header=BB254_233 Depth=1
	s_and_not1_saveexec_b32 s0, s3
	s_cbranch_execz .LBB254_373
.LBB254_372:                            ;   in Loop: Header=BB254_233 Depth=1
	v_mul_f64 v[8:9], |v[10:11]|, s[22:23]
	s_mov_b32 s8, s24
	s_delay_alu instid0(VALU_DEP_1) | instskip(NEXT) | instid1(VALU_DEP_1)
	v_rndne_f64_e32 v[26:27], v[8:9]
	v_fma_f64 v[8:9], v[26:27], s[6:7], |v[10:11]|
	v_mul_f64 v[24:25], v[26:27], s[24:25]
	v_cvt_i32_f64_e32 v22, v[26:27]
	s_delay_alu instid0(VALU_DEP_3) | instskip(NEXT) | instid1(VALU_DEP_3)
	v_fma_f64 v[30:31], v[26:27], s[24:25], v[8:9]
	v_add_f64 v[28:29], v[8:9], v[24:25]
	s_delay_alu instid0(VALU_DEP_1) | instskip(NEXT) | instid1(VALU_DEP_3)
	v_add_f64 v[8:9], v[8:9], -v[28:29]
	v_add_f64 v[28:29], v[28:29], -v[30:31]
	s_delay_alu instid0(VALU_DEP_2) | instskip(SKIP_1) | instid1(VALU_DEP_2)
	v_add_f64 v[8:9], v[8:9], v[24:25]
	v_fma_f64 v[24:25], v[26:27], s[8:9], v[24:25]
	v_add_f64 v[8:9], v[28:29], v[8:9]
	s_delay_alu instid0(VALU_DEP_1) | instskip(NEXT) | instid1(VALU_DEP_1)
	v_add_f64 v[8:9], v[8:9], -v[24:25]
	v_fma_f64 v[24:25], v[26:27], s[26:27], v[8:9]
	s_delay_alu instid0(VALU_DEP_1) | instskip(NEXT) | instid1(VALU_DEP_1)
	v_add_f64 v[8:9], v[30:31], v[24:25]
	v_add_f64 v[28:29], v[8:9], -v[30:31]
	s_delay_alu instid0(VALU_DEP_1)
	v_add_f64 v[24:25], v[24:25], -v[28:29]
.LBB254_373:                            ;   in Loop: Header=BB254_233 Depth=1
	s_or_b32 exec_lo, exec_lo, s0
                                        ; implicit-def: $vgpr30
                                        ; implicit-def: $vgpr26_vgpr27
                                        ; implicit-def: $vgpr28_vgpr29
	s_and_saveexec_b32 s0, s1
	s_delay_alu instid0(SALU_CYCLE_1)
	s_xor_b32 s1, exec_lo, s0
	s_cbranch_execz .LBB254_375
; %bb.374:                              ;   in Loop: Header=BB254_233 Depth=1
	v_ldexp_f64 v[26:27], |v[10:11]|, 0xffffff80
	v_cmp_le_f64_e64 vcc_lo, 0x7b000000, |v[10:11]|
	v_trig_preop_f64 v[28:29], |v[10:11]|, 0
	v_and_b32_e32 v17, 0x7fffffff, v11
	v_trig_preop_f64 v[30:31], |v[10:11]|, 1
	v_trig_preop_f64 v[40:41], |v[10:11]|, 2
	s_mov_b32 s4, s6
	s_mov_b32 s21, s9
	v_dual_cndmask_b32 v26, v10, v26 :: v_dual_cndmask_b32 v27, v17, v27
	s_delay_alu instid0(VALU_DEP_1) | instskip(NEXT) | instid1(VALU_DEP_4)
	v_mul_f64 v[32:33], v[28:29], v[26:27]
	v_mul_f64 v[34:35], v[30:31], v[26:27]
	s_delay_alu instid0(VALU_DEP_2) | instskip(NEXT) | instid1(VALU_DEP_2)
	v_fma_f64 v[28:29], v[28:29], v[26:27], -v[32:33]
	v_fma_f64 v[30:31], v[30:31], v[26:27], -v[34:35]
	s_delay_alu instid0(VALU_DEP_2) | instskip(NEXT) | instid1(VALU_DEP_1)
	v_add_f64 v[36:37], v[34:35], v[28:29]
	v_add_f64 v[38:39], v[36:37], -v[34:35]
	v_add_f64 v[44:45], v[32:33], v[36:37]
	s_delay_alu instid0(VALU_DEP_2) | instskip(SKIP_1) | instid1(VALU_DEP_3)
	v_add_f64 v[42:43], v[36:37], -v[38:39]
	v_add_f64 v[28:29], v[28:29], -v[38:39]
	v_ldexp_f64 v[38:39], v[44:45], -2
	v_add_f64 v[32:33], v[44:45], -v[32:33]
	s_delay_alu instid0(VALU_DEP_4) | instskip(NEXT) | instid1(VALU_DEP_3)
	v_add_f64 v[34:35], v[34:35], -v[42:43]
	v_cmp_neq_f64_e64 vcc_lo, 0x7ff00000, |v[38:39]|
	s_delay_alu instid0(VALU_DEP_3) | instskip(NEXT) | instid1(VALU_DEP_3)
	v_add_f64 v[32:33], v[36:37], -v[32:33]
	v_add_f64 v[28:29], v[28:29], v[34:35]
	v_fract_f64_e32 v[34:35], v[38:39]
	s_delay_alu instid0(VALU_DEP_1) | instskip(SKIP_1) | instid1(VALU_DEP_3)
	v_cndmask_b32_e32 v34, 0, v34, vcc_lo
	v_mul_f64 v[46:47], v[40:41], v[26:27]
	v_cndmask_b32_e32 v35, 0, v35, vcc_lo
	s_delay_alu instid0(VALU_DEP_1) | instskip(NEXT) | instid1(VALU_DEP_3)
	v_ldexp_f64 v[34:35], v[34:35], 2
	v_add_f64 v[42:43], v[46:47], v[30:31]
	v_fma_f64 v[26:27], v[40:41], v[26:27], -v[46:47]
	s_delay_alu instid0(VALU_DEP_2) | instskip(NEXT) | instid1(VALU_DEP_1)
	v_add_f64 v[36:37], v[42:43], v[28:29]
	v_add_f64 v[38:39], v[32:33], v[36:37]
	v_add_f64 v[48:49], v[36:37], -v[42:43]
	s_delay_alu instid0(VALU_DEP_2) | instskip(NEXT) | instid1(VALU_DEP_2)
	v_add_f64 v[44:45], v[38:39], v[34:35]
	v_add_f64 v[54:55], v[36:37], -v[48:49]
	v_add_f64 v[28:29], v[28:29], -v[48:49]
	;; [unrolled: 1-line block ×3, first 2 shown]
	s_delay_alu instid0(VALU_DEP_4) | instskip(SKIP_2) | instid1(VALU_DEP_2)
	v_cmp_gt_f64_e32 vcc_lo, 0, v[44:45]
	v_add_f64 v[44:45], v[42:43], -v[46:47]
	v_cndmask_b32_e64 v17, 0, 0x40100000, vcc_lo
	v_add_f64 v[52:53], v[42:43], -v[44:45]
	v_add_f64 v[30:31], v[30:31], -v[44:45]
	;; [unrolled: 1-line block ×3, first 2 shown]
	s_delay_alu instid0(VALU_DEP_4) | instskip(NEXT) | instid1(VALU_DEP_4)
	v_add_f64 v[34:35], v[34:35], v[16:17]
	v_add_f64 v[44:45], v[46:47], -v[52:53]
	s_delay_alu instid0(VALU_DEP_3) | instskip(NEXT) | instid1(VALU_DEP_3)
	v_add_f64 v[28:29], v[28:29], v[42:43]
	v_add_f64 v[50:51], v[38:39], v[34:35]
	s_delay_alu instid0(VALU_DEP_3) | instskip(NEXT) | instid1(VALU_DEP_2)
	v_add_f64 v[30:31], v[30:31], v[44:45]
	v_cvt_i32_f64_e32 v17, v[50:51]
	s_delay_alu instid0(VALU_DEP_2) | instskip(SKIP_1) | instid1(VALU_DEP_3)
	v_add_f64 v[28:29], v[30:31], v[28:29]
	v_add_f64 v[30:31], v[36:37], -v[32:33]
	v_cvt_f64_i32_e32 v[48:49], v17
	s_delay_alu instid0(VALU_DEP_3) | instskip(NEXT) | instid1(VALU_DEP_2)
	v_add_f64 v[26:27], v[26:27], v[28:29]
	v_add_f64 v[34:35], v[34:35], -v[48:49]
	s_delay_alu instid0(VALU_DEP_2) | instskip(NEXT) | instid1(VALU_DEP_2)
	v_add_f64 v[26:27], v[30:31], v[26:27]
	v_add_f64 v[40:41], v[38:39], v[34:35]
	s_delay_alu instid0(VALU_DEP_1) | instskip(SKIP_1) | instid1(VALU_DEP_2)
	v_add_f64 v[28:29], v[40:41], -v[34:35]
	v_cmp_le_f64_e32 vcc_lo, 0.5, v[40:41]
	v_add_f64 v[28:29], v[38:39], -v[28:29]
	v_add_co_ci_u32_e64 v30, s0, 0, v17, vcc_lo
	v_cndmask_b32_e64 v17, 0, 0x3ff00000, vcc_lo
	s_delay_alu instid0(VALU_DEP_3) | instskip(NEXT) | instid1(VALU_DEP_2)
	v_add_f64 v[26:27], v[26:27], v[28:29]
	v_add_f64 v[28:29], v[40:41], -v[16:17]
	s_delay_alu instid0(VALU_DEP_1) | instskip(NEXT) | instid1(VALU_DEP_1)
	v_add_f64 v[31:32], v[28:29], v[26:27]
	v_mul_f64 v[33:34], v[31:32], s[4:5]
	v_add_f64 v[28:29], v[31:32], -v[28:29]
	s_delay_alu instid0(VALU_DEP_2) | instskip(NEXT) | instid1(VALU_DEP_2)
	v_fma_f64 v[35:36], v[31:32], s[4:5], -v[33:34]
	v_add_f64 v[26:27], v[26:27], -v[28:29]
	s_delay_alu instid0(VALU_DEP_2) | instskip(NEXT) | instid1(VALU_DEP_1)
	v_fma_f64 v[28:29], v[31:32], s[20:21], v[35:36]
	v_fma_f64 v[28:29], v[26:27], s[4:5], v[28:29]
	s_delay_alu instid0(VALU_DEP_1) | instskip(NEXT) | instid1(VALU_DEP_1)
	v_add_f64 v[26:27], v[33:34], v[28:29]
	v_add_f64 v[31:32], v[26:27], -v[33:34]
	s_delay_alu instid0(VALU_DEP_1)
	v_add_f64 v[28:29], v[28:29], -v[31:32]
	s_and_not1_saveexec_b32 s0, s1
	s_cbranch_execnz .LBB254_376
	s_branch .LBB254_377
.LBB254_375:                            ;   in Loop: Header=BB254_233 Depth=1
	s_and_not1_saveexec_b32 s0, s1
	s_cbranch_execz .LBB254_377
.LBB254_376:                            ;   in Loop: Header=BB254_233 Depth=1
	v_mul_f64 v[26:27], |v[10:11]|, s[22:23]
	s_mov_b32 s8, s24
	s_delay_alu instid0(VALU_DEP_1) | instskip(NEXT) | instid1(VALU_DEP_1)
	v_rndne_f64_e32 v[30:31], v[26:27]
	v_fma_f64 v[26:27], v[30:31], s[6:7], |v[10:11]|
	v_mul_f64 v[28:29], v[30:31], s[24:25]
	s_delay_alu instid0(VALU_DEP_2) | instskip(NEXT) | instid1(VALU_DEP_2)
	v_fma_f64 v[34:35], v[30:31], s[24:25], v[26:27]
	v_add_f64 v[32:33], v[26:27], v[28:29]
	s_delay_alu instid0(VALU_DEP_1) | instskip(NEXT) | instid1(VALU_DEP_3)
	v_add_f64 v[26:27], v[26:27], -v[32:33]
	v_add_f64 v[32:33], v[32:33], -v[34:35]
	s_delay_alu instid0(VALU_DEP_2) | instskip(SKIP_1) | instid1(VALU_DEP_2)
	v_add_f64 v[26:27], v[26:27], v[28:29]
	v_fma_f64 v[28:29], v[30:31], s[8:9], v[28:29]
	v_add_f64 v[26:27], v[32:33], v[26:27]
	s_delay_alu instid0(VALU_DEP_1) | instskip(NEXT) | instid1(VALU_DEP_1)
	v_add_f64 v[26:27], v[26:27], -v[28:29]
	v_fma_f64 v[28:29], v[30:31], s[26:27], v[26:27]
	v_cvt_i32_f64_e32 v30, v[30:31]
	s_delay_alu instid0(VALU_DEP_2) | instskip(NEXT) | instid1(VALU_DEP_1)
	v_add_f64 v[26:27], v[34:35], v[28:29]
	v_add_f64 v[32:33], v[26:27], -v[34:35]
	s_delay_alu instid0(VALU_DEP_1)
	v_add_f64 v[28:29], v[28:29], -v[32:33]
.LBB254_377:                            ;   in Loop: Header=BB254_233 Depth=1
	s_or_b32 exec_lo, exec_lo, s0
	v_mul_f64 v[31:32], v[8:9], v[8:9]
	v_mul_f64 v[33:34], v[26:27], v[26:27]
	s_delay_alu instid0(VALU_DEP_3) | instskip(NEXT) | instid1(VALU_DEP_4)
	v_mul_f64 v[51:52], v[24:25], 0.5
	v_mul_f64 v[57:58], v[28:29], 0.5
	s_mov_b32 s78, s48
	v_cmp_class_f64_e64 s0, v[10:11], 0x1f8
	v_lshlrev_b32_e32 v10, 30, v30
	v_and_b32_e32 v11, 1, v30
	s_delay_alu instid0(VALU_DEP_2) | instskip(NEXT) | instid1(VALU_DEP_2)
	v_xor_b32_e32 v10, v10, v23
	v_cmp_eq_u32_e64 s1, 0, v11
	s_delay_alu instid0(VALU_DEP_2)
	v_and_b32_e32 v10, 0x80000000, v10
	v_fma_f64 v[35:36], v[31:32], s[66:67], s[64:65]
	v_fma_f64 v[37:38], v[33:34], s[66:67], s[64:65]
	v_mul_f64 v[41:42], v[31:32], 0.5
	v_fma_f64 v[39:40], v[31:32], s[56:57], s[54:55]
	v_fma_f64 v[43:44], v[33:34], s[56:57], s[54:55]
	v_mul_f64 v[45:46], v[33:34], 0.5
	v_mul_f64 v[53:54], v[8:9], -v[31:32]
	v_mul_f64 v[59:60], v[26:27], -v[33:34]
	v_fma_f64 v[35:36], v[31:32], v[35:36], s[68:69]
	v_fma_f64 v[37:38], v[33:34], v[37:38], s[68:69]
	v_add_f64 v[47:48], -v[41:42], 1.0
	v_fma_f64 v[39:40], v[31:32], v[39:40], s[58:59]
	v_fma_f64 v[43:44], v[33:34], v[43:44], s[58:59]
	v_add_f64 v[49:50], -v[45:46], 1.0
	;; [unrolled: 3-line block ×4, first 2 shown]
	v_fma_f64 v[35:36], v[31:32], v[35:36], s[46:47]
	v_fma_f64 v[37:38], v[33:34], v[37:38], s[46:47]
	v_add_f64 v[41:42], v[55:56], -v[41:42]
	v_fma_f64 v[39:40], v[31:32], v[39:40], s[62:63]
	v_fma_f64 v[43:44], v[33:34], v[43:44], s[62:63]
	v_add_f64 v[45:46], v[61:62], -v[45:46]
	v_fma_f64 v[35:36], v[53:54], v[35:36], v[51:52]
	v_fma_f64 v[37:38], v[59:60], v[37:38], v[57:58]
	v_fma_f64 v[41:42], v[8:9], -v[24:25], v[41:42]
	v_mul_f64 v[51:52], v[31:32], v[31:32]
	v_fma_f64 v[39:40], v[31:32], v[39:40], s[48:49]
	v_fma_f64 v[24:25], v[31:32], v[35:36], -v[24:25]
	v_mul_f64 v[31:32], v[33:34], v[33:34]
	v_fma_f64 v[35:36], v[33:34], v[43:44], s[48:49]
	v_fma_f64 v[43:44], v[26:27], -v[28:29], v[45:46]
	v_fma_f64 v[28:29], v[33:34], v[37:38], -v[28:29]
	v_fma_f64 v[33:34], v[51:52], v[39:40], v[41:42]
	v_fma_f64 v[24:25], v[53:54], s[78:79], v[24:25]
	s_delay_alu instid0(VALU_DEP_4) | instskip(NEXT) | instid1(VALU_DEP_4)
	v_fma_f64 v[31:32], v[31:32], v[35:36], v[43:44]
	v_fma_f64 v[28:29], v[59:60], s[78:79], v[28:29]
	s_delay_alu instid0(VALU_DEP_4) | instskip(NEXT) | instid1(VALU_DEP_4)
	v_add_f64 v[33:34], v[47:48], v[33:34]
	v_add_f64 v[8:9], v[8:9], -v[24:25]
	v_and_b32_e32 v17, 1, v22
	v_add_f64 v[24:25], v[49:50], v[31:32]
	v_add_f64 v[26:27], v[26:27], -v[28:29]
	s_delay_alu instid0(VALU_DEP_3) | instskip(SKIP_1) | instid1(VALU_DEP_1)
	v_cmp_eq_u32_e32 vcc_lo, 0, v17
	v_lshlrev_b32_e32 v17, 30, v22
	v_and_b32_e32 v11, 0x80000000, v17
	v_cndmask_b32_e32 v8, v8, v33, vcc_lo
	v_xor_b32_e32 v9, 0x80000000, v9
	v_cndmask_b32_e64 v22, v25, v27, s1
	v_cndmask_b32_e64 v17, v24, v26, s1
	s_delay_alu instid0(VALU_DEP_3) | instskip(SKIP_1) | instid1(VALU_DEP_4)
	v_cndmask_b32_e32 v9, v9, v34, vcc_lo
	v_cndmask_b32_e64 v24, 0, v8, s0
	v_xor_b32_e32 v10, v22, v10
	s_delay_alu instid0(VALU_DEP_4) | instskip(NEXT) | instid1(VALU_DEP_4)
	v_cndmask_b32_e64 v22, 0, v17, s0
	v_xor_b32_e32 v9, v9, v11
	s_delay_alu instid0(VALU_DEP_3) | instskip(NEXT) | instid1(VALU_DEP_2)
	v_cndmask_b32_e64 v23, 0x7ff80000, v10, s0
	v_cndmask_b32_e64 v25, 0x7ff80000, v9, s0
.LBB254_378:                            ;   in Loop: Header=BB254_233 Depth=1
	s_or_b32 exec_lo, exec_lo, s2
                                        ; implicit-def: $vgpr8_vgpr9
.LBB254_379:                            ;   in Loop: Header=BB254_233 Depth=1
	s_and_not1_saveexec_b32 s1, s83
	s_cbranch_execz .LBB254_381
; %bb.380:                              ;   in Loop: Header=BB254_233 Depth=1
	s_mov_b32 s28, s30
	s_mov_b32 s75, s47
	v_mul_f64 v[10:11], v[8:9], s[28:29]
	s_mov_b32 s77, s49
	v_cmp_ngt_f64_e32 vcc_lo, 0xc0900000, v[8:9]
	v_cmp_nlt_f64_e64 s0, 0x4090cc00, v[8:9]
	s_delay_alu instid0(VALU_DEP_3) | instskip(NEXT) | instid1(VALU_DEP_1)
	v_rndne_f64_e32 v[10:11], v[10:11]
	v_fma_f64 v[24:25], v[10:11], s[16:17], -v[8:9]
	v_cvt_i32_f64_e32 v17, v[10:11]
	s_delay_alu instid0(VALU_DEP_2) | instskip(NEXT) | instid1(VALU_DEP_1)
	v_fma_f64 v[24:25], v[10:11], s[18:19], v[24:25]
	v_fma_f64 v[26:27], v[24:25], s[36:37], s[34:35]
	s_delay_alu instid0(VALU_DEP_1) | instskip(NEXT) | instid1(VALU_DEP_1)
	v_fma_f64 v[26:27], v[24:25], v[26:27], s[38:39]
	v_fma_f64 v[26:27], v[24:25], v[26:27], s[40:41]
	s_delay_alu instid0(VALU_DEP_1) | instskip(NEXT) | instid1(VALU_DEP_1)
	;; [unrolled: 3-line block ×5, first 2 shown]
	v_fma_f64 v[26:27], v[24:25], v[26:27], 1.0
	v_fma_f64 v[10:11], v[24:25], v[26:27], 1.0
	s_delay_alu instid0(VALU_DEP_1) | instskip(NEXT) | instid1(VALU_DEP_1)
	v_ldexp_f64 v[10:11], v[10:11], v17
	v_cndmask_b32_e32 v11, 0x7ff00000, v11, vcc_lo
	s_and_b32 vcc_lo, s0, vcc_lo
	s_delay_alu instid0(VALU_DEP_2) | instskip(NEXT) | instid1(VALU_DEP_2)
	v_cndmask_b32_e32 v24, 0, v10, vcc_lo
	v_cndmask_b32_e64 v25, 0, v11, s0
.LBB254_381:                            ;   in Loop: Header=BB254_233 Depth=1
	s_or_b32 exec_lo, exec_lo, s1
	s_delay_alu instid0(VALU_DEP_1) | instskip(NEXT) | instid1(VALU_DEP_2)
	v_add_f64 v[24:25], s[12:13], v[24:25]
	v_add_f64 v[22:23], s[14:15], v[22:23]
                                        ; implicit-def: $vgpr10_vgpr11
	s_delay_alu instid0(VALU_DEP_2) | instskip(NEXT) | instid1(VALU_DEP_2)
	v_cmp_gt_f64_e32 vcc_lo, 0, v[24:25]
	v_cmp_gt_f64_e64 s0, 0, v[22:23]
	v_xor_b32_e32 v8, 0x80000000, v25
	v_xor_b32_e32 v9, 0x80000000, v23
	s_delay_alu instid0(VALU_DEP_2) | instskip(NEXT) | instid1(VALU_DEP_2)
	v_cndmask_b32_e32 v27, v25, v8, vcc_lo
	v_cndmask_b32_e64 v29, v23, v9, s0
	v_cndmask_b32_e32 v26, v24, v24, vcc_lo
	v_cndmask_b32_e64 v28, v22, v22, s0
	s_mov_b32 s0, exec_lo
	s_delay_alu instid0(VALU_DEP_1)
	v_cmpx_ge_f64_e32 v[26:27], v[28:29]
	s_xor_b32 s1, exec_lo, s0
	s_cbranch_execz .LBB254_387
; %bb.382:                              ;   in Loop: Header=BB254_233 Depth=1
	v_cmp_neq_f64_e32 vcc_lo, 0, v[24:25]
	v_cmp_neq_f64_e64 s0, 0, v[22:23]
                                        ; implicit-def: $vgpr10_vgpr11
	s_delay_alu instid0(VALU_DEP_1) | instskip(NEXT) | instid1(SALU_CYCLE_1)
	s_or_b32 s0, vcc_lo, s0
	s_and_saveexec_b32 s2, s0
	s_delay_alu instid0(SALU_CYCLE_1)
	s_xor_b32 s0, exec_lo, s2
	s_cbranch_execz .LBB254_384
; %bb.383:                              ;   in Loop: Header=BB254_233 Depth=1
	v_div_scale_f64 v[8:9], null, v[24:25], v[24:25], v[22:23]
	v_div_scale_f64 v[28:29], vcc_lo, v[22:23], v[24:25], v[22:23]
	s_delay_alu instid0(VALU_DEP_2) | instskip(SKIP_2) | instid1(VALU_DEP_1)
	v_rcp_f64_e32 v[10:11], v[8:9]
	s_waitcnt_depctr 0xfff
	v_fma_f64 v[26:27], -v[8:9], v[10:11], 1.0
	v_fma_f64 v[10:11], v[10:11], v[26:27], v[10:11]
	s_delay_alu instid0(VALU_DEP_1) | instskip(NEXT) | instid1(VALU_DEP_1)
	v_fma_f64 v[26:27], -v[8:9], v[10:11], 1.0
	v_fma_f64 v[10:11], v[10:11], v[26:27], v[10:11]
	s_delay_alu instid0(VALU_DEP_1) | instskip(NEXT) | instid1(VALU_DEP_1)
	v_mul_f64 v[26:27], v[28:29], v[10:11]
	v_fma_f64 v[8:9], -v[8:9], v[26:27], v[28:29]
	s_delay_alu instid0(VALU_DEP_1) | instskip(NEXT) | instid1(VALU_DEP_1)
	v_div_fmas_f64 v[8:9], v[8:9], v[10:11], v[26:27]
	v_div_fixup_f64 v[8:9], v[8:9], v[24:25], v[22:23]
	s_delay_alu instid0(VALU_DEP_1) | instskip(NEXT) | instid1(VALU_DEP_1)
	v_fma_f64 v[10:11], v[22:23], v[8:9], v[24:25]
	v_div_scale_f64 v[22:23], null, v[10:11], v[10:11], 1.0
	v_div_scale_f64 v[28:29], vcc_lo, 1.0, v[10:11], 1.0
	s_delay_alu instid0(VALU_DEP_2) | instskip(SKIP_2) | instid1(VALU_DEP_1)
	v_rcp_f64_e32 v[24:25], v[22:23]
	s_waitcnt_depctr 0xfff
	v_fma_f64 v[26:27], -v[22:23], v[24:25], 1.0
	v_fma_f64 v[24:25], v[24:25], v[26:27], v[24:25]
	s_delay_alu instid0(VALU_DEP_1) | instskip(NEXT) | instid1(VALU_DEP_1)
	v_fma_f64 v[26:27], -v[22:23], v[24:25], 1.0
	v_fma_f64 v[24:25], v[24:25], v[26:27], v[24:25]
	s_delay_alu instid0(VALU_DEP_1) | instskip(NEXT) | instid1(VALU_DEP_1)
	v_mul_f64 v[26:27], v[28:29], v[24:25]
	v_fma_f64 v[22:23], -v[22:23], v[26:27], v[28:29]
                                        ; implicit-def: $vgpr28_vgpr29
	s_delay_alu instid0(VALU_DEP_1) | instskip(SKIP_1) | instid1(VALU_DEP_2)
	v_div_fmas_f64 v[22:23], v[22:23], v[24:25], v[26:27]
	v_fma_f64 v[24:25], s[14:15], v[8:9], s[12:13]
                                        ; implicit-def: $vgpr26_vgpr27
	v_div_fixup_f64 v[10:11], v[22:23], v[10:11], 1.0
	v_fma_f64 v[22:23], -s[12:13], v[8:9], s[14:15]
	s_delay_alu instid0(VALU_DEP_2) | instskip(NEXT) | instid1(VALU_DEP_2)
	v_mul_f64 v[8:9], v[24:25], v[10:11]
	v_mul_f64 v[10:11], v[22:23], v[10:11]
.LBB254_384:                            ;   in Loop: Header=BB254_233 Depth=1
	s_and_not1_saveexec_b32 s2, s0
	s_cbranch_execz .LBB254_386
; %bb.385:                              ;   in Loop: Header=BB254_233 Depth=1
	v_div_scale_f64 v[8:9], null, v[26:27], v[26:27], s[12:13]
	v_div_scale_f64 v[10:11], null, v[28:29], v[28:29], s[14:15]
	v_div_scale_f64 v[34:35], vcc_lo, s[12:13], v[26:27], s[12:13]
	s_delay_alu instid0(VALU_DEP_3) | instskip(NEXT) | instid1(VALU_DEP_2)
	v_rcp_f64_e32 v[22:23], v[8:9]
	v_rcp_f64_e32 v[24:25], v[10:11]
	s_waitcnt_depctr 0xfff
	v_fma_f64 v[30:31], -v[8:9], v[22:23], 1.0
	v_fma_f64 v[32:33], -v[10:11], v[24:25], 1.0
	s_delay_alu instid0(VALU_DEP_2) | instskip(NEXT) | instid1(VALU_DEP_2)
	v_fma_f64 v[22:23], v[22:23], v[30:31], v[22:23]
	v_fma_f64 v[24:25], v[24:25], v[32:33], v[24:25]
	s_delay_alu instid0(VALU_DEP_2) | instskip(NEXT) | instid1(VALU_DEP_2)
	v_fma_f64 v[30:31], -v[8:9], v[22:23], 1.0
	v_fma_f64 v[32:33], -v[10:11], v[24:25], 1.0
	s_delay_alu instid0(VALU_DEP_2) | instskip(SKIP_1) | instid1(VALU_DEP_3)
	v_fma_f64 v[22:23], v[22:23], v[30:31], v[22:23]
	v_div_scale_f64 v[30:31], s0, s[14:15], v[28:29], s[14:15]
	v_fma_f64 v[24:25], v[24:25], v[32:33], v[24:25]
	s_delay_alu instid0(VALU_DEP_3) | instskip(NEXT) | instid1(VALU_DEP_2)
	v_mul_f64 v[32:33], v[34:35], v[22:23]
	v_mul_f64 v[36:37], v[30:31], v[24:25]
	s_delay_alu instid0(VALU_DEP_2) | instskip(NEXT) | instid1(VALU_DEP_2)
	v_fma_f64 v[8:9], -v[8:9], v[32:33], v[34:35]
	v_fma_f64 v[10:11], -v[10:11], v[36:37], v[30:31]
	s_delay_alu instid0(VALU_DEP_2) | instskip(SKIP_1) | instid1(VALU_DEP_2)
	v_div_fmas_f64 v[8:9], v[8:9], v[22:23], v[32:33]
	s_mov_b32 vcc_lo, s0
	v_div_fmas_f64 v[10:11], v[10:11], v[24:25], v[36:37]
	s_delay_alu instid0(VALU_DEP_2) | instskip(NEXT) | instid1(VALU_DEP_2)
	v_div_fixup_f64 v[8:9], v[8:9], v[26:27], s[12:13]
	v_div_fixup_f64 v[10:11], v[10:11], v[28:29], s[14:15]
.LBB254_386:                            ;   in Loop: Header=BB254_233 Depth=1
	s_or_b32 exec_lo, exec_lo, s2
                                        ; implicit-def: $vgpr22_vgpr23
                                        ; implicit-def: $vgpr24_vgpr25
.LBB254_387:                            ;   in Loop: Header=BB254_233 Depth=1
	s_and_not1_saveexec_b32 s0, s1
	s_cbranch_execz .LBB254_389
; %bb.388:                              ;   in Loop: Header=BB254_233 Depth=1
	v_div_scale_f64 v[8:9], null, v[22:23], v[22:23], v[24:25]
	v_div_scale_f64 v[28:29], vcc_lo, v[24:25], v[22:23], v[24:25]
	s_delay_alu instid0(VALU_DEP_2) | instskip(SKIP_2) | instid1(VALU_DEP_1)
	v_rcp_f64_e32 v[10:11], v[8:9]
	s_waitcnt_depctr 0xfff
	v_fma_f64 v[26:27], -v[8:9], v[10:11], 1.0
	v_fma_f64 v[10:11], v[10:11], v[26:27], v[10:11]
	s_delay_alu instid0(VALU_DEP_1) | instskip(NEXT) | instid1(VALU_DEP_1)
	v_fma_f64 v[26:27], -v[8:9], v[10:11], 1.0
	v_fma_f64 v[10:11], v[10:11], v[26:27], v[10:11]
	s_delay_alu instid0(VALU_DEP_1) | instskip(NEXT) | instid1(VALU_DEP_1)
	v_mul_f64 v[26:27], v[28:29], v[10:11]
	v_fma_f64 v[8:9], -v[8:9], v[26:27], v[28:29]
	s_delay_alu instid0(VALU_DEP_1) | instskip(NEXT) | instid1(VALU_DEP_1)
	v_div_fmas_f64 v[8:9], v[8:9], v[10:11], v[26:27]
	v_div_fixup_f64 v[8:9], v[8:9], v[22:23], v[24:25]
	s_delay_alu instid0(VALU_DEP_1) | instskip(NEXT) | instid1(VALU_DEP_1)
	v_fma_f64 v[10:11], v[24:25], v[8:9], v[22:23]
	v_div_scale_f64 v[22:23], null, v[10:11], v[10:11], 1.0
	v_div_scale_f64 v[28:29], vcc_lo, 1.0, v[10:11], 1.0
	s_delay_alu instid0(VALU_DEP_2) | instskip(SKIP_2) | instid1(VALU_DEP_1)
	v_rcp_f64_e32 v[24:25], v[22:23]
	s_waitcnt_depctr 0xfff
	v_fma_f64 v[26:27], -v[22:23], v[24:25], 1.0
	v_fma_f64 v[24:25], v[24:25], v[26:27], v[24:25]
	s_delay_alu instid0(VALU_DEP_1) | instskip(NEXT) | instid1(VALU_DEP_1)
	v_fma_f64 v[26:27], -v[22:23], v[24:25], 1.0
	v_fma_f64 v[24:25], v[24:25], v[26:27], v[24:25]
	s_delay_alu instid0(VALU_DEP_1) | instskip(NEXT) | instid1(VALU_DEP_1)
	v_mul_f64 v[26:27], v[28:29], v[24:25]
	v_fma_f64 v[22:23], -v[22:23], v[26:27], v[28:29]
	s_delay_alu instid0(VALU_DEP_1) | instskip(SKIP_1) | instid1(VALU_DEP_2)
	v_div_fmas_f64 v[22:23], v[22:23], v[24:25], v[26:27]
	v_fma_f64 v[24:25], s[12:13], v[8:9], s[14:15]
	v_div_fixup_f64 v[10:11], v[22:23], v[10:11], 1.0
	v_fma_f64 v[22:23], s[14:15], v[8:9], -s[12:13]
	s_delay_alu instid0(VALU_DEP_2) | instskip(NEXT) | instid1(VALU_DEP_2)
	v_mul_f64 v[8:9], v[24:25], v[10:11]
	v_mul_f64 v[10:11], v[22:23], v[10:11]
.LBB254_389:                            ;   in Loop: Header=BB254_233 Depth=1
	s_or_b32 exec_lo, exec_lo, s0
	v_xor_b32_e32 v23, 0x80000000, v3
	v_mov_b32_e32 v22, v2
                                        ; implicit-def: $vgpr24_vgpr25
	s_mov_b32 s0, exec_lo
	s_delay_alu instid0(VALU_DEP_2) | instskip(NEXT) | instid1(VALU_DEP_1)
	v_and_b32_e32 v28, 0x7fffffff, v23
	v_or_b32_e32 v17, v28, v2
	s_delay_alu instid0(VALU_DEP_1)
	v_cmpx_ne_u32_e32 0, v17
	s_xor_b32 s83, exec_lo, s0
	s_cbranch_execz .LBB254_431
; %bb.390:                              ;   in Loop: Header=BB254_233 Depth=1
	v_xor_b32_e32 v27, 0x80000000, v1
	v_mov_b32_e32 v26, v0
                                        ; implicit-def: $vgpr24_vgpr25
	s_mov_b32 s0, exec_lo
	s_delay_alu instid0(VALU_DEP_2) | instskip(NEXT) | instid1(VALU_DEP_1)
	v_and_b32_e32 v17, 0x7fffffff, v27
	v_or_b32_e32 v22, v17, v26
	s_delay_alu instid0(VALU_DEP_1)
	v_cmpx_ne_u32_e32 0, v22
	s_xor_b32 s84, exec_lo, s0
	s_cbranch_execz .LBB254_420
; %bb.391:                              ;   in Loop: Header=BB254_233 Depth=1
                                        ; implicit-def: $vgpr24_vgpr25
	s_mov_b32 s0, exec_lo
	v_cmpx_gt_u32_e32 0x7ff00000, v28
	s_xor_b32 s85, exec_lo, s0
	s_cbranch_execz .LBB254_413
; %bb.392:                              ;   in Loop: Header=BB254_233 Depth=1
	v_add_nc_u32_e32 v17, 0xbf79d1be, v27
                                        ; implicit-def: $vgpr24_vgpr25
	s_mov_b32 s0, exec_lo
	s_delay_alu instid0(VALU_DEP_1)
	v_cmpx_lt_u32_e32 0x108aa2, v17
	s_xor_b32 s86, exec_lo, s0
	s_cbranch_execz .LBB254_402
; %bb.393:                              ;   in Loop: Header=BB254_233 Depth=1
	v_cmp_ngt_f64_e64 s1, 0x41d00000, |v[2:3]|
                                        ; implicit-def: $vgpr22
                                        ; implicit-def: $vgpr24_vgpr25
                                        ; implicit-def: $vgpr26_vgpr27
	s_delay_alu instid0(VALU_DEP_1) | instskip(NEXT) | instid1(SALU_CYCLE_1)
	s_and_saveexec_b32 s0, s1
	s_xor_b32 s2, exec_lo, s0
	s_cbranch_execz .LBB254_395
; %bb.394:                              ;   in Loop: Header=BB254_233 Depth=1
	v_ldexp_f64 v[24:25], |v[2:3]|, 0xffffff80
	v_cmp_le_f64_e64 vcc_lo, 0x7b000000, |v[2:3]|
	v_trig_preop_f64 v[26:27], |v[2:3]|, 0
	v_and_b32_e32 v17, 0x7fffffff, v3
	v_trig_preop_f64 v[28:29], |v[2:3]|, 1
	v_trig_preop_f64 v[38:39], |v[2:3]|, 2
	s_mov_b32 s4, s6
	s_mov_b32 s21, s9
	v_dual_cndmask_b32 v24, v2, v24 :: v_dual_cndmask_b32 v25, v17, v25
	s_delay_alu instid0(VALU_DEP_1) | instskip(NEXT) | instid1(VALU_DEP_4)
	v_mul_f64 v[30:31], v[26:27], v[24:25]
	v_mul_f64 v[32:33], v[28:29], v[24:25]
	s_delay_alu instid0(VALU_DEP_2) | instskip(NEXT) | instid1(VALU_DEP_2)
	v_fma_f64 v[26:27], v[26:27], v[24:25], -v[30:31]
	v_fma_f64 v[28:29], v[28:29], v[24:25], -v[32:33]
	s_delay_alu instid0(VALU_DEP_2) | instskip(NEXT) | instid1(VALU_DEP_1)
	v_add_f64 v[34:35], v[32:33], v[26:27]
	v_add_f64 v[36:37], v[34:35], -v[32:33]
	v_add_f64 v[42:43], v[30:31], v[34:35]
	s_delay_alu instid0(VALU_DEP_2) | instskip(SKIP_1) | instid1(VALU_DEP_3)
	v_add_f64 v[40:41], v[34:35], -v[36:37]
	v_add_f64 v[26:27], v[26:27], -v[36:37]
	v_ldexp_f64 v[36:37], v[42:43], -2
	v_add_f64 v[30:31], v[42:43], -v[30:31]
	s_delay_alu instid0(VALU_DEP_4) | instskip(NEXT) | instid1(VALU_DEP_3)
	v_add_f64 v[32:33], v[32:33], -v[40:41]
	v_cmp_neq_f64_e64 vcc_lo, 0x7ff00000, |v[36:37]|
	s_delay_alu instid0(VALU_DEP_3) | instskip(NEXT) | instid1(VALU_DEP_3)
	v_add_f64 v[30:31], v[34:35], -v[30:31]
	v_add_f64 v[26:27], v[26:27], v[32:33]
	v_fract_f64_e32 v[32:33], v[36:37]
	s_delay_alu instid0(VALU_DEP_1) | instskip(SKIP_1) | instid1(VALU_DEP_3)
	v_cndmask_b32_e32 v32, 0, v32, vcc_lo
	v_mul_f64 v[44:45], v[38:39], v[24:25]
	v_cndmask_b32_e32 v33, 0, v33, vcc_lo
	s_delay_alu instid0(VALU_DEP_1) | instskip(NEXT) | instid1(VALU_DEP_3)
	v_ldexp_f64 v[32:33], v[32:33], 2
	v_add_f64 v[40:41], v[44:45], v[28:29]
	v_fma_f64 v[24:25], v[38:39], v[24:25], -v[44:45]
	s_delay_alu instid0(VALU_DEP_2) | instskip(NEXT) | instid1(VALU_DEP_1)
	v_add_f64 v[34:35], v[40:41], v[26:27]
	v_add_f64 v[36:37], v[30:31], v[34:35]
	v_add_f64 v[46:47], v[34:35], -v[40:41]
	s_delay_alu instid0(VALU_DEP_2) | instskip(NEXT) | instid1(VALU_DEP_2)
	v_add_f64 v[42:43], v[36:37], v[32:33]
	v_add_f64 v[52:53], v[34:35], -v[46:47]
	v_add_f64 v[26:27], v[26:27], -v[46:47]
	;; [unrolled: 1-line block ×3, first 2 shown]
	s_delay_alu instid0(VALU_DEP_4) | instskip(SKIP_1) | instid1(VALU_DEP_3)
	v_cmp_gt_f64_e32 vcc_lo, 0, v[42:43]
	v_add_f64 v[42:43], v[40:41], -v[44:45]
	v_add_f64 v[30:31], v[34:35], -v[30:31]
	v_cndmask_b32_e64 v17, 0, 0x40100000, vcc_lo
	s_delay_alu instid0(VALU_DEP_3) | instskip(SKIP_2) | instid1(VALU_DEP_4)
	v_add_f64 v[50:51], v[40:41], -v[42:43]
	v_add_f64 v[28:29], v[28:29], -v[42:43]
	;; [unrolled: 1-line block ×3, first 2 shown]
	v_add_f64 v[32:33], v[32:33], v[16:17]
	s_delay_alu instid0(VALU_DEP_4) | instskip(NEXT) | instid1(VALU_DEP_3)
	v_add_f64 v[42:43], v[44:45], -v[50:51]
	v_add_f64 v[26:27], v[26:27], v[40:41]
	s_delay_alu instid0(VALU_DEP_3) | instskip(NEXT) | instid1(VALU_DEP_3)
	v_add_f64 v[48:49], v[36:37], v[32:33]
	v_add_f64 v[28:29], v[28:29], v[42:43]
	s_delay_alu instid0(VALU_DEP_2) | instskip(NEXT) | instid1(VALU_DEP_2)
	v_cvt_i32_f64_e32 v17, v[48:49]
	v_add_f64 v[26:27], v[28:29], v[26:27]
	s_delay_alu instid0(VALU_DEP_2) | instskip(NEXT) | instid1(VALU_DEP_2)
	v_cvt_f64_i32_e32 v[46:47], v17
	v_add_f64 v[24:25], v[24:25], v[26:27]
	s_delay_alu instid0(VALU_DEP_2) | instskip(NEXT) | instid1(VALU_DEP_2)
	v_add_f64 v[32:33], v[32:33], -v[46:47]
	v_add_f64 v[24:25], v[30:31], v[24:25]
	s_delay_alu instid0(VALU_DEP_2) | instskip(NEXT) | instid1(VALU_DEP_1)
	v_add_f64 v[28:29], v[36:37], v[32:33]
	v_add_f64 v[26:27], v[28:29], -v[32:33]
	v_cmp_le_f64_e32 vcc_lo, 0.5, v[28:29]
	s_delay_alu instid0(VALU_DEP_2) | instskip(SKIP_2) | instid1(VALU_DEP_3)
	v_add_f64 v[26:27], v[36:37], -v[26:27]
	v_add_co_ci_u32_e64 v22, s0, 0, v17, vcc_lo
	v_cndmask_b32_e64 v17, 0, 0x3ff00000, vcc_lo
	v_add_f64 v[24:25], v[24:25], v[26:27]
	s_delay_alu instid0(VALU_DEP_2) | instskip(NEXT) | instid1(VALU_DEP_1)
	v_add_f64 v[26:27], v[28:29], -v[16:17]
	v_add_f64 v[28:29], v[26:27], v[24:25]
	s_delay_alu instid0(VALU_DEP_1) | instskip(SKIP_1) | instid1(VALU_DEP_2)
	v_mul_f64 v[30:31], v[28:29], s[4:5]
	v_add_f64 v[26:27], v[28:29], -v[26:27]
	v_fma_f64 v[32:33], v[28:29], s[4:5], -v[30:31]
	s_delay_alu instid0(VALU_DEP_2) | instskip(NEXT) | instid1(VALU_DEP_2)
	v_add_f64 v[24:25], v[24:25], -v[26:27]
	v_fma_f64 v[26:27], v[28:29], s[20:21], v[32:33]
	s_delay_alu instid0(VALU_DEP_1) | instskip(NEXT) | instid1(VALU_DEP_1)
	v_fma_f64 v[26:27], v[24:25], s[4:5], v[26:27]
	v_add_f64 v[24:25], v[30:31], v[26:27]
	s_delay_alu instid0(VALU_DEP_1) | instskip(NEXT) | instid1(VALU_DEP_1)
	v_add_f64 v[28:29], v[24:25], -v[30:31]
	v_add_f64 v[26:27], v[26:27], -v[28:29]
	s_and_not1_saveexec_b32 s0, s2
	s_cbranch_execz .LBB254_397
	s_branch .LBB254_396
.LBB254_395:                            ;   in Loop: Header=BB254_233 Depth=1
	s_and_not1_saveexec_b32 s0, s2
	s_cbranch_execz .LBB254_397
.LBB254_396:                            ;   in Loop: Header=BB254_233 Depth=1
	v_mul_f64 v[24:25], |v[2:3]|, s[22:23]
	s_mov_b32 s8, s24
	s_delay_alu instid0(VALU_DEP_1) | instskip(NEXT) | instid1(VALU_DEP_1)
	v_rndne_f64_e32 v[28:29], v[24:25]
	v_fma_f64 v[24:25], v[28:29], s[6:7], |v[2:3]|
	v_mul_f64 v[26:27], v[28:29], s[24:25]
	v_cvt_i32_f64_e32 v22, v[28:29]
	s_delay_alu instid0(VALU_DEP_3) | instskip(NEXT) | instid1(VALU_DEP_3)
	v_fma_f64 v[32:33], v[28:29], s[24:25], v[24:25]
	v_add_f64 v[30:31], v[24:25], v[26:27]
	s_delay_alu instid0(VALU_DEP_1) | instskip(NEXT) | instid1(VALU_DEP_3)
	v_add_f64 v[24:25], v[24:25], -v[30:31]
	v_add_f64 v[30:31], v[30:31], -v[32:33]
	s_delay_alu instid0(VALU_DEP_2) | instskip(SKIP_1) | instid1(VALU_DEP_2)
	v_add_f64 v[24:25], v[24:25], v[26:27]
	v_fma_f64 v[26:27], v[28:29], s[8:9], v[26:27]
	v_add_f64 v[24:25], v[30:31], v[24:25]
	s_delay_alu instid0(VALU_DEP_1) | instskip(NEXT) | instid1(VALU_DEP_1)
	v_add_f64 v[24:25], v[24:25], -v[26:27]
	v_fma_f64 v[26:27], v[28:29], s[26:27], v[24:25]
	s_delay_alu instid0(VALU_DEP_1) | instskip(NEXT) | instid1(VALU_DEP_1)
	v_add_f64 v[24:25], v[32:33], v[26:27]
	v_add_f64 v[30:31], v[24:25], -v[32:33]
	s_delay_alu instid0(VALU_DEP_1)
	v_add_f64 v[26:27], v[26:27], -v[30:31]
.LBB254_397:                            ;   in Loop: Header=BB254_233 Depth=1
	s_or_b32 exec_lo, exec_lo, s0
                                        ; implicit-def: $vgpr32
                                        ; implicit-def: $vgpr28_vgpr29
                                        ; implicit-def: $vgpr30_vgpr31
	s_and_saveexec_b32 s0, s1
	s_delay_alu instid0(SALU_CYCLE_1)
	s_xor_b32 s1, exec_lo, s0
	s_cbranch_execz .LBB254_399
; %bb.398:                              ;   in Loop: Header=BB254_233 Depth=1
	v_ldexp_f64 v[28:29], |v[2:3]|, 0xffffff80
	v_cmp_le_f64_e64 vcc_lo, 0x7b000000, |v[2:3]|
	v_trig_preop_f64 v[30:31], |v[2:3]|, 0
	v_and_b32_e32 v17, 0x7fffffff, v3
	v_trig_preop_f64 v[32:33], |v[2:3]|, 1
	v_trig_preop_f64 v[42:43], |v[2:3]|, 2
	s_mov_b32 s4, s6
	s_mov_b32 s21, s9
	v_dual_cndmask_b32 v28, v2, v28 :: v_dual_cndmask_b32 v29, v17, v29
	s_delay_alu instid0(VALU_DEP_1) | instskip(NEXT) | instid1(VALU_DEP_4)
	v_mul_f64 v[34:35], v[30:31], v[28:29]
	v_mul_f64 v[36:37], v[32:33], v[28:29]
	s_delay_alu instid0(VALU_DEP_2) | instskip(NEXT) | instid1(VALU_DEP_2)
	v_fma_f64 v[30:31], v[30:31], v[28:29], -v[34:35]
	v_fma_f64 v[32:33], v[32:33], v[28:29], -v[36:37]
	s_delay_alu instid0(VALU_DEP_2) | instskip(NEXT) | instid1(VALU_DEP_1)
	v_add_f64 v[38:39], v[36:37], v[30:31]
	v_add_f64 v[40:41], v[38:39], -v[36:37]
	v_add_f64 v[46:47], v[34:35], v[38:39]
	s_delay_alu instid0(VALU_DEP_2) | instskip(SKIP_1) | instid1(VALU_DEP_3)
	v_add_f64 v[44:45], v[38:39], -v[40:41]
	v_add_f64 v[30:31], v[30:31], -v[40:41]
	v_ldexp_f64 v[40:41], v[46:47], -2
	v_add_f64 v[34:35], v[46:47], -v[34:35]
	s_delay_alu instid0(VALU_DEP_4) | instskip(NEXT) | instid1(VALU_DEP_3)
	v_add_f64 v[36:37], v[36:37], -v[44:45]
	v_cmp_neq_f64_e64 vcc_lo, 0x7ff00000, |v[40:41]|
	s_delay_alu instid0(VALU_DEP_3) | instskip(NEXT) | instid1(VALU_DEP_3)
	v_add_f64 v[34:35], v[38:39], -v[34:35]
	v_add_f64 v[30:31], v[30:31], v[36:37]
	v_fract_f64_e32 v[36:37], v[40:41]
	s_delay_alu instid0(VALU_DEP_1) | instskip(SKIP_1) | instid1(VALU_DEP_3)
	v_cndmask_b32_e32 v36, 0, v36, vcc_lo
	v_mul_f64 v[48:49], v[42:43], v[28:29]
	v_cndmask_b32_e32 v37, 0, v37, vcc_lo
	s_delay_alu instid0(VALU_DEP_1) | instskip(NEXT) | instid1(VALU_DEP_3)
	v_ldexp_f64 v[36:37], v[36:37], 2
	v_add_f64 v[44:45], v[48:49], v[32:33]
	v_fma_f64 v[28:29], v[42:43], v[28:29], -v[48:49]
	s_delay_alu instid0(VALU_DEP_2) | instskip(NEXT) | instid1(VALU_DEP_1)
	v_add_f64 v[38:39], v[44:45], v[30:31]
	v_add_f64 v[40:41], v[34:35], v[38:39]
	v_add_f64 v[50:51], v[38:39], -v[44:45]
	s_delay_alu instid0(VALU_DEP_2) | instskip(NEXT) | instid1(VALU_DEP_2)
	v_add_f64 v[46:47], v[40:41], v[36:37]
	v_add_f64 v[56:57], v[38:39], -v[50:51]
	v_add_f64 v[30:31], v[30:31], -v[50:51]
	v_add_f64 v[34:35], v[40:41], -v[34:35]
	s_delay_alu instid0(VALU_DEP_4) | instskip(SKIP_2) | instid1(VALU_DEP_2)
	v_cmp_gt_f64_e32 vcc_lo, 0, v[46:47]
	v_add_f64 v[46:47], v[44:45], -v[48:49]
	v_cndmask_b32_e64 v17, 0, 0x40100000, vcc_lo
	v_add_f64 v[54:55], v[44:45], -v[46:47]
	v_add_f64 v[32:33], v[32:33], -v[46:47]
	;; [unrolled: 1-line block ×3, first 2 shown]
	s_delay_alu instid0(VALU_DEP_4) | instskip(NEXT) | instid1(VALU_DEP_4)
	v_add_f64 v[36:37], v[36:37], v[16:17]
	v_add_f64 v[46:47], v[48:49], -v[54:55]
	s_delay_alu instid0(VALU_DEP_3) | instskip(NEXT) | instid1(VALU_DEP_3)
	v_add_f64 v[30:31], v[30:31], v[44:45]
	v_add_f64 v[52:53], v[40:41], v[36:37]
	s_delay_alu instid0(VALU_DEP_3) | instskip(NEXT) | instid1(VALU_DEP_2)
	v_add_f64 v[32:33], v[32:33], v[46:47]
	v_cvt_i32_f64_e32 v17, v[52:53]
	s_delay_alu instid0(VALU_DEP_2) | instskip(SKIP_1) | instid1(VALU_DEP_3)
	v_add_f64 v[30:31], v[32:33], v[30:31]
	v_add_f64 v[32:33], v[38:39], -v[34:35]
	v_cvt_f64_i32_e32 v[50:51], v17
	s_delay_alu instid0(VALU_DEP_3) | instskip(NEXT) | instid1(VALU_DEP_2)
	v_add_f64 v[28:29], v[28:29], v[30:31]
	v_add_f64 v[36:37], v[36:37], -v[50:51]
	s_delay_alu instid0(VALU_DEP_2) | instskip(NEXT) | instid1(VALU_DEP_2)
	v_add_f64 v[28:29], v[32:33], v[28:29]
	v_add_f64 v[42:43], v[40:41], v[36:37]
	s_delay_alu instid0(VALU_DEP_1) | instskip(SKIP_1) | instid1(VALU_DEP_2)
	v_add_f64 v[30:31], v[42:43], -v[36:37]
	v_cmp_le_f64_e32 vcc_lo, 0.5, v[42:43]
	v_add_f64 v[30:31], v[40:41], -v[30:31]
	v_add_co_ci_u32_e64 v32, s0, 0, v17, vcc_lo
	v_cndmask_b32_e64 v17, 0, 0x3ff00000, vcc_lo
	s_delay_alu instid0(VALU_DEP_3) | instskip(NEXT) | instid1(VALU_DEP_2)
	v_add_f64 v[28:29], v[28:29], v[30:31]
	v_add_f64 v[30:31], v[42:43], -v[16:17]
	s_delay_alu instid0(VALU_DEP_1) | instskip(NEXT) | instid1(VALU_DEP_1)
	v_add_f64 v[33:34], v[30:31], v[28:29]
	v_mul_f64 v[35:36], v[33:34], s[4:5]
	v_add_f64 v[30:31], v[33:34], -v[30:31]
	s_delay_alu instid0(VALU_DEP_2) | instskip(NEXT) | instid1(VALU_DEP_2)
	v_fma_f64 v[37:38], v[33:34], s[4:5], -v[35:36]
	v_add_f64 v[28:29], v[28:29], -v[30:31]
	s_delay_alu instid0(VALU_DEP_2) | instskip(NEXT) | instid1(VALU_DEP_1)
	v_fma_f64 v[30:31], v[33:34], s[20:21], v[37:38]
	v_fma_f64 v[30:31], v[28:29], s[4:5], v[30:31]
	s_delay_alu instid0(VALU_DEP_1) | instskip(NEXT) | instid1(VALU_DEP_1)
	v_add_f64 v[28:29], v[35:36], v[30:31]
	v_add_f64 v[33:34], v[28:29], -v[35:36]
	s_delay_alu instid0(VALU_DEP_1)
	v_add_f64 v[30:31], v[30:31], -v[33:34]
	s_and_not1_saveexec_b32 s0, s1
	s_cbranch_execnz .LBB254_400
	s_branch .LBB254_401
.LBB254_399:                            ;   in Loop: Header=BB254_233 Depth=1
	s_and_not1_saveexec_b32 s0, s1
	s_cbranch_execz .LBB254_401
.LBB254_400:                            ;   in Loop: Header=BB254_233 Depth=1
	v_mul_f64 v[28:29], |v[2:3]|, s[22:23]
	s_mov_b32 s8, s24
	s_delay_alu instid0(VALU_DEP_1) | instskip(NEXT) | instid1(VALU_DEP_1)
	v_rndne_f64_e32 v[32:33], v[28:29]
	v_fma_f64 v[28:29], v[32:33], s[6:7], |v[2:3]|
	v_mul_f64 v[30:31], v[32:33], s[24:25]
	s_delay_alu instid0(VALU_DEP_2) | instskip(NEXT) | instid1(VALU_DEP_2)
	v_fma_f64 v[36:37], v[32:33], s[24:25], v[28:29]
	v_add_f64 v[34:35], v[28:29], v[30:31]
	s_delay_alu instid0(VALU_DEP_1) | instskip(NEXT) | instid1(VALU_DEP_3)
	v_add_f64 v[28:29], v[28:29], -v[34:35]
	v_add_f64 v[34:35], v[34:35], -v[36:37]
	s_delay_alu instid0(VALU_DEP_2) | instskip(SKIP_1) | instid1(VALU_DEP_2)
	v_add_f64 v[28:29], v[28:29], v[30:31]
	v_fma_f64 v[30:31], v[32:33], s[8:9], v[30:31]
	v_add_f64 v[28:29], v[34:35], v[28:29]
	s_delay_alu instid0(VALU_DEP_1) | instskip(NEXT) | instid1(VALU_DEP_1)
	v_add_f64 v[28:29], v[28:29], -v[30:31]
	v_fma_f64 v[30:31], v[32:33], s[26:27], v[28:29]
	v_cvt_i32_f64_e32 v32, v[32:33]
	s_delay_alu instid0(VALU_DEP_2) | instskip(NEXT) | instid1(VALU_DEP_1)
	v_add_f64 v[28:29], v[36:37], v[30:31]
	v_add_f64 v[34:35], v[28:29], -v[36:37]
	s_delay_alu instid0(VALU_DEP_1)
	v_add_f64 v[30:31], v[30:31], -v[34:35]
.LBB254_401:                            ;   in Loop: Header=BB254_233 Depth=1
	s_or_b32 exec_lo, exec_lo, s0
	s_mov_b32 s28, s30
	v_mul_f64 v[39:40], v[24:25], v[24:25]
	v_mul_f64 v[33:34], v[0:1], s[28:29]
	;; [unrolled: 1-line block ×3, first 2 shown]
	s_mov_b32 s75, s47
	s_mov_b32 s77, s49
	s_delay_alu instid0(VALU_DEP_4)
	v_mul_f64 v[59:60], v[26:27], 0.5
	v_mul_f64 v[65:66], v[30:31], 0.5
	s_mov_b32 s78, s48
	v_cmp_class_f64_e64 s0, v[2:3], 0x1f8
	v_cmp_ngt_f64_e64 s1, 0xc0900000, v[0:1]
	v_cmp_nlt_f64_e64 s2, 0x4090cc00, v[0:1]
	v_and_b32_e32 v2, 1, v32
	s_delay_alu instid0(VALU_DEP_1)
	v_cmp_eq_u32_e64 s3, 0, v2
	v_fma_f64 v[43:44], v[39:40], s[66:67], s[64:65]
	v_rndne_f64_e32 v[33:34], v[33:34]
	v_fma_f64 v[45:46], v[41:42], s[66:67], s[64:65]
	v_fma_f64 v[47:48], v[39:40], s[56:57], s[54:55]
	v_mul_f64 v[49:50], v[39:40], 0.5
	v_fma_f64 v[51:52], v[41:42], s[56:57], s[54:55]
	v_mul_f64 v[53:54], v[41:42], 0.5
	v_mul_f64 v[61:62], v[24:25], -v[39:40]
	v_mul_f64 v[67:68], v[28:29], -v[41:42]
	v_fma_f64 v[43:44], v[39:40], v[43:44], s[68:69]
	v_fma_f64 v[35:36], v[33:34], s[16:17], -v[0:1]
	v_fma_f64 v[45:46], v[41:42], v[45:46], s[68:69]
	v_fma_f64 v[47:48], v[39:40], v[47:48], s[58:59]
	v_add_f64 v[55:56], -v[49:50], 1.0
	v_fma_f64 v[51:52], v[41:42], v[51:52], s[58:59]
	v_add_f64 v[57:58], -v[53:54], 1.0
	v_cvt_i32_f64_e32 v17, v[33:34]
	v_lshlrev_b32_e32 v1, 30, v22
	v_lshlrev_b32_e32 v0, 30, v32
	s_delay_alu instid0(VALU_DEP_1)
	v_xor_b32_e32 v0, v0, v23
	v_fma_f64 v[43:44], v[39:40], v[43:44], s[70:71]
	v_fma_f64 v[35:36], v[33:34], s[18:19], v[35:36]
	v_fma_f64 v[45:46], v[41:42], v[45:46], s[70:71]
	v_fma_f64 v[47:48], v[39:40], v[47:48], s[60:61]
	v_add_f64 v[63:64], -v[55:56], 1.0
	v_fma_f64 v[51:52], v[41:42], v[51:52], s[60:61]
	v_add_f64 v[69:70], -v[57:58], 1.0
	v_fma_f64 v[43:44], v[39:40], v[43:44], s[46:47]
	v_fma_f64 v[37:38], v[35:36], s[36:37], s[34:35]
	;; [unrolled: 1-line block ×4, first 2 shown]
	v_add_f64 v[49:50], v[63:64], -v[49:50]
	v_fma_f64 v[51:52], v[41:42], v[51:52], s[62:63]
	v_add_f64 v[53:54], v[69:70], -v[53:54]
	v_fma_f64 v[43:44], v[61:62], v[43:44], v[59:60]
	v_fma_f64 v[37:38], v[35:36], v[37:38], s[38:39]
	;; [unrolled: 1-line block ×3, first 2 shown]
	v_mul_f64 v[59:60], v[39:40], v[39:40]
	v_fma_f64 v[47:48], v[39:40], v[47:48], s[48:49]
	v_fma_f64 v[49:50], v[24:25], -v[26:27], v[49:50]
	v_fma_f64 v[26:27], v[39:40], v[43:44], -v[26:27]
	v_fma_f64 v[37:38], v[35:36], v[37:38], s[40:41]
	v_mul_f64 v[39:40], v[41:42], v[41:42]
	v_fma_f64 v[43:44], v[41:42], v[51:52], s[48:49]
	v_fma_f64 v[51:52], v[28:29], -v[30:31], v[53:54]
	v_fma_f64 v[30:31], v[41:42], v[45:46], -v[30:31]
	v_fma_f64 v[41:42], v[59:60], v[47:48], v[49:50]
	v_fma_f64 v[26:27], v[61:62], s[78:79], v[26:27]
	v_fma_f64 v[37:38], v[35:36], v[37:38], s[42:43]
	s_delay_alu instid0(VALU_DEP_4) | instskip(NEXT) | instid1(VALU_DEP_3)
	v_fma_f64 v[30:31], v[67:68], s[78:79], v[30:31]
	v_add_f64 v[24:25], v[24:25], -v[26:27]
	s_delay_alu instid0(VALU_DEP_3) | instskip(NEXT) | instid1(VALU_DEP_3)
	v_fma_f64 v[37:38], v[35:36], v[37:38], s[44:45]
	v_add_f64 v[28:29], v[28:29], -v[30:31]
	s_delay_alu instid0(VALU_DEP_2) | instskip(NEXT) | instid1(VALU_DEP_1)
	v_fma_f64 v[37:38], v[35:36], v[37:38], s[74:75]
	v_fma_f64 v[37:38], v[35:36], v[37:38], s[76:77]
	s_delay_alu instid0(VALU_DEP_1) | instskip(NEXT) | instid1(VALU_DEP_1)
	v_fma_f64 v[37:38], v[35:36], v[37:38], s[50:51]
	v_fma_f64 v[37:38], v[35:36], v[37:38], s[52:53]
	s_delay_alu instid0(VALU_DEP_1) | instskip(NEXT) | instid1(VALU_DEP_1)
	v_fma_f64 v[37:38], v[35:36], v[37:38], 1.0
	v_fma_f64 v[33:34], v[35:36], v[37:38], 1.0
	v_fma_f64 v[35:36], v[39:40], v[43:44], v[51:52]
	v_add_f64 v[37:38], v[55:56], v[41:42]
	s_delay_alu instid0(VALU_DEP_3) | instskip(NEXT) | instid1(VALU_DEP_3)
	v_ldexp_f64 v[26:27], v[33:34], v17
	v_add_f64 v[33:34], v[57:58], v[35:36]
	v_and_b32_e32 v17, 1, v22
	v_xor_b32_e32 v22, 0x80000000, v25
	s_delay_alu instid0(VALU_DEP_2) | instskip(NEXT) | instid1(VALU_DEP_2)
	v_cmp_eq_u32_e32 vcc_lo, 0, v17
	v_dual_cndmask_b32 v2, v22, v38 :: v_dual_and_b32 v1, 0x80000000, v1
	v_cndmask_b32_e32 v17, v24, v37, vcc_lo
	s_and_b32 vcc_lo, s2, s1
	v_and_b32_e32 v22, 0x80000000, v0
	s_delay_alu instid0(VALU_DEP_3) | instskip(NEXT) | instid1(VALU_DEP_3)
	v_xor_b32_e32 v1, v2, v1
	v_cndmask_b32_e64 v0, 0, v17, s0
	s_delay_alu instid0(VALU_DEP_2) | instskip(SKIP_3) | instid1(VALU_DEP_2)
	v_cndmask_b32_e64 v1, 0x7ff80000, v1, s0
	v_cndmask_b32_e64 v3, 0x7ff00000, v27, s1
	;; [unrolled: 1-line block ×4, first 2 shown]
	v_xor_b32_e32 v17, v24, v22
	s_delay_alu instid0(VALU_DEP_2) | instskip(SKIP_2) | instid1(VALU_DEP_4)
	v_cndmask_b32_e64 v2, 0, v23, s0
	v_cndmask_b32_e64 v23, 0, v3, s2
	v_cndmask_b32_e32 v22, 0, v26, vcc_lo
	v_cndmask_b32_e64 v3, 0x7ff80000, v17, s0
	s_delay_alu instid0(VALU_DEP_2) | instskip(NEXT) | instid1(VALU_DEP_2)
	v_mul_f64 v[24:25], v[22:23], v[0:1]
	v_mul_f64 v[22:23], v[22:23], v[2:3]
                                        ; implicit-def: $vgpr2_vgpr3
.LBB254_402:                            ;   in Loop: Header=BB254_233 Depth=1
	s_and_not1_saveexec_b32 s28, s86
	s_cbranch_execz .LBB254_412
; %bb.403:                              ;   in Loop: Header=BB254_233 Depth=1
	v_cmp_ngt_f64_e64 s1, 0x41d00000, |v[2:3]|
                                        ; implicit-def: $vgpr22
                                        ; implicit-def: $vgpr24_vgpr25
                                        ; implicit-def: $vgpr26_vgpr27
	s_delay_alu instid0(VALU_DEP_1) | instskip(NEXT) | instid1(SALU_CYCLE_1)
	s_and_saveexec_b32 s0, s1
	s_xor_b32 s2, exec_lo, s0
	s_cbranch_execz .LBB254_405
; %bb.404:                              ;   in Loop: Header=BB254_233 Depth=1
	v_ldexp_f64 v[24:25], |v[2:3]|, 0xffffff80
	v_cmp_le_f64_e64 vcc_lo, 0x7b000000, |v[2:3]|
	v_trig_preop_f64 v[26:27], |v[2:3]|, 0
	v_and_b32_e32 v17, 0x7fffffff, v3
	v_trig_preop_f64 v[28:29], |v[2:3]|, 1
	v_trig_preop_f64 v[38:39], |v[2:3]|, 2
	s_mov_b32 s4, s6
	s_mov_b32 s21, s9
	v_dual_cndmask_b32 v24, v2, v24 :: v_dual_cndmask_b32 v25, v17, v25
	s_delay_alu instid0(VALU_DEP_1) | instskip(NEXT) | instid1(VALU_DEP_4)
	v_mul_f64 v[30:31], v[26:27], v[24:25]
	v_mul_f64 v[32:33], v[28:29], v[24:25]
	s_delay_alu instid0(VALU_DEP_2) | instskip(NEXT) | instid1(VALU_DEP_2)
	v_fma_f64 v[26:27], v[26:27], v[24:25], -v[30:31]
	v_fma_f64 v[28:29], v[28:29], v[24:25], -v[32:33]
	s_delay_alu instid0(VALU_DEP_2) | instskip(NEXT) | instid1(VALU_DEP_1)
	v_add_f64 v[34:35], v[32:33], v[26:27]
	v_add_f64 v[36:37], v[34:35], -v[32:33]
	v_add_f64 v[42:43], v[30:31], v[34:35]
	s_delay_alu instid0(VALU_DEP_2) | instskip(SKIP_1) | instid1(VALU_DEP_3)
	v_add_f64 v[40:41], v[34:35], -v[36:37]
	v_add_f64 v[26:27], v[26:27], -v[36:37]
	v_ldexp_f64 v[36:37], v[42:43], -2
	v_add_f64 v[30:31], v[42:43], -v[30:31]
	s_delay_alu instid0(VALU_DEP_4) | instskip(NEXT) | instid1(VALU_DEP_3)
	v_add_f64 v[32:33], v[32:33], -v[40:41]
	v_cmp_neq_f64_e64 vcc_lo, 0x7ff00000, |v[36:37]|
	s_delay_alu instid0(VALU_DEP_3) | instskip(NEXT) | instid1(VALU_DEP_3)
	v_add_f64 v[30:31], v[34:35], -v[30:31]
	v_add_f64 v[26:27], v[26:27], v[32:33]
	v_fract_f64_e32 v[32:33], v[36:37]
	s_delay_alu instid0(VALU_DEP_1) | instskip(SKIP_1) | instid1(VALU_DEP_3)
	v_cndmask_b32_e32 v32, 0, v32, vcc_lo
	v_mul_f64 v[44:45], v[38:39], v[24:25]
	v_cndmask_b32_e32 v33, 0, v33, vcc_lo
	s_delay_alu instid0(VALU_DEP_1) | instskip(NEXT) | instid1(VALU_DEP_3)
	v_ldexp_f64 v[32:33], v[32:33], 2
	v_add_f64 v[40:41], v[44:45], v[28:29]
	v_fma_f64 v[24:25], v[38:39], v[24:25], -v[44:45]
	s_delay_alu instid0(VALU_DEP_2) | instskip(NEXT) | instid1(VALU_DEP_1)
	v_add_f64 v[34:35], v[40:41], v[26:27]
	v_add_f64 v[36:37], v[30:31], v[34:35]
	v_add_f64 v[46:47], v[34:35], -v[40:41]
	s_delay_alu instid0(VALU_DEP_2) | instskip(NEXT) | instid1(VALU_DEP_2)
	v_add_f64 v[42:43], v[36:37], v[32:33]
	v_add_f64 v[52:53], v[34:35], -v[46:47]
	v_add_f64 v[26:27], v[26:27], -v[46:47]
	;; [unrolled: 1-line block ×3, first 2 shown]
	s_delay_alu instid0(VALU_DEP_4) | instskip(SKIP_1) | instid1(VALU_DEP_3)
	v_cmp_gt_f64_e32 vcc_lo, 0, v[42:43]
	v_add_f64 v[42:43], v[40:41], -v[44:45]
	v_add_f64 v[30:31], v[34:35], -v[30:31]
	v_cndmask_b32_e64 v17, 0, 0x40100000, vcc_lo
	s_delay_alu instid0(VALU_DEP_3) | instskip(SKIP_2) | instid1(VALU_DEP_4)
	v_add_f64 v[50:51], v[40:41], -v[42:43]
	v_add_f64 v[28:29], v[28:29], -v[42:43]
	;; [unrolled: 1-line block ×3, first 2 shown]
	v_add_f64 v[32:33], v[32:33], v[16:17]
	s_delay_alu instid0(VALU_DEP_4) | instskip(NEXT) | instid1(VALU_DEP_3)
	v_add_f64 v[42:43], v[44:45], -v[50:51]
	v_add_f64 v[26:27], v[26:27], v[40:41]
	s_delay_alu instid0(VALU_DEP_3) | instskip(NEXT) | instid1(VALU_DEP_3)
	v_add_f64 v[48:49], v[36:37], v[32:33]
	v_add_f64 v[28:29], v[28:29], v[42:43]
	s_delay_alu instid0(VALU_DEP_2) | instskip(NEXT) | instid1(VALU_DEP_2)
	v_cvt_i32_f64_e32 v17, v[48:49]
	v_add_f64 v[26:27], v[28:29], v[26:27]
	s_delay_alu instid0(VALU_DEP_2) | instskip(NEXT) | instid1(VALU_DEP_2)
	v_cvt_f64_i32_e32 v[46:47], v17
	v_add_f64 v[24:25], v[24:25], v[26:27]
	s_delay_alu instid0(VALU_DEP_2) | instskip(NEXT) | instid1(VALU_DEP_2)
	v_add_f64 v[32:33], v[32:33], -v[46:47]
	v_add_f64 v[24:25], v[30:31], v[24:25]
	s_delay_alu instid0(VALU_DEP_2) | instskip(NEXT) | instid1(VALU_DEP_1)
	v_add_f64 v[28:29], v[36:37], v[32:33]
	v_add_f64 v[26:27], v[28:29], -v[32:33]
	v_cmp_le_f64_e32 vcc_lo, 0.5, v[28:29]
	s_delay_alu instid0(VALU_DEP_2) | instskip(SKIP_2) | instid1(VALU_DEP_3)
	v_add_f64 v[26:27], v[36:37], -v[26:27]
	v_add_co_ci_u32_e64 v22, s0, 0, v17, vcc_lo
	v_cndmask_b32_e64 v17, 0, 0x3ff00000, vcc_lo
	v_add_f64 v[24:25], v[24:25], v[26:27]
	s_delay_alu instid0(VALU_DEP_2) | instskip(NEXT) | instid1(VALU_DEP_1)
	v_add_f64 v[26:27], v[28:29], -v[16:17]
	v_add_f64 v[28:29], v[26:27], v[24:25]
	s_delay_alu instid0(VALU_DEP_1) | instskip(SKIP_1) | instid1(VALU_DEP_2)
	v_mul_f64 v[30:31], v[28:29], s[4:5]
	v_add_f64 v[26:27], v[28:29], -v[26:27]
	v_fma_f64 v[32:33], v[28:29], s[4:5], -v[30:31]
	s_delay_alu instid0(VALU_DEP_2) | instskip(NEXT) | instid1(VALU_DEP_2)
	v_add_f64 v[24:25], v[24:25], -v[26:27]
	v_fma_f64 v[26:27], v[28:29], s[20:21], v[32:33]
	s_delay_alu instid0(VALU_DEP_1) | instskip(NEXT) | instid1(VALU_DEP_1)
	v_fma_f64 v[26:27], v[24:25], s[4:5], v[26:27]
	v_add_f64 v[24:25], v[30:31], v[26:27]
	s_delay_alu instid0(VALU_DEP_1) | instskip(NEXT) | instid1(VALU_DEP_1)
	v_add_f64 v[28:29], v[24:25], -v[30:31]
	v_add_f64 v[26:27], v[26:27], -v[28:29]
	s_and_not1_saveexec_b32 s0, s2
	s_cbranch_execz .LBB254_407
	s_branch .LBB254_406
.LBB254_405:                            ;   in Loop: Header=BB254_233 Depth=1
	s_and_not1_saveexec_b32 s0, s2
	s_cbranch_execz .LBB254_407
.LBB254_406:                            ;   in Loop: Header=BB254_233 Depth=1
	v_mul_f64 v[24:25], |v[2:3]|, s[22:23]
	s_mov_b32 s8, s24
	s_delay_alu instid0(VALU_DEP_1) | instskip(NEXT) | instid1(VALU_DEP_1)
	v_rndne_f64_e32 v[28:29], v[24:25]
	v_fma_f64 v[24:25], v[28:29], s[6:7], |v[2:3]|
	v_mul_f64 v[26:27], v[28:29], s[24:25]
	v_cvt_i32_f64_e32 v22, v[28:29]
	s_delay_alu instid0(VALU_DEP_3) | instskip(NEXT) | instid1(VALU_DEP_3)
	v_fma_f64 v[32:33], v[28:29], s[24:25], v[24:25]
	v_add_f64 v[30:31], v[24:25], v[26:27]
	s_delay_alu instid0(VALU_DEP_1) | instskip(NEXT) | instid1(VALU_DEP_3)
	v_add_f64 v[24:25], v[24:25], -v[30:31]
	v_add_f64 v[30:31], v[30:31], -v[32:33]
	s_delay_alu instid0(VALU_DEP_2) | instskip(SKIP_1) | instid1(VALU_DEP_2)
	v_add_f64 v[24:25], v[24:25], v[26:27]
	v_fma_f64 v[26:27], v[28:29], s[8:9], v[26:27]
	v_add_f64 v[24:25], v[30:31], v[24:25]
	s_delay_alu instid0(VALU_DEP_1) | instskip(NEXT) | instid1(VALU_DEP_1)
	v_add_f64 v[24:25], v[24:25], -v[26:27]
	v_fma_f64 v[26:27], v[28:29], s[26:27], v[24:25]
	s_delay_alu instid0(VALU_DEP_1) | instskip(NEXT) | instid1(VALU_DEP_1)
	v_add_f64 v[24:25], v[32:33], v[26:27]
	v_add_f64 v[30:31], v[24:25], -v[32:33]
	s_delay_alu instid0(VALU_DEP_1)
	v_add_f64 v[26:27], v[26:27], -v[30:31]
.LBB254_407:                            ;   in Loop: Header=BB254_233 Depth=1
	s_or_b32 exec_lo, exec_lo, s0
                                        ; implicit-def: $vgpr32
                                        ; implicit-def: $vgpr28_vgpr29
                                        ; implicit-def: $vgpr30_vgpr31
	s_and_saveexec_b32 s0, s1
	s_delay_alu instid0(SALU_CYCLE_1)
	s_xor_b32 s1, exec_lo, s0
	s_cbranch_execz .LBB254_409
; %bb.408:                              ;   in Loop: Header=BB254_233 Depth=1
	v_ldexp_f64 v[28:29], |v[2:3]|, 0xffffff80
	v_cmp_le_f64_e64 vcc_lo, 0x7b000000, |v[2:3]|
	v_trig_preop_f64 v[30:31], |v[2:3]|, 0
	v_and_b32_e32 v17, 0x7fffffff, v3
	v_trig_preop_f64 v[32:33], |v[2:3]|, 1
	v_trig_preop_f64 v[42:43], |v[2:3]|, 2
	s_mov_b32 s4, s6
	s_mov_b32 s21, s9
	v_dual_cndmask_b32 v28, v2, v28 :: v_dual_cndmask_b32 v29, v17, v29
	s_delay_alu instid0(VALU_DEP_1) | instskip(NEXT) | instid1(VALU_DEP_4)
	v_mul_f64 v[34:35], v[30:31], v[28:29]
	v_mul_f64 v[36:37], v[32:33], v[28:29]
	s_delay_alu instid0(VALU_DEP_2) | instskip(NEXT) | instid1(VALU_DEP_2)
	v_fma_f64 v[30:31], v[30:31], v[28:29], -v[34:35]
	v_fma_f64 v[32:33], v[32:33], v[28:29], -v[36:37]
	s_delay_alu instid0(VALU_DEP_2) | instskip(NEXT) | instid1(VALU_DEP_1)
	v_add_f64 v[38:39], v[36:37], v[30:31]
	v_add_f64 v[40:41], v[38:39], -v[36:37]
	v_add_f64 v[46:47], v[34:35], v[38:39]
	s_delay_alu instid0(VALU_DEP_2) | instskip(SKIP_1) | instid1(VALU_DEP_3)
	v_add_f64 v[44:45], v[38:39], -v[40:41]
	v_add_f64 v[30:31], v[30:31], -v[40:41]
	v_ldexp_f64 v[40:41], v[46:47], -2
	v_add_f64 v[34:35], v[46:47], -v[34:35]
	s_delay_alu instid0(VALU_DEP_4) | instskip(NEXT) | instid1(VALU_DEP_3)
	v_add_f64 v[36:37], v[36:37], -v[44:45]
	v_cmp_neq_f64_e64 vcc_lo, 0x7ff00000, |v[40:41]|
	s_delay_alu instid0(VALU_DEP_3) | instskip(NEXT) | instid1(VALU_DEP_3)
	v_add_f64 v[34:35], v[38:39], -v[34:35]
	v_add_f64 v[30:31], v[30:31], v[36:37]
	v_fract_f64_e32 v[36:37], v[40:41]
	s_delay_alu instid0(VALU_DEP_1) | instskip(SKIP_1) | instid1(VALU_DEP_3)
	v_cndmask_b32_e32 v36, 0, v36, vcc_lo
	v_mul_f64 v[48:49], v[42:43], v[28:29]
	v_cndmask_b32_e32 v37, 0, v37, vcc_lo
	s_delay_alu instid0(VALU_DEP_1) | instskip(NEXT) | instid1(VALU_DEP_3)
	v_ldexp_f64 v[36:37], v[36:37], 2
	v_add_f64 v[44:45], v[48:49], v[32:33]
	v_fma_f64 v[28:29], v[42:43], v[28:29], -v[48:49]
	s_delay_alu instid0(VALU_DEP_2) | instskip(NEXT) | instid1(VALU_DEP_1)
	v_add_f64 v[38:39], v[44:45], v[30:31]
	v_add_f64 v[40:41], v[34:35], v[38:39]
	v_add_f64 v[50:51], v[38:39], -v[44:45]
	s_delay_alu instid0(VALU_DEP_2) | instskip(NEXT) | instid1(VALU_DEP_2)
	v_add_f64 v[46:47], v[40:41], v[36:37]
	v_add_f64 v[56:57], v[38:39], -v[50:51]
	v_add_f64 v[30:31], v[30:31], -v[50:51]
	;; [unrolled: 1-line block ×3, first 2 shown]
	s_delay_alu instid0(VALU_DEP_4) | instskip(SKIP_2) | instid1(VALU_DEP_2)
	v_cmp_gt_f64_e32 vcc_lo, 0, v[46:47]
	v_add_f64 v[46:47], v[44:45], -v[48:49]
	v_cndmask_b32_e64 v17, 0, 0x40100000, vcc_lo
	v_add_f64 v[54:55], v[44:45], -v[46:47]
	v_add_f64 v[32:33], v[32:33], -v[46:47]
	;; [unrolled: 1-line block ×3, first 2 shown]
	s_delay_alu instid0(VALU_DEP_4) | instskip(NEXT) | instid1(VALU_DEP_4)
	v_add_f64 v[36:37], v[36:37], v[16:17]
	v_add_f64 v[46:47], v[48:49], -v[54:55]
	s_delay_alu instid0(VALU_DEP_3) | instskip(NEXT) | instid1(VALU_DEP_3)
	v_add_f64 v[30:31], v[30:31], v[44:45]
	v_add_f64 v[52:53], v[40:41], v[36:37]
	s_delay_alu instid0(VALU_DEP_3) | instskip(NEXT) | instid1(VALU_DEP_2)
	v_add_f64 v[32:33], v[32:33], v[46:47]
	v_cvt_i32_f64_e32 v17, v[52:53]
	s_delay_alu instid0(VALU_DEP_2) | instskip(SKIP_1) | instid1(VALU_DEP_3)
	v_add_f64 v[30:31], v[32:33], v[30:31]
	v_add_f64 v[32:33], v[38:39], -v[34:35]
	v_cvt_f64_i32_e32 v[50:51], v17
	s_delay_alu instid0(VALU_DEP_3) | instskip(NEXT) | instid1(VALU_DEP_2)
	v_add_f64 v[28:29], v[28:29], v[30:31]
	v_add_f64 v[36:37], v[36:37], -v[50:51]
	s_delay_alu instid0(VALU_DEP_2) | instskip(NEXT) | instid1(VALU_DEP_2)
	v_add_f64 v[28:29], v[32:33], v[28:29]
	v_add_f64 v[42:43], v[40:41], v[36:37]
	s_delay_alu instid0(VALU_DEP_1) | instskip(SKIP_1) | instid1(VALU_DEP_2)
	v_add_f64 v[30:31], v[42:43], -v[36:37]
	v_cmp_le_f64_e32 vcc_lo, 0.5, v[42:43]
	v_add_f64 v[30:31], v[40:41], -v[30:31]
	v_add_co_ci_u32_e64 v32, s0, 0, v17, vcc_lo
	v_cndmask_b32_e64 v17, 0, 0x3ff00000, vcc_lo
	s_delay_alu instid0(VALU_DEP_3) | instskip(NEXT) | instid1(VALU_DEP_2)
	v_add_f64 v[28:29], v[28:29], v[30:31]
	v_add_f64 v[30:31], v[42:43], -v[16:17]
	s_delay_alu instid0(VALU_DEP_1) | instskip(NEXT) | instid1(VALU_DEP_1)
	v_add_f64 v[33:34], v[30:31], v[28:29]
	v_mul_f64 v[35:36], v[33:34], s[4:5]
	v_add_f64 v[30:31], v[33:34], -v[30:31]
	s_delay_alu instid0(VALU_DEP_2) | instskip(NEXT) | instid1(VALU_DEP_2)
	v_fma_f64 v[37:38], v[33:34], s[4:5], -v[35:36]
	v_add_f64 v[28:29], v[28:29], -v[30:31]
	s_delay_alu instid0(VALU_DEP_2) | instskip(NEXT) | instid1(VALU_DEP_1)
	v_fma_f64 v[30:31], v[33:34], s[20:21], v[37:38]
	v_fma_f64 v[30:31], v[28:29], s[4:5], v[30:31]
	s_delay_alu instid0(VALU_DEP_1) | instskip(NEXT) | instid1(VALU_DEP_1)
	v_add_f64 v[28:29], v[35:36], v[30:31]
	v_add_f64 v[33:34], v[28:29], -v[35:36]
	s_delay_alu instid0(VALU_DEP_1)
	v_add_f64 v[30:31], v[30:31], -v[33:34]
	s_and_not1_saveexec_b32 s0, s1
	s_cbranch_execnz .LBB254_410
	s_branch .LBB254_411
.LBB254_409:                            ;   in Loop: Header=BB254_233 Depth=1
	s_and_not1_saveexec_b32 s0, s1
	s_cbranch_execz .LBB254_411
.LBB254_410:                            ;   in Loop: Header=BB254_233 Depth=1
	v_mul_f64 v[28:29], |v[2:3]|, s[22:23]
	s_mov_b32 s8, s24
	s_delay_alu instid0(VALU_DEP_1) | instskip(NEXT) | instid1(VALU_DEP_1)
	v_rndne_f64_e32 v[32:33], v[28:29]
	v_fma_f64 v[28:29], v[32:33], s[6:7], |v[2:3]|
	v_mul_f64 v[30:31], v[32:33], s[24:25]
	s_delay_alu instid0(VALU_DEP_2) | instskip(NEXT) | instid1(VALU_DEP_2)
	v_fma_f64 v[36:37], v[32:33], s[24:25], v[28:29]
	v_add_f64 v[34:35], v[28:29], v[30:31]
	s_delay_alu instid0(VALU_DEP_1) | instskip(NEXT) | instid1(VALU_DEP_3)
	v_add_f64 v[28:29], v[28:29], -v[34:35]
	v_add_f64 v[34:35], v[34:35], -v[36:37]
	s_delay_alu instid0(VALU_DEP_2) | instskip(SKIP_1) | instid1(VALU_DEP_2)
	v_add_f64 v[28:29], v[28:29], v[30:31]
	v_fma_f64 v[30:31], v[32:33], s[8:9], v[30:31]
	v_add_f64 v[28:29], v[34:35], v[28:29]
	s_delay_alu instid0(VALU_DEP_1) | instskip(NEXT) | instid1(VALU_DEP_1)
	v_add_f64 v[28:29], v[28:29], -v[30:31]
	v_fma_f64 v[30:31], v[32:33], s[26:27], v[28:29]
	v_cvt_i32_f64_e32 v32, v[32:33]
	s_delay_alu instid0(VALU_DEP_2) | instskip(NEXT) | instid1(VALU_DEP_1)
	v_add_f64 v[28:29], v[36:37], v[30:31]
	v_add_f64 v[34:35], v[28:29], -v[36:37]
	s_delay_alu instid0(VALU_DEP_1)
	v_add_f64 v[30:31], v[30:31], -v[34:35]
.LBB254_411:                            ;   in Loop: Header=BB254_233 Depth=1
	s_or_b32 exec_lo, exec_lo, s0
	v_add_f64 v[0:1], -v[0:1], s[72:73]
	s_delay_alu instid0(VALU_DEP_4) | instskip(SKIP_3) | instid1(VALU_DEP_4)
	v_mul_f64 v[39:40], v[24:25], v[24:25]
	v_mul_f64 v[41:42], v[28:29], v[28:29]
	s_mov_b32 s75, s47
	s_mov_b32 s77, s49
	v_mul_f64 v[59:60], v[26:27], 0.5
	v_mul_f64 v[65:66], v[30:31], 0.5
	s_mov_b32 s78, s48
	v_cmp_class_f64_e64 s0, v[2:3], 0x1f8
	v_mul_f64 v[33:34], v[0:1], s[30:31]
	v_fma_f64 v[43:44], v[39:40], s[66:67], s[64:65]
	v_fma_f64 v[45:46], v[41:42], s[66:67], s[64:65]
	;; [unrolled: 1-line block ×3, first 2 shown]
	v_mul_f64 v[49:50], v[39:40], 0.5
	v_fma_f64 v[51:52], v[41:42], s[56:57], s[54:55]
	v_mul_f64 v[53:54], v[41:42], 0.5
	v_mul_f64 v[61:62], v[24:25], -v[39:40]
	v_mul_f64 v[67:68], v[28:29], -v[41:42]
	v_cmp_nlt_f64_e64 s1, 0x40900000, v[0:1]
	v_cmp_ngt_f64_e64 s2, 0xc090cc00, v[0:1]
	v_rndne_f64_e32 v[33:34], v[33:34]
	v_fma_f64 v[43:44], v[39:40], v[43:44], s[68:69]
	v_fma_f64 v[45:46], v[41:42], v[45:46], s[68:69]
	;; [unrolled: 1-line block ×3, first 2 shown]
	v_add_f64 v[55:56], -v[49:50], 1.0
	v_fma_f64 v[51:52], v[41:42], v[51:52], s[58:59]
	v_add_f64 v[57:58], -v[53:54], 1.0
	v_fma_f64 v[35:36], v[33:34], s[16:17], v[0:1]
	v_fma_f64 v[43:44], v[39:40], v[43:44], s[70:71]
	;; [unrolled: 1-line block ×4, first 2 shown]
	v_add_f64 v[63:64], -v[55:56], 1.0
	v_fma_f64 v[51:52], v[41:42], v[51:52], s[60:61]
	v_add_f64 v[69:70], -v[57:58], 1.0
	v_cvt_i32_f64_e32 v17, v[33:34]
	v_lshlrev_b32_e32 v1, 30, v22
	v_lshlrev_b32_e32 v0, 30, v32
	s_delay_alu instid0(VALU_DEP_2) | instskip(NEXT) | instid1(VALU_DEP_2)
	v_and_b32_e32 v1, 0x80000000, v1
	v_xor_b32_e32 v0, v0, v23
	v_fma_f64 v[35:36], v[33:34], s[18:19], v[35:36]
	v_fma_f64 v[43:44], v[39:40], v[43:44], s[46:47]
	;; [unrolled: 1-line block ×4, first 2 shown]
	v_add_f64 v[49:50], v[63:64], -v[49:50]
	v_fma_f64 v[51:52], v[41:42], v[51:52], s[62:63]
	v_add_f64 v[53:54], v[69:70], -v[53:54]
	v_fma_f64 v[37:38], v[35:36], s[36:37], s[34:35]
	v_fma_f64 v[43:44], v[61:62], v[43:44], v[59:60]
	;; [unrolled: 1-line block ×3, first 2 shown]
	v_mul_f64 v[59:60], v[39:40], v[39:40]
	v_fma_f64 v[47:48], v[39:40], v[47:48], s[48:49]
	v_fma_f64 v[49:50], v[24:25], -v[26:27], v[49:50]
	v_fma_f64 v[37:38], v[35:36], v[37:38], s[38:39]
	v_fma_f64 v[26:27], v[39:40], v[43:44], -v[26:27]
	v_mul_f64 v[39:40], v[41:42], v[41:42]
	v_fma_f64 v[43:44], v[41:42], v[51:52], s[48:49]
	v_fma_f64 v[51:52], v[28:29], -v[30:31], v[53:54]
	v_fma_f64 v[30:31], v[41:42], v[45:46], -v[30:31]
	v_fma_f64 v[41:42], v[59:60], v[47:48], v[49:50]
	v_fma_f64 v[37:38], v[35:36], v[37:38], s[40:41]
	;; [unrolled: 1-line block ×3, first 2 shown]
	s_delay_alu instid0(VALU_DEP_4) | instskip(NEXT) | instid1(VALU_DEP_3)
	v_fma_f64 v[30:31], v[67:68], s[78:79], v[30:31]
	v_fma_f64 v[37:38], v[35:36], v[37:38], s[42:43]
	s_delay_alu instid0(VALU_DEP_3) | instskip(NEXT) | instid1(VALU_DEP_3)
	v_add_f64 v[24:25], v[24:25], -v[26:27]
	v_add_f64 v[28:29], v[28:29], -v[30:31]
	s_delay_alu instid0(VALU_DEP_3) | instskip(NEXT) | instid1(VALU_DEP_1)
	v_fma_f64 v[37:38], v[35:36], v[37:38], s[44:45]
	v_fma_f64 v[37:38], v[35:36], v[37:38], s[74:75]
	s_delay_alu instid0(VALU_DEP_1) | instskip(NEXT) | instid1(VALU_DEP_1)
	v_fma_f64 v[37:38], v[35:36], v[37:38], s[76:77]
	v_fma_f64 v[37:38], v[35:36], v[37:38], s[50:51]
	s_delay_alu instid0(VALU_DEP_1) | instskip(NEXT) | instid1(VALU_DEP_1)
	v_fma_f64 v[37:38], v[35:36], v[37:38], s[52:53]
	v_fma_f64 v[37:38], v[35:36], v[37:38], 1.0
	s_delay_alu instid0(VALU_DEP_1) | instskip(SKIP_2) | instid1(VALU_DEP_3)
	v_fma_f64 v[33:34], v[35:36], v[37:38], 1.0
	v_fma_f64 v[35:36], v[39:40], v[43:44], v[51:52]
	v_add_f64 v[37:38], v[55:56], v[41:42]
	v_ldexp_f64 v[26:27], v[33:34], v17
	s_delay_alu instid0(VALU_DEP_3) | instskip(SKIP_3) | instid1(VALU_DEP_3)
	v_add_f64 v[33:34], v[57:58], v[35:36]
	v_and_b32_e32 v17, 1, v22
	v_and_b32_e32 v3, 1, v32
	v_xor_b32_e32 v22, 0x80000000, v25
	v_cmp_eq_u32_e32 vcc_lo, 0, v17
	s_delay_alu instid0(VALU_DEP_3) | instskip(SKIP_1) | instid1(VALU_DEP_4)
	v_cmp_eq_u32_e64 s3, 0, v3
	v_cndmask_b32_e32 v17, v24, v37, vcc_lo
	v_dual_cndmask_b32 v3, v22, v38 :: v_dual_and_b32 v22, 0x80000000, v0
	s_and_b32 vcc_lo, s2, s1
	s_delay_alu instid0(VALU_DEP_2) | instskip(NEXT) | instid1(VALU_DEP_2)
	v_cndmask_b32_e64 v0, 0, v17, s0
	v_xor_b32_e32 v1, v3, v1
	s_delay_alu instid0(VALU_DEP_1) | instskip(SKIP_3) | instid1(VALU_DEP_3)
	v_cndmask_b32_e64 v1, 0x7ff80000, v1, s0
	v_cndmask_b32_e64 v2, 0x7ff00000, v27, s1
	;; [unrolled: 1-line block ×5, first 2 shown]
	s_delay_alu instid0(VALU_DEP_3) | instskip(NEXT) | instid1(VALU_DEP_3)
	v_xor_b32_e32 v3, v24, v22
	v_cndmask_b32_e64 v2, 0, v23, s0
	v_cndmask_b32_e32 v22, 0, v26, vcc_lo
	s_delay_alu instid0(VALU_DEP_4) | instskip(NEXT) | instid1(VALU_DEP_4)
	v_and_or_b32 v23, v25, s82, 0x7fe00000
	v_cndmask_b32_e64 v3, 0x7ff80000, v3, s0
	v_lshrrev_b32_e32 v17, 20, v25
	s_delay_alu instid0(VALU_DEP_3) | instskip(NEXT) | instid1(VALU_DEP_3)
	v_mul_f64 v[0:1], v[22:23], v[0:1]
	v_mul_f64 v[2:3], v[22:23], v[2:3]
	s_delay_alu instid0(VALU_DEP_3) | instskip(NEXT) | instid1(VALU_DEP_1)
	v_add_nc_u32_e32 v22, 0xffffff09, v17
	v_lshrrev_b16 v17, 15, v22
	s_delay_alu instid0(VALU_DEP_1) | instskip(NEXT) | instid1(VALU_DEP_1)
	v_add_nc_u16 v17, v22, v17
	v_ashrrev_i16 v17, 1, v17
	s_delay_alu instid0(VALU_DEP_1) | instskip(NEXT) | instid1(VALU_DEP_1)
	v_bfe_i32 v23, v17, 0, 16
	v_lshl_add_u32 v17, v23, 20, 0x3ff00000
	s_delay_alu instid0(VALU_DEP_1) | instskip(SKIP_3) | instid1(VALU_DEP_2)
	v_mul_f64 v[0:1], v[0:1], v[16:17]
	v_mul_f64 v[2:3], v[2:3], v[16:17]
	v_sub_nc_u32_e32 v17, v22, v23
	v_mov_b32_e32 v22, v16
	v_lshl_add_u32 v23, v17, 20, 0x3ff00000
	s_delay_alu instid0(VALU_DEP_1)
	v_mul_f64 v[24:25], v[0:1], v[22:23]
	v_mul_f64 v[22:23], v[2:3], v[22:23]
.LBB254_412:                            ;   in Loop: Header=BB254_233 Depth=1
	s_or_b32 exec_lo, exec_lo, s28
                                        ; implicit-def: $vgpr26_vgpr27
                                        ; implicit-def: $vgpr0_vgpr1
                                        ; implicit-def: $vgpr17
.LBB254_413:                            ;   in Loop: Header=BB254_233 Depth=1
	s_and_not1_saveexec_b32 s1, s85
	s_cbranch_execz .LBB254_419
; %bb.414:                              ;   in Loop: Header=BB254_233 Depth=1
	v_add_f64 v[22:23], v[2:3], -v[2:3]
	v_cmp_ne_u32_e32 vcc_lo, 0, v26
	v_cmp_ne_u32_e64 s0, 0x7ff00000, v17
	s_delay_alu instid0(VALU_DEP_1) | instskip(NEXT) | instid1(SALU_CYCLE_1)
	s_or_b32 s0, vcc_lo, s0
	s_and_saveexec_b32 s2, s0
	s_delay_alu instid0(SALU_CYCLE_1)
	s_xor_b32 s0, exec_lo, s2
; %bb.415:                              ;   in Loop: Header=BB254_233 Depth=1
                                        ; implicit-def: $vgpr26_vgpr27
                                        ; implicit-def: $vgpr0_vgpr1
; %bb.416:                              ;   in Loop: Header=BB254_233 Depth=1
	s_delay_alu instid0(SALU_CYCLE_1) | instskip(NEXT) | instid1(VALU_DEP_3)
	s_or_saveexec_b32 s0, s0
	v_dual_mov_b32 v25, v23 :: v_dual_mov_b32 v24, v22
	s_xor_b32 exec_lo, exec_lo, s0
; %bb.417:                              ;   in Loop: Header=BB254_233 Depth=1
	v_cmp_lt_i64_e32 vcc_lo, -1, v[26:27]
	v_dual_cndmask_b32 v25, 0, v27 :: v_dual_cndmask_b32 v24, 0, v0
	v_dual_cndmask_b32 v23, 0, v23 :: v_dual_cndmask_b32 v22, 0, v22
; %bb.418:                              ;   in Loop: Header=BB254_233 Depth=1
	s_or_b32 exec_lo, exec_lo, s0
.LBB254_419:                            ;   in Loop: Header=BB254_233 Depth=1
	s_delay_alu instid0(SALU_CYCLE_1)
	s_or_b32 exec_lo, exec_lo, s1
                                        ; implicit-def: $vgpr2_vgpr3
.LBB254_420:                            ;   in Loop: Header=BB254_233 Depth=1
	s_and_not1_saveexec_b32 s2, s84
	s_cbranch_execz .LBB254_430
; %bb.421:                              ;   in Loop: Header=BB254_233 Depth=1
	v_cmp_ngt_f64_e64 s1, 0x41d00000, |v[2:3]|
                                        ; implicit-def: $vgpr22
                                        ; implicit-def: $vgpr0_vgpr1
                                        ; implicit-def: $vgpr24_vgpr25
	s_delay_alu instid0(VALU_DEP_1) | instskip(NEXT) | instid1(SALU_CYCLE_1)
	s_and_saveexec_b32 s0, s1
	s_xor_b32 s3, exec_lo, s0
	s_cbranch_execz .LBB254_423
; %bb.422:                              ;   in Loop: Header=BB254_233 Depth=1
	v_ldexp_f64 v[0:1], |v[2:3]|, 0xffffff80
	v_cmp_le_f64_e64 vcc_lo, 0x7b000000, |v[2:3]|
	v_trig_preop_f64 v[24:25], |v[2:3]|, 0
	v_and_b32_e32 v17, 0x7fffffff, v3
	v_trig_preop_f64 v[26:27], |v[2:3]|, 1
	v_trig_preop_f64 v[36:37], |v[2:3]|, 2
	s_mov_b32 s4, s6
	s_mov_b32 s21, s9
	v_dual_cndmask_b32 v0, v2, v0 :: v_dual_cndmask_b32 v1, v17, v1
	s_delay_alu instid0(VALU_DEP_1) | instskip(NEXT) | instid1(VALU_DEP_4)
	v_mul_f64 v[28:29], v[24:25], v[0:1]
	v_mul_f64 v[30:31], v[26:27], v[0:1]
	s_delay_alu instid0(VALU_DEP_2) | instskip(NEXT) | instid1(VALU_DEP_2)
	v_fma_f64 v[24:25], v[24:25], v[0:1], -v[28:29]
	v_fma_f64 v[26:27], v[26:27], v[0:1], -v[30:31]
	s_delay_alu instid0(VALU_DEP_2) | instskip(NEXT) | instid1(VALU_DEP_1)
	v_add_f64 v[32:33], v[30:31], v[24:25]
	v_add_f64 v[34:35], v[32:33], -v[30:31]
	v_add_f64 v[40:41], v[28:29], v[32:33]
	s_delay_alu instid0(VALU_DEP_2) | instskip(SKIP_1) | instid1(VALU_DEP_3)
	v_add_f64 v[38:39], v[32:33], -v[34:35]
	v_add_f64 v[24:25], v[24:25], -v[34:35]
	v_ldexp_f64 v[34:35], v[40:41], -2
	v_add_f64 v[28:29], v[40:41], -v[28:29]
	s_delay_alu instid0(VALU_DEP_4) | instskip(NEXT) | instid1(VALU_DEP_3)
	v_add_f64 v[30:31], v[30:31], -v[38:39]
	v_cmp_neq_f64_e64 vcc_lo, 0x7ff00000, |v[34:35]|
	s_delay_alu instid0(VALU_DEP_3) | instskip(NEXT) | instid1(VALU_DEP_3)
	v_add_f64 v[28:29], v[32:33], -v[28:29]
	v_add_f64 v[24:25], v[24:25], v[30:31]
	v_fract_f64_e32 v[30:31], v[34:35]
	s_delay_alu instid0(VALU_DEP_1) | instskip(SKIP_1) | instid1(VALU_DEP_3)
	v_cndmask_b32_e32 v30, 0, v30, vcc_lo
	v_mul_f64 v[42:43], v[36:37], v[0:1]
	v_cndmask_b32_e32 v31, 0, v31, vcc_lo
	s_delay_alu instid0(VALU_DEP_1) | instskip(NEXT) | instid1(VALU_DEP_3)
	v_ldexp_f64 v[30:31], v[30:31], 2
	v_add_f64 v[38:39], v[42:43], v[26:27]
	v_fma_f64 v[0:1], v[36:37], v[0:1], -v[42:43]
	s_delay_alu instid0(VALU_DEP_2) | instskip(NEXT) | instid1(VALU_DEP_1)
	v_add_f64 v[32:33], v[38:39], v[24:25]
	v_add_f64 v[34:35], v[28:29], v[32:33]
	v_add_f64 v[44:45], v[32:33], -v[38:39]
	s_delay_alu instid0(VALU_DEP_2) | instskip(NEXT) | instid1(VALU_DEP_2)
	v_add_f64 v[40:41], v[34:35], v[30:31]
	v_add_f64 v[50:51], v[32:33], -v[44:45]
	v_add_f64 v[24:25], v[24:25], -v[44:45]
	;; [unrolled: 1-line block ×3, first 2 shown]
	s_delay_alu instid0(VALU_DEP_4) | instskip(SKIP_1) | instid1(VALU_DEP_3)
	v_cmp_gt_f64_e32 vcc_lo, 0, v[40:41]
	v_add_f64 v[40:41], v[38:39], -v[42:43]
	v_add_f64 v[28:29], v[32:33], -v[28:29]
	v_cndmask_b32_e64 v17, 0, 0x40100000, vcc_lo
	s_delay_alu instid0(VALU_DEP_3) | instskip(SKIP_2) | instid1(VALU_DEP_4)
	v_add_f64 v[48:49], v[38:39], -v[40:41]
	v_add_f64 v[26:27], v[26:27], -v[40:41]
	;; [unrolled: 1-line block ×3, first 2 shown]
	v_add_f64 v[30:31], v[30:31], v[16:17]
	s_delay_alu instid0(VALU_DEP_4) | instskip(NEXT) | instid1(VALU_DEP_3)
	v_add_f64 v[40:41], v[42:43], -v[48:49]
	v_add_f64 v[24:25], v[24:25], v[38:39]
	s_delay_alu instid0(VALU_DEP_3) | instskip(NEXT) | instid1(VALU_DEP_3)
	v_add_f64 v[46:47], v[34:35], v[30:31]
	v_add_f64 v[26:27], v[26:27], v[40:41]
	s_delay_alu instid0(VALU_DEP_2) | instskip(NEXT) | instid1(VALU_DEP_2)
	v_cvt_i32_f64_e32 v17, v[46:47]
	v_add_f64 v[24:25], v[26:27], v[24:25]
	s_delay_alu instid0(VALU_DEP_2) | instskip(NEXT) | instid1(VALU_DEP_2)
	v_cvt_f64_i32_e32 v[44:45], v17
	v_add_f64 v[0:1], v[0:1], v[24:25]
	s_delay_alu instid0(VALU_DEP_2) | instskip(NEXT) | instid1(VALU_DEP_2)
	v_add_f64 v[30:31], v[30:31], -v[44:45]
	v_add_f64 v[0:1], v[28:29], v[0:1]
	s_delay_alu instid0(VALU_DEP_2) | instskip(NEXT) | instid1(VALU_DEP_1)
	v_add_f64 v[26:27], v[34:35], v[30:31]
	v_add_f64 v[24:25], v[26:27], -v[30:31]
	v_cmp_le_f64_e32 vcc_lo, 0.5, v[26:27]
	s_delay_alu instid0(VALU_DEP_2) | instskip(SKIP_2) | instid1(VALU_DEP_3)
	v_add_f64 v[24:25], v[34:35], -v[24:25]
	v_add_co_ci_u32_e64 v22, s0, 0, v17, vcc_lo
	v_cndmask_b32_e64 v17, 0, 0x3ff00000, vcc_lo
	v_add_f64 v[0:1], v[0:1], v[24:25]
	s_delay_alu instid0(VALU_DEP_2) | instskip(NEXT) | instid1(VALU_DEP_1)
	v_add_f64 v[24:25], v[26:27], -v[16:17]
	v_add_f64 v[26:27], v[24:25], v[0:1]
	s_delay_alu instid0(VALU_DEP_1) | instskip(SKIP_1) | instid1(VALU_DEP_2)
	v_mul_f64 v[28:29], v[26:27], s[4:5]
	v_add_f64 v[24:25], v[26:27], -v[24:25]
	v_fma_f64 v[30:31], v[26:27], s[4:5], -v[28:29]
	s_delay_alu instid0(VALU_DEP_2) | instskip(NEXT) | instid1(VALU_DEP_2)
	v_add_f64 v[0:1], v[0:1], -v[24:25]
	v_fma_f64 v[24:25], v[26:27], s[20:21], v[30:31]
	s_delay_alu instid0(VALU_DEP_1) | instskip(NEXT) | instid1(VALU_DEP_1)
	v_fma_f64 v[24:25], v[0:1], s[4:5], v[24:25]
	v_add_f64 v[0:1], v[28:29], v[24:25]
	s_delay_alu instid0(VALU_DEP_1) | instskip(NEXT) | instid1(VALU_DEP_1)
	v_add_f64 v[26:27], v[0:1], -v[28:29]
	v_add_f64 v[24:25], v[24:25], -v[26:27]
	s_and_not1_saveexec_b32 s0, s3
	s_cbranch_execz .LBB254_425
	s_branch .LBB254_424
.LBB254_423:                            ;   in Loop: Header=BB254_233 Depth=1
	s_and_not1_saveexec_b32 s0, s3
	s_cbranch_execz .LBB254_425
.LBB254_424:                            ;   in Loop: Header=BB254_233 Depth=1
	v_mul_f64 v[0:1], |v[2:3]|, s[22:23]
	s_mov_b32 s8, s24
	s_delay_alu instid0(VALU_DEP_1) | instskip(NEXT) | instid1(VALU_DEP_1)
	v_rndne_f64_e32 v[26:27], v[0:1]
	v_fma_f64 v[0:1], v[26:27], s[6:7], |v[2:3]|
	v_mul_f64 v[24:25], v[26:27], s[24:25]
	v_cvt_i32_f64_e32 v22, v[26:27]
	s_delay_alu instid0(VALU_DEP_3) | instskip(NEXT) | instid1(VALU_DEP_3)
	v_fma_f64 v[30:31], v[26:27], s[24:25], v[0:1]
	v_add_f64 v[28:29], v[0:1], v[24:25]
	s_delay_alu instid0(VALU_DEP_1) | instskip(NEXT) | instid1(VALU_DEP_3)
	v_add_f64 v[0:1], v[0:1], -v[28:29]
	v_add_f64 v[28:29], v[28:29], -v[30:31]
	s_delay_alu instid0(VALU_DEP_2) | instskip(SKIP_1) | instid1(VALU_DEP_2)
	v_add_f64 v[0:1], v[0:1], v[24:25]
	v_fma_f64 v[24:25], v[26:27], s[8:9], v[24:25]
	v_add_f64 v[0:1], v[28:29], v[0:1]
	s_delay_alu instid0(VALU_DEP_1) | instskip(NEXT) | instid1(VALU_DEP_1)
	v_add_f64 v[0:1], v[0:1], -v[24:25]
	v_fma_f64 v[24:25], v[26:27], s[26:27], v[0:1]
	s_delay_alu instid0(VALU_DEP_1) | instskip(NEXT) | instid1(VALU_DEP_1)
	v_add_f64 v[0:1], v[30:31], v[24:25]
	v_add_f64 v[28:29], v[0:1], -v[30:31]
	s_delay_alu instid0(VALU_DEP_1)
	v_add_f64 v[24:25], v[24:25], -v[28:29]
.LBB254_425:                            ;   in Loop: Header=BB254_233 Depth=1
	s_or_b32 exec_lo, exec_lo, s0
                                        ; implicit-def: $vgpr30
                                        ; implicit-def: $vgpr26_vgpr27
                                        ; implicit-def: $vgpr28_vgpr29
	s_and_saveexec_b32 s0, s1
	s_delay_alu instid0(SALU_CYCLE_1)
	s_xor_b32 s1, exec_lo, s0
	s_cbranch_execz .LBB254_427
; %bb.426:                              ;   in Loop: Header=BB254_233 Depth=1
	v_ldexp_f64 v[26:27], |v[2:3]|, 0xffffff80
	v_cmp_le_f64_e64 vcc_lo, 0x7b000000, |v[2:3]|
	v_trig_preop_f64 v[28:29], |v[2:3]|, 0
	v_and_b32_e32 v17, 0x7fffffff, v3
	v_trig_preop_f64 v[30:31], |v[2:3]|, 1
	v_trig_preop_f64 v[40:41], |v[2:3]|, 2
	s_mov_b32 s4, s6
	s_mov_b32 s21, s9
	v_dual_cndmask_b32 v26, v2, v26 :: v_dual_cndmask_b32 v27, v17, v27
	s_delay_alu instid0(VALU_DEP_1) | instskip(NEXT) | instid1(VALU_DEP_4)
	v_mul_f64 v[32:33], v[28:29], v[26:27]
	v_mul_f64 v[34:35], v[30:31], v[26:27]
	s_delay_alu instid0(VALU_DEP_2) | instskip(NEXT) | instid1(VALU_DEP_2)
	v_fma_f64 v[28:29], v[28:29], v[26:27], -v[32:33]
	v_fma_f64 v[30:31], v[30:31], v[26:27], -v[34:35]
	s_delay_alu instid0(VALU_DEP_2) | instskip(NEXT) | instid1(VALU_DEP_1)
	v_add_f64 v[36:37], v[34:35], v[28:29]
	v_add_f64 v[38:39], v[36:37], -v[34:35]
	v_add_f64 v[44:45], v[32:33], v[36:37]
	s_delay_alu instid0(VALU_DEP_2) | instskip(SKIP_1) | instid1(VALU_DEP_3)
	v_add_f64 v[42:43], v[36:37], -v[38:39]
	v_add_f64 v[28:29], v[28:29], -v[38:39]
	v_ldexp_f64 v[38:39], v[44:45], -2
	v_add_f64 v[32:33], v[44:45], -v[32:33]
	s_delay_alu instid0(VALU_DEP_4) | instskip(NEXT) | instid1(VALU_DEP_3)
	v_add_f64 v[34:35], v[34:35], -v[42:43]
	v_cmp_neq_f64_e64 vcc_lo, 0x7ff00000, |v[38:39]|
	s_delay_alu instid0(VALU_DEP_3) | instskip(NEXT) | instid1(VALU_DEP_3)
	v_add_f64 v[32:33], v[36:37], -v[32:33]
	v_add_f64 v[28:29], v[28:29], v[34:35]
	v_fract_f64_e32 v[34:35], v[38:39]
	s_delay_alu instid0(VALU_DEP_1) | instskip(SKIP_1) | instid1(VALU_DEP_3)
	v_cndmask_b32_e32 v34, 0, v34, vcc_lo
	v_mul_f64 v[46:47], v[40:41], v[26:27]
	v_cndmask_b32_e32 v35, 0, v35, vcc_lo
	s_delay_alu instid0(VALU_DEP_1) | instskip(NEXT) | instid1(VALU_DEP_3)
	v_ldexp_f64 v[34:35], v[34:35], 2
	v_add_f64 v[42:43], v[46:47], v[30:31]
	v_fma_f64 v[26:27], v[40:41], v[26:27], -v[46:47]
	s_delay_alu instid0(VALU_DEP_2) | instskip(NEXT) | instid1(VALU_DEP_1)
	v_add_f64 v[36:37], v[42:43], v[28:29]
	v_add_f64 v[38:39], v[32:33], v[36:37]
	v_add_f64 v[48:49], v[36:37], -v[42:43]
	s_delay_alu instid0(VALU_DEP_2) | instskip(NEXT) | instid1(VALU_DEP_2)
	v_add_f64 v[44:45], v[38:39], v[34:35]
	v_add_f64 v[54:55], v[36:37], -v[48:49]
	v_add_f64 v[28:29], v[28:29], -v[48:49]
	;; [unrolled: 1-line block ×3, first 2 shown]
	s_delay_alu instid0(VALU_DEP_4) | instskip(SKIP_2) | instid1(VALU_DEP_2)
	v_cmp_gt_f64_e32 vcc_lo, 0, v[44:45]
	v_add_f64 v[44:45], v[42:43], -v[46:47]
	v_cndmask_b32_e64 v17, 0, 0x40100000, vcc_lo
	v_add_f64 v[52:53], v[42:43], -v[44:45]
	v_add_f64 v[30:31], v[30:31], -v[44:45]
	;; [unrolled: 1-line block ×3, first 2 shown]
	s_delay_alu instid0(VALU_DEP_4) | instskip(NEXT) | instid1(VALU_DEP_4)
	v_add_f64 v[34:35], v[34:35], v[16:17]
	v_add_f64 v[44:45], v[46:47], -v[52:53]
	s_delay_alu instid0(VALU_DEP_3) | instskip(NEXT) | instid1(VALU_DEP_3)
	v_add_f64 v[28:29], v[28:29], v[42:43]
	v_add_f64 v[50:51], v[38:39], v[34:35]
	s_delay_alu instid0(VALU_DEP_3) | instskip(NEXT) | instid1(VALU_DEP_2)
	v_add_f64 v[30:31], v[30:31], v[44:45]
	v_cvt_i32_f64_e32 v17, v[50:51]
	s_delay_alu instid0(VALU_DEP_2) | instskip(SKIP_1) | instid1(VALU_DEP_3)
	v_add_f64 v[28:29], v[30:31], v[28:29]
	v_add_f64 v[30:31], v[36:37], -v[32:33]
	v_cvt_f64_i32_e32 v[48:49], v17
	s_delay_alu instid0(VALU_DEP_3) | instskip(NEXT) | instid1(VALU_DEP_2)
	v_add_f64 v[26:27], v[26:27], v[28:29]
	v_add_f64 v[34:35], v[34:35], -v[48:49]
	s_delay_alu instid0(VALU_DEP_2) | instskip(NEXT) | instid1(VALU_DEP_2)
	v_add_f64 v[26:27], v[30:31], v[26:27]
	v_add_f64 v[40:41], v[38:39], v[34:35]
	s_delay_alu instid0(VALU_DEP_1) | instskip(SKIP_1) | instid1(VALU_DEP_2)
	v_add_f64 v[28:29], v[40:41], -v[34:35]
	v_cmp_le_f64_e32 vcc_lo, 0.5, v[40:41]
	v_add_f64 v[28:29], v[38:39], -v[28:29]
	v_add_co_ci_u32_e64 v30, s0, 0, v17, vcc_lo
	v_cndmask_b32_e64 v17, 0, 0x3ff00000, vcc_lo
	s_delay_alu instid0(VALU_DEP_3) | instskip(NEXT) | instid1(VALU_DEP_2)
	v_add_f64 v[26:27], v[26:27], v[28:29]
	v_add_f64 v[28:29], v[40:41], -v[16:17]
	s_delay_alu instid0(VALU_DEP_1) | instskip(NEXT) | instid1(VALU_DEP_1)
	v_add_f64 v[31:32], v[28:29], v[26:27]
	v_mul_f64 v[33:34], v[31:32], s[4:5]
	v_add_f64 v[28:29], v[31:32], -v[28:29]
	s_delay_alu instid0(VALU_DEP_2) | instskip(NEXT) | instid1(VALU_DEP_2)
	v_fma_f64 v[35:36], v[31:32], s[4:5], -v[33:34]
	v_add_f64 v[26:27], v[26:27], -v[28:29]
	s_delay_alu instid0(VALU_DEP_2) | instskip(NEXT) | instid1(VALU_DEP_1)
	v_fma_f64 v[28:29], v[31:32], s[20:21], v[35:36]
	v_fma_f64 v[28:29], v[26:27], s[4:5], v[28:29]
	s_delay_alu instid0(VALU_DEP_1) | instskip(NEXT) | instid1(VALU_DEP_1)
	v_add_f64 v[26:27], v[33:34], v[28:29]
	v_add_f64 v[31:32], v[26:27], -v[33:34]
	s_delay_alu instid0(VALU_DEP_1)
	v_add_f64 v[28:29], v[28:29], -v[31:32]
	s_and_not1_saveexec_b32 s0, s1
	s_cbranch_execnz .LBB254_428
	s_branch .LBB254_429
.LBB254_427:                            ;   in Loop: Header=BB254_233 Depth=1
	s_and_not1_saveexec_b32 s0, s1
	s_cbranch_execz .LBB254_429
.LBB254_428:                            ;   in Loop: Header=BB254_233 Depth=1
	v_mul_f64 v[26:27], |v[2:3]|, s[22:23]
	s_mov_b32 s8, s24
	s_delay_alu instid0(VALU_DEP_1) | instskip(NEXT) | instid1(VALU_DEP_1)
	v_rndne_f64_e32 v[30:31], v[26:27]
	v_fma_f64 v[26:27], v[30:31], s[6:7], |v[2:3]|
	v_mul_f64 v[28:29], v[30:31], s[24:25]
	s_delay_alu instid0(VALU_DEP_2) | instskip(NEXT) | instid1(VALU_DEP_2)
	v_fma_f64 v[34:35], v[30:31], s[24:25], v[26:27]
	v_add_f64 v[32:33], v[26:27], v[28:29]
	s_delay_alu instid0(VALU_DEP_1) | instskip(NEXT) | instid1(VALU_DEP_3)
	v_add_f64 v[26:27], v[26:27], -v[32:33]
	v_add_f64 v[32:33], v[32:33], -v[34:35]
	s_delay_alu instid0(VALU_DEP_2) | instskip(SKIP_1) | instid1(VALU_DEP_2)
	v_add_f64 v[26:27], v[26:27], v[28:29]
	v_fma_f64 v[28:29], v[30:31], s[8:9], v[28:29]
	v_add_f64 v[26:27], v[32:33], v[26:27]
	s_delay_alu instid0(VALU_DEP_1) | instskip(NEXT) | instid1(VALU_DEP_1)
	v_add_f64 v[26:27], v[26:27], -v[28:29]
	v_fma_f64 v[28:29], v[30:31], s[26:27], v[26:27]
	v_cvt_i32_f64_e32 v30, v[30:31]
	s_delay_alu instid0(VALU_DEP_2) | instskip(NEXT) | instid1(VALU_DEP_1)
	v_add_f64 v[26:27], v[34:35], v[28:29]
	v_add_f64 v[32:33], v[26:27], -v[34:35]
	s_delay_alu instid0(VALU_DEP_1)
	v_add_f64 v[28:29], v[28:29], -v[32:33]
.LBB254_429:                            ;   in Loop: Header=BB254_233 Depth=1
	s_or_b32 exec_lo, exec_lo, s0
	v_mul_f64 v[31:32], v[0:1], v[0:1]
	v_mul_f64 v[33:34], v[26:27], v[26:27]
	s_delay_alu instid0(VALU_DEP_3) | instskip(NEXT) | instid1(VALU_DEP_4)
	v_mul_f64 v[51:52], v[24:25], 0.5
	v_mul_f64 v[57:58], v[28:29], 0.5
	s_mov_b32 s78, s48
	v_cmp_class_f64_e64 s0, v[2:3], 0x1f8
	v_lshlrev_b32_e32 v2, 30, v30
	v_and_b32_e32 v3, 1, v30
	s_delay_alu instid0(VALU_DEP_2) | instskip(NEXT) | instid1(VALU_DEP_2)
	v_xor_b32_e32 v2, v2, v23
	v_cmp_eq_u32_e64 s1, 0, v3
	s_delay_alu instid0(VALU_DEP_2)
	v_and_b32_e32 v2, 0x80000000, v2
	v_fma_f64 v[35:36], v[31:32], s[66:67], s[64:65]
	v_fma_f64 v[37:38], v[33:34], s[66:67], s[64:65]
	v_mul_f64 v[41:42], v[31:32], 0.5
	v_fma_f64 v[39:40], v[31:32], s[56:57], s[54:55]
	v_fma_f64 v[43:44], v[33:34], s[56:57], s[54:55]
	v_mul_f64 v[45:46], v[33:34], 0.5
	v_mul_f64 v[53:54], v[0:1], -v[31:32]
	v_mul_f64 v[59:60], v[26:27], -v[33:34]
	v_fma_f64 v[35:36], v[31:32], v[35:36], s[68:69]
	v_fma_f64 v[37:38], v[33:34], v[37:38], s[68:69]
	v_add_f64 v[47:48], -v[41:42], 1.0
	v_fma_f64 v[39:40], v[31:32], v[39:40], s[58:59]
	v_fma_f64 v[43:44], v[33:34], v[43:44], s[58:59]
	v_add_f64 v[49:50], -v[45:46], 1.0
	;; [unrolled: 3-line block ×4, first 2 shown]
	v_fma_f64 v[35:36], v[31:32], v[35:36], s[46:47]
	v_fma_f64 v[37:38], v[33:34], v[37:38], s[46:47]
	v_add_f64 v[41:42], v[55:56], -v[41:42]
	v_fma_f64 v[39:40], v[31:32], v[39:40], s[62:63]
	v_fma_f64 v[43:44], v[33:34], v[43:44], s[62:63]
	v_add_f64 v[45:46], v[61:62], -v[45:46]
	v_fma_f64 v[35:36], v[53:54], v[35:36], v[51:52]
	v_fma_f64 v[37:38], v[59:60], v[37:38], v[57:58]
	v_fma_f64 v[41:42], v[0:1], -v[24:25], v[41:42]
	v_mul_f64 v[51:52], v[31:32], v[31:32]
	v_fma_f64 v[39:40], v[31:32], v[39:40], s[48:49]
	v_fma_f64 v[24:25], v[31:32], v[35:36], -v[24:25]
	v_mul_f64 v[31:32], v[33:34], v[33:34]
	v_fma_f64 v[35:36], v[33:34], v[43:44], s[48:49]
	v_fma_f64 v[43:44], v[26:27], -v[28:29], v[45:46]
	v_fma_f64 v[28:29], v[33:34], v[37:38], -v[28:29]
	v_fma_f64 v[33:34], v[51:52], v[39:40], v[41:42]
	v_fma_f64 v[24:25], v[53:54], s[78:79], v[24:25]
	s_delay_alu instid0(VALU_DEP_4) | instskip(NEXT) | instid1(VALU_DEP_4)
	v_fma_f64 v[31:32], v[31:32], v[35:36], v[43:44]
	v_fma_f64 v[28:29], v[59:60], s[78:79], v[28:29]
	s_delay_alu instid0(VALU_DEP_4) | instskip(NEXT) | instid1(VALU_DEP_4)
	v_add_f64 v[33:34], v[47:48], v[33:34]
	v_add_f64 v[0:1], v[0:1], -v[24:25]
	v_and_b32_e32 v17, 1, v22
	v_add_f64 v[24:25], v[49:50], v[31:32]
	v_add_f64 v[26:27], v[26:27], -v[28:29]
	s_delay_alu instid0(VALU_DEP_3) | instskip(SKIP_1) | instid1(VALU_DEP_1)
	v_cmp_eq_u32_e32 vcc_lo, 0, v17
	v_lshlrev_b32_e32 v17, 30, v22
	v_and_b32_e32 v3, 0x80000000, v17
	v_cndmask_b32_e32 v0, v0, v33, vcc_lo
	v_xor_b32_e32 v1, 0x80000000, v1
	v_cndmask_b32_e64 v22, v25, v27, s1
	v_cndmask_b32_e64 v17, v24, v26, s1
	s_delay_alu instid0(VALU_DEP_3) | instskip(SKIP_1) | instid1(VALU_DEP_4)
	v_cndmask_b32_e32 v1, v1, v34, vcc_lo
	v_cndmask_b32_e64 v24, 0, v0, s0
	v_xor_b32_e32 v2, v22, v2
	s_delay_alu instid0(VALU_DEP_4) | instskip(NEXT) | instid1(VALU_DEP_4)
	v_cndmask_b32_e64 v22, 0, v17, s0
	v_xor_b32_e32 v1, v1, v3
	s_delay_alu instid0(VALU_DEP_3) | instskip(NEXT) | instid1(VALU_DEP_2)
	v_cndmask_b32_e64 v23, 0x7ff80000, v2, s0
	v_cndmask_b32_e64 v25, 0x7ff80000, v1, s0
.LBB254_430:                            ;   in Loop: Header=BB254_233 Depth=1
	s_or_b32 exec_lo, exec_lo, s2
                                        ; implicit-def: $vgpr0_vgpr1
.LBB254_431:                            ;   in Loop: Header=BB254_233 Depth=1
	s_and_not1_saveexec_b32 s1, s83
	s_cbranch_execz .LBB254_433
; %bb.432:                              ;   in Loop: Header=BB254_233 Depth=1
	s_mov_b32 s28, s30
	s_mov_b32 s75, s47
	v_mul_f64 v[2:3], v[0:1], s[28:29]
	s_mov_b32 s77, s49
	v_cmp_ngt_f64_e32 vcc_lo, 0xc0900000, v[0:1]
	v_cmp_nlt_f64_e64 s0, 0x4090cc00, v[0:1]
	s_delay_alu instid0(VALU_DEP_3) | instskip(NEXT) | instid1(VALU_DEP_1)
	v_rndne_f64_e32 v[2:3], v[2:3]
	v_fma_f64 v[24:25], v[2:3], s[16:17], -v[0:1]
	v_cvt_i32_f64_e32 v17, v[2:3]
	s_delay_alu instid0(VALU_DEP_2) | instskip(NEXT) | instid1(VALU_DEP_1)
	v_fma_f64 v[24:25], v[2:3], s[18:19], v[24:25]
	v_fma_f64 v[26:27], v[24:25], s[36:37], s[34:35]
	s_delay_alu instid0(VALU_DEP_1) | instskip(NEXT) | instid1(VALU_DEP_1)
	v_fma_f64 v[26:27], v[24:25], v[26:27], s[38:39]
	v_fma_f64 v[26:27], v[24:25], v[26:27], s[40:41]
	s_delay_alu instid0(VALU_DEP_1) | instskip(NEXT) | instid1(VALU_DEP_1)
	v_fma_f64 v[26:27], v[24:25], v[26:27], s[42:43]
	v_fma_f64 v[26:27], v[24:25], v[26:27], s[44:45]
	s_delay_alu instid0(VALU_DEP_1) | instskip(NEXT) | instid1(VALU_DEP_1)
	v_fma_f64 v[26:27], v[24:25], v[26:27], s[74:75]
	v_fma_f64 v[26:27], v[24:25], v[26:27], s[76:77]
	s_delay_alu instid0(VALU_DEP_1) | instskip(NEXT) | instid1(VALU_DEP_1)
	v_fma_f64 v[26:27], v[24:25], v[26:27], s[50:51]
	v_fma_f64 v[26:27], v[24:25], v[26:27], s[52:53]
	s_delay_alu instid0(VALU_DEP_1) | instskip(NEXT) | instid1(VALU_DEP_1)
	v_fma_f64 v[26:27], v[24:25], v[26:27], 1.0
	v_fma_f64 v[2:3], v[24:25], v[26:27], 1.0
	s_delay_alu instid0(VALU_DEP_1) | instskip(NEXT) | instid1(VALU_DEP_1)
	v_ldexp_f64 v[2:3], v[2:3], v17
	v_cndmask_b32_e32 v3, 0x7ff00000, v3, vcc_lo
	s_and_b32 vcc_lo, s0, vcc_lo
	s_delay_alu instid0(VALU_DEP_2) | instskip(NEXT) | instid1(VALU_DEP_2)
	v_cndmask_b32_e32 v24, 0, v2, vcc_lo
	v_cndmask_b32_e64 v25, 0, v3, s0
.LBB254_433:                            ;   in Loop: Header=BB254_233 Depth=1
	s_or_b32 exec_lo, exec_lo, s1
	s_delay_alu instid0(VALU_DEP_1) | instskip(NEXT) | instid1(VALU_DEP_2)
	v_add_f64 v[24:25], s[12:13], v[24:25]
	v_add_f64 v[22:23], s[14:15], v[22:23]
                                        ; implicit-def: $vgpr2_vgpr3
	s_delay_alu instid0(VALU_DEP_2) | instskip(NEXT) | instid1(VALU_DEP_2)
	v_cmp_gt_f64_e32 vcc_lo, 0, v[24:25]
	v_cmp_gt_f64_e64 s0, 0, v[22:23]
	v_xor_b32_e32 v0, 0x80000000, v25
	v_xor_b32_e32 v1, 0x80000000, v23
	s_delay_alu instid0(VALU_DEP_2) | instskip(NEXT) | instid1(VALU_DEP_2)
	v_cndmask_b32_e32 v27, v25, v0, vcc_lo
	v_cndmask_b32_e64 v29, v23, v1, s0
	v_cndmask_b32_e32 v26, v24, v24, vcc_lo
	v_cndmask_b32_e64 v28, v22, v22, s0
	s_mov_b32 s0, exec_lo
	s_delay_alu instid0(VALU_DEP_1)
	v_cmpx_ge_f64_e32 v[26:27], v[28:29]
	s_xor_b32 s1, exec_lo, s0
	s_cbranch_execz .LBB254_439
; %bb.434:                              ;   in Loop: Header=BB254_233 Depth=1
	v_cmp_neq_f64_e32 vcc_lo, 0, v[24:25]
	v_cmp_neq_f64_e64 s0, 0, v[22:23]
                                        ; implicit-def: $vgpr2_vgpr3
	s_delay_alu instid0(VALU_DEP_1) | instskip(NEXT) | instid1(SALU_CYCLE_1)
	s_or_b32 s0, vcc_lo, s0
	s_and_saveexec_b32 s2, s0
	s_delay_alu instid0(SALU_CYCLE_1)
	s_xor_b32 s0, exec_lo, s2
	s_cbranch_execz .LBB254_436
; %bb.435:                              ;   in Loop: Header=BB254_233 Depth=1
	v_div_scale_f64 v[0:1], null, v[24:25], v[24:25], v[22:23]
	v_div_scale_f64 v[28:29], vcc_lo, v[22:23], v[24:25], v[22:23]
	s_delay_alu instid0(VALU_DEP_2) | instskip(SKIP_2) | instid1(VALU_DEP_1)
	v_rcp_f64_e32 v[2:3], v[0:1]
	s_waitcnt_depctr 0xfff
	v_fma_f64 v[26:27], -v[0:1], v[2:3], 1.0
	v_fma_f64 v[2:3], v[2:3], v[26:27], v[2:3]
	s_delay_alu instid0(VALU_DEP_1) | instskip(NEXT) | instid1(VALU_DEP_1)
	v_fma_f64 v[26:27], -v[0:1], v[2:3], 1.0
	v_fma_f64 v[2:3], v[2:3], v[26:27], v[2:3]
	s_delay_alu instid0(VALU_DEP_1) | instskip(NEXT) | instid1(VALU_DEP_1)
	v_mul_f64 v[26:27], v[28:29], v[2:3]
	v_fma_f64 v[0:1], -v[0:1], v[26:27], v[28:29]
	s_delay_alu instid0(VALU_DEP_1) | instskip(NEXT) | instid1(VALU_DEP_1)
	v_div_fmas_f64 v[0:1], v[0:1], v[2:3], v[26:27]
	v_div_fixup_f64 v[0:1], v[0:1], v[24:25], v[22:23]
	s_delay_alu instid0(VALU_DEP_1) | instskip(NEXT) | instid1(VALU_DEP_1)
	v_fma_f64 v[2:3], v[22:23], v[0:1], v[24:25]
	v_div_scale_f64 v[22:23], null, v[2:3], v[2:3], 1.0
	v_div_scale_f64 v[28:29], vcc_lo, 1.0, v[2:3], 1.0
	s_delay_alu instid0(VALU_DEP_2) | instskip(SKIP_2) | instid1(VALU_DEP_1)
	v_rcp_f64_e32 v[24:25], v[22:23]
	s_waitcnt_depctr 0xfff
	v_fma_f64 v[26:27], -v[22:23], v[24:25], 1.0
	v_fma_f64 v[24:25], v[24:25], v[26:27], v[24:25]
	s_delay_alu instid0(VALU_DEP_1) | instskip(NEXT) | instid1(VALU_DEP_1)
	v_fma_f64 v[26:27], -v[22:23], v[24:25], 1.0
	v_fma_f64 v[24:25], v[24:25], v[26:27], v[24:25]
	s_delay_alu instid0(VALU_DEP_1) | instskip(NEXT) | instid1(VALU_DEP_1)
	v_mul_f64 v[26:27], v[28:29], v[24:25]
	v_fma_f64 v[22:23], -v[22:23], v[26:27], v[28:29]
                                        ; implicit-def: $vgpr28_vgpr29
	s_delay_alu instid0(VALU_DEP_1) | instskip(SKIP_1) | instid1(VALU_DEP_2)
	v_div_fmas_f64 v[22:23], v[22:23], v[24:25], v[26:27]
	v_fma_f64 v[24:25], s[14:15], v[0:1], s[12:13]
                                        ; implicit-def: $vgpr26_vgpr27
	v_div_fixup_f64 v[2:3], v[22:23], v[2:3], 1.0
	v_fma_f64 v[22:23], -s[12:13], v[0:1], s[14:15]
	s_delay_alu instid0(VALU_DEP_2) | instskip(NEXT) | instid1(VALU_DEP_2)
	v_mul_f64 v[0:1], v[24:25], v[2:3]
	v_mul_f64 v[2:3], v[22:23], v[2:3]
.LBB254_436:                            ;   in Loop: Header=BB254_233 Depth=1
	s_and_not1_saveexec_b32 s2, s0
	s_cbranch_execz .LBB254_438
; %bb.437:                              ;   in Loop: Header=BB254_233 Depth=1
	v_div_scale_f64 v[0:1], null, v[26:27], v[26:27], s[12:13]
	v_div_scale_f64 v[2:3], null, v[28:29], v[28:29], s[14:15]
	v_div_scale_f64 v[34:35], vcc_lo, s[12:13], v[26:27], s[12:13]
	s_delay_alu instid0(VALU_DEP_3) | instskip(NEXT) | instid1(VALU_DEP_2)
	v_rcp_f64_e32 v[22:23], v[0:1]
	v_rcp_f64_e32 v[24:25], v[2:3]
	s_waitcnt_depctr 0xfff
	v_fma_f64 v[30:31], -v[0:1], v[22:23], 1.0
	v_fma_f64 v[32:33], -v[2:3], v[24:25], 1.0
	s_delay_alu instid0(VALU_DEP_2) | instskip(NEXT) | instid1(VALU_DEP_2)
	v_fma_f64 v[22:23], v[22:23], v[30:31], v[22:23]
	v_fma_f64 v[24:25], v[24:25], v[32:33], v[24:25]
	s_delay_alu instid0(VALU_DEP_2) | instskip(NEXT) | instid1(VALU_DEP_2)
	v_fma_f64 v[30:31], -v[0:1], v[22:23], 1.0
	v_fma_f64 v[32:33], -v[2:3], v[24:25], 1.0
	s_delay_alu instid0(VALU_DEP_2) | instskip(SKIP_1) | instid1(VALU_DEP_3)
	v_fma_f64 v[22:23], v[22:23], v[30:31], v[22:23]
	v_div_scale_f64 v[30:31], s0, s[14:15], v[28:29], s[14:15]
	v_fma_f64 v[24:25], v[24:25], v[32:33], v[24:25]
	s_delay_alu instid0(VALU_DEP_3) | instskip(NEXT) | instid1(VALU_DEP_2)
	v_mul_f64 v[32:33], v[34:35], v[22:23]
	v_mul_f64 v[36:37], v[30:31], v[24:25]
	s_delay_alu instid0(VALU_DEP_2) | instskip(NEXT) | instid1(VALU_DEP_2)
	v_fma_f64 v[0:1], -v[0:1], v[32:33], v[34:35]
	v_fma_f64 v[2:3], -v[2:3], v[36:37], v[30:31]
	s_delay_alu instid0(VALU_DEP_2) | instskip(SKIP_1) | instid1(VALU_DEP_2)
	v_div_fmas_f64 v[0:1], v[0:1], v[22:23], v[32:33]
	s_mov_b32 vcc_lo, s0
	v_div_fmas_f64 v[2:3], v[2:3], v[24:25], v[36:37]
	s_delay_alu instid0(VALU_DEP_2) | instskip(NEXT) | instid1(VALU_DEP_2)
	v_div_fixup_f64 v[0:1], v[0:1], v[26:27], s[12:13]
	v_div_fixup_f64 v[2:3], v[2:3], v[28:29], s[14:15]
.LBB254_438:                            ;   in Loop: Header=BB254_233 Depth=1
	s_or_b32 exec_lo, exec_lo, s2
                                        ; implicit-def: $vgpr22_vgpr23
                                        ; implicit-def: $vgpr24_vgpr25
.LBB254_439:                            ;   in Loop: Header=BB254_233 Depth=1
	s_and_not1_saveexec_b32 s0, s1
	s_cbranch_execz .LBB254_232
; %bb.440:                              ;   in Loop: Header=BB254_233 Depth=1
	v_div_scale_f64 v[0:1], null, v[22:23], v[22:23], v[24:25]
	v_div_scale_f64 v[28:29], vcc_lo, v[24:25], v[22:23], v[24:25]
	s_delay_alu instid0(VALU_DEP_2) | instskip(SKIP_2) | instid1(VALU_DEP_1)
	v_rcp_f64_e32 v[2:3], v[0:1]
	s_waitcnt_depctr 0xfff
	v_fma_f64 v[26:27], -v[0:1], v[2:3], 1.0
	v_fma_f64 v[2:3], v[2:3], v[26:27], v[2:3]
	s_delay_alu instid0(VALU_DEP_1) | instskip(NEXT) | instid1(VALU_DEP_1)
	v_fma_f64 v[26:27], -v[0:1], v[2:3], 1.0
	v_fma_f64 v[2:3], v[2:3], v[26:27], v[2:3]
	s_delay_alu instid0(VALU_DEP_1) | instskip(NEXT) | instid1(VALU_DEP_1)
	v_mul_f64 v[26:27], v[28:29], v[2:3]
	v_fma_f64 v[0:1], -v[0:1], v[26:27], v[28:29]
	s_delay_alu instid0(VALU_DEP_1) | instskip(NEXT) | instid1(VALU_DEP_1)
	v_div_fmas_f64 v[0:1], v[0:1], v[2:3], v[26:27]
	v_div_fixup_f64 v[0:1], v[0:1], v[22:23], v[24:25]
	s_delay_alu instid0(VALU_DEP_1) | instskip(NEXT) | instid1(VALU_DEP_1)
	v_fma_f64 v[2:3], v[24:25], v[0:1], v[22:23]
	v_div_scale_f64 v[22:23], null, v[2:3], v[2:3], 1.0
	v_div_scale_f64 v[28:29], vcc_lo, 1.0, v[2:3], 1.0
	s_delay_alu instid0(VALU_DEP_2) | instskip(SKIP_2) | instid1(VALU_DEP_1)
	v_rcp_f64_e32 v[24:25], v[22:23]
	s_waitcnt_depctr 0xfff
	v_fma_f64 v[26:27], -v[22:23], v[24:25], 1.0
	v_fma_f64 v[24:25], v[24:25], v[26:27], v[24:25]
	s_delay_alu instid0(VALU_DEP_1) | instskip(NEXT) | instid1(VALU_DEP_1)
	v_fma_f64 v[26:27], -v[22:23], v[24:25], 1.0
	v_fma_f64 v[24:25], v[24:25], v[26:27], v[24:25]
	s_delay_alu instid0(VALU_DEP_1) | instskip(NEXT) | instid1(VALU_DEP_1)
	v_mul_f64 v[26:27], v[28:29], v[24:25]
	v_fma_f64 v[22:23], -v[22:23], v[26:27], v[28:29]
	s_delay_alu instid0(VALU_DEP_1) | instskip(SKIP_1) | instid1(VALU_DEP_2)
	v_div_fmas_f64 v[22:23], v[22:23], v[24:25], v[26:27]
	v_fma_f64 v[24:25], s[12:13], v[0:1], s[14:15]
	v_div_fixup_f64 v[2:3], v[22:23], v[2:3], 1.0
	v_fma_f64 v[22:23], s[14:15], v[0:1], -s[12:13]
	s_delay_alu instid0(VALU_DEP_2) | instskip(NEXT) | instid1(VALU_DEP_2)
	v_mul_f64 v[0:1], v[24:25], v[2:3]
	v_mul_f64 v[2:3], v[22:23], v[2:3]
	s_branch .LBB254_232
.LBB254_441:
	s_nop 0
	s_sendmsg sendmsg(MSG_DEALLOC_VGPRS)
	s_endpgm
	.section	.rodata,"a",@progbits
	.p2align	6, 0x0
	.amdhsa_kernel _ZN2at6native12_GLOBAL__N_125multi_tensor_apply_kernelINS1_18TensorListMetadataILi1EEENS1_14UnaryOpFunctorIN3c107complexIdEELi1ELi1ELi0EEEJNS0_7SigmoidIS8_EEEEEvT_T0_DpT1_
		.amdhsa_group_segment_fixed_size 0
		.amdhsa_private_segment_fixed_size 0
		.amdhsa_kernarg_size 3648
		.amdhsa_user_sgpr_count 15
		.amdhsa_user_sgpr_dispatch_ptr 0
		.amdhsa_user_sgpr_queue_ptr 0
		.amdhsa_user_sgpr_kernarg_segment_ptr 1
		.amdhsa_user_sgpr_dispatch_id 0
		.amdhsa_user_sgpr_private_segment_size 0
		.amdhsa_wavefront_size32 1
		.amdhsa_uses_dynamic_stack 0
		.amdhsa_enable_private_segment 0
		.amdhsa_system_sgpr_workgroup_id_x 1
		.amdhsa_system_sgpr_workgroup_id_y 0
		.amdhsa_system_sgpr_workgroup_id_z 0
		.amdhsa_system_sgpr_workgroup_info 0
		.amdhsa_system_vgpr_workitem_id 0
		.amdhsa_next_free_vgpr 81
		.amdhsa_next_free_sgpr 102
		.amdhsa_reserve_vcc 1
		.amdhsa_float_round_mode_32 0
		.amdhsa_float_round_mode_16_64 0
		.amdhsa_float_denorm_mode_32 3
		.amdhsa_float_denorm_mode_16_64 3
		.amdhsa_dx10_clamp 1
		.amdhsa_ieee_mode 1
		.amdhsa_fp16_overflow 0
		.amdhsa_workgroup_processor_mode 1
		.amdhsa_memory_ordered 1
		.amdhsa_forward_progress 0
		.amdhsa_shared_vgpr_count 0
		.amdhsa_exception_fp_ieee_invalid_op 0
		.amdhsa_exception_fp_denorm_src 0
		.amdhsa_exception_fp_ieee_div_zero 0
		.amdhsa_exception_fp_ieee_overflow 0
		.amdhsa_exception_fp_ieee_underflow 0
		.amdhsa_exception_fp_ieee_inexact 0
		.amdhsa_exception_int_div_zero 0
	.end_amdhsa_kernel
	.section	.text._ZN2at6native12_GLOBAL__N_125multi_tensor_apply_kernelINS1_18TensorListMetadataILi1EEENS1_14UnaryOpFunctorIN3c107complexIdEELi1ELi1ELi0EEEJNS0_7SigmoidIS8_EEEEEvT_T0_DpT1_,"axG",@progbits,_ZN2at6native12_GLOBAL__N_125multi_tensor_apply_kernelINS1_18TensorListMetadataILi1EEENS1_14UnaryOpFunctorIN3c107complexIdEELi1ELi1ELi0EEEJNS0_7SigmoidIS8_EEEEEvT_T0_DpT1_,comdat
.Lfunc_end254:
	.size	_ZN2at6native12_GLOBAL__N_125multi_tensor_apply_kernelINS1_18TensorListMetadataILi1EEENS1_14UnaryOpFunctorIN3c107complexIdEELi1ELi1ELi0EEEJNS0_7SigmoidIS8_EEEEEvT_T0_DpT1_, .Lfunc_end254-_ZN2at6native12_GLOBAL__N_125multi_tensor_apply_kernelINS1_18TensorListMetadataILi1EEENS1_14UnaryOpFunctorIN3c107complexIdEELi1ELi1ELi0EEEJNS0_7SigmoidIS8_EEEEEvT_T0_DpT1_
                                        ; -- End function
	.section	.AMDGPU.csdata,"",@progbits
; Kernel info:
; codeLenInByte = 73708
; NumSgprs: 104
; NumVgprs: 81
; ScratchSize: 0
; MemoryBound: 1
; FloatMode: 240
; IeeeMode: 1
; LDSByteSize: 0 bytes/workgroup (compile time only)
; SGPRBlocks: 12
; VGPRBlocks: 10
; NumSGPRsForWavesPerEU: 104
; NumVGPRsForWavesPerEU: 81
; Occupancy: 16
; WaveLimiterHint : 0
; COMPUTE_PGM_RSRC2:SCRATCH_EN: 0
; COMPUTE_PGM_RSRC2:USER_SGPR: 15
; COMPUTE_PGM_RSRC2:TRAP_HANDLER: 0
; COMPUTE_PGM_RSRC2:TGID_X_EN: 1
; COMPUTE_PGM_RSRC2:TGID_Y_EN: 0
; COMPUTE_PGM_RSRC2:TGID_Z_EN: 0
; COMPUTE_PGM_RSRC2:TIDIG_COMP_CNT: 0
	.section	.text._ZN2at6native12_GLOBAL__N_125multi_tensor_apply_kernelINS1_18TensorListMetadataILi1EEENS1_14UnaryOpFunctorIN3c107complexIfEELi1ELi1ELi0EEEJNS0_7SigmoidIS8_EEEEEvT_T0_DpT1_,"axG",@progbits,_ZN2at6native12_GLOBAL__N_125multi_tensor_apply_kernelINS1_18TensorListMetadataILi1EEENS1_14UnaryOpFunctorIN3c107complexIfEELi1ELi1ELi0EEEJNS0_7SigmoidIS8_EEEEEvT_T0_DpT1_,comdat
	.globl	_ZN2at6native12_GLOBAL__N_125multi_tensor_apply_kernelINS1_18TensorListMetadataILi1EEENS1_14UnaryOpFunctorIN3c107complexIfEELi1ELi1ELi0EEEJNS0_7SigmoidIS8_EEEEEvT_T0_DpT1_ ; -- Begin function _ZN2at6native12_GLOBAL__N_125multi_tensor_apply_kernelINS1_18TensorListMetadataILi1EEENS1_14UnaryOpFunctorIN3c107complexIfEELi1ELi1ELi0EEEJNS0_7SigmoidIS8_EEEEEvT_T0_DpT1_
	.p2align	8
	.type	_ZN2at6native12_GLOBAL__N_125multi_tensor_apply_kernelINS1_18TensorListMetadataILi1EEENS1_14UnaryOpFunctorIN3c107complexIfEELi1ELi1ELi0EEEJNS0_7SigmoidIS8_EEEEEvT_T0_DpT1_,@function
_ZN2at6native12_GLOBAL__N_125multi_tensor_apply_kernelINS1_18TensorListMetadataILi1EEENS1_14UnaryOpFunctorIN3c107complexIfEELi1ELi1ELi0EEEJNS0_7SigmoidIS8_EEEEEvT_T0_DpT1_: ; @_ZN2at6native12_GLOBAL__N_125multi_tensor_apply_kernelINS1_18TensorListMetadataILi1EEENS1_14UnaryOpFunctorIN3c107complexIfEELi1ELi1ELi0EEEJNS0_7SigmoidIS8_EEEEEvT_T0_DpT1_
; %bb.0:
	v_mov_b32_e32 v1, s15
	s_add_u32 s2, s0, s15
	s_mul_hi_u32 s3, s15, 3
	s_mul_i32 s15, s15, 3
	s_addc_u32 s4, s1, 0
	global_load_u8 v1, v1, s[0:1] offset:1760
	s_add_u32 s2, s2, s15
	s_addc_u32 s3, s4, s3
	s_mov_b32 s7, 0
	s_load_b32 s2, s[2:3], 0x820
	s_waitcnt vmcnt(0)
	v_readfirstlane_b32 s5, v1
	s_delay_alu instid0(VALU_DEP_1)
	s_lshl_b32 s3, s5, 3
	s_clause 0x2
	s_load_b64 s[14:15], s[0:1], s3 offset:0x0
	s_load_b64 s[4:5], s[0:1], s3 offset:0x370
	s_load_b64 s[10:11], s[0:1], 0xd30
	s_waitcnt lgkmcnt(0)
	s_ashr_i32 s3, s2, 31
	s_delay_alu instid0(SALU_CYCLE_1) | instskip(NEXT) | instid1(SALU_CYCLE_1)
	s_lshl_b64 s[16:17], s[2:3], 19
	s_add_u32 s9, s14, s16
	s_addc_u32 s22, s15, s17
	s_lshl_b64 s[2:3], s[2:3], 16
	s_and_b32 s6, s9, 31
	s_sub_u32 s12, s4, s2
	s_subb_u32 s13, s5, s3
	s_and_b32 s2, s4, 3
	s_mov_b32 s3, s7
	s_delay_alu instid0(SALU_CYCLE_1) | instskip(NEXT) | instid1(SALU_CYCLE_1)
	s_or_b64 s[2:3], s[6:7], s[2:3]
	s_cmp_eq_u64 s[2:3], 0
	s_cbranch_scc1 .LBB255_229
; %bb.1:
	v_cmp_lt_i64_e64 s2, s[12:13], 1
	s_delay_alu instid0(VALU_DEP_1)
	s_and_b32 vcc_lo, exec_lo, s2
	s_cbranch_vccnz .LBB255_228
; %bb.2:
	s_load_b32 s2, s[0:1], 0xd44
	v_dual_mov_b32 v2, 0 :: v_dual_lshlrev_b32 v3, 3, v0
	v_cmp_gt_u64_e64 s3, 0x10000, s[12:13]
	s_mov_b64 s[20:21], 0
	s_mov_b32 s25, 0x7fffff
	s_mov_b32 s26, 0xb94c1982
	;; [unrolled: 1-line block ×4, first 2 shown]
	s_waitcnt lgkmcnt(0)
	s_and_b32 s2, s2, 0xffff
	s_and_b32 s3, s3, exec_lo
	v_add_co_u32 v15, s5, v0, s2
	v_mov_b32_e32 v4, v2
	s_cselect_b32 s19, s13, 0
	s_cselect_b32 s18, s12, 0x10000
	s_delay_alu instid0(VALU_DEP_2)
	v_lshlrev_b32_e32 v19, 3, v15
	s_lshl_b32 s3, s2, 1
	v_mad_u64_u32 v[5:6], null, s2, 24, v[3:4]
	s_mul_i32 s4, s2, 3
	s_lshl_b32 s23, s2, 2
	s_lshl_b32 s24, s2, 5
	;; [unrolled: 1-line block ×3, first 2 shown]
	v_add_co_u32 v4, s4, s4, v0
	v_add_co_u32 v1, s2, s2, v3
	s_delay_alu instid0(VALU_DEP_1)
	v_add_co_ci_u32_e64 v18, null, 0, 0, s2
	v_add_co_u32 v21, s2, s3, v0
	v_add_co_ci_u32_e64 v16, null, 0, 0, s5
	v_add_co_ci_u32_e64 v17, null, 0, 0, s4
	v_or_b32_e32 v20, 4, v1
	v_or_b32_e32 v5, 4, v5
	v_add_co_ci_u32_e64 v22, null, 0, 0, s2
	s_branch .LBB255_4
.LBB255_3:                              ;   in Loop: Header=BB255_4 Depth=1
	s_or_b32 exec_lo, exec_lo, s2
	s_add_u32 s20, s20, s23
	s_addc_u32 s21, s21, 0
	s_delay_alu instid0(SALU_CYCLE_1) | instskip(SKIP_1) | instid1(VALU_DEP_1)
	v_cmp_ge_i64_e64 s2, s[20:21], s[12:13]
	v_cmp_lt_u64_e64 s3, 0xffff, s[20:21]
	s_or_b32 s2, s2, s3
	s_add_u32 s9, s9, s24
	s_addc_u32 s22, s22, 0
	s_and_b32 vcc_lo, exec_lo, s2
	s_cbranch_vccnz .LBB255_228
.LBB255_4:                              ; =>This Inner Loop Header: Depth=1
	v_add_co_u32 v7, s2, v0, s20
	s_delay_alu instid0(VALU_DEP_1) | instskip(SKIP_1) | instid1(VALU_DEP_2)
	v_add_co_ci_u32_e64 v8, null, 0, s21, s2
	v_dual_mov_b32 v10, 0 :: v_dual_mov_b32 v9, 0
	v_cmp_gt_u64_e64 s2, s[18:19], v[7:8]
	s_delay_alu instid0(VALU_DEP_1)
	s_and_saveexec_b32 s3, s2
	s_cbranch_execz .LBB255_6
; %bb.5:                                ;   in Loop: Header=BB255_4 Depth=1
	v_add_co_u32 v7, s4, s9, v3
	s_delay_alu instid0(VALU_DEP_1)
	v_add_co_ci_u32_e64 v8, null, s22, 0, s4
	global_load_b64 v[9:10], v[7:8], off
.LBB255_6:                              ;   in Loop: Header=BB255_4 Depth=1
	s_or_b32 exec_lo, exec_lo, s3
	v_add_co_u32 v7, vcc_lo, v15, s20
	v_add_co_ci_u32_e32 v8, vcc_lo, s21, v16, vcc_lo
	v_dual_mov_b32 v12, 0 :: v_dual_mov_b32 v13, 0
	v_mov_b32_e32 v14, 0
	s_delay_alu instid0(VALU_DEP_3) | instskip(NEXT) | instid1(VALU_DEP_1)
	v_cmp_gt_u64_e64 s3, s[18:19], v[7:8]
	s_and_saveexec_b32 s4, s3
	s_cbranch_execz .LBB255_8
; %bb.7:                                ;   in Loop: Header=BB255_4 Depth=1
	v_add_co_u32 v7, s5, s9, v19
	s_delay_alu instid0(VALU_DEP_1)
	v_add_co_ci_u32_e64 v8, null, s22, 0, s5
	global_load_b64 v[13:14], v[7:8], off
.LBB255_8:                              ;   in Loop: Header=BB255_4 Depth=1
	s_or_b32 exec_lo, exec_lo, s4
	v_add_co_u32 v7, vcc_lo, v21, s20
	v_add_co_ci_u32_e32 v8, vcc_lo, s21, v22, vcc_lo
	v_mov_b32_e32 v11, 0
	s_delay_alu instid0(VALU_DEP_2) | instskip(NEXT) | instid1(VALU_DEP_1)
	v_cmp_gt_u64_e64 s4, s[18:19], v[7:8]
	s_and_saveexec_b32 s5, s4
	s_cbranch_execz .LBB255_10
; %bb.9:                                ;   in Loop: Header=BB255_4 Depth=1
	v_add_co_u32 v7, vcc_lo, s9, v20
	v_add_co_ci_u32_e32 v8, vcc_lo, s22, v18, vcc_lo
	global_load_b64 v[11:12], v[7:8], off offset:-4
.LBB255_10:                             ;   in Loop: Header=BB255_4 Depth=1
	s_or_b32 exec_lo, exec_lo, s5
	v_add_co_u32 v7, vcc_lo, v4, s20
	v_add_co_ci_u32_e32 v8, vcc_lo, s21, v17, vcc_lo
	s_delay_alu instid0(VALU_DEP_1) | instskip(SKIP_1) | instid1(VALU_DEP_2)
	v_cmp_gt_u64_e64 s5, s[18:19], v[7:8]
	v_dual_mov_b32 v8, 0 :: v_dual_mov_b32 v7, 0
	s_and_saveexec_b32 s6, s5
	s_cbranch_execz .LBB255_12
; %bb.11:                               ;   in Loop: Header=BB255_4 Depth=1
	v_add_co_u32 v7, vcc_lo, s9, v5
	v_add_co_ci_u32_e32 v8, vcc_lo, s22, v6, vcc_lo
	global_load_b64 v[7:8], v[7:8], off offset:-4
.LBB255_12:                             ;   in Loop: Header=BB255_4 Depth=1
	s_or_b32 exec_lo, exec_lo, s6
	s_waitcnt vmcnt(0)
	v_and_b32_e32 v24, 0x7fffffff, v10
	v_xor_b32_e32 v23, 0x80000000, v10
                                        ; implicit-def: $vgpr1
	s_mov_b32 s6, exec_lo
	s_delay_alu instid0(VALU_DEP_2)
	v_cmpx_ne_u32_e32 0, v24
	s_xor_b32 s29, exec_lo, s6
	s_cbranch_execz .LBB255_54
; %bb.13:                               ;   in Loop: Header=BB255_4 Depth=1
	v_and_b32_e32 v26, 0x7fffffff, v9
                                        ; implicit-def: $vgpr1
	s_mov_b32 s6, exec_lo
	s_delay_alu instid0(VALU_DEP_1)
	v_cmpx_ne_u32_e32 0, v26
	s_xor_b32 s30, exec_lo, s6
	s_cbranch_execz .LBB255_43
; %bb.14:                               ;   in Loop: Header=BB255_4 Depth=1
	v_xor_b32_e32 v25, 0x80000000, v9
                                        ; implicit-def: $vgpr1
	s_mov_b32 s6, exec_lo
	v_cmpx_gt_u32_e32 0x7f800000, v24
	s_xor_b32 s31, exec_lo, s6
	s_cbranch_execz .LBB255_36
; %bb.15:                               ;   in Loop: Header=BB255_4 Depth=1
	v_add_nc_u32_e32 v1, 0xbd4e8de8, v25
	s_delay_alu instid0(VALU_DEP_1) | instskip(SKIP_1) | instid1(SALU_CYCLE_1)
	v_cmp_lt_u32_e32 vcc_lo, 0x8e8e5c, v1
                                        ; implicit-def: $vgpr1
	s_and_saveexec_b32 s6, vcc_lo
	s_xor_b32 s33, exec_lo, s6
	s_cbranch_execz .LBB255_25
; %bb.16:                               ;   in Loop: Header=BB255_4 Depth=1
	v_cmp_ngt_f32_e64 s34, 0x48000000, |v10|
                                        ; implicit-def: $vgpr26
                                        ; implicit-def: $vgpr25
	s_delay_alu instid0(VALU_DEP_1) | instskip(NEXT) | instid1(SALU_CYCLE_1)
	s_and_saveexec_b32 s6, s34
	s_xor_b32 s35, exec_lo, s6
	s_cbranch_execz .LBB255_18
; %bb.17:                               ;   in Loop: Header=BB255_4 Depth=1
	v_lshrrev_b32_e32 v30, 23, v24
	v_and_or_b32 v33, v24, s25, 0x800000
	s_delay_alu instid0(VALU_DEP_2) | instskip(NEXT) | instid1(VALU_DEP_2)
	v_add_nc_u32_e32 v31, 0xffffff88, v30
	v_mad_u64_u32 v[25:26], null, 0xfe5163ab, v33, 0
	s_delay_alu instid0(VALU_DEP_2) | instskip(SKIP_1) | instid1(VALU_DEP_1)
	v_cmp_lt_u32_e32 vcc_lo, 63, v31
	v_cndmask_b32_e64 v32, 0, 0xffffffc0, vcc_lo
	v_dual_mov_b32 v1, v26 :: v_dual_add_nc_u32 v32, v32, v31
	s_delay_alu instid0(VALU_DEP_1) | instskip(NEXT) | instid1(VALU_DEP_2)
	v_mad_u64_u32 v[26:27], null, 0x3c439041, v33, v[1:2]
	v_cmp_lt_u32_e64 s6, 31, v32
	s_delay_alu instid0(VALU_DEP_1) | instskip(NEXT) | instid1(VALU_DEP_1)
	v_cndmask_b32_e64 v34, 0, 0xffffffe0, s6
	v_dual_mov_b32 v1, v27 :: v_dual_add_nc_u32 v34, v34, v32
	s_delay_alu instid0(VALU_DEP_1) | instskip(NEXT) | instid1(VALU_DEP_2)
	v_mad_u64_u32 v[27:28], null, 0xdb629599, v33, v[1:2]
	v_cmp_lt_u32_e64 s7, 31, v34
	s_delay_alu instid0(VALU_DEP_2) | instskip(NEXT) | instid1(VALU_DEP_3)
	v_mov_b32_e32 v1, v28
	v_cndmask_b32_e32 v25, v27, v25, vcc_lo
	s_delay_alu instid0(VALU_DEP_2) | instskip(NEXT) | instid1(VALU_DEP_1)
	v_mad_u64_u32 v[28:29], null, 0xf534ddc0, v33, v[1:2]
	v_dual_mov_b32 v1, v29 :: v_dual_cndmask_b32 v26, v28, v26
	s_delay_alu instid0(VALU_DEP_1) | instskip(NEXT) | instid1(VALU_DEP_2)
	v_mad_u64_u32 v[29:30], null, 0xfc2757d1, v33, v[1:2]
	v_cndmask_b32_e64 v25, v26, v25, s6
	s_delay_alu instid0(VALU_DEP_2) | instskip(NEXT) | instid1(VALU_DEP_1)
	v_mov_b32_e32 v1, v30
	v_mad_u64_u32 v[30:31], null, 0x4e441529, v33, v[1:2]
	s_delay_alu instid0(VALU_DEP_1) | instskip(NEXT) | instid1(VALU_DEP_1)
	v_mov_b32_e32 v1, v31
	v_mad_u64_u32 v[31:32], null, 0xa2f9836e, v33, v[1:2]
	v_cndmask_b32_e64 v1, 0, 0xffffffe0, s7
	s_delay_alu instid0(VALU_DEP_4) | instskip(NEXT) | instid1(VALU_DEP_2)
	v_cndmask_b32_e32 v33, v30, v28, vcc_lo
	v_add_nc_u32_e32 v1, v1, v34
	s_delay_alu instid0(VALU_DEP_4) | instskip(SKIP_1) | instid1(VALU_DEP_3)
	v_dual_cndmask_b32 v31, v31, v29 :: v_dual_cndmask_b32 v30, v32, v30
	v_cndmask_b32_e32 v29, v29, v27, vcc_lo
	v_sub_nc_u32_e32 v32, 32, v1
	s_delay_alu instid0(VALU_DEP_3) | instskip(NEXT) | instid1(VALU_DEP_4)
	v_cndmask_b32_e64 v28, v31, v33, s6
	v_cndmask_b32_e64 v30, v30, v31, s6
	s_delay_alu instid0(VALU_DEP_4) | instskip(SKIP_2) | instid1(VALU_DEP_4)
	v_cndmask_b32_e64 v31, v33, v29, s6
	v_cndmask_b32_e64 v29, v29, v26, s6
	v_cmp_eq_u32_e64 s8, 0, v1
	v_cndmask_b32_e64 v30, v30, v28, s7
	s_delay_alu instid0(VALU_DEP_4) | instskip(NEXT) | instid1(VALU_DEP_4)
	v_cndmask_b32_e64 v28, v28, v31, s7
	v_cndmask_b32_e64 v31, v31, v29, s7
	;; [unrolled: 1-line block ×3, first 2 shown]
	s_delay_alu instid0(VALU_DEP_3) | instskip(NEXT) | instid1(VALU_DEP_3)
	v_alignbit_b32 v33, v30, v28, v32
	v_alignbit_b32 v34, v28, v31, v32
	s_delay_alu instid0(VALU_DEP_3) | instskip(NEXT) | instid1(VALU_DEP_3)
	v_alignbit_b32 v32, v31, v25, v32
	v_cndmask_b32_e64 v1, v33, v30, s8
	s_delay_alu instid0(VALU_DEP_3) | instskip(NEXT) | instid1(VALU_DEP_3)
	v_cndmask_b32_e64 v27, v34, v28, s8
	v_cndmask_b32_e64 v31, v32, v31, s8
	s_delay_alu instid0(VALU_DEP_3) | instskip(NEXT) | instid1(VALU_DEP_3)
	v_bfe_u32 v28, v1, 29, 1
	v_alignbit_b32 v26, v1, v27, 30
	s_delay_alu instid0(VALU_DEP_3) | instskip(SKIP_1) | instid1(VALU_DEP_4)
	v_alignbit_b32 v27, v27, v31, 30
	v_alignbit_b32 v25, v31, v25, 30
	v_sub_nc_u32_e32 v30, 0, v28
	s_delay_alu instid0(VALU_DEP_1) | instskip(SKIP_3) | instid1(VALU_DEP_4)
	v_xor_b32_e32 v29, v26, v30
	v_cmp_ne_u32_e32 vcc_lo, v26, v30
	v_xor_b32_e32 v27, v27, v30
	v_xor_b32_e32 v25, v25, v30
	v_clz_i32_u32_e32 v33, v29
	s_delay_alu instid0(VALU_DEP_1) | instskip(NEXT) | instid1(VALU_DEP_1)
	v_add_nc_u32_e32 v32, 1, v33
	v_cndmask_b32_e32 v26, 33, v32, vcc_lo
	s_delay_alu instid0(VALU_DEP_1) | instskip(NEXT) | instid1(VALU_DEP_1)
	v_sub_nc_u32_e32 v31, 32, v26
	v_alignbit_b32 v29, v29, v27, v31
	v_alignbit_b32 v25, v27, v25, v31
	v_lshrrev_b32_e32 v27, 29, v1
	v_lshrrev_b32_e32 v1, 30, v1
	s_delay_alu instid0(VALU_DEP_3) | instskip(NEXT) | instid1(VALU_DEP_3)
	v_alignbit_b32 v30, v29, v25, 9
	v_lshlrev_b32_e32 v27, 31, v27
	v_alignbit_b32 v29, v26, v29, 9
	s_delay_alu instid0(VALU_DEP_3) | instskip(NEXT) | instid1(VALU_DEP_2)
	v_clz_i32_u32_e32 v31, v30
	v_or_b32_e32 v29, v29, v27
	v_or_b32_e32 v27, 0x33800000, v27
	s_delay_alu instid0(VALU_DEP_3) | instskip(NEXT) | instid1(VALU_DEP_3)
	v_min_u32_e32 v31, 32, v31
	v_xor_b32_e32 v29, 1.0, v29
	s_delay_alu instid0(VALU_DEP_2) | instskip(SKIP_1) | instid1(VALU_DEP_3)
	v_sub_nc_u32_e32 v32, 31, v31
	v_add_lshl_u32 v26, v31, v26, 23
	v_mul_f32_e32 v31, 0x3fc90fda, v29
	s_delay_alu instid0(VALU_DEP_3) | instskip(NEXT) | instid1(VALU_DEP_3)
	v_alignbit_b32 v25, v30, v25, v32
	v_sub_nc_u32_e32 v26, v27, v26
	s_delay_alu instid0(VALU_DEP_3) | instskip(NEXT) | instid1(VALU_DEP_3)
	v_fma_f32 v27, 0x3fc90fda, v29, -v31
	v_lshrrev_b32_e32 v25, 9, v25
	s_delay_alu instid0(VALU_DEP_2) | instskip(NEXT) | instid1(VALU_DEP_2)
	v_fmac_f32_e32 v27, 0x33a22168, v29
	v_or_b32_e32 v25, v26, v25
	v_add_nc_u32_e32 v26, v28, v1
	s_delay_alu instid0(VALU_DEP_2) | instskip(NEXT) | instid1(VALU_DEP_1)
	v_fmac_f32_e32 v27, 0x3fc90fda, v25
	v_add_f32_e32 v25, v31, v27
	s_and_not1_saveexec_b32 s6, s35
	s_branch .LBB255_19
.LBB255_18:                             ;   in Loop: Header=BB255_4 Depth=1
	s_and_not1_saveexec_b32 s6, s35
.LBB255_19:                             ;   in Loop: Header=BB255_4 Depth=1
	v_mul_f32_e64 v1, 0x3f22f983, |v10|
	s_delay_alu instid0(VALU_DEP_1) | instskip(NEXT) | instid1(VALU_DEP_1)
	v_rndne_f32_e32 v1, v1
	v_fma_f32 v25, 0xbfc90fda, v1, |v10|
	v_cvt_i32_f32_e32 v26, v1
	s_delay_alu instid0(VALU_DEP_2) | instskip(NEXT) | instid1(VALU_DEP_1)
	v_fmac_f32_e32 v25, 0xb3a22168, v1
	v_fmac_f32_e32 v25, 0xa7c234c4, v1
; %bb.20:                               ;   in Loop: Header=BB255_4 Depth=1
	s_or_b32 exec_lo, exec_lo, s6
                                        ; implicit-def: $vgpr27
                                        ; implicit-def: $vgpr1
	s_and_saveexec_b32 s6, s34
	s_delay_alu instid0(SALU_CYCLE_1)
	s_xor_b32 s34, exec_lo, s6
	s_cbranch_execz .LBB255_22
; %bb.21:                               ;   in Loop: Header=BB255_4 Depth=1
	v_lshrrev_b32_e32 v32, 23, v24
	v_and_or_b32 v35, v24, s25, 0x800000
	s_delay_alu instid0(VALU_DEP_2) | instskip(NEXT) | instid1(VALU_DEP_2)
	v_add_nc_u32_e32 v33, 0xffffff88, v32
	v_mad_u64_u32 v[27:28], null, 0xfe5163ab, v35, 0
	s_delay_alu instid0(VALU_DEP_2) | instskip(SKIP_1) | instid1(VALU_DEP_1)
	v_cmp_lt_u32_e32 vcc_lo, 63, v33
	v_cndmask_b32_e64 v34, 0, 0xffffffc0, vcc_lo
	v_dual_mov_b32 v1, v28 :: v_dual_add_nc_u32 v34, v34, v33
	s_delay_alu instid0(VALU_DEP_1) | instskip(NEXT) | instid1(VALU_DEP_2)
	v_mad_u64_u32 v[28:29], null, 0x3c439041, v35, v[1:2]
	v_cmp_lt_u32_e64 s6, 31, v34
	s_delay_alu instid0(VALU_DEP_1) | instskip(NEXT) | instid1(VALU_DEP_1)
	v_cndmask_b32_e64 v36, 0, 0xffffffe0, s6
	v_dual_mov_b32 v1, v29 :: v_dual_add_nc_u32 v36, v36, v34
	s_delay_alu instid0(VALU_DEP_1) | instskip(NEXT) | instid1(VALU_DEP_2)
	v_mad_u64_u32 v[29:30], null, 0xdb629599, v35, v[1:2]
	v_cmp_lt_u32_e64 s7, 31, v36
	s_delay_alu instid0(VALU_DEP_2) | instskip(NEXT) | instid1(VALU_DEP_3)
	v_mov_b32_e32 v1, v30
	v_cndmask_b32_e32 v27, v29, v27, vcc_lo
	s_delay_alu instid0(VALU_DEP_2) | instskip(NEXT) | instid1(VALU_DEP_1)
	v_mad_u64_u32 v[30:31], null, 0xf534ddc0, v35, v[1:2]
	v_dual_mov_b32 v1, v31 :: v_dual_cndmask_b32 v28, v30, v28
	s_delay_alu instid0(VALU_DEP_1) | instskip(NEXT) | instid1(VALU_DEP_2)
	v_mad_u64_u32 v[31:32], null, 0xfc2757d1, v35, v[1:2]
	v_cndmask_b32_e64 v27, v28, v27, s6
	s_delay_alu instid0(VALU_DEP_2) | instskip(NEXT) | instid1(VALU_DEP_1)
	v_mov_b32_e32 v1, v32
	v_mad_u64_u32 v[32:33], null, 0x4e441529, v35, v[1:2]
	s_delay_alu instid0(VALU_DEP_1) | instskip(NEXT) | instid1(VALU_DEP_1)
	v_mov_b32_e32 v1, v33
	v_mad_u64_u32 v[33:34], null, 0xa2f9836e, v35, v[1:2]
	v_cndmask_b32_e64 v1, 0, 0xffffffe0, s7
	s_delay_alu instid0(VALU_DEP_4) | instskip(NEXT) | instid1(VALU_DEP_2)
	v_cndmask_b32_e32 v35, v32, v30, vcc_lo
	v_add_nc_u32_e32 v1, v1, v36
	s_delay_alu instid0(VALU_DEP_4) | instskip(SKIP_1) | instid1(VALU_DEP_3)
	v_dual_cndmask_b32 v33, v33, v31 :: v_dual_cndmask_b32 v32, v34, v32
	v_cndmask_b32_e32 v31, v31, v29, vcc_lo
	v_sub_nc_u32_e32 v34, 32, v1
	s_delay_alu instid0(VALU_DEP_3) | instskip(NEXT) | instid1(VALU_DEP_4)
	v_cndmask_b32_e64 v30, v33, v35, s6
	v_cndmask_b32_e64 v32, v32, v33, s6
	s_delay_alu instid0(VALU_DEP_4) | instskip(SKIP_2) | instid1(VALU_DEP_4)
	v_cndmask_b32_e64 v33, v35, v31, s6
	v_cndmask_b32_e64 v31, v31, v28, s6
	v_cmp_eq_u32_e64 s8, 0, v1
	v_cndmask_b32_e64 v32, v32, v30, s7
	s_delay_alu instid0(VALU_DEP_4) | instskip(NEXT) | instid1(VALU_DEP_4)
	v_cndmask_b32_e64 v30, v30, v33, s7
	v_cndmask_b32_e64 v33, v33, v31, s7
	;; [unrolled: 1-line block ×3, first 2 shown]
	s_delay_alu instid0(VALU_DEP_3) | instskip(NEXT) | instid1(VALU_DEP_3)
	v_alignbit_b32 v35, v32, v30, v34
	v_alignbit_b32 v36, v30, v33, v34
	s_delay_alu instid0(VALU_DEP_3) | instskip(NEXT) | instid1(VALU_DEP_3)
	v_alignbit_b32 v34, v33, v27, v34
	v_cndmask_b32_e64 v1, v35, v32, s8
	s_delay_alu instid0(VALU_DEP_3) | instskip(NEXT) | instid1(VALU_DEP_3)
	v_cndmask_b32_e64 v29, v36, v30, s8
	v_cndmask_b32_e64 v33, v34, v33, s8
	s_delay_alu instid0(VALU_DEP_3) | instskip(NEXT) | instid1(VALU_DEP_3)
	v_bfe_u32 v30, v1, 29, 1
	v_alignbit_b32 v28, v1, v29, 30
	s_delay_alu instid0(VALU_DEP_3) | instskip(SKIP_1) | instid1(VALU_DEP_4)
	v_alignbit_b32 v29, v29, v33, 30
	v_alignbit_b32 v27, v33, v27, 30
	v_sub_nc_u32_e32 v32, 0, v30
	s_delay_alu instid0(VALU_DEP_1) | instskip(SKIP_3) | instid1(VALU_DEP_4)
	v_xor_b32_e32 v31, v28, v32
	v_cmp_ne_u32_e32 vcc_lo, v28, v32
	v_xor_b32_e32 v29, v29, v32
	v_xor_b32_e32 v27, v27, v32
	v_clz_i32_u32_e32 v35, v31
	s_delay_alu instid0(VALU_DEP_1) | instskip(NEXT) | instid1(VALU_DEP_1)
	v_add_nc_u32_e32 v34, 1, v35
	v_cndmask_b32_e32 v28, 33, v34, vcc_lo
	s_delay_alu instid0(VALU_DEP_1) | instskip(NEXT) | instid1(VALU_DEP_1)
	v_sub_nc_u32_e32 v33, 32, v28
	v_alignbit_b32 v31, v31, v29, v33
	v_alignbit_b32 v27, v29, v27, v33
	v_lshrrev_b32_e32 v29, 29, v1
	s_delay_alu instid0(VALU_DEP_2) | instskip(NEXT) | instid1(VALU_DEP_2)
	v_alignbit_b32 v32, v31, v27, 9
	v_lshlrev_b32_e32 v29, 31, v29
	v_alignbit_b32 v31, v28, v31, 9
	s_delay_alu instid0(VALU_DEP_3) | instskip(NEXT) | instid1(VALU_DEP_2)
	v_clz_i32_u32_e32 v33, v32
	v_or_b32_e32 v31, v31, v29
	v_or_b32_e32 v29, 0x33800000, v29
	s_delay_alu instid0(VALU_DEP_3) | instskip(NEXT) | instid1(VALU_DEP_3)
	v_min_u32_e32 v33, 32, v33
	v_xor_b32_e32 v31, 1.0, v31
	s_delay_alu instid0(VALU_DEP_2) | instskip(SKIP_1) | instid1(VALU_DEP_3)
	v_sub_nc_u32_e32 v34, 31, v33
	v_add_lshl_u32 v28, v33, v28, 23
	v_mul_f32_e32 v33, 0x3fc90fda, v31
	s_delay_alu instid0(VALU_DEP_3) | instskip(NEXT) | instid1(VALU_DEP_3)
	v_alignbit_b32 v27, v32, v27, v34
	v_sub_nc_u32_e32 v28, v29, v28
	s_delay_alu instid0(VALU_DEP_3) | instskip(NEXT) | instid1(VALU_DEP_3)
	v_fma_f32 v29, 0x3fc90fda, v31, -v33
	v_lshrrev_b32_e32 v27, 9, v27
	s_delay_alu instid0(VALU_DEP_2) | instskip(NEXT) | instid1(VALU_DEP_2)
	v_fmac_f32_e32 v29, 0x33a22168, v31
	v_or_b32_e32 v27, v28, v27
	s_delay_alu instid0(VALU_DEP_1) | instskip(SKIP_1) | instid1(VALU_DEP_2)
	v_fmac_f32_e32 v29, 0x3fc90fda, v27
	v_lshrrev_b32_e32 v27, 30, v1
	v_add_f32_e32 v1, v33, v29
	s_delay_alu instid0(VALU_DEP_2)
	v_add_nc_u32_e32 v27, v30, v27
	s_and_not1_saveexec_b32 s6, s34
	s_cbranch_execnz .LBB255_23
	s_branch .LBB255_24
.LBB255_22:                             ;   in Loop: Header=BB255_4 Depth=1
	s_and_not1_saveexec_b32 s6, s34
.LBB255_23:                             ;   in Loop: Header=BB255_4 Depth=1
	v_mul_f32_e64 v1, 0x3f22f983, |v10|
	s_delay_alu instid0(VALU_DEP_1) | instskip(NEXT) | instid1(VALU_DEP_1)
	v_rndne_f32_e32 v27, v1
	v_fma_f32 v1, 0xbfc90fda, v27, |v10|
	s_delay_alu instid0(VALU_DEP_1) | instskip(NEXT) | instid1(VALU_DEP_1)
	v_fmac_f32_e32 v1, 0xb3a22168, v27
	v_fmac_f32_e32 v1, 0xa7c234c4, v27
	v_cvt_i32_f32_e32 v27, v27
.LBB255_24:                             ;   in Loop: Header=BB255_4 Depth=1
	s_or_b32 exec_lo, exec_lo, s6
	v_mul_f32_e32 v28, 0xbfb8aa3b, v9
	v_dual_mul_f32 v29, v25, v25 :: v_dual_and_b32 v30, 1, v26
	s_delay_alu instid0(VALU_DEP_3) | instskip(SKIP_1) | instid1(VALU_DEP_4)
	v_and_b32_e32 v34, 1, v27
	v_lshlrev_b32_e32 v27, 30, v27
	v_rndne_f32_e32 v31, v28
	s_delay_alu instid0(VALU_DEP_4) | instskip(SKIP_2) | instid1(VALU_DEP_4)
	v_fmaak_f32 v35, s26, v29, 0x3c0881c4
	v_fma_f32 v32, 0xbfb8aa3b, v9, -v28
	v_dual_mul_f32 v33, v1, v1 :: v_dual_lshlrev_b32 v26, 30, v26
	v_sub_f32_e32 v28, v28, v31
	v_cmp_eq_u32_e32 vcc_lo, 0, v30
	s_delay_alu instid0(VALU_DEP_4)
	v_fmac_f32_e32 v32, 0xb2a5705f, v9
	v_cvt_i32_f32_e32 v31, v31
	v_fmaak_f32 v37, s26, v33, 0x3c0881c4
	v_fmaak_f32 v38, s27, v33, 0xbab64f3b
	v_and_or_b32 v24, 0x80000000, v27, v24
	v_add_f32_e32 v28, v28, v32
	v_fmaak_f32 v32, v29, v35, 0xbe2aaa9d
	v_cmp_ngt_f32_e64 s6, 0xc2b17218, v9
	s_delay_alu instid0(VALU_DEP_2) | instskip(NEXT) | instid1(VALU_DEP_1)
	v_mul_f32_e32 v32, v29, v32
	v_dual_fmaak_f32 v36, s27, v29, 0xbab64f3b :: v_dual_fmac_f32 v25, v25, v32
	s_delay_alu instid0(VALU_DEP_1) | instskip(SKIP_3) | instid1(VALU_DEP_3)
	v_fmaak_f32 v35, v29, v36, 0x3d2aabf7
	v_fmaak_f32 v36, v33, v37, 0xbe2aaa9d
	;; [unrolled: 1-line block ×3, first 2 shown]
	v_exp_f32_e32 v28, v28
	v_fmaak_f32 v35, v29, v35, 0xbf000004
	s_delay_alu instid0(VALU_DEP_2) | instskip(NEXT) | instid1(VALU_DEP_2)
	v_fmaak_f32 v37, v33, v37, 0xbf000004
	v_fma_f32 v29, v29, v35, 1.0
	s_delay_alu instid0(VALU_DEP_2)
	v_fma_f32 v32, v33, v37, 1.0
	s_waitcnt_depctr 0xfff
	v_ldexp_f32 v28, v28, v31
	v_cndmask_b32_e64 v25, -v25, v29, vcc_lo
	v_cmp_eq_u32_e32 vcc_lo, 0, v34
	v_mul_f32_e32 v36, v33, v36
	s_delay_alu instid0(VALU_DEP_1) | instskip(NEXT) | instid1(VALU_DEP_1)
	v_fmac_f32_e32 v1, v1, v36
	v_cndmask_b32_e32 v1, v32, v1, vcc_lo
	v_cmp_nlt_f32_e32 vcc_lo, 0x42ce8ed0, v9
	s_delay_alu instid0(VALU_DEP_2) | instskip(SKIP_2) | instid1(VALU_DEP_2)
	v_xor3_b32 v1, v24, v1, v23
	v_cndmask_b32_e32 v27, 0, v28, vcc_lo
	v_cmp_class_f32_e64 vcc_lo, v10, 0x1f8
                                        ; implicit-def: $vgpr24
	v_cndmask_b32_e64 v9, 0x7f800000, v27, s6
	s_delay_alu instid0(VALU_DEP_4) | instskip(NEXT) | instid1(VALU_DEP_1)
	v_cndmask_b32_e32 v23, 0x7fc00000, v1, vcc_lo
	v_dual_mul_f32 v23, v9, v23 :: v_dual_and_b32 v26, 0x80000000, v26
	s_delay_alu instid0(VALU_DEP_1) | instskip(NEXT) | instid1(VALU_DEP_1)
	v_xor_b32_e32 v25, v26, v25
	v_cndmask_b32_e32 v10, 0x7fc00000, v25, vcc_lo
	s_delay_alu instid0(VALU_DEP_1)
	v_mul_f32_e32 v1, v9, v10
                                        ; implicit-def: $vgpr10
.LBB255_25:                             ;   in Loop: Header=BB255_4 Depth=1
	s_and_not1_saveexec_b32 s33, s33
	s_cbranch_execz .LBB255_28
; %bb.26:                               ;   in Loop: Header=BB255_4 Depth=1
	v_cmp_ngt_f32_e64 s34, 0x48000000, |v10|
                                        ; implicit-def: $vgpr26
                                        ; implicit-def: $vgpr25
	s_delay_alu instid0(VALU_DEP_1) | instskip(NEXT) | instid1(SALU_CYCLE_1)
	s_and_saveexec_b32 s6, s34
	s_xor_b32 s35, exec_lo, s6
	s_cbranch_execz .LBB255_29
; %bb.27:                               ;   in Loop: Header=BB255_4 Depth=1
	v_lshrrev_b32_e32 v30, 23, v24
	v_and_or_b32 v33, v24, s25, 0x800000
	s_delay_alu instid0(VALU_DEP_2) | instskip(NEXT) | instid1(VALU_DEP_2)
	v_add_nc_u32_e32 v31, 0xffffff88, v30
	v_mad_u64_u32 v[25:26], null, 0xfe5163ab, v33, 0
	s_delay_alu instid0(VALU_DEP_2) | instskip(SKIP_1) | instid1(VALU_DEP_1)
	v_cmp_lt_u32_e32 vcc_lo, 63, v31
	v_cndmask_b32_e64 v32, 0, 0xffffffc0, vcc_lo
	v_dual_mov_b32 v1, v26 :: v_dual_add_nc_u32 v32, v32, v31
	s_delay_alu instid0(VALU_DEP_1) | instskip(NEXT) | instid1(VALU_DEP_2)
	v_mad_u64_u32 v[26:27], null, 0x3c439041, v33, v[1:2]
	v_cmp_lt_u32_e64 s6, 31, v32
	s_delay_alu instid0(VALU_DEP_1) | instskip(NEXT) | instid1(VALU_DEP_1)
	v_cndmask_b32_e64 v34, 0, 0xffffffe0, s6
	v_dual_mov_b32 v1, v27 :: v_dual_add_nc_u32 v34, v34, v32
	s_delay_alu instid0(VALU_DEP_1) | instskip(NEXT) | instid1(VALU_DEP_2)
	v_mad_u64_u32 v[27:28], null, 0xdb629599, v33, v[1:2]
	v_cmp_lt_u32_e64 s7, 31, v34
	s_delay_alu instid0(VALU_DEP_2) | instskip(NEXT) | instid1(VALU_DEP_3)
	v_mov_b32_e32 v1, v28
	v_cndmask_b32_e32 v25, v27, v25, vcc_lo
	s_delay_alu instid0(VALU_DEP_2) | instskip(NEXT) | instid1(VALU_DEP_1)
	v_mad_u64_u32 v[28:29], null, 0xf534ddc0, v33, v[1:2]
	v_dual_mov_b32 v1, v29 :: v_dual_cndmask_b32 v26, v28, v26
	s_delay_alu instid0(VALU_DEP_1) | instskip(NEXT) | instid1(VALU_DEP_2)
	v_mad_u64_u32 v[29:30], null, 0xfc2757d1, v33, v[1:2]
	v_cndmask_b32_e64 v25, v26, v25, s6
	s_delay_alu instid0(VALU_DEP_2) | instskip(NEXT) | instid1(VALU_DEP_1)
	v_mov_b32_e32 v1, v30
	v_mad_u64_u32 v[30:31], null, 0x4e441529, v33, v[1:2]
	s_delay_alu instid0(VALU_DEP_1) | instskip(NEXT) | instid1(VALU_DEP_1)
	v_mov_b32_e32 v1, v31
	v_mad_u64_u32 v[31:32], null, 0xa2f9836e, v33, v[1:2]
	v_cndmask_b32_e64 v1, 0, 0xffffffe0, s7
	s_delay_alu instid0(VALU_DEP_4) | instskip(NEXT) | instid1(VALU_DEP_2)
	v_cndmask_b32_e32 v33, v30, v28, vcc_lo
	v_add_nc_u32_e32 v1, v1, v34
	s_delay_alu instid0(VALU_DEP_4) | instskip(SKIP_1) | instid1(VALU_DEP_3)
	v_dual_cndmask_b32 v31, v31, v29 :: v_dual_cndmask_b32 v30, v32, v30
	v_cndmask_b32_e32 v29, v29, v27, vcc_lo
	v_sub_nc_u32_e32 v32, 32, v1
	s_delay_alu instid0(VALU_DEP_3) | instskip(NEXT) | instid1(VALU_DEP_4)
	v_cndmask_b32_e64 v28, v31, v33, s6
	v_cndmask_b32_e64 v30, v30, v31, s6
	s_delay_alu instid0(VALU_DEP_4) | instskip(SKIP_2) | instid1(VALU_DEP_4)
	v_cndmask_b32_e64 v31, v33, v29, s6
	v_cndmask_b32_e64 v29, v29, v26, s6
	v_cmp_eq_u32_e64 s8, 0, v1
	v_cndmask_b32_e64 v30, v30, v28, s7
	s_delay_alu instid0(VALU_DEP_4) | instskip(NEXT) | instid1(VALU_DEP_4)
	v_cndmask_b32_e64 v28, v28, v31, s7
	v_cndmask_b32_e64 v31, v31, v29, s7
	;; [unrolled: 1-line block ×3, first 2 shown]
	s_delay_alu instid0(VALU_DEP_3) | instskip(NEXT) | instid1(VALU_DEP_3)
	v_alignbit_b32 v33, v30, v28, v32
	v_alignbit_b32 v34, v28, v31, v32
	s_delay_alu instid0(VALU_DEP_3) | instskip(NEXT) | instid1(VALU_DEP_3)
	v_alignbit_b32 v32, v31, v25, v32
	v_cndmask_b32_e64 v1, v33, v30, s8
	s_delay_alu instid0(VALU_DEP_3) | instskip(NEXT) | instid1(VALU_DEP_3)
	v_cndmask_b32_e64 v27, v34, v28, s8
	v_cndmask_b32_e64 v31, v32, v31, s8
	s_delay_alu instid0(VALU_DEP_3) | instskip(NEXT) | instid1(VALU_DEP_3)
	v_bfe_u32 v28, v1, 29, 1
	v_alignbit_b32 v26, v1, v27, 30
	s_delay_alu instid0(VALU_DEP_3) | instskip(SKIP_1) | instid1(VALU_DEP_4)
	v_alignbit_b32 v27, v27, v31, 30
	v_alignbit_b32 v25, v31, v25, 30
	v_sub_nc_u32_e32 v30, 0, v28
	s_delay_alu instid0(VALU_DEP_1) | instskip(SKIP_3) | instid1(VALU_DEP_4)
	v_xor_b32_e32 v29, v26, v30
	v_cmp_ne_u32_e32 vcc_lo, v26, v30
	v_xor_b32_e32 v27, v27, v30
	v_xor_b32_e32 v25, v25, v30
	v_clz_i32_u32_e32 v33, v29
	s_delay_alu instid0(VALU_DEP_1) | instskip(NEXT) | instid1(VALU_DEP_1)
	v_add_nc_u32_e32 v32, 1, v33
	v_cndmask_b32_e32 v26, 33, v32, vcc_lo
	s_delay_alu instid0(VALU_DEP_1) | instskip(NEXT) | instid1(VALU_DEP_1)
	v_sub_nc_u32_e32 v31, 32, v26
	v_alignbit_b32 v29, v29, v27, v31
	v_alignbit_b32 v25, v27, v25, v31
	v_lshrrev_b32_e32 v27, 29, v1
	v_lshrrev_b32_e32 v1, 30, v1
	s_delay_alu instid0(VALU_DEP_3) | instskip(NEXT) | instid1(VALU_DEP_3)
	v_alignbit_b32 v30, v29, v25, 9
	v_lshlrev_b32_e32 v27, 31, v27
	v_alignbit_b32 v29, v26, v29, 9
	s_delay_alu instid0(VALU_DEP_3) | instskip(NEXT) | instid1(VALU_DEP_2)
	v_clz_i32_u32_e32 v31, v30
	v_or_b32_e32 v29, v29, v27
	v_or_b32_e32 v27, 0x33800000, v27
	s_delay_alu instid0(VALU_DEP_3) | instskip(NEXT) | instid1(VALU_DEP_3)
	v_min_u32_e32 v31, 32, v31
	v_xor_b32_e32 v29, 1.0, v29
	s_delay_alu instid0(VALU_DEP_2) | instskip(SKIP_1) | instid1(VALU_DEP_3)
	v_sub_nc_u32_e32 v32, 31, v31
	v_add_lshl_u32 v26, v31, v26, 23
	v_mul_f32_e32 v31, 0x3fc90fda, v29
	s_delay_alu instid0(VALU_DEP_3) | instskip(NEXT) | instid1(VALU_DEP_3)
	v_alignbit_b32 v25, v30, v25, v32
	v_sub_nc_u32_e32 v26, v27, v26
	s_delay_alu instid0(VALU_DEP_3) | instskip(NEXT) | instid1(VALU_DEP_3)
	v_fma_f32 v27, 0x3fc90fda, v29, -v31
	v_lshrrev_b32_e32 v25, 9, v25
	s_delay_alu instid0(VALU_DEP_2) | instskip(NEXT) | instid1(VALU_DEP_2)
	v_fmac_f32_e32 v27, 0x33a22168, v29
	v_or_b32_e32 v25, v26, v25
	v_add_nc_u32_e32 v26, v28, v1
	s_delay_alu instid0(VALU_DEP_2) | instskip(NEXT) | instid1(VALU_DEP_1)
	v_fmac_f32_e32 v27, 0x3fc90fda, v25
	v_add_f32_e32 v25, v31, v27
	s_and_not1_saveexec_b32 s6, s35
	s_branch .LBB255_30
.LBB255_28:                             ;   in Loop: Header=BB255_4 Depth=1
	s_or_b32 exec_lo, exec_lo, s33
                                        ; implicit-def: $vgpr25
                                        ; implicit-def: $vgpr9
                                        ; implicit-def: $vgpr26
	s_and_not1_saveexec_b32 s6, s31
	s_cbranch_execnz .LBB255_37
	s_branch .LBB255_42
.LBB255_29:                             ;   in Loop: Header=BB255_4 Depth=1
	s_and_not1_saveexec_b32 s6, s35
.LBB255_30:                             ;   in Loop: Header=BB255_4 Depth=1
	v_mul_f32_e64 v1, 0x3f22f983, |v10|
	s_delay_alu instid0(VALU_DEP_1) | instskip(NEXT) | instid1(VALU_DEP_1)
	v_rndne_f32_e32 v1, v1
	v_fma_f32 v25, 0xbfc90fda, v1, |v10|
	v_cvt_i32_f32_e32 v26, v1
	s_delay_alu instid0(VALU_DEP_2) | instskip(NEXT) | instid1(VALU_DEP_1)
	v_fmac_f32_e32 v25, 0xb3a22168, v1
	v_fmac_f32_e32 v25, 0xa7c234c4, v1
; %bb.31:                               ;   in Loop: Header=BB255_4 Depth=1
	s_or_b32 exec_lo, exec_lo, s6
                                        ; implicit-def: $vgpr27
                                        ; implicit-def: $vgpr1
	s_and_saveexec_b32 s6, s34
	s_delay_alu instid0(SALU_CYCLE_1)
	s_xor_b32 s34, exec_lo, s6
	s_cbranch_execz .LBB255_33
; %bb.32:                               ;   in Loop: Header=BB255_4 Depth=1
	v_lshrrev_b32_e32 v32, 23, v24
	v_and_or_b32 v35, v24, s25, 0x800000
	s_delay_alu instid0(VALU_DEP_2) | instskip(NEXT) | instid1(VALU_DEP_2)
	v_add_nc_u32_e32 v33, 0xffffff88, v32
	v_mad_u64_u32 v[27:28], null, 0xfe5163ab, v35, 0
	s_delay_alu instid0(VALU_DEP_2) | instskip(SKIP_1) | instid1(VALU_DEP_1)
	v_cmp_lt_u32_e32 vcc_lo, 63, v33
	v_cndmask_b32_e64 v34, 0, 0xffffffc0, vcc_lo
	v_dual_mov_b32 v1, v28 :: v_dual_add_nc_u32 v34, v34, v33
	s_delay_alu instid0(VALU_DEP_1) | instskip(NEXT) | instid1(VALU_DEP_2)
	v_mad_u64_u32 v[28:29], null, 0x3c439041, v35, v[1:2]
	v_cmp_lt_u32_e64 s6, 31, v34
	s_delay_alu instid0(VALU_DEP_1) | instskip(NEXT) | instid1(VALU_DEP_1)
	v_cndmask_b32_e64 v36, 0, 0xffffffe0, s6
	v_dual_mov_b32 v1, v29 :: v_dual_add_nc_u32 v36, v36, v34
	s_delay_alu instid0(VALU_DEP_1) | instskip(NEXT) | instid1(VALU_DEP_2)
	v_mad_u64_u32 v[29:30], null, 0xdb629599, v35, v[1:2]
	v_cmp_lt_u32_e64 s7, 31, v36
	s_delay_alu instid0(VALU_DEP_2) | instskip(NEXT) | instid1(VALU_DEP_3)
	v_mov_b32_e32 v1, v30
	v_cndmask_b32_e32 v27, v29, v27, vcc_lo
	s_delay_alu instid0(VALU_DEP_2) | instskip(NEXT) | instid1(VALU_DEP_1)
	v_mad_u64_u32 v[30:31], null, 0xf534ddc0, v35, v[1:2]
	v_dual_mov_b32 v1, v31 :: v_dual_cndmask_b32 v28, v30, v28
	s_delay_alu instid0(VALU_DEP_1) | instskip(NEXT) | instid1(VALU_DEP_2)
	v_mad_u64_u32 v[31:32], null, 0xfc2757d1, v35, v[1:2]
	v_cndmask_b32_e64 v27, v28, v27, s6
	s_delay_alu instid0(VALU_DEP_2) | instskip(NEXT) | instid1(VALU_DEP_1)
	v_mov_b32_e32 v1, v32
	v_mad_u64_u32 v[32:33], null, 0x4e441529, v35, v[1:2]
	s_delay_alu instid0(VALU_DEP_1) | instskip(NEXT) | instid1(VALU_DEP_1)
	v_mov_b32_e32 v1, v33
	v_mad_u64_u32 v[33:34], null, 0xa2f9836e, v35, v[1:2]
	v_cndmask_b32_e64 v1, 0, 0xffffffe0, s7
	s_delay_alu instid0(VALU_DEP_4) | instskip(NEXT) | instid1(VALU_DEP_2)
	v_cndmask_b32_e32 v35, v32, v30, vcc_lo
	v_add_nc_u32_e32 v1, v1, v36
	s_delay_alu instid0(VALU_DEP_4) | instskip(SKIP_1) | instid1(VALU_DEP_3)
	v_dual_cndmask_b32 v33, v33, v31 :: v_dual_cndmask_b32 v32, v34, v32
	v_cndmask_b32_e32 v31, v31, v29, vcc_lo
	v_sub_nc_u32_e32 v34, 32, v1
	s_delay_alu instid0(VALU_DEP_3) | instskip(NEXT) | instid1(VALU_DEP_4)
	v_cndmask_b32_e64 v30, v33, v35, s6
	v_cndmask_b32_e64 v32, v32, v33, s6
	s_delay_alu instid0(VALU_DEP_4) | instskip(SKIP_2) | instid1(VALU_DEP_4)
	v_cndmask_b32_e64 v33, v35, v31, s6
	v_cndmask_b32_e64 v31, v31, v28, s6
	v_cmp_eq_u32_e64 s8, 0, v1
	v_cndmask_b32_e64 v32, v32, v30, s7
	s_delay_alu instid0(VALU_DEP_4) | instskip(NEXT) | instid1(VALU_DEP_4)
	v_cndmask_b32_e64 v30, v30, v33, s7
	v_cndmask_b32_e64 v33, v33, v31, s7
	;; [unrolled: 1-line block ×3, first 2 shown]
	s_delay_alu instid0(VALU_DEP_3) | instskip(NEXT) | instid1(VALU_DEP_3)
	v_alignbit_b32 v35, v32, v30, v34
	v_alignbit_b32 v36, v30, v33, v34
	s_delay_alu instid0(VALU_DEP_3) | instskip(NEXT) | instid1(VALU_DEP_3)
	v_alignbit_b32 v34, v33, v27, v34
	v_cndmask_b32_e64 v1, v35, v32, s8
	s_delay_alu instid0(VALU_DEP_3) | instskip(NEXT) | instid1(VALU_DEP_3)
	v_cndmask_b32_e64 v29, v36, v30, s8
	v_cndmask_b32_e64 v33, v34, v33, s8
	s_delay_alu instid0(VALU_DEP_3) | instskip(NEXT) | instid1(VALU_DEP_3)
	v_bfe_u32 v30, v1, 29, 1
	v_alignbit_b32 v28, v1, v29, 30
	s_delay_alu instid0(VALU_DEP_3) | instskip(SKIP_1) | instid1(VALU_DEP_4)
	v_alignbit_b32 v29, v29, v33, 30
	v_alignbit_b32 v27, v33, v27, 30
	v_sub_nc_u32_e32 v32, 0, v30
	s_delay_alu instid0(VALU_DEP_1) | instskip(SKIP_3) | instid1(VALU_DEP_4)
	v_xor_b32_e32 v31, v28, v32
	v_cmp_ne_u32_e32 vcc_lo, v28, v32
	v_xor_b32_e32 v29, v29, v32
	v_xor_b32_e32 v27, v27, v32
	v_clz_i32_u32_e32 v35, v31
	s_delay_alu instid0(VALU_DEP_1) | instskip(NEXT) | instid1(VALU_DEP_1)
	v_add_nc_u32_e32 v34, 1, v35
	v_cndmask_b32_e32 v28, 33, v34, vcc_lo
	s_delay_alu instid0(VALU_DEP_1) | instskip(NEXT) | instid1(VALU_DEP_1)
	v_sub_nc_u32_e32 v33, 32, v28
	v_alignbit_b32 v31, v31, v29, v33
	v_alignbit_b32 v27, v29, v27, v33
	v_lshrrev_b32_e32 v29, 29, v1
	s_delay_alu instid0(VALU_DEP_2) | instskip(NEXT) | instid1(VALU_DEP_2)
	v_alignbit_b32 v32, v31, v27, 9
	v_lshlrev_b32_e32 v29, 31, v29
	v_alignbit_b32 v31, v28, v31, 9
	s_delay_alu instid0(VALU_DEP_3) | instskip(NEXT) | instid1(VALU_DEP_2)
	v_clz_i32_u32_e32 v33, v32
	v_or_b32_e32 v31, v31, v29
	v_or_b32_e32 v29, 0x33800000, v29
	s_delay_alu instid0(VALU_DEP_3) | instskip(NEXT) | instid1(VALU_DEP_3)
	v_min_u32_e32 v33, 32, v33
	v_xor_b32_e32 v31, 1.0, v31
	s_delay_alu instid0(VALU_DEP_2) | instskip(SKIP_1) | instid1(VALU_DEP_3)
	v_sub_nc_u32_e32 v34, 31, v33
	v_add_lshl_u32 v28, v33, v28, 23
	v_mul_f32_e32 v33, 0x3fc90fda, v31
	s_delay_alu instid0(VALU_DEP_3) | instskip(NEXT) | instid1(VALU_DEP_3)
	v_alignbit_b32 v27, v32, v27, v34
	v_sub_nc_u32_e32 v28, v29, v28
	s_delay_alu instid0(VALU_DEP_3) | instskip(NEXT) | instid1(VALU_DEP_3)
	v_fma_f32 v29, 0x3fc90fda, v31, -v33
	v_lshrrev_b32_e32 v27, 9, v27
	s_delay_alu instid0(VALU_DEP_2) | instskip(NEXT) | instid1(VALU_DEP_2)
	v_fmac_f32_e32 v29, 0x33a22168, v31
	v_or_b32_e32 v27, v28, v27
	s_delay_alu instid0(VALU_DEP_1) | instskip(SKIP_1) | instid1(VALU_DEP_2)
	v_fmac_f32_e32 v29, 0x3fc90fda, v27
	v_lshrrev_b32_e32 v27, 30, v1
	v_add_f32_e32 v1, v33, v29
	s_delay_alu instid0(VALU_DEP_2)
	v_add_nc_u32_e32 v27, v30, v27
	s_and_not1_saveexec_b32 s6, s34
	s_cbranch_execnz .LBB255_34
	s_branch .LBB255_35
.LBB255_33:                             ;   in Loop: Header=BB255_4 Depth=1
	s_and_not1_saveexec_b32 s6, s34
.LBB255_34:                             ;   in Loop: Header=BB255_4 Depth=1
	v_mul_f32_e64 v1, 0x3f22f983, |v10|
	s_delay_alu instid0(VALU_DEP_1) | instskip(NEXT) | instid1(VALU_DEP_1)
	v_rndne_f32_e32 v27, v1
	v_fma_f32 v1, 0xbfc90fda, v27, |v10|
	s_delay_alu instid0(VALU_DEP_1) | instskip(NEXT) | instid1(VALU_DEP_1)
	v_fmac_f32_e32 v1, 0xb3a22168, v27
	v_fmac_f32_e32 v1, 0xa7c234c4, v27
	v_cvt_i32_f32_e32 v27, v27
.LBB255_35:                             ;   in Loop: Header=BB255_4 Depth=1
	s_or_b32 exec_lo, exec_lo, s6
	v_sub_f32_e32 v9, 0xc322e3bc, v9
	v_mul_f32_e32 v31, v25, v25
	v_mul_f32_e32 v32, v1, v1
	s_delay_alu instid0(VALU_DEP_3) | instskip(NEXT) | instid1(VALU_DEP_3)
	v_mul_f32_e32 v28, 0x3fb8aa3b, v9
	v_fmaak_f32 v33, s27, v31, 0xbab64f3b
	s_delay_alu instid0(VALU_DEP_3) | instskip(NEXT) | instid1(VALU_DEP_3)
	v_dual_fmaak_f32 v34, s26, v31, 0x3c0881c4 :: v_dual_fmaak_f32 v35, s26, v32, 0x3c0881c4
	v_fma_f32 v29, 0x3fb8aa3b, v9, -v28
	v_rndne_f32_e32 v30, v28
	s_delay_alu instid0(VALU_DEP_3) | instskip(NEXT) | instid1(VALU_DEP_2)
	v_fmaak_f32 v35, v32, v35, 0xbe2aaa9d
	v_dual_sub_f32 v28, v28, v30 :: v_dual_fmac_f32 v29, 0x32a5705f, v9
	v_cmp_ngt_f32_e32 vcc_lo, 0xc2ce8ed0, v9
	s_delay_alu instid0(VALU_DEP_3) | instskip(NEXT) | instid1(VALU_DEP_3)
	v_mul_f32_e32 v35, v32, v35
	v_add_f32_e32 v28, v28, v29
	v_cvt_i32_f32_e32 v29, v30
	v_lshlrev_b32_e32 v30, 30, v26
	v_and_b32_e32 v26, 1, v26
	s_delay_alu instid0(VALU_DEP_4) | instskip(SKIP_3) | instid1(VALU_DEP_2)
	v_exp_f32_e32 v28, v28
	s_waitcnt_depctr 0xfff
	v_ldexp_f32 v28, v28, v29
	v_and_b32_e32 v29, 1, v27
	v_dual_cndmask_b32 v28, 0, v28 :: v_dual_lshlrev_b32 v27, 30, v27
	v_cmp_nlt_f32_e32 vcc_lo, 0x42b17218, v9
	s_delay_alu instid0(VALU_DEP_2)
	v_and_or_b32 v24, 0x80000000, v27, v24
	v_fmaak_f32 v27, v31, v33, 0x3d2aabf7
	v_fmaak_f32 v33, v31, v34, 0xbe2aaa9d
	v_and_b32_e32 v30, 0x80000000, v30
	v_cndmask_b32_e32 v9, 0x7f800000, v28, vcc_lo
	v_fmaak_f32 v28, s27, v32, 0xbab64f3b
	v_cmp_eq_u32_e32 vcc_lo, 0, v26
	v_mul_f32_e32 v33, v31, v33
	s_delay_alu instid0(VALU_DEP_4) | instskip(NEXT) | instid1(VALU_DEP_4)
	v_lshrrev_b32_e32 v34, 23, v9
	v_fmaak_f32 v28, v32, v28, 0x3d2aabf7
	v_and_or_b32 v9, 0x7fffff, v9, s28
	s_delay_alu instid0(VALU_DEP_4) | instskip(SKIP_3) | instid1(VALU_DEP_3)
	v_fmac_f32_e32 v25, v25, v33
	v_fmaak_f32 v27, v31, v27, 0xbf000004
	v_subrev_nc_u32_e32 v34, 19, v34
	v_fmaak_f32 v28, v32, v28, 0xbf000004
	v_fma_f32 v27, v31, v27, 1.0
	s_delay_alu instid0(VALU_DEP_3) | instskip(NEXT) | instid1(VALU_DEP_3)
	v_lshrrev_b16 v31, 15, v34
	v_fma_f32 v28, v32, v28, 1.0
	s_delay_alu instid0(VALU_DEP_3) | instskip(SKIP_1) | instid1(VALU_DEP_4)
	v_cndmask_b32_e64 v25, -v25, v27, vcc_lo
	v_cmp_eq_u32_e32 vcc_lo, 0, v29
	v_add_nc_u16 v26, v34, v31
	s_delay_alu instid0(VALU_DEP_3) | instskip(SKIP_1) | instid1(VALU_DEP_3)
	v_xor_b32_e32 v25, v30, v25
	v_fmac_f32_e32 v1, v1, v35
	v_ashrrev_i16 v26, 1, v26
	s_delay_alu instid0(VALU_DEP_2) | instskip(SKIP_1) | instid1(VALU_DEP_2)
	v_cndmask_b32_e32 v1, v28, v1, vcc_lo
	v_cmp_class_f32_e64 vcc_lo, v10, 0x1f8
	v_xor3_b32 v1, v24, v1, v23
	v_cndmask_b32_e32 v10, 0x7fc00000, v25, vcc_lo
	v_bfe_i32 v23, v26, 0, 16
	s_delay_alu instid0(VALU_DEP_3) | instskip(NEXT) | instid1(VALU_DEP_3)
	v_cndmask_b32_e32 v1, 0x7fc00000, v1, vcc_lo
	v_mul_f32_e32 v10, v10, v9
	s_delay_alu instid0(VALU_DEP_3) | instskip(SKIP_1) | instid1(VALU_DEP_4)
	v_lshl_add_u32 v24, v23, 23, 1.0
	v_sub_nc_u32_e32 v23, v34, v23
	v_mul_f32_e32 v1, v1, v9
	s_delay_alu instid0(VALU_DEP_3) | instskip(NEXT) | instid1(VALU_DEP_3)
	v_mul_f32_e32 v9, v10, v24
	v_lshl_add_u32 v10, v23, 23, 1.0
	s_delay_alu instid0(VALU_DEP_3) | instskip(NEXT) | instid1(VALU_DEP_2)
	v_mul_f32_e32 v23, v1, v24
	v_mul_f32_e32 v1, v9, v10
	s_delay_alu instid0(VALU_DEP_2)
	v_mul_f32_e32 v23, v23, v10
	s_or_b32 exec_lo, exec_lo, s33
                                        ; implicit-def: $vgpr25
                                        ; implicit-def: $vgpr9
                                        ; implicit-def: $vgpr26
.LBB255_36:                             ;   in Loop: Header=BB255_4 Depth=1
	s_and_not1_saveexec_b32 s6, s31
	s_cbranch_execz .LBB255_42
.LBB255_37:                             ;   in Loop: Header=BB255_4 Depth=1
	v_sub_f32_e32 v23, v10, v10
	s_mov_b32 s7, exec_lo
	v_cmpx_ne_u32_e32 0x7f800000, v26
	s_xor_b32 s7, exec_lo, s7
; %bb.38:                               ;   in Loop: Header=BB255_4 Depth=1
                                        ; implicit-def: $vgpr25
                                        ; implicit-def: $vgpr9
; %bb.39:                               ;   in Loop: Header=BB255_4 Depth=1
	s_delay_alu instid0(SALU_CYCLE_1)
	s_or_saveexec_b32 s7, s7
	v_mov_b32_e32 v1, v23
	s_xor_b32 exec_lo, exec_lo, s7
; %bb.40:                               ;   in Loop: Header=BB255_4 Depth=1
	v_cmp_lt_i32_e32 vcc_lo, -1, v25
	v_cndmask_b32_e64 v1, 0, -v9, vcc_lo
	v_cndmask_b32_e32 v23, 0, v23, vcc_lo
; %bb.41:                               ;   in Loop: Header=BB255_4 Depth=1
	s_or_b32 exec_lo, exec_lo, s7
.LBB255_42:                             ;   in Loop: Header=BB255_4 Depth=1
	s_delay_alu instid0(SALU_CYCLE_1)
	s_or_b32 exec_lo, exec_lo, s6
                                        ; implicit-def: $vgpr10
                                        ; implicit-def: $vgpr24
.LBB255_43:                             ;   in Loop: Header=BB255_4 Depth=1
	s_and_not1_saveexec_b32 s30, s30
	s_cbranch_execz .LBB255_53
; %bb.44:                               ;   in Loop: Header=BB255_4 Depth=1
	v_lshrrev_b32_e32 v1, 23, v24
	v_cmp_ngt_f32_e64 s31, 0x48000000, |v10|
	v_and_or_b32 v26, v24, s25, 0x800000
                                        ; implicit-def: $vgpr25
                                        ; implicit-def: $vgpr9
	s_delay_alu instid0(VALU_DEP_3) | instskip(NEXT) | instid1(VALU_DEP_3)
	v_add_nc_u32_e32 v27, 0xffffff88, v1
	s_and_saveexec_b32 s6, s31
	s_delay_alu instid0(SALU_CYCLE_1)
	s_xor_b32 s33, exec_lo, s6
	s_cbranch_execz .LBB255_46
; %bb.45:                               ;   in Loop: Header=BB255_4 Depth=1
	v_mad_u64_u32 v[28:29], null, 0xfe5163ab, v26, 0
	v_cmp_lt_u32_e32 vcc_lo, 63, v27
	v_cndmask_b32_e64 v9, 0, 0xffffffc0, vcc_lo
	s_delay_alu instid0(VALU_DEP_3) | instskip(NEXT) | instid1(VALU_DEP_2)
	v_mov_b32_e32 v1, v29
	v_add_nc_u32_e32 v9, v9, v27
	s_delay_alu instid0(VALU_DEP_2) | instskip(NEXT) | instid1(VALU_DEP_2)
	v_mad_u64_u32 v[29:30], null, 0x3c439041, v26, v[1:2]
	v_cmp_lt_u32_e64 s6, 31, v9
	s_delay_alu instid0(VALU_DEP_2) | instskip(NEXT) | instid1(VALU_DEP_2)
	v_mov_b32_e32 v1, v30
	v_cndmask_b32_e64 v25, 0, 0xffffffe0, s6
	s_delay_alu instid0(VALU_DEP_2) | instskip(NEXT) | instid1(VALU_DEP_2)
	v_mad_u64_u32 v[30:31], null, 0xdb629599, v26, v[1:2]
	v_add_nc_u32_e32 v9, v25, v9
	s_delay_alu instid0(VALU_DEP_1) | instskip(NEXT) | instid1(VALU_DEP_3)
	v_cmp_lt_u32_e64 s7, 31, v9
	v_dual_mov_b32 v1, v31 :: v_dual_cndmask_b32 v28, v30, v28
	s_delay_alu instid0(VALU_DEP_1) | instskip(NEXT) | instid1(VALU_DEP_1)
	v_mad_u64_u32 v[31:32], null, 0xf534ddc0, v26, v[1:2]
	v_mov_b32_e32 v1, v32
	s_delay_alu instid0(VALU_DEP_1) | instskip(NEXT) | instid1(VALU_DEP_1)
	v_mad_u64_u32 v[32:33], null, 0xfc2757d1, v26, v[1:2]
	v_mov_b32_e32 v1, v33
	;; [unrolled: 3-line block ×3, first 2 shown]
	s_delay_alu instid0(VALU_DEP_2) | instskip(NEXT) | instid1(VALU_DEP_2)
	v_cndmask_b32_e32 v25, v33, v31, vcc_lo
	v_mad_u64_u32 v[34:35], null, 0xa2f9836e, v26, v[1:2]
	v_cndmask_b32_e64 v1, 0, 0xffffffe0, s7
	s_delay_alu instid0(VALU_DEP_1) | instskip(NEXT) | instid1(VALU_DEP_3)
	v_dual_cndmask_b32 v34, v34, v32 :: v_dual_add_nc_u32 v1, v1, v9
	v_dual_cndmask_b32 v33, v35, v33 :: v_dual_cndmask_b32 v32, v32, v30
	v_cndmask_b32_e32 v9, v31, v29, vcc_lo
	s_delay_alu instid0(VALU_DEP_3) | instskip(NEXT) | instid1(VALU_DEP_4)
	v_cmp_eq_u32_e64 s8, 0, v1
	v_cndmask_b32_e64 v29, v34, v25, s6
	s_delay_alu instid0(VALU_DEP_4)
	v_cndmask_b32_e64 v31, v33, v34, s6
	v_cndmask_b32_e64 v25, v25, v32, s6
	v_sub_nc_u32_e32 v33, 32, v1
	v_cndmask_b32_e64 v32, v32, v9, s6
	v_cndmask_b32_e64 v9, v9, v28, s6
	;; [unrolled: 1-line block ×4, first 2 shown]
	s_delay_alu instid0(VALU_DEP_4) | instskip(NEXT) | instid1(VALU_DEP_4)
	v_cndmask_b32_e64 v25, v25, v32, s7
	v_cndmask_b32_e64 v9, v32, v9, s7
	s_delay_alu instid0(VALU_DEP_3) | instskip(NEXT) | instid1(VALU_DEP_3)
	v_alignbit_b32 v34, v31, v29, v33
	v_alignbit_b32 v35, v29, v25, v33
	s_delay_alu instid0(VALU_DEP_3) | instskip(NEXT) | instid1(VALU_DEP_3)
	v_alignbit_b32 v33, v25, v9, v33
	v_cndmask_b32_e64 v1, v34, v31, s8
	s_delay_alu instid0(VALU_DEP_3) | instskip(NEXT) | instid1(VALU_DEP_3)
	v_cndmask_b32_e64 v29, v35, v29, s8
	v_cndmask_b32_e64 v25, v33, v25, s8
	s_delay_alu instid0(VALU_DEP_3) | instskip(NEXT) | instid1(VALU_DEP_3)
	v_bfe_u32 v30, v1, 29, 1
	v_alignbit_b32 v28, v1, v29, 30
	s_delay_alu instid0(VALU_DEP_3) | instskip(SKIP_1) | instid1(VALU_DEP_4)
	v_alignbit_b32 v29, v29, v25, 30
	v_alignbit_b32 v9, v25, v9, 30
	v_sub_nc_u32_e32 v31, 0, v30
	s_delay_alu instid0(VALU_DEP_1) | instskip(SKIP_3) | instid1(VALU_DEP_4)
	v_xor_b32_e32 v32, v28, v31
	v_cmp_ne_u32_e32 vcc_lo, v28, v31
	v_xor_b32_e32 v25, v29, v31
	v_xor_b32_e32 v9, v9, v31
	v_clz_i32_u32_e32 v34, v32
	s_delay_alu instid0(VALU_DEP_1) | instskip(NEXT) | instid1(VALU_DEP_1)
	v_add_nc_u32_e32 v33, 1, v34
	v_cndmask_b32_e32 v28, 33, v33, vcc_lo
	s_delay_alu instid0(VALU_DEP_1) | instskip(NEXT) | instid1(VALU_DEP_1)
	v_sub_nc_u32_e32 v29, 32, v28
	v_alignbit_b32 v31, v32, v25, v29
	v_alignbit_b32 v9, v25, v9, v29
	v_lshrrev_b32_e32 v25, 29, v1
	v_lshrrev_b32_e32 v1, 30, v1
	s_delay_alu instid0(VALU_DEP_3) | instskip(NEXT) | instid1(VALU_DEP_3)
	v_alignbit_b32 v29, v31, v9, 9
	v_lshlrev_b32_e32 v25, 31, v25
	v_alignbit_b32 v31, v28, v31, 9
	s_delay_alu instid0(VALU_DEP_3) | instskip(NEXT) | instid1(VALU_DEP_2)
	v_clz_i32_u32_e32 v32, v29
	v_or_b32_e32 v31, v31, v25
	v_or_b32_e32 v25, 0x33800000, v25
	s_delay_alu instid0(VALU_DEP_3) | instskip(NEXT) | instid1(VALU_DEP_3)
	v_min_u32_e32 v32, 32, v32
	v_xor_b32_e32 v31, 1.0, v31
	s_delay_alu instid0(VALU_DEP_2) | instskip(SKIP_1) | instid1(VALU_DEP_3)
	v_sub_nc_u32_e32 v33, 31, v32
	v_add_lshl_u32 v28, v32, v28, 23
	v_mul_f32_e32 v32, 0x3fc90fda, v31
	s_delay_alu instid0(VALU_DEP_3) | instskip(NEXT) | instid1(VALU_DEP_3)
	v_alignbit_b32 v9, v29, v9, v33
	v_sub_nc_u32_e32 v25, v25, v28
	s_delay_alu instid0(VALU_DEP_3) | instskip(NEXT) | instid1(VALU_DEP_3)
	v_fma_f32 v28, 0x3fc90fda, v31, -v32
	v_lshrrev_b32_e32 v9, 9, v9
	s_delay_alu instid0(VALU_DEP_2) | instskip(NEXT) | instid1(VALU_DEP_2)
	v_fmac_f32_e32 v28, 0x33a22168, v31
	v_or_b32_e32 v9, v25, v9
	v_add_nc_u32_e32 v25, v30, v1
	s_delay_alu instid0(VALU_DEP_2) | instskip(NEXT) | instid1(VALU_DEP_1)
	v_fmac_f32_e32 v28, 0x3fc90fda, v9
	v_add_f32_e32 v9, v32, v28
.LBB255_46:                             ;   in Loop: Header=BB255_4 Depth=1
	s_or_saveexec_b32 s6, s33
	v_mul_f32_e64 v1, 0x3f22f983, |v10|
	s_delay_alu instid0(VALU_DEP_1)
	v_rndne_f32_e32 v29, v1
	s_xor_b32 exec_lo, exec_lo, s6
; %bb.47:                               ;   in Loop: Header=BB255_4 Depth=1
	s_delay_alu instid0(VALU_DEP_1) | instskip(SKIP_1) | instid1(VALU_DEP_2)
	v_fma_f32 v9, 0xbfc90fda, v29, |v10|
	v_cvt_i32_f32_e32 v25, v29
	v_fmac_f32_e32 v9, 0xb3a22168, v29
	s_delay_alu instid0(VALU_DEP_1)
	v_fmac_f32_e32 v9, 0xa7c234c4, v29
; %bb.48:                               ;   in Loop: Header=BB255_4 Depth=1
	s_or_b32 exec_lo, exec_lo, s6
                                        ; implicit-def: $vgpr28
                                        ; implicit-def: $vgpr1
	s_and_saveexec_b32 s6, s31
	s_delay_alu instid0(SALU_CYCLE_1)
	s_xor_b32 s31, exec_lo, s6
	s_cbranch_execz .LBB255_50
; %bb.49:                               ;   in Loop: Header=BB255_4 Depth=1
	v_mad_u64_u32 v[28:29], null, 0xfe5163ab, v26, 0
	v_cmp_lt_u32_e32 vcc_lo, 63, v27
	v_cndmask_b32_e64 v34, 0, 0xffffffc0, vcc_lo
	s_delay_alu instid0(VALU_DEP_3) | instskip(NEXT) | instid1(VALU_DEP_2)
	v_mov_b32_e32 v1, v29
	v_add_nc_u32_e32 v27, v34, v27
	s_delay_alu instid0(VALU_DEP_2) | instskip(NEXT) | instid1(VALU_DEP_2)
	v_mad_u64_u32 v[29:30], null, 0x3c439041, v26, v[1:2]
	v_cmp_lt_u32_e64 s6, 31, v27
	s_delay_alu instid0(VALU_DEP_2) | instskip(NEXT) | instid1(VALU_DEP_2)
	v_mov_b32_e32 v1, v30
	v_cndmask_b32_e64 v35, 0, 0xffffffe0, s6
	s_delay_alu instid0(VALU_DEP_2) | instskip(NEXT) | instid1(VALU_DEP_2)
	v_mad_u64_u32 v[30:31], null, 0xdb629599, v26, v[1:2]
	v_add_nc_u32_e32 v27, v35, v27
	s_delay_alu instid0(VALU_DEP_1) | instskip(NEXT) | instid1(VALU_DEP_3)
	v_cmp_lt_u32_e64 s7, 31, v27
	v_dual_mov_b32 v1, v31 :: v_dual_cndmask_b32 v28, v30, v28
	s_delay_alu instid0(VALU_DEP_1) | instskip(NEXT) | instid1(VALU_DEP_1)
	v_mad_u64_u32 v[31:32], null, 0xf534ddc0, v26, v[1:2]
	v_mov_b32_e32 v1, v32
	s_delay_alu instid0(VALU_DEP_1) | instskip(NEXT) | instid1(VALU_DEP_1)
	v_mad_u64_u32 v[32:33], null, 0xfc2757d1, v26, v[1:2]
	v_mov_b32_e32 v1, v33
	;; [unrolled: 3-line block ×3, first 2 shown]
	s_delay_alu instid0(VALU_DEP_1) | instskip(SKIP_1) | instid1(VALU_DEP_4)
	v_mad_u64_u32 v[34:35], null, 0xa2f9836e, v26, v[1:2]
	v_cndmask_b32_e64 v1, 0, 0xffffffe0, s7
	v_cndmask_b32_e32 v26, v33, v31, vcc_lo
	s_delay_alu instid0(VALU_DEP_2) | instskip(NEXT) | instid1(VALU_DEP_4)
	v_dual_cndmask_b32 v34, v34, v32 :: v_dual_add_nc_u32 v1, v1, v27
	v_dual_cndmask_b32 v33, v35, v33 :: v_dual_cndmask_b32 v32, v32, v30
	v_cndmask_b32_e32 v27, v31, v29, vcc_lo
	s_delay_alu instid0(VALU_DEP_3) | instskip(NEXT) | instid1(VALU_DEP_4)
	v_cmp_eq_u32_e64 s8, 0, v1
	v_cndmask_b32_e64 v29, v34, v26, s6
	s_delay_alu instid0(VALU_DEP_4)
	v_cndmask_b32_e64 v31, v33, v34, s6
	v_cndmask_b32_e64 v26, v26, v32, s6
	v_sub_nc_u32_e32 v33, 32, v1
	v_cndmask_b32_e64 v32, v32, v27, s6
	v_cndmask_b32_e64 v27, v27, v28, s6
	v_cndmask_b32_e64 v31, v31, v29, s7
	v_cndmask_b32_e64 v29, v29, v26, s7
	s_delay_alu instid0(VALU_DEP_4) | instskip(NEXT) | instid1(VALU_DEP_4)
	v_cndmask_b32_e64 v26, v26, v32, s7
	v_cndmask_b32_e64 v27, v32, v27, s7
	s_delay_alu instid0(VALU_DEP_3) | instskip(NEXT) | instid1(VALU_DEP_3)
	v_alignbit_b32 v34, v31, v29, v33
	v_alignbit_b32 v35, v29, v26, v33
	s_delay_alu instid0(VALU_DEP_3) | instskip(NEXT) | instid1(VALU_DEP_3)
	v_alignbit_b32 v33, v26, v27, v33
	v_cndmask_b32_e64 v1, v34, v31, s8
	s_delay_alu instid0(VALU_DEP_3) | instskip(NEXT) | instid1(VALU_DEP_3)
	v_cndmask_b32_e64 v29, v35, v29, s8
	v_cndmask_b32_e64 v26, v33, v26, s8
	s_delay_alu instid0(VALU_DEP_3) | instskip(NEXT) | instid1(VALU_DEP_3)
	v_bfe_u32 v30, v1, 29, 1
	v_alignbit_b32 v28, v1, v29, 30
	s_delay_alu instid0(VALU_DEP_3) | instskip(SKIP_1) | instid1(VALU_DEP_4)
	v_alignbit_b32 v29, v29, v26, 30
	v_alignbit_b32 v26, v26, v27, 30
	v_sub_nc_u32_e32 v31, 0, v30
	s_delay_alu instid0(VALU_DEP_1) | instskip(SKIP_3) | instid1(VALU_DEP_4)
	v_xor_b32_e32 v32, v28, v31
	v_cmp_ne_u32_e32 vcc_lo, v28, v31
	v_xor_b32_e32 v27, v29, v31
	v_xor_b32_e32 v26, v26, v31
	v_clz_i32_u32_e32 v34, v32
	s_delay_alu instid0(VALU_DEP_1) | instskip(NEXT) | instid1(VALU_DEP_1)
	v_add_nc_u32_e32 v33, 1, v34
	v_cndmask_b32_e32 v28, 33, v33, vcc_lo
	s_delay_alu instid0(VALU_DEP_1) | instskip(NEXT) | instid1(VALU_DEP_1)
	v_sub_nc_u32_e32 v29, 32, v28
	v_alignbit_b32 v31, v32, v27, v29
	v_alignbit_b32 v26, v27, v26, v29
	v_lshrrev_b32_e32 v27, 29, v1
	s_delay_alu instid0(VALU_DEP_2) | instskip(NEXT) | instid1(VALU_DEP_2)
	v_alignbit_b32 v29, v31, v26, 9
	v_lshlrev_b32_e32 v27, 31, v27
	v_alignbit_b32 v31, v28, v31, 9
	s_delay_alu instid0(VALU_DEP_3) | instskip(NEXT) | instid1(VALU_DEP_2)
	v_clz_i32_u32_e32 v32, v29
	v_or_b32_e32 v31, v31, v27
	v_or_b32_e32 v27, 0x33800000, v27
	s_delay_alu instid0(VALU_DEP_3) | instskip(NEXT) | instid1(VALU_DEP_3)
	v_min_u32_e32 v32, 32, v32
	v_xor_b32_e32 v31, 1.0, v31
	s_delay_alu instid0(VALU_DEP_2) | instskip(SKIP_1) | instid1(VALU_DEP_3)
	v_sub_nc_u32_e32 v33, 31, v32
	v_add_lshl_u32 v28, v32, v28, 23
	v_mul_f32_e32 v32, 0x3fc90fda, v31
	s_delay_alu instid0(VALU_DEP_3) | instskip(NEXT) | instid1(VALU_DEP_3)
	v_alignbit_b32 v26, v29, v26, v33
	v_sub_nc_u32_e32 v27, v27, v28
	s_delay_alu instid0(VALU_DEP_3) | instskip(NEXT) | instid1(VALU_DEP_3)
	v_fma_f32 v28, 0x3fc90fda, v31, -v32
                                        ; implicit-def: $vgpr29
	v_lshrrev_b32_e32 v26, 9, v26
	s_delay_alu instid0(VALU_DEP_2) | instskip(NEXT) | instid1(VALU_DEP_2)
	v_fmac_f32_e32 v28, 0x33a22168, v31
	v_or_b32_e32 v26, v27, v26
	s_delay_alu instid0(VALU_DEP_1) | instskip(SKIP_1) | instid1(VALU_DEP_1)
	v_fmac_f32_e32 v28, 0x3fc90fda, v26
	v_lshrrev_b32_e32 v26, 30, v1
	v_dual_add_f32 v1, v32, v28 :: v_dual_add_nc_u32 v28, v30, v26
	s_and_not1_saveexec_b32 s6, s31
	s_cbranch_execnz .LBB255_51
	s_branch .LBB255_52
.LBB255_50:                             ;   in Loop: Header=BB255_4 Depth=1
	s_and_not1_saveexec_b32 s6, s31
.LBB255_51:                             ;   in Loop: Header=BB255_4 Depth=1
	v_fma_f32 v1, 0xbfc90fda, v29, |v10|
	v_cvt_i32_f32_e32 v28, v29
	s_delay_alu instid0(VALU_DEP_2) | instskip(NEXT) | instid1(VALU_DEP_1)
	v_fmac_f32_e32 v1, 0xb3a22168, v29
	v_fmac_f32_e32 v1, 0xa7c234c4, v29
.LBB255_52:                             ;   in Loop: Header=BB255_4 Depth=1
	s_or_b32 exec_lo, exec_lo, s6
	s_delay_alu instid0(VALU_DEP_1) | instskip(SKIP_2) | instid1(VALU_DEP_3)
	v_mul_f32_e32 v27, v1, v1
	v_mul_f32_e32 v26, v9, v9
	v_and_b32_e32 v34, 1, v28
	v_dual_fmaak_f32 v33, s27, v27, 0xbab64f3b :: v_dual_lshlrev_b32 v28, 30, v28
	s_delay_alu instid0(VALU_DEP_3) | instskip(SKIP_2) | instid1(VALU_DEP_3)
	v_dual_fmaak_f32 v30, s26, v26, 0x3c0881c4 :: v_dual_and_b32 v29, 1, v25
	v_dual_fmaak_f32 v32, s26, v27, 0x3c0881c4 :: v_dual_lshlrev_b32 v25, 30, v25
	v_fmaak_f32 v31, s27, v26, 0xbab64f3b
	v_fmaak_f32 v30, v26, v30, 0xbe2aaa9d
	;; [unrolled: 1-line block ×3, first 2 shown]
	v_cmp_eq_u32_e32 vcc_lo, 0, v29
	v_and_b32_e32 v25, 0x80000000, v25
	v_fmaak_f32 v31, v26, v31, 0x3d2aabf7
	v_mul_f32_e32 v30, v26, v30
	v_fmaak_f32 v32, v27, v32, 0xbe2aaa9d
	v_fmaak_f32 v33, v27, v33, 0xbf000004
	v_and_or_b32 v24, 0x80000000, v28, v24
	s_delay_alu instid0(VALU_DEP_4) | instskip(NEXT) | instid1(VALU_DEP_4)
	v_fmac_f32_e32 v9, v9, v30
	v_dual_fmaak_f32 v31, v26, v31, 0xbf000004 :: v_dual_mul_f32 v32, v27, v32
	s_delay_alu instid0(VALU_DEP_4) | instskip(NEXT) | instid1(VALU_DEP_2)
	v_fma_f32 v27, v27, v33, 1.0
	v_fma_f32 v26, v26, v31, 1.0
	s_delay_alu instid0(VALU_DEP_3) | instskip(NEXT) | instid1(VALU_DEP_2)
	v_fmac_f32_e32 v1, v1, v32
	v_cndmask_b32_e64 v9, -v9, v26, vcc_lo
	v_cmp_eq_u32_e32 vcc_lo, 0, v34
	s_delay_alu instid0(VALU_DEP_2) | instskip(NEXT) | instid1(VALU_DEP_4)
	v_xor_b32_e32 v9, v25, v9
	v_cndmask_b32_e32 v1, v27, v1, vcc_lo
	v_cmp_class_f32_e64 vcc_lo, v10, 0x1f8
	s_delay_alu instid0(VALU_DEP_2) | instskip(NEXT) | instid1(VALU_DEP_4)
	v_xor3_b32 v23, v24, v1, v23
	v_cndmask_b32_e32 v1, 0x7fc00000, v9, vcc_lo
	s_delay_alu instid0(VALU_DEP_2)
	v_cndmask_b32_e32 v23, 0x7fc00000, v23, vcc_lo
.LBB255_53:                             ;   in Loop: Header=BB255_4 Depth=1
	s_or_b32 exec_lo, exec_lo, s30
                                        ; implicit-def: $vgpr9
.LBB255_54:                             ;   in Loop: Header=BB255_4 Depth=1
	s_and_not1_saveexec_b32 s6, s29
	s_cbranch_execz .LBB255_56
; %bb.55:                               ;   in Loop: Header=BB255_4 Depth=1
	v_mul_f32_e32 v1, 0xbfb8aa3b, v9
	v_cmp_nlt_f32_e32 vcc_lo, 0x42ce8ed0, v9
	s_delay_alu instid0(VALU_DEP_2) | instskip(SKIP_1) | instid1(VALU_DEP_1)
	v_rndne_f32_e32 v10, v1
	v_fma_f32 v24, 0xbfb8aa3b, v9, -v1
	v_dual_sub_f32 v1, v1, v10 :: v_dual_fmac_f32 v24, 0xb2a5705f, v9
	v_cvt_i32_f32_e32 v10, v10
	s_delay_alu instid0(VALU_DEP_2) | instskip(NEXT) | instid1(VALU_DEP_1)
	v_add_f32_e32 v1, v1, v24
	v_exp_f32_e32 v1, v1
	s_waitcnt_depctr 0xfff
	v_ldexp_f32 v1, v1, v10
	s_delay_alu instid0(VALU_DEP_1) | instskip(SKIP_1) | instid1(VALU_DEP_2)
	v_cndmask_b32_e32 v1, 0, v1, vcc_lo
	v_cmp_ngt_f32_e32 vcc_lo, 0xc2b17218, v9
	v_cndmask_b32_e32 v1, 0x7f800000, v1, vcc_lo
.LBB255_56:                             ;   in Loop: Header=BB255_4 Depth=1
	s_or_b32 exec_lo, exec_lo, s6
	s_delay_alu instid0(VALU_DEP_1) | instskip(SKIP_1) | instid1(VALU_DEP_1)
	v_dual_add_f32 v24, s10, v1 :: v_dual_add_f32 v1, s11, v23
                                        ; implicit-def: $vgpr10
	s_mov_b32 s6, exec_lo
	v_cmp_gt_f32_e32 vcc_lo, 0, v24
	v_cndmask_b32_e64 v23, v24, -v24, vcc_lo
	s_delay_alu instid0(VALU_DEP_3) | instskip(SKIP_1) | instid1(VALU_DEP_1)
	v_cmp_gt_f32_e32 vcc_lo, 0, v1
	v_cndmask_b32_e64 v25, v1, -v1, vcc_lo
	v_cmpx_ge_f32_e32 v23, v25
	s_xor_b32 s7, exec_lo, s6
	s_cbranch_execz .LBB255_62
; %bb.57:                               ;   in Loop: Header=BB255_4 Depth=1
	v_cmp_neq_f32_e32 vcc_lo, 0, v24
	v_cmp_neq_f32_e64 s6, 0, v1
                                        ; implicit-def: $vgpr10
	s_delay_alu instid0(VALU_DEP_1) | instskip(NEXT) | instid1(SALU_CYCLE_1)
	s_or_b32 s6, vcc_lo, s6
	s_and_saveexec_b32 s8, s6
	s_delay_alu instid0(SALU_CYCLE_1)
	s_xor_b32 s6, exec_lo, s8
	s_cbranch_execz .LBB255_59
; %bb.58:                               ;   in Loop: Header=BB255_4 Depth=1
	v_div_scale_f32 v9, null, v24, v24, v1
	v_div_scale_f32 v25, vcc_lo, v1, v24, v1
	s_delay_alu instid0(VALU_DEP_2) | instskip(SKIP_2) | instid1(VALU_DEP_1)
	v_rcp_f32_e32 v10, v9
	s_waitcnt_depctr 0xfff
	v_fma_f32 v23, -v9, v10, 1.0
	v_fmac_f32_e32 v10, v23, v10
	s_delay_alu instid0(VALU_DEP_1) | instskip(NEXT) | instid1(VALU_DEP_1)
	v_mul_f32_e32 v23, v25, v10
	v_fma_f32 v26, -v9, v23, v25
	s_delay_alu instid0(VALU_DEP_1) | instskip(NEXT) | instid1(VALU_DEP_1)
	v_fmac_f32_e32 v23, v26, v10
	v_fma_f32 v9, -v9, v23, v25
	s_delay_alu instid0(VALU_DEP_1) | instskip(NEXT) | instid1(VALU_DEP_1)
	v_div_fmas_f32 v9, v9, v10, v23
	v_div_fixup_f32 v9, v9, v24, v1
	s_delay_alu instid0(VALU_DEP_1) | instskip(NEXT) | instid1(VALU_DEP_1)
	v_fmac_f32_e32 v24, v1, v9
	v_div_scale_f32 v1, null, v24, v24, 1.0
	v_div_scale_f32 v25, vcc_lo, 1.0, v24, 1.0
	s_delay_alu instid0(VALU_DEP_2) | instskip(SKIP_2) | instid1(VALU_DEP_1)
	v_rcp_f32_e32 v10, v1
	s_waitcnt_depctr 0xfff
	v_fma_f32 v23, -v1, v10, 1.0
	v_fmac_f32_e32 v10, v23, v10
	s_delay_alu instid0(VALU_DEP_1) | instskip(NEXT) | instid1(VALU_DEP_1)
	v_mul_f32_e32 v23, v25, v10
	v_fma_f32 v26, -v1, v23, v25
	s_delay_alu instid0(VALU_DEP_1) | instskip(NEXT) | instid1(VALU_DEP_1)
	v_fmac_f32_e32 v23, v26, v10
	v_fma_f32 v1, -v1, v23, v25
                                        ; implicit-def: $vgpr25
	s_delay_alu instid0(VALU_DEP_1) | instskip(SKIP_2) | instid1(VALU_DEP_3)
	v_div_fmas_f32 v1, v1, v10, v23
	v_fma_f32 v10, v9, s11, s10
	v_fma_f32 v23, -v9, s10, s11
	v_div_fixup_f32 v1, v1, v24, 1.0
	s_delay_alu instid0(VALU_DEP_1) | instskip(NEXT) | instid1(VALU_DEP_3)
	v_mul_f32_e32 v9, v10, v1
	v_mul_f32_e32 v10, v23, v1
                                        ; implicit-def: $vgpr23
.LBB255_59:                             ;   in Loop: Header=BB255_4 Depth=1
	s_and_not1_saveexec_b32 s8, s6
	s_cbranch_execz .LBB255_61
; %bb.60:                               ;   in Loop: Header=BB255_4 Depth=1
	v_div_scale_f32 v1, null, v23, v23, s10
	v_div_scale_f32 v9, null, v25, v25, s11
	v_div_scale_f32 v28, vcc_lo, s10, v23, s10
	s_delay_alu instid0(VALU_DEP_3) | instskip(NEXT) | instid1(VALU_DEP_2)
	v_rcp_f32_e32 v10, v1
	v_rcp_f32_e32 v24, v9
	s_waitcnt_depctr 0xfff
	v_fma_f32 v26, -v1, v10, 1.0
	v_fma_f32 v27, -v9, v24, 1.0
	s_delay_alu instid0(VALU_DEP_1) | instskip(NEXT) | instid1(VALU_DEP_3)
	v_fmac_f32_e32 v24, v27, v24
	v_fmac_f32_e32 v10, v26, v10
	v_div_scale_f32 v26, s6, s11, v25, s11
	s_delay_alu instid0(VALU_DEP_1) | instskip(NEXT) | instid1(VALU_DEP_1)
	v_mul_f32_e32 v29, v26, v24
	v_fma_f32 v31, -v9, v29, v26
	s_delay_alu instid0(VALU_DEP_1) | instskip(SKIP_1) | instid1(VALU_DEP_2)
	v_fmac_f32_e32 v29, v31, v24
	v_mul_f32_e32 v27, v28, v10
	v_fma_f32 v9, -v9, v29, v26
	s_delay_alu instid0(VALU_DEP_2) | instskip(NEXT) | instid1(VALU_DEP_1)
	v_fma_f32 v30, -v1, v27, v28
	v_fmac_f32_e32 v27, v30, v10
	s_delay_alu instid0(VALU_DEP_1) | instskip(NEXT) | instid1(VALU_DEP_1)
	v_fma_f32 v1, -v1, v27, v28
	v_div_fmas_f32 v1, v1, v10, v27
	s_mov_b32 vcc_lo, s6
	v_div_fmas_f32 v10, v9, v24, v29
	s_delay_alu instid0(VALU_DEP_2) | instskip(NEXT) | instid1(VALU_DEP_2)
	v_div_fixup_f32 v9, v1, v23, s10
	v_div_fixup_f32 v10, v10, v25, s11
.LBB255_61:                             ;   in Loop: Header=BB255_4 Depth=1
	s_or_b32 exec_lo, exec_lo, s8
                                        ; implicit-def: $vgpr1
                                        ; implicit-def: $vgpr24
.LBB255_62:                             ;   in Loop: Header=BB255_4 Depth=1
	s_and_not1_saveexec_b32 s6, s7
	s_cbranch_execz .LBB255_64
; %bb.63:                               ;   in Loop: Header=BB255_4 Depth=1
	v_div_scale_f32 v9, null, v1, v1, v24
	v_div_scale_f32 v25, vcc_lo, v24, v1, v24
	s_delay_alu instid0(VALU_DEP_2) | instskip(SKIP_2) | instid1(VALU_DEP_1)
	v_rcp_f32_e32 v10, v9
	s_waitcnt_depctr 0xfff
	v_fma_f32 v23, -v9, v10, 1.0
	v_fmac_f32_e32 v10, v23, v10
	s_delay_alu instid0(VALU_DEP_1) | instskip(NEXT) | instid1(VALU_DEP_1)
	v_mul_f32_e32 v23, v25, v10
	v_fma_f32 v26, -v9, v23, v25
	s_delay_alu instid0(VALU_DEP_1) | instskip(NEXT) | instid1(VALU_DEP_1)
	v_fmac_f32_e32 v23, v26, v10
	v_fma_f32 v9, -v9, v23, v25
	s_delay_alu instid0(VALU_DEP_1) | instskip(NEXT) | instid1(VALU_DEP_1)
	v_div_fmas_f32 v9, v9, v10, v23
	v_div_fixup_f32 v9, v9, v1, v24
	s_delay_alu instid0(VALU_DEP_1) | instskip(NEXT) | instid1(VALU_DEP_1)
	v_fmac_f32_e32 v1, v24, v9
	v_div_scale_f32 v10, null, v1, v1, 1.0
	v_div_scale_f32 v25, vcc_lo, 1.0, v1, 1.0
	s_delay_alu instid0(VALU_DEP_2) | instskip(SKIP_2) | instid1(VALU_DEP_1)
	v_rcp_f32_e32 v23, v10
	s_waitcnt_depctr 0xfff
	v_fma_f32 v24, -v10, v23, 1.0
	v_fmac_f32_e32 v23, v24, v23
	s_delay_alu instid0(VALU_DEP_1) | instskip(NEXT) | instid1(VALU_DEP_1)
	v_mul_f32_e32 v24, v25, v23
	v_fma_f32 v26, -v10, v24, v25
	s_delay_alu instid0(VALU_DEP_1) | instskip(NEXT) | instid1(VALU_DEP_1)
	v_fmac_f32_e32 v24, v26, v23
	v_fma_f32 v10, -v10, v24, v25
	s_delay_alu instid0(VALU_DEP_1) | instskip(SKIP_1) | instid1(VALU_DEP_2)
	v_div_fmas_f32 v10, v10, v23, v24
	v_fma_f32 v23, v9, s10, s11
	v_div_fixup_f32 v1, v10, v1, 1.0
	v_fma_f32 v10, v9, s11, -s10
	s_delay_alu instid0(VALU_DEP_2) | instskip(NEXT) | instid1(VALU_DEP_2)
	v_mul_f32_e32 v9, v23, v1
	v_mul_f32_e32 v10, v10, v1
.LBB255_64:                             ;   in Loop: Header=BB255_4 Depth=1
	s_or_b32 exec_lo, exec_lo, s6
	v_and_b32_e32 v24, 0x7fffffff, v14
	v_xor_b32_e32 v23, 0x80000000, v14
                                        ; implicit-def: $vgpr1
	s_mov_b32 s6, exec_lo
	s_delay_alu instid0(VALU_DEP_2)
	v_cmpx_ne_u32_e32 0, v24
	s_xor_b32 s29, exec_lo, s6
	s_cbranch_execz .LBB255_106
; %bb.65:                               ;   in Loop: Header=BB255_4 Depth=1
	v_and_b32_e32 v26, 0x7fffffff, v13
                                        ; implicit-def: $vgpr1
	s_mov_b32 s6, exec_lo
	s_delay_alu instid0(VALU_DEP_1)
	v_cmpx_ne_u32_e32 0, v26
	s_xor_b32 s30, exec_lo, s6
	s_cbranch_execz .LBB255_95
; %bb.66:                               ;   in Loop: Header=BB255_4 Depth=1
	v_xor_b32_e32 v25, 0x80000000, v13
                                        ; implicit-def: $vgpr1
	s_mov_b32 s6, exec_lo
	v_cmpx_gt_u32_e32 0x7f800000, v24
	s_xor_b32 s31, exec_lo, s6
	s_cbranch_execz .LBB255_88
; %bb.67:                               ;   in Loop: Header=BB255_4 Depth=1
	v_add_nc_u32_e32 v1, 0xbd4e8de8, v25
	s_delay_alu instid0(VALU_DEP_1) | instskip(SKIP_1) | instid1(SALU_CYCLE_1)
	v_cmp_lt_u32_e32 vcc_lo, 0x8e8e5c, v1
                                        ; implicit-def: $vgpr1
	s_and_saveexec_b32 s6, vcc_lo
	s_xor_b32 s33, exec_lo, s6
	s_cbranch_execz .LBB255_77
; %bb.68:                               ;   in Loop: Header=BB255_4 Depth=1
	v_cmp_ngt_f32_e64 s34, 0x48000000, |v14|
                                        ; implicit-def: $vgpr26
                                        ; implicit-def: $vgpr25
	s_delay_alu instid0(VALU_DEP_1) | instskip(NEXT) | instid1(SALU_CYCLE_1)
	s_and_saveexec_b32 s6, s34
	s_xor_b32 s35, exec_lo, s6
	s_cbranch_execz .LBB255_70
; %bb.69:                               ;   in Loop: Header=BB255_4 Depth=1
	v_lshrrev_b32_e32 v30, 23, v24
	v_and_or_b32 v33, v24, s25, 0x800000
	s_delay_alu instid0(VALU_DEP_2) | instskip(NEXT) | instid1(VALU_DEP_2)
	v_add_nc_u32_e32 v31, 0xffffff88, v30
	v_mad_u64_u32 v[25:26], null, 0xfe5163ab, v33, 0
	s_delay_alu instid0(VALU_DEP_2) | instskip(SKIP_1) | instid1(VALU_DEP_1)
	v_cmp_lt_u32_e32 vcc_lo, 63, v31
	v_cndmask_b32_e64 v32, 0, 0xffffffc0, vcc_lo
	v_dual_mov_b32 v1, v26 :: v_dual_add_nc_u32 v32, v32, v31
	s_delay_alu instid0(VALU_DEP_1) | instskip(NEXT) | instid1(VALU_DEP_2)
	v_mad_u64_u32 v[26:27], null, 0x3c439041, v33, v[1:2]
	v_cmp_lt_u32_e64 s6, 31, v32
	s_delay_alu instid0(VALU_DEP_1) | instskip(NEXT) | instid1(VALU_DEP_1)
	v_cndmask_b32_e64 v34, 0, 0xffffffe0, s6
	v_dual_mov_b32 v1, v27 :: v_dual_add_nc_u32 v34, v34, v32
	s_delay_alu instid0(VALU_DEP_1) | instskip(NEXT) | instid1(VALU_DEP_2)
	v_mad_u64_u32 v[27:28], null, 0xdb629599, v33, v[1:2]
	v_cmp_lt_u32_e64 s7, 31, v34
	s_delay_alu instid0(VALU_DEP_2) | instskip(NEXT) | instid1(VALU_DEP_3)
	v_mov_b32_e32 v1, v28
	v_cndmask_b32_e32 v25, v27, v25, vcc_lo
	s_delay_alu instid0(VALU_DEP_2) | instskip(NEXT) | instid1(VALU_DEP_1)
	v_mad_u64_u32 v[28:29], null, 0xf534ddc0, v33, v[1:2]
	v_dual_mov_b32 v1, v29 :: v_dual_cndmask_b32 v26, v28, v26
	s_delay_alu instid0(VALU_DEP_1) | instskip(NEXT) | instid1(VALU_DEP_2)
	v_mad_u64_u32 v[29:30], null, 0xfc2757d1, v33, v[1:2]
	v_cndmask_b32_e64 v25, v26, v25, s6
	s_delay_alu instid0(VALU_DEP_2) | instskip(NEXT) | instid1(VALU_DEP_1)
	v_mov_b32_e32 v1, v30
	v_mad_u64_u32 v[30:31], null, 0x4e441529, v33, v[1:2]
	s_delay_alu instid0(VALU_DEP_1) | instskip(NEXT) | instid1(VALU_DEP_1)
	v_mov_b32_e32 v1, v31
	v_mad_u64_u32 v[31:32], null, 0xa2f9836e, v33, v[1:2]
	v_cndmask_b32_e64 v1, 0, 0xffffffe0, s7
	s_delay_alu instid0(VALU_DEP_4) | instskip(NEXT) | instid1(VALU_DEP_2)
	v_cndmask_b32_e32 v33, v30, v28, vcc_lo
	v_add_nc_u32_e32 v1, v1, v34
	s_delay_alu instid0(VALU_DEP_4) | instskip(SKIP_1) | instid1(VALU_DEP_3)
	v_dual_cndmask_b32 v31, v31, v29 :: v_dual_cndmask_b32 v30, v32, v30
	v_cndmask_b32_e32 v29, v29, v27, vcc_lo
	v_sub_nc_u32_e32 v32, 32, v1
	s_delay_alu instid0(VALU_DEP_3) | instskip(NEXT) | instid1(VALU_DEP_4)
	v_cndmask_b32_e64 v28, v31, v33, s6
	v_cndmask_b32_e64 v30, v30, v31, s6
	s_delay_alu instid0(VALU_DEP_4) | instskip(SKIP_2) | instid1(VALU_DEP_4)
	v_cndmask_b32_e64 v31, v33, v29, s6
	v_cndmask_b32_e64 v29, v29, v26, s6
	v_cmp_eq_u32_e64 s8, 0, v1
	v_cndmask_b32_e64 v30, v30, v28, s7
	s_delay_alu instid0(VALU_DEP_4) | instskip(NEXT) | instid1(VALU_DEP_4)
	v_cndmask_b32_e64 v28, v28, v31, s7
	v_cndmask_b32_e64 v31, v31, v29, s7
	;; [unrolled: 1-line block ×3, first 2 shown]
	s_delay_alu instid0(VALU_DEP_3) | instskip(NEXT) | instid1(VALU_DEP_3)
	v_alignbit_b32 v33, v30, v28, v32
	v_alignbit_b32 v34, v28, v31, v32
	s_delay_alu instid0(VALU_DEP_3) | instskip(NEXT) | instid1(VALU_DEP_3)
	v_alignbit_b32 v32, v31, v25, v32
	v_cndmask_b32_e64 v1, v33, v30, s8
	s_delay_alu instid0(VALU_DEP_3) | instskip(NEXT) | instid1(VALU_DEP_3)
	v_cndmask_b32_e64 v27, v34, v28, s8
	v_cndmask_b32_e64 v31, v32, v31, s8
	s_delay_alu instid0(VALU_DEP_3) | instskip(NEXT) | instid1(VALU_DEP_3)
	v_bfe_u32 v28, v1, 29, 1
	v_alignbit_b32 v26, v1, v27, 30
	s_delay_alu instid0(VALU_DEP_3) | instskip(SKIP_1) | instid1(VALU_DEP_4)
	v_alignbit_b32 v27, v27, v31, 30
	v_alignbit_b32 v25, v31, v25, 30
	v_sub_nc_u32_e32 v30, 0, v28
	s_delay_alu instid0(VALU_DEP_1) | instskip(SKIP_3) | instid1(VALU_DEP_4)
	v_xor_b32_e32 v29, v26, v30
	v_cmp_ne_u32_e32 vcc_lo, v26, v30
	v_xor_b32_e32 v27, v27, v30
	v_xor_b32_e32 v25, v25, v30
	v_clz_i32_u32_e32 v33, v29
	s_delay_alu instid0(VALU_DEP_1) | instskip(NEXT) | instid1(VALU_DEP_1)
	v_add_nc_u32_e32 v32, 1, v33
	v_cndmask_b32_e32 v26, 33, v32, vcc_lo
	s_delay_alu instid0(VALU_DEP_1) | instskip(NEXT) | instid1(VALU_DEP_1)
	v_sub_nc_u32_e32 v31, 32, v26
	v_alignbit_b32 v29, v29, v27, v31
	v_alignbit_b32 v25, v27, v25, v31
	v_lshrrev_b32_e32 v27, 29, v1
	v_lshrrev_b32_e32 v1, 30, v1
	s_delay_alu instid0(VALU_DEP_3) | instskip(NEXT) | instid1(VALU_DEP_3)
	v_alignbit_b32 v30, v29, v25, 9
	v_lshlrev_b32_e32 v27, 31, v27
	v_alignbit_b32 v29, v26, v29, 9
	s_delay_alu instid0(VALU_DEP_3) | instskip(NEXT) | instid1(VALU_DEP_2)
	v_clz_i32_u32_e32 v31, v30
	v_or_b32_e32 v29, v29, v27
	v_or_b32_e32 v27, 0x33800000, v27
	s_delay_alu instid0(VALU_DEP_3) | instskip(NEXT) | instid1(VALU_DEP_3)
	v_min_u32_e32 v31, 32, v31
	v_xor_b32_e32 v29, 1.0, v29
	s_delay_alu instid0(VALU_DEP_2) | instskip(SKIP_1) | instid1(VALU_DEP_3)
	v_sub_nc_u32_e32 v32, 31, v31
	v_add_lshl_u32 v26, v31, v26, 23
	v_mul_f32_e32 v31, 0x3fc90fda, v29
	s_delay_alu instid0(VALU_DEP_3) | instskip(NEXT) | instid1(VALU_DEP_3)
	v_alignbit_b32 v25, v30, v25, v32
	v_sub_nc_u32_e32 v26, v27, v26
	s_delay_alu instid0(VALU_DEP_3) | instskip(NEXT) | instid1(VALU_DEP_3)
	v_fma_f32 v27, 0x3fc90fda, v29, -v31
	v_lshrrev_b32_e32 v25, 9, v25
	s_delay_alu instid0(VALU_DEP_2) | instskip(NEXT) | instid1(VALU_DEP_2)
	v_fmac_f32_e32 v27, 0x33a22168, v29
	v_or_b32_e32 v25, v26, v25
	v_add_nc_u32_e32 v26, v28, v1
	s_delay_alu instid0(VALU_DEP_2) | instskip(NEXT) | instid1(VALU_DEP_1)
	v_fmac_f32_e32 v27, 0x3fc90fda, v25
	v_add_f32_e32 v25, v31, v27
	s_and_not1_saveexec_b32 s6, s35
	s_branch .LBB255_71
.LBB255_70:                             ;   in Loop: Header=BB255_4 Depth=1
	s_and_not1_saveexec_b32 s6, s35
.LBB255_71:                             ;   in Loop: Header=BB255_4 Depth=1
	v_mul_f32_e64 v1, 0x3f22f983, |v14|
	s_delay_alu instid0(VALU_DEP_1) | instskip(NEXT) | instid1(VALU_DEP_1)
	v_rndne_f32_e32 v1, v1
	v_fma_f32 v25, 0xbfc90fda, v1, |v14|
	v_cvt_i32_f32_e32 v26, v1
	s_delay_alu instid0(VALU_DEP_2) | instskip(NEXT) | instid1(VALU_DEP_1)
	v_fmac_f32_e32 v25, 0xb3a22168, v1
	v_fmac_f32_e32 v25, 0xa7c234c4, v1
; %bb.72:                               ;   in Loop: Header=BB255_4 Depth=1
	s_or_b32 exec_lo, exec_lo, s6
                                        ; implicit-def: $vgpr27
                                        ; implicit-def: $vgpr1
	s_and_saveexec_b32 s6, s34
	s_delay_alu instid0(SALU_CYCLE_1)
	s_xor_b32 s34, exec_lo, s6
	s_cbranch_execz .LBB255_74
; %bb.73:                               ;   in Loop: Header=BB255_4 Depth=1
	v_lshrrev_b32_e32 v32, 23, v24
	v_and_or_b32 v35, v24, s25, 0x800000
	s_delay_alu instid0(VALU_DEP_2) | instskip(NEXT) | instid1(VALU_DEP_2)
	v_add_nc_u32_e32 v33, 0xffffff88, v32
	v_mad_u64_u32 v[27:28], null, 0xfe5163ab, v35, 0
	s_delay_alu instid0(VALU_DEP_2) | instskip(SKIP_1) | instid1(VALU_DEP_1)
	v_cmp_lt_u32_e32 vcc_lo, 63, v33
	v_cndmask_b32_e64 v34, 0, 0xffffffc0, vcc_lo
	v_dual_mov_b32 v1, v28 :: v_dual_add_nc_u32 v34, v34, v33
	s_delay_alu instid0(VALU_DEP_1) | instskip(NEXT) | instid1(VALU_DEP_2)
	v_mad_u64_u32 v[28:29], null, 0x3c439041, v35, v[1:2]
	v_cmp_lt_u32_e64 s6, 31, v34
	s_delay_alu instid0(VALU_DEP_1) | instskip(NEXT) | instid1(VALU_DEP_1)
	v_cndmask_b32_e64 v36, 0, 0xffffffe0, s6
	v_dual_mov_b32 v1, v29 :: v_dual_add_nc_u32 v36, v36, v34
	s_delay_alu instid0(VALU_DEP_1) | instskip(NEXT) | instid1(VALU_DEP_2)
	v_mad_u64_u32 v[29:30], null, 0xdb629599, v35, v[1:2]
	v_cmp_lt_u32_e64 s7, 31, v36
	s_delay_alu instid0(VALU_DEP_2) | instskip(NEXT) | instid1(VALU_DEP_3)
	v_mov_b32_e32 v1, v30
	v_cndmask_b32_e32 v27, v29, v27, vcc_lo
	s_delay_alu instid0(VALU_DEP_2) | instskip(NEXT) | instid1(VALU_DEP_1)
	v_mad_u64_u32 v[30:31], null, 0xf534ddc0, v35, v[1:2]
	v_dual_mov_b32 v1, v31 :: v_dual_cndmask_b32 v28, v30, v28
	s_delay_alu instid0(VALU_DEP_1) | instskip(NEXT) | instid1(VALU_DEP_2)
	v_mad_u64_u32 v[31:32], null, 0xfc2757d1, v35, v[1:2]
	v_cndmask_b32_e64 v27, v28, v27, s6
	s_delay_alu instid0(VALU_DEP_2) | instskip(NEXT) | instid1(VALU_DEP_1)
	v_mov_b32_e32 v1, v32
	v_mad_u64_u32 v[32:33], null, 0x4e441529, v35, v[1:2]
	s_delay_alu instid0(VALU_DEP_1) | instskip(NEXT) | instid1(VALU_DEP_1)
	v_mov_b32_e32 v1, v33
	v_mad_u64_u32 v[33:34], null, 0xa2f9836e, v35, v[1:2]
	v_cndmask_b32_e64 v1, 0, 0xffffffe0, s7
	s_delay_alu instid0(VALU_DEP_4) | instskip(NEXT) | instid1(VALU_DEP_2)
	v_cndmask_b32_e32 v35, v32, v30, vcc_lo
	v_add_nc_u32_e32 v1, v1, v36
	s_delay_alu instid0(VALU_DEP_4) | instskip(SKIP_1) | instid1(VALU_DEP_3)
	v_dual_cndmask_b32 v33, v33, v31 :: v_dual_cndmask_b32 v32, v34, v32
	v_cndmask_b32_e32 v31, v31, v29, vcc_lo
	v_sub_nc_u32_e32 v34, 32, v1
	s_delay_alu instid0(VALU_DEP_3) | instskip(NEXT) | instid1(VALU_DEP_4)
	v_cndmask_b32_e64 v30, v33, v35, s6
	v_cndmask_b32_e64 v32, v32, v33, s6
	s_delay_alu instid0(VALU_DEP_4) | instskip(SKIP_2) | instid1(VALU_DEP_4)
	v_cndmask_b32_e64 v33, v35, v31, s6
	v_cndmask_b32_e64 v31, v31, v28, s6
	v_cmp_eq_u32_e64 s8, 0, v1
	v_cndmask_b32_e64 v32, v32, v30, s7
	s_delay_alu instid0(VALU_DEP_4) | instskip(NEXT) | instid1(VALU_DEP_4)
	v_cndmask_b32_e64 v30, v30, v33, s7
	v_cndmask_b32_e64 v33, v33, v31, s7
	;; [unrolled: 1-line block ×3, first 2 shown]
	s_delay_alu instid0(VALU_DEP_3) | instskip(NEXT) | instid1(VALU_DEP_3)
	v_alignbit_b32 v35, v32, v30, v34
	v_alignbit_b32 v36, v30, v33, v34
	s_delay_alu instid0(VALU_DEP_3) | instskip(NEXT) | instid1(VALU_DEP_3)
	v_alignbit_b32 v34, v33, v27, v34
	v_cndmask_b32_e64 v1, v35, v32, s8
	s_delay_alu instid0(VALU_DEP_3) | instskip(NEXT) | instid1(VALU_DEP_3)
	v_cndmask_b32_e64 v29, v36, v30, s8
	v_cndmask_b32_e64 v33, v34, v33, s8
	s_delay_alu instid0(VALU_DEP_3) | instskip(NEXT) | instid1(VALU_DEP_3)
	v_bfe_u32 v30, v1, 29, 1
	v_alignbit_b32 v28, v1, v29, 30
	s_delay_alu instid0(VALU_DEP_3) | instskip(SKIP_1) | instid1(VALU_DEP_4)
	v_alignbit_b32 v29, v29, v33, 30
	v_alignbit_b32 v27, v33, v27, 30
	v_sub_nc_u32_e32 v32, 0, v30
	s_delay_alu instid0(VALU_DEP_1) | instskip(SKIP_3) | instid1(VALU_DEP_4)
	v_xor_b32_e32 v31, v28, v32
	v_cmp_ne_u32_e32 vcc_lo, v28, v32
	v_xor_b32_e32 v29, v29, v32
	v_xor_b32_e32 v27, v27, v32
	v_clz_i32_u32_e32 v35, v31
	s_delay_alu instid0(VALU_DEP_1) | instskip(NEXT) | instid1(VALU_DEP_1)
	v_add_nc_u32_e32 v34, 1, v35
	v_cndmask_b32_e32 v28, 33, v34, vcc_lo
	s_delay_alu instid0(VALU_DEP_1) | instskip(NEXT) | instid1(VALU_DEP_1)
	v_sub_nc_u32_e32 v33, 32, v28
	v_alignbit_b32 v31, v31, v29, v33
	v_alignbit_b32 v27, v29, v27, v33
	v_lshrrev_b32_e32 v29, 29, v1
	s_delay_alu instid0(VALU_DEP_2) | instskip(NEXT) | instid1(VALU_DEP_2)
	v_alignbit_b32 v32, v31, v27, 9
	v_lshlrev_b32_e32 v29, 31, v29
	v_alignbit_b32 v31, v28, v31, 9
	s_delay_alu instid0(VALU_DEP_3) | instskip(NEXT) | instid1(VALU_DEP_2)
	v_clz_i32_u32_e32 v33, v32
	v_or_b32_e32 v31, v31, v29
	v_or_b32_e32 v29, 0x33800000, v29
	s_delay_alu instid0(VALU_DEP_3) | instskip(NEXT) | instid1(VALU_DEP_3)
	v_min_u32_e32 v33, 32, v33
	v_xor_b32_e32 v31, 1.0, v31
	s_delay_alu instid0(VALU_DEP_2) | instskip(SKIP_1) | instid1(VALU_DEP_3)
	v_sub_nc_u32_e32 v34, 31, v33
	v_add_lshl_u32 v28, v33, v28, 23
	v_mul_f32_e32 v33, 0x3fc90fda, v31
	s_delay_alu instid0(VALU_DEP_3) | instskip(NEXT) | instid1(VALU_DEP_3)
	v_alignbit_b32 v27, v32, v27, v34
	v_sub_nc_u32_e32 v28, v29, v28
	s_delay_alu instid0(VALU_DEP_3) | instskip(NEXT) | instid1(VALU_DEP_3)
	v_fma_f32 v29, 0x3fc90fda, v31, -v33
	v_lshrrev_b32_e32 v27, 9, v27
	s_delay_alu instid0(VALU_DEP_2) | instskip(NEXT) | instid1(VALU_DEP_2)
	v_fmac_f32_e32 v29, 0x33a22168, v31
	v_or_b32_e32 v27, v28, v27
	s_delay_alu instid0(VALU_DEP_1) | instskip(SKIP_1) | instid1(VALU_DEP_2)
	v_fmac_f32_e32 v29, 0x3fc90fda, v27
	v_lshrrev_b32_e32 v27, 30, v1
	v_add_f32_e32 v1, v33, v29
	s_delay_alu instid0(VALU_DEP_2)
	v_add_nc_u32_e32 v27, v30, v27
	s_and_not1_saveexec_b32 s6, s34
	s_cbranch_execnz .LBB255_75
	s_branch .LBB255_76
.LBB255_74:                             ;   in Loop: Header=BB255_4 Depth=1
	s_and_not1_saveexec_b32 s6, s34
.LBB255_75:                             ;   in Loop: Header=BB255_4 Depth=1
	v_mul_f32_e64 v1, 0x3f22f983, |v14|
	s_delay_alu instid0(VALU_DEP_1) | instskip(NEXT) | instid1(VALU_DEP_1)
	v_rndne_f32_e32 v27, v1
	v_fma_f32 v1, 0xbfc90fda, v27, |v14|
	s_delay_alu instid0(VALU_DEP_1) | instskip(NEXT) | instid1(VALU_DEP_1)
	v_fmac_f32_e32 v1, 0xb3a22168, v27
	v_fmac_f32_e32 v1, 0xa7c234c4, v27
	v_cvt_i32_f32_e32 v27, v27
.LBB255_76:                             ;   in Loop: Header=BB255_4 Depth=1
	s_or_b32 exec_lo, exec_lo, s6
	v_mul_f32_e32 v28, 0xbfb8aa3b, v13
	v_dual_mul_f32 v29, v25, v25 :: v_dual_and_b32 v30, 1, v26
	s_delay_alu instid0(VALU_DEP_3) | instskip(SKIP_1) | instid1(VALU_DEP_4)
	v_and_b32_e32 v34, 1, v27
	v_lshlrev_b32_e32 v27, 30, v27
	v_rndne_f32_e32 v31, v28
	s_delay_alu instid0(VALU_DEP_4) | instskip(SKIP_2) | instid1(VALU_DEP_4)
	v_fmaak_f32 v35, s26, v29, 0x3c0881c4
	v_fma_f32 v32, 0xbfb8aa3b, v13, -v28
	v_dual_mul_f32 v33, v1, v1 :: v_dual_lshlrev_b32 v26, 30, v26
	v_sub_f32_e32 v28, v28, v31
	v_cmp_eq_u32_e32 vcc_lo, 0, v30
	s_delay_alu instid0(VALU_DEP_4)
	v_fmac_f32_e32 v32, 0xb2a5705f, v13
	v_cvt_i32_f32_e32 v31, v31
	v_fmaak_f32 v37, s26, v33, 0x3c0881c4
	v_fmaak_f32 v38, s27, v33, 0xbab64f3b
	v_and_or_b32 v24, 0x80000000, v27, v24
	v_add_f32_e32 v28, v28, v32
	v_fmaak_f32 v32, v29, v35, 0xbe2aaa9d
	v_cmp_ngt_f32_e64 s6, 0xc2b17218, v13
	s_delay_alu instid0(VALU_DEP_2) | instskip(NEXT) | instid1(VALU_DEP_1)
	v_mul_f32_e32 v32, v29, v32
	v_dual_fmaak_f32 v36, s27, v29, 0xbab64f3b :: v_dual_fmac_f32 v25, v25, v32
	s_delay_alu instid0(VALU_DEP_1) | instskip(SKIP_3) | instid1(VALU_DEP_3)
	v_fmaak_f32 v35, v29, v36, 0x3d2aabf7
	v_fmaak_f32 v36, v33, v37, 0xbe2aaa9d
	;; [unrolled: 1-line block ×3, first 2 shown]
	v_exp_f32_e32 v28, v28
	v_fmaak_f32 v35, v29, v35, 0xbf000004
	s_delay_alu instid0(VALU_DEP_2) | instskip(NEXT) | instid1(VALU_DEP_2)
	v_fmaak_f32 v37, v33, v37, 0xbf000004
	v_fma_f32 v29, v29, v35, 1.0
	s_delay_alu instid0(VALU_DEP_2)
	v_fma_f32 v32, v33, v37, 1.0
	s_waitcnt_depctr 0xfff
	v_ldexp_f32 v28, v28, v31
	v_cndmask_b32_e64 v25, -v25, v29, vcc_lo
	v_cmp_eq_u32_e32 vcc_lo, 0, v34
	v_mul_f32_e32 v36, v33, v36
	s_delay_alu instid0(VALU_DEP_1) | instskip(NEXT) | instid1(VALU_DEP_1)
	v_fmac_f32_e32 v1, v1, v36
	v_cndmask_b32_e32 v1, v32, v1, vcc_lo
	v_cmp_nlt_f32_e32 vcc_lo, 0x42ce8ed0, v13
	s_delay_alu instid0(VALU_DEP_2) | instskip(SKIP_2) | instid1(VALU_DEP_2)
	v_xor3_b32 v1, v24, v1, v23
	v_cndmask_b32_e32 v27, 0, v28, vcc_lo
	v_cmp_class_f32_e64 vcc_lo, v14, 0x1f8
                                        ; implicit-def: $vgpr24
	v_cndmask_b32_e64 v13, 0x7f800000, v27, s6
	s_delay_alu instid0(VALU_DEP_4) | instskip(NEXT) | instid1(VALU_DEP_1)
	v_cndmask_b32_e32 v23, 0x7fc00000, v1, vcc_lo
	v_dual_mul_f32 v23, v13, v23 :: v_dual_and_b32 v26, 0x80000000, v26
	s_delay_alu instid0(VALU_DEP_1) | instskip(NEXT) | instid1(VALU_DEP_1)
	v_xor_b32_e32 v25, v26, v25
	v_cndmask_b32_e32 v14, 0x7fc00000, v25, vcc_lo
	s_delay_alu instid0(VALU_DEP_1)
	v_mul_f32_e32 v1, v13, v14
                                        ; implicit-def: $vgpr14
.LBB255_77:                             ;   in Loop: Header=BB255_4 Depth=1
	s_and_not1_saveexec_b32 s33, s33
	s_cbranch_execz .LBB255_87
; %bb.78:                               ;   in Loop: Header=BB255_4 Depth=1
	v_cmp_ngt_f32_e64 s34, 0x48000000, |v14|
                                        ; implicit-def: $vgpr26
                                        ; implicit-def: $vgpr25
	s_delay_alu instid0(VALU_DEP_1) | instskip(NEXT) | instid1(SALU_CYCLE_1)
	s_and_saveexec_b32 s6, s34
	s_xor_b32 s35, exec_lo, s6
	s_cbranch_execz .LBB255_80
; %bb.79:                               ;   in Loop: Header=BB255_4 Depth=1
	v_lshrrev_b32_e32 v30, 23, v24
	v_and_or_b32 v33, v24, s25, 0x800000
	s_delay_alu instid0(VALU_DEP_2) | instskip(NEXT) | instid1(VALU_DEP_2)
	v_add_nc_u32_e32 v31, 0xffffff88, v30
	v_mad_u64_u32 v[25:26], null, 0xfe5163ab, v33, 0
	s_delay_alu instid0(VALU_DEP_2) | instskip(SKIP_1) | instid1(VALU_DEP_1)
	v_cmp_lt_u32_e32 vcc_lo, 63, v31
	v_cndmask_b32_e64 v32, 0, 0xffffffc0, vcc_lo
	v_dual_mov_b32 v1, v26 :: v_dual_add_nc_u32 v32, v32, v31
	s_delay_alu instid0(VALU_DEP_1) | instskip(NEXT) | instid1(VALU_DEP_2)
	v_mad_u64_u32 v[26:27], null, 0x3c439041, v33, v[1:2]
	v_cmp_lt_u32_e64 s6, 31, v32
	s_delay_alu instid0(VALU_DEP_1) | instskip(NEXT) | instid1(VALU_DEP_1)
	v_cndmask_b32_e64 v34, 0, 0xffffffe0, s6
	v_dual_mov_b32 v1, v27 :: v_dual_add_nc_u32 v34, v34, v32
	s_delay_alu instid0(VALU_DEP_1) | instskip(NEXT) | instid1(VALU_DEP_2)
	v_mad_u64_u32 v[27:28], null, 0xdb629599, v33, v[1:2]
	v_cmp_lt_u32_e64 s7, 31, v34
	s_delay_alu instid0(VALU_DEP_2) | instskip(NEXT) | instid1(VALU_DEP_3)
	v_mov_b32_e32 v1, v28
	v_cndmask_b32_e32 v25, v27, v25, vcc_lo
	s_delay_alu instid0(VALU_DEP_2) | instskip(NEXT) | instid1(VALU_DEP_1)
	v_mad_u64_u32 v[28:29], null, 0xf534ddc0, v33, v[1:2]
	v_dual_mov_b32 v1, v29 :: v_dual_cndmask_b32 v26, v28, v26
	s_delay_alu instid0(VALU_DEP_1) | instskip(NEXT) | instid1(VALU_DEP_2)
	v_mad_u64_u32 v[29:30], null, 0xfc2757d1, v33, v[1:2]
	v_cndmask_b32_e64 v25, v26, v25, s6
	s_delay_alu instid0(VALU_DEP_2) | instskip(NEXT) | instid1(VALU_DEP_1)
	v_mov_b32_e32 v1, v30
	v_mad_u64_u32 v[30:31], null, 0x4e441529, v33, v[1:2]
	s_delay_alu instid0(VALU_DEP_1) | instskip(NEXT) | instid1(VALU_DEP_1)
	v_mov_b32_e32 v1, v31
	v_mad_u64_u32 v[31:32], null, 0xa2f9836e, v33, v[1:2]
	v_cndmask_b32_e64 v1, 0, 0xffffffe0, s7
	s_delay_alu instid0(VALU_DEP_4) | instskip(NEXT) | instid1(VALU_DEP_2)
	v_cndmask_b32_e32 v33, v30, v28, vcc_lo
	v_add_nc_u32_e32 v1, v1, v34
	s_delay_alu instid0(VALU_DEP_4) | instskip(SKIP_1) | instid1(VALU_DEP_3)
	v_dual_cndmask_b32 v31, v31, v29 :: v_dual_cndmask_b32 v30, v32, v30
	v_cndmask_b32_e32 v29, v29, v27, vcc_lo
	v_sub_nc_u32_e32 v32, 32, v1
	s_delay_alu instid0(VALU_DEP_3) | instskip(NEXT) | instid1(VALU_DEP_4)
	v_cndmask_b32_e64 v28, v31, v33, s6
	v_cndmask_b32_e64 v30, v30, v31, s6
	s_delay_alu instid0(VALU_DEP_4) | instskip(SKIP_2) | instid1(VALU_DEP_4)
	v_cndmask_b32_e64 v31, v33, v29, s6
	v_cndmask_b32_e64 v29, v29, v26, s6
	v_cmp_eq_u32_e64 s8, 0, v1
	v_cndmask_b32_e64 v30, v30, v28, s7
	s_delay_alu instid0(VALU_DEP_4) | instskip(NEXT) | instid1(VALU_DEP_4)
	v_cndmask_b32_e64 v28, v28, v31, s7
	v_cndmask_b32_e64 v31, v31, v29, s7
	;; [unrolled: 1-line block ×3, first 2 shown]
	s_delay_alu instid0(VALU_DEP_3) | instskip(NEXT) | instid1(VALU_DEP_3)
	v_alignbit_b32 v33, v30, v28, v32
	v_alignbit_b32 v34, v28, v31, v32
	s_delay_alu instid0(VALU_DEP_3) | instskip(NEXT) | instid1(VALU_DEP_3)
	v_alignbit_b32 v32, v31, v25, v32
	v_cndmask_b32_e64 v1, v33, v30, s8
	s_delay_alu instid0(VALU_DEP_3) | instskip(NEXT) | instid1(VALU_DEP_3)
	v_cndmask_b32_e64 v27, v34, v28, s8
	v_cndmask_b32_e64 v31, v32, v31, s8
	s_delay_alu instid0(VALU_DEP_3) | instskip(NEXT) | instid1(VALU_DEP_3)
	v_bfe_u32 v28, v1, 29, 1
	v_alignbit_b32 v26, v1, v27, 30
	s_delay_alu instid0(VALU_DEP_3) | instskip(SKIP_1) | instid1(VALU_DEP_4)
	v_alignbit_b32 v27, v27, v31, 30
	v_alignbit_b32 v25, v31, v25, 30
	v_sub_nc_u32_e32 v30, 0, v28
	s_delay_alu instid0(VALU_DEP_1) | instskip(SKIP_3) | instid1(VALU_DEP_4)
	v_xor_b32_e32 v29, v26, v30
	v_cmp_ne_u32_e32 vcc_lo, v26, v30
	v_xor_b32_e32 v27, v27, v30
	v_xor_b32_e32 v25, v25, v30
	v_clz_i32_u32_e32 v33, v29
	s_delay_alu instid0(VALU_DEP_1) | instskip(NEXT) | instid1(VALU_DEP_1)
	v_add_nc_u32_e32 v32, 1, v33
	v_cndmask_b32_e32 v26, 33, v32, vcc_lo
	s_delay_alu instid0(VALU_DEP_1) | instskip(NEXT) | instid1(VALU_DEP_1)
	v_sub_nc_u32_e32 v31, 32, v26
	v_alignbit_b32 v29, v29, v27, v31
	v_alignbit_b32 v25, v27, v25, v31
	v_lshrrev_b32_e32 v27, 29, v1
	v_lshrrev_b32_e32 v1, 30, v1
	s_delay_alu instid0(VALU_DEP_3) | instskip(NEXT) | instid1(VALU_DEP_3)
	v_alignbit_b32 v30, v29, v25, 9
	v_lshlrev_b32_e32 v27, 31, v27
	v_alignbit_b32 v29, v26, v29, 9
	s_delay_alu instid0(VALU_DEP_3) | instskip(NEXT) | instid1(VALU_DEP_2)
	v_clz_i32_u32_e32 v31, v30
	v_or_b32_e32 v29, v29, v27
	v_or_b32_e32 v27, 0x33800000, v27
	s_delay_alu instid0(VALU_DEP_3) | instskip(NEXT) | instid1(VALU_DEP_3)
	v_min_u32_e32 v31, 32, v31
	v_xor_b32_e32 v29, 1.0, v29
	s_delay_alu instid0(VALU_DEP_2) | instskip(SKIP_1) | instid1(VALU_DEP_3)
	v_sub_nc_u32_e32 v32, 31, v31
	v_add_lshl_u32 v26, v31, v26, 23
	v_mul_f32_e32 v31, 0x3fc90fda, v29
	s_delay_alu instid0(VALU_DEP_3) | instskip(NEXT) | instid1(VALU_DEP_3)
	v_alignbit_b32 v25, v30, v25, v32
	v_sub_nc_u32_e32 v26, v27, v26
	s_delay_alu instid0(VALU_DEP_3) | instskip(NEXT) | instid1(VALU_DEP_3)
	v_fma_f32 v27, 0x3fc90fda, v29, -v31
	v_lshrrev_b32_e32 v25, 9, v25
	s_delay_alu instid0(VALU_DEP_2) | instskip(NEXT) | instid1(VALU_DEP_2)
	v_fmac_f32_e32 v27, 0x33a22168, v29
	v_or_b32_e32 v25, v26, v25
	v_add_nc_u32_e32 v26, v28, v1
	s_delay_alu instid0(VALU_DEP_2) | instskip(NEXT) | instid1(VALU_DEP_1)
	v_fmac_f32_e32 v27, 0x3fc90fda, v25
	v_add_f32_e32 v25, v31, v27
	s_and_not1_saveexec_b32 s6, s35
	s_branch .LBB255_81
.LBB255_80:                             ;   in Loop: Header=BB255_4 Depth=1
	s_and_not1_saveexec_b32 s6, s35
.LBB255_81:                             ;   in Loop: Header=BB255_4 Depth=1
	v_mul_f32_e64 v1, 0x3f22f983, |v14|
	s_delay_alu instid0(VALU_DEP_1) | instskip(NEXT) | instid1(VALU_DEP_1)
	v_rndne_f32_e32 v1, v1
	v_fma_f32 v25, 0xbfc90fda, v1, |v14|
	v_cvt_i32_f32_e32 v26, v1
	s_delay_alu instid0(VALU_DEP_2) | instskip(NEXT) | instid1(VALU_DEP_1)
	v_fmac_f32_e32 v25, 0xb3a22168, v1
	v_fmac_f32_e32 v25, 0xa7c234c4, v1
; %bb.82:                               ;   in Loop: Header=BB255_4 Depth=1
	s_or_b32 exec_lo, exec_lo, s6
                                        ; implicit-def: $vgpr27
                                        ; implicit-def: $vgpr1
	s_and_saveexec_b32 s6, s34
	s_delay_alu instid0(SALU_CYCLE_1)
	s_xor_b32 s34, exec_lo, s6
	s_cbranch_execz .LBB255_84
; %bb.83:                               ;   in Loop: Header=BB255_4 Depth=1
	v_lshrrev_b32_e32 v32, 23, v24
	v_and_or_b32 v35, v24, s25, 0x800000
	s_delay_alu instid0(VALU_DEP_2) | instskip(NEXT) | instid1(VALU_DEP_2)
	v_add_nc_u32_e32 v33, 0xffffff88, v32
	v_mad_u64_u32 v[27:28], null, 0xfe5163ab, v35, 0
	s_delay_alu instid0(VALU_DEP_2) | instskip(SKIP_1) | instid1(VALU_DEP_1)
	v_cmp_lt_u32_e32 vcc_lo, 63, v33
	v_cndmask_b32_e64 v34, 0, 0xffffffc0, vcc_lo
	v_dual_mov_b32 v1, v28 :: v_dual_add_nc_u32 v34, v34, v33
	s_delay_alu instid0(VALU_DEP_1) | instskip(NEXT) | instid1(VALU_DEP_2)
	v_mad_u64_u32 v[28:29], null, 0x3c439041, v35, v[1:2]
	v_cmp_lt_u32_e64 s6, 31, v34
	s_delay_alu instid0(VALU_DEP_1) | instskip(NEXT) | instid1(VALU_DEP_1)
	v_cndmask_b32_e64 v36, 0, 0xffffffe0, s6
	v_dual_mov_b32 v1, v29 :: v_dual_add_nc_u32 v36, v36, v34
	s_delay_alu instid0(VALU_DEP_1) | instskip(NEXT) | instid1(VALU_DEP_2)
	v_mad_u64_u32 v[29:30], null, 0xdb629599, v35, v[1:2]
	v_cmp_lt_u32_e64 s7, 31, v36
	s_delay_alu instid0(VALU_DEP_2) | instskip(NEXT) | instid1(VALU_DEP_3)
	v_mov_b32_e32 v1, v30
	v_cndmask_b32_e32 v27, v29, v27, vcc_lo
	s_delay_alu instid0(VALU_DEP_2) | instskip(NEXT) | instid1(VALU_DEP_1)
	v_mad_u64_u32 v[30:31], null, 0xf534ddc0, v35, v[1:2]
	v_dual_mov_b32 v1, v31 :: v_dual_cndmask_b32 v28, v30, v28
	s_delay_alu instid0(VALU_DEP_1) | instskip(NEXT) | instid1(VALU_DEP_2)
	v_mad_u64_u32 v[31:32], null, 0xfc2757d1, v35, v[1:2]
	v_cndmask_b32_e64 v27, v28, v27, s6
	s_delay_alu instid0(VALU_DEP_2) | instskip(NEXT) | instid1(VALU_DEP_1)
	v_mov_b32_e32 v1, v32
	v_mad_u64_u32 v[32:33], null, 0x4e441529, v35, v[1:2]
	s_delay_alu instid0(VALU_DEP_1) | instskip(NEXT) | instid1(VALU_DEP_1)
	v_mov_b32_e32 v1, v33
	v_mad_u64_u32 v[33:34], null, 0xa2f9836e, v35, v[1:2]
	v_cndmask_b32_e64 v1, 0, 0xffffffe0, s7
	s_delay_alu instid0(VALU_DEP_4) | instskip(NEXT) | instid1(VALU_DEP_2)
	v_cndmask_b32_e32 v35, v32, v30, vcc_lo
	v_add_nc_u32_e32 v1, v1, v36
	s_delay_alu instid0(VALU_DEP_4) | instskip(SKIP_1) | instid1(VALU_DEP_3)
	v_dual_cndmask_b32 v33, v33, v31 :: v_dual_cndmask_b32 v32, v34, v32
	v_cndmask_b32_e32 v31, v31, v29, vcc_lo
	v_sub_nc_u32_e32 v34, 32, v1
	s_delay_alu instid0(VALU_DEP_3) | instskip(NEXT) | instid1(VALU_DEP_4)
	v_cndmask_b32_e64 v30, v33, v35, s6
	v_cndmask_b32_e64 v32, v32, v33, s6
	s_delay_alu instid0(VALU_DEP_4) | instskip(SKIP_2) | instid1(VALU_DEP_4)
	v_cndmask_b32_e64 v33, v35, v31, s6
	v_cndmask_b32_e64 v31, v31, v28, s6
	v_cmp_eq_u32_e64 s8, 0, v1
	v_cndmask_b32_e64 v32, v32, v30, s7
	s_delay_alu instid0(VALU_DEP_4) | instskip(NEXT) | instid1(VALU_DEP_4)
	v_cndmask_b32_e64 v30, v30, v33, s7
	v_cndmask_b32_e64 v33, v33, v31, s7
	;; [unrolled: 1-line block ×3, first 2 shown]
	s_delay_alu instid0(VALU_DEP_3) | instskip(NEXT) | instid1(VALU_DEP_3)
	v_alignbit_b32 v35, v32, v30, v34
	v_alignbit_b32 v36, v30, v33, v34
	s_delay_alu instid0(VALU_DEP_3) | instskip(NEXT) | instid1(VALU_DEP_3)
	v_alignbit_b32 v34, v33, v27, v34
	v_cndmask_b32_e64 v1, v35, v32, s8
	s_delay_alu instid0(VALU_DEP_3) | instskip(NEXT) | instid1(VALU_DEP_3)
	v_cndmask_b32_e64 v29, v36, v30, s8
	v_cndmask_b32_e64 v33, v34, v33, s8
	s_delay_alu instid0(VALU_DEP_3) | instskip(NEXT) | instid1(VALU_DEP_3)
	v_bfe_u32 v30, v1, 29, 1
	v_alignbit_b32 v28, v1, v29, 30
	s_delay_alu instid0(VALU_DEP_3) | instskip(SKIP_1) | instid1(VALU_DEP_4)
	v_alignbit_b32 v29, v29, v33, 30
	v_alignbit_b32 v27, v33, v27, 30
	v_sub_nc_u32_e32 v32, 0, v30
	s_delay_alu instid0(VALU_DEP_1) | instskip(SKIP_3) | instid1(VALU_DEP_4)
	v_xor_b32_e32 v31, v28, v32
	v_cmp_ne_u32_e32 vcc_lo, v28, v32
	v_xor_b32_e32 v29, v29, v32
	v_xor_b32_e32 v27, v27, v32
	v_clz_i32_u32_e32 v35, v31
	s_delay_alu instid0(VALU_DEP_1) | instskip(NEXT) | instid1(VALU_DEP_1)
	v_add_nc_u32_e32 v34, 1, v35
	v_cndmask_b32_e32 v28, 33, v34, vcc_lo
	s_delay_alu instid0(VALU_DEP_1) | instskip(NEXT) | instid1(VALU_DEP_1)
	v_sub_nc_u32_e32 v33, 32, v28
	v_alignbit_b32 v31, v31, v29, v33
	v_alignbit_b32 v27, v29, v27, v33
	v_lshrrev_b32_e32 v29, 29, v1
	s_delay_alu instid0(VALU_DEP_2) | instskip(NEXT) | instid1(VALU_DEP_2)
	v_alignbit_b32 v32, v31, v27, 9
	v_lshlrev_b32_e32 v29, 31, v29
	v_alignbit_b32 v31, v28, v31, 9
	s_delay_alu instid0(VALU_DEP_3) | instskip(NEXT) | instid1(VALU_DEP_2)
	v_clz_i32_u32_e32 v33, v32
	v_or_b32_e32 v31, v31, v29
	v_or_b32_e32 v29, 0x33800000, v29
	s_delay_alu instid0(VALU_DEP_3) | instskip(NEXT) | instid1(VALU_DEP_3)
	v_min_u32_e32 v33, 32, v33
	v_xor_b32_e32 v31, 1.0, v31
	s_delay_alu instid0(VALU_DEP_2) | instskip(SKIP_1) | instid1(VALU_DEP_3)
	v_sub_nc_u32_e32 v34, 31, v33
	v_add_lshl_u32 v28, v33, v28, 23
	v_mul_f32_e32 v33, 0x3fc90fda, v31
	s_delay_alu instid0(VALU_DEP_3) | instskip(NEXT) | instid1(VALU_DEP_3)
	v_alignbit_b32 v27, v32, v27, v34
	v_sub_nc_u32_e32 v28, v29, v28
	s_delay_alu instid0(VALU_DEP_3) | instskip(NEXT) | instid1(VALU_DEP_3)
	v_fma_f32 v29, 0x3fc90fda, v31, -v33
	v_lshrrev_b32_e32 v27, 9, v27
	s_delay_alu instid0(VALU_DEP_2) | instskip(NEXT) | instid1(VALU_DEP_2)
	v_fmac_f32_e32 v29, 0x33a22168, v31
	v_or_b32_e32 v27, v28, v27
	s_delay_alu instid0(VALU_DEP_1) | instskip(SKIP_1) | instid1(VALU_DEP_2)
	v_fmac_f32_e32 v29, 0x3fc90fda, v27
	v_lshrrev_b32_e32 v27, 30, v1
	v_add_f32_e32 v1, v33, v29
	s_delay_alu instid0(VALU_DEP_2)
	v_add_nc_u32_e32 v27, v30, v27
	s_and_not1_saveexec_b32 s6, s34
	s_cbranch_execnz .LBB255_85
	s_branch .LBB255_86
.LBB255_84:                             ;   in Loop: Header=BB255_4 Depth=1
	s_and_not1_saveexec_b32 s6, s34
.LBB255_85:                             ;   in Loop: Header=BB255_4 Depth=1
	v_mul_f32_e64 v1, 0x3f22f983, |v14|
	s_delay_alu instid0(VALU_DEP_1) | instskip(NEXT) | instid1(VALU_DEP_1)
	v_rndne_f32_e32 v27, v1
	v_fma_f32 v1, 0xbfc90fda, v27, |v14|
	s_delay_alu instid0(VALU_DEP_1) | instskip(NEXT) | instid1(VALU_DEP_1)
	v_fmac_f32_e32 v1, 0xb3a22168, v27
	v_fmac_f32_e32 v1, 0xa7c234c4, v27
	v_cvt_i32_f32_e32 v27, v27
.LBB255_86:                             ;   in Loop: Header=BB255_4 Depth=1
	s_or_b32 exec_lo, exec_lo, s6
	v_sub_f32_e32 v13, 0xc322e3bc, v13
	v_mul_f32_e32 v31, v25, v25
	v_mul_f32_e32 v32, v1, v1
	s_delay_alu instid0(VALU_DEP_3) | instskip(NEXT) | instid1(VALU_DEP_3)
	v_mul_f32_e32 v28, 0x3fb8aa3b, v13
	v_fmaak_f32 v33, s27, v31, 0xbab64f3b
	s_delay_alu instid0(VALU_DEP_3) | instskip(NEXT) | instid1(VALU_DEP_3)
	v_dual_fmaak_f32 v34, s26, v31, 0x3c0881c4 :: v_dual_fmaak_f32 v35, s26, v32, 0x3c0881c4
	v_fma_f32 v29, 0x3fb8aa3b, v13, -v28
	v_rndne_f32_e32 v30, v28
	s_delay_alu instid0(VALU_DEP_3) | instskip(NEXT) | instid1(VALU_DEP_2)
	v_fmaak_f32 v35, v32, v35, 0xbe2aaa9d
	v_dual_sub_f32 v28, v28, v30 :: v_dual_fmac_f32 v29, 0x32a5705f, v13
	v_cmp_ngt_f32_e32 vcc_lo, 0xc2ce8ed0, v13
	s_delay_alu instid0(VALU_DEP_3) | instskip(NEXT) | instid1(VALU_DEP_3)
	v_mul_f32_e32 v35, v32, v35
	v_add_f32_e32 v28, v28, v29
	v_cvt_i32_f32_e32 v29, v30
	v_lshlrev_b32_e32 v30, 30, v26
	v_and_b32_e32 v26, 1, v26
	s_delay_alu instid0(VALU_DEP_4) | instskip(SKIP_3) | instid1(VALU_DEP_2)
	v_exp_f32_e32 v28, v28
	s_waitcnt_depctr 0xfff
	v_ldexp_f32 v28, v28, v29
	v_and_b32_e32 v29, 1, v27
	v_dual_cndmask_b32 v28, 0, v28 :: v_dual_lshlrev_b32 v27, 30, v27
	v_cmp_nlt_f32_e32 vcc_lo, 0x42b17218, v13
	s_delay_alu instid0(VALU_DEP_2)
	v_and_or_b32 v24, 0x80000000, v27, v24
	v_fmaak_f32 v27, v31, v33, 0x3d2aabf7
	v_fmaak_f32 v33, v31, v34, 0xbe2aaa9d
	v_and_b32_e32 v30, 0x80000000, v30
	v_cndmask_b32_e32 v13, 0x7f800000, v28, vcc_lo
	v_fmaak_f32 v28, s27, v32, 0xbab64f3b
	v_cmp_eq_u32_e32 vcc_lo, 0, v26
	v_mul_f32_e32 v33, v31, v33
	s_delay_alu instid0(VALU_DEP_4) | instskip(NEXT) | instid1(VALU_DEP_4)
	v_lshrrev_b32_e32 v34, 23, v13
	v_fmaak_f32 v28, v32, v28, 0x3d2aabf7
	v_and_or_b32 v13, 0x7fffff, v13, s28
	s_delay_alu instid0(VALU_DEP_4) | instskip(SKIP_3) | instid1(VALU_DEP_3)
	v_fmac_f32_e32 v25, v25, v33
	v_fmaak_f32 v27, v31, v27, 0xbf000004
	v_subrev_nc_u32_e32 v34, 19, v34
	v_fmaak_f32 v28, v32, v28, 0xbf000004
	v_fma_f32 v27, v31, v27, 1.0
	s_delay_alu instid0(VALU_DEP_3) | instskip(NEXT) | instid1(VALU_DEP_3)
	v_lshrrev_b16 v31, 15, v34
	v_fma_f32 v28, v32, v28, 1.0
	s_delay_alu instid0(VALU_DEP_3) | instskip(SKIP_1) | instid1(VALU_DEP_4)
	v_cndmask_b32_e64 v25, -v25, v27, vcc_lo
	v_cmp_eq_u32_e32 vcc_lo, 0, v29
	v_add_nc_u16 v26, v34, v31
	s_delay_alu instid0(VALU_DEP_3) | instskip(SKIP_1) | instid1(VALU_DEP_3)
	v_xor_b32_e32 v25, v30, v25
	v_fmac_f32_e32 v1, v1, v35
	v_ashrrev_i16 v26, 1, v26
	s_delay_alu instid0(VALU_DEP_2) | instskip(SKIP_1) | instid1(VALU_DEP_2)
	v_cndmask_b32_e32 v1, v28, v1, vcc_lo
	v_cmp_class_f32_e64 vcc_lo, v14, 0x1f8
	v_xor3_b32 v1, v24, v1, v23
	v_cndmask_b32_e32 v14, 0x7fc00000, v25, vcc_lo
	v_bfe_i32 v23, v26, 0, 16
	s_delay_alu instid0(VALU_DEP_3) | instskip(NEXT) | instid1(VALU_DEP_3)
	v_cndmask_b32_e32 v1, 0x7fc00000, v1, vcc_lo
	v_mul_f32_e32 v14, v14, v13
	s_delay_alu instid0(VALU_DEP_3) | instskip(SKIP_1) | instid1(VALU_DEP_4)
	v_lshl_add_u32 v24, v23, 23, 1.0
	v_sub_nc_u32_e32 v23, v34, v23
	v_mul_f32_e32 v1, v1, v13
	s_delay_alu instid0(VALU_DEP_3) | instskip(NEXT) | instid1(VALU_DEP_3)
	v_mul_f32_e32 v13, v14, v24
	v_lshl_add_u32 v14, v23, 23, 1.0
	s_delay_alu instid0(VALU_DEP_3) | instskip(NEXT) | instid1(VALU_DEP_2)
	v_mul_f32_e32 v23, v1, v24
	v_mul_f32_e32 v1, v13, v14
	s_delay_alu instid0(VALU_DEP_2)
	v_mul_f32_e32 v23, v23, v14
.LBB255_87:                             ;   in Loop: Header=BB255_4 Depth=1
	s_or_b32 exec_lo, exec_lo, s33
                                        ; implicit-def: $vgpr25
                                        ; implicit-def: $vgpr13
                                        ; implicit-def: $vgpr26
.LBB255_88:                             ;   in Loop: Header=BB255_4 Depth=1
	s_and_not1_saveexec_b32 s6, s31
	s_cbranch_execz .LBB255_94
; %bb.89:                               ;   in Loop: Header=BB255_4 Depth=1
	v_sub_f32_e32 v23, v14, v14
	s_mov_b32 s7, exec_lo
	v_cmpx_ne_u32_e32 0x7f800000, v26
	s_xor_b32 s7, exec_lo, s7
; %bb.90:                               ;   in Loop: Header=BB255_4 Depth=1
                                        ; implicit-def: $vgpr25
                                        ; implicit-def: $vgpr13
; %bb.91:                               ;   in Loop: Header=BB255_4 Depth=1
	s_delay_alu instid0(SALU_CYCLE_1)
	s_or_saveexec_b32 s7, s7
	v_mov_b32_e32 v1, v23
	s_xor_b32 exec_lo, exec_lo, s7
; %bb.92:                               ;   in Loop: Header=BB255_4 Depth=1
	v_cmp_lt_i32_e32 vcc_lo, -1, v25
	v_cndmask_b32_e64 v1, 0, -v13, vcc_lo
	v_cndmask_b32_e32 v23, 0, v23, vcc_lo
; %bb.93:                               ;   in Loop: Header=BB255_4 Depth=1
	s_or_b32 exec_lo, exec_lo, s7
.LBB255_94:                             ;   in Loop: Header=BB255_4 Depth=1
	s_delay_alu instid0(SALU_CYCLE_1)
	s_or_b32 exec_lo, exec_lo, s6
                                        ; implicit-def: $vgpr14
                                        ; implicit-def: $vgpr24
.LBB255_95:                             ;   in Loop: Header=BB255_4 Depth=1
	s_and_not1_saveexec_b32 s30, s30
	s_cbranch_execz .LBB255_105
; %bb.96:                               ;   in Loop: Header=BB255_4 Depth=1
	v_lshrrev_b32_e32 v1, 23, v24
	v_cmp_ngt_f32_e64 s31, 0x48000000, |v14|
	v_and_or_b32 v26, v24, s25, 0x800000
                                        ; implicit-def: $vgpr25
                                        ; implicit-def: $vgpr13
	s_delay_alu instid0(VALU_DEP_3) | instskip(NEXT) | instid1(VALU_DEP_3)
	v_add_nc_u32_e32 v27, 0xffffff88, v1
	s_and_saveexec_b32 s6, s31
	s_delay_alu instid0(SALU_CYCLE_1)
	s_xor_b32 s33, exec_lo, s6
	s_cbranch_execz .LBB255_98
; %bb.97:                               ;   in Loop: Header=BB255_4 Depth=1
	v_mad_u64_u32 v[28:29], null, 0xfe5163ab, v26, 0
	v_cmp_lt_u32_e32 vcc_lo, 63, v27
	v_cndmask_b32_e64 v13, 0, 0xffffffc0, vcc_lo
	s_delay_alu instid0(VALU_DEP_3) | instskip(NEXT) | instid1(VALU_DEP_2)
	v_mov_b32_e32 v1, v29
	v_add_nc_u32_e32 v13, v13, v27
	s_delay_alu instid0(VALU_DEP_2) | instskip(NEXT) | instid1(VALU_DEP_2)
	v_mad_u64_u32 v[29:30], null, 0x3c439041, v26, v[1:2]
	v_cmp_lt_u32_e64 s6, 31, v13
	s_delay_alu instid0(VALU_DEP_2) | instskip(NEXT) | instid1(VALU_DEP_2)
	v_mov_b32_e32 v1, v30
	v_cndmask_b32_e64 v25, 0, 0xffffffe0, s6
	s_delay_alu instid0(VALU_DEP_2) | instskip(NEXT) | instid1(VALU_DEP_2)
	v_mad_u64_u32 v[30:31], null, 0xdb629599, v26, v[1:2]
	v_add_nc_u32_e32 v13, v25, v13
	s_delay_alu instid0(VALU_DEP_1) | instskip(NEXT) | instid1(VALU_DEP_3)
	v_cmp_lt_u32_e64 s7, 31, v13
	v_dual_mov_b32 v1, v31 :: v_dual_cndmask_b32 v28, v30, v28
	s_delay_alu instid0(VALU_DEP_1) | instskip(NEXT) | instid1(VALU_DEP_1)
	v_mad_u64_u32 v[31:32], null, 0xf534ddc0, v26, v[1:2]
	v_mov_b32_e32 v1, v32
	s_delay_alu instid0(VALU_DEP_1) | instskip(NEXT) | instid1(VALU_DEP_1)
	v_mad_u64_u32 v[32:33], null, 0xfc2757d1, v26, v[1:2]
	v_mov_b32_e32 v1, v33
	s_delay_alu instid0(VALU_DEP_1) | instskip(NEXT) | instid1(VALU_DEP_1)
	v_mad_u64_u32 v[33:34], null, 0x4e441529, v26, v[1:2]
	v_mov_b32_e32 v1, v34
	s_delay_alu instid0(VALU_DEP_2) | instskip(NEXT) | instid1(VALU_DEP_2)
	v_cndmask_b32_e32 v25, v33, v31, vcc_lo
	v_mad_u64_u32 v[34:35], null, 0xa2f9836e, v26, v[1:2]
	v_cndmask_b32_e64 v1, 0, 0xffffffe0, s7
	s_delay_alu instid0(VALU_DEP_1) | instskip(NEXT) | instid1(VALU_DEP_3)
	v_dual_cndmask_b32 v34, v34, v32 :: v_dual_add_nc_u32 v1, v1, v13
	v_dual_cndmask_b32 v33, v35, v33 :: v_dual_cndmask_b32 v32, v32, v30
	v_cndmask_b32_e32 v13, v31, v29, vcc_lo
	s_delay_alu instid0(VALU_DEP_3) | instskip(NEXT) | instid1(VALU_DEP_4)
	v_cmp_eq_u32_e64 s8, 0, v1
	v_cndmask_b32_e64 v29, v34, v25, s6
	s_delay_alu instid0(VALU_DEP_4)
	v_cndmask_b32_e64 v31, v33, v34, s6
	v_cndmask_b32_e64 v25, v25, v32, s6
	v_sub_nc_u32_e32 v33, 32, v1
	v_cndmask_b32_e64 v32, v32, v13, s6
	v_cndmask_b32_e64 v13, v13, v28, s6
	;; [unrolled: 1-line block ×4, first 2 shown]
	s_delay_alu instid0(VALU_DEP_4) | instskip(NEXT) | instid1(VALU_DEP_4)
	v_cndmask_b32_e64 v25, v25, v32, s7
	v_cndmask_b32_e64 v13, v32, v13, s7
	s_delay_alu instid0(VALU_DEP_3) | instskip(NEXT) | instid1(VALU_DEP_3)
	v_alignbit_b32 v34, v31, v29, v33
	v_alignbit_b32 v35, v29, v25, v33
	s_delay_alu instid0(VALU_DEP_3) | instskip(NEXT) | instid1(VALU_DEP_3)
	v_alignbit_b32 v33, v25, v13, v33
	v_cndmask_b32_e64 v1, v34, v31, s8
	s_delay_alu instid0(VALU_DEP_3) | instskip(NEXT) | instid1(VALU_DEP_3)
	v_cndmask_b32_e64 v29, v35, v29, s8
	v_cndmask_b32_e64 v25, v33, v25, s8
	s_delay_alu instid0(VALU_DEP_3) | instskip(NEXT) | instid1(VALU_DEP_3)
	v_bfe_u32 v30, v1, 29, 1
	v_alignbit_b32 v28, v1, v29, 30
	s_delay_alu instid0(VALU_DEP_3) | instskip(SKIP_1) | instid1(VALU_DEP_4)
	v_alignbit_b32 v29, v29, v25, 30
	v_alignbit_b32 v13, v25, v13, 30
	v_sub_nc_u32_e32 v31, 0, v30
	s_delay_alu instid0(VALU_DEP_1) | instskip(SKIP_3) | instid1(VALU_DEP_4)
	v_xor_b32_e32 v32, v28, v31
	v_cmp_ne_u32_e32 vcc_lo, v28, v31
	v_xor_b32_e32 v25, v29, v31
	v_xor_b32_e32 v13, v13, v31
	v_clz_i32_u32_e32 v34, v32
	s_delay_alu instid0(VALU_DEP_1) | instskip(NEXT) | instid1(VALU_DEP_1)
	v_add_nc_u32_e32 v33, 1, v34
	v_cndmask_b32_e32 v28, 33, v33, vcc_lo
	s_delay_alu instid0(VALU_DEP_1) | instskip(NEXT) | instid1(VALU_DEP_1)
	v_sub_nc_u32_e32 v29, 32, v28
	v_alignbit_b32 v31, v32, v25, v29
	v_alignbit_b32 v13, v25, v13, v29
	v_lshrrev_b32_e32 v25, 29, v1
	v_lshrrev_b32_e32 v1, 30, v1
	s_delay_alu instid0(VALU_DEP_3) | instskip(NEXT) | instid1(VALU_DEP_3)
	v_alignbit_b32 v29, v31, v13, 9
	v_lshlrev_b32_e32 v25, 31, v25
	v_alignbit_b32 v31, v28, v31, 9
	s_delay_alu instid0(VALU_DEP_3) | instskip(NEXT) | instid1(VALU_DEP_2)
	v_clz_i32_u32_e32 v32, v29
	v_or_b32_e32 v31, v31, v25
	v_or_b32_e32 v25, 0x33800000, v25
	s_delay_alu instid0(VALU_DEP_3) | instskip(NEXT) | instid1(VALU_DEP_3)
	v_min_u32_e32 v32, 32, v32
	v_xor_b32_e32 v31, 1.0, v31
	s_delay_alu instid0(VALU_DEP_2) | instskip(SKIP_1) | instid1(VALU_DEP_3)
	v_sub_nc_u32_e32 v33, 31, v32
	v_add_lshl_u32 v28, v32, v28, 23
	v_mul_f32_e32 v32, 0x3fc90fda, v31
	s_delay_alu instid0(VALU_DEP_3) | instskip(NEXT) | instid1(VALU_DEP_3)
	v_alignbit_b32 v13, v29, v13, v33
	v_sub_nc_u32_e32 v25, v25, v28
	s_delay_alu instid0(VALU_DEP_3) | instskip(NEXT) | instid1(VALU_DEP_3)
	v_fma_f32 v28, 0x3fc90fda, v31, -v32
	v_lshrrev_b32_e32 v13, 9, v13
	s_delay_alu instid0(VALU_DEP_2) | instskip(NEXT) | instid1(VALU_DEP_2)
	v_fmac_f32_e32 v28, 0x33a22168, v31
	v_or_b32_e32 v13, v25, v13
	v_add_nc_u32_e32 v25, v30, v1
	s_delay_alu instid0(VALU_DEP_2) | instskip(NEXT) | instid1(VALU_DEP_1)
	v_fmac_f32_e32 v28, 0x3fc90fda, v13
	v_add_f32_e32 v13, v32, v28
.LBB255_98:                             ;   in Loop: Header=BB255_4 Depth=1
	s_or_saveexec_b32 s6, s33
	v_mul_f32_e64 v1, 0x3f22f983, |v14|
	s_delay_alu instid0(VALU_DEP_1)
	v_rndne_f32_e32 v29, v1
	s_xor_b32 exec_lo, exec_lo, s6
; %bb.99:                               ;   in Loop: Header=BB255_4 Depth=1
	s_delay_alu instid0(VALU_DEP_1) | instskip(SKIP_1) | instid1(VALU_DEP_2)
	v_fma_f32 v13, 0xbfc90fda, v29, |v14|
	v_cvt_i32_f32_e32 v25, v29
	v_fmac_f32_e32 v13, 0xb3a22168, v29
	s_delay_alu instid0(VALU_DEP_1)
	v_fmac_f32_e32 v13, 0xa7c234c4, v29
; %bb.100:                              ;   in Loop: Header=BB255_4 Depth=1
	s_or_b32 exec_lo, exec_lo, s6
                                        ; implicit-def: $vgpr28
                                        ; implicit-def: $vgpr1
	s_and_saveexec_b32 s6, s31
	s_delay_alu instid0(SALU_CYCLE_1)
	s_xor_b32 s31, exec_lo, s6
	s_cbranch_execz .LBB255_102
; %bb.101:                              ;   in Loop: Header=BB255_4 Depth=1
	v_mad_u64_u32 v[28:29], null, 0xfe5163ab, v26, 0
	v_cmp_lt_u32_e32 vcc_lo, 63, v27
	v_cndmask_b32_e64 v34, 0, 0xffffffc0, vcc_lo
	s_delay_alu instid0(VALU_DEP_3) | instskip(NEXT) | instid1(VALU_DEP_2)
	v_mov_b32_e32 v1, v29
	v_add_nc_u32_e32 v27, v34, v27
	s_delay_alu instid0(VALU_DEP_2) | instskip(NEXT) | instid1(VALU_DEP_2)
	v_mad_u64_u32 v[29:30], null, 0x3c439041, v26, v[1:2]
	v_cmp_lt_u32_e64 s6, 31, v27
	s_delay_alu instid0(VALU_DEP_2) | instskip(NEXT) | instid1(VALU_DEP_2)
	v_mov_b32_e32 v1, v30
	v_cndmask_b32_e64 v35, 0, 0xffffffe0, s6
	s_delay_alu instid0(VALU_DEP_2) | instskip(NEXT) | instid1(VALU_DEP_2)
	v_mad_u64_u32 v[30:31], null, 0xdb629599, v26, v[1:2]
	v_add_nc_u32_e32 v27, v35, v27
	s_delay_alu instid0(VALU_DEP_1) | instskip(NEXT) | instid1(VALU_DEP_3)
	v_cmp_lt_u32_e64 s7, 31, v27
	v_dual_mov_b32 v1, v31 :: v_dual_cndmask_b32 v28, v30, v28
	s_delay_alu instid0(VALU_DEP_1) | instskip(NEXT) | instid1(VALU_DEP_1)
	v_mad_u64_u32 v[31:32], null, 0xf534ddc0, v26, v[1:2]
	v_mov_b32_e32 v1, v32
	s_delay_alu instid0(VALU_DEP_1) | instskip(NEXT) | instid1(VALU_DEP_1)
	v_mad_u64_u32 v[32:33], null, 0xfc2757d1, v26, v[1:2]
	v_mov_b32_e32 v1, v33
	;; [unrolled: 3-line block ×3, first 2 shown]
	s_delay_alu instid0(VALU_DEP_1) | instskip(SKIP_1) | instid1(VALU_DEP_4)
	v_mad_u64_u32 v[34:35], null, 0xa2f9836e, v26, v[1:2]
	v_cndmask_b32_e64 v1, 0, 0xffffffe0, s7
	v_cndmask_b32_e32 v26, v33, v31, vcc_lo
	s_delay_alu instid0(VALU_DEP_2) | instskip(NEXT) | instid1(VALU_DEP_4)
	v_dual_cndmask_b32 v34, v34, v32 :: v_dual_add_nc_u32 v1, v1, v27
	v_dual_cndmask_b32 v33, v35, v33 :: v_dual_cndmask_b32 v32, v32, v30
	v_cndmask_b32_e32 v27, v31, v29, vcc_lo
	s_delay_alu instid0(VALU_DEP_3) | instskip(NEXT) | instid1(VALU_DEP_4)
	v_cmp_eq_u32_e64 s8, 0, v1
	v_cndmask_b32_e64 v29, v34, v26, s6
	s_delay_alu instid0(VALU_DEP_4)
	v_cndmask_b32_e64 v31, v33, v34, s6
	v_cndmask_b32_e64 v26, v26, v32, s6
	v_sub_nc_u32_e32 v33, 32, v1
	v_cndmask_b32_e64 v32, v32, v27, s6
	v_cndmask_b32_e64 v27, v27, v28, s6
	v_cndmask_b32_e64 v31, v31, v29, s7
	v_cndmask_b32_e64 v29, v29, v26, s7
	s_delay_alu instid0(VALU_DEP_4) | instskip(NEXT) | instid1(VALU_DEP_4)
	v_cndmask_b32_e64 v26, v26, v32, s7
	v_cndmask_b32_e64 v27, v32, v27, s7
	s_delay_alu instid0(VALU_DEP_3) | instskip(NEXT) | instid1(VALU_DEP_3)
	v_alignbit_b32 v34, v31, v29, v33
	v_alignbit_b32 v35, v29, v26, v33
	s_delay_alu instid0(VALU_DEP_3) | instskip(NEXT) | instid1(VALU_DEP_3)
	v_alignbit_b32 v33, v26, v27, v33
	v_cndmask_b32_e64 v1, v34, v31, s8
	s_delay_alu instid0(VALU_DEP_3) | instskip(NEXT) | instid1(VALU_DEP_3)
	v_cndmask_b32_e64 v29, v35, v29, s8
	v_cndmask_b32_e64 v26, v33, v26, s8
	s_delay_alu instid0(VALU_DEP_3) | instskip(NEXT) | instid1(VALU_DEP_3)
	v_bfe_u32 v30, v1, 29, 1
	v_alignbit_b32 v28, v1, v29, 30
	s_delay_alu instid0(VALU_DEP_3) | instskip(SKIP_1) | instid1(VALU_DEP_4)
	v_alignbit_b32 v29, v29, v26, 30
	v_alignbit_b32 v26, v26, v27, 30
	v_sub_nc_u32_e32 v31, 0, v30
	s_delay_alu instid0(VALU_DEP_1) | instskip(SKIP_3) | instid1(VALU_DEP_4)
	v_xor_b32_e32 v32, v28, v31
	v_cmp_ne_u32_e32 vcc_lo, v28, v31
	v_xor_b32_e32 v27, v29, v31
	v_xor_b32_e32 v26, v26, v31
	v_clz_i32_u32_e32 v34, v32
	s_delay_alu instid0(VALU_DEP_1) | instskip(NEXT) | instid1(VALU_DEP_1)
	v_add_nc_u32_e32 v33, 1, v34
	v_cndmask_b32_e32 v28, 33, v33, vcc_lo
	s_delay_alu instid0(VALU_DEP_1) | instskip(NEXT) | instid1(VALU_DEP_1)
	v_sub_nc_u32_e32 v29, 32, v28
	v_alignbit_b32 v31, v32, v27, v29
	v_alignbit_b32 v26, v27, v26, v29
	v_lshrrev_b32_e32 v27, 29, v1
	s_delay_alu instid0(VALU_DEP_2) | instskip(NEXT) | instid1(VALU_DEP_2)
	v_alignbit_b32 v29, v31, v26, 9
	v_lshlrev_b32_e32 v27, 31, v27
	v_alignbit_b32 v31, v28, v31, 9
	s_delay_alu instid0(VALU_DEP_3) | instskip(NEXT) | instid1(VALU_DEP_2)
	v_clz_i32_u32_e32 v32, v29
	v_or_b32_e32 v31, v31, v27
	v_or_b32_e32 v27, 0x33800000, v27
	s_delay_alu instid0(VALU_DEP_3) | instskip(NEXT) | instid1(VALU_DEP_3)
	v_min_u32_e32 v32, 32, v32
	v_xor_b32_e32 v31, 1.0, v31
	s_delay_alu instid0(VALU_DEP_2) | instskip(SKIP_1) | instid1(VALU_DEP_3)
	v_sub_nc_u32_e32 v33, 31, v32
	v_add_lshl_u32 v28, v32, v28, 23
	v_mul_f32_e32 v32, 0x3fc90fda, v31
	s_delay_alu instid0(VALU_DEP_3) | instskip(NEXT) | instid1(VALU_DEP_3)
	v_alignbit_b32 v26, v29, v26, v33
	v_sub_nc_u32_e32 v27, v27, v28
	s_delay_alu instid0(VALU_DEP_3) | instskip(NEXT) | instid1(VALU_DEP_3)
	v_fma_f32 v28, 0x3fc90fda, v31, -v32
                                        ; implicit-def: $vgpr29
	v_lshrrev_b32_e32 v26, 9, v26
	s_delay_alu instid0(VALU_DEP_2) | instskip(NEXT) | instid1(VALU_DEP_2)
	v_fmac_f32_e32 v28, 0x33a22168, v31
	v_or_b32_e32 v26, v27, v26
	s_delay_alu instid0(VALU_DEP_1) | instskip(SKIP_1) | instid1(VALU_DEP_1)
	v_fmac_f32_e32 v28, 0x3fc90fda, v26
	v_lshrrev_b32_e32 v26, 30, v1
	v_dual_add_f32 v1, v32, v28 :: v_dual_add_nc_u32 v28, v30, v26
	s_and_not1_saveexec_b32 s6, s31
	s_cbranch_execnz .LBB255_103
	s_branch .LBB255_104
.LBB255_102:                            ;   in Loop: Header=BB255_4 Depth=1
	s_and_not1_saveexec_b32 s6, s31
.LBB255_103:                            ;   in Loop: Header=BB255_4 Depth=1
	v_fma_f32 v1, 0xbfc90fda, v29, |v14|
	v_cvt_i32_f32_e32 v28, v29
	s_delay_alu instid0(VALU_DEP_2) | instskip(NEXT) | instid1(VALU_DEP_1)
	v_fmac_f32_e32 v1, 0xb3a22168, v29
	v_fmac_f32_e32 v1, 0xa7c234c4, v29
.LBB255_104:                            ;   in Loop: Header=BB255_4 Depth=1
	s_or_b32 exec_lo, exec_lo, s6
	s_delay_alu instid0(VALU_DEP_1) | instskip(SKIP_2) | instid1(VALU_DEP_3)
	v_mul_f32_e32 v27, v1, v1
	v_mul_f32_e32 v26, v13, v13
	v_and_b32_e32 v34, 1, v28
	v_dual_fmaak_f32 v33, s27, v27, 0xbab64f3b :: v_dual_lshlrev_b32 v28, 30, v28
	s_delay_alu instid0(VALU_DEP_3) | instskip(SKIP_2) | instid1(VALU_DEP_3)
	v_dual_fmaak_f32 v30, s26, v26, 0x3c0881c4 :: v_dual_and_b32 v29, 1, v25
	v_dual_fmaak_f32 v32, s26, v27, 0x3c0881c4 :: v_dual_lshlrev_b32 v25, 30, v25
	v_fmaak_f32 v31, s27, v26, 0xbab64f3b
	v_fmaak_f32 v30, v26, v30, 0xbe2aaa9d
	;; [unrolled: 1-line block ×3, first 2 shown]
	v_cmp_eq_u32_e32 vcc_lo, 0, v29
	v_and_b32_e32 v25, 0x80000000, v25
	v_fmaak_f32 v31, v26, v31, 0x3d2aabf7
	v_mul_f32_e32 v30, v26, v30
	v_fmaak_f32 v32, v27, v32, 0xbe2aaa9d
	v_fmaak_f32 v33, v27, v33, 0xbf000004
	v_and_or_b32 v24, 0x80000000, v28, v24
	s_delay_alu instid0(VALU_DEP_4) | instskip(NEXT) | instid1(VALU_DEP_4)
	v_fmac_f32_e32 v13, v13, v30
	v_dual_fmaak_f32 v31, v26, v31, 0xbf000004 :: v_dual_mul_f32 v32, v27, v32
	s_delay_alu instid0(VALU_DEP_4) | instskip(NEXT) | instid1(VALU_DEP_2)
	v_fma_f32 v27, v27, v33, 1.0
	v_fma_f32 v26, v26, v31, 1.0
	s_delay_alu instid0(VALU_DEP_3) | instskip(NEXT) | instid1(VALU_DEP_2)
	v_fmac_f32_e32 v1, v1, v32
	v_cndmask_b32_e64 v13, -v13, v26, vcc_lo
	v_cmp_eq_u32_e32 vcc_lo, 0, v34
	s_delay_alu instid0(VALU_DEP_2) | instskip(NEXT) | instid1(VALU_DEP_4)
	v_xor_b32_e32 v13, v25, v13
	v_cndmask_b32_e32 v1, v27, v1, vcc_lo
	v_cmp_class_f32_e64 vcc_lo, v14, 0x1f8
	s_delay_alu instid0(VALU_DEP_2) | instskip(NEXT) | instid1(VALU_DEP_4)
	v_xor3_b32 v23, v24, v1, v23
	v_cndmask_b32_e32 v1, 0x7fc00000, v13, vcc_lo
	s_delay_alu instid0(VALU_DEP_2)
	v_cndmask_b32_e32 v23, 0x7fc00000, v23, vcc_lo
.LBB255_105:                            ;   in Loop: Header=BB255_4 Depth=1
	s_or_b32 exec_lo, exec_lo, s30
                                        ; implicit-def: $vgpr13
.LBB255_106:                            ;   in Loop: Header=BB255_4 Depth=1
	s_and_not1_saveexec_b32 s6, s29
	s_cbranch_execz .LBB255_108
; %bb.107:                              ;   in Loop: Header=BB255_4 Depth=1
	v_mul_f32_e32 v1, 0xbfb8aa3b, v13
	v_cmp_nlt_f32_e32 vcc_lo, 0x42ce8ed0, v13
	s_delay_alu instid0(VALU_DEP_2) | instskip(SKIP_1) | instid1(VALU_DEP_1)
	v_rndne_f32_e32 v14, v1
	v_fma_f32 v24, 0xbfb8aa3b, v13, -v1
	v_dual_sub_f32 v1, v1, v14 :: v_dual_fmac_f32 v24, 0xb2a5705f, v13
	v_cvt_i32_f32_e32 v14, v14
	s_delay_alu instid0(VALU_DEP_2) | instskip(NEXT) | instid1(VALU_DEP_1)
	v_add_f32_e32 v1, v1, v24
	v_exp_f32_e32 v1, v1
	s_waitcnt_depctr 0xfff
	v_ldexp_f32 v1, v1, v14
	s_delay_alu instid0(VALU_DEP_1) | instskip(SKIP_1) | instid1(VALU_DEP_2)
	v_cndmask_b32_e32 v1, 0, v1, vcc_lo
	v_cmp_ngt_f32_e32 vcc_lo, 0xc2b17218, v13
	v_cndmask_b32_e32 v1, 0x7f800000, v1, vcc_lo
.LBB255_108:                            ;   in Loop: Header=BB255_4 Depth=1
	s_or_b32 exec_lo, exec_lo, s6
	s_delay_alu instid0(VALU_DEP_1) | instskip(SKIP_1) | instid1(VALU_DEP_1)
	v_dual_add_f32 v24, s10, v1 :: v_dual_add_f32 v1, s11, v23
                                        ; implicit-def: $vgpr14
	s_mov_b32 s6, exec_lo
	v_cmp_gt_f32_e32 vcc_lo, 0, v24
	v_cndmask_b32_e64 v23, v24, -v24, vcc_lo
	s_delay_alu instid0(VALU_DEP_3) | instskip(SKIP_1) | instid1(VALU_DEP_1)
	v_cmp_gt_f32_e32 vcc_lo, 0, v1
	v_cndmask_b32_e64 v25, v1, -v1, vcc_lo
	v_cmpx_ge_f32_e32 v23, v25
	s_xor_b32 s7, exec_lo, s6
	s_cbranch_execz .LBB255_114
; %bb.109:                              ;   in Loop: Header=BB255_4 Depth=1
	v_cmp_neq_f32_e32 vcc_lo, 0, v24
	v_cmp_neq_f32_e64 s6, 0, v1
                                        ; implicit-def: $vgpr14
	s_delay_alu instid0(VALU_DEP_1) | instskip(NEXT) | instid1(SALU_CYCLE_1)
	s_or_b32 s6, vcc_lo, s6
	s_and_saveexec_b32 s8, s6
	s_delay_alu instid0(SALU_CYCLE_1)
	s_xor_b32 s6, exec_lo, s8
	s_cbranch_execz .LBB255_111
; %bb.110:                              ;   in Loop: Header=BB255_4 Depth=1
	v_div_scale_f32 v13, null, v24, v24, v1
	v_div_scale_f32 v25, vcc_lo, v1, v24, v1
	s_delay_alu instid0(VALU_DEP_2) | instskip(SKIP_2) | instid1(VALU_DEP_1)
	v_rcp_f32_e32 v14, v13
	s_waitcnt_depctr 0xfff
	v_fma_f32 v23, -v13, v14, 1.0
	v_fmac_f32_e32 v14, v23, v14
	s_delay_alu instid0(VALU_DEP_1) | instskip(NEXT) | instid1(VALU_DEP_1)
	v_mul_f32_e32 v23, v25, v14
	v_fma_f32 v26, -v13, v23, v25
	s_delay_alu instid0(VALU_DEP_1) | instskip(NEXT) | instid1(VALU_DEP_1)
	v_fmac_f32_e32 v23, v26, v14
	v_fma_f32 v13, -v13, v23, v25
	s_delay_alu instid0(VALU_DEP_1) | instskip(NEXT) | instid1(VALU_DEP_1)
	v_div_fmas_f32 v13, v13, v14, v23
	v_div_fixup_f32 v13, v13, v24, v1
	s_delay_alu instid0(VALU_DEP_1) | instskip(NEXT) | instid1(VALU_DEP_1)
	v_fmac_f32_e32 v24, v1, v13
	v_div_scale_f32 v1, null, v24, v24, 1.0
	v_div_scale_f32 v25, vcc_lo, 1.0, v24, 1.0
	s_delay_alu instid0(VALU_DEP_2) | instskip(SKIP_2) | instid1(VALU_DEP_1)
	v_rcp_f32_e32 v14, v1
	s_waitcnt_depctr 0xfff
	v_fma_f32 v23, -v1, v14, 1.0
	v_fmac_f32_e32 v14, v23, v14
	s_delay_alu instid0(VALU_DEP_1) | instskip(NEXT) | instid1(VALU_DEP_1)
	v_mul_f32_e32 v23, v25, v14
	v_fma_f32 v26, -v1, v23, v25
	s_delay_alu instid0(VALU_DEP_1) | instskip(NEXT) | instid1(VALU_DEP_1)
	v_fmac_f32_e32 v23, v26, v14
	v_fma_f32 v1, -v1, v23, v25
                                        ; implicit-def: $vgpr25
	s_delay_alu instid0(VALU_DEP_1) | instskip(SKIP_2) | instid1(VALU_DEP_3)
	v_div_fmas_f32 v1, v1, v14, v23
	v_fma_f32 v14, v13, s11, s10
	v_fma_f32 v23, -v13, s10, s11
	v_div_fixup_f32 v1, v1, v24, 1.0
	s_delay_alu instid0(VALU_DEP_1) | instskip(NEXT) | instid1(VALU_DEP_3)
	v_mul_f32_e32 v13, v14, v1
	v_mul_f32_e32 v14, v23, v1
                                        ; implicit-def: $vgpr23
.LBB255_111:                            ;   in Loop: Header=BB255_4 Depth=1
	s_and_not1_saveexec_b32 s8, s6
	s_cbranch_execz .LBB255_113
; %bb.112:                              ;   in Loop: Header=BB255_4 Depth=1
	v_div_scale_f32 v1, null, v23, v23, s10
	v_div_scale_f32 v13, null, v25, v25, s11
	v_div_scale_f32 v28, vcc_lo, s10, v23, s10
	s_delay_alu instid0(VALU_DEP_3) | instskip(NEXT) | instid1(VALU_DEP_2)
	v_rcp_f32_e32 v14, v1
	v_rcp_f32_e32 v24, v13
	s_waitcnt_depctr 0xfff
	v_fma_f32 v26, -v1, v14, 1.0
	v_fma_f32 v27, -v13, v24, 1.0
	s_delay_alu instid0(VALU_DEP_1) | instskip(NEXT) | instid1(VALU_DEP_3)
	v_fmac_f32_e32 v24, v27, v24
	v_fmac_f32_e32 v14, v26, v14
	v_div_scale_f32 v26, s6, s11, v25, s11
	s_delay_alu instid0(VALU_DEP_1) | instskip(NEXT) | instid1(VALU_DEP_1)
	v_mul_f32_e32 v29, v26, v24
	v_fma_f32 v31, -v13, v29, v26
	s_delay_alu instid0(VALU_DEP_1) | instskip(SKIP_1) | instid1(VALU_DEP_2)
	v_fmac_f32_e32 v29, v31, v24
	v_mul_f32_e32 v27, v28, v14
	v_fma_f32 v13, -v13, v29, v26
	s_delay_alu instid0(VALU_DEP_2) | instskip(NEXT) | instid1(VALU_DEP_1)
	v_fma_f32 v30, -v1, v27, v28
	v_fmac_f32_e32 v27, v30, v14
	s_delay_alu instid0(VALU_DEP_1) | instskip(NEXT) | instid1(VALU_DEP_1)
	v_fma_f32 v1, -v1, v27, v28
	v_div_fmas_f32 v1, v1, v14, v27
	s_mov_b32 vcc_lo, s6
	v_div_fmas_f32 v14, v13, v24, v29
	s_delay_alu instid0(VALU_DEP_2) | instskip(NEXT) | instid1(VALU_DEP_2)
	v_div_fixup_f32 v13, v1, v23, s10
	v_div_fixup_f32 v14, v14, v25, s11
.LBB255_113:                            ;   in Loop: Header=BB255_4 Depth=1
	s_or_b32 exec_lo, exec_lo, s8
                                        ; implicit-def: $vgpr1
                                        ; implicit-def: $vgpr24
.LBB255_114:                            ;   in Loop: Header=BB255_4 Depth=1
	s_and_not1_saveexec_b32 s6, s7
	s_cbranch_execz .LBB255_116
; %bb.115:                              ;   in Loop: Header=BB255_4 Depth=1
	v_div_scale_f32 v13, null, v1, v1, v24
	v_div_scale_f32 v25, vcc_lo, v24, v1, v24
	s_delay_alu instid0(VALU_DEP_2) | instskip(SKIP_2) | instid1(VALU_DEP_1)
	v_rcp_f32_e32 v14, v13
	s_waitcnt_depctr 0xfff
	v_fma_f32 v23, -v13, v14, 1.0
	v_fmac_f32_e32 v14, v23, v14
	s_delay_alu instid0(VALU_DEP_1) | instskip(NEXT) | instid1(VALU_DEP_1)
	v_mul_f32_e32 v23, v25, v14
	v_fma_f32 v26, -v13, v23, v25
	s_delay_alu instid0(VALU_DEP_1) | instskip(NEXT) | instid1(VALU_DEP_1)
	v_fmac_f32_e32 v23, v26, v14
	v_fma_f32 v13, -v13, v23, v25
	s_delay_alu instid0(VALU_DEP_1) | instskip(NEXT) | instid1(VALU_DEP_1)
	v_div_fmas_f32 v13, v13, v14, v23
	v_div_fixup_f32 v13, v13, v1, v24
	s_delay_alu instid0(VALU_DEP_1) | instskip(NEXT) | instid1(VALU_DEP_1)
	v_fmac_f32_e32 v1, v24, v13
	v_div_scale_f32 v14, null, v1, v1, 1.0
	v_div_scale_f32 v25, vcc_lo, 1.0, v1, 1.0
	s_delay_alu instid0(VALU_DEP_2) | instskip(SKIP_2) | instid1(VALU_DEP_1)
	v_rcp_f32_e32 v23, v14
	s_waitcnt_depctr 0xfff
	v_fma_f32 v24, -v14, v23, 1.0
	v_fmac_f32_e32 v23, v24, v23
	s_delay_alu instid0(VALU_DEP_1) | instskip(NEXT) | instid1(VALU_DEP_1)
	v_mul_f32_e32 v24, v25, v23
	v_fma_f32 v26, -v14, v24, v25
	s_delay_alu instid0(VALU_DEP_1) | instskip(NEXT) | instid1(VALU_DEP_1)
	v_fmac_f32_e32 v24, v26, v23
	v_fma_f32 v14, -v14, v24, v25
	s_delay_alu instid0(VALU_DEP_1) | instskip(SKIP_1) | instid1(VALU_DEP_2)
	v_div_fmas_f32 v14, v14, v23, v24
	v_fma_f32 v23, v13, s10, s11
	v_div_fixup_f32 v1, v14, v1, 1.0
	v_fma_f32 v14, v13, s11, -s10
	s_delay_alu instid0(VALU_DEP_2) | instskip(NEXT) | instid1(VALU_DEP_2)
	v_mul_f32_e32 v13, v23, v1
	v_mul_f32_e32 v14, v14, v1
.LBB255_116:                            ;   in Loop: Header=BB255_4 Depth=1
	s_or_b32 exec_lo, exec_lo, s6
	v_and_b32_e32 v24, 0x7fffffff, v12
	v_xor_b32_e32 v23, 0x80000000, v12
                                        ; implicit-def: $vgpr1
	s_mov_b32 s6, exec_lo
	s_delay_alu instid0(VALU_DEP_2)
	v_cmpx_ne_u32_e32 0, v24
	s_xor_b32 s29, exec_lo, s6
	s_cbranch_execz .LBB255_158
; %bb.117:                              ;   in Loop: Header=BB255_4 Depth=1
	v_and_b32_e32 v26, 0x7fffffff, v11
                                        ; implicit-def: $vgpr1
	s_mov_b32 s6, exec_lo
	s_delay_alu instid0(VALU_DEP_1)
	v_cmpx_ne_u32_e32 0, v26
	s_xor_b32 s30, exec_lo, s6
	s_cbranch_execz .LBB255_147
; %bb.118:                              ;   in Loop: Header=BB255_4 Depth=1
	v_xor_b32_e32 v25, 0x80000000, v11
                                        ; implicit-def: $vgpr1
	s_mov_b32 s6, exec_lo
	v_cmpx_gt_u32_e32 0x7f800000, v24
	s_xor_b32 s31, exec_lo, s6
	s_cbranch_execz .LBB255_140
; %bb.119:                              ;   in Loop: Header=BB255_4 Depth=1
	v_add_nc_u32_e32 v1, 0xbd4e8de8, v25
	s_delay_alu instid0(VALU_DEP_1) | instskip(SKIP_1) | instid1(SALU_CYCLE_1)
	v_cmp_lt_u32_e32 vcc_lo, 0x8e8e5c, v1
                                        ; implicit-def: $vgpr1
	s_and_saveexec_b32 s6, vcc_lo
	s_xor_b32 s33, exec_lo, s6
	s_cbranch_execz .LBB255_129
; %bb.120:                              ;   in Loop: Header=BB255_4 Depth=1
	v_cmp_ngt_f32_e64 s34, 0x48000000, |v12|
                                        ; implicit-def: $vgpr26
                                        ; implicit-def: $vgpr25
	s_delay_alu instid0(VALU_DEP_1) | instskip(NEXT) | instid1(SALU_CYCLE_1)
	s_and_saveexec_b32 s6, s34
	s_xor_b32 s35, exec_lo, s6
	s_cbranch_execz .LBB255_122
; %bb.121:                              ;   in Loop: Header=BB255_4 Depth=1
	v_lshrrev_b32_e32 v30, 23, v24
	v_and_or_b32 v33, v24, s25, 0x800000
	s_delay_alu instid0(VALU_DEP_2) | instskip(NEXT) | instid1(VALU_DEP_2)
	v_add_nc_u32_e32 v31, 0xffffff88, v30
	v_mad_u64_u32 v[25:26], null, 0xfe5163ab, v33, 0
	s_delay_alu instid0(VALU_DEP_2) | instskip(SKIP_1) | instid1(VALU_DEP_1)
	v_cmp_lt_u32_e32 vcc_lo, 63, v31
	v_cndmask_b32_e64 v32, 0, 0xffffffc0, vcc_lo
	v_dual_mov_b32 v1, v26 :: v_dual_add_nc_u32 v32, v32, v31
	s_delay_alu instid0(VALU_DEP_1) | instskip(NEXT) | instid1(VALU_DEP_2)
	v_mad_u64_u32 v[26:27], null, 0x3c439041, v33, v[1:2]
	v_cmp_lt_u32_e64 s6, 31, v32
	s_delay_alu instid0(VALU_DEP_1) | instskip(NEXT) | instid1(VALU_DEP_1)
	v_cndmask_b32_e64 v34, 0, 0xffffffe0, s6
	v_dual_mov_b32 v1, v27 :: v_dual_add_nc_u32 v34, v34, v32
	s_delay_alu instid0(VALU_DEP_1) | instskip(NEXT) | instid1(VALU_DEP_2)
	v_mad_u64_u32 v[27:28], null, 0xdb629599, v33, v[1:2]
	v_cmp_lt_u32_e64 s7, 31, v34
	s_delay_alu instid0(VALU_DEP_2) | instskip(NEXT) | instid1(VALU_DEP_3)
	v_mov_b32_e32 v1, v28
	v_cndmask_b32_e32 v25, v27, v25, vcc_lo
	s_delay_alu instid0(VALU_DEP_2) | instskip(NEXT) | instid1(VALU_DEP_1)
	v_mad_u64_u32 v[28:29], null, 0xf534ddc0, v33, v[1:2]
	v_dual_mov_b32 v1, v29 :: v_dual_cndmask_b32 v26, v28, v26
	s_delay_alu instid0(VALU_DEP_1) | instskip(NEXT) | instid1(VALU_DEP_2)
	v_mad_u64_u32 v[29:30], null, 0xfc2757d1, v33, v[1:2]
	v_cndmask_b32_e64 v25, v26, v25, s6
	s_delay_alu instid0(VALU_DEP_2) | instskip(NEXT) | instid1(VALU_DEP_1)
	v_mov_b32_e32 v1, v30
	v_mad_u64_u32 v[30:31], null, 0x4e441529, v33, v[1:2]
	s_delay_alu instid0(VALU_DEP_1) | instskip(NEXT) | instid1(VALU_DEP_1)
	v_mov_b32_e32 v1, v31
	v_mad_u64_u32 v[31:32], null, 0xa2f9836e, v33, v[1:2]
	v_cndmask_b32_e64 v1, 0, 0xffffffe0, s7
	s_delay_alu instid0(VALU_DEP_4) | instskip(NEXT) | instid1(VALU_DEP_2)
	v_cndmask_b32_e32 v33, v30, v28, vcc_lo
	v_add_nc_u32_e32 v1, v1, v34
	s_delay_alu instid0(VALU_DEP_4) | instskip(SKIP_1) | instid1(VALU_DEP_3)
	v_dual_cndmask_b32 v31, v31, v29 :: v_dual_cndmask_b32 v30, v32, v30
	v_cndmask_b32_e32 v29, v29, v27, vcc_lo
	v_sub_nc_u32_e32 v32, 32, v1
	s_delay_alu instid0(VALU_DEP_3) | instskip(NEXT) | instid1(VALU_DEP_4)
	v_cndmask_b32_e64 v28, v31, v33, s6
	v_cndmask_b32_e64 v30, v30, v31, s6
	s_delay_alu instid0(VALU_DEP_4) | instskip(SKIP_2) | instid1(VALU_DEP_4)
	v_cndmask_b32_e64 v31, v33, v29, s6
	v_cndmask_b32_e64 v29, v29, v26, s6
	v_cmp_eq_u32_e64 s8, 0, v1
	v_cndmask_b32_e64 v30, v30, v28, s7
	s_delay_alu instid0(VALU_DEP_4) | instskip(NEXT) | instid1(VALU_DEP_4)
	v_cndmask_b32_e64 v28, v28, v31, s7
	v_cndmask_b32_e64 v31, v31, v29, s7
	v_cndmask_b32_e64 v25, v29, v25, s7
	s_delay_alu instid0(VALU_DEP_3) | instskip(NEXT) | instid1(VALU_DEP_3)
	v_alignbit_b32 v33, v30, v28, v32
	v_alignbit_b32 v34, v28, v31, v32
	s_delay_alu instid0(VALU_DEP_3) | instskip(NEXT) | instid1(VALU_DEP_3)
	v_alignbit_b32 v32, v31, v25, v32
	v_cndmask_b32_e64 v1, v33, v30, s8
	s_delay_alu instid0(VALU_DEP_3) | instskip(NEXT) | instid1(VALU_DEP_3)
	v_cndmask_b32_e64 v27, v34, v28, s8
	v_cndmask_b32_e64 v31, v32, v31, s8
	s_delay_alu instid0(VALU_DEP_3) | instskip(NEXT) | instid1(VALU_DEP_3)
	v_bfe_u32 v28, v1, 29, 1
	v_alignbit_b32 v26, v1, v27, 30
	s_delay_alu instid0(VALU_DEP_3) | instskip(SKIP_1) | instid1(VALU_DEP_4)
	v_alignbit_b32 v27, v27, v31, 30
	v_alignbit_b32 v25, v31, v25, 30
	v_sub_nc_u32_e32 v30, 0, v28
	s_delay_alu instid0(VALU_DEP_1) | instskip(SKIP_3) | instid1(VALU_DEP_4)
	v_xor_b32_e32 v29, v26, v30
	v_cmp_ne_u32_e32 vcc_lo, v26, v30
	v_xor_b32_e32 v27, v27, v30
	v_xor_b32_e32 v25, v25, v30
	v_clz_i32_u32_e32 v33, v29
	s_delay_alu instid0(VALU_DEP_1) | instskip(NEXT) | instid1(VALU_DEP_1)
	v_add_nc_u32_e32 v32, 1, v33
	v_cndmask_b32_e32 v26, 33, v32, vcc_lo
	s_delay_alu instid0(VALU_DEP_1) | instskip(NEXT) | instid1(VALU_DEP_1)
	v_sub_nc_u32_e32 v31, 32, v26
	v_alignbit_b32 v29, v29, v27, v31
	v_alignbit_b32 v25, v27, v25, v31
	v_lshrrev_b32_e32 v27, 29, v1
	v_lshrrev_b32_e32 v1, 30, v1
	s_delay_alu instid0(VALU_DEP_3) | instskip(NEXT) | instid1(VALU_DEP_3)
	v_alignbit_b32 v30, v29, v25, 9
	v_lshlrev_b32_e32 v27, 31, v27
	v_alignbit_b32 v29, v26, v29, 9
	s_delay_alu instid0(VALU_DEP_3) | instskip(NEXT) | instid1(VALU_DEP_2)
	v_clz_i32_u32_e32 v31, v30
	v_or_b32_e32 v29, v29, v27
	v_or_b32_e32 v27, 0x33800000, v27
	s_delay_alu instid0(VALU_DEP_3) | instskip(NEXT) | instid1(VALU_DEP_3)
	v_min_u32_e32 v31, 32, v31
	v_xor_b32_e32 v29, 1.0, v29
	s_delay_alu instid0(VALU_DEP_2) | instskip(SKIP_1) | instid1(VALU_DEP_3)
	v_sub_nc_u32_e32 v32, 31, v31
	v_add_lshl_u32 v26, v31, v26, 23
	v_mul_f32_e32 v31, 0x3fc90fda, v29
	s_delay_alu instid0(VALU_DEP_3) | instskip(NEXT) | instid1(VALU_DEP_3)
	v_alignbit_b32 v25, v30, v25, v32
	v_sub_nc_u32_e32 v26, v27, v26
	s_delay_alu instid0(VALU_DEP_3) | instskip(NEXT) | instid1(VALU_DEP_3)
	v_fma_f32 v27, 0x3fc90fda, v29, -v31
	v_lshrrev_b32_e32 v25, 9, v25
	s_delay_alu instid0(VALU_DEP_2) | instskip(NEXT) | instid1(VALU_DEP_2)
	v_fmac_f32_e32 v27, 0x33a22168, v29
	v_or_b32_e32 v25, v26, v25
	v_add_nc_u32_e32 v26, v28, v1
	s_delay_alu instid0(VALU_DEP_2) | instskip(NEXT) | instid1(VALU_DEP_1)
	v_fmac_f32_e32 v27, 0x3fc90fda, v25
	v_add_f32_e32 v25, v31, v27
	s_and_not1_saveexec_b32 s6, s35
	s_branch .LBB255_123
.LBB255_122:                            ;   in Loop: Header=BB255_4 Depth=1
	s_and_not1_saveexec_b32 s6, s35
.LBB255_123:                            ;   in Loop: Header=BB255_4 Depth=1
	v_mul_f32_e64 v1, 0x3f22f983, |v12|
	s_delay_alu instid0(VALU_DEP_1) | instskip(NEXT) | instid1(VALU_DEP_1)
	v_rndne_f32_e32 v1, v1
	v_fma_f32 v25, 0xbfc90fda, v1, |v12|
	v_cvt_i32_f32_e32 v26, v1
	s_delay_alu instid0(VALU_DEP_2) | instskip(NEXT) | instid1(VALU_DEP_1)
	v_fmac_f32_e32 v25, 0xb3a22168, v1
	v_fmac_f32_e32 v25, 0xa7c234c4, v1
; %bb.124:                              ;   in Loop: Header=BB255_4 Depth=1
	s_or_b32 exec_lo, exec_lo, s6
                                        ; implicit-def: $vgpr27
                                        ; implicit-def: $vgpr1
	s_and_saveexec_b32 s6, s34
	s_delay_alu instid0(SALU_CYCLE_1)
	s_xor_b32 s34, exec_lo, s6
	s_cbranch_execz .LBB255_126
; %bb.125:                              ;   in Loop: Header=BB255_4 Depth=1
	v_lshrrev_b32_e32 v32, 23, v24
	v_and_or_b32 v35, v24, s25, 0x800000
	s_delay_alu instid0(VALU_DEP_2) | instskip(NEXT) | instid1(VALU_DEP_2)
	v_add_nc_u32_e32 v33, 0xffffff88, v32
	v_mad_u64_u32 v[27:28], null, 0xfe5163ab, v35, 0
	s_delay_alu instid0(VALU_DEP_2) | instskip(SKIP_1) | instid1(VALU_DEP_1)
	v_cmp_lt_u32_e32 vcc_lo, 63, v33
	v_cndmask_b32_e64 v34, 0, 0xffffffc0, vcc_lo
	v_dual_mov_b32 v1, v28 :: v_dual_add_nc_u32 v34, v34, v33
	s_delay_alu instid0(VALU_DEP_1) | instskip(NEXT) | instid1(VALU_DEP_2)
	v_mad_u64_u32 v[28:29], null, 0x3c439041, v35, v[1:2]
	v_cmp_lt_u32_e64 s6, 31, v34
	s_delay_alu instid0(VALU_DEP_1) | instskip(NEXT) | instid1(VALU_DEP_1)
	v_cndmask_b32_e64 v36, 0, 0xffffffe0, s6
	v_dual_mov_b32 v1, v29 :: v_dual_add_nc_u32 v36, v36, v34
	s_delay_alu instid0(VALU_DEP_1) | instskip(NEXT) | instid1(VALU_DEP_2)
	v_mad_u64_u32 v[29:30], null, 0xdb629599, v35, v[1:2]
	v_cmp_lt_u32_e64 s7, 31, v36
	s_delay_alu instid0(VALU_DEP_2) | instskip(NEXT) | instid1(VALU_DEP_3)
	v_mov_b32_e32 v1, v30
	v_cndmask_b32_e32 v27, v29, v27, vcc_lo
	s_delay_alu instid0(VALU_DEP_2) | instskip(NEXT) | instid1(VALU_DEP_1)
	v_mad_u64_u32 v[30:31], null, 0xf534ddc0, v35, v[1:2]
	v_dual_mov_b32 v1, v31 :: v_dual_cndmask_b32 v28, v30, v28
	s_delay_alu instid0(VALU_DEP_1) | instskip(NEXT) | instid1(VALU_DEP_2)
	v_mad_u64_u32 v[31:32], null, 0xfc2757d1, v35, v[1:2]
	v_cndmask_b32_e64 v27, v28, v27, s6
	s_delay_alu instid0(VALU_DEP_2) | instskip(NEXT) | instid1(VALU_DEP_1)
	v_mov_b32_e32 v1, v32
	v_mad_u64_u32 v[32:33], null, 0x4e441529, v35, v[1:2]
	s_delay_alu instid0(VALU_DEP_1) | instskip(NEXT) | instid1(VALU_DEP_1)
	v_mov_b32_e32 v1, v33
	v_mad_u64_u32 v[33:34], null, 0xa2f9836e, v35, v[1:2]
	v_cndmask_b32_e64 v1, 0, 0xffffffe0, s7
	s_delay_alu instid0(VALU_DEP_4) | instskip(NEXT) | instid1(VALU_DEP_2)
	v_cndmask_b32_e32 v35, v32, v30, vcc_lo
	v_add_nc_u32_e32 v1, v1, v36
	s_delay_alu instid0(VALU_DEP_4) | instskip(SKIP_1) | instid1(VALU_DEP_3)
	v_dual_cndmask_b32 v33, v33, v31 :: v_dual_cndmask_b32 v32, v34, v32
	v_cndmask_b32_e32 v31, v31, v29, vcc_lo
	v_sub_nc_u32_e32 v34, 32, v1
	s_delay_alu instid0(VALU_DEP_3) | instskip(NEXT) | instid1(VALU_DEP_4)
	v_cndmask_b32_e64 v30, v33, v35, s6
	v_cndmask_b32_e64 v32, v32, v33, s6
	s_delay_alu instid0(VALU_DEP_4) | instskip(SKIP_2) | instid1(VALU_DEP_4)
	v_cndmask_b32_e64 v33, v35, v31, s6
	v_cndmask_b32_e64 v31, v31, v28, s6
	v_cmp_eq_u32_e64 s8, 0, v1
	v_cndmask_b32_e64 v32, v32, v30, s7
	s_delay_alu instid0(VALU_DEP_4) | instskip(NEXT) | instid1(VALU_DEP_4)
	v_cndmask_b32_e64 v30, v30, v33, s7
	v_cndmask_b32_e64 v33, v33, v31, s7
	;; [unrolled: 1-line block ×3, first 2 shown]
	s_delay_alu instid0(VALU_DEP_3) | instskip(NEXT) | instid1(VALU_DEP_3)
	v_alignbit_b32 v35, v32, v30, v34
	v_alignbit_b32 v36, v30, v33, v34
	s_delay_alu instid0(VALU_DEP_3) | instskip(NEXT) | instid1(VALU_DEP_3)
	v_alignbit_b32 v34, v33, v27, v34
	v_cndmask_b32_e64 v1, v35, v32, s8
	s_delay_alu instid0(VALU_DEP_3) | instskip(NEXT) | instid1(VALU_DEP_3)
	v_cndmask_b32_e64 v29, v36, v30, s8
	v_cndmask_b32_e64 v33, v34, v33, s8
	s_delay_alu instid0(VALU_DEP_3) | instskip(NEXT) | instid1(VALU_DEP_3)
	v_bfe_u32 v30, v1, 29, 1
	v_alignbit_b32 v28, v1, v29, 30
	s_delay_alu instid0(VALU_DEP_3) | instskip(SKIP_1) | instid1(VALU_DEP_4)
	v_alignbit_b32 v29, v29, v33, 30
	v_alignbit_b32 v27, v33, v27, 30
	v_sub_nc_u32_e32 v32, 0, v30
	s_delay_alu instid0(VALU_DEP_1) | instskip(SKIP_3) | instid1(VALU_DEP_4)
	v_xor_b32_e32 v31, v28, v32
	v_cmp_ne_u32_e32 vcc_lo, v28, v32
	v_xor_b32_e32 v29, v29, v32
	v_xor_b32_e32 v27, v27, v32
	v_clz_i32_u32_e32 v35, v31
	s_delay_alu instid0(VALU_DEP_1) | instskip(NEXT) | instid1(VALU_DEP_1)
	v_add_nc_u32_e32 v34, 1, v35
	v_cndmask_b32_e32 v28, 33, v34, vcc_lo
	s_delay_alu instid0(VALU_DEP_1) | instskip(NEXT) | instid1(VALU_DEP_1)
	v_sub_nc_u32_e32 v33, 32, v28
	v_alignbit_b32 v31, v31, v29, v33
	v_alignbit_b32 v27, v29, v27, v33
	v_lshrrev_b32_e32 v29, 29, v1
	s_delay_alu instid0(VALU_DEP_2) | instskip(NEXT) | instid1(VALU_DEP_2)
	v_alignbit_b32 v32, v31, v27, 9
	v_lshlrev_b32_e32 v29, 31, v29
	v_alignbit_b32 v31, v28, v31, 9
	s_delay_alu instid0(VALU_DEP_3) | instskip(NEXT) | instid1(VALU_DEP_2)
	v_clz_i32_u32_e32 v33, v32
	v_or_b32_e32 v31, v31, v29
	v_or_b32_e32 v29, 0x33800000, v29
	s_delay_alu instid0(VALU_DEP_3) | instskip(NEXT) | instid1(VALU_DEP_3)
	v_min_u32_e32 v33, 32, v33
	v_xor_b32_e32 v31, 1.0, v31
	s_delay_alu instid0(VALU_DEP_2) | instskip(SKIP_1) | instid1(VALU_DEP_3)
	v_sub_nc_u32_e32 v34, 31, v33
	v_add_lshl_u32 v28, v33, v28, 23
	v_mul_f32_e32 v33, 0x3fc90fda, v31
	s_delay_alu instid0(VALU_DEP_3) | instskip(NEXT) | instid1(VALU_DEP_3)
	v_alignbit_b32 v27, v32, v27, v34
	v_sub_nc_u32_e32 v28, v29, v28
	s_delay_alu instid0(VALU_DEP_3) | instskip(NEXT) | instid1(VALU_DEP_3)
	v_fma_f32 v29, 0x3fc90fda, v31, -v33
	v_lshrrev_b32_e32 v27, 9, v27
	s_delay_alu instid0(VALU_DEP_2) | instskip(NEXT) | instid1(VALU_DEP_2)
	v_fmac_f32_e32 v29, 0x33a22168, v31
	v_or_b32_e32 v27, v28, v27
	s_delay_alu instid0(VALU_DEP_1) | instskip(SKIP_1) | instid1(VALU_DEP_2)
	v_fmac_f32_e32 v29, 0x3fc90fda, v27
	v_lshrrev_b32_e32 v27, 30, v1
	v_add_f32_e32 v1, v33, v29
	s_delay_alu instid0(VALU_DEP_2)
	v_add_nc_u32_e32 v27, v30, v27
	s_and_not1_saveexec_b32 s6, s34
	s_cbranch_execnz .LBB255_127
	s_branch .LBB255_128
.LBB255_126:                            ;   in Loop: Header=BB255_4 Depth=1
	s_and_not1_saveexec_b32 s6, s34
.LBB255_127:                            ;   in Loop: Header=BB255_4 Depth=1
	v_mul_f32_e64 v1, 0x3f22f983, |v12|
	s_delay_alu instid0(VALU_DEP_1) | instskip(NEXT) | instid1(VALU_DEP_1)
	v_rndne_f32_e32 v27, v1
	v_fma_f32 v1, 0xbfc90fda, v27, |v12|
	s_delay_alu instid0(VALU_DEP_1) | instskip(NEXT) | instid1(VALU_DEP_1)
	v_fmac_f32_e32 v1, 0xb3a22168, v27
	v_fmac_f32_e32 v1, 0xa7c234c4, v27
	v_cvt_i32_f32_e32 v27, v27
.LBB255_128:                            ;   in Loop: Header=BB255_4 Depth=1
	s_or_b32 exec_lo, exec_lo, s6
	v_dual_mul_f32 v28, 0xbfb8aa3b, v11 :: v_dual_mul_f32 v29, v25, v25
	s_delay_alu instid0(VALU_DEP_3) | instskip(SKIP_1) | instid1(VALU_DEP_3)
	v_dual_mul_f32 v33, v1, v1 :: v_dual_and_b32 v30, 1, v26
	v_lshlrev_b32_e32 v26, 30, v26
	v_rndne_f32_e32 v31, v28
	s_delay_alu instid0(VALU_DEP_4) | instskip(SKIP_4) | instid1(VALU_DEP_4)
	v_fmaak_f32 v35, s26, v29, 0x3c0881c4
	v_fma_f32 v32, 0xbfb8aa3b, v11, -v28
	v_dual_fmaak_f32 v37, s26, v33, 0x3c0881c4 :: v_dual_and_b32 v34, 1, v27
	v_dual_fmaak_f32 v36, s27, v29, 0xbab64f3b :: v_dual_lshlrev_b32 v27, 30, v27
	v_sub_f32_e32 v28, v28, v31
	v_fmac_f32_e32 v32, 0xb2a5705f, v11
	v_cmp_eq_u32_e32 vcc_lo, 0, v30
	v_cvt_i32_f32_e32 v31, v31
	v_and_or_b32 v24, 0x80000000, v27, v24
	v_cmp_ngt_f32_e64 s6, 0xc2b17218, v11
	v_add_f32_e32 v28, v28, v32
	v_fmaak_f32 v32, v29, v35, 0xbe2aaa9d
	v_fmaak_f32 v35, v29, v36, 0x3d2aabf7
	;; [unrolled: 1-line block ×3, first 2 shown]
	s_delay_alu instid0(VALU_DEP_3) | instskip(SKIP_1) | instid1(VALU_DEP_4)
	v_mul_f32_e32 v32, v29, v32
	v_fmaak_f32 v38, s27, v33, 0xbab64f3b
	v_fmaak_f32 v35, v29, v35, 0xbf000004
	s_delay_alu instid0(VALU_DEP_3) | instskip(NEXT) | instid1(VALU_DEP_3)
	v_fmac_f32_e32 v25, v25, v32
	v_fmaak_f32 v37, v33, v38, 0x3d2aabf7
	s_delay_alu instid0(VALU_DEP_3) | instskip(SKIP_1) | instid1(VALU_DEP_2)
	v_fma_f32 v29, v29, v35, 1.0
	v_exp_f32_e32 v28, v28
	v_fmaak_f32 v37, v33, v37, 0xbf000004
	s_delay_alu instid0(VALU_DEP_2) | instskip(SKIP_1) | instid1(VALU_DEP_3)
	v_cndmask_b32_e64 v25, -v25, v29, vcc_lo
	v_cmp_eq_u32_e32 vcc_lo, 0, v34
	v_fma_f32 v32, v33, v37, 1.0
	v_mul_f32_e32 v36, v33, v36
	s_waitcnt_depctr 0xfff
	v_ldexp_f32 v28, v28, v31
	v_fmac_f32_e32 v1, v1, v36
	s_delay_alu instid0(VALU_DEP_1) | instskip(SKIP_1) | instid1(VALU_DEP_2)
	v_cndmask_b32_e32 v1, v32, v1, vcc_lo
	v_cmp_nlt_f32_e32 vcc_lo, 0x42ce8ed0, v11
	v_xor3_b32 v1, v24, v1, v23
	v_cndmask_b32_e32 v27, 0, v28, vcc_lo
	v_cmp_class_f32_e64 vcc_lo, v12, 0x1f8
                                        ; implicit-def: $vgpr24
	s_delay_alu instid0(VALU_DEP_2) | instskip(NEXT) | instid1(VALU_DEP_4)
	v_cndmask_b32_e64 v11, 0x7f800000, v27, s6
	v_cndmask_b32_e32 v23, 0x7fc00000, v1, vcc_lo
	s_delay_alu instid0(VALU_DEP_1) | instskip(NEXT) | instid1(VALU_DEP_1)
	v_dual_mul_f32 v23, v11, v23 :: v_dual_and_b32 v26, 0x80000000, v26
	v_xor_b32_e32 v25, v26, v25
	s_delay_alu instid0(VALU_DEP_1) | instskip(NEXT) | instid1(VALU_DEP_1)
	v_cndmask_b32_e32 v12, 0x7fc00000, v25, vcc_lo
	v_mul_f32_e32 v1, v11, v12
                                        ; implicit-def: $vgpr12
.LBB255_129:                            ;   in Loop: Header=BB255_4 Depth=1
	s_and_not1_saveexec_b32 s33, s33
	s_cbranch_execz .LBB255_139
; %bb.130:                              ;   in Loop: Header=BB255_4 Depth=1
	v_cmp_ngt_f32_e64 s34, 0x48000000, |v12|
                                        ; implicit-def: $vgpr26
                                        ; implicit-def: $vgpr25
	s_delay_alu instid0(VALU_DEP_1) | instskip(NEXT) | instid1(SALU_CYCLE_1)
	s_and_saveexec_b32 s6, s34
	s_xor_b32 s35, exec_lo, s6
	s_cbranch_execz .LBB255_132
; %bb.131:                              ;   in Loop: Header=BB255_4 Depth=1
	v_lshrrev_b32_e32 v30, 23, v24
	v_and_or_b32 v33, v24, s25, 0x800000
	s_delay_alu instid0(VALU_DEP_2) | instskip(NEXT) | instid1(VALU_DEP_2)
	v_add_nc_u32_e32 v31, 0xffffff88, v30
	v_mad_u64_u32 v[25:26], null, 0xfe5163ab, v33, 0
	s_delay_alu instid0(VALU_DEP_2) | instskip(SKIP_1) | instid1(VALU_DEP_1)
	v_cmp_lt_u32_e32 vcc_lo, 63, v31
	v_cndmask_b32_e64 v32, 0, 0xffffffc0, vcc_lo
	v_dual_mov_b32 v1, v26 :: v_dual_add_nc_u32 v32, v32, v31
	s_delay_alu instid0(VALU_DEP_1) | instskip(NEXT) | instid1(VALU_DEP_2)
	v_mad_u64_u32 v[26:27], null, 0x3c439041, v33, v[1:2]
	v_cmp_lt_u32_e64 s6, 31, v32
	s_delay_alu instid0(VALU_DEP_1) | instskip(NEXT) | instid1(VALU_DEP_1)
	v_cndmask_b32_e64 v34, 0, 0xffffffe0, s6
	v_dual_mov_b32 v1, v27 :: v_dual_add_nc_u32 v34, v34, v32
	s_delay_alu instid0(VALU_DEP_1) | instskip(NEXT) | instid1(VALU_DEP_2)
	v_mad_u64_u32 v[27:28], null, 0xdb629599, v33, v[1:2]
	v_cmp_lt_u32_e64 s7, 31, v34
	s_delay_alu instid0(VALU_DEP_2) | instskip(NEXT) | instid1(VALU_DEP_3)
	v_mov_b32_e32 v1, v28
	v_cndmask_b32_e32 v25, v27, v25, vcc_lo
	s_delay_alu instid0(VALU_DEP_2) | instskip(NEXT) | instid1(VALU_DEP_1)
	v_mad_u64_u32 v[28:29], null, 0xf534ddc0, v33, v[1:2]
	v_dual_mov_b32 v1, v29 :: v_dual_cndmask_b32 v26, v28, v26
	s_delay_alu instid0(VALU_DEP_1) | instskip(NEXT) | instid1(VALU_DEP_2)
	v_mad_u64_u32 v[29:30], null, 0xfc2757d1, v33, v[1:2]
	v_cndmask_b32_e64 v25, v26, v25, s6
	s_delay_alu instid0(VALU_DEP_2) | instskip(NEXT) | instid1(VALU_DEP_1)
	v_mov_b32_e32 v1, v30
	v_mad_u64_u32 v[30:31], null, 0x4e441529, v33, v[1:2]
	s_delay_alu instid0(VALU_DEP_1) | instskip(NEXT) | instid1(VALU_DEP_1)
	v_mov_b32_e32 v1, v31
	v_mad_u64_u32 v[31:32], null, 0xa2f9836e, v33, v[1:2]
	v_cndmask_b32_e64 v1, 0, 0xffffffe0, s7
	s_delay_alu instid0(VALU_DEP_4) | instskip(NEXT) | instid1(VALU_DEP_2)
	v_cndmask_b32_e32 v33, v30, v28, vcc_lo
	v_add_nc_u32_e32 v1, v1, v34
	s_delay_alu instid0(VALU_DEP_4) | instskip(SKIP_1) | instid1(VALU_DEP_3)
	v_dual_cndmask_b32 v31, v31, v29 :: v_dual_cndmask_b32 v30, v32, v30
	v_cndmask_b32_e32 v29, v29, v27, vcc_lo
	v_sub_nc_u32_e32 v32, 32, v1
	s_delay_alu instid0(VALU_DEP_3) | instskip(NEXT) | instid1(VALU_DEP_4)
	v_cndmask_b32_e64 v28, v31, v33, s6
	v_cndmask_b32_e64 v30, v30, v31, s6
	s_delay_alu instid0(VALU_DEP_4) | instskip(SKIP_2) | instid1(VALU_DEP_4)
	v_cndmask_b32_e64 v31, v33, v29, s6
	v_cndmask_b32_e64 v29, v29, v26, s6
	v_cmp_eq_u32_e64 s8, 0, v1
	v_cndmask_b32_e64 v30, v30, v28, s7
	s_delay_alu instid0(VALU_DEP_4) | instskip(NEXT) | instid1(VALU_DEP_4)
	v_cndmask_b32_e64 v28, v28, v31, s7
	v_cndmask_b32_e64 v31, v31, v29, s7
	;; [unrolled: 1-line block ×3, first 2 shown]
	s_delay_alu instid0(VALU_DEP_3) | instskip(NEXT) | instid1(VALU_DEP_3)
	v_alignbit_b32 v33, v30, v28, v32
	v_alignbit_b32 v34, v28, v31, v32
	s_delay_alu instid0(VALU_DEP_3) | instskip(NEXT) | instid1(VALU_DEP_3)
	v_alignbit_b32 v32, v31, v25, v32
	v_cndmask_b32_e64 v1, v33, v30, s8
	s_delay_alu instid0(VALU_DEP_3) | instskip(NEXT) | instid1(VALU_DEP_3)
	v_cndmask_b32_e64 v27, v34, v28, s8
	v_cndmask_b32_e64 v31, v32, v31, s8
	s_delay_alu instid0(VALU_DEP_3) | instskip(NEXT) | instid1(VALU_DEP_3)
	v_bfe_u32 v28, v1, 29, 1
	v_alignbit_b32 v26, v1, v27, 30
	s_delay_alu instid0(VALU_DEP_3) | instskip(SKIP_1) | instid1(VALU_DEP_4)
	v_alignbit_b32 v27, v27, v31, 30
	v_alignbit_b32 v25, v31, v25, 30
	v_sub_nc_u32_e32 v30, 0, v28
	s_delay_alu instid0(VALU_DEP_1) | instskip(SKIP_3) | instid1(VALU_DEP_4)
	v_xor_b32_e32 v29, v26, v30
	v_cmp_ne_u32_e32 vcc_lo, v26, v30
	v_xor_b32_e32 v27, v27, v30
	v_xor_b32_e32 v25, v25, v30
	v_clz_i32_u32_e32 v33, v29
	s_delay_alu instid0(VALU_DEP_1) | instskip(NEXT) | instid1(VALU_DEP_1)
	v_add_nc_u32_e32 v32, 1, v33
	v_cndmask_b32_e32 v26, 33, v32, vcc_lo
	s_delay_alu instid0(VALU_DEP_1) | instskip(NEXT) | instid1(VALU_DEP_1)
	v_sub_nc_u32_e32 v31, 32, v26
	v_alignbit_b32 v29, v29, v27, v31
	v_alignbit_b32 v25, v27, v25, v31
	v_lshrrev_b32_e32 v27, 29, v1
	v_lshrrev_b32_e32 v1, 30, v1
	s_delay_alu instid0(VALU_DEP_3) | instskip(NEXT) | instid1(VALU_DEP_3)
	v_alignbit_b32 v30, v29, v25, 9
	v_lshlrev_b32_e32 v27, 31, v27
	v_alignbit_b32 v29, v26, v29, 9
	s_delay_alu instid0(VALU_DEP_3) | instskip(NEXT) | instid1(VALU_DEP_2)
	v_clz_i32_u32_e32 v31, v30
	v_or_b32_e32 v29, v29, v27
	v_or_b32_e32 v27, 0x33800000, v27
	s_delay_alu instid0(VALU_DEP_3) | instskip(NEXT) | instid1(VALU_DEP_3)
	v_min_u32_e32 v31, 32, v31
	v_xor_b32_e32 v29, 1.0, v29
	s_delay_alu instid0(VALU_DEP_2) | instskip(SKIP_1) | instid1(VALU_DEP_3)
	v_sub_nc_u32_e32 v32, 31, v31
	v_add_lshl_u32 v26, v31, v26, 23
	v_mul_f32_e32 v31, 0x3fc90fda, v29
	s_delay_alu instid0(VALU_DEP_3) | instskip(NEXT) | instid1(VALU_DEP_3)
	v_alignbit_b32 v25, v30, v25, v32
	v_sub_nc_u32_e32 v26, v27, v26
	s_delay_alu instid0(VALU_DEP_3) | instskip(NEXT) | instid1(VALU_DEP_3)
	v_fma_f32 v27, 0x3fc90fda, v29, -v31
	v_lshrrev_b32_e32 v25, 9, v25
	s_delay_alu instid0(VALU_DEP_2) | instskip(NEXT) | instid1(VALU_DEP_2)
	v_fmac_f32_e32 v27, 0x33a22168, v29
	v_or_b32_e32 v25, v26, v25
	v_add_nc_u32_e32 v26, v28, v1
	s_delay_alu instid0(VALU_DEP_2) | instskip(NEXT) | instid1(VALU_DEP_1)
	v_fmac_f32_e32 v27, 0x3fc90fda, v25
	v_add_f32_e32 v25, v31, v27
	s_and_not1_saveexec_b32 s6, s35
	s_branch .LBB255_133
.LBB255_132:                            ;   in Loop: Header=BB255_4 Depth=1
	s_and_not1_saveexec_b32 s6, s35
.LBB255_133:                            ;   in Loop: Header=BB255_4 Depth=1
	v_mul_f32_e64 v1, 0x3f22f983, |v12|
	s_delay_alu instid0(VALU_DEP_1) | instskip(NEXT) | instid1(VALU_DEP_1)
	v_rndne_f32_e32 v1, v1
	v_fma_f32 v25, 0xbfc90fda, v1, |v12|
	v_cvt_i32_f32_e32 v26, v1
	s_delay_alu instid0(VALU_DEP_2) | instskip(NEXT) | instid1(VALU_DEP_1)
	v_fmac_f32_e32 v25, 0xb3a22168, v1
	v_fmac_f32_e32 v25, 0xa7c234c4, v1
; %bb.134:                              ;   in Loop: Header=BB255_4 Depth=1
	s_or_b32 exec_lo, exec_lo, s6
                                        ; implicit-def: $vgpr27
                                        ; implicit-def: $vgpr1
	s_and_saveexec_b32 s6, s34
	s_delay_alu instid0(SALU_CYCLE_1)
	s_xor_b32 s34, exec_lo, s6
	s_cbranch_execz .LBB255_136
; %bb.135:                              ;   in Loop: Header=BB255_4 Depth=1
	v_lshrrev_b32_e32 v32, 23, v24
	v_and_or_b32 v35, v24, s25, 0x800000
	s_delay_alu instid0(VALU_DEP_2) | instskip(NEXT) | instid1(VALU_DEP_2)
	v_add_nc_u32_e32 v33, 0xffffff88, v32
	v_mad_u64_u32 v[27:28], null, 0xfe5163ab, v35, 0
	s_delay_alu instid0(VALU_DEP_2) | instskip(SKIP_1) | instid1(VALU_DEP_1)
	v_cmp_lt_u32_e32 vcc_lo, 63, v33
	v_cndmask_b32_e64 v34, 0, 0xffffffc0, vcc_lo
	v_dual_mov_b32 v1, v28 :: v_dual_add_nc_u32 v34, v34, v33
	s_delay_alu instid0(VALU_DEP_1) | instskip(NEXT) | instid1(VALU_DEP_2)
	v_mad_u64_u32 v[28:29], null, 0x3c439041, v35, v[1:2]
	v_cmp_lt_u32_e64 s6, 31, v34
	s_delay_alu instid0(VALU_DEP_1) | instskip(NEXT) | instid1(VALU_DEP_1)
	v_cndmask_b32_e64 v36, 0, 0xffffffe0, s6
	v_dual_mov_b32 v1, v29 :: v_dual_add_nc_u32 v36, v36, v34
	s_delay_alu instid0(VALU_DEP_1) | instskip(NEXT) | instid1(VALU_DEP_2)
	v_mad_u64_u32 v[29:30], null, 0xdb629599, v35, v[1:2]
	v_cmp_lt_u32_e64 s7, 31, v36
	s_delay_alu instid0(VALU_DEP_2) | instskip(NEXT) | instid1(VALU_DEP_3)
	v_mov_b32_e32 v1, v30
	v_cndmask_b32_e32 v27, v29, v27, vcc_lo
	s_delay_alu instid0(VALU_DEP_2) | instskip(NEXT) | instid1(VALU_DEP_1)
	v_mad_u64_u32 v[30:31], null, 0xf534ddc0, v35, v[1:2]
	v_dual_mov_b32 v1, v31 :: v_dual_cndmask_b32 v28, v30, v28
	s_delay_alu instid0(VALU_DEP_1) | instskip(NEXT) | instid1(VALU_DEP_2)
	v_mad_u64_u32 v[31:32], null, 0xfc2757d1, v35, v[1:2]
	v_cndmask_b32_e64 v27, v28, v27, s6
	s_delay_alu instid0(VALU_DEP_2) | instskip(NEXT) | instid1(VALU_DEP_1)
	v_mov_b32_e32 v1, v32
	v_mad_u64_u32 v[32:33], null, 0x4e441529, v35, v[1:2]
	s_delay_alu instid0(VALU_DEP_1) | instskip(NEXT) | instid1(VALU_DEP_1)
	v_mov_b32_e32 v1, v33
	v_mad_u64_u32 v[33:34], null, 0xa2f9836e, v35, v[1:2]
	v_cndmask_b32_e64 v1, 0, 0xffffffe0, s7
	s_delay_alu instid0(VALU_DEP_4) | instskip(NEXT) | instid1(VALU_DEP_2)
	v_cndmask_b32_e32 v35, v32, v30, vcc_lo
	v_add_nc_u32_e32 v1, v1, v36
	s_delay_alu instid0(VALU_DEP_4) | instskip(SKIP_1) | instid1(VALU_DEP_3)
	v_dual_cndmask_b32 v33, v33, v31 :: v_dual_cndmask_b32 v32, v34, v32
	v_cndmask_b32_e32 v31, v31, v29, vcc_lo
	v_sub_nc_u32_e32 v34, 32, v1
	s_delay_alu instid0(VALU_DEP_3) | instskip(NEXT) | instid1(VALU_DEP_4)
	v_cndmask_b32_e64 v30, v33, v35, s6
	v_cndmask_b32_e64 v32, v32, v33, s6
	s_delay_alu instid0(VALU_DEP_4) | instskip(SKIP_2) | instid1(VALU_DEP_4)
	v_cndmask_b32_e64 v33, v35, v31, s6
	v_cndmask_b32_e64 v31, v31, v28, s6
	v_cmp_eq_u32_e64 s8, 0, v1
	v_cndmask_b32_e64 v32, v32, v30, s7
	s_delay_alu instid0(VALU_DEP_4) | instskip(NEXT) | instid1(VALU_DEP_4)
	v_cndmask_b32_e64 v30, v30, v33, s7
	v_cndmask_b32_e64 v33, v33, v31, s7
	;; [unrolled: 1-line block ×3, first 2 shown]
	s_delay_alu instid0(VALU_DEP_3) | instskip(NEXT) | instid1(VALU_DEP_3)
	v_alignbit_b32 v35, v32, v30, v34
	v_alignbit_b32 v36, v30, v33, v34
	s_delay_alu instid0(VALU_DEP_3) | instskip(NEXT) | instid1(VALU_DEP_3)
	v_alignbit_b32 v34, v33, v27, v34
	v_cndmask_b32_e64 v1, v35, v32, s8
	s_delay_alu instid0(VALU_DEP_3) | instskip(NEXT) | instid1(VALU_DEP_3)
	v_cndmask_b32_e64 v29, v36, v30, s8
	v_cndmask_b32_e64 v33, v34, v33, s8
	s_delay_alu instid0(VALU_DEP_3) | instskip(NEXT) | instid1(VALU_DEP_3)
	v_bfe_u32 v30, v1, 29, 1
	v_alignbit_b32 v28, v1, v29, 30
	s_delay_alu instid0(VALU_DEP_3) | instskip(SKIP_1) | instid1(VALU_DEP_4)
	v_alignbit_b32 v29, v29, v33, 30
	v_alignbit_b32 v27, v33, v27, 30
	v_sub_nc_u32_e32 v32, 0, v30
	s_delay_alu instid0(VALU_DEP_1) | instskip(SKIP_3) | instid1(VALU_DEP_4)
	v_xor_b32_e32 v31, v28, v32
	v_cmp_ne_u32_e32 vcc_lo, v28, v32
	v_xor_b32_e32 v29, v29, v32
	v_xor_b32_e32 v27, v27, v32
	v_clz_i32_u32_e32 v35, v31
	s_delay_alu instid0(VALU_DEP_1) | instskip(NEXT) | instid1(VALU_DEP_1)
	v_add_nc_u32_e32 v34, 1, v35
	v_cndmask_b32_e32 v28, 33, v34, vcc_lo
	s_delay_alu instid0(VALU_DEP_1) | instskip(NEXT) | instid1(VALU_DEP_1)
	v_sub_nc_u32_e32 v33, 32, v28
	v_alignbit_b32 v31, v31, v29, v33
	v_alignbit_b32 v27, v29, v27, v33
	v_lshrrev_b32_e32 v29, 29, v1
	s_delay_alu instid0(VALU_DEP_2) | instskip(NEXT) | instid1(VALU_DEP_2)
	v_alignbit_b32 v32, v31, v27, 9
	v_lshlrev_b32_e32 v29, 31, v29
	v_alignbit_b32 v31, v28, v31, 9
	s_delay_alu instid0(VALU_DEP_3) | instskip(NEXT) | instid1(VALU_DEP_2)
	v_clz_i32_u32_e32 v33, v32
	v_or_b32_e32 v31, v31, v29
	v_or_b32_e32 v29, 0x33800000, v29
	s_delay_alu instid0(VALU_DEP_3) | instskip(NEXT) | instid1(VALU_DEP_3)
	v_min_u32_e32 v33, 32, v33
	v_xor_b32_e32 v31, 1.0, v31
	s_delay_alu instid0(VALU_DEP_2) | instskip(SKIP_1) | instid1(VALU_DEP_3)
	v_sub_nc_u32_e32 v34, 31, v33
	v_add_lshl_u32 v28, v33, v28, 23
	v_mul_f32_e32 v33, 0x3fc90fda, v31
	s_delay_alu instid0(VALU_DEP_3) | instskip(NEXT) | instid1(VALU_DEP_3)
	v_alignbit_b32 v27, v32, v27, v34
	v_sub_nc_u32_e32 v28, v29, v28
	s_delay_alu instid0(VALU_DEP_3) | instskip(NEXT) | instid1(VALU_DEP_3)
	v_fma_f32 v29, 0x3fc90fda, v31, -v33
	v_lshrrev_b32_e32 v27, 9, v27
	s_delay_alu instid0(VALU_DEP_2) | instskip(NEXT) | instid1(VALU_DEP_2)
	v_fmac_f32_e32 v29, 0x33a22168, v31
	v_or_b32_e32 v27, v28, v27
	s_delay_alu instid0(VALU_DEP_1) | instskip(SKIP_1) | instid1(VALU_DEP_2)
	v_fmac_f32_e32 v29, 0x3fc90fda, v27
	v_lshrrev_b32_e32 v27, 30, v1
	v_add_f32_e32 v1, v33, v29
	s_delay_alu instid0(VALU_DEP_2)
	v_add_nc_u32_e32 v27, v30, v27
	s_and_not1_saveexec_b32 s6, s34
	s_cbranch_execnz .LBB255_137
	s_branch .LBB255_138
.LBB255_136:                            ;   in Loop: Header=BB255_4 Depth=1
	s_and_not1_saveexec_b32 s6, s34
.LBB255_137:                            ;   in Loop: Header=BB255_4 Depth=1
	v_mul_f32_e64 v1, 0x3f22f983, |v12|
	s_delay_alu instid0(VALU_DEP_1) | instskip(NEXT) | instid1(VALU_DEP_1)
	v_rndne_f32_e32 v27, v1
	v_fma_f32 v1, 0xbfc90fda, v27, |v12|
	s_delay_alu instid0(VALU_DEP_1) | instskip(NEXT) | instid1(VALU_DEP_1)
	v_fmac_f32_e32 v1, 0xb3a22168, v27
	v_fmac_f32_e32 v1, 0xa7c234c4, v27
	v_cvt_i32_f32_e32 v27, v27
.LBB255_138:                            ;   in Loop: Header=BB255_4 Depth=1
	s_or_b32 exec_lo, exec_lo, s6
	s_delay_alu instid0(VALU_DEP_2) | instskip(NEXT) | instid1(VALU_DEP_1)
	v_dual_sub_f32 v11, 0xc322e3bc, v11 :: v_dual_mul_f32 v32, v1, v1
	v_dual_mul_f32 v31, v25, v25 :: v_dual_mul_f32 v28, 0x3fb8aa3b, v11
	s_delay_alu instid0(VALU_DEP_1) | instskip(NEXT) | instid1(VALU_DEP_2)
	v_fmaak_f32 v33, s27, v31, 0xbab64f3b
	v_fma_f32 v29, 0x3fb8aa3b, v11, -v28
	v_rndne_f32_e32 v30, v28
	s_delay_alu instid0(VALU_DEP_1) | instskip(SKIP_1) | instid1(VALU_DEP_2)
	v_dual_sub_f32 v28, v28, v30 :: v_dual_fmac_f32 v29, 0x32a5705f, v11
	v_cmp_ngt_f32_e32 vcc_lo, 0xc2ce8ed0, v11
	v_add_f32_e32 v28, v28, v29
	v_cvt_i32_f32_e32 v29, v30
	v_lshlrev_b32_e32 v30, 30, v26
	v_and_b32_e32 v26, 1, v26
	s_delay_alu instid0(VALU_DEP_4)
	v_exp_f32_e32 v28, v28
	s_waitcnt_depctr 0xfff
	v_ldexp_f32 v28, v28, v29
	v_and_b32_e32 v29, 1, v27
	v_lshlrev_b32_e32 v27, 30, v27
	v_dual_fmaak_f32 v34, s26, v31, 0x3c0881c4 :: v_dual_fmaak_f32 v35, s26, v32, 0x3c0881c4
	s_delay_alu instid0(VALU_DEP_4) | instskip(SKIP_1) | instid1(VALU_DEP_4)
	v_cndmask_b32_e32 v28, 0, v28, vcc_lo
	v_cmp_nlt_f32_e32 vcc_lo, 0x42b17218, v11
	v_and_or_b32 v24, 0x80000000, v27, v24
	v_fmaak_f32 v27, v31, v33, 0x3d2aabf7
	v_fmaak_f32 v33, v31, v34, 0xbe2aaa9d
	v_and_b32_e32 v30, 0x80000000, v30
	v_cndmask_b32_e32 v11, 0x7f800000, v28, vcc_lo
	v_fmaak_f32 v35, v32, v35, 0xbe2aaa9d
	s_delay_alu instid0(VALU_DEP_4) | instskip(SKIP_1) | instid1(VALU_DEP_4)
	v_dual_fmaak_f32 v28, s27, v32, 0xbab64f3b :: v_dual_mul_f32 v33, v31, v33
	v_cmp_eq_u32_e32 vcc_lo, 0, v26
	v_lshrrev_b32_e32 v34, 23, v11
	s_delay_alu instid0(VALU_DEP_4) | instskip(NEXT) | instid1(VALU_DEP_4)
	v_mul_f32_e32 v35, v32, v35
	v_dual_fmaak_f32 v28, v32, v28, 0x3d2aabf7 :: v_dual_fmac_f32 v25, v25, v33
	v_fmaak_f32 v27, v31, v27, 0xbf000004
	s_delay_alu instid0(VALU_DEP_4) | instskip(SKIP_1) | instid1(VALU_DEP_4)
	v_subrev_nc_u32_e32 v34, 19, v34
	v_and_or_b32 v11, 0x7fffff, v11, s28
	v_fmaak_f32 v28, v32, v28, 0xbf000004
	s_delay_alu instid0(VALU_DEP_4) | instskip(NEXT) | instid1(VALU_DEP_4)
	v_fma_f32 v27, v31, v27, 1.0
	v_lshrrev_b16 v31, 15, v34
	s_delay_alu instid0(VALU_DEP_3) | instskip(NEXT) | instid1(VALU_DEP_3)
	v_fma_f32 v28, v32, v28, 1.0
	v_cndmask_b32_e64 v25, -v25, v27, vcc_lo
	v_cmp_eq_u32_e32 vcc_lo, 0, v29
	s_delay_alu instid0(VALU_DEP_4) | instskip(NEXT) | instid1(VALU_DEP_3)
	v_add_nc_u16 v26, v34, v31
	v_xor_b32_e32 v25, v30, v25
	v_fmac_f32_e32 v1, v1, v35
	s_delay_alu instid0(VALU_DEP_3) | instskip(NEXT) | instid1(VALU_DEP_2)
	v_ashrrev_i16 v26, 1, v26
	v_cndmask_b32_e32 v1, v28, v1, vcc_lo
	v_cmp_class_f32_e64 vcc_lo, v12, 0x1f8
	s_delay_alu instid0(VALU_DEP_2) | instskip(SKIP_2) | instid1(VALU_DEP_2)
	v_xor3_b32 v1, v24, v1, v23
	v_cndmask_b32_e32 v12, 0x7fc00000, v25, vcc_lo
	v_bfe_i32 v23, v26, 0, 16
	v_dual_cndmask_b32 v1, 0x7fc00000, v1 :: v_dual_mul_f32 v12, v12, v11
	s_delay_alu instid0(VALU_DEP_2) | instskip(SKIP_1) | instid1(VALU_DEP_3)
	v_lshl_add_u32 v24, v23, 23, 1.0
	v_sub_nc_u32_e32 v23, v34, v23
	v_mul_f32_e32 v1, v1, v11
	s_delay_alu instid0(VALU_DEP_3) | instskip(NEXT) | instid1(VALU_DEP_3)
	v_mul_f32_e32 v11, v12, v24
	v_lshl_add_u32 v12, v23, 23, 1.0
	s_delay_alu instid0(VALU_DEP_3) | instskip(NEXT) | instid1(VALU_DEP_2)
	v_mul_f32_e32 v23, v1, v24
	v_mul_f32_e32 v1, v11, v12
	s_delay_alu instid0(VALU_DEP_2)
	v_mul_f32_e32 v23, v23, v12
.LBB255_139:                            ;   in Loop: Header=BB255_4 Depth=1
	s_or_b32 exec_lo, exec_lo, s33
                                        ; implicit-def: $vgpr25
                                        ; implicit-def: $vgpr11
                                        ; implicit-def: $vgpr26
.LBB255_140:                            ;   in Loop: Header=BB255_4 Depth=1
	s_and_not1_saveexec_b32 s6, s31
	s_cbranch_execz .LBB255_146
; %bb.141:                              ;   in Loop: Header=BB255_4 Depth=1
	v_sub_f32_e32 v23, v12, v12
	s_mov_b32 s7, exec_lo
	v_cmpx_ne_u32_e32 0x7f800000, v26
	s_xor_b32 s7, exec_lo, s7
; %bb.142:                              ;   in Loop: Header=BB255_4 Depth=1
                                        ; implicit-def: $vgpr25
                                        ; implicit-def: $vgpr11
; %bb.143:                              ;   in Loop: Header=BB255_4 Depth=1
	s_delay_alu instid0(SALU_CYCLE_1)
	s_or_saveexec_b32 s7, s7
	v_mov_b32_e32 v1, v23
	s_xor_b32 exec_lo, exec_lo, s7
; %bb.144:                              ;   in Loop: Header=BB255_4 Depth=1
	v_cmp_lt_i32_e32 vcc_lo, -1, v25
	v_cndmask_b32_e64 v1, 0, -v11, vcc_lo
	v_cndmask_b32_e32 v23, 0, v23, vcc_lo
; %bb.145:                              ;   in Loop: Header=BB255_4 Depth=1
	s_or_b32 exec_lo, exec_lo, s7
.LBB255_146:                            ;   in Loop: Header=BB255_4 Depth=1
	s_delay_alu instid0(SALU_CYCLE_1)
	s_or_b32 exec_lo, exec_lo, s6
                                        ; implicit-def: $vgpr12
                                        ; implicit-def: $vgpr24
.LBB255_147:                            ;   in Loop: Header=BB255_4 Depth=1
	s_and_not1_saveexec_b32 s30, s30
	s_cbranch_execz .LBB255_157
; %bb.148:                              ;   in Loop: Header=BB255_4 Depth=1
	v_lshrrev_b32_e32 v1, 23, v24
	v_cmp_ngt_f32_e64 s31, 0x48000000, |v12|
	v_and_or_b32 v26, v24, s25, 0x800000
                                        ; implicit-def: $vgpr25
                                        ; implicit-def: $vgpr11
	s_delay_alu instid0(VALU_DEP_3) | instskip(NEXT) | instid1(VALU_DEP_3)
	v_add_nc_u32_e32 v27, 0xffffff88, v1
	s_and_saveexec_b32 s6, s31
	s_delay_alu instid0(SALU_CYCLE_1)
	s_xor_b32 s33, exec_lo, s6
	s_cbranch_execz .LBB255_150
; %bb.149:                              ;   in Loop: Header=BB255_4 Depth=1
	v_mad_u64_u32 v[28:29], null, 0xfe5163ab, v26, 0
	v_cmp_lt_u32_e32 vcc_lo, 63, v27
	v_cndmask_b32_e64 v11, 0, 0xffffffc0, vcc_lo
	s_delay_alu instid0(VALU_DEP_3) | instskip(NEXT) | instid1(VALU_DEP_2)
	v_mov_b32_e32 v1, v29
	v_add_nc_u32_e32 v11, v11, v27
	s_delay_alu instid0(VALU_DEP_2) | instskip(NEXT) | instid1(VALU_DEP_2)
	v_mad_u64_u32 v[29:30], null, 0x3c439041, v26, v[1:2]
	v_cmp_lt_u32_e64 s6, 31, v11
	s_delay_alu instid0(VALU_DEP_2) | instskip(NEXT) | instid1(VALU_DEP_2)
	v_mov_b32_e32 v1, v30
	v_cndmask_b32_e64 v25, 0, 0xffffffe0, s6
	s_delay_alu instid0(VALU_DEP_2) | instskip(NEXT) | instid1(VALU_DEP_2)
	v_mad_u64_u32 v[30:31], null, 0xdb629599, v26, v[1:2]
	v_add_nc_u32_e32 v11, v25, v11
	s_delay_alu instid0(VALU_DEP_1) | instskip(NEXT) | instid1(VALU_DEP_3)
	v_cmp_lt_u32_e64 s7, 31, v11
	v_dual_mov_b32 v1, v31 :: v_dual_cndmask_b32 v28, v30, v28
	s_delay_alu instid0(VALU_DEP_1) | instskip(NEXT) | instid1(VALU_DEP_1)
	v_mad_u64_u32 v[31:32], null, 0xf534ddc0, v26, v[1:2]
	v_mov_b32_e32 v1, v32
	s_delay_alu instid0(VALU_DEP_1) | instskip(NEXT) | instid1(VALU_DEP_1)
	v_mad_u64_u32 v[32:33], null, 0xfc2757d1, v26, v[1:2]
	v_mov_b32_e32 v1, v33
	;; [unrolled: 3-line block ×3, first 2 shown]
	s_delay_alu instid0(VALU_DEP_2) | instskip(NEXT) | instid1(VALU_DEP_2)
	v_cndmask_b32_e32 v25, v33, v31, vcc_lo
	v_mad_u64_u32 v[34:35], null, 0xa2f9836e, v26, v[1:2]
	v_cndmask_b32_e64 v1, 0, 0xffffffe0, s7
	s_delay_alu instid0(VALU_DEP_1) | instskip(NEXT) | instid1(VALU_DEP_3)
	v_dual_cndmask_b32 v34, v34, v32 :: v_dual_add_nc_u32 v1, v1, v11
	v_dual_cndmask_b32 v33, v35, v33 :: v_dual_cndmask_b32 v32, v32, v30
	v_cndmask_b32_e32 v11, v31, v29, vcc_lo
	s_delay_alu instid0(VALU_DEP_3) | instskip(NEXT) | instid1(VALU_DEP_4)
	v_cmp_eq_u32_e64 s8, 0, v1
	v_cndmask_b32_e64 v29, v34, v25, s6
	s_delay_alu instid0(VALU_DEP_4)
	v_cndmask_b32_e64 v31, v33, v34, s6
	v_cndmask_b32_e64 v25, v25, v32, s6
	v_sub_nc_u32_e32 v33, 32, v1
	v_cndmask_b32_e64 v32, v32, v11, s6
	v_cndmask_b32_e64 v11, v11, v28, s6
	;; [unrolled: 1-line block ×4, first 2 shown]
	s_delay_alu instid0(VALU_DEP_4) | instskip(NEXT) | instid1(VALU_DEP_4)
	v_cndmask_b32_e64 v25, v25, v32, s7
	v_cndmask_b32_e64 v11, v32, v11, s7
	s_delay_alu instid0(VALU_DEP_3) | instskip(NEXT) | instid1(VALU_DEP_3)
	v_alignbit_b32 v34, v31, v29, v33
	v_alignbit_b32 v35, v29, v25, v33
	s_delay_alu instid0(VALU_DEP_3) | instskip(NEXT) | instid1(VALU_DEP_3)
	v_alignbit_b32 v33, v25, v11, v33
	v_cndmask_b32_e64 v1, v34, v31, s8
	s_delay_alu instid0(VALU_DEP_3) | instskip(NEXT) | instid1(VALU_DEP_3)
	v_cndmask_b32_e64 v29, v35, v29, s8
	v_cndmask_b32_e64 v25, v33, v25, s8
	s_delay_alu instid0(VALU_DEP_3) | instskip(NEXT) | instid1(VALU_DEP_3)
	v_bfe_u32 v30, v1, 29, 1
	v_alignbit_b32 v28, v1, v29, 30
	s_delay_alu instid0(VALU_DEP_3) | instskip(SKIP_1) | instid1(VALU_DEP_4)
	v_alignbit_b32 v29, v29, v25, 30
	v_alignbit_b32 v11, v25, v11, 30
	v_sub_nc_u32_e32 v31, 0, v30
	s_delay_alu instid0(VALU_DEP_1) | instskip(SKIP_3) | instid1(VALU_DEP_4)
	v_xor_b32_e32 v32, v28, v31
	v_cmp_ne_u32_e32 vcc_lo, v28, v31
	v_xor_b32_e32 v25, v29, v31
	v_xor_b32_e32 v11, v11, v31
	v_clz_i32_u32_e32 v34, v32
	s_delay_alu instid0(VALU_DEP_1) | instskip(NEXT) | instid1(VALU_DEP_1)
	v_add_nc_u32_e32 v33, 1, v34
	v_cndmask_b32_e32 v28, 33, v33, vcc_lo
	s_delay_alu instid0(VALU_DEP_1) | instskip(NEXT) | instid1(VALU_DEP_1)
	v_sub_nc_u32_e32 v29, 32, v28
	v_alignbit_b32 v31, v32, v25, v29
	v_alignbit_b32 v11, v25, v11, v29
	v_lshrrev_b32_e32 v25, 29, v1
	v_lshrrev_b32_e32 v1, 30, v1
	s_delay_alu instid0(VALU_DEP_3) | instskip(NEXT) | instid1(VALU_DEP_3)
	v_alignbit_b32 v29, v31, v11, 9
	v_lshlrev_b32_e32 v25, 31, v25
	v_alignbit_b32 v31, v28, v31, 9
	s_delay_alu instid0(VALU_DEP_3) | instskip(NEXT) | instid1(VALU_DEP_2)
	v_clz_i32_u32_e32 v32, v29
	v_or_b32_e32 v31, v31, v25
	v_or_b32_e32 v25, 0x33800000, v25
	s_delay_alu instid0(VALU_DEP_3) | instskip(NEXT) | instid1(VALU_DEP_3)
	v_min_u32_e32 v32, 32, v32
	v_xor_b32_e32 v31, 1.0, v31
	s_delay_alu instid0(VALU_DEP_2) | instskip(SKIP_1) | instid1(VALU_DEP_3)
	v_sub_nc_u32_e32 v33, 31, v32
	v_add_lshl_u32 v28, v32, v28, 23
	v_mul_f32_e32 v32, 0x3fc90fda, v31
	s_delay_alu instid0(VALU_DEP_3) | instskip(NEXT) | instid1(VALU_DEP_3)
	v_alignbit_b32 v11, v29, v11, v33
	v_sub_nc_u32_e32 v25, v25, v28
	s_delay_alu instid0(VALU_DEP_3) | instskip(NEXT) | instid1(VALU_DEP_3)
	v_fma_f32 v28, 0x3fc90fda, v31, -v32
	v_lshrrev_b32_e32 v11, 9, v11
	s_delay_alu instid0(VALU_DEP_2) | instskip(NEXT) | instid1(VALU_DEP_2)
	v_fmac_f32_e32 v28, 0x33a22168, v31
	v_or_b32_e32 v11, v25, v11
	s_delay_alu instid0(VALU_DEP_1) | instskip(NEXT) | instid1(VALU_DEP_1)
	v_dual_fmac_f32 v28, 0x3fc90fda, v11 :: v_dual_add_nc_u32 v25, v30, v1
	v_add_f32_e32 v11, v32, v28
.LBB255_150:                            ;   in Loop: Header=BB255_4 Depth=1
	s_or_saveexec_b32 s6, s33
	v_mul_f32_e64 v1, 0x3f22f983, |v12|
	s_delay_alu instid0(VALU_DEP_1)
	v_rndne_f32_e32 v29, v1
	s_xor_b32 exec_lo, exec_lo, s6
; %bb.151:                              ;   in Loop: Header=BB255_4 Depth=1
	s_delay_alu instid0(VALU_DEP_1) | instskip(SKIP_1) | instid1(VALU_DEP_2)
	v_fma_f32 v11, 0xbfc90fda, v29, |v12|
	v_cvt_i32_f32_e32 v25, v29
	v_fmac_f32_e32 v11, 0xb3a22168, v29
	s_delay_alu instid0(VALU_DEP_1)
	v_fmac_f32_e32 v11, 0xa7c234c4, v29
; %bb.152:                              ;   in Loop: Header=BB255_4 Depth=1
	s_or_b32 exec_lo, exec_lo, s6
                                        ; implicit-def: $vgpr28
                                        ; implicit-def: $vgpr1
	s_and_saveexec_b32 s6, s31
	s_delay_alu instid0(SALU_CYCLE_1)
	s_xor_b32 s31, exec_lo, s6
	s_cbranch_execz .LBB255_154
; %bb.153:                              ;   in Loop: Header=BB255_4 Depth=1
	v_mad_u64_u32 v[28:29], null, 0xfe5163ab, v26, 0
	v_cmp_lt_u32_e32 vcc_lo, 63, v27
	v_cndmask_b32_e64 v34, 0, 0xffffffc0, vcc_lo
	s_delay_alu instid0(VALU_DEP_3) | instskip(NEXT) | instid1(VALU_DEP_2)
	v_mov_b32_e32 v1, v29
	v_add_nc_u32_e32 v27, v34, v27
	s_delay_alu instid0(VALU_DEP_2) | instskip(NEXT) | instid1(VALU_DEP_2)
	v_mad_u64_u32 v[29:30], null, 0x3c439041, v26, v[1:2]
	v_cmp_lt_u32_e64 s6, 31, v27
	s_delay_alu instid0(VALU_DEP_2) | instskip(NEXT) | instid1(VALU_DEP_2)
	v_mov_b32_e32 v1, v30
	v_cndmask_b32_e64 v35, 0, 0xffffffe0, s6
	s_delay_alu instid0(VALU_DEP_2) | instskip(NEXT) | instid1(VALU_DEP_2)
	v_mad_u64_u32 v[30:31], null, 0xdb629599, v26, v[1:2]
	v_add_nc_u32_e32 v27, v35, v27
	s_delay_alu instid0(VALU_DEP_1) | instskip(NEXT) | instid1(VALU_DEP_3)
	v_cmp_lt_u32_e64 s7, 31, v27
	v_dual_mov_b32 v1, v31 :: v_dual_cndmask_b32 v28, v30, v28
	s_delay_alu instid0(VALU_DEP_1) | instskip(NEXT) | instid1(VALU_DEP_1)
	v_mad_u64_u32 v[31:32], null, 0xf534ddc0, v26, v[1:2]
	v_mov_b32_e32 v1, v32
	s_delay_alu instid0(VALU_DEP_1) | instskip(NEXT) | instid1(VALU_DEP_1)
	v_mad_u64_u32 v[32:33], null, 0xfc2757d1, v26, v[1:2]
	v_mov_b32_e32 v1, v33
	;; [unrolled: 3-line block ×3, first 2 shown]
	s_delay_alu instid0(VALU_DEP_1) | instskip(SKIP_1) | instid1(VALU_DEP_4)
	v_mad_u64_u32 v[34:35], null, 0xa2f9836e, v26, v[1:2]
	v_cndmask_b32_e64 v1, 0, 0xffffffe0, s7
	v_cndmask_b32_e32 v26, v33, v31, vcc_lo
	s_delay_alu instid0(VALU_DEP_2) | instskip(NEXT) | instid1(VALU_DEP_4)
	v_dual_cndmask_b32 v34, v34, v32 :: v_dual_add_nc_u32 v1, v1, v27
	v_dual_cndmask_b32 v33, v35, v33 :: v_dual_cndmask_b32 v32, v32, v30
	v_cndmask_b32_e32 v27, v31, v29, vcc_lo
	s_delay_alu instid0(VALU_DEP_3) | instskip(NEXT) | instid1(VALU_DEP_4)
	v_cmp_eq_u32_e64 s8, 0, v1
	v_cndmask_b32_e64 v29, v34, v26, s6
	s_delay_alu instid0(VALU_DEP_4)
	v_cndmask_b32_e64 v31, v33, v34, s6
	v_cndmask_b32_e64 v26, v26, v32, s6
	v_sub_nc_u32_e32 v33, 32, v1
	v_cndmask_b32_e64 v32, v32, v27, s6
	v_cndmask_b32_e64 v27, v27, v28, s6
	;; [unrolled: 1-line block ×4, first 2 shown]
	s_delay_alu instid0(VALU_DEP_4) | instskip(NEXT) | instid1(VALU_DEP_4)
	v_cndmask_b32_e64 v26, v26, v32, s7
	v_cndmask_b32_e64 v27, v32, v27, s7
	s_delay_alu instid0(VALU_DEP_3) | instskip(NEXT) | instid1(VALU_DEP_3)
	v_alignbit_b32 v34, v31, v29, v33
	v_alignbit_b32 v35, v29, v26, v33
	s_delay_alu instid0(VALU_DEP_3) | instskip(NEXT) | instid1(VALU_DEP_3)
	v_alignbit_b32 v33, v26, v27, v33
	v_cndmask_b32_e64 v1, v34, v31, s8
	s_delay_alu instid0(VALU_DEP_3) | instskip(NEXT) | instid1(VALU_DEP_3)
	v_cndmask_b32_e64 v29, v35, v29, s8
	v_cndmask_b32_e64 v26, v33, v26, s8
	s_delay_alu instid0(VALU_DEP_3) | instskip(NEXT) | instid1(VALU_DEP_3)
	v_bfe_u32 v30, v1, 29, 1
	v_alignbit_b32 v28, v1, v29, 30
	s_delay_alu instid0(VALU_DEP_3) | instskip(SKIP_1) | instid1(VALU_DEP_4)
	v_alignbit_b32 v29, v29, v26, 30
	v_alignbit_b32 v26, v26, v27, 30
	v_sub_nc_u32_e32 v31, 0, v30
	s_delay_alu instid0(VALU_DEP_1) | instskip(SKIP_3) | instid1(VALU_DEP_4)
	v_xor_b32_e32 v32, v28, v31
	v_cmp_ne_u32_e32 vcc_lo, v28, v31
	v_xor_b32_e32 v27, v29, v31
	v_xor_b32_e32 v26, v26, v31
	v_clz_i32_u32_e32 v34, v32
	s_delay_alu instid0(VALU_DEP_1) | instskip(NEXT) | instid1(VALU_DEP_1)
	v_add_nc_u32_e32 v33, 1, v34
	v_cndmask_b32_e32 v28, 33, v33, vcc_lo
	s_delay_alu instid0(VALU_DEP_1) | instskip(NEXT) | instid1(VALU_DEP_1)
	v_sub_nc_u32_e32 v29, 32, v28
	v_alignbit_b32 v31, v32, v27, v29
	v_alignbit_b32 v26, v27, v26, v29
	v_lshrrev_b32_e32 v27, 29, v1
	s_delay_alu instid0(VALU_DEP_2) | instskip(NEXT) | instid1(VALU_DEP_2)
	v_alignbit_b32 v29, v31, v26, 9
	v_lshlrev_b32_e32 v27, 31, v27
	v_alignbit_b32 v31, v28, v31, 9
	s_delay_alu instid0(VALU_DEP_3) | instskip(NEXT) | instid1(VALU_DEP_2)
	v_clz_i32_u32_e32 v32, v29
	v_or_b32_e32 v31, v31, v27
	v_or_b32_e32 v27, 0x33800000, v27
	s_delay_alu instid0(VALU_DEP_3) | instskip(NEXT) | instid1(VALU_DEP_3)
	v_min_u32_e32 v32, 32, v32
	v_xor_b32_e32 v31, 1.0, v31
	s_delay_alu instid0(VALU_DEP_2) | instskip(SKIP_1) | instid1(VALU_DEP_3)
	v_sub_nc_u32_e32 v33, 31, v32
	v_add_lshl_u32 v28, v32, v28, 23
	v_mul_f32_e32 v32, 0x3fc90fda, v31
	s_delay_alu instid0(VALU_DEP_3) | instskip(NEXT) | instid1(VALU_DEP_3)
	v_alignbit_b32 v26, v29, v26, v33
	v_sub_nc_u32_e32 v27, v27, v28
	s_delay_alu instid0(VALU_DEP_3) | instskip(NEXT) | instid1(VALU_DEP_3)
	v_fma_f32 v28, 0x3fc90fda, v31, -v32
                                        ; implicit-def: $vgpr29
	v_lshrrev_b32_e32 v26, 9, v26
	s_delay_alu instid0(VALU_DEP_2) | instskip(NEXT) | instid1(VALU_DEP_2)
	v_fmac_f32_e32 v28, 0x33a22168, v31
	v_or_b32_e32 v26, v27, v26
	s_delay_alu instid0(VALU_DEP_1) | instskip(SKIP_1) | instid1(VALU_DEP_1)
	v_fmac_f32_e32 v28, 0x3fc90fda, v26
	v_lshrrev_b32_e32 v26, 30, v1
	v_dual_add_f32 v1, v32, v28 :: v_dual_add_nc_u32 v28, v30, v26
	s_and_not1_saveexec_b32 s6, s31
	s_cbranch_execnz .LBB255_155
	s_branch .LBB255_156
.LBB255_154:                            ;   in Loop: Header=BB255_4 Depth=1
	s_and_not1_saveexec_b32 s6, s31
.LBB255_155:                            ;   in Loop: Header=BB255_4 Depth=1
	v_fma_f32 v1, 0xbfc90fda, v29, |v12|
	v_cvt_i32_f32_e32 v28, v29
	s_delay_alu instid0(VALU_DEP_2) | instskip(NEXT) | instid1(VALU_DEP_1)
	v_fmac_f32_e32 v1, 0xb3a22168, v29
	v_fmac_f32_e32 v1, 0xa7c234c4, v29
.LBB255_156:                            ;   in Loop: Header=BB255_4 Depth=1
	s_or_b32 exec_lo, exec_lo, s6
	s_delay_alu instid0(VALU_DEP_1) | instskip(SKIP_3) | instid1(VALU_DEP_4)
	v_dual_mul_f32 v26, v11, v11 :: v_dual_mul_f32 v27, v1, v1
	v_and_b32_e32 v29, 1, v25
	v_lshlrev_b32_e32 v25, 30, v25
	v_and_b32_e32 v34, 1, v28
	v_fmaak_f32 v30, s26, v26, 0x3c0881c4
	v_fmaak_f32 v32, s26, v27, 0x3c0881c4
	;; [unrolled: 1-line block ×3, first 2 shown]
	v_dual_fmaak_f32 v33, s27, v27, 0xbab64f3b :: v_dual_lshlrev_b32 v28, 30, v28
	v_cmp_eq_u32_e32 vcc_lo, 0, v29
	s_delay_alu instid0(VALU_DEP_4) | instskip(NEXT) | instid1(VALU_DEP_4)
	v_fmaak_f32 v32, v27, v32, 0xbe2aaa9d
	v_fmaak_f32 v31, v26, v31, 0x3d2aabf7
	v_and_b32_e32 v25, 0x80000000, v25
	v_and_or_b32 v24, 0x80000000, v28, v24
	s_delay_alu instid0(VALU_DEP_4) | instskip(SKIP_2) | instid1(VALU_DEP_3)
	v_mul_f32_e32 v32, v27, v32
	v_fmaak_f32 v30, v26, v30, 0xbe2aaa9d
	v_fmaak_f32 v31, v26, v31, 0xbf000004
	v_fmac_f32_e32 v1, v1, v32
	s_delay_alu instid0(VALU_DEP_3) | instskip(NEXT) | instid1(VALU_DEP_3)
	v_dual_fmaak_f32 v33, v27, v33, 0x3d2aabf7 :: v_dual_mul_f32 v30, v26, v30
	v_fma_f32 v26, v26, v31, 1.0
	s_delay_alu instid0(VALU_DEP_2) | instskip(NEXT) | instid1(VALU_DEP_3)
	v_fmaak_f32 v33, v27, v33, 0xbf000004
	v_fmac_f32_e32 v11, v11, v30
	s_delay_alu instid0(VALU_DEP_2) | instskip(NEXT) | instid1(VALU_DEP_2)
	v_fma_f32 v27, v27, v33, 1.0
	v_cndmask_b32_e64 v11, -v11, v26, vcc_lo
	v_cmp_eq_u32_e32 vcc_lo, 0, v34
	s_delay_alu instid0(VALU_DEP_2) | instskip(NEXT) | instid1(VALU_DEP_4)
	v_xor_b32_e32 v11, v25, v11
	v_cndmask_b32_e32 v1, v27, v1, vcc_lo
	v_cmp_class_f32_e64 vcc_lo, v12, 0x1f8
	s_delay_alu instid0(VALU_DEP_2) | instskip(NEXT) | instid1(VALU_DEP_4)
	v_xor3_b32 v23, v24, v1, v23
	v_cndmask_b32_e32 v1, 0x7fc00000, v11, vcc_lo
	s_delay_alu instid0(VALU_DEP_2)
	v_cndmask_b32_e32 v23, 0x7fc00000, v23, vcc_lo
.LBB255_157:                            ;   in Loop: Header=BB255_4 Depth=1
	s_or_b32 exec_lo, exec_lo, s30
                                        ; implicit-def: $vgpr11
.LBB255_158:                            ;   in Loop: Header=BB255_4 Depth=1
	s_and_not1_saveexec_b32 s6, s29
	s_cbranch_execz .LBB255_160
; %bb.159:                              ;   in Loop: Header=BB255_4 Depth=1
	v_mul_f32_e32 v1, 0xbfb8aa3b, v11
	v_cmp_nlt_f32_e32 vcc_lo, 0x42ce8ed0, v11
	s_delay_alu instid0(VALU_DEP_2) | instskip(SKIP_1) | instid1(VALU_DEP_1)
	v_rndne_f32_e32 v12, v1
	v_fma_f32 v24, 0xbfb8aa3b, v11, -v1
	v_dual_sub_f32 v1, v1, v12 :: v_dual_fmac_f32 v24, 0xb2a5705f, v11
	v_cvt_i32_f32_e32 v12, v12
	s_delay_alu instid0(VALU_DEP_2) | instskip(NEXT) | instid1(VALU_DEP_1)
	v_add_f32_e32 v1, v1, v24
	v_exp_f32_e32 v1, v1
	s_waitcnt_depctr 0xfff
	v_ldexp_f32 v1, v1, v12
	s_delay_alu instid0(VALU_DEP_1) | instskip(SKIP_1) | instid1(VALU_DEP_2)
	v_cndmask_b32_e32 v1, 0, v1, vcc_lo
	v_cmp_ngt_f32_e32 vcc_lo, 0xc2b17218, v11
	v_cndmask_b32_e32 v1, 0x7f800000, v1, vcc_lo
.LBB255_160:                            ;   in Loop: Header=BB255_4 Depth=1
	s_or_b32 exec_lo, exec_lo, s6
	s_delay_alu instid0(VALU_DEP_1) | instskip(SKIP_1) | instid1(VALU_DEP_1)
	v_dual_add_f32 v24, s10, v1 :: v_dual_add_f32 v1, s11, v23
                                        ; implicit-def: $vgpr12
	s_mov_b32 s6, exec_lo
	v_cmp_gt_f32_e32 vcc_lo, 0, v24
	v_cndmask_b32_e64 v23, v24, -v24, vcc_lo
	s_delay_alu instid0(VALU_DEP_3) | instskip(SKIP_1) | instid1(VALU_DEP_1)
	v_cmp_gt_f32_e32 vcc_lo, 0, v1
	v_cndmask_b32_e64 v25, v1, -v1, vcc_lo
	v_cmpx_ge_f32_e32 v23, v25
	s_xor_b32 s7, exec_lo, s6
	s_cbranch_execz .LBB255_166
; %bb.161:                              ;   in Loop: Header=BB255_4 Depth=1
	v_cmp_neq_f32_e32 vcc_lo, 0, v24
	v_cmp_neq_f32_e64 s6, 0, v1
                                        ; implicit-def: $vgpr12
	s_delay_alu instid0(VALU_DEP_1) | instskip(NEXT) | instid1(SALU_CYCLE_1)
	s_or_b32 s6, vcc_lo, s6
	s_and_saveexec_b32 s8, s6
	s_delay_alu instid0(SALU_CYCLE_1)
	s_xor_b32 s6, exec_lo, s8
	s_cbranch_execz .LBB255_163
; %bb.162:                              ;   in Loop: Header=BB255_4 Depth=1
	v_div_scale_f32 v11, null, v24, v24, v1
	v_div_scale_f32 v25, vcc_lo, v1, v24, v1
	s_delay_alu instid0(VALU_DEP_2) | instskip(SKIP_2) | instid1(VALU_DEP_1)
	v_rcp_f32_e32 v12, v11
	s_waitcnt_depctr 0xfff
	v_fma_f32 v23, -v11, v12, 1.0
	v_fmac_f32_e32 v12, v23, v12
	s_delay_alu instid0(VALU_DEP_1) | instskip(NEXT) | instid1(VALU_DEP_1)
	v_mul_f32_e32 v23, v25, v12
	v_fma_f32 v26, -v11, v23, v25
	s_delay_alu instid0(VALU_DEP_1) | instskip(NEXT) | instid1(VALU_DEP_1)
	v_fmac_f32_e32 v23, v26, v12
	v_fma_f32 v11, -v11, v23, v25
	s_delay_alu instid0(VALU_DEP_1) | instskip(NEXT) | instid1(VALU_DEP_1)
	v_div_fmas_f32 v11, v11, v12, v23
	v_div_fixup_f32 v11, v11, v24, v1
	s_delay_alu instid0(VALU_DEP_1) | instskip(NEXT) | instid1(VALU_DEP_1)
	v_fmac_f32_e32 v24, v1, v11
	v_div_scale_f32 v1, null, v24, v24, 1.0
	v_div_scale_f32 v25, vcc_lo, 1.0, v24, 1.0
	s_delay_alu instid0(VALU_DEP_2) | instskip(SKIP_2) | instid1(VALU_DEP_1)
	v_rcp_f32_e32 v12, v1
	s_waitcnt_depctr 0xfff
	v_fma_f32 v23, -v1, v12, 1.0
	v_fmac_f32_e32 v12, v23, v12
	s_delay_alu instid0(VALU_DEP_1) | instskip(NEXT) | instid1(VALU_DEP_1)
	v_mul_f32_e32 v23, v25, v12
	v_fma_f32 v26, -v1, v23, v25
	s_delay_alu instid0(VALU_DEP_1) | instskip(NEXT) | instid1(VALU_DEP_1)
	v_fmac_f32_e32 v23, v26, v12
	v_fma_f32 v1, -v1, v23, v25
                                        ; implicit-def: $vgpr25
	s_delay_alu instid0(VALU_DEP_1) | instskip(SKIP_2) | instid1(VALU_DEP_3)
	v_div_fmas_f32 v1, v1, v12, v23
	v_fma_f32 v12, v11, s11, s10
	v_fma_f32 v23, -v11, s10, s11
	v_div_fixup_f32 v1, v1, v24, 1.0
	s_delay_alu instid0(VALU_DEP_1) | instskip(NEXT) | instid1(VALU_DEP_3)
	v_mul_f32_e32 v11, v12, v1
	v_mul_f32_e32 v12, v23, v1
                                        ; implicit-def: $vgpr23
.LBB255_163:                            ;   in Loop: Header=BB255_4 Depth=1
	s_and_not1_saveexec_b32 s8, s6
	s_cbranch_execz .LBB255_165
; %bb.164:                              ;   in Loop: Header=BB255_4 Depth=1
	v_div_scale_f32 v1, null, v23, v23, s10
	v_div_scale_f32 v11, null, v25, v25, s11
	v_div_scale_f32 v28, vcc_lo, s10, v23, s10
	s_delay_alu instid0(VALU_DEP_3) | instskip(NEXT) | instid1(VALU_DEP_2)
	v_rcp_f32_e32 v12, v1
	v_rcp_f32_e32 v24, v11
	s_waitcnt_depctr 0xfff
	v_fma_f32 v26, -v1, v12, 1.0
	v_fma_f32 v27, -v11, v24, 1.0
	s_delay_alu instid0(VALU_DEP_2) | instskip(SKIP_1) | instid1(VALU_DEP_3)
	v_fmac_f32_e32 v12, v26, v12
	v_div_scale_f32 v26, s6, s11, v25, s11
	v_fmac_f32_e32 v24, v27, v24
	s_delay_alu instid0(VALU_DEP_3) | instskip(NEXT) | instid1(VALU_DEP_2)
	v_mul_f32_e32 v27, v28, v12
	v_mul_f32_e32 v29, v26, v24
	s_delay_alu instid0(VALU_DEP_2) | instskip(NEXT) | instid1(VALU_DEP_2)
	v_fma_f32 v30, -v1, v27, v28
	v_fma_f32 v31, -v11, v29, v26
	s_delay_alu instid0(VALU_DEP_2) | instskip(NEXT) | instid1(VALU_DEP_2)
	v_fmac_f32_e32 v27, v30, v12
	v_fmac_f32_e32 v29, v31, v24
	s_delay_alu instid0(VALU_DEP_2) | instskip(NEXT) | instid1(VALU_DEP_2)
	v_fma_f32 v1, -v1, v27, v28
	v_fma_f32 v11, -v11, v29, v26
	s_delay_alu instid0(VALU_DEP_2) | instskip(SKIP_1) | instid1(VALU_DEP_2)
	v_div_fmas_f32 v1, v1, v12, v27
	s_mov_b32 vcc_lo, s6
	v_div_fmas_f32 v12, v11, v24, v29
	s_delay_alu instid0(VALU_DEP_2) | instskip(NEXT) | instid1(VALU_DEP_2)
	v_div_fixup_f32 v11, v1, v23, s10
	v_div_fixup_f32 v12, v12, v25, s11
.LBB255_165:                            ;   in Loop: Header=BB255_4 Depth=1
	s_or_b32 exec_lo, exec_lo, s8
                                        ; implicit-def: $vgpr1
                                        ; implicit-def: $vgpr24
.LBB255_166:                            ;   in Loop: Header=BB255_4 Depth=1
	s_and_not1_saveexec_b32 s6, s7
	s_cbranch_execz .LBB255_168
; %bb.167:                              ;   in Loop: Header=BB255_4 Depth=1
	v_div_scale_f32 v11, null, v1, v1, v24
	v_div_scale_f32 v25, vcc_lo, v24, v1, v24
	s_delay_alu instid0(VALU_DEP_2) | instskip(SKIP_2) | instid1(VALU_DEP_1)
	v_rcp_f32_e32 v12, v11
	s_waitcnt_depctr 0xfff
	v_fma_f32 v23, -v11, v12, 1.0
	v_fmac_f32_e32 v12, v23, v12
	s_delay_alu instid0(VALU_DEP_1) | instskip(NEXT) | instid1(VALU_DEP_1)
	v_mul_f32_e32 v23, v25, v12
	v_fma_f32 v26, -v11, v23, v25
	s_delay_alu instid0(VALU_DEP_1) | instskip(NEXT) | instid1(VALU_DEP_1)
	v_fmac_f32_e32 v23, v26, v12
	v_fma_f32 v11, -v11, v23, v25
	s_delay_alu instid0(VALU_DEP_1) | instskip(NEXT) | instid1(VALU_DEP_1)
	v_div_fmas_f32 v11, v11, v12, v23
	v_div_fixup_f32 v11, v11, v1, v24
	s_delay_alu instid0(VALU_DEP_1) | instskip(NEXT) | instid1(VALU_DEP_1)
	v_fmac_f32_e32 v1, v24, v11
	v_div_scale_f32 v12, null, v1, v1, 1.0
	v_div_scale_f32 v25, vcc_lo, 1.0, v1, 1.0
	s_delay_alu instid0(VALU_DEP_2) | instskip(SKIP_2) | instid1(VALU_DEP_1)
	v_rcp_f32_e32 v23, v12
	s_waitcnt_depctr 0xfff
	v_fma_f32 v24, -v12, v23, 1.0
	v_fmac_f32_e32 v23, v24, v23
	s_delay_alu instid0(VALU_DEP_1) | instskip(NEXT) | instid1(VALU_DEP_1)
	v_mul_f32_e32 v24, v25, v23
	v_fma_f32 v26, -v12, v24, v25
	s_delay_alu instid0(VALU_DEP_1) | instskip(NEXT) | instid1(VALU_DEP_1)
	v_fmac_f32_e32 v24, v26, v23
	v_fma_f32 v12, -v12, v24, v25
	s_delay_alu instid0(VALU_DEP_1) | instskip(SKIP_1) | instid1(VALU_DEP_2)
	v_div_fmas_f32 v12, v12, v23, v24
	v_fma_f32 v23, v11, s10, s11
	v_div_fixup_f32 v1, v12, v1, 1.0
	v_fma_f32 v12, v11, s11, -s10
	s_delay_alu instid0(VALU_DEP_2) | instskip(NEXT) | instid1(VALU_DEP_2)
	v_mul_f32_e32 v11, v23, v1
	v_mul_f32_e32 v12, v12, v1
.LBB255_168:                            ;   in Loop: Header=BB255_4 Depth=1
	s_or_b32 exec_lo, exec_lo, s6
	v_and_b32_e32 v24, 0x7fffffff, v8
	v_xor_b32_e32 v23, 0x80000000, v8
                                        ; implicit-def: $vgpr1
	s_mov_b32 s6, exec_lo
	s_delay_alu instid0(VALU_DEP_2)
	v_cmpx_ne_u32_e32 0, v24
	s_xor_b32 s29, exec_lo, s6
	s_cbranch_execz .LBB255_210
; %bb.169:                              ;   in Loop: Header=BB255_4 Depth=1
	v_and_b32_e32 v26, 0x7fffffff, v7
                                        ; implicit-def: $vgpr1
	s_mov_b32 s6, exec_lo
	s_delay_alu instid0(VALU_DEP_1)
	v_cmpx_ne_u32_e32 0, v26
	s_xor_b32 s30, exec_lo, s6
	s_cbranch_execz .LBB255_199
; %bb.170:                              ;   in Loop: Header=BB255_4 Depth=1
	v_xor_b32_e32 v25, 0x80000000, v7
                                        ; implicit-def: $vgpr1
	s_mov_b32 s6, exec_lo
	v_cmpx_gt_u32_e32 0x7f800000, v24
	s_xor_b32 s31, exec_lo, s6
	s_cbranch_execz .LBB255_192
; %bb.171:                              ;   in Loop: Header=BB255_4 Depth=1
	v_add_nc_u32_e32 v1, 0xbd4e8de8, v25
	s_delay_alu instid0(VALU_DEP_1) | instskip(SKIP_1) | instid1(SALU_CYCLE_1)
	v_cmp_lt_u32_e32 vcc_lo, 0x8e8e5c, v1
                                        ; implicit-def: $vgpr1
	s_and_saveexec_b32 s6, vcc_lo
	s_xor_b32 s33, exec_lo, s6
	s_cbranch_execz .LBB255_181
; %bb.172:                              ;   in Loop: Header=BB255_4 Depth=1
	v_cmp_ngt_f32_e64 s34, 0x48000000, |v8|
                                        ; implicit-def: $vgpr26
                                        ; implicit-def: $vgpr25
	s_delay_alu instid0(VALU_DEP_1) | instskip(NEXT) | instid1(SALU_CYCLE_1)
	s_and_saveexec_b32 s6, s34
	s_xor_b32 s35, exec_lo, s6
	s_cbranch_execz .LBB255_174
; %bb.173:                              ;   in Loop: Header=BB255_4 Depth=1
	v_lshrrev_b32_e32 v30, 23, v24
	v_and_or_b32 v33, v24, s25, 0x800000
	s_delay_alu instid0(VALU_DEP_2) | instskip(NEXT) | instid1(VALU_DEP_2)
	v_add_nc_u32_e32 v31, 0xffffff88, v30
	v_mad_u64_u32 v[25:26], null, 0xfe5163ab, v33, 0
	s_delay_alu instid0(VALU_DEP_2) | instskip(SKIP_1) | instid1(VALU_DEP_1)
	v_cmp_lt_u32_e32 vcc_lo, 63, v31
	v_cndmask_b32_e64 v32, 0, 0xffffffc0, vcc_lo
	v_dual_mov_b32 v1, v26 :: v_dual_add_nc_u32 v32, v32, v31
	s_delay_alu instid0(VALU_DEP_1) | instskip(NEXT) | instid1(VALU_DEP_2)
	v_mad_u64_u32 v[26:27], null, 0x3c439041, v33, v[1:2]
	v_cmp_lt_u32_e64 s6, 31, v32
	s_delay_alu instid0(VALU_DEP_1) | instskip(NEXT) | instid1(VALU_DEP_1)
	v_cndmask_b32_e64 v34, 0, 0xffffffe0, s6
	v_dual_mov_b32 v1, v27 :: v_dual_add_nc_u32 v34, v34, v32
	s_delay_alu instid0(VALU_DEP_1) | instskip(NEXT) | instid1(VALU_DEP_2)
	v_mad_u64_u32 v[27:28], null, 0xdb629599, v33, v[1:2]
	v_cmp_lt_u32_e64 s7, 31, v34
	s_delay_alu instid0(VALU_DEP_2) | instskip(NEXT) | instid1(VALU_DEP_3)
	v_mov_b32_e32 v1, v28
	v_cndmask_b32_e32 v25, v27, v25, vcc_lo
	s_delay_alu instid0(VALU_DEP_2) | instskip(NEXT) | instid1(VALU_DEP_1)
	v_mad_u64_u32 v[28:29], null, 0xf534ddc0, v33, v[1:2]
	v_dual_mov_b32 v1, v29 :: v_dual_cndmask_b32 v26, v28, v26
	s_delay_alu instid0(VALU_DEP_1) | instskip(NEXT) | instid1(VALU_DEP_2)
	v_mad_u64_u32 v[29:30], null, 0xfc2757d1, v33, v[1:2]
	v_cndmask_b32_e64 v25, v26, v25, s6
	s_delay_alu instid0(VALU_DEP_2) | instskip(NEXT) | instid1(VALU_DEP_1)
	v_mov_b32_e32 v1, v30
	v_mad_u64_u32 v[30:31], null, 0x4e441529, v33, v[1:2]
	s_delay_alu instid0(VALU_DEP_1) | instskip(NEXT) | instid1(VALU_DEP_1)
	v_mov_b32_e32 v1, v31
	v_mad_u64_u32 v[31:32], null, 0xa2f9836e, v33, v[1:2]
	v_cndmask_b32_e64 v1, 0, 0xffffffe0, s7
	s_delay_alu instid0(VALU_DEP_4) | instskip(NEXT) | instid1(VALU_DEP_2)
	v_cndmask_b32_e32 v33, v30, v28, vcc_lo
	v_add_nc_u32_e32 v1, v1, v34
	s_delay_alu instid0(VALU_DEP_4) | instskip(SKIP_1) | instid1(VALU_DEP_3)
	v_dual_cndmask_b32 v31, v31, v29 :: v_dual_cndmask_b32 v30, v32, v30
	v_cndmask_b32_e32 v29, v29, v27, vcc_lo
	v_sub_nc_u32_e32 v32, 32, v1
	s_delay_alu instid0(VALU_DEP_3) | instskip(NEXT) | instid1(VALU_DEP_4)
	v_cndmask_b32_e64 v28, v31, v33, s6
	v_cndmask_b32_e64 v30, v30, v31, s6
	s_delay_alu instid0(VALU_DEP_4) | instskip(SKIP_2) | instid1(VALU_DEP_4)
	v_cndmask_b32_e64 v31, v33, v29, s6
	v_cndmask_b32_e64 v29, v29, v26, s6
	v_cmp_eq_u32_e64 s8, 0, v1
	v_cndmask_b32_e64 v30, v30, v28, s7
	s_delay_alu instid0(VALU_DEP_4) | instskip(NEXT) | instid1(VALU_DEP_4)
	v_cndmask_b32_e64 v28, v28, v31, s7
	v_cndmask_b32_e64 v31, v31, v29, s7
	;; [unrolled: 1-line block ×3, first 2 shown]
	s_delay_alu instid0(VALU_DEP_3) | instskip(NEXT) | instid1(VALU_DEP_3)
	v_alignbit_b32 v33, v30, v28, v32
	v_alignbit_b32 v34, v28, v31, v32
	s_delay_alu instid0(VALU_DEP_3) | instskip(NEXT) | instid1(VALU_DEP_3)
	v_alignbit_b32 v32, v31, v25, v32
	v_cndmask_b32_e64 v1, v33, v30, s8
	s_delay_alu instid0(VALU_DEP_3) | instskip(NEXT) | instid1(VALU_DEP_3)
	v_cndmask_b32_e64 v27, v34, v28, s8
	v_cndmask_b32_e64 v31, v32, v31, s8
	s_delay_alu instid0(VALU_DEP_3) | instskip(NEXT) | instid1(VALU_DEP_3)
	v_bfe_u32 v28, v1, 29, 1
	v_alignbit_b32 v26, v1, v27, 30
	s_delay_alu instid0(VALU_DEP_3) | instskip(SKIP_1) | instid1(VALU_DEP_4)
	v_alignbit_b32 v27, v27, v31, 30
	v_alignbit_b32 v25, v31, v25, 30
	v_sub_nc_u32_e32 v30, 0, v28
	s_delay_alu instid0(VALU_DEP_1) | instskip(SKIP_3) | instid1(VALU_DEP_4)
	v_xor_b32_e32 v29, v26, v30
	v_cmp_ne_u32_e32 vcc_lo, v26, v30
	v_xor_b32_e32 v27, v27, v30
	v_xor_b32_e32 v25, v25, v30
	v_clz_i32_u32_e32 v33, v29
	s_delay_alu instid0(VALU_DEP_1) | instskip(NEXT) | instid1(VALU_DEP_1)
	v_add_nc_u32_e32 v32, 1, v33
	v_cndmask_b32_e32 v26, 33, v32, vcc_lo
	s_delay_alu instid0(VALU_DEP_1) | instskip(NEXT) | instid1(VALU_DEP_1)
	v_sub_nc_u32_e32 v31, 32, v26
	v_alignbit_b32 v29, v29, v27, v31
	v_alignbit_b32 v25, v27, v25, v31
	v_lshrrev_b32_e32 v27, 29, v1
	v_lshrrev_b32_e32 v1, 30, v1
	s_delay_alu instid0(VALU_DEP_3) | instskip(NEXT) | instid1(VALU_DEP_3)
	v_alignbit_b32 v30, v29, v25, 9
	v_lshlrev_b32_e32 v27, 31, v27
	v_alignbit_b32 v29, v26, v29, 9
	s_delay_alu instid0(VALU_DEP_3) | instskip(NEXT) | instid1(VALU_DEP_2)
	v_clz_i32_u32_e32 v31, v30
	v_or_b32_e32 v29, v29, v27
	v_or_b32_e32 v27, 0x33800000, v27
	s_delay_alu instid0(VALU_DEP_3) | instskip(NEXT) | instid1(VALU_DEP_3)
	v_min_u32_e32 v31, 32, v31
	v_xor_b32_e32 v29, 1.0, v29
	s_delay_alu instid0(VALU_DEP_2) | instskip(SKIP_1) | instid1(VALU_DEP_3)
	v_sub_nc_u32_e32 v32, 31, v31
	v_add_lshl_u32 v26, v31, v26, 23
	v_mul_f32_e32 v31, 0x3fc90fda, v29
	s_delay_alu instid0(VALU_DEP_3) | instskip(NEXT) | instid1(VALU_DEP_3)
	v_alignbit_b32 v25, v30, v25, v32
	v_sub_nc_u32_e32 v26, v27, v26
	s_delay_alu instid0(VALU_DEP_3) | instskip(NEXT) | instid1(VALU_DEP_3)
	v_fma_f32 v27, 0x3fc90fda, v29, -v31
	v_lshrrev_b32_e32 v25, 9, v25
	s_delay_alu instid0(VALU_DEP_2) | instskip(NEXT) | instid1(VALU_DEP_2)
	v_fmac_f32_e32 v27, 0x33a22168, v29
	v_or_b32_e32 v25, v26, v25
	v_add_nc_u32_e32 v26, v28, v1
	s_delay_alu instid0(VALU_DEP_2) | instskip(NEXT) | instid1(VALU_DEP_1)
	v_fmac_f32_e32 v27, 0x3fc90fda, v25
	v_add_f32_e32 v25, v31, v27
	s_and_not1_saveexec_b32 s6, s35
	s_branch .LBB255_175
.LBB255_174:                            ;   in Loop: Header=BB255_4 Depth=1
	s_and_not1_saveexec_b32 s6, s35
.LBB255_175:                            ;   in Loop: Header=BB255_4 Depth=1
	v_mul_f32_e64 v1, 0x3f22f983, |v8|
	s_delay_alu instid0(VALU_DEP_1) | instskip(NEXT) | instid1(VALU_DEP_1)
	v_rndne_f32_e32 v1, v1
	v_fma_f32 v25, 0xbfc90fda, v1, |v8|
	v_cvt_i32_f32_e32 v26, v1
	s_delay_alu instid0(VALU_DEP_2) | instskip(NEXT) | instid1(VALU_DEP_1)
	v_fmac_f32_e32 v25, 0xb3a22168, v1
	v_fmac_f32_e32 v25, 0xa7c234c4, v1
; %bb.176:                              ;   in Loop: Header=BB255_4 Depth=1
	s_or_b32 exec_lo, exec_lo, s6
                                        ; implicit-def: $vgpr27
                                        ; implicit-def: $vgpr1
	s_and_saveexec_b32 s6, s34
	s_delay_alu instid0(SALU_CYCLE_1)
	s_xor_b32 s34, exec_lo, s6
	s_cbranch_execz .LBB255_178
; %bb.177:                              ;   in Loop: Header=BB255_4 Depth=1
	v_lshrrev_b32_e32 v32, 23, v24
	v_and_or_b32 v35, v24, s25, 0x800000
	s_delay_alu instid0(VALU_DEP_2) | instskip(NEXT) | instid1(VALU_DEP_2)
	v_add_nc_u32_e32 v33, 0xffffff88, v32
	v_mad_u64_u32 v[27:28], null, 0xfe5163ab, v35, 0
	s_delay_alu instid0(VALU_DEP_2) | instskip(SKIP_1) | instid1(VALU_DEP_1)
	v_cmp_lt_u32_e32 vcc_lo, 63, v33
	v_cndmask_b32_e64 v34, 0, 0xffffffc0, vcc_lo
	v_dual_mov_b32 v1, v28 :: v_dual_add_nc_u32 v34, v34, v33
	s_delay_alu instid0(VALU_DEP_1) | instskip(NEXT) | instid1(VALU_DEP_2)
	v_mad_u64_u32 v[28:29], null, 0x3c439041, v35, v[1:2]
	v_cmp_lt_u32_e64 s6, 31, v34
	s_delay_alu instid0(VALU_DEP_1) | instskip(NEXT) | instid1(VALU_DEP_1)
	v_cndmask_b32_e64 v36, 0, 0xffffffe0, s6
	v_dual_mov_b32 v1, v29 :: v_dual_add_nc_u32 v36, v36, v34
	s_delay_alu instid0(VALU_DEP_1) | instskip(NEXT) | instid1(VALU_DEP_2)
	v_mad_u64_u32 v[29:30], null, 0xdb629599, v35, v[1:2]
	v_cmp_lt_u32_e64 s7, 31, v36
	s_delay_alu instid0(VALU_DEP_2) | instskip(NEXT) | instid1(VALU_DEP_3)
	v_mov_b32_e32 v1, v30
	v_cndmask_b32_e32 v27, v29, v27, vcc_lo
	s_delay_alu instid0(VALU_DEP_2) | instskip(NEXT) | instid1(VALU_DEP_1)
	v_mad_u64_u32 v[30:31], null, 0xf534ddc0, v35, v[1:2]
	v_dual_mov_b32 v1, v31 :: v_dual_cndmask_b32 v28, v30, v28
	s_delay_alu instid0(VALU_DEP_1) | instskip(NEXT) | instid1(VALU_DEP_2)
	v_mad_u64_u32 v[31:32], null, 0xfc2757d1, v35, v[1:2]
	v_cndmask_b32_e64 v27, v28, v27, s6
	s_delay_alu instid0(VALU_DEP_2) | instskip(NEXT) | instid1(VALU_DEP_1)
	v_mov_b32_e32 v1, v32
	v_mad_u64_u32 v[32:33], null, 0x4e441529, v35, v[1:2]
	s_delay_alu instid0(VALU_DEP_1) | instskip(NEXT) | instid1(VALU_DEP_1)
	v_mov_b32_e32 v1, v33
	v_mad_u64_u32 v[33:34], null, 0xa2f9836e, v35, v[1:2]
	v_cndmask_b32_e64 v1, 0, 0xffffffe0, s7
	s_delay_alu instid0(VALU_DEP_4) | instskip(NEXT) | instid1(VALU_DEP_2)
	v_cndmask_b32_e32 v35, v32, v30, vcc_lo
	v_add_nc_u32_e32 v1, v1, v36
	s_delay_alu instid0(VALU_DEP_4) | instskip(SKIP_1) | instid1(VALU_DEP_3)
	v_dual_cndmask_b32 v33, v33, v31 :: v_dual_cndmask_b32 v32, v34, v32
	v_cndmask_b32_e32 v31, v31, v29, vcc_lo
	v_sub_nc_u32_e32 v34, 32, v1
	s_delay_alu instid0(VALU_DEP_3) | instskip(NEXT) | instid1(VALU_DEP_4)
	v_cndmask_b32_e64 v30, v33, v35, s6
	v_cndmask_b32_e64 v32, v32, v33, s6
	s_delay_alu instid0(VALU_DEP_4) | instskip(SKIP_2) | instid1(VALU_DEP_4)
	v_cndmask_b32_e64 v33, v35, v31, s6
	v_cndmask_b32_e64 v31, v31, v28, s6
	v_cmp_eq_u32_e64 s8, 0, v1
	v_cndmask_b32_e64 v32, v32, v30, s7
	s_delay_alu instid0(VALU_DEP_4) | instskip(NEXT) | instid1(VALU_DEP_4)
	v_cndmask_b32_e64 v30, v30, v33, s7
	v_cndmask_b32_e64 v33, v33, v31, s7
	;; [unrolled: 1-line block ×3, first 2 shown]
	s_delay_alu instid0(VALU_DEP_3) | instskip(NEXT) | instid1(VALU_DEP_3)
	v_alignbit_b32 v35, v32, v30, v34
	v_alignbit_b32 v36, v30, v33, v34
	s_delay_alu instid0(VALU_DEP_3) | instskip(NEXT) | instid1(VALU_DEP_3)
	v_alignbit_b32 v34, v33, v27, v34
	v_cndmask_b32_e64 v1, v35, v32, s8
	s_delay_alu instid0(VALU_DEP_3) | instskip(NEXT) | instid1(VALU_DEP_3)
	v_cndmask_b32_e64 v29, v36, v30, s8
	v_cndmask_b32_e64 v33, v34, v33, s8
	s_delay_alu instid0(VALU_DEP_3) | instskip(NEXT) | instid1(VALU_DEP_3)
	v_bfe_u32 v30, v1, 29, 1
	v_alignbit_b32 v28, v1, v29, 30
	s_delay_alu instid0(VALU_DEP_3) | instskip(SKIP_1) | instid1(VALU_DEP_4)
	v_alignbit_b32 v29, v29, v33, 30
	v_alignbit_b32 v27, v33, v27, 30
	v_sub_nc_u32_e32 v32, 0, v30
	s_delay_alu instid0(VALU_DEP_1) | instskip(SKIP_3) | instid1(VALU_DEP_4)
	v_xor_b32_e32 v31, v28, v32
	v_cmp_ne_u32_e32 vcc_lo, v28, v32
	v_xor_b32_e32 v29, v29, v32
	v_xor_b32_e32 v27, v27, v32
	v_clz_i32_u32_e32 v35, v31
	s_delay_alu instid0(VALU_DEP_1) | instskip(NEXT) | instid1(VALU_DEP_1)
	v_add_nc_u32_e32 v34, 1, v35
	v_cndmask_b32_e32 v28, 33, v34, vcc_lo
	s_delay_alu instid0(VALU_DEP_1) | instskip(NEXT) | instid1(VALU_DEP_1)
	v_sub_nc_u32_e32 v33, 32, v28
	v_alignbit_b32 v31, v31, v29, v33
	v_alignbit_b32 v27, v29, v27, v33
	v_lshrrev_b32_e32 v29, 29, v1
	s_delay_alu instid0(VALU_DEP_2) | instskip(NEXT) | instid1(VALU_DEP_2)
	v_alignbit_b32 v32, v31, v27, 9
	v_lshlrev_b32_e32 v29, 31, v29
	v_alignbit_b32 v31, v28, v31, 9
	s_delay_alu instid0(VALU_DEP_3) | instskip(NEXT) | instid1(VALU_DEP_2)
	v_clz_i32_u32_e32 v33, v32
	v_or_b32_e32 v31, v31, v29
	v_or_b32_e32 v29, 0x33800000, v29
	s_delay_alu instid0(VALU_DEP_3) | instskip(NEXT) | instid1(VALU_DEP_3)
	v_min_u32_e32 v33, 32, v33
	v_xor_b32_e32 v31, 1.0, v31
	s_delay_alu instid0(VALU_DEP_2) | instskip(SKIP_1) | instid1(VALU_DEP_3)
	v_sub_nc_u32_e32 v34, 31, v33
	v_add_lshl_u32 v28, v33, v28, 23
	v_mul_f32_e32 v33, 0x3fc90fda, v31
	s_delay_alu instid0(VALU_DEP_3) | instskip(NEXT) | instid1(VALU_DEP_3)
	v_alignbit_b32 v27, v32, v27, v34
	v_sub_nc_u32_e32 v28, v29, v28
	s_delay_alu instid0(VALU_DEP_3) | instskip(NEXT) | instid1(VALU_DEP_3)
	v_fma_f32 v29, 0x3fc90fda, v31, -v33
	v_lshrrev_b32_e32 v27, 9, v27
	s_delay_alu instid0(VALU_DEP_2) | instskip(NEXT) | instid1(VALU_DEP_2)
	v_fmac_f32_e32 v29, 0x33a22168, v31
	v_or_b32_e32 v27, v28, v27
	s_delay_alu instid0(VALU_DEP_1) | instskip(SKIP_1) | instid1(VALU_DEP_2)
	v_fmac_f32_e32 v29, 0x3fc90fda, v27
	v_lshrrev_b32_e32 v27, 30, v1
	v_add_f32_e32 v1, v33, v29
	s_delay_alu instid0(VALU_DEP_2)
	v_add_nc_u32_e32 v27, v30, v27
	s_and_not1_saveexec_b32 s6, s34
	s_cbranch_execnz .LBB255_179
	s_branch .LBB255_180
.LBB255_178:                            ;   in Loop: Header=BB255_4 Depth=1
	s_and_not1_saveexec_b32 s6, s34
.LBB255_179:                            ;   in Loop: Header=BB255_4 Depth=1
	v_mul_f32_e64 v1, 0x3f22f983, |v8|
	s_delay_alu instid0(VALU_DEP_1) | instskip(NEXT) | instid1(VALU_DEP_1)
	v_rndne_f32_e32 v27, v1
	v_fma_f32 v1, 0xbfc90fda, v27, |v8|
	s_delay_alu instid0(VALU_DEP_1) | instskip(NEXT) | instid1(VALU_DEP_1)
	v_fmac_f32_e32 v1, 0xb3a22168, v27
	v_fmac_f32_e32 v1, 0xa7c234c4, v27
	v_cvt_i32_f32_e32 v27, v27
.LBB255_180:                            ;   in Loop: Header=BB255_4 Depth=1
	s_or_b32 exec_lo, exec_lo, s6
	v_dual_mul_f32 v28, 0xbfb8aa3b, v7 :: v_dual_mul_f32 v29, v25, v25
	s_delay_alu instid0(VALU_DEP_3) | instskip(SKIP_1) | instid1(VALU_DEP_3)
	v_dual_mul_f32 v33, v1, v1 :: v_dual_and_b32 v30, 1, v26
	v_lshlrev_b32_e32 v26, 30, v26
	v_rndne_f32_e32 v31, v28
	s_delay_alu instid0(VALU_DEP_4) | instskip(SKIP_4) | instid1(VALU_DEP_4)
	v_fmaak_f32 v35, s26, v29, 0x3c0881c4
	v_fma_f32 v32, 0xbfb8aa3b, v7, -v28
	v_dual_fmaak_f32 v37, s26, v33, 0x3c0881c4 :: v_dual_and_b32 v34, 1, v27
	v_dual_fmaak_f32 v36, s27, v29, 0xbab64f3b :: v_dual_lshlrev_b32 v27, 30, v27
	v_sub_f32_e32 v28, v28, v31
	v_fmac_f32_e32 v32, 0xb2a5705f, v7
	v_cmp_eq_u32_e32 vcc_lo, 0, v30
	v_cvt_i32_f32_e32 v31, v31
	v_and_or_b32 v24, 0x80000000, v27, v24
	v_cmp_ngt_f32_e64 s6, 0xc2b17218, v7
	v_add_f32_e32 v28, v28, v32
	v_fmaak_f32 v32, v29, v35, 0xbe2aaa9d
	v_fmaak_f32 v35, v29, v36, 0x3d2aabf7
	;; [unrolled: 1-line block ×3, first 2 shown]
	s_delay_alu instid0(VALU_DEP_3) | instskip(SKIP_1) | instid1(VALU_DEP_4)
	v_mul_f32_e32 v32, v29, v32
	v_fmaak_f32 v38, s27, v33, 0xbab64f3b
	v_fmaak_f32 v35, v29, v35, 0xbf000004
	s_delay_alu instid0(VALU_DEP_3) | instskip(NEXT) | instid1(VALU_DEP_3)
	v_fmac_f32_e32 v25, v25, v32
	v_fmaak_f32 v37, v33, v38, 0x3d2aabf7
	s_delay_alu instid0(VALU_DEP_3) | instskip(SKIP_1) | instid1(VALU_DEP_2)
	v_fma_f32 v29, v29, v35, 1.0
	v_exp_f32_e32 v28, v28
	v_fmaak_f32 v37, v33, v37, 0xbf000004
	s_delay_alu instid0(VALU_DEP_2) | instskip(SKIP_1) | instid1(VALU_DEP_3)
	v_cndmask_b32_e64 v25, -v25, v29, vcc_lo
	v_cmp_eq_u32_e32 vcc_lo, 0, v34
	v_fma_f32 v32, v33, v37, 1.0
	v_mul_f32_e32 v36, v33, v36
	s_waitcnt_depctr 0xfff
	v_ldexp_f32 v28, v28, v31
	v_fmac_f32_e32 v1, v1, v36
	s_delay_alu instid0(VALU_DEP_1) | instskip(SKIP_1) | instid1(VALU_DEP_2)
	v_cndmask_b32_e32 v1, v32, v1, vcc_lo
	v_cmp_nlt_f32_e32 vcc_lo, 0x42ce8ed0, v7
	v_xor3_b32 v1, v24, v1, v23
	v_cndmask_b32_e32 v27, 0, v28, vcc_lo
	v_cmp_class_f32_e64 vcc_lo, v8, 0x1f8
                                        ; implicit-def: $vgpr24
	s_delay_alu instid0(VALU_DEP_2) | instskip(NEXT) | instid1(VALU_DEP_4)
	v_cndmask_b32_e64 v7, 0x7f800000, v27, s6
	v_cndmask_b32_e32 v23, 0x7fc00000, v1, vcc_lo
	s_delay_alu instid0(VALU_DEP_1) | instskip(NEXT) | instid1(VALU_DEP_1)
	v_dual_mul_f32 v23, v7, v23 :: v_dual_and_b32 v26, 0x80000000, v26
	v_xor_b32_e32 v25, v26, v25
	s_delay_alu instid0(VALU_DEP_1) | instskip(NEXT) | instid1(VALU_DEP_1)
	v_cndmask_b32_e32 v8, 0x7fc00000, v25, vcc_lo
	v_mul_f32_e32 v1, v7, v8
                                        ; implicit-def: $vgpr8
.LBB255_181:                            ;   in Loop: Header=BB255_4 Depth=1
	s_and_not1_saveexec_b32 s33, s33
	s_cbranch_execz .LBB255_191
; %bb.182:                              ;   in Loop: Header=BB255_4 Depth=1
	v_cmp_ngt_f32_e64 s34, 0x48000000, |v8|
                                        ; implicit-def: $vgpr26
                                        ; implicit-def: $vgpr25
	s_delay_alu instid0(VALU_DEP_1) | instskip(NEXT) | instid1(SALU_CYCLE_1)
	s_and_saveexec_b32 s6, s34
	s_xor_b32 s35, exec_lo, s6
	s_cbranch_execz .LBB255_184
; %bb.183:                              ;   in Loop: Header=BB255_4 Depth=1
	v_lshrrev_b32_e32 v30, 23, v24
	v_and_or_b32 v33, v24, s25, 0x800000
	s_delay_alu instid0(VALU_DEP_2) | instskip(NEXT) | instid1(VALU_DEP_2)
	v_add_nc_u32_e32 v31, 0xffffff88, v30
	v_mad_u64_u32 v[25:26], null, 0xfe5163ab, v33, 0
	s_delay_alu instid0(VALU_DEP_2) | instskip(SKIP_1) | instid1(VALU_DEP_1)
	v_cmp_lt_u32_e32 vcc_lo, 63, v31
	v_cndmask_b32_e64 v32, 0, 0xffffffc0, vcc_lo
	v_dual_mov_b32 v1, v26 :: v_dual_add_nc_u32 v32, v32, v31
	s_delay_alu instid0(VALU_DEP_1) | instskip(NEXT) | instid1(VALU_DEP_2)
	v_mad_u64_u32 v[26:27], null, 0x3c439041, v33, v[1:2]
	v_cmp_lt_u32_e64 s6, 31, v32
	s_delay_alu instid0(VALU_DEP_1) | instskip(NEXT) | instid1(VALU_DEP_1)
	v_cndmask_b32_e64 v34, 0, 0xffffffe0, s6
	v_dual_mov_b32 v1, v27 :: v_dual_add_nc_u32 v34, v34, v32
	s_delay_alu instid0(VALU_DEP_1) | instskip(NEXT) | instid1(VALU_DEP_2)
	v_mad_u64_u32 v[27:28], null, 0xdb629599, v33, v[1:2]
	v_cmp_lt_u32_e64 s7, 31, v34
	s_delay_alu instid0(VALU_DEP_2) | instskip(NEXT) | instid1(VALU_DEP_3)
	v_mov_b32_e32 v1, v28
	v_cndmask_b32_e32 v25, v27, v25, vcc_lo
	s_delay_alu instid0(VALU_DEP_2) | instskip(NEXT) | instid1(VALU_DEP_1)
	v_mad_u64_u32 v[28:29], null, 0xf534ddc0, v33, v[1:2]
	v_dual_mov_b32 v1, v29 :: v_dual_cndmask_b32 v26, v28, v26
	s_delay_alu instid0(VALU_DEP_1) | instskip(NEXT) | instid1(VALU_DEP_2)
	v_mad_u64_u32 v[29:30], null, 0xfc2757d1, v33, v[1:2]
	v_cndmask_b32_e64 v25, v26, v25, s6
	s_delay_alu instid0(VALU_DEP_2) | instskip(NEXT) | instid1(VALU_DEP_1)
	v_mov_b32_e32 v1, v30
	v_mad_u64_u32 v[30:31], null, 0x4e441529, v33, v[1:2]
	s_delay_alu instid0(VALU_DEP_1) | instskip(NEXT) | instid1(VALU_DEP_1)
	v_mov_b32_e32 v1, v31
	v_mad_u64_u32 v[31:32], null, 0xa2f9836e, v33, v[1:2]
	v_cndmask_b32_e64 v1, 0, 0xffffffe0, s7
	s_delay_alu instid0(VALU_DEP_4) | instskip(NEXT) | instid1(VALU_DEP_2)
	v_cndmask_b32_e32 v33, v30, v28, vcc_lo
	v_add_nc_u32_e32 v1, v1, v34
	s_delay_alu instid0(VALU_DEP_4) | instskip(SKIP_1) | instid1(VALU_DEP_3)
	v_dual_cndmask_b32 v31, v31, v29 :: v_dual_cndmask_b32 v30, v32, v30
	v_cndmask_b32_e32 v29, v29, v27, vcc_lo
	v_sub_nc_u32_e32 v32, 32, v1
	s_delay_alu instid0(VALU_DEP_3) | instskip(NEXT) | instid1(VALU_DEP_4)
	v_cndmask_b32_e64 v28, v31, v33, s6
	v_cndmask_b32_e64 v30, v30, v31, s6
	s_delay_alu instid0(VALU_DEP_4) | instskip(SKIP_2) | instid1(VALU_DEP_4)
	v_cndmask_b32_e64 v31, v33, v29, s6
	v_cndmask_b32_e64 v29, v29, v26, s6
	v_cmp_eq_u32_e64 s8, 0, v1
	v_cndmask_b32_e64 v30, v30, v28, s7
	s_delay_alu instid0(VALU_DEP_4) | instskip(NEXT) | instid1(VALU_DEP_4)
	v_cndmask_b32_e64 v28, v28, v31, s7
	v_cndmask_b32_e64 v31, v31, v29, s7
	;; [unrolled: 1-line block ×3, first 2 shown]
	s_delay_alu instid0(VALU_DEP_3) | instskip(NEXT) | instid1(VALU_DEP_3)
	v_alignbit_b32 v33, v30, v28, v32
	v_alignbit_b32 v34, v28, v31, v32
	s_delay_alu instid0(VALU_DEP_3) | instskip(NEXT) | instid1(VALU_DEP_3)
	v_alignbit_b32 v32, v31, v25, v32
	v_cndmask_b32_e64 v1, v33, v30, s8
	s_delay_alu instid0(VALU_DEP_3) | instskip(NEXT) | instid1(VALU_DEP_3)
	v_cndmask_b32_e64 v27, v34, v28, s8
	v_cndmask_b32_e64 v31, v32, v31, s8
	s_delay_alu instid0(VALU_DEP_3) | instskip(NEXT) | instid1(VALU_DEP_3)
	v_bfe_u32 v28, v1, 29, 1
	v_alignbit_b32 v26, v1, v27, 30
	s_delay_alu instid0(VALU_DEP_3) | instskip(SKIP_1) | instid1(VALU_DEP_4)
	v_alignbit_b32 v27, v27, v31, 30
	v_alignbit_b32 v25, v31, v25, 30
	v_sub_nc_u32_e32 v30, 0, v28
	s_delay_alu instid0(VALU_DEP_1) | instskip(SKIP_3) | instid1(VALU_DEP_4)
	v_xor_b32_e32 v29, v26, v30
	v_cmp_ne_u32_e32 vcc_lo, v26, v30
	v_xor_b32_e32 v27, v27, v30
	v_xor_b32_e32 v25, v25, v30
	v_clz_i32_u32_e32 v33, v29
	s_delay_alu instid0(VALU_DEP_1) | instskip(NEXT) | instid1(VALU_DEP_1)
	v_add_nc_u32_e32 v32, 1, v33
	v_cndmask_b32_e32 v26, 33, v32, vcc_lo
	s_delay_alu instid0(VALU_DEP_1) | instskip(NEXT) | instid1(VALU_DEP_1)
	v_sub_nc_u32_e32 v31, 32, v26
	v_alignbit_b32 v29, v29, v27, v31
	v_alignbit_b32 v25, v27, v25, v31
	v_lshrrev_b32_e32 v27, 29, v1
	v_lshrrev_b32_e32 v1, 30, v1
	s_delay_alu instid0(VALU_DEP_3) | instskip(NEXT) | instid1(VALU_DEP_3)
	v_alignbit_b32 v30, v29, v25, 9
	v_lshlrev_b32_e32 v27, 31, v27
	v_alignbit_b32 v29, v26, v29, 9
	s_delay_alu instid0(VALU_DEP_3) | instskip(NEXT) | instid1(VALU_DEP_2)
	v_clz_i32_u32_e32 v31, v30
	v_or_b32_e32 v29, v29, v27
	v_or_b32_e32 v27, 0x33800000, v27
	s_delay_alu instid0(VALU_DEP_3) | instskip(NEXT) | instid1(VALU_DEP_3)
	v_min_u32_e32 v31, 32, v31
	v_xor_b32_e32 v29, 1.0, v29
	s_delay_alu instid0(VALU_DEP_2) | instskip(SKIP_1) | instid1(VALU_DEP_3)
	v_sub_nc_u32_e32 v32, 31, v31
	v_add_lshl_u32 v26, v31, v26, 23
	v_mul_f32_e32 v31, 0x3fc90fda, v29
	s_delay_alu instid0(VALU_DEP_3) | instskip(NEXT) | instid1(VALU_DEP_3)
	v_alignbit_b32 v25, v30, v25, v32
	v_sub_nc_u32_e32 v26, v27, v26
	s_delay_alu instid0(VALU_DEP_3) | instskip(NEXT) | instid1(VALU_DEP_3)
	v_fma_f32 v27, 0x3fc90fda, v29, -v31
	v_lshrrev_b32_e32 v25, 9, v25
	s_delay_alu instid0(VALU_DEP_2) | instskip(NEXT) | instid1(VALU_DEP_2)
	v_fmac_f32_e32 v27, 0x33a22168, v29
	v_or_b32_e32 v25, v26, v25
	v_add_nc_u32_e32 v26, v28, v1
	s_delay_alu instid0(VALU_DEP_2) | instskip(NEXT) | instid1(VALU_DEP_1)
	v_fmac_f32_e32 v27, 0x3fc90fda, v25
	v_add_f32_e32 v25, v31, v27
	s_and_not1_saveexec_b32 s6, s35
	s_branch .LBB255_185
.LBB255_184:                            ;   in Loop: Header=BB255_4 Depth=1
	s_and_not1_saveexec_b32 s6, s35
.LBB255_185:                            ;   in Loop: Header=BB255_4 Depth=1
	v_mul_f32_e64 v1, 0x3f22f983, |v8|
	s_delay_alu instid0(VALU_DEP_1) | instskip(NEXT) | instid1(VALU_DEP_1)
	v_rndne_f32_e32 v1, v1
	v_fma_f32 v25, 0xbfc90fda, v1, |v8|
	v_cvt_i32_f32_e32 v26, v1
	s_delay_alu instid0(VALU_DEP_2) | instskip(NEXT) | instid1(VALU_DEP_1)
	v_fmac_f32_e32 v25, 0xb3a22168, v1
	v_fmac_f32_e32 v25, 0xa7c234c4, v1
; %bb.186:                              ;   in Loop: Header=BB255_4 Depth=1
	s_or_b32 exec_lo, exec_lo, s6
                                        ; implicit-def: $vgpr27
                                        ; implicit-def: $vgpr1
	s_and_saveexec_b32 s6, s34
	s_delay_alu instid0(SALU_CYCLE_1)
	s_xor_b32 s34, exec_lo, s6
	s_cbranch_execz .LBB255_188
; %bb.187:                              ;   in Loop: Header=BB255_4 Depth=1
	v_lshrrev_b32_e32 v32, 23, v24
	v_and_or_b32 v35, v24, s25, 0x800000
	s_delay_alu instid0(VALU_DEP_2) | instskip(NEXT) | instid1(VALU_DEP_2)
	v_add_nc_u32_e32 v33, 0xffffff88, v32
	v_mad_u64_u32 v[27:28], null, 0xfe5163ab, v35, 0
	s_delay_alu instid0(VALU_DEP_2) | instskip(SKIP_1) | instid1(VALU_DEP_1)
	v_cmp_lt_u32_e32 vcc_lo, 63, v33
	v_cndmask_b32_e64 v34, 0, 0xffffffc0, vcc_lo
	v_dual_mov_b32 v1, v28 :: v_dual_add_nc_u32 v34, v34, v33
	s_delay_alu instid0(VALU_DEP_1) | instskip(NEXT) | instid1(VALU_DEP_2)
	v_mad_u64_u32 v[28:29], null, 0x3c439041, v35, v[1:2]
	v_cmp_lt_u32_e64 s6, 31, v34
	s_delay_alu instid0(VALU_DEP_1) | instskip(NEXT) | instid1(VALU_DEP_1)
	v_cndmask_b32_e64 v36, 0, 0xffffffe0, s6
	v_dual_mov_b32 v1, v29 :: v_dual_add_nc_u32 v36, v36, v34
	s_delay_alu instid0(VALU_DEP_1) | instskip(NEXT) | instid1(VALU_DEP_2)
	v_mad_u64_u32 v[29:30], null, 0xdb629599, v35, v[1:2]
	v_cmp_lt_u32_e64 s7, 31, v36
	s_delay_alu instid0(VALU_DEP_2) | instskip(NEXT) | instid1(VALU_DEP_3)
	v_mov_b32_e32 v1, v30
	v_cndmask_b32_e32 v27, v29, v27, vcc_lo
	s_delay_alu instid0(VALU_DEP_2) | instskip(NEXT) | instid1(VALU_DEP_1)
	v_mad_u64_u32 v[30:31], null, 0xf534ddc0, v35, v[1:2]
	v_dual_mov_b32 v1, v31 :: v_dual_cndmask_b32 v28, v30, v28
	s_delay_alu instid0(VALU_DEP_1) | instskip(NEXT) | instid1(VALU_DEP_2)
	v_mad_u64_u32 v[31:32], null, 0xfc2757d1, v35, v[1:2]
	v_cndmask_b32_e64 v27, v28, v27, s6
	s_delay_alu instid0(VALU_DEP_2) | instskip(NEXT) | instid1(VALU_DEP_1)
	v_mov_b32_e32 v1, v32
	v_mad_u64_u32 v[32:33], null, 0x4e441529, v35, v[1:2]
	s_delay_alu instid0(VALU_DEP_1) | instskip(NEXT) | instid1(VALU_DEP_1)
	v_mov_b32_e32 v1, v33
	v_mad_u64_u32 v[33:34], null, 0xa2f9836e, v35, v[1:2]
	v_cndmask_b32_e64 v1, 0, 0xffffffe0, s7
	s_delay_alu instid0(VALU_DEP_4) | instskip(NEXT) | instid1(VALU_DEP_2)
	v_cndmask_b32_e32 v35, v32, v30, vcc_lo
	v_add_nc_u32_e32 v1, v1, v36
	s_delay_alu instid0(VALU_DEP_4) | instskip(SKIP_1) | instid1(VALU_DEP_3)
	v_dual_cndmask_b32 v33, v33, v31 :: v_dual_cndmask_b32 v32, v34, v32
	v_cndmask_b32_e32 v31, v31, v29, vcc_lo
	v_sub_nc_u32_e32 v34, 32, v1
	s_delay_alu instid0(VALU_DEP_3) | instskip(NEXT) | instid1(VALU_DEP_4)
	v_cndmask_b32_e64 v30, v33, v35, s6
	v_cndmask_b32_e64 v32, v32, v33, s6
	s_delay_alu instid0(VALU_DEP_4) | instskip(SKIP_2) | instid1(VALU_DEP_4)
	v_cndmask_b32_e64 v33, v35, v31, s6
	v_cndmask_b32_e64 v31, v31, v28, s6
	v_cmp_eq_u32_e64 s8, 0, v1
	v_cndmask_b32_e64 v32, v32, v30, s7
	s_delay_alu instid0(VALU_DEP_4) | instskip(NEXT) | instid1(VALU_DEP_4)
	v_cndmask_b32_e64 v30, v30, v33, s7
	v_cndmask_b32_e64 v33, v33, v31, s7
	;; [unrolled: 1-line block ×3, first 2 shown]
	s_delay_alu instid0(VALU_DEP_3) | instskip(NEXT) | instid1(VALU_DEP_3)
	v_alignbit_b32 v35, v32, v30, v34
	v_alignbit_b32 v36, v30, v33, v34
	s_delay_alu instid0(VALU_DEP_3) | instskip(NEXT) | instid1(VALU_DEP_3)
	v_alignbit_b32 v34, v33, v27, v34
	v_cndmask_b32_e64 v1, v35, v32, s8
	s_delay_alu instid0(VALU_DEP_3) | instskip(NEXT) | instid1(VALU_DEP_3)
	v_cndmask_b32_e64 v29, v36, v30, s8
	v_cndmask_b32_e64 v33, v34, v33, s8
	s_delay_alu instid0(VALU_DEP_3) | instskip(NEXT) | instid1(VALU_DEP_3)
	v_bfe_u32 v30, v1, 29, 1
	v_alignbit_b32 v28, v1, v29, 30
	s_delay_alu instid0(VALU_DEP_3) | instskip(SKIP_1) | instid1(VALU_DEP_4)
	v_alignbit_b32 v29, v29, v33, 30
	v_alignbit_b32 v27, v33, v27, 30
	v_sub_nc_u32_e32 v32, 0, v30
	s_delay_alu instid0(VALU_DEP_1) | instskip(SKIP_3) | instid1(VALU_DEP_4)
	v_xor_b32_e32 v31, v28, v32
	v_cmp_ne_u32_e32 vcc_lo, v28, v32
	v_xor_b32_e32 v29, v29, v32
	v_xor_b32_e32 v27, v27, v32
	v_clz_i32_u32_e32 v35, v31
	s_delay_alu instid0(VALU_DEP_1) | instskip(NEXT) | instid1(VALU_DEP_1)
	v_add_nc_u32_e32 v34, 1, v35
	v_cndmask_b32_e32 v28, 33, v34, vcc_lo
	s_delay_alu instid0(VALU_DEP_1) | instskip(NEXT) | instid1(VALU_DEP_1)
	v_sub_nc_u32_e32 v33, 32, v28
	v_alignbit_b32 v31, v31, v29, v33
	v_alignbit_b32 v27, v29, v27, v33
	v_lshrrev_b32_e32 v29, 29, v1
	s_delay_alu instid0(VALU_DEP_2) | instskip(NEXT) | instid1(VALU_DEP_2)
	v_alignbit_b32 v32, v31, v27, 9
	v_lshlrev_b32_e32 v29, 31, v29
	v_alignbit_b32 v31, v28, v31, 9
	s_delay_alu instid0(VALU_DEP_3) | instskip(NEXT) | instid1(VALU_DEP_2)
	v_clz_i32_u32_e32 v33, v32
	v_or_b32_e32 v31, v31, v29
	v_or_b32_e32 v29, 0x33800000, v29
	s_delay_alu instid0(VALU_DEP_3) | instskip(NEXT) | instid1(VALU_DEP_3)
	v_min_u32_e32 v33, 32, v33
	v_xor_b32_e32 v31, 1.0, v31
	s_delay_alu instid0(VALU_DEP_2) | instskip(SKIP_1) | instid1(VALU_DEP_3)
	v_sub_nc_u32_e32 v34, 31, v33
	v_add_lshl_u32 v28, v33, v28, 23
	v_mul_f32_e32 v33, 0x3fc90fda, v31
	s_delay_alu instid0(VALU_DEP_3) | instskip(NEXT) | instid1(VALU_DEP_3)
	v_alignbit_b32 v27, v32, v27, v34
	v_sub_nc_u32_e32 v28, v29, v28
	s_delay_alu instid0(VALU_DEP_3) | instskip(NEXT) | instid1(VALU_DEP_3)
	v_fma_f32 v29, 0x3fc90fda, v31, -v33
	v_lshrrev_b32_e32 v27, 9, v27
	s_delay_alu instid0(VALU_DEP_2) | instskip(NEXT) | instid1(VALU_DEP_2)
	v_fmac_f32_e32 v29, 0x33a22168, v31
	v_or_b32_e32 v27, v28, v27
	s_delay_alu instid0(VALU_DEP_1) | instskip(SKIP_1) | instid1(VALU_DEP_2)
	v_fmac_f32_e32 v29, 0x3fc90fda, v27
	v_lshrrev_b32_e32 v27, 30, v1
	v_add_f32_e32 v1, v33, v29
	s_delay_alu instid0(VALU_DEP_2)
	v_add_nc_u32_e32 v27, v30, v27
	s_and_not1_saveexec_b32 s6, s34
	s_cbranch_execnz .LBB255_189
	s_branch .LBB255_190
.LBB255_188:                            ;   in Loop: Header=BB255_4 Depth=1
	s_and_not1_saveexec_b32 s6, s34
.LBB255_189:                            ;   in Loop: Header=BB255_4 Depth=1
	v_mul_f32_e64 v1, 0x3f22f983, |v8|
	s_delay_alu instid0(VALU_DEP_1) | instskip(NEXT) | instid1(VALU_DEP_1)
	v_rndne_f32_e32 v27, v1
	v_fma_f32 v1, 0xbfc90fda, v27, |v8|
	s_delay_alu instid0(VALU_DEP_1) | instskip(NEXT) | instid1(VALU_DEP_1)
	v_fmac_f32_e32 v1, 0xb3a22168, v27
	v_fmac_f32_e32 v1, 0xa7c234c4, v27
	v_cvt_i32_f32_e32 v27, v27
.LBB255_190:                            ;   in Loop: Header=BB255_4 Depth=1
	s_or_b32 exec_lo, exec_lo, s6
	s_delay_alu instid0(VALU_DEP_2) | instskip(NEXT) | instid1(VALU_DEP_1)
	v_dual_sub_f32 v7, 0xc322e3bc, v7 :: v_dual_mul_f32 v32, v1, v1
	v_dual_mul_f32 v31, v25, v25 :: v_dual_mul_f32 v28, 0x3fb8aa3b, v7
	s_delay_alu instid0(VALU_DEP_1) | instskip(NEXT) | instid1(VALU_DEP_2)
	v_fmaak_f32 v33, s27, v31, 0xbab64f3b
	v_fma_f32 v29, 0x3fb8aa3b, v7, -v28
	v_rndne_f32_e32 v30, v28
	s_delay_alu instid0(VALU_DEP_1) | instskip(SKIP_1) | instid1(VALU_DEP_2)
	v_dual_sub_f32 v28, v28, v30 :: v_dual_fmac_f32 v29, 0x32a5705f, v7
	v_cmp_ngt_f32_e32 vcc_lo, 0xc2ce8ed0, v7
	v_add_f32_e32 v28, v28, v29
	v_cvt_i32_f32_e32 v29, v30
	v_lshlrev_b32_e32 v30, 30, v26
	v_and_b32_e32 v26, 1, v26
	s_delay_alu instid0(VALU_DEP_4)
	v_exp_f32_e32 v28, v28
	s_waitcnt_depctr 0xfff
	v_ldexp_f32 v28, v28, v29
	v_and_b32_e32 v29, 1, v27
	v_lshlrev_b32_e32 v27, 30, v27
	v_dual_fmaak_f32 v34, s26, v31, 0x3c0881c4 :: v_dual_fmaak_f32 v35, s26, v32, 0x3c0881c4
	s_delay_alu instid0(VALU_DEP_4) | instskip(SKIP_1) | instid1(VALU_DEP_4)
	v_cndmask_b32_e32 v28, 0, v28, vcc_lo
	v_cmp_nlt_f32_e32 vcc_lo, 0x42b17218, v7
	v_and_or_b32 v24, 0x80000000, v27, v24
	v_fmaak_f32 v27, v31, v33, 0x3d2aabf7
	v_fmaak_f32 v33, v31, v34, 0xbe2aaa9d
	v_and_b32_e32 v30, 0x80000000, v30
	v_cndmask_b32_e32 v7, 0x7f800000, v28, vcc_lo
	v_fmaak_f32 v35, v32, v35, 0xbe2aaa9d
	s_delay_alu instid0(VALU_DEP_4) | instskip(SKIP_1) | instid1(VALU_DEP_4)
	v_dual_fmaak_f32 v28, s27, v32, 0xbab64f3b :: v_dual_mul_f32 v33, v31, v33
	v_cmp_eq_u32_e32 vcc_lo, 0, v26
	v_lshrrev_b32_e32 v34, 23, v7
	s_delay_alu instid0(VALU_DEP_4) | instskip(NEXT) | instid1(VALU_DEP_4)
	v_mul_f32_e32 v35, v32, v35
	v_dual_fmaak_f32 v28, v32, v28, 0x3d2aabf7 :: v_dual_fmac_f32 v25, v25, v33
	v_fmaak_f32 v27, v31, v27, 0xbf000004
	s_delay_alu instid0(VALU_DEP_4) | instskip(SKIP_1) | instid1(VALU_DEP_4)
	v_subrev_nc_u32_e32 v34, 19, v34
	v_and_or_b32 v7, 0x7fffff, v7, s28
	v_fmaak_f32 v28, v32, v28, 0xbf000004
	s_delay_alu instid0(VALU_DEP_4) | instskip(NEXT) | instid1(VALU_DEP_4)
	v_fma_f32 v27, v31, v27, 1.0
	v_lshrrev_b16 v31, 15, v34
	s_delay_alu instid0(VALU_DEP_3) | instskip(NEXT) | instid1(VALU_DEP_3)
	v_fma_f32 v28, v32, v28, 1.0
	v_cndmask_b32_e64 v25, -v25, v27, vcc_lo
	v_cmp_eq_u32_e32 vcc_lo, 0, v29
	s_delay_alu instid0(VALU_DEP_4) | instskip(NEXT) | instid1(VALU_DEP_3)
	v_add_nc_u16 v26, v34, v31
	v_xor_b32_e32 v25, v30, v25
	v_fmac_f32_e32 v1, v1, v35
	s_delay_alu instid0(VALU_DEP_3) | instskip(NEXT) | instid1(VALU_DEP_2)
	v_ashrrev_i16 v26, 1, v26
	v_cndmask_b32_e32 v1, v28, v1, vcc_lo
	v_cmp_class_f32_e64 vcc_lo, v8, 0x1f8
	s_delay_alu instid0(VALU_DEP_2) | instskip(SKIP_2) | instid1(VALU_DEP_2)
	v_xor3_b32 v1, v24, v1, v23
	v_cndmask_b32_e32 v8, 0x7fc00000, v25, vcc_lo
	v_bfe_i32 v23, v26, 0, 16
	v_dual_cndmask_b32 v1, 0x7fc00000, v1 :: v_dual_mul_f32 v8, v8, v7
	s_delay_alu instid0(VALU_DEP_2) | instskip(SKIP_1) | instid1(VALU_DEP_3)
	v_lshl_add_u32 v24, v23, 23, 1.0
	v_sub_nc_u32_e32 v23, v34, v23
	v_mul_f32_e32 v1, v1, v7
	s_delay_alu instid0(VALU_DEP_3) | instskip(NEXT) | instid1(VALU_DEP_3)
	v_mul_f32_e32 v7, v8, v24
	v_lshl_add_u32 v8, v23, 23, 1.0
	s_delay_alu instid0(VALU_DEP_3) | instskip(NEXT) | instid1(VALU_DEP_2)
	v_mul_f32_e32 v23, v1, v24
	v_mul_f32_e32 v1, v7, v8
	s_delay_alu instid0(VALU_DEP_2)
	v_mul_f32_e32 v23, v23, v8
.LBB255_191:                            ;   in Loop: Header=BB255_4 Depth=1
	s_or_b32 exec_lo, exec_lo, s33
                                        ; implicit-def: $vgpr25
                                        ; implicit-def: $vgpr7
                                        ; implicit-def: $vgpr26
.LBB255_192:                            ;   in Loop: Header=BB255_4 Depth=1
	s_and_not1_saveexec_b32 s6, s31
	s_cbranch_execz .LBB255_198
; %bb.193:                              ;   in Loop: Header=BB255_4 Depth=1
	v_sub_f32_e32 v23, v8, v8
	s_mov_b32 s7, exec_lo
	v_cmpx_ne_u32_e32 0x7f800000, v26
	s_xor_b32 s7, exec_lo, s7
; %bb.194:                              ;   in Loop: Header=BB255_4 Depth=1
                                        ; implicit-def: $vgpr25
                                        ; implicit-def: $vgpr7
; %bb.195:                              ;   in Loop: Header=BB255_4 Depth=1
	s_delay_alu instid0(SALU_CYCLE_1)
	s_or_saveexec_b32 s7, s7
	v_mov_b32_e32 v1, v23
	s_xor_b32 exec_lo, exec_lo, s7
; %bb.196:                              ;   in Loop: Header=BB255_4 Depth=1
	v_cmp_lt_i32_e32 vcc_lo, -1, v25
	v_cndmask_b32_e64 v1, 0, -v7, vcc_lo
	v_cndmask_b32_e32 v23, 0, v23, vcc_lo
; %bb.197:                              ;   in Loop: Header=BB255_4 Depth=1
	s_or_b32 exec_lo, exec_lo, s7
.LBB255_198:                            ;   in Loop: Header=BB255_4 Depth=1
	s_delay_alu instid0(SALU_CYCLE_1)
	s_or_b32 exec_lo, exec_lo, s6
                                        ; implicit-def: $vgpr8
                                        ; implicit-def: $vgpr24
.LBB255_199:                            ;   in Loop: Header=BB255_4 Depth=1
	s_and_not1_saveexec_b32 s30, s30
	s_cbranch_execz .LBB255_209
; %bb.200:                              ;   in Loop: Header=BB255_4 Depth=1
	v_lshrrev_b32_e32 v1, 23, v24
	v_cmp_ngt_f32_e64 s31, 0x48000000, |v8|
	v_and_or_b32 v26, v24, s25, 0x800000
                                        ; implicit-def: $vgpr25
                                        ; implicit-def: $vgpr7
	s_delay_alu instid0(VALU_DEP_3) | instskip(NEXT) | instid1(VALU_DEP_3)
	v_add_nc_u32_e32 v27, 0xffffff88, v1
	s_and_saveexec_b32 s6, s31
	s_delay_alu instid0(SALU_CYCLE_1)
	s_xor_b32 s33, exec_lo, s6
	s_cbranch_execz .LBB255_202
; %bb.201:                              ;   in Loop: Header=BB255_4 Depth=1
	v_mad_u64_u32 v[28:29], null, 0xfe5163ab, v26, 0
	v_cmp_lt_u32_e32 vcc_lo, 63, v27
	v_cndmask_b32_e64 v7, 0, 0xffffffc0, vcc_lo
	s_delay_alu instid0(VALU_DEP_3) | instskip(NEXT) | instid1(VALU_DEP_2)
	v_mov_b32_e32 v1, v29
	v_add_nc_u32_e32 v7, v7, v27
	s_delay_alu instid0(VALU_DEP_2) | instskip(NEXT) | instid1(VALU_DEP_2)
	v_mad_u64_u32 v[29:30], null, 0x3c439041, v26, v[1:2]
	v_cmp_lt_u32_e64 s6, 31, v7
	s_delay_alu instid0(VALU_DEP_2) | instskip(NEXT) | instid1(VALU_DEP_2)
	v_mov_b32_e32 v1, v30
	v_cndmask_b32_e64 v25, 0, 0xffffffe0, s6
	s_delay_alu instid0(VALU_DEP_2) | instskip(NEXT) | instid1(VALU_DEP_2)
	v_mad_u64_u32 v[30:31], null, 0xdb629599, v26, v[1:2]
	v_add_nc_u32_e32 v7, v25, v7
	s_delay_alu instid0(VALU_DEP_1) | instskip(NEXT) | instid1(VALU_DEP_3)
	v_cmp_lt_u32_e64 s7, 31, v7
	v_dual_mov_b32 v1, v31 :: v_dual_cndmask_b32 v28, v30, v28
	s_delay_alu instid0(VALU_DEP_1) | instskip(NEXT) | instid1(VALU_DEP_1)
	v_mad_u64_u32 v[31:32], null, 0xf534ddc0, v26, v[1:2]
	v_mov_b32_e32 v1, v32
	s_delay_alu instid0(VALU_DEP_1) | instskip(NEXT) | instid1(VALU_DEP_1)
	v_mad_u64_u32 v[32:33], null, 0xfc2757d1, v26, v[1:2]
	v_mov_b32_e32 v1, v33
	;; [unrolled: 3-line block ×3, first 2 shown]
	s_delay_alu instid0(VALU_DEP_2) | instskip(NEXT) | instid1(VALU_DEP_2)
	v_cndmask_b32_e32 v25, v33, v31, vcc_lo
	v_mad_u64_u32 v[34:35], null, 0xa2f9836e, v26, v[1:2]
	v_cndmask_b32_e64 v1, 0, 0xffffffe0, s7
	s_delay_alu instid0(VALU_DEP_1) | instskip(NEXT) | instid1(VALU_DEP_3)
	v_dual_cndmask_b32 v34, v34, v32 :: v_dual_add_nc_u32 v1, v1, v7
	v_dual_cndmask_b32 v33, v35, v33 :: v_dual_cndmask_b32 v32, v32, v30
	v_cndmask_b32_e32 v7, v31, v29, vcc_lo
	s_delay_alu instid0(VALU_DEP_3) | instskip(NEXT) | instid1(VALU_DEP_4)
	v_cmp_eq_u32_e64 s8, 0, v1
	v_cndmask_b32_e64 v29, v34, v25, s6
	s_delay_alu instid0(VALU_DEP_4)
	v_cndmask_b32_e64 v31, v33, v34, s6
	v_cndmask_b32_e64 v25, v25, v32, s6
	v_sub_nc_u32_e32 v33, 32, v1
	v_cndmask_b32_e64 v32, v32, v7, s6
	v_cndmask_b32_e64 v7, v7, v28, s6
	;; [unrolled: 1-line block ×4, first 2 shown]
	s_delay_alu instid0(VALU_DEP_4) | instskip(NEXT) | instid1(VALU_DEP_4)
	v_cndmask_b32_e64 v25, v25, v32, s7
	v_cndmask_b32_e64 v7, v32, v7, s7
	s_delay_alu instid0(VALU_DEP_3) | instskip(NEXT) | instid1(VALU_DEP_3)
	v_alignbit_b32 v34, v31, v29, v33
	v_alignbit_b32 v35, v29, v25, v33
	s_delay_alu instid0(VALU_DEP_3) | instskip(NEXT) | instid1(VALU_DEP_3)
	v_alignbit_b32 v33, v25, v7, v33
	v_cndmask_b32_e64 v1, v34, v31, s8
	s_delay_alu instid0(VALU_DEP_3) | instskip(NEXT) | instid1(VALU_DEP_3)
	v_cndmask_b32_e64 v29, v35, v29, s8
	v_cndmask_b32_e64 v25, v33, v25, s8
	s_delay_alu instid0(VALU_DEP_3) | instskip(NEXT) | instid1(VALU_DEP_3)
	v_bfe_u32 v30, v1, 29, 1
	v_alignbit_b32 v28, v1, v29, 30
	s_delay_alu instid0(VALU_DEP_3) | instskip(SKIP_1) | instid1(VALU_DEP_4)
	v_alignbit_b32 v29, v29, v25, 30
	v_alignbit_b32 v7, v25, v7, 30
	v_sub_nc_u32_e32 v31, 0, v30
	s_delay_alu instid0(VALU_DEP_1) | instskip(SKIP_3) | instid1(VALU_DEP_4)
	v_xor_b32_e32 v32, v28, v31
	v_cmp_ne_u32_e32 vcc_lo, v28, v31
	v_xor_b32_e32 v25, v29, v31
	v_xor_b32_e32 v7, v7, v31
	v_clz_i32_u32_e32 v34, v32
	s_delay_alu instid0(VALU_DEP_1) | instskip(NEXT) | instid1(VALU_DEP_1)
	v_add_nc_u32_e32 v33, 1, v34
	v_cndmask_b32_e32 v28, 33, v33, vcc_lo
	s_delay_alu instid0(VALU_DEP_1) | instskip(NEXT) | instid1(VALU_DEP_1)
	v_sub_nc_u32_e32 v29, 32, v28
	v_alignbit_b32 v31, v32, v25, v29
	v_alignbit_b32 v7, v25, v7, v29
	v_lshrrev_b32_e32 v25, 29, v1
	v_lshrrev_b32_e32 v1, 30, v1
	s_delay_alu instid0(VALU_DEP_3) | instskip(NEXT) | instid1(VALU_DEP_3)
	v_alignbit_b32 v29, v31, v7, 9
	v_lshlrev_b32_e32 v25, 31, v25
	v_alignbit_b32 v31, v28, v31, 9
	s_delay_alu instid0(VALU_DEP_3) | instskip(NEXT) | instid1(VALU_DEP_2)
	v_clz_i32_u32_e32 v32, v29
	v_or_b32_e32 v31, v31, v25
	v_or_b32_e32 v25, 0x33800000, v25
	s_delay_alu instid0(VALU_DEP_3) | instskip(NEXT) | instid1(VALU_DEP_3)
	v_min_u32_e32 v32, 32, v32
	v_xor_b32_e32 v31, 1.0, v31
	s_delay_alu instid0(VALU_DEP_2) | instskip(SKIP_1) | instid1(VALU_DEP_3)
	v_sub_nc_u32_e32 v33, 31, v32
	v_add_lshl_u32 v28, v32, v28, 23
	v_mul_f32_e32 v32, 0x3fc90fda, v31
	s_delay_alu instid0(VALU_DEP_3) | instskip(NEXT) | instid1(VALU_DEP_3)
	v_alignbit_b32 v7, v29, v7, v33
	v_sub_nc_u32_e32 v25, v25, v28
	s_delay_alu instid0(VALU_DEP_3) | instskip(NEXT) | instid1(VALU_DEP_3)
	v_fma_f32 v28, 0x3fc90fda, v31, -v32
	v_lshrrev_b32_e32 v7, 9, v7
	s_delay_alu instid0(VALU_DEP_2) | instskip(NEXT) | instid1(VALU_DEP_2)
	v_fmac_f32_e32 v28, 0x33a22168, v31
	v_or_b32_e32 v7, v25, v7
	s_delay_alu instid0(VALU_DEP_1) | instskip(NEXT) | instid1(VALU_DEP_1)
	v_dual_fmac_f32 v28, 0x3fc90fda, v7 :: v_dual_add_nc_u32 v25, v30, v1
	v_add_f32_e32 v7, v32, v28
.LBB255_202:                            ;   in Loop: Header=BB255_4 Depth=1
	s_or_saveexec_b32 s6, s33
	v_mul_f32_e64 v1, 0x3f22f983, |v8|
	s_delay_alu instid0(VALU_DEP_1)
	v_rndne_f32_e32 v29, v1
	s_xor_b32 exec_lo, exec_lo, s6
; %bb.203:                              ;   in Loop: Header=BB255_4 Depth=1
	s_delay_alu instid0(VALU_DEP_1) | instskip(SKIP_1) | instid1(VALU_DEP_2)
	v_fma_f32 v7, 0xbfc90fda, v29, |v8|
	v_cvt_i32_f32_e32 v25, v29
	v_fmac_f32_e32 v7, 0xb3a22168, v29
	s_delay_alu instid0(VALU_DEP_1)
	v_fmac_f32_e32 v7, 0xa7c234c4, v29
; %bb.204:                              ;   in Loop: Header=BB255_4 Depth=1
	s_or_b32 exec_lo, exec_lo, s6
                                        ; implicit-def: $vgpr28
                                        ; implicit-def: $vgpr1
	s_and_saveexec_b32 s6, s31
	s_delay_alu instid0(SALU_CYCLE_1)
	s_xor_b32 s31, exec_lo, s6
	s_cbranch_execz .LBB255_206
; %bb.205:                              ;   in Loop: Header=BB255_4 Depth=1
	v_mad_u64_u32 v[28:29], null, 0xfe5163ab, v26, 0
	v_cmp_lt_u32_e32 vcc_lo, 63, v27
	v_cndmask_b32_e64 v34, 0, 0xffffffc0, vcc_lo
	s_delay_alu instid0(VALU_DEP_3) | instskip(NEXT) | instid1(VALU_DEP_2)
	v_mov_b32_e32 v1, v29
	v_add_nc_u32_e32 v27, v34, v27
	s_delay_alu instid0(VALU_DEP_2) | instskip(NEXT) | instid1(VALU_DEP_2)
	v_mad_u64_u32 v[29:30], null, 0x3c439041, v26, v[1:2]
	v_cmp_lt_u32_e64 s6, 31, v27
	s_delay_alu instid0(VALU_DEP_2) | instskip(NEXT) | instid1(VALU_DEP_2)
	v_mov_b32_e32 v1, v30
	v_cndmask_b32_e64 v35, 0, 0xffffffe0, s6
	s_delay_alu instid0(VALU_DEP_2) | instskip(NEXT) | instid1(VALU_DEP_2)
	v_mad_u64_u32 v[30:31], null, 0xdb629599, v26, v[1:2]
	v_add_nc_u32_e32 v27, v35, v27
	s_delay_alu instid0(VALU_DEP_1) | instskip(NEXT) | instid1(VALU_DEP_3)
	v_cmp_lt_u32_e64 s7, 31, v27
	v_dual_mov_b32 v1, v31 :: v_dual_cndmask_b32 v28, v30, v28
	s_delay_alu instid0(VALU_DEP_1) | instskip(NEXT) | instid1(VALU_DEP_1)
	v_mad_u64_u32 v[31:32], null, 0xf534ddc0, v26, v[1:2]
	v_mov_b32_e32 v1, v32
	s_delay_alu instid0(VALU_DEP_1) | instskip(NEXT) | instid1(VALU_DEP_1)
	v_mad_u64_u32 v[32:33], null, 0xfc2757d1, v26, v[1:2]
	v_mov_b32_e32 v1, v33
	;; [unrolled: 3-line block ×3, first 2 shown]
	s_delay_alu instid0(VALU_DEP_1) | instskip(SKIP_1) | instid1(VALU_DEP_4)
	v_mad_u64_u32 v[34:35], null, 0xa2f9836e, v26, v[1:2]
	v_cndmask_b32_e64 v1, 0, 0xffffffe0, s7
	v_cndmask_b32_e32 v26, v33, v31, vcc_lo
	s_delay_alu instid0(VALU_DEP_2) | instskip(NEXT) | instid1(VALU_DEP_4)
	v_dual_cndmask_b32 v34, v34, v32 :: v_dual_add_nc_u32 v1, v1, v27
	v_dual_cndmask_b32 v33, v35, v33 :: v_dual_cndmask_b32 v32, v32, v30
	v_cndmask_b32_e32 v27, v31, v29, vcc_lo
	s_delay_alu instid0(VALU_DEP_3) | instskip(NEXT) | instid1(VALU_DEP_4)
	v_cmp_eq_u32_e64 s8, 0, v1
	v_cndmask_b32_e64 v29, v34, v26, s6
	s_delay_alu instid0(VALU_DEP_4)
	v_cndmask_b32_e64 v31, v33, v34, s6
	v_cndmask_b32_e64 v26, v26, v32, s6
	v_sub_nc_u32_e32 v33, 32, v1
	v_cndmask_b32_e64 v32, v32, v27, s6
	v_cndmask_b32_e64 v27, v27, v28, s6
	;; [unrolled: 1-line block ×4, first 2 shown]
	s_delay_alu instid0(VALU_DEP_4) | instskip(NEXT) | instid1(VALU_DEP_4)
	v_cndmask_b32_e64 v26, v26, v32, s7
	v_cndmask_b32_e64 v27, v32, v27, s7
	s_delay_alu instid0(VALU_DEP_3) | instskip(NEXT) | instid1(VALU_DEP_3)
	v_alignbit_b32 v34, v31, v29, v33
	v_alignbit_b32 v35, v29, v26, v33
	s_delay_alu instid0(VALU_DEP_3) | instskip(NEXT) | instid1(VALU_DEP_3)
	v_alignbit_b32 v33, v26, v27, v33
	v_cndmask_b32_e64 v1, v34, v31, s8
	s_delay_alu instid0(VALU_DEP_3) | instskip(NEXT) | instid1(VALU_DEP_3)
	v_cndmask_b32_e64 v29, v35, v29, s8
	v_cndmask_b32_e64 v26, v33, v26, s8
	s_delay_alu instid0(VALU_DEP_3) | instskip(NEXT) | instid1(VALU_DEP_3)
	v_bfe_u32 v30, v1, 29, 1
	v_alignbit_b32 v28, v1, v29, 30
	s_delay_alu instid0(VALU_DEP_3) | instskip(SKIP_1) | instid1(VALU_DEP_4)
	v_alignbit_b32 v29, v29, v26, 30
	v_alignbit_b32 v26, v26, v27, 30
	v_sub_nc_u32_e32 v31, 0, v30
	s_delay_alu instid0(VALU_DEP_1) | instskip(SKIP_3) | instid1(VALU_DEP_4)
	v_xor_b32_e32 v32, v28, v31
	v_cmp_ne_u32_e32 vcc_lo, v28, v31
	v_xor_b32_e32 v27, v29, v31
	v_xor_b32_e32 v26, v26, v31
	v_clz_i32_u32_e32 v34, v32
	s_delay_alu instid0(VALU_DEP_1) | instskip(NEXT) | instid1(VALU_DEP_1)
	v_add_nc_u32_e32 v33, 1, v34
	v_cndmask_b32_e32 v28, 33, v33, vcc_lo
	s_delay_alu instid0(VALU_DEP_1) | instskip(NEXT) | instid1(VALU_DEP_1)
	v_sub_nc_u32_e32 v29, 32, v28
	v_alignbit_b32 v31, v32, v27, v29
	v_alignbit_b32 v26, v27, v26, v29
	v_lshrrev_b32_e32 v27, 29, v1
	s_delay_alu instid0(VALU_DEP_2) | instskip(NEXT) | instid1(VALU_DEP_2)
	v_alignbit_b32 v29, v31, v26, 9
	v_lshlrev_b32_e32 v27, 31, v27
	v_alignbit_b32 v31, v28, v31, 9
	s_delay_alu instid0(VALU_DEP_3) | instskip(NEXT) | instid1(VALU_DEP_2)
	v_clz_i32_u32_e32 v32, v29
	v_or_b32_e32 v31, v31, v27
	v_or_b32_e32 v27, 0x33800000, v27
	s_delay_alu instid0(VALU_DEP_3) | instskip(NEXT) | instid1(VALU_DEP_3)
	v_min_u32_e32 v32, 32, v32
	v_xor_b32_e32 v31, 1.0, v31
	s_delay_alu instid0(VALU_DEP_2) | instskip(SKIP_1) | instid1(VALU_DEP_3)
	v_sub_nc_u32_e32 v33, 31, v32
	v_add_lshl_u32 v28, v32, v28, 23
	v_mul_f32_e32 v32, 0x3fc90fda, v31
	s_delay_alu instid0(VALU_DEP_3) | instskip(NEXT) | instid1(VALU_DEP_3)
	v_alignbit_b32 v26, v29, v26, v33
	v_sub_nc_u32_e32 v27, v27, v28
	s_delay_alu instid0(VALU_DEP_3) | instskip(NEXT) | instid1(VALU_DEP_3)
	v_fma_f32 v28, 0x3fc90fda, v31, -v32
                                        ; implicit-def: $vgpr29
	v_lshrrev_b32_e32 v26, 9, v26
	s_delay_alu instid0(VALU_DEP_2) | instskip(NEXT) | instid1(VALU_DEP_2)
	v_fmac_f32_e32 v28, 0x33a22168, v31
	v_or_b32_e32 v26, v27, v26
	s_delay_alu instid0(VALU_DEP_1) | instskip(SKIP_1) | instid1(VALU_DEP_1)
	v_fmac_f32_e32 v28, 0x3fc90fda, v26
	v_lshrrev_b32_e32 v26, 30, v1
	v_dual_add_f32 v1, v32, v28 :: v_dual_add_nc_u32 v28, v30, v26
	s_and_not1_saveexec_b32 s6, s31
	s_cbranch_execnz .LBB255_207
	s_branch .LBB255_208
.LBB255_206:                            ;   in Loop: Header=BB255_4 Depth=1
	s_and_not1_saveexec_b32 s6, s31
.LBB255_207:                            ;   in Loop: Header=BB255_4 Depth=1
	v_fma_f32 v1, 0xbfc90fda, v29, |v8|
	v_cvt_i32_f32_e32 v28, v29
	s_delay_alu instid0(VALU_DEP_2) | instskip(NEXT) | instid1(VALU_DEP_1)
	v_fmac_f32_e32 v1, 0xb3a22168, v29
	v_fmac_f32_e32 v1, 0xa7c234c4, v29
.LBB255_208:                            ;   in Loop: Header=BB255_4 Depth=1
	s_or_b32 exec_lo, exec_lo, s6
	s_delay_alu instid0(VALU_DEP_1) | instskip(SKIP_3) | instid1(VALU_DEP_4)
	v_dual_mul_f32 v26, v7, v7 :: v_dual_mul_f32 v27, v1, v1
	v_and_b32_e32 v29, 1, v25
	v_lshlrev_b32_e32 v25, 30, v25
	v_and_b32_e32 v34, 1, v28
	v_fmaak_f32 v30, s26, v26, 0x3c0881c4
	v_fmaak_f32 v32, s26, v27, 0x3c0881c4
	;; [unrolled: 1-line block ×3, first 2 shown]
	v_dual_fmaak_f32 v33, s27, v27, 0xbab64f3b :: v_dual_lshlrev_b32 v28, 30, v28
	v_cmp_eq_u32_e32 vcc_lo, 0, v29
	s_delay_alu instid0(VALU_DEP_4) | instskip(NEXT) | instid1(VALU_DEP_4)
	v_fmaak_f32 v32, v27, v32, 0xbe2aaa9d
	v_fmaak_f32 v31, v26, v31, 0x3d2aabf7
	v_and_b32_e32 v25, 0x80000000, v25
	v_and_or_b32 v24, 0x80000000, v28, v24
	s_delay_alu instid0(VALU_DEP_4) | instskip(SKIP_2) | instid1(VALU_DEP_3)
	v_mul_f32_e32 v32, v27, v32
	v_fmaak_f32 v30, v26, v30, 0xbe2aaa9d
	v_fmaak_f32 v31, v26, v31, 0xbf000004
	v_fmac_f32_e32 v1, v1, v32
	s_delay_alu instid0(VALU_DEP_3) | instskip(NEXT) | instid1(VALU_DEP_3)
	v_dual_fmaak_f32 v33, v27, v33, 0x3d2aabf7 :: v_dual_mul_f32 v30, v26, v30
	v_fma_f32 v26, v26, v31, 1.0
	s_delay_alu instid0(VALU_DEP_2) | instskip(NEXT) | instid1(VALU_DEP_3)
	v_fmaak_f32 v33, v27, v33, 0xbf000004
	v_fmac_f32_e32 v7, v7, v30
	s_delay_alu instid0(VALU_DEP_2) | instskip(NEXT) | instid1(VALU_DEP_2)
	v_fma_f32 v27, v27, v33, 1.0
	v_cndmask_b32_e64 v7, -v7, v26, vcc_lo
	v_cmp_eq_u32_e32 vcc_lo, 0, v34
	s_delay_alu instid0(VALU_DEP_2) | instskip(NEXT) | instid1(VALU_DEP_4)
	v_xor_b32_e32 v7, v25, v7
	v_cndmask_b32_e32 v1, v27, v1, vcc_lo
	v_cmp_class_f32_e64 vcc_lo, v8, 0x1f8
	s_delay_alu instid0(VALU_DEP_2) | instskip(NEXT) | instid1(VALU_DEP_4)
	v_xor3_b32 v23, v24, v1, v23
	v_cndmask_b32_e32 v1, 0x7fc00000, v7, vcc_lo
	s_delay_alu instid0(VALU_DEP_2)
	v_cndmask_b32_e32 v23, 0x7fc00000, v23, vcc_lo
.LBB255_209:                            ;   in Loop: Header=BB255_4 Depth=1
	s_or_b32 exec_lo, exec_lo, s30
                                        ; implicit-def: $vgpr7
.LBB255_210:                            ;   in Loop: Header=BB255_4 Depth=1
	s_and_not1_saveexec_b32 s6, s29
	s_cbranch_execz .LBB255_212
; %bb.211:                              ;   in Loop: Header=BB255_4 Depth=1
	v_mul_f32_e32 v1, 0xbfb8aa3b, v7
	v_cmp_nlt_f32_e32 vcc_lo, 0x42ce8ed0, v7
	s_delay_alu instid0(VALU_DEP_2) | instskip(SKIP_1) | instid1(VALU_DEP_1)
	v_rndne_f32_e32 v8, v1
	v_fma_f32 v24, 0xbfb8aa3b, v7, -v1
	v_dual_sub_f32 v1, v1, v8 :: v_dual_fmac_f32 v24, 0xb2a5705f, v7
	v_cvt_i32_f32_e32 v8, v8
	s_delay_alu instid0(VALU_DEP_2) | instskip(NEXT) | instid1(VALU_DEP_1)
	v_add_f32_e32 v1, v1, v24
	v_exp_f32_e32 v1, v1
	s_waitcnt_depctr 0xfff
	v_ldexp_f32 v1, v1, v8
	s_delay_alu instid0(VALU_DEP_1) | instskip(SKIP_1) | instid1(VALU_DEP_2)
	v_cndmask_b32_e32 v1, 0, v1, vcc_lo
	v_cmp_ngt_f32_e32 vcc_lo, 0xc2b17218, v7
	v_cndmask_b32_e32 v1, 0x7f800000, v1, vcc_lo
.LBB255_212:                            ;   in Loop: Header=BB255_4 Depth=1
	s_or_b32 exec_lo, exec_lo, s6
	s_delay_alu instid0(VALU_DEP_1) | instskip(SKIP_1) | instid1(VALU_DEP_1)
	v_dual_add_f32 v24, s10, v1 :: v_dual_add_f32 v1, s11, v23
                                        ; implicit-def: $vgpr8
	s_mov_b32 s6, exec_lo
	v_cmp_gt_f32_e32 vcc_lo, 0, v24
	v_cndmask_b32_e64 v23, v24, -v24, vcc_lo
	s_delay_alu instid0(VALU_DEP_3) | instskip(SKIP_1) | instid1(VALU_DEP_1)
	v_cmp_gt_f32_e32 vcc_lo, 0, v1
	v_cndmask_b32_e64 v25, v1, -v1, vcc_lo
	v_cmpx_ge_f32_e32 v23, v25
	s_xor_b32 s7, exec_lo, s6
	s_cbranch_execz .LBB255_222
; %bb.213:                              ;   in Loop: Header=BB255_4 Depth=1
	v_cmp_neq_f32_e32 vcc_lo, 0, v24
	v_cmp_neq_f32_e64 s6, 0, v1
                                        ; implicit-def: $vgpr8
	s_delay_alu instid0(VALU_DEP_1) | instskip(NEXT) | instid1(SALU_CYCLE_1)
	s_or_b32 s6, vcc_lo, s6
	s_and_saveexec_b32 s8, s6
	s_delay_alu instid0(SALU_CYCLE_1)
	s_xor_b32 s6, exec_lo, s8
	s_cbranch_execz .LBB255_215
; %bb.214:                              ;   in Loop: Header=BB255_4 Depth=1
	v_div_scale_f32 v7, null, v24, v24, v1
	v_div_scale_f32 v25, vcc_lo, v1, v24, v1
	s_delay_alu instid0(VALU_DEP_2) | instskip(SKIP_2) | instid1(VALU_DEP_1)
	v_rcp_f32_e32 v8, v7
	s_waitcnt_depctr 0xfff
	v_fma_f32 v23, -v7, v8, 1.0
	v_fmac_f32_e32 v8, v23, v8
	s_delay_alu instid0(VALU_DEP_1) | instskip(NEXT) | instid1(VALU_DEP_1)
	v_mul_f32_e32 v23, v25, v8
	v_fma_f32 v26, -v7, v23, v25
	s_delay_alu instid0(VALU_DEP_1) | instskip(NEXT) | instid1(VALU_DEP_1)
	v_fmac_f32_e32 v23, v26, v8
	v_fma_f32 v7, -v7, v23, v25
	s_delay_alu instid0(VALU_DEP_1) | instskip(NEXT) | instid1(VALU_DEP_1)
	v_div_fmas_f32 v7, v7, v8, v23
	v_div_fixup_f32 v7, v7, v24, v1
	s_delay_alu instid0(VALU_DEP_1) | instskip(NEXT) | instid1(VALU_DEP_1)
	v_fmac_f32_e32 v24, v1, v7
	v_div_scale_f32 v1, null, v24, v24, 1.0
	v_div_scale_f32 v25, vcc_lo, 1.0, v24, 1.0
	s_delay_alu instid0(VALU_DEP_2) | instskip(SKIP_2) | instid1(VALU_DEP_1)
	v_rcp_f32_e32 v8, v1
	s_waitcnt_depctr 0xfff
	v_fma_f32 v23, -v1, v8, 1.0
	v_fmac_f32_e32 v8, v23, v8
	s_delay_alu instid0(VALU_DEP_1) | instskip(NEXT) | instid1(VALU_DEP_1)
	v_mul_f32_e32 v23, v25, v8
	v_fma_f32 v26, -v1, v23, v25
	s_delay_alu instid0(VALU_DEP_1) | instskip(NEXT) | instid1(VALU_DEP_1)
	v_fmac_f32_e32 v23, v26, v8
	v_fma_f32 v1, -v1, v23, v25
                                        ; implicit-def: $vgpr25
	s_delay_alu instid0(VALU_DEP_1) | instskip(SKIP_2) | instid1(VALU_DEP_3)
	v_div_fmas_f32 v1, v1, v8, v23
	v_fma_f32 v8, v7, s11, s10
	v_fma_f32 v23, -v7, s10, s11
	v_div_fixup_f32 v1, v1, v24, 1.0
	s_delay_alu instid0(VALU_DEP_1) | instskip(NEXT) | instid1(VALU_DEP_3)
	v_mul_f32_e32 v7, v8, v1
	v_mul_f32_e32 v8, v23, v1
                                        ; implicit-def: $vgpr23
.LBB255_215:                            ;   in Loop: Header=BB255_4 Depth=1
	s_and_not1_saveexec_b32 s8, s6
	s_cbranch_execz .LBB255_217
; %bb.216:                              ;   in Loop: Header=BB255_4 Depth=1
	v_div_scale_f32 v1, null, v23, v23, s10
	v_div_scale_f32 v7, null, v25, v25, s11
	v_div_scale_f32 v28, vcc_lo, s10, v23, s10
	s_delay_alu instid0(VALU_DEP_3) | instskip(NEXT) | instid1(VALU_DEP_2)
	v_rcp_f32_e32 v8, v1
	v_rcp_f32_e32 v24, v7
	s_waitcnt_depctr 0xfff
	v_fma_f32 v26, -v1, v8, 1.0
	v_fma_f32 v27, -v7, v24, 1.0
	s_delay_alu instid0(VALU_DEP_2) | instskip(SKIP_1) | instid1(VALU_DEP_3)
	v_fmac_f32_e32 v8, v26, v8
	v_div_scale_f32 v26, s6, s11, v25, s11
	v_fmac_f32_e32 v24, v27, v24
	s_delay_alu instid0(VALU_DEP_3) | instskip(NEXT) | instid1(VALU_DEP_2)
	v_mul_f32_e32 v27, v28, v8
	v_mul_f32_e32 v29, v26, v24
	s_delay_alu instid0(VALU_DEP_2) | instskip(NEXT) | instid1(VALU_DEP_2)
	v_fma_f32 v30, -v1, v27, v28
	v_fma_f32 v31, -v7, v29, v26
	s_delay_alu instid0(VALU_DEP_2) | instskip(NEXT) | instid1(VALU_DEP_2)
	v_fmac_f32_e32 v27, v30, v8
	v_fmac_f32_e32 v29, v31, v24
	s_delay_alu instid0(VALU_DEP_2) | instskip(NEXT) | instid1(VALU_DEP_2)
	v_fma_f32 v1, -v1, v27, v28
	v_fma_f32 v7, -v7, v29, v26
	s_delay_alu instid0(VALU_DEP_2) | instskip(SKIP_1) | instid1(VALU_DEP_2)
	v_div_fmas_f32 v1, v1, v8, v27
	s_mov_b32 vcc_lo, s6
	v_div_fmas_f32 v8, v7, v24, v29
	s_delay_alu instid0(VALU_DEP_2) | instskip(NEXT) | instid1(VALU_DEP_2)
	v_div_fixup_f32 v7, v1, v23, s10
	v_div_fixup_f32 v8, v8, v25, s11
.LBB255_217:                            ;   in Loop: Header=BB255_4 Depth=1
	s_or_b32 exec_lo, exec_lo, s8
                                        ; implicit-def: $vgpr1
                                        ; implicit-def: $vgpr24
	s_and_not1_saveexec_b32 s6, s7
	s_cbranch_execnz .LBB255_223
.LBB255_218:                            ;   in Loop: Header=BB255_4 Depth=1
	s_or_b32 exec_lo, exec_lo, s6
	s_and_saveexec_b32 s6, s2
	s_delay_alu instid0(SALU_CYCLE_1)
	s_xor_b32 s2, exec_lo, s6
	s_cbranch_execz .LBB255_224
.LBB255_219:                            ;   in Loop: Header=BB255_4 Depth=1
	v_add_co_u32 v23, s6, s9, v3
	s_delay_alu instid0(VALU_DEP_1)
	v_add_co_ci_u32_e64 v24, null, s22, 0, s6
	global_store_b64 v[23:24], v[9:10], off
	s_or_b32 exec_lo, exec_lo, s2
	s_and_saveexec_b32 s2, s3
	s_cbranch_execnz .LBB255_225
.LBB255_220:                            ;   in Loop: Header=BB255_4 Depth=1
	s_or_b32 exec_lo, exec_lo, s2
	s_and_saveexec_b32 s2, s4
	s_cbranch_execz .LBB255_226
.LBB255_221:                            ;   in Loop: Header=BB255_4 Depth=1
	v_add_co_u32 v9, vcc_lo, s9, v20
	v_add_co_ci_u32_e32 v10, vcc_lo, s22, v18, vcc_lo
	global_store_b64 v[9:10], v[11:12], off offset:-4
	s_or_b32 exec_lo, exec_lo, s2
	s_and_saveexec_b32 s2, s5
	s_cbranch_execz .LBB255_3
	s_branch .LBB255_227
.LBB255_222:                            ;   in Loop: Header=BB255_4 Depth=1
	s_and_not1_saveexec_b32 s6, s7
	s_cbranch_execz .LBB255_218
.LBB255_223:                            ;   in Loop: Header=BB255_4 Depth=1
	v_div_scale_f32 v7, null, v1, v1, v24
	v_div_scale_f32 v25, vcc_lo, v24, v1, v24
	s_delay_alu instid0(VALU_DEP_2) | instskip(SKIP_2) | instid1(VALU_DEP_1)
	v_rcp_f32_e32 v8, v7
	s_waitcnt_depctr 0xfff
	v_fma_f32 v23, -v7, v8, 1.0
	v_fmac_f32_e32 v8, v23, v8
	s_delay_alu instid0(VALU_DEP_1) | instskip(NEXT) | instid1(VALU_DEP_1)
	v_mul_f32_e32 v23, v25, v8
	v_fma_f32 v26, -v7, v23, v25
	s_delay_alu instid0(VALU_DEP_1) | instskip(NEXT) | instid1(VALU_DEP_1)
	v_fmac_f32_e32 v23, v26, v8
	v_fma_f32 v7, -v7, v23, v25
	s_delay_alu instid0(VALU_DEP_1) | instskip(NEXT) | instid1(VALU_DEP_1)
	v_div_fmas_f32 v7, v7, v8, v23
	v_div_fixup_f32 v7, v7, v1, v24
	s_delay_alu instid0(VALU_DEP_1) | instskip(NEXT) | instid1(VALU_DEP_1)
	v_fmac_f32_e32 v1, v24, v7
	v_div_scale_f32 v8, null, v1, v1, 1.0
	v_div_scale_f32 v25, vcc_lo, 1.0, v1, 1.0
	s_delay_alu instid0(VALU_DEP_2) | instskip(SKIP_2) | instid1(VALU_DEP_1)
	v_rcp_f32_e32 v23, v8
	s_waitcnt_depctr 0xfff
	v_fma_f32 v24, -v8, v23, 1.0
	v_fmac_f32_e32 v23, v24, v23
	s_delay_alu instid0(VALU_DEP_1) | instskip(NEXT) | instid1(VALU_DEP_1)
	v_mul_f32_e32 v24, v25, v23
	v_fma_f32 v26, -v8, v24, v25
	s_delay_alu instid0(VALU_DEP_1) | instskip(NEXT) | instid1(VALU_DEP_1)
	v_fmac_f32_e32 v24, v26, v23
	v_fma_f32 v8, -v8, v24, v25
	s_delay_alu instid0(VALU_DEP_1) | instskip(SKIP_1) | instid1(VALU_DEP_2)
	v_div_fmas_f32 v8, v8, v23, v24
	v_fma_f32 v23, v7, s10, s11
	v_div_fixup_f32 v1, v8, v1, 1.0
	v_fma_f32 v8, v7, s11, -s10
	s_delay_alu instid0(VALU_DEP_2) | instskip(NEXT) | instid1(VALU_DEP_2)
	v_mul_f32_e32 v7, v23, v1
	v_mul_f32_e32 v8, v8, v1
	s_or_b32 exec_lo, exec_lo, s6
	s_and_saveexec_b32 s6, s2
	s_delay_alu instid0(SALU_CYCLE_1)
	s_xor_b32 s2, exec_lo, s6
	s_cbranch_execnz .LBB255_219
.LBB255_224:                            ;   in Loop: Header=BB255_4 Depth=1
	s_or_b32 exec_lo, exec_lo, s2
	s_and_saveexec_b32 s2, s3
	s_cbranch_execz .LBB255_220
.LBB255_225:                            ;   in Loop: Header=BB255_4 Depth=1
	v_add_co_u32 v9, s3, s9, v19
	s_delay_alu instid0(VALU_DEP_1)
	v_add_co_ci_u32_e64 v10, null, s22, 0, s3
	global_store_b64 v[9:10], v[13:14], off
	s_or_b32 exec_lo, exec_lo, s2
	s_and_saveexec_b32 s2, s4
	s_cbranch_execnz .LBB255_221
.LBB255_226:                            ;   in Loop: Header=BB255_4 Depth=1
	s_or_b32 exec_lo, exec_lo, s2
	s_and_saveexec_b32 s2, s5
	s_cbranch_execz .LBB255_3
.LBB255_227:                            ;   in Loop: Header=BB255_4 Depth=1
	v_add_co_u32 v9, vcc_lo, s9, v5
	v_add_co_ci_u32_e32 v10, vcc_lo, s22, v6, vcc_lo
	global_store_b64 v[9:10], v[7:8], off offset:-4
	s_branch .LBB255_3
.LBB255_228:
	s_cbranch_execz .LBB255_230
	s_branch .LBB255_441
.LBB255_229:
.LBB255_230:
	v_dual_mov_b32 v12, 0 :: v_dual_lshlrev_b32 v11, 2, v0
	s_mov_b32 s3, 0
	s_mov_b32 s2, exec_lo
	s_delay_alu instid0(VALU_DEP_1)
	v_cmpx_gt_i64_e64 s[12:13], v[11:12]
	s_cbranch_execz .LBB255_441
; %bb.231:
	s_load_b32 s0, s[0:1], 0xd44
	s_mov_b32 s6, 0x7fffff
	s_mov_b32 s7, 0xb94c1982
	;; [unrolled: 1-line block ×4, first 2 shown]
	s_waitcnt lgkmcnt(0)
	s_and_b32 s0, s0, 0xffff
	s_delay_alu instid0(SALU_CYCLE_1)
	v_add_lshl_u32 v11, v0, s0, 2
	v_dual_mov_b32 v16, v12 :: v_dual_lshlrev_b32 v1, 5, v0
	s_lshl_b32 s4, s0, 2
	s_add_u32 s1, s14, s16
	s_addc_u32 s2, s15, s17
	s_lshl_b32 s5, s0, 5
	v_add_co_u32 v13, s0, s1, v1
	s_delay_alu instid0(VALU_DEP_1)
	v_add_co_ci_u32_e64 v14, null, s2, 0, s0
	v_mov_b32_e32 v15, v11
	s_branch .LBB255_233
.LBB255_232:                            ;   in Loop: Header=BB255_233 Depth=1
	s_or_b32 exec_lo, exec_lo, s0
	v_cmp_le_i64_e32 vcc_lo, s[12:13], v[15:16]
	v_cmp_lt_u64_e64 s0, 0xffff, v[15:16]
	s_clause 0x1
	global_store_b128 v[13:14], v[4:7], off
	global_store_b128 v[13:14], v[8:11], off offset:16
	s_or_b32 s0, vcc_lo, s0
	v_add_co_u32 v15, vcc_lo, v15, s4
	v_add_co_ci_u32_e32 v16, vcc_lo, 0, v16, vcc_lo
	v_add_co_u32 v13, vcc_lo, v13, s5
	v_add_co_ci_u32_e32 v14, vcc_lo, 0, v14, vcc_lo
	s_and_b32 s0, exec_lo, s0
	s_delay_alu instid0(SALU_CYCLE_1) | instskip(NEXT) | instid1(SALU_CYCLE_1)
	s_or_b32 s3, s0, s3
	s_and_not1_b32 exec_lo, exec_lo, s3
	s_cbranch_execz .LBB255_441
.LBB255_233:                            ; =>This Inner Loop Header: Depth=1
	s_clause 0x1
	global_load_b128 v[6:9], v[13:14], off
	global_load_b128 v[0:3], v[13:14], off offset:16
                                        ; implicit-def: $vgpr10
	s_mov_b32 s0, exec_lo
	s_waitcnt vmcnt(1)
	v_and_b32_e32 v5, 0x7fffffff, v7
	v_xor_b32_e32 v4, 0x80000000, v7
	s_delay_alu instid0(VALU_DEP_2)
	v_cmpx_ne_u32_e32 0, v5
	s_xor_b32 s14, exec_lo, s0
	s_cbranch_execz .LBB255_275
; %bb.234:                              ;   in Loop: Header=BB255_233 Depth=1
	v_and_b32_e32 v17, 0x7fffffff, v6
                                        ; implicit-def: $vgpr10
	s_mov_b32 s0, exec_lo
	s_delay_alu instid0(VALU_DEP_1)
	v_cmpx_ne_u32_e32 0, v17
	s_xor_b32 s15, exec_lo, s0
	s_cbranch_execz .LBB255_264
; %bb.235:                              ;   in Loop: Header=BB255_233 Depth=1
	v_xor_b32_e32 v11, 0x80000000, v6
                                        ; implicit-def: $vgpr10
	s_mov_b32 s0, exec_lo
	v_cmpx_gt_u32_e32 0x7f800000, v5
	s_xor_b32 s16, exec_lo, s0
	s_cbranch_execz .LBB255_257
; %bb.236:                              ;   in Loop: Header=BB255_233 Depth=1
	v_add_nc_u32_e32 v10, 0xbd4e8de8, v11
	s_delay_alu instid0(VALU_DEP_1) | instskip(SKIP_1) | instid1(SALU_CYCLE_1)
	v_cmp_lt_u32_e32 vcc_lo, 0x8e8e5c, v10
                                        ; implicit-def: $vgpr10
	s_and_saveexec_b32 s0, vcc_lo
	s_xor_b32 s17, exec_lo, s0
	s_cbranch_execz .LBB255_246
; %bb.237:                              ;   in Loop: Header=BB255_233 Depth=1
	v_cmp_ngt_f32_e64 s18, 0x48000000, |v7|
                                        ; implicit-def: $vgpr17
                                        ; implicit-def: $vgpr10
	s_delay_alu instid0(VALU_DEP_1) | instskip(NEXT) | instid1(SALU_CYCLE_1)
	s_and_saveexec_b32 s0, s18
	s_xor_b32 s19, exec_lo, s0
	s_cbranch_execz .LBB255_239
; %bb.238:                              ;   in Loop: Header=BB255_233 Depth=1
	v_and_or_b32 v24, v5, s6, 0x800000
	v_lshrrev_b32_e32 v21, 23, v5
	s_delay_alu instid0(VALU_DEP_2) | instskip(NEXT) | instid1(VALU_DEP_2)
	v_mad_u64_u32 v[10:11], null, 0xfe5163ab, v24, 0
	v_add_nc_u32_e32 v22, 0xffffff88, v21
	s_delay_alu instid0(VALU_DEP_1) | instskip(NEXT) | instid1(VALU_DEP_3)
	v_cmp_lt_u32_e32 vcc_lo, 63, v22
	v_mad_u64_u32 v[17:18], null, 0x3c439041, v24, v[11:12]
	v_cndmask_b32_e64 v23, 0, 0xffffffc0, vcc_lo
	s_delay_alu instid0(VALU_DEP_2) | instskip(NEXT) | instid1(VALU_DEP_2)
	v_mov_b32_e32 v11, v18
	v_add_nc_u32_e32 v23, v23, v22
	s_delay_alu instid0(VALU_DEP_2) | instskip(NEXT) | instid1(VALU_DEP_2)
	v_mad_u64_u32 v[18:19], null, 0xdb629599, v24, v[11:12]
	v_cmp_lt_u32_e64 s0, 31, v23
	s_delay_alu instid0(VALU_DEP_1) | instskip(NEXT) | instid1(VALU_DEP_3)
	v_cndmask_b32_e64 v25, 0, 0xffffffe0, s0
	v_dual_mov_b32 v11, v19 :: v_dual_cndmask_b32 v10, v18, v10
	s_delay_alu instid0(VALU_DEP_2) | instskip(NEXT) | instid1(VALU_DEP_2)
	v_add_nc_u32_e32 v25, v25, v23
	v_mad_u64_u32 v[19:20], null, 0xf534ddc0, v24, v[11:12]
	s_delay_alu instid0(VALU_DEP_2) | instskip(NEXT) | instid1(VALU_DEP_2)
	v_cmp_lt_u32_e64 s1, 31, v25
	v_mov_b32_e32 v11, v20
	s_delay_alu instid0(VALU_DEP_3) | instskip(NEXT) | instid1(VALU_DEP_2)
	v_cndmask_b32_e32 v17, v19, v17, vcc_lo
	v_mad_u64_u32 v[20:21], null, 0xfc2757d1, v24, v[11:12]
	s_delay_alu instid0(VALU_DEP_2) | instskip(NEXT) | instid1(VALU_DEP_2)
	v_cndmask_b32_e64 v10, v17, v10, s0
	v_mov_b32_e32 v11, v21
	s_delay_alu instid0(VALU_DEP_1) | instskip(NEXT) | instid1(VALU_DEP_1)
	v_mad_u64_u32 v[21:22], null, 0x4e441529, v24, v[11:12]
	v_mov_b32_e32 v11, v22
	s_delay_alu instid0(VALU_DEP_1) | instskip(SKIP_1) | instid1(VALU_DEP_1)
	v_mad_u64_u32 v[22:23], null, 0xa2f9836e, v24, v[11:12]
	v_cndmask_b32_e64 v11, 0, 0xffffffe0, s1
	v_dual_cndmask_b32 v24, v21, v19 :: v_dual_add_nc_u32 v11, v11, v25
	s_delay_alu instid0(VALU_DEP_3) | instskip(SKIP_1) | instid1(VALU_DEP_3)
	v_dual_cndmask_b32 v22, v22, v20 :: v_dual_cndmask_b32 v21, v23, v21
	v_cndmask_b32_e32 v20, v20, v18, vcc_lo
	v_sub_nc_u32_e32 v23, 32, v11
	s_delay_alu instid0(VALU_DEP_3) | instskip(NEXT) | instid1(VALU_DEP_4)
	v_cndmask_b32_e64 v19, v22, v24, s0
	v_cndmask_b32_e64 v21, v21, v22, s0
	s_delay_alu instid0(VALU_DEP_4) | instskip(SKIP_2) | instid1(VALU_DEP_4)
	v_cndmask_b32_e64 v22, v24, v20, s0
	v_cndmask_b32_e64 v20, v20, v17, s0
	v_cmp_eq_u32_e64 s2, 0, v11
	v_cndmask_b32_e64 v21, v21, v19, s1
	s_delay_alu instid0(VALU_DEP_4) | instskip(NEXT) | instid1(VALU_DEP_4)
	v_cndmask_b32_e64 v19, v19, v22, s1
	v_cndmask_b32_e64 v22, v22, v20, s1
	;; [unrolled: 1-line block ×3, first 2 shown]
	s_delay_alu instid0(VALU_DEP_3) | instskip(NEXT) | instid1(VALU_DEP_3)
	v_alignbit_b32 v24, v21, v19, v23
	v_alignbit_b32 v25, v19, v22, v23
	s_delay_alu instid0(VALU_DEP_3) | instskip(NEXT) | instid1(VALU_DEP_3)
	v_alignbit_b32 v23, v22, v10, v23
	v_cndmask_b32_e64 v11, v24, v21, s2
	s_delay_alu instid0(VALU_DEP_3) | instskip(NEXT) | instid1(VALU_DEP_3)
	v_cndmask_b32_e64 v18, v25, v19, s2
	v_cndmask_b32_e64 v22, v23, v22, s2
	s_delay_alu instid0(VALU_DEP_3) | instskip(NEXT) | instid1(VALU_DEP_3)
	v_bfe_u32 v19, v11, 29, 1
	v_alignbit_b32 v17, v11, v18, 30
	s_delay_alu instid0(VALU_DEP_3) | instskip(SKIP_1) | instid1(VALU_DEP_4)
	v_alignbit_b32 v18, v18, v22, 30
	v_alignbit_b32 v10, v22, v10, 30
	v_sub_nc_u32_e32 v21, 0, v19
	s_delay_alu instid0(VALU_DEP_1) | instskip(SKIP_3) | instid1(VALU_DEP_4)
	v_xor_b32_e32 v20, v17, v21
	v_cmp_ne_u32_e32 vcc_lo, v17, v21
	v_xor_b32_e32 v18, v18, v21
	v_xor_b32_e32 v10, v10, v21
	v_clz_i32_u32_e32 v24, v20
	s_delay_alu instid0(VALU_DEP_1) | instskip(NEXT) | instid1(VALU_DEP_1)
	v_add_nc_u32_e32 v23, 1, v24
	v_cndmask_b32_e32 v17, 33, v23, vcc_lo
	s_delay_alu instid0(VALU_DEP_1) | instskip(NEXT) | instid1(VALU_DEP_1)
	v_sub_nc_u32_e32 v22, 32, v17
	v_alignbit_b32 v20, v20, v18, v22
	v_alignbit_b32 v10, v18, v10, v22
	v_lshrrev_b32_e32 v18, 29, v11
	v_lshrrev_b32_e32 v11, 30, v11
	s_delay_alu instid0(VALU_DEP_3) | instskip(NEXT) | instid1(VALU_DEP_3)
	v_alignbit_b32 v21, v20, v10, 9
	v_lshlrev_b32_e32 v18, 31, v18
	v_alignbit_b32 v20, v17, v20, 9
	s_delay_alu instid0(VALU_DEP_3) | instskip(NEXT) | instid1(VALU_DEP_2)
	v_clz_i32_u32_e32 v22, v21
	v_or_b32_e32 v20, v20, v18
	v_or_b32_e32 v18, 0x33800000, v18
	s_delay_alu instid0(VALU_DEP_3) | instskip(NEXT) | instid1(VALU_DEP_3)
	v_min_u32_e32 v22, 32, v22
	v_xor_b32_e32 v20, 1.0, v20
	s_delay_alu instid0(VALU_DEP_2) | instskip(SKIP_1) | instid1(VALU_DEP_3)
	v_sub_nc_u32_e32 v23, 31, v22
	v_add_lshl_u32 v17, v22, v17, 23
	v_mul_f32_e32 v22, 0x3fc90fda, v20
	s_delay_alu instid0(VALU_DEP_3) | instskip(NEXT) | instid1(VALU_DEP_3)
	v_alignbit_b32 v10, v21, v10, v23
	v_sub_nc_u32_e32 v17, v18, v17
	s_delay_alu instid0(VALU_DEP_3) | instskip(NEXT) | instid1(VALU_DEP_3)
	v_fma_f32 v18, 0x3fc90fda, v20, -v22
	v_lshrrev_b32_e32 v10, 9, v10
	s_delay_alu instid0(VALU_DEP_2) | instskip(NEXT) | instid1(VALU_DEP_2)
	v_fmac_f32_e32 v18, 0x33a22168, v20
	v_or_b32_e32 v10, v17, v10
	s_delay_alu instid0(VALU_DEP_1) | instskip(NEXT) | instid1(VALU_DEP_1)
	v_dual_fmac_f32 v18, 0x3fc90fda, v10 :: v_dual_add_nc_u32 v17, v19, v11
	v_add_f32_e32 v10, v22, v18
	s_and_not1_saveexec_b32 s0, s19
	s_branch .LBB255_240
.LBB255_239:                            ;   in Loop: Header=BB255_233 Depth=1
	s_and_not1_saveexec_b32 s0, s19
.LBB255_240:                            ;   in Loop: Header=BB255_233 Depth=1
	v_mul_f32_e64 v10, 0x3f22f983, |v7|
	s_delay_alu instid0(VALU_DEP_1) | instskip(NEXT) | instid1(VALU_DEP_1)
	v_rndne_f32_e32 v11, v10
	v_fma_f32 v10, 0xbfc90fda, v11, |v7|
	v_cvt_i32_f32_e32 v17, v11
	s_delay_alu instid0(VALU_DEP_2) | instskip(NEXT) | instid1(VALU_DEP_1)
	v_fmac_f32_e32 v10, 0xb3a22168, v11
	v_fmac_f32_e32 v10, 0xa7c234c4, v11
; %bb.241:                              ;   in Loop: Header=BB255_233 Depth=1
	s_or_b32 exec_lo, exec_lo, s0
                                        ; implicit-def: $vgpr18
                                        ; implicit-def: $vgpr11
	s_and_saveexec_b32 s0, s18
	s_delay_alu instid0(SALU_CYCLE_1)
	s_xor_b32 s18, exec_lo, s0
	s_cbranch_execz .LBB255_243
; %bb.242:                              ;   in Loop: Header=BB255_233 Depth=1
	v_and_or_b32 v26, v5, s6, 0x800000
	v_lshrrev_b32_e32 v23, 23, v5
	s_delay_alu instid0(VALU_DEP_2) | instskip(NEXT) | instid1(VALU_DEP_2)
	v_mad_u64_u32 v[18:19], null, 0xfe5163ab, v26, 0
	v_add_nc_u32_e32 v24, 0xffffff88, v23
	s_delay_alu instid0(VALU_DEP_1) | instskip(NEXT) | instid1(VALU_DEP_3)
	v_cmp_lt_u32_e32 vcc_lo, 63, v24
	v_mov_b32_e32 v11, v19
	v_cndmask_b32_e64 v25, 0, 0xffffffc0, vcc_lo
	s_delay_alu instid0(VALU_DEP_2) | instskip(NEXT) | instid1(VALU_DEP_2)
	v_mad_u64_u32 v[19:20], null, 0x3c439041, v26, v[11:12]
	v_add_nc_u32_e32 v25, v25, v24
	s_delay_alu instid0(VALU_DEP_2) | instskip(NEXT) | instid1(VALU_DEP_2)
	v_mov_b32_e32 v11, v20
	v_cmp_lt_u32_e64 s0, 31, v25
	s_delay_alu instid0(VALU_DEP_2) | instskip(NEXT) | instid1(VALU_DEP_2)
	v_mad_u64_u32 v[20:21], null, 0xdb629599, v26, v[11:12]
	v_cndmask_b32_e64 v27, 0, 0xffffffe0, s0
	s_delay_alu instid0(VALU_DEP_1) | instskip(NEXT) | instid1(VALU_DEP_3)
	v_add_nc_u32_e32 v27, v27, v25
	v_dual_mov_b32 v11, v21 :: v_dual_cndmask_b32 v18, v20, v18
	s_delay_alu instid0(VALU_DEP_2) | instskip(NEXT) | instid1(VALU_DEP_2)
	v_cmp_lt_u32_e64 s1, 31, v27
	v_mad_u64_u32 v[21:22], null, 0xf534ddc0, v26, v[11:12]
	s_delay_alu instid0(VALU_DEP_1) | instskip(NEXT) | instid1(VALU_DEP_2)
	v_mov_b32_e32 v11, v22
	v_cndmask_b32_e32 v19, v21, v19, vcc_lo
	s_delay_alu instid0(VALU_DEP_2) | instskip(NEXT) | instid1(VALU_DEP_2)
	v_mad_u64_u32 v[22:23], null, 0xfc2757d1, v26, v[11:12]
	v_cndmask_b32_e64 v18, v19, v18, s0
	s_delay_alu instid0(VALU_DEP_2) | instskip(NEXT) | instid1(VALU_DEP_1)
	v_mov_b32_e32 v11, v23
	v_mad_u64_u32 v[23:24], null, 0x4e441529, v26, v[11:12]
	s_delay_alu instid0(VALU_DEP_1) | instskip(NEXT) | instid1(VALU_DEP_1)
	v_mov_b32_e32 v11, v24
	v_mad_u64_u32 v[24:25], null, 0xa2f9836e, v26, v[11:12]
	v_cndmask_b32_e64 v11, 0, 0xffffffe0, s1
	s_delay_alu instid0(VALU_DEP_4) | instskip(NEXT) | instid1(VALU_DEP_2)
	v_cndmask_b32_e32 v26, v23, v21, vcc_lo
	v_dual_cndmask_b32 v24, v24, v22 :: v_dual_add_nc_u32 v11, v11, v27
	s_delay_alu instid0(VALU_DEP_4) | instskip(NEXT) | instid1(VALU_DEP_2)
	v_dual_cndmask_b32 v23, v25, v23 :: v_dual_cndmask_b32 v22, v22, v20
	v_sub_nc_u32_e32 v25, 32, v11
	s_delay_alu instid0(VALU_DEP_3) | instskip(NEXT) | instid1(VALU_DEP_3)
	v_cndmask_b32_e64 v21, v24, v26, s0
	v_cndmask_b32_e64 v23, v23, v24, s0
	s_delay_alu instid0(VALU_DEP_4) | instskip(SKIP_2) | instid1(VALU_DEP_4)
	v_cndmask_b32_e64 v24, v26, v22, s0
	v_cndmask_b32_e64 v22, v22, v19, s0
	v_cmp_eq_u32_e64 s2, 0, v11
	v_cndmask_b32_e64 v23, v23, v21, s1
	s_delay_alu instid0(VALU_DEP_4) | instskip(NEXT) | instid1(VALU_DEP_4)
	v_cndmask_b32_e64 v21, v21, v24, s1
	v_cndmask_b32_e64 v24, v24, v22, s1
	;; [unrolled: 1-line block ×3, first 2 shown]
	s_delay_alu instid0(VALU_DEP_3) | instskip(NEXT) | instid1(VALU_DEP_3)
	v_alignbit_b32 v26, v23, v21, v25
	v_alignbit_b32 v27, v21, v24, v25
	s_delay_alu instid0(VALU_DEP_3) | instskip(NEXT) | instid1(VALU_DEP_3)
	v_alignbit_b32 v25, v24, v18, v25
	v_cndmask_b32_e64 v11, v26, v23, s2
	s_delay_alu instid0(VALU_DEP_3) | instskip(NEXT) | instid1(VALU_DEP_3)
	v_cndmask_b32_e64 v20, v27, v21, s2
	v_cndmask_b32_e64 v24, v25, v24, s2
	s_delay_alu instid0(VALU_DEP_3) | instskip(NEXT) | instid1(VALU_DEP_3)
	v_bfe_u32 v21, v11, 29, 1
	v_alignbit_b32 v19, v11, v20, 30
	s_delay_alu instid0(VALU_DEP_3) | instskip(SKIP_1) | instid1(VALU_DEP_4)
	v_alignbit_b32 v20, v20, v24, 30
	v_alignbit_b32 v18, v24, v18, 30
	v_sub_nc_u32_e32 v23, 0, v21
	s_delay_alu instid0(VALU_DEP_1) | instskip(SKIP_3) | instid1(VALU_DEP_4)
	v_xor_b32_e32 v22, v19, v23
	v_cmp_ne_u32_e32 vcc_lo, v19, v23
	v_xor_b32_e32 v20, v20, v23
	v_xor_b32_e32 v18, v18, v23
	v_clz_i32_u32_e32 v26, v22
	s_delay_alu instid0(VALU_DEP_1) | instskip(NEXT) | instid1(VALU_DEP_1)
	v_add_nc_u32_e32 v25, 1, v26
	v_cndmask_b32_e32 v19, 33, v25, vcc_lo
	s_delay_alu instid0(VALU_DEP_1) | instskip(NEXT) | instid1(VALU_DEP_1)
	v_sub_nc_u32_e32 v24, 32, v19
	v_alignbit_b32 v22, v22, v20, v24
	v_alignbit_b32 v18, v20, v18, v24
	v_lshrrev_b32_e32 v20, 29, v11
	s_delay_alu instid0(VALU_DEP_2) | instskip(NEXT) | instid1(VALU_DEP_2)
	v_alignbit_b32 v23, v22, v18, 9
	v_lshlrev_b32_e32 v20, 31, v20
	v_alignbit_b32 v22, v19, v22, 9
	s_delay_alu instid0(VALU_DEP_3) | instskip(NEXT) | instid1(VALU_DEP_2)
	v_clz_i32_u32_e32 v24, v23
	v_or_b32_e32 v22, v22, v20
	v_or_b32_e32 v20, 0x33800000, v20
	s_delay_alu instid0(VALU_DEP_3) | instskip(NEXT) | instid1(VALU_DEP_3)
	v_min_u32_e32 v24, 32, v24
	v_xor_b32_e32 v22, 1.0, v22
	s_delay_alu instid0(VALU_DEP_2) | instskip(SKIP_1) | instid1(VALU_DEP_3)
	v_sub_nc_u32_e32 v25, 31, v24
	v_add_lshl_u32 v19, v24, v19, 23
	v_mul_f32_e32 v24, 0x3fc90fda, v22
	s_delay_alu instid0(VALU_DEP_3) | instskip(NEXT) | instid1(VALU_DEP_3)
	v_alignbit_b32 v18, v23, v18, v25
	v_sub_nc_u32_e32 v19, v20, v19
	s_delay_alu instid0(VALU_DEP_3) | instskip(NEXT) | instid1(VALU_DEP_3)
	v_fma_f32 v20, 0x3fc90fda, v22, -v24
	v_lshrrev_b32_e32 v18, 9, v18
	s_delay_alu instid0(VALU_DEP_2) | instskip(NEXT) | instid1(VALU_DEP_2)
	v_fmac_f32_e32 v20, 0x33a22168, v22
	v_or_b32_e32 v18, v19, v18
	s_delay_alu instid0(VALU_DEP_1) | instskip(SKIP_1) | instid1(VALU_DEP_1)
	v_fmac_f32_e32 v20, 0x3fc90fda, v18
	v_lshrrev_b32_e32 v18, 30, v11
	v_dual_add_f32 v11, v24, v20 :: v_dual_add_nc_u32 v18, v21, v18
	s_and_not1_saveexec_b32 s0, s18
	s_cbranch_execnz .LBB255_244
	s_branch .LBB255_245
.LBB255_243:                            ;   in Loop: Header=BB255_233 Depth=1
	s_and_not1_saveexec_b32 s0, s18
.LBB255_244:                            ;   in Loop: Header=BB255_233 Depth=1
	v_mul_f32_e64 v11, 0x3f22f983, |v7|
	s_delay_alu instid0(VALU_DEP_1) | instskip(NEXT) | instid1(VALU_DEP_1)
	v_rndne_f32_e32 v18, v11
	v_fma_f32 v11, 0xbfc90fda, v18, |v7|
	s_delay_alu instid0(VALU_DEP_1) | instskip(NEXT) | instid1(VALU_DEP_1)
	v_fmac_f32_e32 v11, 0xb3a22168, v18
	v_fmac_f32_e32 v11, 0xa7c234c4, v18
	v_cvt_i32_f32_e32 v18, v18
.LBB255_245:                            ;   in Loop: Header=BB255_233 Depth=1
	s_or_b32 exec_lo, exec_lo, s0
	s_delay_alu instid0(VALU_DEP_1) | instskip(SKIP_2) | instid1(VALU_DEP_3)
	v_dual_mul_f32 v19, 0xbfb8aa3b, v6 :: v_dual_mul_f32 v24, v11, v11
	v_dual_mul_f32 v20, v10, v10 :: v_dual_and_b32 v21, 1, v17
	v_lshlrev_b32_e32 v17, 30, v17
	v_rndne_f32_e32 v22, v19
	v_fma_f32 v23, 0xbfb8aa3b, v6, -v19
	s_delay_alu instid0(VALU_DEP_4)
	v_dual_fmaak_f32 v26, s7, v20, 0x3c0881c4 :: v_dual_and_b32 v25, 1, v18
	v_fmaak_f32 v28, s7, v24, 0x3c0881c4
	v_dual_fmaak_f32 v27, s8, v20, 0xbab64f3b :: v_dual_lshlrev_b32 v18, 30, v18
	v_sub_f32_e32 v19, v19, v22
	v_fmac_f32_e32 v23, 0xb2a5705f, v6
	v_cmp_eq_u32_e32 vcc_lo, 0, v21
	v_cvt_i32_f32_e32 v22, v22
	v_and_b32_e32 v17, 0x80000000, v17
	v_and_or_b32 v5, 0x80000000, v18, v5
	v_add_f32_e32 v19, v19, v23
	v_fmaak_f32 v23, v20, v26, 0xbe2aaa9d
	v_fmaak_f32 v26, v20, v27, 0x3d2aabf7
	;; [unrolled: 1-line block ×3, first 2 shown]
	v_cmp_ngt_f32_e64 s0, 0xc2b17218, v6
	s_delay_alu instid0(VALU_DEP_4) | instskip(SKIP_1) | instid1(VALU_DEP_4)
	v_mul_f32_e32 v23, v20, v23
	v_fmaak_f32 v29, s8, v24, 0xbab64f3b
	v_mul_f32_e32 v27, v24, v27
	v_fmaak_f32 v26, v20, v26, 0xbf000004
	s_delay_alu instid0(VALU_DEP_4) | instskip(NEXT) | instid1(VALU_DEP_3)
	v_fmac_f32_e32 v10, v10, v23
	v_dual_fmaak_f32 v28, v24, v29, 0x3d2aabf7 :: v_dual_fmac_f32 v11, v11, v27
	s_delay_alu instid0(VALU_DEP_3) | instskip(SKIP_1) | instid1(VALU_DEP_1)
	v_fma_f32 v20, v20, v26, 1.0
	v_exp_f32_e32 v19, v19
	v_cndmask_b32_e64 v10, -v10, v20, vcc_lo
	v_cmp_eq_u32_e32 vcc_lo, 0, v25
	v_fmaak_f32 v28, v24, v28, 0xbf000004
	s_delay_alu instid0(VALU_DEP_3) | instskip(SKIP_3) | instid1(VALU_DEP_1)
	v_xor_b32_e32 v10, v17, v10
	s_waitcnt_depctr 0xfff
	v_ldexp_f32 v19, v19, v22
	v_fma_f32 v23, v24, v28, 1.0
	v_cndmask_b32_e32 v11, v23, v11, vcc_lo
	v_cmp_nlt_f32_e32 vcc_lo, 0x42ce8ed0, v6
	s_delay_alu instid0(VALU_DEP_2) | instskip(SKIP_2) | instid1(VALU_DEP_2)
	v_xor3_b32 v4, v5, v11, v4
	v_cndmask_b32_e32 v18, 0, v19, vcc_lo
	v_cmp_class_f32_e64 vcc_lo, v7, 0x1f8
	v_cndmask_b32_e64 v5, 0x7f800000, v18, s0
	v_cndmask_b32_e32 v10, 0x7fc00000, v10, vcc_lo
	v_cndmask_b32_e32 v4, 0x7fc00000, v4, vcc_lo
	s_delay_alu instid0(VALU_DEP_2) | instskip(NEXT) | instid1(VALU_DEP_2)
	v_mul_f32_e32 v10, v5, v10
	v_mul_f32_e32 v4, v5, v4
                                        ; implicit-def: $vgpr5
.LBB255_246:                            ;   in Loop: Header=BB255_233 Depth=1
	s_and_not1_saveexec_b32 s17, s17
	s_cbranch_execz .LBB255_249
; %bb.247:                              ;   in Loop: Header=BB255_233 Depth=1
	v_cmp_ngt_f32_e64 s18, 0x48000000, |v7|
                                        ; implicit-def: $vgpr17
                                        ; implicit-def: $vgpr10
	s_delay_alu instid0(VALU_DEP_1) | instskip(NEXT) | instid1(SALU_CYCLE_1)
	s_and_saveexec_b32 s0, s18
	s_xor_b32 s19, exec_lo, s0
	s_cbranch_execz .LBB255_250
; %bb.248:                              ;   in Loop: Header=BB255_233 Depth=1
	v_and_or_b32 v24, v5, s6, 0x800000
	v_lshrrev_b32_e32 v21, 23, v5
	s_delay_alu instid0(VALU_DEP_2) | instskip(NEXT) | instid1(VALU_DEP_2)
	v_mad_u64_u32 v[10:11], null, 0xfe5163ab, v24, 0
	v_add_nc_u32_e32 v22, 0xffffff88, v21
	s_delay_alu instid0(VALU_DEP_1) | instskip(NEXT) | instid1(VALU_DEP_3)
	v_cmp_lt_u32_e32 vcc_lo, 63, v22
	v_mad_u64_u32 v[17:18], null, 0x3c439041, v24, v[11:12]
	v_cndmask_b32_e64 v23, 0, 0xffffffc0, vcc_lo
	s_delay_alu instid0(VALU_DEP_2) | instskip(NEXT) | instid1(VALU_DEP_2)
	v_mov_b32_e32 v11, v18
	v_add_nc_u32_e32 v23, v23, v22
	s_delay_alu instid0(VALU_DEP_2) | instskip(NEXT) | instid1(VALU_DEP_2)
	v_mad_u64_u32 v[18:19], null, 0xdb629599, v24, v[11:12]
	v_cmp_lt_u32_e64 s0, 31, v23
	s_delay_alu instid0(VALU_DEP_1) | instskip(NEXT) | instid1(VALU_DEP_3)
	v_cndmask_b32_e64 v25, 0, 0xffffffe0, s0
	v_dual_mov_b32 v11, v19 :: v_dual_cndmask_b32 v10, v18, v10
	s_delay_alu instid0(VALU_DEP_2) | instskip(NEXT) | instid1(VALU_DEP_2)
	v_add_nc_u32_e32 v25, v25, v23
	v_mad_u64_u32 v[19:20], null, 0xf534ddc0, v24, v[11:12]
	s_delay_alu instid0(VALU_DEP_2) | instskip(NEXT) | instid1(VALU_DEP_2)
	v_cmp_lt_u32_e64 s1, 31, v25
	v_mov_b32_e32 v11, v20
	s_delay_alu instid0(VALU_DEP_3) | instskip(NEXT) | instid1(VALU_DEP_2)
	v_cndmask_b32_e32 v17, v19, v17, vcc_lo
	v_mad_u64_u32 v[20:21], null, 0xfc2757d1, v24, v[11:12]
	s_delay_alu instid0(VALU_DEP_2) | instskip(NEXT) | instid1(VALU_DEP_2)
	v_cndmask_b32_e64 v10, v17, v10, s0
	v_mov_b32_e32 v11, v21
	s_delay_alu instid0(VALU_DEP_1) | instskip(NEXT) | instid1(VALU_DEP_1)
	v_mad_u64_u32 v[21:22], null, 0x4e441529, v24, v[11:12]
	v_mov_b32_e32 v11, v22
	s_delay_alu instid0(VALU_DEP_1) | instskip(SKIP_1) | instid1(VALU_DEP_1)
	v_mad_u64_u32 v[22:23], null, 0xa2f9836e, v24, v[11:12]
	v_cndmask_b32_e64 v11, 0, 0xffffffe0, s1
	v_dual_cndmask_b32 v24, v21, v19 :: v_dual_add_nc_u32 v11, v11, v25
	s_delay_alu instid0(VALU_DEP_3) | instskip(SKIP_1) | instid1(VALU_DEP_3)
	v_dual_cndmask_b32 v22, v22, v20 :: v_dual_cndmask_b32 v21, v23, v21
	v_cndmask_b32_e32 v20, v20, v18, vcc_lo
	v_sub_nc_u32_e32 v23, 32, v11
	s_delay_alu instid0(VALU_DEP_3) | instskip(NEXT) | instid1(VALU_DEP_4)
	v_cndmask_b32_e64 v19, v22, v24, s0
	v_cndmask_b32_e64 v21, v21, v22, s0
	s_delay_alu instid0(VALU_DEP_4) | instskip(SKIP_2) | instid1(VALU_DEP_4)
	v_cndmask_b32_e64 v22, v24, v20, s0
	v_cndmask_b32_e64 v20, v20, v17, s0
	v_cmp_eq_u32_e64 s2, 0, v11
	v_cndmask_b32_e64 v21, v21, v19, s1
	s_delay_alu instid0(VALU_DEP_4) | instskip(NEXT) | instid1(VALU_DEP_4)
	v_cndmask_b32_e64 v19, v19, v22, s1
	v_cndmask_b32_e64 v22, v22, v20, s1
	;; [unrolled: 1-line block ×3, first 2 shown]
	s_delay_alu instid0(VALU_DEP_3) | instskip(NEXT) | instid1(VALU_DEP_3)
	v_alignbit_b32 v24, v21, v19, v23
	v_alignbit_b32 v25, v19, v22, v23
	s_delay_alu instid0(VALU_DEP_3) | instskip(NEXT) | instid1(VALU_DEP_3)
	v_alignbit_b32 v23, v22, v10, v23
	v_cndmask_b32_e64 v11, v24, v21, s2
	s_delay_alu instid0(VALU_DEP_3) | instskip(NEXT) | instid1(VALU_DEP_3)
	v_cndmask_b32_e64 v18, v25, v19, s2
	v_cndmask_b32_e64 v22, v23, v22, s2
	s_delay_alu instid0(VALU_DEP_3) | instskip(NEXT) | instid1(VALU_DEP_3)
	v_bfe_u32 v19, v11, 29, 1
	v_alignbit_b32 v17, v11, v18, 30
	s_delay_alu instid0(VALU_DEP_3) | instskip(SKIP_1) | instid1(VALU_DEP_4)
	v_alignbit_b32 v18, v18, v22, 30
	v_alignbit_b32 v10, v22, v10, 30
	v_sub_nc_u32_e32 v21, 0, v19
	s_delay_alu instid0(VALU_DEP_1) | instskip(SKIP_3) | instid1(VALU_DEP_4)
	v_xor_b32_e32 v20, v17, v21
	v_cmp_ne_u32_e32 vcc_lo, v17, v21
	v_xor_b32_e32 v18, v18, v21
	v_xor_b32_e32 v10, v10, v21
	v_clz_i32_u32_e32 v24, v20
	s_delay_alu instid0(VALU_DEP_1) | instskip(NEXT) | instid1(VALU_DEP_1)
	v_add_nc_u32_e32 v23, 1, v24
	v_cndmask_b32_e32 v17, 33, v23, vcc_lo
	s_delay_alu instid0(VALU_DEP_1) | instskip(NEXT) | instid1(VALU_DEP_1)
	v_sub_nc_u32_e32 v22, 32, v17
	v_alignbit_b32 v20, v20, v18, v22
	v_alignbit_b32 v10, v18, v10, v22
	v_lshrrev_b32_e32 v18, 29, v11
	v_lshrrev_b32_e32 v11, 30, v11
	s_delay_alu instid0(VALU_DEP_3) | instskip(NEXT) | instid1(VALU_DEP_3)
	v_alignbit_b32 v21, v20, v10, 9
	v_lshlrev_b32_e32 v18, 31, v18
	v_alignbit_b32 v20, v17, v20, 9
	s_delay_alu instid0(VALU_DEP_3) | instskip(NEXT) | instid1(VALU_DEP_2)
	v_clz_i32_u32_e32 v22, v21
	v_or_b32_e32 v20, v20, v18
	v_or_b32_e32 v18, 0x33800000, v18
	s_delay_alu instid0(VALU_DEP_3) | instskip(NEXT) | instid1(VALU_DEP_3)
	v_min_u32_e32 v22, 32, v22
	v_xor_b32_e32 v20, 1.0, v20
	s_delay_alu instid0(VALU_DEP_2) | instskip(SKIP_1) | instid1(VALU_DEP_3)
	v_sub_nc_u32_e32 v23, 31, v22
	v_add_lshl_u32 v17, v22, v17, 23
	v_mul_f32_e32 v22, 0x3fc90fda, v20
	s_delay_alu instid0(VALU_DEP_3) | instskip(NEXT) | instid1(VALU_DEP_3)
	v_alignbit_b32 v10, v21, v10, v23
	v_sub_nc_u32_e32 v17, v18, v17
	s_delay_alu instid0(VALU_DEP_3) | instskip(NEXT) | instid1(VALU_DEP_3)
	v_fma_f32 v18, 0x3fc90fda, v20, -v22
	v_lshrrev_b32_e32 v10, 9, v10
	s_delay_alu instid0(VALU_DEP_2) | instskip(NEXT) | instid1(VALU_DEP_2)
	v_fmac_f32_e32 v18, 0x33a22168, v20
	v_or_b32_e32 v10, v17, v10
	s_delay_alu instid0(VALU_DEP_1) | instskip(NEXT) | instid1(VALU_DEP_1)
	v_dual_fmac_f32 v18, 0x3fc90fda, v10 :: v_dual_add_nc_u32 v17, v19, v11
	v_add_f32_e32 v10, v22, v18
	s_and_not1_saveexec_b32 s0, s19
	s_branch .LBB255_251
.LBB255_249:                            ;   in Loop: Header=BB255_233 Depth=1
	s_or_b32 exec_lo, exec_lo, s17
                                        ; implicit-def: $vgpr11
                                        ; implicit-def: $vgpr17
	s_and_not1_saveexec_b32 s0, s16
	s_cbranch_execnz .LBB255_258
	s_branch .LBB255_263
.LBB255_250:                            ;   in Loop: Header=BB255_233 Depth=1
	s_and_not1_saveexec_b32 s0, s19
.LBB255_251:                            ;   in Loop: Header=BB255_233 Depth=1
	v_mul_f32_e64 v10, 0x3f22f983, |v7|
	s_delay_alu instid0(VALU_DEP_1) | instskip(NEXT) | instid1(VALU_DEP_1)
	v_rndne_f32_e32 v11, v10
	v_fma_f32 v10, 0xbfc90fda, v11, |v7|
	v_cvt_i32_f32_e32 v17, v11
	s_delay_alu instid0(VALU_DEP_2) | instskip(NEXT) | instid1(VALU_DEP_1)
	v_fmac_f32_e32 v10, 0xb3a22168, v11
	v_fmac_f32_e32 v10, 0xa7c234c4, v11
; %bb.252:                              ;   in Loop: Header=BB255_233 Depth=1
	s_or_b32 exec_lo, exec_lo, s0
                                        ; implicit-def: $vgpr18
                                        ; implicit-def: $vgpr11
	s_and_saveexec_b32 s0, s18
	s_delay_alu instid0(SALU_CYCLE_1)
	s_xor_b32 s18, exec_lo, s0
	s_cbranch_execz .LBB255_254
; %bb.253:                              ;   in Loop: Header=BB255_233 Depth=1
	v_and_or_b32 v26, v5, s6, 0x800000
	v_lshrrev_b32_e32 v23, 23, v5
	s_delay_alu instid0(VALU_DEP_2) | instskip(NEXT) | instid1(VALU_DEP_2)
	v_mad_u64_u32 v[18:19], null, 0xfe5163ab, v26, 0
	v_add_nc_u32_e32 v24, 0xffffff88, v23
	s_delay_alu instid0(VALU_DEP_1) | instskip(NEXT) | instid1(VALU_DEP_3)
	v_cmp_lt_u32_e32 vcc_lo, 63, v24
	v_mov_b32_e32 v11, v19
	v_cndmask_b32_e64 v25, 0, 0xffffffc0, vcc_lo
	s_delay_alu instid0(VALU_DEP_2) | instskip(NEXT) | instid1(VALU_DEP_2)
	v_mad_u64_u32 v[19:20], null, 0x3c439041, v26, v[11:12]
	v_add_nc_u32_e32 v25, v25, v24
	s_delay_alu instid0(VALU_DEP_2) | instskip(NEXT) | instid1(VALU_DEP_2)
	v_mov_b32_e32 v11, v20
	v_cmp_lt_u32_e64 s0, 31, v25
	s_delay_alu instid0(VALU_DEP_2) | instskip(NEXT) | instid1(VALU_DEP_2)
	v_mad_u64_u32 v[20:21], null, 0xdb629599, v26, v[11:12]
	v_cndmask_b32_e64 v27, 0, 0xffffffe0, s0
	s_delay_alu instid0(VALU_DEP_1) | instskip(NEXT) | instid1(VALU_DEP_3)
	v_add_nc_u32_e32 v27, v27, v25
	v_dual_mov_b32 v11, v21 :: v_dual_cndmask_b32 v18, v20, v18
	s_delay_alu instid0(VALU_DEP_2) | instskip(NEXT) | instid1(VALU_DEP_2)
	v_cmp_lt_u32_e64 s1, 31, v27
	v_mad_u64_u32 v[21:22], null, 0xf534ddc0, v26, v[11:12]
	s_delay_alu instid0(VALU_DEP_1) | instskip(NEXT) | instid1(VALU_DEP_2)
	v_mov_b32_e32 v11, v22
	v_cndmask_b32_e32 v19, v21, v19, vcc_lo
	s_delay_alu instid0(VALU_DEP_2) | instskip(NEXT) | instid1(VALU_DEP_2)
	v_mad_u64_u32 v[22:23], null, 0xfc2757d1, v26, v[11:12]
	v_cndmask_b32_e64 v18, v19, v18, s0
	s_delay_alu instid0(VALU_DEP_2) | instskip(NEXT) | instid1(VALU_DEP_1)
	v_mov_b32_e32 v11, v23
	v_mad_u64_u32 v[23:24], null, 0x4e441529, v26, v[11:12]
	s_delay_alu instid0(VALU_DEP_1) | instskip(NEXT) | instid1(VALU_DEP_1)
	v_mov_b32_e32 v11, v24
	v_mad_u64_u32 v[24:25], null, 0xa2f9836e, v26, v[11:12]
	v_cndmask_b32_e64 v11, 0, 0xffffffe0, s1
	s_delay_alu instid0(VALU_DEP_4) | instskip(NEXT) | instid1(VALU_DEP_2)
	v_cndmask_b32_e32 v26, v23, v21, vcc_lo
	v_dual_cndmask_b32 v24, v24, v22 :: v_dual_add_nc_u32 v11, v11, v27
	s_delay_alu instid0(VALU_DEP_4) | instskip(NEXT) | instid1(VALU_DEP_2)
	v_dual_cndmask_b32 v23, v25, v23 :: v_dual_cndmask_b32 v22, v22, v20
	v_sub_nc_u32_e32 v25, 32, v11
	s_delay_alu instid0(VALU_DEP_3) | instskip(NEXT) | instid1(VALU_DEP_3)
	v_cndmask_b32_e64 v21, v24, v26, s0
	v_cndmask_b32_e64 v23, v23, v24, s0
	s_delay_alu instid0(VALU_DEP_4) | instskip(SKIP_2) | instid1(VALU_DEP_4)
	v_cndmask_b32_e64 v24, v26, v22, s0
	v_cndmask_b32_e64 v22, v22, v19, s0
	v_cmp_eq_u32_e64 s2, 0, v11
	v_cndmask_b32_e64 v23, v23, v21, s1
	s_delay_alu instid0(VALU_DEP_4) | instskip(NEXT) | instid1(VALU_DEP_4)
	v_cndmask_b32_e64 v21, v21, v24, s1
	v_cndmask_b32_e64 v24, v24, v22, s1
	;; [unrolled: 1-line block ×3, first 2 shown]
	s_delay_alu instid0(VALU_DEP_3) | instskip(NEXT) | instid1(VALU_DEP_3)
	v_alignbit_b32 v26, v23, v21, v25
	v_alignbit_b32 v27, v21, v24, v25
	s_delay_alu instid0(VALU_DEP_3) | instskip(NEXT) | instid1(VALU_DEP_3)
	v_alignbit_b32 v25, v24, v18, v25
	v_cndmask_b32_e64 v11, v26, v23, s2
	s_delay_alu instid0(VALU_DEP_3) | instskip(NEXT) | instid1(VALU_DEP_3)
	v_cndmask_b32_e64 v20, v27, v21, s2
	v_cndmask_b32_e64 v24, v25, v24, s2
	s_delay_alu instid0(VALU_DEP_3) | instskip(NEXT) | instid1(VALU_DEP_3)
	v_bfe_u32 v21, v11, 29, 1
	v_alignbit_b32 v19, v11, v20, 30
	s_delay_alu instid0(VALU_DEP_3) | instskip(SKIP_1) | instid1(VALU_DEP_4)
	v_alignbit_b32 v20, v20, v24, 30
	v_alignbit_b32 v18, v24, v18, 30
	v_sub_nc_u32_e32 v23, 0, v21
	s_delay_alu instid0(VALU_DEP_1) | instskip(SKIP_3) | instid1(VALU_DEP_4)
	v_xor_b32_e32 v22, v19, v23
	v_cmp_ne_u32_e32 vcc_lo, v19, v23
	v_xor_b32_e32 v20, v20, v23
	v_xor_b32_e32 v18, v18, v23
	v_clz_i32_u32_e32 v26, v22
	s_delay_alu instid0(VALU_DEP_1) | instskip(NEXT) | instid1(VALU_DEP_1)
	v_add_nc_u32_e32 v25, 1, v26
	v_cndmask_b32_e32 v19, 33, v25, vcc_lo
	s_delay_alu instid0(VALU_DEP_1) | instskip(NEXT) | instid1(VALU_DEP_1)
	v_sub_nc_u32_e32 v24, 32, v19
	v_alignbit_b32 v22, v22, v20, v24
	v_alignbit_b32 v18, v20, v18, v24
	v_lshrrev_b32_e32 v20, 29, v11
	s_delay_alu instid0(VALU_DEP_2) | instskip(NEXT) | instid1(VALU_DEP_2)
	v_alignbit_b32 v23, v22, v18, 9
	v_lshlrev_b32_e32 v20, 31, v20
	v_alignbit_b32 v22, v19, v22, 9
	s_delay_alu instid0(VALU_DEP_3) | instskip(NEXT) | instid1(VALU_DEP_2)
	v_clz_i32_u32_e32 v24, v23
	v_or_b32_e32 v22, v22, v20
	v_or_b32_e32 v20, 0x33800000, v20
	s_delay_alu instid0(VALU_DEP_3) | instskip(NEXT) | instid1(VALU_DEP_3)
	v_min_u32_e32 v24, 32, v24
	v_xor_b32_e32 v22, 1.0, v22
	s_delay_alu instid0(VALU_DEP_2) | instskip(SKIP_1) | instid1(VALU_DEP_3)
	v_sub_nc_u32_e32 v25, 31, v24
	v_add_lshl_u32 v19, v24, v19, 23
	v_mul_f32_e32 v24, 0x3fc90fda, v22
	s_delay_alu instid0(VALU_DEP_3) | instskip(NEXT) | instid1(VALU_DEP_3)
	v_alignbit_b32 v18, v23, v18, v25
	v_sub_nc_u32_e32 v19, v20, v19
	s_delay_alu instid0(VALU_DEP_3) | instskip(NEXT) | instid1(VALU_DEP_3)
	v_fma_f32 v20, 0x3fc90fda, v22, -v24
	v_lshrrev_b32_e32 v18, 9, v18
	s_delay_alu instid0(VALU_DEP_2) | instskip(NEXT) | instid1(VALU_DEP_2)
	v_fmac_f32_e32 v20, 0x33a22168, v22
	v_or_b32_e32 v18, v19, v18
	s_delay_alu instid0(VALU_DEP_1) | instskip(SKIP_1) | instid1(VALU_DEP_1)
	v_fmac_f32_e32 v20, 0x3fc90fda, v18
	v_lshrrev_b32_e32 v18, 30, v11
	v_dual_add_f32 v11, v24, v20 :: v_dual_add_nc_u32 v18, v21, v18
	s_and_not1_saveexec_b32 s0, s18
	s_cbranch_execnz .LBB255_255
	s_branch .LBB255_256
.LBB255_254:                            ;   in Loop: Header=BB255_233 Depth=1
	s_and_not1_saveexec_b32 s0, s18
.LBB255_255:                            ;   in Loop: Header=BB255_233 Depth=1
	v_mul_f32_e64 v11, 0x3f22f983, |v7|
	s_delay_alu instid0(VALU_DEP_1) | instskip(NEXT) | instid1(VALU_DEP_1)
	v_rndne_f32_e32 v18, v11
	v_fma_f32 v11, 0xbfc90fda, v18, |v7|
	s_delay_alu instid0(VALU_DEP_1) | instskip(NEXT) | instid1(VALU_DEP_1)
	v_fmac_f32_e32 v11, 0xb3a22168, v18
	v_fmac_f32_e32 v11, 0xa7c234c4, v18
	v_cvt_i32_f32_e32 v18, v18
.LBB255_256:                            ;   in Loop: Header=BB255_233 Depth=1
	s_or_b32 exec_lo, exec_lo, s0
	s_delay_alu instid0(VALU_DEP_1) | instskip(NEXT) | instid1(VALU_DEP_1)
	v_dual_sub_f32 v19, 0xc322e3bc, v6 :: v_dual_mul_f32 v24, v11, v11
	v_dual_mul_f32 v23, v10, v10 :: v_dual_mul_f32 v20, 0x3fb8aa3b, v19
	s_delay_alu instid0(VALU_DEP_1) | instskip(NEXT) | instid1(VALU_DEP_2)
	v_fmaak_f32 v25, s8, v23, 0xbab64f3b
	v_fma_f32 v21, 0x3fb8aa3b, v19, -v20
	v_rndne_f32_e32 v22, v20
	s_delay_alu instid0(VALU_DEP_1) | instskip(NEXT) | instid1(VALU_DEP_1)
	v_dual_fmac_f32 v21, 0x32a5705f, v19 :: v_dual_sub_f32 v20, v20, v22
	v_add_f32_e32 v20, v20, v21
	v_cvt_i32_f32_e32 v21, v22
	v_lshlrev_b32_e32 v22, 30, v17
	v_cmp_ngt_f32_e32 vcc_lo, 0xc2ce8ed0, v19
	v_and_b32_e32 v17, 1, v17
	v_exp_f32_e32 v20, v20
	s_waitcnt_depctr 0xfff
	v_ldexp_f32 v20, v20, v21
	v_and_b32_e32 v21, 1, v18
	v_lshlrev_b32_e32 v18, 30, v18
	v_dual_fmaak_f32 v26, s7, v23, 0x3c0881c4 :: v_dual_fmaak_f32 v27, s7, v24, 0x3c0881c4
	s_delay_alu instid0(VALU_DEP_4) | instskip(SKIP_1) | instid1(VALU_DEP_4)
	v_cndmask_b32_e32 v20, 0, v20, vcc_lo
	v_cmp_nlt_f32_e32 vcc_lo, 0x42b17218, v19
	v_and_or_b32 v5, 0x80000000, v18, v5
	v_fmaak_f32 v18, v23, v25, 0x3d2aabf7
	v_fmaak_f32 v25, v23, v26, 0xbe2aaa9d
	v_and_b32_e32 v22, 0x80000000, v22
	v_fmaak_f32 v27, v24, v27, 0xbe2aaa9d
	s_delay_alu instid0(VALU_DEP_4) | instskip(NEXT) | instid1(VALU_DEP_4)
	v_fmaak_f32 v18, v23, v18, 0xbf000004
	v_mul_f32_e32 v25, v23, v25
	v_cndmask_b32_e32 v19, 0x7f800000, v20, vcc_lo
	s_delay_alu instid0(VALU_DEP_4) | instskip(NEXT) | instid1(VALU_DEP_4)
	v_dual_fmaak_f32 v20, s8, v24, 0xbab64f3b :: v_dual_mul_f32 v27, v24, v27
	v_fma_f32 v18, v23, v18, 1.0
	s_delay_alu instid0(VALU_DEP_4) | instskip(NEXT) | instid1(VALU_DEP_4)
	v_fmac_f32_e32 v10, v10, v25
	v_lshrrev_b32_e32 v26, 23, v19
	s_delay_alu instid0(VALU_DEP_4) | instskip(SKIP_1) | instid1(VALU_DEP_3)
	v_dual_fmaak_f32 v20, v24, v20, 0x3d2aabf7 :: v_dual_fmac_f32 v11, v11, v27
	v_cmp_eq_u32_e32 vcc_lo, 0, v17
	v_subrev_nc_u32_e32 v26, 19, v26
	s_delay_alu instid0(VALU_DEP_3) | instskip(SKIP_2) | instid1(VALU_DEP_4)
	v_fmaak_f32 v20, v24, v20, 0xbf000004
	v_cndmask_b32_e64 v10, -v10, v18, vcc_lo
	v_cmp_eq_u32_e32 vcc_lo, 0, v21
	v_lshrrev_b16 v23, 15, v26
	s_delay_alu instid0(VALU_DEP_4) | instskip(NEXT) | instid1(VALU_DEP_4)
	v_fma_f32 v20, v24, v20, 1.0
	v_xor_b32_e32 v10, v22, v10
	s_delay_alu instid0(VALU_DEP_3) | instskip(NEXT) | instid1(VALU_DEP_3)
	v_add_nc_u16 v17, v26, v23
	v_cndmask_b32_e32 v11, v20, v11, vcc_lo
	v_cmp_class_f32_e64 vcc_lo, v7, 0x1f8
	s_delay_alu instid0(VALU_DEP_3) | instskip(NEXT) | instid1(VALU_DEP_3)
	v_ashrrev_i16 v17, 1, v17
	v_xor3_b32 v4, v5, v11, v4
	s_delay_alu instid0(VALU_DEP_2) | instskip(NEXT) | instid1(VALU_DEP_2)
	v_bfe_i32 v11, v17, 0, 16
	v_cndmask_b32_e32 v4, 0x7fc00000, v4, vcc_lo
	s_delay_alu instid0(VALU_DEP_2) | instskip(SKIP_3) | instid1(VALU_DEP_2)
	v_lshl_add_u32 v17, v11, 23, 1.0
	v_cndmask_b32_e32 v5, 0x7fc00000, v10, vcc_lo
	v_and_or_b32 v10, 0x7fffff, v19, s9
	v_sub_nc_u32_e32 v11, v26, v11
	v_mul_f32_e32 v4, v4, v10
	s_delay_alu instid0(VALU_DEP_2) | instskip(NEXT) | instid1(VALU_DEP_2)
	v_lshl_add_u32 v11, v11, 23, 1.0
	v_dual_mul_f32 v4, v4, v17 :: v_dual_mul_f32 v5, v5, v10
	s_delay_alu instid0(VALU_DEP_1) | instskip(NEXT) | instid1(VALU_DEP_1)
	v_dual_mul_f32 v4, v4, v11 :: v_dual_mul_f32 v5, v5, v17
	v_mul_f32_e32 v10, v5, v11
	s_or_b32 exec_lo, exec_lo, s17
                                        ; implicit-def: $vgpr11
                                        ; implicit-def: $vgpr17
.LBB255_257:                            ;   in Loop: Header=BB255_233 Depth=1
	s_and_not1_saveexec_b32 s0, s16
	s_cbranch_execz .LBB255_263
.LBB255_258:                            ;   in Loop: Header=BB255_233 Depth=1
	v_sub_f32_e32 v4, v7, v7
	s_mov_b32 s1, exec_lo
	v_cmpx_ne_u32_e32 0x7f800000, v17
	s_xor_b32 s1, exec_lo, s1
; %bb.259:                              ;   in Loop: Header=BB255_233 Depth=1
                                        ; implicit-def: $vgpr11
; %bb.260:                              ;   in Loop: Header=BB255_233 Depth=1
	s_delay_alu instid0(SALU_CYCLE_1)
	s_or_saveexec_b32 s1, s1
	v_mov_b32_e32 v10, v4
	s_xor_b32 exec_lo, exec_lo, s1
; %bb.261:                              ;   in Loop: Header=BB255_233 Depth=1
	v_cmp_lt_i32_e32 vcc_lo, -1, v11
	v_cndmask_b32_e64 v10, 0, -v6, vcc_lo
	v_cndmask_b32_e32 v4, 0, v4, vcc_lo
; %bb.262:                              ;   in Loop: Header=BB255_233 Depth=1
	s_or_b32 exec_lo, exec_lo, s1
.LBB255_263:                            ;   in Loop: Header=BB255_233 Depth=1
	s_delay_alu instid0(SALU_CYCLE_1)
	s_or_b32 exec_lo, exec_lo, s0
                                        ; implicit-def: $vgpr5
.LBB255_264:                            ;   in Loop: Header=BB255_233 Depth=1
	s_and_not1_saveexec_b32 s15, s15
	s_cbranch_execz .LBB255_274
; %bb.265:                              ;   in Loop: Header=BB255_233 Depth=1
	v_cmp_ngt_f32_e64 s16, 0x48000000, |v7|
                                        ; implicit-def: $vgpr17
                                        ; implicit-def: $vgpr10
	s_delay_alu instid0(VALU_DEP_1) | instskip(NEXT) | instid1(SALU_CYCLE_1)
	s_and_saveexec_b32 s0, s16
	s_xor_b32 s17, exec_lo, s0
	s_cbranch_execz .LBB255_267
; %bb.266:                              ;   in Loop: Header=BB255_233 Depth=1
	v_and_or_b32 v24, v5, s6, 0x800000
	v_lshrrev_b32_e32 v21, 23, v5
	s_delay_alu instid0(VALU_DEP_2) | instskip(NEXT) | instid1(VALU_DEP_2)
	v_mad_u64_u32 v[10:11], null, 0xfe5163ab, v24, 0
	v_add_nc_u32_e32 v22, 0xffffff88, v21
	s_delay_alu instid0(VALU_DEP_1) | instskip(NEXT) | instid1(VALU_DEP_3)
	v_cmp_lt_u32_e32 vcc_lo, 63, v22
	v_mad_u64_u32 v[17:18], null, 0x3c439041, v24, v[11:12]
	v_cndmask_b32_e64 v23, 0, 0xffffffc0, vcc_lo
	s_delay_alu instid0(VALU_DEP_2) | instskip(NEXT) | instid1(VALU_DEP_2)
	v_mov_b32_e32 v11, v18
	v_add_nc_u32_e32 v23, v23, v22
	s_delay_alu instid0(VALU_DEP_2) | instskip(NEXT) | instid1(VALU_DEP_2)
	v_mad_u64_u32 v[18:19], null, 0xdb629599, v24, v[11:12]
	v_cmp_lt_u32_e64 s0, 31, v23
	s_delay_alu instid0(VALU_DEP_1) | instskip(NEXT) | instid1(VALU_DEP_3)
	v_cndmask_b32_e64 v25, 0, 0xffffffe0, s0
	v_dual_mov_b32 v11, v19 :: v_dual_cndmask_b32 v10, v18, v10
	s_delay_alu instid0(VALU_DEP_2) | instskip(NEXT) | instid1(VALU_DEP_2)
	v_add_nc_u32_e32 v25, v25, v23
	v_mad_u64_u32 v[19:20], null, 0xf534ddc0, v24, v[11:12]
	s_delay_alu instid0(VALU_DEP_2) | instskip(NEXT) | instid1(VALU_DEP_2)
	v_cmp_lt_u32_e64 s1, 31, v25
	v_mov_b32_e32 v11, v20
	s_delay_alu instid0(VALU_DEP_3) | instskip(NEXT) | instid1(VALU_DEP_2)
	v_cndmask_b32_e32 v17, v19, v17, vcc_lo
	v_mad_u64_u32 v[20:21], null, 0xfc2757d1, v24, v[11:12]
	s_delay_alu instid0(VALU_DEP_2) | instskip(NEXT) | instid1(VALU_DEP_2)
	v_cndmask_b32_e64 v10, v17, v10, s0
	v_mov_b32_e32 v11, v21
	s_delay_alu instid0(VALU_DEP_1) | instskip(NEXT) | instid1(VALU_DEP_1)
	v_mad_u64_u32 v[21:22], null, 0x4e441529, v24, v[11:12]
	v_mov_b32_e32 v11, v22
	s_delay_alu instid0(VALU_DEP_1) | instskip(SKIP_1) | instid1(VALU_DEP_1)
	v_mad_u64_u32 v[22:23], null, 0xa2f9836e, v24, v[11:12]
	v_cndmask_b32_e64 v11, 0, 0xffffffe0, s1
	v_dual_cndmask_b32 v24, v21, v19 :: v_dual_add_nc_u32 v11, v11, v25
	s_delay_alu instid0(VALU_DEP_3) | instskip(SKIP_1) | instid1(VALU_DEP_3)
	v_dual_cndmask_b32 v22, v22, v20 :: v_dual_cndmask_b32 v21, v23, v21
	v_cndmask_b32_e32 v20, v20, v18, vcc_lo
	v_sub_nc_u32_e32 v23, 32, v11
	s_delay_alu instid0(VALU_DEP_3) | instskip(NEXT) | instid1(VALU_DEP_4)
	v_cndmask_b32_e64 v19, v22, v24, s0
	v_cndmask_b32_e64 v21, v21, v22, s0
	s_delay_alu instid0(VALU_DEP_4) | instskip(SKIP_2) | instid1(VALU_DEP_4)
	v_cndmask_b32_e64 v22, v24, v20, s0
	v_cndmask_b32_e64 v20, v20, v17, s0
	v_cmp_eq_u32_e64 s2, 0, v11
	v_cndmask_b32_e64 v21, v21, v19, s1
	s_delay_alu instid0(VALU_DEP_4) | instskip(NEXT) | instid1(VALU_DEP_4)
	v_cndmask_b32_e64 v19, v19, v22, s1
	v_cndmask_b32_e64 v22, v22, v20, s1
	;; [unrolled: 1-line block ×3, first 2 shown]
	s_delay_alu instid0(VALU_DEP_3) | instskip(NEXT) | instid1(VALU_DEP_3)
	v_alignbit_b32 v24, v21, v19, v23
	v_alignbit_b32 v25, v19, v22, v23
	s_delay_alu instid0(VALU_DEP_3) | instskip(NEXT) | instid1(VALU_DEP_3)
	v_alignbit_b32 v23, v22, v10, v23
	v_cndmask_b32_e64 v11, v24, v21, s2
	s_delay_alu instid0(VALU_DEP_3) | instskip(NEXT) | instid1(VALU_DEP_3)
	v_cndmask_b32_e64 v18, v25, v19, s2
	v_cndmask_b32_e64 v22, v23, v22, s2
	s_delay_alu instid0(VALU_DEP_3) | instskip(NEXT) | instid1(VALU_DEP_3)
	v_bfe_u32 v19, v11, 29, 1
	v_alignbit_b32 v17, v11, v18, 30
	s_delay_alu instid0(VALU_DEP_3) | instskip(SKIP_1) | instid1(VALU_DEP_4)
	v_alignbit_b32 v18, v18, v22, 30
	v_alignbit_b32 v10, v22, v10, 30
	v_sub_nc_u32_e32 v21, 0, v19
	s_delay_alu instid0(VALU_DEP_1) | instskip(SKIP_3) | instid1(VALU_DEP_4)
	v_xor_b32_e32 v20, v17, v21
	v_cmp_ne_u32_e32 vcc_lo, v17, v21
	v_xor_b32_e32 v18, v18, v21
	v_xor_b32_e32 v10, v10, v21
	v_clz_i32_u32_e32 v24, v20
	s_delay_alu instid0(VALU_DEP_1) | instskip(NEXT) | instid1(VALU_DEP_1)
	v_add_nc_u32_e32 v23, 1, v24
	v_cndmask_b32_e32 v17, 33, v23, vcc_lo
	s_delay_alu instid0(VALU_DEP_1) | instskip(NEXT) | instid1(VALU_DEP_1)
	v_sub_nc_u32_e32 v22, 32, v17
	v_alignbit_b32 v20, v20, v18, v22
	v_alignbit_b32 v10, v18, v10, v22
	v_lshrrev_b32_e32 v18, 29, v11
	v_lshrrev_b32_e32 v11, 30, v11
	s_delay_alu instid0(VALU_DEP_3) | instskip(NEXT) | instid1(VALU_DEP_3)
	v_alignbit_b32 v21, v20, v10, 9
	v_lshlrev_b32_e32 v18, 31, v18
	v_alignbit_b32 v20, v17, v20, 9
	s_delay_alu instid0(VALU_DEP_3) | instskip(NEXT) | instid1(VALU_DEP_2)
	v_clz_i32_u32_e32 v22, v21
	v_or_b32_e32 v20, v20, v18
	v_or_b32_e32 v18, 0x33800000, v18
	s_delay_alu instid0(VALU_DEP_3) | instskip(NEXT) | instid1(VALU_DEP_3)
	v_min_u32_e32 v22, 32, v22
	v_xor_b32_e32 v20, 1.0, v20
	s_delay_alu instid0(VALU_DEP_2) | instskip(SKIP_1) | instid1(VALU_DEP_3)
	v_sub_nc_u32_e32 v23, 31, v22
	v_add_lshl_u32 v17, v22, v17, 23
	v_mul_f32_e32 v22, 0x3fc90fda, v20
	s_delay_alu instid0(VALU_DEP_3) | instskip(NEXT) | instid1(VALU_DEP_3)
	v_alignbit_b32 v10, v21, v10, v23
	v_sub_nc_u32_e32 v17, v18, v17
	s_delay_alu instid0(VALU_DEP_3) | instskip(NEXT) | instid1(VALU_DEP_3)
	v_fma_f32 v18, 0x3fc90fda, v20, -v22
	v_lshrrev_b32_e32 v10, 9, v10
	s_delay_alu instid0(VALU_DEP_2) | instskip(NEXT) | instid1(VALU_DEP_2)
	v_fmac_f32_e32 v18, 0x33a22168, v20
	v_or_b32_e32 v10, v17, v10
	s_delay_alu instid0(VALU_DEP_1) | instskip(NEXT) | instid1(VALU_DEP_1)
	v_dual_fmac_f32 v18, 0x3fc90fda, v10 :: v_dual_add_nc_u32 v17, v19, v11
	v_add_f32_e32 v10, v22, v18
	s_and_not1_saveexec_b32 s0, s17
	s_branch .LBB255_268
.LBB255_267:                            ;   in Loop: Header=BB255_233 Depth=1
	s_and_not1_saveexec_b32 s0, s17
.LBB255_268:                            ;   in Loop: Header=BB255_233 Depth=1
	v_mul_f32_e64 v10, 0x3f22f983, |v7|
	s_delay_alu instid0(VALU_DEP_1) | instskip(NEXT) | instid1(VALU_DEP_1)
	v_rndne_f32_e32 v11, v10
	v_fma_f32 v10, 0xbfc90fda, v11, |v7|
	v_cvt_i32_f32_e32 v17, v11
	s_delay_alu instid0(VALU_DEP_2) | instskip(NEXT) | instid1(VALU_DEP_1)
	v_fmac_f32_e32 v10, 0xb3a22168, v11
	v_fmac_f32_e32 v10, 0xa7c234c4, v11
; %bb.269:                              ;   in Loop: Header=BB255_233 Depth=1
	s_or_b32 exec_lo, exec_lo, s0
                                        ; implicit-def: $vgpr18
                                        ; implicit-def: $vgpr11
	s_and_saveexec_b32 s0, s16
	s_delay_alu instid0(SALU_CYCLE_1)
	s_xor_b32 s16, exec_lo, s0
	s_cbranch_execz .LBB255_271
; %bb.270:                              ;   in Loop: Header=BB255_233 Depth=1
	v_and_or_b32 v26, v5, s6, 0x800000
	v_lshrrev_b32_e32 v23, 23, v5
	s_delay_alu instid0(VALU_DEP_2) | instskip(NEXT) | instid1(VALU_DEP_2)
	v_mad_u64_u32 v[18:19], null, 0xfe5163ab, v26, 0
	v_add_nc_u32_e32 v24, 0xffffff88, v23
	s_delay_alu instid0(VALU_DEP_1) | instskip(NEXT) | instid1(VALU_DEP_3)
	v_cmp_lt_u32_e32 vcc_lo, 63, v24
	v_mov_b32_e32 v11, v19
	v_cndmask_b32_e64 v25, 0, 0xffffffc0, vcc_lo
	s_delay_alu instid0(VALU_DEP_2) | instskip(NEXT) | instid1(VALU_DEP_2)
	v_mad_u64_u32 v[19:20], null, 0x3c439041, v26, v[11:12]
	v_add_nc_u32_e32 v25, v25, v24
	s_delay_alu instid0(VALU_DEP_2) | instskip(NEXT) | instid1(VALU_DEP_2)
	v_mov_b32_e32 v11, v20
	v_cmp_lt_u32_e64 s0, 31, v25
	s_delay_alu instid0(VALU_DEP_2) | instskip(NEXT) | instid1(VALU_DEP_2)
	v_mad_u64_u32 v[20:21], null, 0xdb629599, v26, v[11:12]
	v_cndmask_b32_e64 v27, 0, 0xffffffe0, s0
	s_delay_alu instid0(VALU_DEP_1) | instskip(NEXT) | instid1(VALU_DEP_3)
	v_add_nc_u32_e32 v27, v27, v25
	v_dual_mov_b32 v11, v21 :: v_dual_cndmask_b32 v18, v20, v18
	s_delay_alu instid0(VALU_DEP_2) | instskip(NEXT) | instid1(VALU_DEP_2)
	v_cmp_lt_u32_e64 s1, 31, v27
	v_mad_u64_u32 v[21:22], null, 0xf534ddc0, v26, v[11:12]
	s_delay_alu instid0(VALU_DEP_1) | instskip(NEXT) | instid1(VALU_DEP_2)
	v_mov_b32_e32 v11, v22
	v_cndmask_b32_e32 v19, v21, v19, vcc_lo
	s_delay_alu instid0(VALU_DEP_2) | instskip(NEXT) | instid1(VALU_DEP_2)
	v_mad_u64_u32 v[22:23], null, 0xfc2757d1, v26, v[11:12]
	v_cndmask_b32_e64 v18, v19, v18, s0
	s_delay_alu instid0(VALU_DEP_2) | instskip(NEXT) | instid1(VALU_DEP_1)
	v_mov_b32_e32 v11, v23
	v_mad_u64_u32 v[23:24], null, 0x4e441529, v26, v[11:12]
	s_delay_alu instid0(VALU_DEP_1) | instskip(NEXT) | instid1(VALU_DEP_1)
	v_mov_b32_e32 v11, v24
	v_mad_u64_u32 v[24:25], null, 0xa2f9836e, v26, v[11:12]
	v_cndmask_b32_e64 v11, 0, 0xffffffe0, s1
	s_delay_alu instid0(VALU_DEP_4) | instskip(NEXT) | instid1(VALU_DEP_2)
	v_cndmask_b32_e32 v26, v23, v21, vcc_lo
	v_dual_cndmask_b32 v24, v24, v22 :: v_dual_add_nc_u32 v11, v11, v27
	s_delay_alu instid0(VALU_DEP_4) | instskip(NEXT) | instid1(VALU_DEP_2)
	v_dual_cndmask_b32 v23, v25, v23 :: v_dual_cndmask_b32 v22, v22, v20
	v_sub_nc_u32_e32 v25, 32, v11
	s_delay_alu instid0(VALU_DEP_3) | instskip(NEXT) | instid1(VALU_DEP_3)
	v_cndmask_b32_e64 v21, v24, v26, s0
	v_cndmask_b32_e64 v23, v23, v24, s0
	s_delay_alu instid0(VALU_DEP_4) | instskip(SKIP_2) | instid1(VALU_DEP_4)
	v_cndmask_b32_e64 v24, v26, v22, s0
	v_cndmask_b32_e64 v22, v22, v19, s0
	v_cmp_eq_u32_e64 s2, 0, v11
	v_cndmask_b32_e64 v23, v23, v21, s1
	s_delay_alu instid0(VALU_DEP_4) | instskip(NEXT) | instid1(VALU_DEP_4)
	v_cndmask_b32_e64 v21, v21, v24, s1
	v_cndmask_b32_e64 v24, v24, v22, s1
	;; [unrolled: 1-line block ×3, first 2 shown]
	s_delay_alu instid0(VALU_DEP_3) | instskip(NEXT) | instid1(VALU_DEP_3)
	v_alignbit_b32 v26, v23, v21, v25
	v_alignbit_b32 v27, v21, v24, v25
	s_delay_alu instid0(VALU_DEP_3) | instskip(NEXT) | instid1(VALU_DEP_3)
	v_alignbit_b32 v25, v24, v18, v25
	v_cndmask_b32_e64 v11, v26, v23, s2
	s_delay_alu instid0(VALU_DEP_3) | instskip(NEXT) | instid1(VALU_DEP_3)
	v_cndmask_b32_e64 v20, v27, v21, s2
	v_cndmask_b32_e64 v24, v25, v24, s2
	s_delay_alu instid0(VALU_DEP_3) | instskip(NEXT) | instid1(VALU_DEP_3)
	v_bfe_u32 v21, v11, 29, 1
	v_alignbit_b32 v19, v11, v20, 30
	s_delay_alu instid0(VALU_DEP_3) | instskip(SKIP_1) | instid1(VALU_DEP_4)
	v_alignbit_b32 v20, v20, v24, 30
	v_alignbit_b32 v18, v24, v18, 30
	v_sub_nc_u32_e32 v23, 0, v21
	s_delay_alu instid0(VALU_DEP_1) | instskip(SKIP_3) | instid1(VALU_DEP_4)
	v_xor_b32_e32 v22, v19, v23
	v_cmp_ne_u32_e32 vcc_lo, v19, v23
	v_xor_b32_e32 v20, v20, v23
	v_xor_b32_e32 v18, v18, v23
	v_clz_i32_u32_e32 v26, v22
	s_delay_alu instid0(VALU_DEP_1) | instskip(NEXT) | instid1(VALU_DEP_1)
	v_add_nc_u32_e32 v25, 1, v26
	v_cndmask_b32_e32 v19, 33, v25, vcc_lo
	s_delay_alu instid0(VALU_DEP_1) | instskip(NEXT) | instid1(VALU_DEP_1)
	v_sub_nc_u32_e32 v24, 32, v19
	v_alignbit_b32 v22, v22, v20, v24
	v_alignbit_b32 v18, v20, v18, v24
	v_lshrrev_b32_e32 v20, 29, v11
	s_delay_alu instid0(VALU_DEP_2) | instskip(NEXT) | instid1(VALU_DEP_2)
	v_alignbit_b32 v23, v22, v18, 9
	v_lshlrev_b32_e32 v20, 31, v20
	v_alignbit_b32 v22, v19, v22, 9
	s_delay_alu instid0(VALU_DEP_3) | instskip(NEXT) | instid1(VALU_DEP_2)
	v_clz_i32_u32_e32 v24, v23
	v_or_b32_e32 v22, v22, v20
	v_or_b32_e32 v20, 0x33800000, v20
	s_delay_alu instid0(VALU_DEP_3) | instskip(NEXT) | instid1(VALU_DEP_3)
	v_min_u32_e32 v24, 32, v24
	v_xor_b32_e32 v22, 1.0, v22
	s_delay_alu instid0(VALU_DEP_2) | instskip(SKIP_1) | instid1(VALU_DEP_3)
	v_sub_nc_u32_e32 v25, 31, v24
	v_add_lshl_u32 v19, v24, v19, 23
	v_mul_f32_e32 v24, 0x3fc90fda, v22
	s_delay_alu instid0(VALU_DEP_3) | instskip(NEXT) | instid1(VALU_DEP_3)
	v_alignbit_b32 v18, v23, v18, v25
	v_sub_nc_u32_e32 v19, v20, v19
	s_delay_alu instid0(VALU_DEP_3) | instskip(NEXT) | instid1(VALU_DEP_3)
	v_fma_f32 v20, 0x3fc90fda, v22, -v24
	v_lshrrev_b32_e32 v18, 9, v18
	s_delay_alu instid0(VALU_DEP_2) | instskip(NEXT) | instid1(VALU_DEP_2)
	v_fmac_f32_e32 v20, 0x33a22168, v22
	v_or_b32_e32 v18, v19, v18
	s_delay_alu instid0(VALU_DEP_1) | instskip(SKIP_1) | instid1(VALU_DEP_1)
	v_fmac_f32_e32 v20, 0x3fc90fda, v18
	v_lshrrev_b32_e32 v18, 30, v11
	v_dual_add_f32 v11, v24, v20 :: v_dual_add_nc_u32 v18, v21, v18
	s_and_not1_saveexec_b32 s0, s16
	s_cbranch_execnz .LBB255_272
	s_branch .LBB255_273
.LBB255_271:                            ;   in Loop: Header=BB255_233 Depth=1
	s_and_not1_saveexec_b32 s0, s16
.LBB255_272:                            ;   in Loop: Header=BB255_233 Depth=1
	v_mul_f32_e64 v11, 0x3f22f983, |v7|
	s_delay_alu instid0(VALU_DEP_1) | instskip(NEXT) | instid1(VALU_DEP_1)
	v_rndne_f32_e32 v18, v11
	v_fma_f32 v11, 0xbfc90fda, v18, |v7|
	s_delay_alu instid0(VALU_DEP_1) | instskip(NEXT) | instid1(VALU_DEP_1)
	v_fmac_f32_e32 v11, 0xb3a22168, v18
	v_fmac_f32_e32 v11, 0xa7c234c4, v18
	v_cvt_i32_f32_e32 v18, v18
.LBB255_273:                            ;   in Loop: Header=BB255_233 Depth=1
	s_or_b32 exec_lo, exec_lo, s0
	s_delay_alu instid0(VALU_DEP_1) | instskip(SKIP_2) | instid1(VALU_DEP_3)
	v_dual_mul_f32 v19, v10, v10 :: v_dual_mul_f32 v20, v11, v11
	v_and_b32_e32 v21, 1, v17
	v_lshlrev_b32_e32 v17, 30, v17
	v_dual_fmaak_f32 v23, s8, v19, 0xbab64f3b :: v_dual_and_b32 v26, 1, v18
	s_delay_alu instid0(VALU_DEP_4) | instskip(SKIP_3) | instid1(VALU_DEP_4)
	v_fmaak_f32 v24, s7, v20, 0x3c0881c4
	v_dual_fmaak_f32 v25, s8, v20, 0xbab64f3b :: v_dual_lshlrev_b32 v18, 30, v18
	v_fmaak_f32 v22, s7, v19, 0x3c0881c4
	v_cmp_eq_u32_e32 vcc_lo, 0, v21
	v_fmaak_f32 v24, v20, v24, 0xbe2aaa9d
	s_delay_alu instid0(VALU_DEP_4)
	v_fmaak_f32 v25, v20, v25, 0x3d2aabf7
	v_fmaak_f32 v23, v19, v23, 0x3d2aabf7
	v_and_b32_e32 v17, 0x80000000, v17
	v_and_or_b32 v5, 0x80000000, v18, v5
	v_mul_f32_e32 v24, v20, v24
	v_fmaak_f32 v25, v20, v25, 0xbf000004
	s_delay_alu instid0(VALU_DEP_2) | instskip(NEXT) | instid1(VALU_DEP_2)
	v_fmac_f32_e32 v11, v11, v24
	v_fma_f32 v20, v20, v25, 1.0
	v_fmaak_f32 v22, v19, v22, 0xbe2aaa9d
	s_delay_alu instid0(VALU_DEP_1) | instskip(NEXT) | instid1(VALU_DEP_1)
	v_mul_f32_e32 v22, v19, v22
	v_dual_fmaak_f32 v23, v19, v23, 0xbf000004 :: v_dual_fmac_f32 v10, v10, v22
	s_delay_alu instid0(VALU_DEP_1) | instskip(NEXT) | instid1(VALU_DEP_1)
	v_fma_f32 v19, v19, v23, 1.0
	v_cndmask_b32_e64 v10, -v10, v19, vcc_lo
	v_cmp_eq_u32_e32 vcc_lo, 0, v26
	s_delay_alu instid0(VALU_DEP_2) | instskip(SKIP_2) | instid1(VALU_DEP_2)
	v_xor_b32_e32 v10, v17, v10
	v_cndmask_b32_e32 v11, v20, v11, vcc_lo
	v_cmp_class_f32_e64 vcc_lo, v7, 0x1f8
	v_xor3_b32 v4, v5, v11, v4
	s_delay_alu instid0(VALU_DEP_4) | instskip(NEXT) | instid1(VALU_DEP_2)
	v_cndmask_b32_e32 v10, 0x7fc00000, v10, vcc_lo
	v_cndmask_b32_e32 v4, 0x7fc00000, v4, vcc_lo
.LBB255_274:                            ;   in Loop: Header=BB255_233 Depth=1
	s_or_b32 exec_lo, exec_lo, s15
.LBB255_275:                            ;   in Loop: Header=BB255_233 Depth=1
	s_and_not1_saveexec_b32 s0, s14
	s_cbranch_execz .LBB255_277
; %bb.276:                              ;   in Loop: Header=BB255_233 Depth=1
	v_mul_f32_e32 v5, 0xbfb8aa3b, v6
	v_cmp_nlt_f32_e32 vcc_lo, 0x42ce8ed0, v6
	s_delay_alu instid0(VALU_DEP_2) | instskip(SKIP_1) | instid1(VALU_DEP_1)
	v_rndne_f32_e32 v7, v5
	v_fma_f32 v10, 0xbfb8aa3b, v6, -v5
	v_dual_sub_f32 v5, v5, v7 :: v_dual_fmac_f32 v10, 0xb2a5705f, v6
	v_cvt_i32_f32_e32 v7, v7
	s_delay_alu instid0(VALU_DEP_2) | instskip(NEXT) | instid1(VALU_DEP_1)
	v_add_f32_e32 v5, v5, v10
	v_exp_f32_e32 v5, v5
	s_waitcnt_depctr 0xfff
	v_ldexp_f32 v5, v5, v7
	s_delay_alu instid0(VALU_DEP_1) | instskip(SKIP_1) | instid1(VALU_DEP_2)
	v_cndmask_b32_e32 v5, 0, v5, vcc_lo
	v_cmp_ngt_f32_e32 vcc_lo, 0xc2b17218, v6
	v_cndmask_b32_e32 v10, 0x7f800000, v5, vcc_lo
.LBB255_277:                            ;   in Loop: Header=BB255_233 Depth=1
	s_or_b32 exec_lo, exec_lo, s0
	s_delay_alu instid0(VALU_DEP_1) | instskip(SKIP_1) | instid1(VALU_DEP_1)
	v_dual_add_f32 v7, s10, v10 :: v_dual_add_f32 v6, s11, v4
                                        ; implicit-def: $vgpr5
	s_mov_b32 s0, exec_lo
	v_cmp_gt_f32_e32 vcc_lo, 0, v7
	v_cndmask_b32_e64 v10, v7, -v7, vcc_lo
	s_delay_alu instid0(VALU_DEP_3) | instskip(SKIP_1) | instid1(VALU_DEP_1)
	v_cmp_gt_f32_e32 vcc_lo, 0, v6
	v_cndmask_b32_e64 v11, v6, -v6, vcc_lo
	v_cmpx_ge_f32_e32 v10, v11
	s_xor_b32 s1, exec_lo, s0
	s_cbranch_execz .LBB255_283
; %bb.278:                              ;   in Loop: Header=BB255_233 Depth=1
	v_cmp_neq_f32_e32 vcc_lo, 0, v7
	v_cmp_neq_f32_e64 s0, 0, v6
                                        ; implicit-def: $vgpr5
	s_delay_alu instid0(VALU_DEP_1) | instskip(NEXT) | instid1(SALU_CYCLE_1)
	s_or_b32 s0, vcc_lo, s0
	s_and_saveexec_b32 s2, s0
	s_delay_alu instid0(SALU_CYCLE_1)
	s_xor_b32 s0, exec_lo, s2
	s_cbranch_execz .LBB255_280
; %bb.279:                              ;   in Loop: Header=BB255_233 Depth=1
	v_div_scale_f32 v4, null, v7, v7, v6
	v_div_scale_f32 v11, vcc_lo, v6, v7, v6
	s_delay_alu instid0(VALU_DEP_2) | instskip(SKIP_2) | instid1(VALU_DEP_1)
	v_rcp_f32_e32 v5, v4
	s_waitcnt_depctr 0xfff
	v_fma_f32 v10, -v4, v5, 1.0
	v_fmac_f32_e32 v5, v10, v5
	s_delay_alu instid0(VALU_DEP_1) | instskip(NEXT) | instid1(VALU_DEP_1)
	v_mul_f32_e32 v10, v11, v5
	v_fma_f32 v17, -v4, v10, v11
	s_delay_alu instid0(VALU_DEP_1) | instskip(NEXT) | instid1(VALU_DEP_1)
	v_fmac_f32_e32 v10, v17, v5
	v_fma_f32 v4, -v4, v10, v11
	s_delay_alu instid0(VALU_DEP_1) | instskip(NEXT) | instid1(VALU_DEP_1)
	v_div_fmas_f32 v4, v4, v5, v10
	v_div_fixup_f32 v4, v4, v7, v6
	s_delay_alu instid0(VALU_DEP_1) | instskip(NEXT) | instid1(VALU_DEP_1)
	v_fmac_f32_e32 v7, v6, v4
	v_div_scale_f32 v5, null, v7, v7, 1.0
	v_div_scale_f32 v11, vcc_lo, 1.0, v7, 1.0
	s_delay_alu instid0(VALU_DEP_2) | instskip(SKIP_2) | instid1(VALU_DEP_1)
	v_rcp_f32_e32 v6, v5
	s_waitcnt_depctr 0xfff
	v_fma_f32 v10, -v5, v6, 1.0
	v_fmac_f32_e32 v6, v10, v6
	s_delay_alu instid0(VALU_DEP_1) | instskip(NEXT) | instid1(VALU_DEP_1)
	v_mul_f32_e32 v10, v11, v6
	v_fma_f32 v17, -v5, v10, v11
	s_delay_alu instid0(VALU_DEP_1) | instskip(NEXT) | instid1(VALU_DEP_1)
	v_fmac_f32_e32 v10, v17, v6
	v_fma_f32 v5, -v5, v10, v11
                                        ; implicit-def: $vgpr11
	s_delay_alu instid0(VALU_DEP_1) | instskip(SKIP_1) | instid1(VALU_DEP_2)
	v_div_fmas_f32 v5, v5, v6, v10
	v_fma_f32 v6, v4, s11, s10
                                        ; implicit-def: $vgpr10
	v_div_fixup_f32 v5, v5, v7, 1.0
	v_fma_f32 v7, -v4, s10, s11
	s_delay_alu instid0(VALU_DEP_2) | instskip(NEXT) | instid1(VALU_DEP_2)
	v_mul_f32_e32 v4, v6, v5
	v_mul_f32_e32 v5, v7, v5
.LBB255_280:                            ;   in Loop: Header=BB255_233 Depth=1
	s_and_not1_saveexec_b32 s2, s0
	s_cbranch_execz .LBB255_282
; %bb.281:                              ;   in Loop: Header=BB255_233 Depth=1
	v_div_scale_f32 v4, null, v10, v10, s10
	v_div_scale_f32 v5, null, v11, v11, s11
	v_div_scale_f32 v19, vcc_lo, s10, v10, s10
	s_delay_alu instid0(VALU_DEP_3) | instskip(NEXT) | instid1(VALU_DEP_2)
	v_rcp_f32_e32 v6, v4
	v_rcp_f32_e32 v7, v5
	s_waitcnt_depctr 0xfff
	v_fma_f32 v17, -v4, v6, 1.0
	v_fma_f32 v18, -v5, v7, 1.0
	s_delay_alu instid0(VALU_DEP_1) | instskip(SKIP_1) | instid1(VALU_DEP_2)
	v_dual_fmac_f32 v6, v17, v6 :: v_dual_fmac_f32 v7, v18, v7
	v_div_scale_f32 v17, s0, s11, v11, s11
	v_mul_f32_e32 v18, v19, v6
	s_delay_alu instid0(VALU_DEP_2) | instskip(NEXT) | instid1(VALU_DEP_2)
	v_mul_f32_e32 v20, v17, v7
	v_fma_f32 v21, -v4, v18, v19
	s_delay_alu instid0(VALU_DEP_2) | instskip(NEXT) | instid1(VALU_DEP_2)
	v_fma_f32 v22, -v5, v20, v17
	v_fmac_f32_e32 v18, v21, v6
	s_delay_alu instid0(VALU_DEP_2) | instskip(NEXT) | instid1(VALU_DEP_2)
	v_fmac_f32_e32 v20, v22, v7
	v_fma_f32 v4, -v4, v18, v19
	s_delay_alu instid0(VALU_DEP_2) | instskip(NEXT) | instid1(VALU_DEP_2)
	v_fma_f32 v5, -v5, v20, v17
	v_div_fmas_f32 v4, v4, v6, v18
	s_mov_b32 vcc_lo, s0
	s_delay_alu instid0(VALU_DEP_2) | instskip(NEXT) | instid1(VALU_DEP_2)
	v_div_fmas_f32 v5, v5, v7, v20
	v_div_fixup_f32 v4, v4, v10, s10
	s_delay_alu instid0(VALU_DEP_2)
	v_div_fixup_f32 v5, v5, v11, s11
.LBB255_282:                            ;   in Loop: Header=BB255_233 Depth=1
	s_or_b32 exec_lo, exec_lo, s2
                                        ; implicit-def: $vgpr6
                                        ; implicit-def: $vgpr7
.LBB255_283:                            ;   in Loop: Header=BB255_233 Depth=1
	s_and_not1_saveexec_b32 s0, s1
	s_cbranch_execz .LBB255_285
; %bb.284:                              ;   in Loop: Header=BB255_233 Depth=1
	v_div_scale_f32 v4, null, v6, v6, v7
	v_div_scale_f32 v11, vcc_lo, v7, v6, v7
	s_delay_alu instid0(VALU_DEP_2) | instskip(SKIP_2) | instid1(VALU_DEP_1)
	v_rcp_f32_e32 v5, v4
	s_waitcnt_depctr 0xfff
	v_fma_f32 v10, -v4, v5, 1.0
	v_fmac_f32_e32 v5, v10, v5
	s_delay_alu instid0(VALU_DEP_1) | instskip(NEXT) | instid1(VALU_DEP_1)
	v_mul_f32_e32 v10, v11, v5
	v_fma_f32 v17, -v4, v10, v11
	s_delay_alu instid0(VALU_DEP_1) | instskip(NEXT) | instid1(VALU_DEP_1)
	v_fmac_f32_e32 v10, v17, v5
	v_fma_f32 v4, -v4, v10, v11
	s_delay_alu instid0(VALU_DEP_1) | instskip(NEXT) | instid1(VALU_DEP_1)
	v_div_fmas_f32 v4, v4, v5, v10
	v_div_fixup_f32 v4, v4, v6, v7
	s_delay_alu instid0(VALU_DEP_1) | instskip(NEXT) | instid1(VALU_DEP_1)
	v_fmac_f32_e32 v6, v7, v4
	v_div_scale_f32 v5, null, v6, v6, 1.0
	v_div_scale_f32 v11, vcc_lo, 1.0, v6, 1.0
	s_delay_alu instid0(VALU_DEP_2) | instskip(SKIP_2) | instid1(VALU_DEP_1)
	v_rcp_f32_e32 v7, v5
	s_waitcnt_depctr 0xfff
	v_fma_f32 v10, -v5, v7, 1.0
	v_fmac_f32_e32 v7, v10, v7
	s_delay_alu instid0(VALU_DEP_1) | instskip(NEXT) | instid1(VALU_DEP_1)
	v_mul_f32_e32 v10, v11, v7
	v_fma_f32 v17, -v5, v10, v11
	s_delay_alu instid0(VALU_DEP_1) | instskip(NEXT) | instid1(VALU_DEP_1)
	v_fmac_f32_e32 v10, v17, v7
	v_fma_f32 v5, -v5, v10, v11
	s_delay_alu instid0(VALU_DEP_1) | instskip(SKIP_1) | instid1(VALU_DEP_2)
	v_div_fmas_f32 v5, v5, v7, v10
	v_fma_f32 v7, v4, s10, s11
	v_div_fixup_f32 v5, v5, v6, 1.0
	v_fma_f32 v6, v4, s11, -s10
	s_delay_alu instid0(VALU_DEP_2) | instskip(NEXT) | instid1(VALU_DEP_2)
	v_mul_f32_e32 v4, v7, v5
	v_mul_f32_e32 v5, v6, v5
.LBB255_285:                            ;   in Loop: Header=BB255_233 Depth=1
	s_or_b32 exec_lo, exec_lo, s0
	v_and_b32_e32 v6, 0x7fffffff, v9
	v_xor_b32_e32 v10, 0x80000000, v9
                                        ; implicit-def: $vgpr11
	s_mov_b32 s0, exec_lo
	s_delay_alu instid0(VALU_DEP_2)
	v_cmpx_ne_u32_e32 0, v6
	s_xor_b32 s14, exec_lo, s0
	s_cbranch_execz .LBB255_327
; %bb.286:                              ;   in Loop: Header=BB255_233 Depth=1
	v_and_b32_e32 v7, 0x7fffffff, v8
                                        ; implicit-def: $vgpr11
	s_mov_b32 s0, exec_lo
	s_delay_alu instid0(VALU_DEP_1)
	v_cmpx_ne_u32_e32 0, v7
	s_xor_b32 s15, exec_lo, s0
	s_cbranch_execz .LBB255_316
; %bb.287:                              ;   in Loop: Header=BB255_233 Depth=1
	v_xor_b32_e32 v17, 0x80000000, v8
                                        ; implicit-def: $vgpr11
	s_mov_b32 s0, exec_lo
	v_cmpx_gt_u32_e32 0x7f800000, v6
	s_xor_b32 s16, exec_lo, s0
	s_cbranch_execz .LBB255_309
; %bb.288:                              ;   in Loop: Header=BB255_233 Depth=1
	v_add_nc_u32_e32 v7, 0xbd4e8de8, v17
                                        ; implicit-def: $vgpr11
	s_mov_b32 s0, exec_lo
	s_delay_alu instid0(VALU_DEP_1)
	v_cmpx_lt_u32_e32 0x8e8e5c, v7
	s_xor_b32 s17, exec_lo, s0
	s_cbranch_execz .LBB255_298
; %bb.289:                              ;   in Loop: Header=BB255_233 Depth=1
	v_cmp_ngt_f32_e64 s18, 0x48000000, |v9|
                                        ; implicit-def: $vgpr17
                                        ; implicit-def: $vgpr7
	s_delay_alu instid0(VALU_DEP_1) | instskip(NEXT) | instid1(SALU_CYCLE_1)
	s_and_saveexec_b32 s0, s18
	s_xor_b32 s19, exec_lo, s0
	s_cbranch_execz .LBB255_291
; %bb.290:                              ;   in Loop: Header=BB255_233 Depth=1
	v_lshrrev_b32_e32 v22, 23, v6
	v_and_or_b32 v7, v6, s6, 0x800000
	s_delay_alu instid0(VALU_DEP_2) | instskip(NEXT) | instid1(VALU_DEP_2)
	v_add_nc_u32_e32 v23, 0xffffff88, v22
	v_mad_u64_u32 v[17:18], null, 0xfe5163ab, v7, 0
	s_delay_alu instid0(VALU_DEP_2) | instskip(SKIP_1) | instid1(VALU_DEP_1)
	v_cmp_lt_u32_e32 vcc_lo, 63, v23
	v_cndmask_b32_e64 v24, 0, 0xffffffc0, vcc_lo
	v_dual_mov_b32 v11, v18 :: v_dual_add_nc_u32 v24, v24, v23
	s_delay_alu instid0(VALU_DEP_1) | instskip(NEXT) | instid1(VALU_DEP_2)
	v_mad_u64_u32 v[18:19], null, 0x3c439041, v7, v[11:12]
	v_cmp_lt_u32_e64 s0, 31, v24
	s_delay_alu instid0(VALU_DEP_2) | instskip(NEXT) | instid1(VALU_DEP_2)
	v_mov_b32_e32 v11, v19
	v_cndmask_b32_e64 v25, 0, 0xffffffe0, s0
	s_delay_alu instid0(VALU_DEP_2) | instskip(NEXT) | instid1(VALU_DEP_2)
	v_mad_u64_u32 v[19:20], null, 0xdb629599, v7, v[11:12]
	v_add_nc_u32_e32 v25, v25, v24
	s_delay_alu instid0(VALU_DEP_1) | instskip(NEXT) | instid1(VALU_DEP_3)
	v_cmp_lt_u32_e64 s1, 31, v25
	v_mov_b32_e32 v11, v20
	s_delay_alu instid0(VALU_DEP_4) | instskip(NEXT) | instid1(VALU_DEP_2)
	v_cndmask_b32_e32 v17, v19, v17, vcc_lo
	v_mad_u64_u32 v[20:21], null, 0xf534ddc0, v7, v[11:12]
	s_delay_alu instid0(VALU_DEP_1) | instskip(NEXT) | instid1(VALU_DEP_1)
	v_dual_mov_b32 v11, v21 :: v_dual_cndmask_b32 v18, v20, v18
	v_mad_u64_u32 v[21:22], null, 0xfc2757d1, v7, v[11:12]
	s_delay_alu instid0(VALU_DEP_2) | instskip(NEXT) | instid1(VALU_DEP_2)
	v_cndmask_b32_e64 v17, v18, v17, s0
	v_mov_b32_e32 v11, v22
	s_delay_alu instid0(VALU_DEP_1) | instskip(NEXT) | instid1(VALU_DEP_1)
	v_mad_u64_u32 v[22:23], null, 0x4e441529, v7, v[11:12]
	v_mov_b32_e32 v11, v23
	s_delay_alu instid0(VALU_DEP_1) | instskip(SKIP_1) | instid1(VALU_DEP_4)
	v_mad_u64_u32 v[23:24], null, 0xa2f9836e, v7, v[11:12]
	v_cndmask_b32_e64 v7, 0, 0xffffffe0, s1
	v_cndmask_b32_e32 v11, v22, v20, vcc_lo
	s_delay_alu instid0(VALU_DEP_2) | instskip(NEXT) | instid1(VALU_DEP_4)
	v_add_nc_u32_e32 v7, v7, v25
	v_dual_cndmask_b32 v23, v23, v21 :: v_dual_cndmask_b32 v22, v24, v22
	v_cndmask_b32_e32 v21, v21, v19, vcc_lo
	s_delay_alu instid0(VALU_DEP_3) | instskip(NEXT) | instid1(VALU_DEP_3)
	v_cmp_eq_u32_e64 s2, 0, v7
	v_cndmask_b32_e64 v20, v23, v11, s0
	s_delay_alu instid0(VALU_DEP_4) | instskip(NEXT) | instid1(VALU_DEP_4)
	v_cndmask_b32_e64 v22, v22, v23, s0
	v_cndmask_b32_e64 v11, v11, v21, s0
	v_sub_nc_u32_e32 v23, 32, v7
	v_cndmask_b32_e64 v21, v21, v18, s0
	s_delay_alu instid0(VALU_DEP_4) | instskip(NEXT) | instid1(VALU_DEP_4)
	v_cndmask_b32_e64 v22, v22, v20, s1
	v_cndmask_b32_e64 v20, v20, v11, s1
	s_delay_alu instid0(VALU_DEP_3) | instskip(SKIP_1) | instid1(VALU_DEP_3)
	v_cndmask_b32_e64 v11, v11, v21, s1
	v_cndmask_b32_e64 v17, v21, v17, s1
	v_alignbit_b32 v24, v22, v20, v23
	s_delay_alu instid0(VALU_DEP_3) | instskip(NEXT) | instid1(VALU_DEP_3)
	v_alignbit_b32 v25, v20, v11, v23
	v_alignbit_b32 v23, v11, v17, v23
	s_delay_alu instid0(VALU_DEP_3) | instskip(NEXT) | instid1(VALU_DEP_3)
	v_cndmask_b32_e64 v7, v24, v22, s2
	v_cndmask_b32_e64 v19, v25, v20, s2
	s_delay_alu instid0(VALU_DEP_3) | instskip(NEXT) | instid1(VALU_DEP_3)
	v_cndmask_b32_e64 v11, v23, v11, s2
	v_bfe_u32 v20, v7, 29, 1
	s_delay_alu instid0(VALU_DEP_3) | instskip(NEXT) | instid1(VALU_DEP_3)
	v_alignbit_b32 v18, v7, v19, 30
	v_alignbit_b32 v19, v19, v11, 30
	;; [unrolled: 1-line block ×3, first 2 shown]
	s_delay_alu instid0(VALU_DEP_4) | instskip(NEXT) | instid1(VALU_DEP_1)
	v_sub_nc_u32_e32 v22, 0, v20
	v_xor_b32_e32 v21, v18, v22
	v_cmp_ne_u32_e32 vcc_lo, v18, v22
	v_xor_b32_e32 v17, v19, v22
	v_xor_b32_e32 v11, v11, v22
	s_delay_alu instid0(VALU_DEP_4) | instskip(NEXT) | instid1(VALU_DEP_1)
	v_clz_i32_u32_e32 v24, v21
	v_add_nc_u32_e32 v23, 1, v24
	s_delay_alu instid0(VALU_DEP_1) | instskip(NEXT) | instid1(VALU_DEP_1)
	v_cndmask_b32_e32 v18, 33, v23, vcc_lo
	v_sub_nc_u32_e32 v19, 32, v18
	s_delay_alu instid0(VALU_DEP_1) | instskip(SKIP_2) | instid1(VALU_DEP_2)
	v_alignbit_b32 v21, v21, v17, v19
	v_alignbit_b32 v11, v17, v11, v19
	v_lshrrev_b32_e32 v17, 29, v7
	v_alignbit_b32 v19, v21, v11, 9
	s_delay_alu instid0(VALU_DEP_2) | instskip(SKIP_1) | instid1(VALU_DEP_3)
	v_lshlrev_b32_e32 v17, 31, v17
	v_alignbit_b32 v21, v18, v21, 9
	v_clz_i32_u32_e32 v22, v19
	s_delay_alu instid0(VALU_DEP_2) | instskip(SKIP_1) | instid1(VALU_DEP_3)
	v_or_b32_e32 v21, v21, v17
	v_or_b32_e32 v17, 0x33800000, v17
	v_min_u32_e32 v22, 32, v22
	s_delay_alu instid0(VALU_DEP_3) | instskip(NEXT) | instid1(VALU_DEP_2)
	v_xor_b32_e32 v21, 1.0, v21
	v_sub_nc_u32_e32 v23, 31, v22
	v_add_lshl_u32 v18, v22, v18, 23
	s_delay_alu instid0(VALU_DEP_3) | instskip(NEXT) | instid1(VALU_DEP_3)
	v_mul_f32_e32 v22, 0x3fc90fda, v21
	v_alignbit_b32 v11, v19, v11, v23
	s_delay_alu instid0(VALU_DEP_3) | instskip(NEXT) | instid1(VALU_DEP_3)
	v_sub_nc_u32_e32 v17, v17, v18
	v_fma_f32 v18, 0x3fc90fda, v21, -v22
	s_delay_alu instid0(VALU_DEP_3) | instskip(NEXT) | instid1(VALU_DEP_2)
	v_lshrrev_b32_e32 v11, 9, v11
	v_fmac_f32_e32 v18, 0x33a22168, v21
	s_delay_alu instid0(VALU_DEP_2) | instskip(NEXT) | instid1(VALU_DEP_1)
	v_or_b32_e32 v11, v17, v11
	v_fmac_f32_e32 v18, 0x3fc90fda, v11
	v_lshrrev_b32_e32 v11, 30, v7
	s_delay_alu instid0(VALU_DEP_2) | instskip(NEXT) | instid1(VALU_DEP_2)
	v_add_f32_e32 v7, v22, v18
	v_add_nc_u32_e32 v17, v20, v11
	s_and_not1_saveexec_b32 s0, s19
	s_branch .LBB255_292
.LBB255_291:                            ;   in Loop: Header=BB255_233 Depth=1
	s_and_not1_saveexec_b32 s0, s19
.LBB255_292:                            ;   in Loop: Header=BB255_233 Depth=1
	v_mul_f32_e64 v7, 0x3f22f983, |v9|
	s_delay_alu instid0(VALU_DEP_1) | instskip(NEXT) | instid1(VALU_DEP_1)
	v_rndne_f32_e32 v11, v7
	v_fma_f32 v7, 0xbfc90fda, v11, |v9|
	v_cvt_i32_f32_e32 v17, v11
	s_delay_alu instid0(VALU_DEP_2) | instskip(NEXT) | instid1(VALU_DEP_1)
	v_fmac_f32_e32 v7, 0xb3a22168, v11
	v_fmac_f32_e32 v7, 0xa7c234c4, v11
; %bb.293:                              ;   in Loop: Header=BB255_233 Depth=1
	s_or_b32 exec_lo, exec_lo, s0
                                        ; implicit-def: $vgpr18
                                        ; implicit-def: $vgpr11
	s_and_saveexec_b32 s0, s18
	s_delay_alu instid0(SALU_CYCLE_1)
	s_xor_b32 s18, exec_lo, s0
	s_cbranch_execz .LBB255_295
; %bb.294:                              ;   in Loop: Header=BB255_233 Depth=1
	v_and_or_b32 v26, v6, s6, 0x800000
	v_lshrrev_b32_e32 v23, 23, v6
	s_delay_alu instid0(VALU_DEP_2) | instskip(NEXT) | instid1(VALU_DEP_2)
	v_mad_u64_u32 v[18:19], null, 0xfe5163ab, v26, 0
	v_add_nc_u32_e32 v24, 0xffffff88, v23
	s_delay_alu instid0(VALU_DEP_1) | instskip(NEXT) | instid1(VALU_DEP_3)
	v_cmp_lt_u32_e32 vcc_lo, 63, v24
	v_mov_b32_e32 v11, v19
	v_cndmask_b32_e64 v25, 0, 0xffffffc0, vcc_lo
	s_delay_alu instid0(VALU_DEP_2) | instskip(NEXT) | instid1(VALU_DEP_2)
	v_mad_u64_u32 v[19:20], null, 0x3c439041, v26, v[11:12]
	v_add_nc_u32_e32 v25, v25, v24
	s_delay_alu instid0(VALU_DEP_2) | instskip(NEXT) | instid1(VALU_DEP_2)
	v_mov_b32_e32 v11, v20
	v_cmp_lt_u32_e64 s0, 31, v25
	s_delay_alu instid0(VALU_DEP_2) | instskip(NEXT) | instid1(VALU_DEP_2)
	v_mad_u64_u32 v[20:21], null, 0xdb629599, v26, v[11:12]
	v_cndmask_b32_e64 v27, 0, 0xffffffe0, s0
	s_delay_alu instid0(VALU_DEP_1) | instskip(NEXT) | instid1(VALU_DEP_3)
	v_add_nc_u32_e32 v27, v27, v25
	v_dual_mov_b32 v11, v21 :: v_dual_cndmask_b32 v18, v20, v18
	s_delay_alu instid0(VALU_DEP_2) | instskip(NEXT) | instid1(VALU_DEP_2)
	v_cmp_lt_u32_e64 s1, 31, v27
	v_mad_u64_u32 v[21:22], null, 0xf534ddc0, v26, v[11:12]
	s_delay_alu instid0(VALU_DEP_1) | instskip(NEXT) | instid1(VALU_DEP_2)
	v_mov_b32_e32 v11, v22
	v_cndmask_b32_e32 v19, v21, v19, vcc_lo
	s_delay_alu instid0(VALU_DEP_2) | instskip(NEXT) | instid1(VALU_DEP_2)
	v_mad_u64_u32 v[22:23], null, 0xfc2757d1, v26, v[11:12]
	v_cndmask_b32_e64 v18, v19, v18, s0
	s_delay_alu instid0(VALU_DEP_2) | instskip(NEXT) | instid1(VALU_DEP_1)
	v_mov_b32_e32 v11, v23
	v_mad_u64_u32 v[23:24], null, 0x4e441529, v26, v[11:12]
	s_delay_alu instid0(VALU_DEP_1) | instskip(NEXT) | instid1(VALU_DEP_1)
	v_mov_b32_e32 v11, v24
	v_mad_u64_u32 v[24:25], null, 0xa2f9836e, v26, v[11:12]
	v_cndmask_b32_e64 v11, 0, 0xffffffe0, s1
	s_delay_alu instid0(VALU_DEP_4) | instskip(NEXT) | instid1(VALU_DEP_2)
	v_cndmask_b32_e32 v26, v23, v21, vcc_lo
	v_dual_cndmask_b32 v24, v24, v22 :: v_dual_add_nc_u32 v11, v11, v27
	s_delay_alu instid0(VALU_DEP_4) | instskip(NEXT) | instid1(VALU_DEP_2)
	v_dual_cndmask_b32 v23, v25, v23 :: v_dual_cndmask_b32 v22, v22, v20
	v_sub_nc_u32_e32 v25, 32, v11
	s_delay_alu instid0(VALU_DEP_3) | instskip(NEXT) | instid1(VALU_DEP_3)
	v_cndmask_b32_e64 v21, v24, v26, s0
	v_cndmask_b32_e64 v23, v23, v24, s0
	s_delay_alu instid0(VALU_DEP_4) | instskip(SKIP_2) | instid1(VALU_DEP_4)
	v_cndmask_b32_e64 v24, v26, v22, s0
	v_cndmask_b32_e64 v22, v22, v19, s0
	v_cmp_eq_u32_e64 s2, 0, v11
	v_cndmask_b32_e64 v23, v23, v21, s1
	s_delay_alu instid0(VALU_DEP_4) | instskip(NEXT) | instid1(VALU_DEP_4)
	v_cndmask_b32_e64 v21, v21, v24, s1
	v_cndmask_b32_e64 v24, v24, v22, s1
	;; [unrolled: 1-line block ×3, first 2 shown]
	s_delay_alu instid0(VALU_DEP_3) | instskip(NEXT) | instid1(VALU_DEP_3)
	v_alignbit_b32 v26, v23, v21, v25
	v_alignbit_b32 v27, v21, v24, v25
	s_delay_alu instid0(VALU_DEP_3) | instskip(NEXT) | instid1(VALU_DEP_3)
	v_alignbit_b32 v25, v24, v18, v25
	v_cndmask_b32_e64 v11, v26, v23, s2
	s_delay_alu instid0(VALU_DEP_3) | instskip(NEXT) | instid1(VALU_DEP_3)
	v_cndmask_b32_e64 v20, v27, v21, s2
	v_cndmask_b32_e64 v24, v25, v24, s2
	s_delay_alu instid0(VALU_DEP_3) | instskip(NEXT) | instid1(VALU_DEP_3)
	v_bfe_u32 v21, v11, 29, 1
	v_alignbit_b32 v19, v11, v20, 30
	s_delay_alu instid0(VALU_DEP_3) | instskip(SKIP_1) | instid1(VALU_DEP_4)
	v_alignbit_b32 v20, v20, v24, 30
	v_alignbit_b32 v18, v24, v18, 30
	v_sub_nc_u32_e32 v23, 0, v21
	s_delay_alu instid0(VALU_DEP_1) | instskip(SKIP_3) | instid1(VALU_DEP_4)
	v_xor_b32_e32 v22, v19, v23
	v_cmp_ne_u32_e32 vcc_lo, v19, v23
	v_xor_b32_e32 v20, v20, v23
	v_xor_b32_e32 v18, v18, v23
	v_clz_i32_u32_e32 v26, v22
	s_delay_alu instid0(VALU_DEP_1) | instskip(NEXT) | instid1(VALU_DEP_1)
	v_add_nc_u32_e32 v25, 1, v26
	v_cndmask_b32_e32 v19, 33, v25, vcc_lo
	s_delay_alu instid0(VALU_DEP_1) | instskip(NEXT) | instid1(VALU_DEP_1)
	v_sub_nc_u32_e32 v24, 32, v19
	v_alignbit_b32 v22, v22, v20, v24
	v_alignbit_b32 v18, v20, v18, v24
	v_lshrrev_b32_e32 v20, 29, v11
	s_delay_alu instid0(VALU_DEP_2) | instskip(NEXT) | instid1(VALU_DEP_2)
	v_alignbit_b32 v23, v22, v18, 9
	v_lshlrev_b32_e32 v20, 31, v20
	v_alignbit_b32 v22, v19, v22, 9
	s_delay_alu instid0(VALU_DEP_3) | instskip(NEXT) | instid1(VALU_DEP_2)
	v_clz_i32_u32_e32 v24, v23
	v_or_b32_e32 v22, v22, v20
	v_or_b32_e32 v20, 0x33800000, v20
	s_delay_alu instid0(VALU_DEP_3) | instskip(NEXT) | instid1(VALU_DEP_3)
	v_min_u32_e32 v24, 32, v24
	v_xor_b32_e32 v22, 1.0, v22
	s_delay_alu instid0(VALU_DEP_2) | instskip(SKIP_1) | instid1(VALU_DEP_3)
	v_sub_nc_u32_e32 v25, 31, v24
	v_add_lshl_u32 v19, v24, v19, 23
	v_mul_f32_e32 v24, 0x3fc90fda, v22
	s_delay_alu instid0(VALU_DEP_3) | instskip(NEXT) | instid1(VALU_DEP_3)
	v_alignbit_b32 v18, v23, v18, v25
	v_sub_nc_u32_e32 v19, v20, v19
	s_delay_alu instid0(VALU_DEP_3) | instskip(NEXT) | instid1(VALU_DEP_3)
	v_fma_f32 v20, 0x3fc90fda, v22, -v24
	v_lshrrev_b32_e32 v18, 9, v18
	s_delay_alu instid0(VALU_DEP_2) | instskip(NEXT) | instid1(VALU_DEP_2)
	v_fmac_f32_e32 v20, 0x33a22168, v22
	v_or_b32_e32 v18, v19, v18
	s_delay_alu instid0(VALU_DEP_1) | instskip(SKIP_1) | instid1(VALU_DEP_1)
	v_fmac_f32_e32 v20, 0x3fc90fda, v18
	v_lshrrev_b32_e32 v18, 30, v11
	v_dual_add_f32 v11, v24, v20 :: v_dual_add_nc_u32 v18, v21, v18
	s_and_not1_saveexec_b32 s0, s18
	s_cbranch_execnz .LBB255_296
	s_branch .LBB255_297
.LBB255_295:                            ;   in Loop: Header=BB255_233 Depth=1
	s_and_not1_saveexec_b32 s0, s18
.LBB255_296:                            ;   in Loop: Header=BB255_233 Depth=1
	v_mul_f32_e64 v11, 0x3f22f983, |v9|
	s_delay_alu instid0(VALU_DEP_1) | instskip(NEXT) | instid1(VALU_DEP_1)
	v_rndne_f32_e32 v18, v11
	v_fma_f32 v11, 0xbfc90fda, v18, |v9|
	s_delay_alu instid0(VALU_DEP_1) | instskip(NEXT) | instid1(VALU_DEP_1)
	v_fmac_f32_e32 v11, 0xb3a22168, v18
	v_fmac_f32_e32 v11, 0xa7c234c4, v18
	v_cvt_i32_f32_e32 v18, v18
.LBB255_297:                            ;   in Loop: Header=BB255_233 Depth=1
	s_or_b32 exec_lo, exec_lo, s0
	v_dual_mul_f32 v19, 0xbfb8aa3b, v8 :: v_dual_mul_f32 v20, v7, v7
	s_delay_alu instid0(VALU_DEP_2) | instskip(SKIP_1) | instid1(VALU_DEP_3)
	v_dual_mul_f32 v24, v11, v11 :: v_dual_and_b32 v21, 1, v17
	v_lshlrev_b32_e32 v17, 30, v17
	v_rndne_f32_e32 v22, v19
	s_delay_alu instid0(VALU_DEP_4) | instskip(SKIP_4) | instid1(VALU_DEP_4)
	v_fmaak_f32 v26, s7, v20, 0x3c0881c4
	v_fma_f32 v23, 0xbfb8aa3b, v8, -v19
	v_dual_fmaak_f32 v28, s7, v24, 0x3c0881c4 :: v_dual_and_b32 v25, 1, v18
	v_dual_fmaak_f32 v27, s8, v20, 0xbab64f3b :: v_dual_lshlrev_b32 v18, 30, v18
	v_sub_f32_e32 v19, v19, v22
	v_fmac_f32_e32 v23, 0xb2a5705f, v8
	v_fmaak_f32 v29, s8, v24, 0xbab64f3b
	v_cmp_eq_u32_e32 vcc_lo, 0, v21
	v_cvt_i32_f32_e32 v22, v22
	v_and_b32_e32 v17, 0x80000000, v17
	v_add_f32_e32 v19, v19, v23
	v_fmaak_f32 v23, v20, v26, 0xbe2aaa9d
	v_fmaak_f32 v26, v20, v27, 0x3d2aabf7
	;; [unrolled: 1-line block ×4, first 2 shown]
	v_exp_f32_e32 v19, v19
	v_mul_f32_e32 v23, v20, v23
	v_fmaak_f32 v26, v20, v26, 0xbf000004
	v_mul_f32_e32 v27, v24, v27
	v_fmaak_f32 v28, v24, v28, 0xbf000004
	v_and_or_b32 v6, 0x80000000, v18, v6
	v_fmac_f32_e32 v7, v7, v23
	v_fma_f32 v20, v20, v26, 1.0
	v_fmac_f32_e32 v11, v11, v27
	v_fma_f32 v23, v24, v28, 1.0
	v_ldexp_f32 v19, v19, v22
	v_cmp_ngt_f32_e64 s0, 0xc2b17218, v8
	v_cndmask_b32_e64 v7, -v7, v20, vcc_lo
	v_cmp_eq_u32_e32 vcc_lo, 0, v25
	s_delay_alu instid0(VALU_DEP_2) | instskip(SKIP_2) | instid1(VALU_DEP_2)
	v_xor_b32_e32 v7, v17, v7
	v_cndmask_b32_e32 v11, v23, v11, vcc_lo
	v_cmp_nlt_f32_e32 vcc_lo, 0x42ce8ed0, v8
	v_xor3_b32 v6, v6, v11, v10
	v_cndmask_b32_e32 v18, 0, v19, vcc_lo
	v_cmp_class_f32_e64 vcc_lo, v9, 0x1f8
	s_delay_alu instid0(VALU_DEP_2) | instskip(SKIP_1) | instid1(VALU_DEP_1)
	v_cndmask_b32_e64 v8, 0x7f800000, v18, s0
	v_cndmask_b32_e32 v7, 0x7fc00000, v7, vcc_lo
	v_dual_cndmask_b32 v6, 0x7fc00000, v6 :: v_dual_mul_f32 v11, v8, v7
	s_delay_alu instid0(VALU_DEP_1)
	v_mul_f32_e32 v10, v8, v6
                                        ; implicit-def: $vgpr6_vgpr7_vgpr8_vgpr9
                                        ; implicit-def: $vgpr6
.LBB255_298:                            ;   in Loop: Header=BB255_233 Depth=1
	s_and_not1_saveexec_b32 s17, s17
	s_cbranch_execz .LBB255_308
; %bb.299:                              ;   in Loop: Header=BB255_233 Depth=1
	v_cmp_ngt_f32_e64 s18, 0x48000000, |v9|
                                        ; implicit-def: $vgpr17
                                        ; implicit-def: $vgpr7
	s_delay_alu instid0(VALU_DEP_1) | instskip(NEXT) | instid1(SALU_CYCLE_1)
	s_and_saveexec_b32 s0, s18
	s_xor_b32 s19, exec_lo, s0
	s_cbranch_execz .LBB255_301
; %bb.300:                              ;   in Loop: Header=BB255_233 Depth=1
	v_lshrrev_b32_e32 v22, 23, v6
	v_and_or_b32 v7, v6, s6, 0x800000
	s_delay_alu instid0(VALU_DEP_2) | instskip(NEXT) | instid1(VALU_DEP_2)
	v_add_nc_u32_e32 v23, 0xffffff88, v22
	v_mad_u64_u32 v[17:18], null, 0xfe5163ab, v7, 0
	s_delay_alu instid0(VALU_DEP_2) | instskip(SKIP_1) | instid1(VALU_DEP_1)
	v_cmp_lt_u32_e32 vcc_lo, 63, v23
	v_cndmask_b32_e64 v24, 0, 0xffffffc0, vcc_lo
	v_dual_mov_b32 v11, v18 :: v_dual_add_nc_u32 v24, v24, v23
	s_delay_alu instid0(VALU_DEP_1) | instskip(NEXT) | instid1(VALU_DEP_2)
	v_mad_u64_u32 v[18:19], null, 0x3c439041, v7, v[11:12]
	v_cmp_lt_u32_e64 s0, 31, v24
	s_delay_alu instid0(VALU_DEP_2) | instskip(NEXT) | instid1(VALU_DEP_2)
	v_mov_b32_e32 v11, v19
	v_cndmask_b32_e64 v25, 0, 0xffffffe0, s0
	s_delay_alu instid0(VALU_DEP_2) | instskip(NEXT) | instid1(VALU_DEP_2)
	v_mad_u64_u32 v[19:20], null, 0xdb629599, v7, v[11:12]
	v_add_nc_u32_e32 v25, v25, v24
	s_delay_alu instid0(VALU_DEP_1) | instskip(NEXT) | instid1(VALU_DEP_3)
	v_cmp_lt_u32_e64 s1, 31, v25
	v_mov_b32_e32 v11, v20
	s_delay_alu instid0(VALU_DEP_4) | instskip(NEXT) | instid1(VALU_DEP_2)
	v_cndmask_b32_e32 v17, v19, v17, vcc_lo
	v_mad_u64_u32 v[20:21], null, 0xf534ddc0, v7, v[11:12]
	s_delay_alu instid0(VALU_DEP_1) | instskip(NEXT) | instid1(VALU_DEP_1)
	v_dual_mov_b32 v11, v21 :: v_dual_cndmask_b32 v18, v20, v18
	v_mad_u64_u32 v[21:22], null, 0xfc2757d1, v7, v[11:12]
	s_delay_alu instid0(VALU_DEP_2) | instskip(NEXT) | instid1(VALU_DEP_2)
	v_cndmask_b32_e64 v17, v18, v17, s0
	v_mov_b32_e32 v11, v22
	s_delay_alu instid0(VALU_DEP_1) | instskip(NEXT) | instid1(VALU_DEP_1)
	v_mad_u64_u32 v[22:23], null, 0x4e441529, v7, v[11:12]
	v_mov_b32_e32 v11, v23
	s_delay_alu instid0(VALU_DEP_1) | instskip(SKIP_1) | instid1(VALU_DEP_4)
	v_mad_u64_u32 v[23:24], null, 0xa2f9836e, v7, v[11:12]
	v_cndmask_b32_e64 v7, 0, 0xffffffe0, s1
	v_cndmask_b32_e32 v11, v22, v20, vcc_lo
	s_delay_alu instid0(VALU_DEP_2) | instskip(NEXT) | instid1(VALU_DEP_4)
	v_add_nc_u32_e32 v7, v7, v25
	v_dual_cndmask_b32 v23, v23, v21 :: v_dual_cndmask_b32 v22, v24, v22
	v_cndmask_b32_e32 v21, v21, v19, vcc_lo
	s_delay_alu instid0(VALU_DEP_3) | instskip(NEXT) | instid1(VALU_DEP_3)
	v_cmp_eq_u32_e64 s2, 0, v7
	v_cndmask_b32_e64 v20, v23, v11, s0
	s_delay_alu instid0(VALU_DEP_4) | instskip(NEXT) | instid1(VALU_DEP_4)
	v_cndmask_b32_e64 v22, v22, v23, s0
	v_cndmask_b32_e64 v11, v11, v21, s0
	v_sub_nc_u32_e32 v23, 32, v7
	v_cndmask_b32_e64 v21, v21, v18, s0
	s_delay_alu instid0(VALU_DEP_4) | instskip(NEXT) | instid1(VALU_DEP_4)
	v_cndmask_b32_e64 v22, v22, v20, s1
	v_cndmask_b32_e64 v20, v20, v11, s1
	s_delay_alu instid0(VALU_DEP_3) | instskip(SKIP_1) | instid1(VALU_DEP_3)
	v_cndmask_b32_e64 v11, v11, v21, s1
	v_cndmask_b32_e64 v17, v21, v17, s1
	v_alignbit_b32 v24, v22, v20, v23
	s_delay_alu instid0(VALU_DEP_3) | instskip(NEXT) | instid1(VALU_DEP_3)
	v_alignbit_b32 v25, v20, v11, v23
	v_alignbit_b32 v23, v11, v17, v23
	s_delay_alu instid0(VALU_DEP_3) | instskip(NEXT) | instid1(VALU_DEP_3)
	v_cndmask_b32_e64 v7, v24, v22, s2
	v_cndmask_b32_e64 v19, v25, v20, s2
	s_delay_alu instid0(VALU_DEP_3) | instskip(NEXT) | instid1(VALU_DEP_3)
	v_cndmask_b32_e64 v11, v23, v11, s2
	v_bfe_u32 v20, v7, 29, 1
	s_delay_alu instid0(VALU_DEP_3) | instskip(NEXT) | instid1(VALU_DEP_3)
	v_alignbit_b32 v18, v7, v19, 30
	v_alignbit_b32 v19, v19, v11, 30
	;; [unrolled: 1-line block ×3, first 2 shown]
	s_delay_alu instid0(VALU_DEP_4) | instskip(NEXT) | instid1(VALU_DEP_1)
	v_sub_nc_u32_e32 v22, 0, v20
	v_xor_b32_e32 v21, v18, v22
	v_cmp_ne_u32_e32 vcc_lo, v18, v22
	v_xor_b32_e32 v17, v19, v22
	v_xor_b32_e32 v11, v11, v22
	s_delay_alu instid0(VALU_DEP_4) | instskip(NEXT) | instid1(VALU_DEP_1)
	v_clz_i32_u32_e32 v24, v21
	v_add_nc_u32_e32 v23, 1, v24
	s_delay_alu instid0(VALU_DEP_1) | instskip(NEXT) | instid1(VALU_DEP_1)
	v_cndmask_b32_e32 v18, 33, v23, vcc_lo
	v_sub_nc_u32_e32 v19, 32, v18
	s_delay_alu instid0(VALU_DEP_1) | instskip(SKIP_2) | instid1(VALU_DEP_2)
	v_alignbit_b32 v21, v21, v17, v19
	v_alignbit_b32 v11, v17, v11, v19
	v_lshrrev_b32_e32 v17, 29, v7
	v_alignbit_b32 v19, v21, v11, 9
	s_delay_alu instid0(VALU_DEP_2) | instskip(SKIP_1) | instid1(VALU_DEP_3)
	v_lshlrev_b32_e32 v17, 31, v17
	v_alignbit_b32 v21, v18, v21, 9
	v_clz_i32_u32_e32 v22, v19
	s_delay_alu instid0(VALU_DEP_2) | instskip(SKIP_1) | instid1(VALU_DEP_3)
	v_or_b32_e32 v21, v21, v17
	v_or_b32_e32 v17, 0x33800000, v17
	v_min_u32_e32 v22, 32, v22
	s_delay_alu instid0(VALU_DEP_3) | instskip(NEXT) | instid1(VALU_DEP_2)
	v_xor_b32_e32 v21, 1.0, v21
	v_sub_nc_u32_e32 v23, 31, v22
	v_add_lshl_u32 v18, v22, v18, 23
	s_delay_alu instid0(VALU_DEP_3) | instskip(NEXT) | instid1(VALU_DEP_3)
	v_mul_f32_e32 v22, 0x3fc90fda, v21
	v_alignbit_b32 v11, v19, v11, v23
	s_delay_alu instid0(VALU_DEP_3) | instskip(NEXT) | instid1(VALU_DEP_3)
	v_sub_nc_u32_e32 v17, v17, v18
	v_fma_f32 v18, 0x3fc90fda, v21, -v22
	s_delay_alu instid0(VALU_DEP_3) | instskip(NEXT) | instid1(VALU_DEP_2)
	v_lshrrev_b32_e32 v11, 9, v11
	v_fmac_f32_e32 v18, 0x33a22168, v21
	s_delay_alu instid0(VALU_DEP_2) | instskip(NEXT) | instid1(VALU_DEP_1)
	v_or_b32_e32 v11, v17, v11
	v_fmac_f32_e32 v18, 0x3fc90fda, v11
	v_lshrrev_b32_e32 v11, 30, v7
	s_delay_alu instid0(VALU_DEP_2) | instskip(NEXT) | instid1(VALU_DEP_2)
	v_add_f32_e32 v7, v22, v18
	v_add_nc_u32_e32 v17, v20, v11
	s_and_not1_saveexec_b32 s0, s19
	s_branch .LBB255_302
.LBB255_301:                            ;   in Loop: Header=BB255_233 Depth=1
	s_and_not1_saveexec_b32 s0, s19
.LBB255_302:                            ;   in Loop: Header=BB255_233 Depth=1
	v_mul_f32_e64 v7, 0x3f22f983, |v9|
	s_delay_alu instid0(VALU_DEP_1) | instskip(NEXT) | instid1(VALU_DEP_1)
	v_rndne_f32_e32 v11, v7
	v_fma_f32 v7, 0xbfc90fda, v11, |v9|
	v_cvt_i32_f32_e32 v17, v11
	s_delay_alu instid0(VALU_DEP_2) | instskip(NEXT) | instid1(VALU_DEP_1)
	v_fmac_f32_e32 v7, 0xb3a22168, v11
	v_fmac_f32_e32 v7, 0xa7c234c4, v11
; %bb.303:                              ;   in Loop: Header=BB255_233 Depth=1
	s_or_b32 exec_lo, exec_lo, s0
                                        ; implicit-def: $vgpr18
                                        ; implicit-def: $vgpr11
	s_and_saveexec_b32 s0, s18
	s_delay_alu instid0(SALU_CYCLE_1)
	s_xor_b32 s18, exec_lo, s0
	s_cbranch_execz .LBB255_305
; %bb.304:                              ;   in Loop: Header=BB255_233 Depth=1
	v_and_or_b32 v26, v6, s6, 0x800000
	v_lshrrev_b32_e32 v23, 23, v6
	s_delay_alu instid0(VALU_DEP_2) | instskip(NEXT) | instid1(VALU_DEP_2)
	v_mad_u64_u32 v[18:19], null, 0xfe5163ab, v26, 0
	v_add_nc_u32_e32 v24, 0xffffff88, v23
	s_delay_alu instid0(VALU_DEP_1) | instskip(NEXT) | instid1(VALU_DEP_3)
	v_cmp_lt_u32_e32 vcc_lo, 63, v24
	v_mov_b32_e32 v11, v19
	v_cndmask_b32_e64 v25, 0, 0xffffffc0, vcc_lo
	s_delay_alu instid0(VALU_DEP_2) | instskip(NEXT) | instid1(VALU_DEP_2)
	v_mad_u64_u32 v[19:20], null, 0x3c439041, v26, v[11:12]
	v_add_nc_u32_e32 v25, v25, v24
	s_delay_alu instid0(VALU_DEP_2) | instskip(NEXT) | instid1(VALU_DEP_2)
	v_mov_b32_e32 v11, v20
	v_cmp_lt_u32_e64 s0, 31, v25
	s_delay_alu instid0(VALU_DEP_2) | instskip(NEXT) | instid1(VALU_DEP_2)
	v_mad_u64_u32 v[20:21], null, 0xdb629599, v26, v[11:12]
	v_cndmask_b32_e64 v27, 0, 0xffffffe0, s0
	s_delay_alu instid0(VALU_DEP_1) | instskip(NEXT) | instid1(VALU_DEP_3)
	v_add_nc_u32_e32 v27, v27, v25
	v_dual_mov_b32 v11, v21 :: v_dual_cndmask_b32 v18, v20, v18
	s_delay_alu instid0(VALU_DEP_2) | instskip(NEXT) | instid1(VALU_DEP_2)
	v_cmp_lt_u32_e64 s1, 31, v27
	v_mad_u64_u32 v[21:22], null, 0xf534ddc0, v26, v[11:12]
	s_delay_alu instid0(VALU_DEP_1) | instskip(NEXT) | instid1(VALU_DEP_2)
	v_mov_b32_e32 v11, v22
	v_cndmask_b32_e32 v19, v21, v19, vcc_lo
	s_delay_alu instid0(VALU_DEP_2) | instskip(NEXT) | instid1(VALU_DEP_2)
	v_mad_u64_u32 v[22:23], null, 0xfc2757d1, v26, v[11:12]
	v_cndmask_b32_e64 v18, v19, v18, s0
	s_delay_alu instid0(VALU_DEP_2) | instskip(NEXT) | instid1(VALU_DEP_1)
	v_mov_b32_e32 v11, v23
	v_mad_u64_u32 v[23:24], null, 0x4e441529, v26, v[11:12]
	s_delay_alu instid0(VALU_DEP_1) | instskip(NEXT) | instid1(VALU_DEP_1)
	v_mov_b32_e32 v11, v24
	v_mad_u64_u32 v[24:25], null, 0xa2f9836e, v26, v[11:12]
	v_cndmask_b32_e64 v11, 0, 0xffffffe0, s1
	s_delay_alu instid0(VALU_DEP_4) | instskip(NEXT) | instid1(VALU_DEP_2)
	v_cndmask_b32_e32 v26, v23, v21, vcc_lo
	v_dual_cndmask_b32 v24, v24, v22 :: v_dual_add_nc_u32 v11, v11, v27
	s_delay_alu instid0(VALU_DEP_4) | instskip(NEXT) | instid1(VALU_DEP_2)
	v_dual_cndmask_b32 v23, v25, v23 :: v_dual_cndmask_b32 v22, v22, v20
	v_sub_nc_u32_e32 v25, 32, v11
	s_delay_alu instid0(VALU_DEP_3) | instskip(NEXT) | instid1(VALU_DEP_3)
	v_cndmask_b32_e64 v21, v24, v26, s0
	v_cndmask_b32_e64 v23, v23, v24, s0
	s_delay_alu instid0(VALU_DEP_4) | instskip(SKIP_2) | instid1(VALU_DEP_4)
	v_cndmask_b32_e64 v24, v26, v22, s0
	v_cndmask_b32_e64 v22, v22, v19, s0
	v_cmp_eq_u32_e64 s2, 0, v11
	v_cndmask_b32_e64 v23, v23, v21, s1
	s_delay_alu instid0(VALU_DEP_4) | instskip(NEXT) | instid1(VALU_DEP_4)
	v_cndmask_b32_e64 v21, v21, v24, s1
	v_cndmask_b32_e64 v24, v24, v22, s1
	;; [unrolled: 1-line block ×3, first 2 shown]
	s_delay_alu instid0(VALU_DEP_3) | instskip(NEXT) | instid1(VALU_DEP_3)
	v_alignbit_b32 v26, v23, v21, v25
	v_alignbit_b32 v27, v21, v24, v25
	s_delay_alu instid0(VALU_DEP_3) | instskip(NEXT) | instid1(VALU_DEP_3)
	v_alignbit_b32 v25, v24, v18, v25
	v_cndmask_b32_e64 v11, v26, v23, s2
	s_delay_alu instid0(VALU_DEP_3) | instskip(NEXT) | instid1(VALU_DEP_3)
	v_cndmask_b32_e64 v20, v27, v21, s2
	v_cndmask_b32_e64 v24, v25, v24, s2
	s_delay_alu instid0(VALU_DEP_3) | instskip(NEXT) | instid1(VALU_DEP_3)
	v_bfe_u32 v21, v11, 29, 1
	v_alignbit_b32 v19, v11, v20, 30
	s_delay_alu instid0(VALU_DEP_3) | instskip(SKIP_1) | instid1(VALU_DEP_4)
	v_alignbit_b32 v20, v20, v24, 30
	v_alignbit_b32 v18, v24, v18, 30
	v_sub_nc_u32_e32 v23, 0, v21
	s_delay_alu instid0(VALU_DEP_1) | instskip(SKIP_3) | instid1(VALU_DEP_4)
	v_xor_b32_e32 v22, v19, v23
	v_cmp_ne_u32_e32 vcc_lo, v19, v23
	v_xor_b32_e32 v20, v20, v23
	v_xor_b32_e32 v18, v18, v23
	v_clz_i32_u32_e32 v26, v22
	s_delay_alu instid0(VALU_DEP_1) | instskip(NEXT) | instid1(VALU_DEP_1)
	v_add_nc_u32_e32 v25, 1, v26
	v_cndmask_b32_e32 v19, 33, v25, vcc_lo
	s_delay_alu instid0(VALU_DEP_1) | instskip(NEXT) | instid1(VALU_DEP_1)
	v_sub_nc_u32_e32 v24, 32, v19
	v_alignbit_b32 v22, v22, v20, v24
	v_alignbit_b32 v18, v20, v18, v24
	v_lshrrev_b32_e32 v20, 29, v11
	s_delay_alu instid0(VALU_DEP_2) | instskip(NEXT) | instid1(VALU_DEP_2)
	v_alignbit_b32 v23, v22, v18, 9
	v_lshlrev_b32_e32 v20, 31, v20
	v_alignbit_b32 v22, v19, v22, 9
	s_delay_alu instid0(VALU_DEP_3) | instskip(NEXT) | instid1(VALU_DEP_2)
	v_clz_i32_u32_e32 v24, v23
	v_or_b32_e32 v22, v22, v20
	v_or_b32_e32 v20, 0x33800000, v20
	s_delay_alu instid0(VALU_DEP_3) | instskip(NEXT) | instid1(VALU_DEP_3)
	v_min_u32_e32 v24, 32, v24
	v_xor_b32_e32 v22, 1.0, v22
	s_delay_alu instid0(VALU_DEP_2) | instskip(SKIP_1) | instid1(VALU_DEP_3)
	v_sub_nc_u32_e32 v25, 31, v24
	v_add_lshl_u32 v19, v24, v19, 23
	v_mul_f32_e32 v24, 0x3fc90fda, v22
	s_delay_alu instid0(VALU_DEP_3) | instskip(NEXT) | instid1(VALU_DEP_3)
	v_alignbit_b32 v18, v23, v18, v25
	v_sub_nc_u32_e32 v19, v20, v19
	s_delay_alu instid0(VALU_DEP_3) | instskip(NEXT) | instid1(VALU_DEP_3)
	v_fma_f32 v20, 0x3fc90fda, v22, -v24
	v_lshrrev_b32_e32 v18, 9, v18
	s_delay_alu instid0(VALU_DEP_2) | instskip(NEXT) | instid1(VALU_DEP_2)
	v_fmac_f32_e32 v20, 0x33a22168, v22
	v_or_b32_e32 v18, v19, v18
	s_delay_alu instid0(VALU_DEP_1) | instskip(SKIP_1) | instid1(VALU_DEP_1)
	v_fmac_f32_e32 v20, 0x3fc90fda, v18
	v_lshrrev_b32_e32 v18, 30, v11
	v_dual_add_f32 v11, v24, v20 :: v_dual_add_nc_u32 v18, v21, v18
	s_and_not1_saveexec_b32 s0, s18
	s_cbranch_execnz .LBB255_306
	s_branch .LBB255_307
.LBB255_305:                            ;   in Loop: Header=BB255_233 Depth=1
	s_and_not1_saveexec_b32 s0, s18
.LBB255_306:                            ;   in Loop: Header=BB255_233 Depth=1
	v_mul_f32_e64 v11, 0x3f22f983, |v9|
	s_delay_alu instid0(VALU_DEP_1) | instskip(NEXT) | instid1(VALU_DEP_1)
	v_rndne_f32_e32 v18, v11
	v_fma_f32 v11, 0xbfc90fda, v18, |v9|
	s_delay_alu instid0(VALU_DEP_1) | instskip(NEXT) | instid1(VALU_DEP_1)
	v_fmac_f32_e32 v11, 0xb3a22168, v18
	v_fmac_f32_e32 v11, 0xa7c234c4, v18
	v_cvt_i32_f32_e32 v18, v18
.LBB255_307:                            ;   in Loop: Header=BB255_233 Depth=1
	s_or_b32 exec_lo, exec_lo, s0
	s_delay_alu instid0(VALU_DEP_1) | instskip(NEXT) | instid1(VALU_DEP_1)
	v_dual_sub_f32 v8, 0xc322e3bc, v8 :: v_dual_mul_f32 v23, v11, v11
	v_dual_mul_f32 v22, v7, v7 :: v_dual_mul_f32 v19, 0x3fb8aa3b, v8
	s_delay_alu instid0(VALU_DEP_1) | instskip(NEXT) | instid1(VALU_DEP_2)
	v_fmaak_f32 v24, s8, v22, 0xbab64f3b
	v_fma_f32 v20, 0x3fb8aa3b, v8, -v19
	v_rndne_f32_e32 v21, v19
	s_delay_alu instid0(VALU_DEP_1) | instskip(SKIP_1) | instid1(VALU_DEP_2)
	v_dual_sub_f32 v19, v19, v21 :: v_dual_fmac_f32 v20, 0x32a5705f, v8
	v_cmp_ngt_f32_e32 vcc_lo, 0xc2ce8ed0, v8
	v_add_f32_e32 v19, v19, v20
	v_cvt_i32_f32_e32 v20, v21
	v_lshlrev_b32_e32 v21, 30, v17
	v_and_b32_e32 v17, 1, v17
	s_delay_alu instid0(VALU_DEP_4)
	v_exp_f32_e32 v19, v19
	s_waitcnt_depctr 0xfff
	v_ldexp_f32 v19, v19, v20
	v_and_b32_e32 v20, 1, v18
	v_lshlrev_b32_e32 v18, 30, v18
	v_dual_fmaak_f32 v25, s7, v22, 0x3c0881c4 :: v_dual_fmaak_f32 v26, s7, v23, 0x3c0881c4
	s_delay_alu instid0(VALU_DEP_4) | instskip(SKIP_1) | instid1(VALU_DEP_4)
	v_cndmask_b32_e32 v19, 0, v19, vcc_lo
	v_cmp_nlt_f32_e32 vcc_lo, 0x42b17218, v8
	v_and_or_b32 v6, 0x80000000, v18, v6
	v_fmaak_f32 v18, v22, v24, 0x3d2aabf7
	v_fmaak_f32 v24, v22, v25, 0xbe2aaa9d
	v_and_b32_e32 v21, 0x80000000, v21
	v_fmaak_f32 v26, v23, v26, 0xbe2aaa9d
	s_delay_alu instid0(VALU_DEP_3) | instskip(SKIP_1) | instid1(VALU_DEP_3)
	v_mul_f32_e32 v24, v22, v24
	v_cndmask_b32_e32 v8, 0x7f800000, v19, vcc_lo
	v_dual_fmaak_f32 v19, s8, v23, 0xbab64f3b :: v_dual_mul_f32 v26, v23, v26
	v_cmp_eq_u32_e32 vcc_lo, 0, v17
	s_delay_alu instid0(VALU_DEP_4) | instskip(NEXT) | instid1(VALU_DEP_4)
	v_fmac_f32_e32 v7, v7, v24
	v_lshrrev_b32_e32 v25, 23, v8
	v_and_or_b32 v8, 0x7fffff, v8, s9
	v_fmaak_f32 v19, v23, v19, 0x3d2aabf7
	v_fmaak_f32 v18, v22, v18, 0xbf000004
	v_fmac_f32_e32 v11, v11, v26
	v_subrev_nc_u32_e32 v25, 19, v25
	s_delay_alu instid0(VALU_DEP_4) | instskip(NEXT) | instid1(VALU_DEP_4)
	v_fmaak_f32 v19, v23, v19, 0xbf000004
	v_fma_f32 v18, v22, v18, 1.0
	s_delay_alu instid0(VALU_DEP_3) | instskip(NEXT) | instid1(VALU_DEP_3)
	v_lshrrev_b16 v22, 15, v25
	v_fma_f32 v19, v23, v19, 1.0
	s_delay_alu instid0(VALU_DEP_3) | instskip(SKIP_1) | instid1(VALU_DEP_4)
	v_cndmask_b32_e64 v7, -v7, v18, vcc_lo
	v_cmp_eq_u32_e32 vcc_lo, 0, v20
	v_add_nc_u16 v17, v25, v22
	s_delay_alu instid0(VALU_DEP_3) | instskip(SKIP_1) | instid1(VALU_DEP_3)
	v_xor_b32_e32 v7, v21, v7
	v_cndmask_b32_e32 v11, v19, v11, vcc_lo
	v_ashrrev_i16 v17, 1, v17
	v_cmp_class_f32_e64 vcc_lo, v9, 0x1f8
	s_delay_alu instid0(VALU_DEP_3) | instskip(NEXT) | instid1(VALU_DEP_3)
	v_xor3_b32 v6, v6, v11, v10
	v_bfe_i32 v9, v17, 0, 16
	s_delay_alu instid0(VALU_DEP_2) | instskip(NEXT) | instid1(VALU_DEP_2)
	v_cndmask_b32_e32 v6, 0x7fc00000, v6, vcc_lo
	v_lshl_add_u32 v10, v9, 23, 1.0
	v_sub_nc_u32_e32 v9, v25, v9
	s_delay_alu instid0(VALU_DEP_3) | instskip(NEXT) | instid1(VALU_DEP_1)
	v_mul_f32_e32 v6, v6, v8
	v_dual_mul_f32 v6, v6, v10 :: v_dual_cndmask_b32 v7, 0x7fc00000, v7
	s_delay_alu instid0(VALU_DEP_1) | instskip(NEXT) | instid1(VALU_DEP_4)
	v_mul_f32_e32 v7, v7, v8
	v_lshl_add_u32 v8, v9, 23, 1.0
	s_delay_alu instid0(VALU_DEP_1) | instskip(NEXT) | instid1(VALU_DEP_1)
	v_dual_mul_f32 v7, v7, v10 :: v_dual_mul_f32 v10, v6, v8
	v_mul_f32_e32 v11, v7, v8
.LBB255_308:                            ;   in Loop: Header=BB255_233 Depth=1
	s_or_b32 exec_lo, exec_lo, s17
                                        ; implicit-def: $vgpr6_vgpr7_vgpr8_vgpr9
                                        ; implicit-def: $vgpr17
                                        ; implicit-def: $vgpr7
.LBB255_309:                            ;   in Loop: Header=BB255_233 Depth=1
	s_and_not1_saveexec_b32 s0, s16
	s_cbranch_execz .LBB255_315
; %bb.310:                              ;   in Loop: Header=BB255_233 Depth=1
	v_sub_f32_e32 v10, v9, v9
	s_mov_b32 s1, exec_lo
	v_cmpx_ne_u32_e32 0x7f800000, v7
	s_xor_b32 s1, exec_lo, s1
; %bb.311:                              ;   in Loop: Header=BB255_233 Depth=1
                                        ; implicit-def: $vgpr17
                                        ; implicit-def: $vgpr6_vgpr7_vgpr8_vgpr9
; %bb.312:                              ;   in Loop: Header=BB255_233 Depth=1
	s_delay_alu instid0(SALU_CYCLE_1)
	s_or_saveexec_b32 s1, s1
	v_mov_b32_e32 v11, v10
	s_xor_b32 exec_lo, exec_lo, s1
; %bb.313:                              ;   in Loop: Header=BB255_233 Depth=1
	v_cmp_lt_i32_e32 vcc_lo, -1, v17
	v_cndmask_b32_e64 v11, 0, -v8, vcc_lo
	v_cndmask_b32_e32 v10, 0, v10, vcc_lo
; %bb.314:                              ;   in Loop: Header=BB255_233 Depth=1
	s_or_b32 exec_lo, exec_lo, s1
.LBB255_315:                            ;   in Loop: Header=BB255_233 Depth=1
	s_delay_alu instid0(SALU_CYCLE_1)
	s_or_b32 exec_lo, exec_lo, s0
                                        ; implicit-def: $vgpr6_vgpr7_vgpr8_vgpr9
                                        ; implicit-def: $vgpr6
.LBB255_316:                            ;   in Loop: Header=BB255_233 Depth=1
	s_and_not1_saveexec_b32 s15, s15
	s_cbranch_execz .LBB255_326
; %bb.317:                              ;   in Loop: Header=BB255_233 Depth=1
	v_cmp_ngt_f32_e64 s16, 0x48000000, |v9|
                                        ; implicit-def: $vgpr8
                                        ; implicit-def: $vgpr7
	s_delay_alu instid0(VALU_DEP_1) | instskip(NEXT) | instid1(SALU_CYCLE_1)
	s_and_saveexec_b32 s0, s16
	s_xor_b32 s17, exec_lo, s0
	s_cbranch_execz .LBB255_319
; %bb.318:                              ;   in Loop: Header=BB255_233 Depth=1
	v_and_or_b32 v24, v6, s6, 0x800000
	s_delay_alu instid0(VALU_DEP_1) | instskip(NEXT) | instid1(VALU_DEP_1)
	v_mad_u64_u32 v[7:8], null, 0xfe5163ab, v24, 0
	v_mov_b32_e32 v11, v8
	v_lshrrev_b32_e32 v8, 23, v6
	s_delay_alu instid0(VALU_DEP_1) | instskip(NEXT) | instid1(VALU_DEP_3)
	v_add_nc_u32_e32 v8, 0xffffff88, v8
	v_mad_u64_u32 v[17:18], null, 0x3c439041, v24, v[11:12]
	s_delay_alu instid0(VALU_DEP_2) | instskip(SKIP_1) | instid1(VALU_DEP_1)
	v_cmp_lt_u32_e32 vcc_lo, 63, v8
	v_cndmask_b32_e64 v22, 0, 0xffffffc0, vcc_lo
	v_add_nc_u32_e32 v8, v22, v8
	s_delay_alu instid0(VALU_DEP_1) | instskip(NEXT) | instid1(VALU_DEP_1)
	v_cmp_lt_u32_e64 s0, 31, v8
	v_cndmask_b32_e64 v23, 0, 0xffffffe0, s0
	s_delay_alu instid0(VALU_DEP_1) | instskip(NEXT) | instid1(VALU_DEP_1)
	v_dual_mov_b32 v11, v18 :: v_dual_add_nc_u32 v8, v23, v8
	v_mad_u64_u32 v[18:19], null, 0xdb629599, v24, v[11:12]
	s_delay_alu instid0(VALU_DEP_2) | instskip(NEXT) | instid1(VALU_DEP_2)
	v_cmp_lt_u32_e64 s1, 31, v8
	v_mov_b32_e32 v11, v19
	s_delay_alu instid0(VALU_DEP_3) | instskip(NEXT) | instid1(VALU_DEP_2)
	v_cndmask_b32_e32 v7, v18, v7, vcc_lo
	v_mad_u64_u32 v[19:20], null, 0xf534ddc0, v24, v[11:12]
	s_delay_alu instid0(VALU_DEP_1) | instskip(NEXT) | instid1(VALU_DEP_1)
	v_mov_b32_e32 v11, v20
	v_mad_u64_u32 v[20:21], null, 0xfc2757d1, v24, v[11:12]
	s_delay_alu instid0(VALU_DEP_1) | instskip(NEXT) | instid1(VALU_DEP_1)
	v_mov_b32_e32 v11, v21
	;; [unrolled: 3-line block ×3, first 2 shown]
	v_mad_u64_u32 v[22:23], null, 0xa2f9836e, v24, v[11:12]
	v_cndmask_b32_e64 v11, 0, 0xffffffe0, s1
	s_delay_alu instid0(VALU_DEP_4) | instskip(NEXT) | instid1(VALU_DEP_2)
	v_cndmask_b32_e32 v24, v21, v19, vcc_lo
	v_add_nc_u32_e32 v8, v11, v8
	s_delay_alu instid0(VALU_DEP_4) | instskip(SKIP_1) | instid1(VALU_DEP_3)
	v_dual_cndmask_b32 v22, v22, v20 :: v_dual_cndmask_b32 v21, v23, v21
	v_dual_cndmask_b32 v20, v20, v18 :: v_dual_cndmask_b32 v11, v19, v17
	v_cmp_eq_u32_e64 s2, 0, v8
	s_delay_alu instid0(VALU_DEP_3) | instskip(NEXT) | instid1(VALU_DEP_4)
	v_cndmask_b32_e64 v17, v22, v24, s0
	v_cndmask_b32_e64 v19, v21, v22, s0
	s_delay_alu instid0(VALU_DEP_4)
	v_cndmask_b32_e64 v21, v24, v20, s0
	v_sub_nc_u32_e32 v22, 32, v8
	v_cndmask_b32_e64 v20, v20, v11, s0
	v_cndmask_b32_e64 v7, v11, v7, s0
	;; [unrolled: 1-line block ×4, first 2 shown]
	s_delay_alu instid0(VALU_DEP_4) | instskip(NEXT) | instid1(VALU_DEP_4)
	v_cndmask_b32_e64 v21, v21, v20, s1
	v_cndmask_b32_e64 v7, v20, v7, s1
	s_delay_alu instid0(VALU_DEP_3) | instskip(NEXT) | instid1(VALU_DEP_3)
	v_alignbit_b32 v23, v19, v17, v22
	v_alignbit_b32 v24, v17, v21, v22
	s_delay_alu instid0(VALU_DEP_3) | instskip(NEXT) | instid1(VALU_DEP_3)
	v_alignbit_b32 v22, v21, v7, v22
	v_cndmask_b32_e64 v8, v23, v19, s2
	s_delay_alu instid0(VALU_DEP_3) | instskip(NEXT) | instid1(VALU_DEP_3)
	v_cndmask_b32_e64 v17, v24, v17, s2
	v_cndmask_b32_e64 v21, v22, v21, s2
	s_delay_alu instid0(VALU_DEP_3) | instskip(NEXT) | instid1(VALU_DEP_3)
	v_bfe_u32 v18, v8, 29, 1
	v_alignbit_b32 v11, v8, v17, 30
	s_delay_alu instid0(VALU_DEP_3) | instskip(SKIP_1) | instid1(VALU_DEP_4)
	v_alignbit_b32 v17, v17, v21, 30
	v_alignbit_b32 v7, v21, v7, 30
	v_sub_nc_u32_e32 v19, 0, v18
	s_delay_alu instid0(VALU_DEP_1) | instskip(SKIP_3) | instid1(VALU_DEP_4)
	v_xor_b32_e32 v20, v11, v19
	v_cmp_ne_u32_e32 vcc_lo, v11, v19
	v_xor_b32_e32 v17, v17, v19
	v_xor_b32_e32 v7, v7, v19
	v_clz_i32_u32_e32 v23, v20
	s_delay_alu instid0(VALU_DEP_1) | instskip(NEXT) | instid1(VALU_DEP_1)
	v_add_nc_u32_e32 v22, 1, v23
	v_cndmask_b32_e32 v11, 33, v22, vcc_lo
	s_delay_alu instid0(VALU_DEP_1) | instskip(NEXT) | instid1(VALU_DEP_1)
	v_sub_nc_u32_e32 v21, 32, v11
	v_alignbit_b32 v19, v20, v17, v21
	v_alignbit_b32 v7, v17, v7, v21
	v_lshrrev_b32_e32 v17, 29, v8
	v_lshrrev_b32_e32 v8, 30, v8
	s_delay_alu instid0(VALU_DEP_3) | instskip(NEXT) | instid1(VALU_DEP_3)
	v_alignbit_b32 v20, v19, v7, 9
	v_lshlrev_b32_e32 v17, 31, v17
	s_delay_alu instid0(VALU_DEP_3) | instskip(SKIP_1) | instid1(VALU_DEP_4)
	v_add_nc_u32_e32 v8, v18, v8
	v_alignbit_b32 v19, v11, v19, 9
	v_clz_i32_u32_e32 v21, v20
	s_delay_alu instid0(VALU_DEP_2) | instskip(SKIP_1) | instid1(VALU_DEP_3)
	v_or_b32_e32 v19, v19, v17
	v_or_b32_e32 v17, 0x33800000, v17
	v_min_u32_e32 v21, 32, v21
	s_delay_alu instid0(VALU_DEP_3) | instskip(NEXT) | instid1(VALU_DEP_2)
	v_xor_b32_e32 v19, 1.0, v19
	v_sub_nc_u32_e32 v22, 31, v21
	v_add_lshl_u32 v11, v21, v11, 23
	s_delay_alu instid0(VALU_DEP_3) | instskip(NEXT) | instid1(VALU_DEP_3)
	v_mul_f32_e32 v21, 0x3fc90fda, v19
	v_alignbit_b32 v7, v20, v7, v22
	s_delay_alu instid0(VALU_DEP_3) | instskip(NEXT) | instid1(VALU_DEP_3)
	v_sub_nc_u32_e32 v11, v17, v11
	v_fma_f32 v17, 0x3fc90fda, v19, -v21
	s_delay_alu instid0(VALU_DEP_3) | instskip(NEXT) | instid1(VALU_DEP_2)
	v_lshrrev_b32_e32 v7, 9, v7
	v_fmac_f32_e32 v17, 0x33a22168, v19
	s_delay_alu instid0(VALU_DEP_2) | instskip(NEXT) | instid1(VALU_DEP_1)
	v_or_b32_e32 v7, v11, v7
	v_fmac_f32_e32 v17, 0x3fc90fda, v7
	s_delay_alu instid0(VALU_DEP_1)
	v_add_f32_e32 v7, v21, v17
	s_and_not1_saveexec_b32 s0, s17
	s_branch .LBB255_320
.LBB255_319:                            ;   in Loop: Header=BB255_233 Depth=1
	s_and_not1_saveexec_b32 s0, s17
.LBB255_320:                            ;   in Loop: Header=BB255_233 Depth=1
	v_mul_f32_e64 v7, 0x3f22f983, |v9|
	s_delay_alu instid0(VALU_DEP_1) | instskip(NEXT) | instid1(VALU_DEP_1)
	v_rndne_f32_e32 v8, v7
	v_fma_f32 v7, 0xbfc90fda, v8, |v9|
	s_delay_alu instid0(VALU_DEP_1) | instskip(NEXT) | instid1(VALU_DEP_1)
	v_fmac_f32_e32 v7, 0xb3a22168, v8
	v_fmac_f32_e32 v7, 0xa7c234c4, v8
	v_cvt_i32_f32_e32 v8, v8
; %bb.321:                              ;   in Loop: Header=BB255_233 Depth=1
	s_or_b32 exec_lo, exec_lo, s0
                                        ; implicit-def: $vgpr17
                                        ; implicit-def: $vgpr11
	s_and_saveexec_b32 s0, s16
	s_delay_alu instid0(SALU_CYCLE_1)
	s_xor_b32 s16, exec_lo, s0
	s_cbranch_execz .LBB255_323
; %bb.322:                              ;   in Loop: Header=BB255_233 Depth=1
	v_lshrrev_b32_e32 v22, 23, v6
	v_and_or_b32 v25, v6, s6, 0x800000
	s_delay_alu instid0(VALU_DEP_2) | instskip(NEXT) | instid1(VALU_DEP_2)
	v_add_nc_u32_e32 v23, 0xffffff88, v22
	v_mad_u64_u32 v[17:18], null, 0xfe5163ab, v25, 0
	s_delay_alu instid0(VALU_DEP_2) | instskip(SKIP_1) | instid1(VALU_DEP_1)
	v_cmp_lt_u32_e32 vcc_lo, 63, v23
	v_cndmask_b32_e64 v24, 0, 0xffffffc0, vcc_lo
	v_dual_mov_b32 v11, v18 :: v_dual_add_nc_u32 v24, v24, v23
	s_delay_alu instid0(VALU_DEP_1) | instskip(NEXT) | instid1(VALU_DEP_2)
	v_mad_u64_u32 v[18:19], null, 0x3c439041, v25, v[11:12]
	v_cmp_lt_u32_e64 s0, 31, v24
	s_delay_alu instid0(VALU_DEP_1) | instskip(NEXT) | instid1(VALU_DEP_1)
	v_cndmask_b32_e64 v26, 0, 0xffffffe0, s0
	v_dual_mov_b32 v11, v19 :: v_dual_add_nc_u32 v26, v26, v24
	s_delay_alu instid0(VALU_DEP_1) | instskip(NEXT) | instid1(VALU_DEP_2)
	v_mad_u64_u32 v[19:20], null, 0xdb629599, v25, v[11:12]
	v_cmp_lt_u32_e64 s1, 31, v26
	s_delay_alu instid0(VALU_DEP_2) | instskip(NEXT) | instid1(VALU_DEP_3)
	v_mov_b32_e32 v11, v20
	v_cndmask_b32_e32 v17, v19, v17, vcc_lo
	s_delay_alu instid0(VALU_DEP_2) | instskip(NEXT) | instid1(VALU_DEP_1)
	v_mad_u64_u32 v[20:21], null, 0xf534ddc0, v25, v[11:12]
	v_dual_mov_b32 v11, v21 :: v_dual_cndmask_b32 v18, v20, v18
	s_delay_alu instid0(VALU_DEP_1) | instskip(NEXT) | instid1(VALU_DEP_2)
	v_mad_u64_u32 v[21:22], null, 0xfc2757d1, v25, v[11:12]
	v_cndmask_b32_e64 v17, v18, v17, s0
	s_delay_alu instid0(VALU_DEP_2) | instskip(NEXT) | instid1(VALU_DEP_1)
	v_mov_b32_e32 v11, v22
	v_mad_u64_u32 v[22:23], null, 0x4e441529, v25, v[11:12]
	s_delay_alu instid0(VALU_DEP_1) | instskip(NEXT) | instid1(VALU_DEP_1)
	v_mov_b32_e32 v11, v23
	v_mad_u64_u32 v[23:24], null, 0xa2f9836e, v25, v[11:12]
	v_cndmask_b32_e64 v11, 0, 0xffffffe0, s1
	s_delay_alu instid0(VALU_DEP_4) | instskip(NEXT) | instid1(VALU_DEP_2)
	v_cndmask_b32_e32 v25, v22, v20, vcc_lo
	v_add_nc_u32_e32 v11, v11, v26
	s_delay_alu instid0(VALU_DEP_4) | instskip(SKIP_1) | instid1(VALU_DEP_3)
	v_dual_cndmask_b32 v23, v23, v21 :: v_dual_cndmask_b32 v22, v24, v22
	v_cndmask_b32_e32 v21, v21, v19, vcc_lo
	v_sub_nc_u32_e32 v24, 32, v11
	s_delay_alu instid0(VALU_DEP_3) | instskip(NEXT) | instid1(VALU_DEP_4)
	v_cndmask_b32_e64 v20, v23, v25, s0
	v_cndmask_b32_e64 v22, v22, v23, s0
	s_delay_alu instid0(VALU_DEP_4) | instskip(SKIP_2) | instid1(VALU_DEP_4)
	v_cndmask_b32_e64 v23, v25, v21, s0
	v_cndmask_b32_e64 v21, v21, v18, s0
	v_cmp_eq_u32_e64 s2, 0, v11
	v_cndmask_b32_e64 v22, v22, v20, s1
	s_delay_alu instid0(VALU_DEP_4) | instskip(NEXT) | instid1(VALU_DEP_4)
	v_cndmask_b32_e64 v20, v20, v23, s1
	v_cndmask_b32_e64 v23, v23, v21, s1
	;; [unrolled: 1-line block ×3, first 2 shown]
	s_delay_alu instid0(VALU_DEP_3) | instskip(NEXT) | instid1(VALU_DEP_3)
	v_alignbit_b32 v25, v22, v20, v24
	v_alignbit_b32 v26, v20, v23, v24
	s_delay_alu instid0(VALU_DEP_3) | instskip(NEXT) | instid1(VALU_DEP_3)
	v_alignbit_b32 v24, v23, v17, v24
	v_cndmask_b32_e64 v11, v25, v22, s2
	s_delay_alu instid0(VALU_DEP_3) | instskip(NEXT) | instid1(VALU_DEP_3)
	v_cndmask_b32_e64 v19, v26, v20, s2
	v_cndmask_b32_e64 v23, v24, v23, s2
	s_delay_alu instid0(VALU_DEP_3) | instskip(NEXT) | instid1(VALU_DEP_3)
	v_bfe_u32 v20, v11, 29, 1
	v_alignbit_b32 v18, v11, v19, 30
	s_delay_alu instid0(VALU_DEP_3) | instskip(SKIP_1) | instid1(VALU_DEP_4)
	v_alignbit_b32 v19, v19, v23, 30
	v_alignbit_b32 v17, v23, v17, 30
	v_sub_nc_u32_e32 v22, 0, v20
	s_delay_alu instid0(VALU_DEP_1) | instskip(SKIP_3) | instid1(VALU_DEP_4)
	v_xor_b32_e32 v21, v18, v22
	v_cmp_ne_u32_e32 vcc_lo, v18, v22
	v_xor_b32_e32 v19, v19, v22
	v_xor_b32_e32 v17, v17, v22
	v_clz_i32_u32_e32 v25, v21
	s_delay_alu instid0(VALU_DEP_1) | instskip(NEXT) | instid1(VALU_DEP_1)
	v_add_nc_u32_e32 v24, 1, v25
	v_cndmask_b32_e32 v18, 33, v24, vcc_lo
	s_delay_alu instid0(VALU_DEP_1) | instskip(NEXT) | instid1(VALU_DEP_1)
	v_sub_nc_u32_e32 v23, 32, v18
	v_alignbit_b32 v21, v21, v19, v23
	v_alignbit_b32 v17, v19, v17, v23
	v_lshrrev_b32_e32 v19, 29, v11
	s_delay_alu instid0(VALU_DEP_2) | instskip(NEXT) | instid1(VALU_DEP_2)
	v_alignbit_b32 v22, v21, v17, 9
	v_lshlrev_b32_e32 v19, 31, v19
	v_alignbit_b32 v21, v18, v21, 9
	s_delay_alu instid0(VALU_DEP_3) | instskip(NEXT) | instid1(VALU_DEP_2)
	v_clz_i32_u32_e32 v23, v22
	v_or_b32_e32 v21, v21, v19
	v_or_b32_e32 v19, 0x33800000, v19
	s_delay_alu instid0(VALU_DEP_3) | instskip(NEXT) | instid1(VALU_DEP_3)
	v_min_u32_e32 v23, 32, v23
	v_xor_b32_e32 v21, 1.0, v21
	s_delay_alu instid0(VALU_DEP_2) | instskip(SKIP_1) | instid1(VALU_DEP_3)
	v_sub_nc_u32_e32 v24, 31, v23
	v_add_lshl_u32 v18, v23, v18, 23
	v_mul_f32_e32 v23, 0x3fc90fda, v21
	s_delay_alu instid0(VALU_DEP_3) | instskip(NEXT) | instid1(VALU_DEP_3)
	v_alignbit_b32 v17, v22, v17, v24
	v_sub_nc_u32_e32 v18, v19, v18
	s_delay_alu instid0(VALU_DEP_3) | instskip(NEXT) | instid1(VALU_DEP_3)
	v_fma_f32 v19, 0x3fc90fda, v21, -v23
	v_lshrrev_b32_e32 v17, 9, v17
	s_delay_alu instid0(VALU_DEP_2) | instskip(NEXT) | instid1(VALU_DEP_2)
	v_fmac_f32_e32 v19, 0x33a22168, v21
	v_or_b32_e32 v17, v18, v17
	s_delay_alu instid0(VALU_DEP_1) | instskip(SKIP_1) | instid1(VALU_DEP_2)
	v_fmac_f32_e32 v19, 0x3fc90fda, v17
	v_lshrrev_b32_e32 v17, 30, v11
	v_add_f32_e32 v11, v23, v19
	s_delay_alu instid0(VALU_DEP_2)
	v_add_nc_u32_e32 v17, v20, v17
	s_and_not1_saveexec_b32 s0, s16
	s_cbranch_execnz .LBB255_324
	s_branch .LBB255_325
.LBB255_323:                            ;   in Loop: Header=BB255_233 Depth=1
	s_and_not1_saveexec_b32 s0, s16
.LBB255_324:                            ;   in Loop: Header=BB255_233 Depth=1
	v_mul_f32_e64 v11, 0x3f22f983, |v9|
	s_delay_alu instid0(VALU_DEP_1) | instskip(NEXT) | instid1(VALU_DEP_1)
	v_rndne_f32_e32 v17, v11
	v_fma_f32 v11, 0xbfc90fda, v17, |v9|
	s_delay_alu instid0(VALU_DEP_1) | instskip(NEXT) | instid1(VALU_DEP_1)
	v_fmac_f32_e32 v11, 0xb3a22168, v17
	v_fmac_f32_e32 v11, 0xa7c234c4, v17
	v_cvt_i32_f32_e32 v17, v17
.LBB255_325:                            ;   in Loop: Header=BB255_233 Depth=1
	s_or_b32 exec_lo, exec_lo, s0
	s_delay_alu instid0(VALU_DEP_1) | instskip(NEXT) | instid1(VALU_DEP_3)
	v_dual_mul_f32 v18, v7, v7 :: v_dual_and_b32 v25, 1, v17
	v_dual_mul_f32 v19, v11, v11 :: v_dual_and_b32 v20, 1, v8
	s_delay_alu instid0(VALU_DEP_2) | instskip(SKIP_1) | instid1(VALU_DEP_3)
	v_dual_fmaak_f32 v21, s7, v18, 0x3c0881c4 :: v_dual_lshlrev_b32 v8, 30, v8
	v_dual_fmaak_f32 v22, s8, v18, 0xbab64f3b :: v_dual_lshlrev_b32 v17, 30, v17
	v_fmaak_f32 v23, s7, v19, 0x3c0881c4
	s_delay_alu instid0(VALU_DEP_4) | instskip(NEXT) | instid1(VALU_DEP_4)
	v_cmp_eq_u32_e32 vcc_lo, 0, v20
	v_fmaak_f32 v21, v18, v21, 0xbe2aaa9d
	v_fmaak_f32 v24, s8, v19, 0xbab64f3b
	v_and_or_b32 v6, 0x80000000, v17, v6
	v_fmaak_f32 v23, v19, v23, 0xbe2aaa9d
	v_fmaak_f32 v22, v18, v22, 0x3d2aabf7
	s_delay_alu instid0(VALU_DEP_4) | instskip(NEXT) | instid1(VALU_DEP_2)
	v_dual_mul_f32 v21, v18, v21 :: v_dual_fmaak_f32 v24, v19, v24, 0x3d2aabf7
	v_dual_mul_f32 v23, v19, v23 :: v_dual_fmaak_f32 v22, v18, v22, 0xbf000004
	s_delay_alu instid0(VALU_DEP_2) | instskip(NEXT) | instid1(VALU_DEP_3)
	v_fmac_f32_e32 v7, v7, v21
	v_fmaak_f32 v24, v19, v24, 0xbf000004
	s_delay_alu instid0(VALU_DEP_3) | instskip(NEXT) | instid1(VALU_DEP_4)
	v_dual_fmac_f32 v11, v11, v23 :: v_dual_and_b32 v8, 0x80000000, v8
	v_fma_f32 v18, v18, v22, 1.0
	s_delay_alu instid0(VALU_DEP_3) | instskip(NEXT) | instid1(VALU_DEP_2)
	v_fma_f32 v19, v19, v24, 1.0
	v_cndmask_b32_e64 v7, -v7, v18, vcc_lo
	v_cmp_eq_u32_e32 vcc_lo, 0, v25
	s_delay_alu instid0(VALU_DEP_2) | instskip(NEXT) | instid1(VALU_DEP_4)
	v_xor_b32_e32 v7, v8, v7
	v_cndmask_b32_e32 v11, v19, v11, vcc_lo
	v_cmp_class_f32_e64 vcc_lo, v9, 0x1f8
	s_delay_alu instid0(VALU_DEP_2) | instskip(NEXT) | instid1(VALU_DEP_4)
	v_xor3_b32 v6, v6, v11, v10
	v_cndmask_b32_e32 v11, 0x7fc00000, v7, vcc_lo
	s_delay_alu instid0(VALU_DEP_2)
	v_cndmask_b32_e32 v10, 0x7fc00000, v6, vcc_lo
.LBB255_326:                            ;   in Loop: Header=BB255_233 Depth=1
	s_or_b32 exec_lo, exec_lo, s15
                                        ; implicit-def: $vgpr6_vgpr7_vgpr8_vgpr9
.LBB255_327:                            ;   in Loop: Header=BB255_233 Depth=1
	s_and_not1_saveexec_b32 s0, s14
	s_cbranch_execz .LBB255_329
; %bb.328:                              ;   in Loop: Header=BB255_233 Depth=1
	v_mul_f32_e32 v6, 0xbfb8aa3b, v8
	v_cmp_nlt_f32_e32 vcc_lo, 0x42ce8ed0, v8
	s_delay_alu instid0(VALU_DEP_2) | instskip(SKIP_1) | instid1(VALU_DEP_1)
	v_rndne_f32_e32 v7, v6
	v_fma_f32 v9, 0xbfb8aa3b, v8, -v6
	v_dual_sub_f32 v6, v6, v7 :: v_dual_fmac_f32 v9, 0xb2a5705f, v8
	v_cvt_i32_f32_e32 v7, v7
	s_delay_alu instid0(VALU_DEP_2) | instskip(NEXT) | instid1(VALU_DEP_1)
	v_add_f32_e32 v6, v6, v9
	v_exp_f32_e32 v6, v6
	s_waitcnt_depctr 0xfff
	v_ldexp_f32 v6, v6, v7
	s_delay_alu instid0(VALU_DEP_1) | instskip(SKIP_1) | instid1(VALU_DEP_2)
	v_cndmask_b32_e32 v6, 0, v6, vcc_lo
	v_cmp_ngt_f32_e32 vcc_lo, 0xc2b17218, v8
	v_cndmask_b32_e32 v11, 0x7f800000, v6, vcc_lo
.LBB255_329:                            ;   in Loop: Header=BB255_233 Depth=1
	s_or_b32 exec_lo, exec_lo, s0
	s_delay_alu instid0(VALU_DEP_1) | instskip(SKIP_1) | instid1(VALU_DEP_1)
	v_dual_add_f32 v9, s10, v11 :: v_dual_add_f32 v8, s11, v10
	s_mov_b32 s0, exec_lo
	v_cmp_gt_f32_e32 vcc_lo, 0, v9
	v_cndmask_b32_e64 v10, v9, -v9, vcc_lo
	s_delay_alu instid0(VALU_DEP_3) | instskip(SKIP_1) | instid1(VALU_DEP_1)
	v_cmp_gt_f32_e32 vcc_lo, 0, v8
	v_cndmask_b32_e64 v11, v8, -v8, vcc_lo
	v_cmpx_ge_f32_e32 v10, v11
	s_xor_b32 s1, exec_lo, s0
	s_cbranch_execz .LBB255_335
; %bb.330:                              ;   in Loop: Header=BB255_233 Depth=1
	v_cmp_neq_f32_e32 vcc_lo, 0, v9
	v_cmp_neq_f32_e64 s0, 0, v8
	s_delay_alu instid0(VALU_DEP_1) | instskip(NEXT) | instid1(SALU_CYCLE_1)
	s_or_b32 s0, vcc_lo, s0
	s_and_saveexec_b32 s2, s0
	s_delay_alu instid0(SALU_CYCLE_1)
	s_xor_b32 s0, exec_lo, s2
	s_cbranch_execz .LBB255_332
; %bb.331:                              ;   in Loop: Header=BB255_233 Depth=1
	v_div_scale_f32 v6, null, v9, v9, v8
	v_div_scale_f32 v11, vcc_lo, v8, v9, v8
	s_delay_alu instid0(VALU_DEP_2) | instskip(SKIP_2) | instid1(VALU_DEP_1)
	v_rcp_f32_e32 v7, v6
	s_waitcnt_depctr 0xfff
	v_fma_f32 v10, -v6, v7, 1.0
	v_fmac_f32_e32 v7, v10, v7
	s_delay_alu instid0(VALU_DEP_1) | instskip(NEXT) | instid1(VALU_DEP_1)
	v_mul_f32_e32 v10, v11, v7
	v_fma_f32 v17, -v6, v10, v11
	s_delay_alu instid0(VALU_DEP_1) | instskip(NEXT) | instid1(VALU_DEP_1)
	v_fmac_f32_e32 v10, v17, v7
	v_fma_f32 v6, -v6, v10, v11
	s_delay_alu instid0(VALU_DEP_1) | instskip(NEXT) | instid1(VALU_DEP_1)
	v_div_fmas_f32 v6, v6, v7, v10
	v_div_fixup_f32 v6, v6, v9, v8
	s_delay_alu instid0(VALU_DEP_1) | instskip(NEXT) | instid1(VALU_DEP_1)
	v_fmac_f32_e32 v9, v8, v6
	v_div_scale_f32 v7, null, v9, v9, 1.0
	v_div_scale_f32 v11, vcc_lo, 1.0, v9, 1.0
	s_delay_alu instid0(VALU_DEP_2) | instskip(SKIP_2) | instid1(VALU_DEP_1)
	v_rcp_f32_e32 v8, v7
	s_waitcnt_depctr 0xfff
	v_fma_f32 v10, -v7, v8, 1.0
	v_fmac_f32_e32 v8, v10, v8
	s_delay_alu instid0(VALU_DEP_1) | instskip(NEXT) | instid1(VALU_DEP_1)
	v_mul_f32_e32 v10, v11, v8
	v_fma_f32 v17, -v7, v10, v11
	s_delay_alu instid0(VALU_DEP_1) | instskip(NEXT) | instid1(VALU_DEP_1)
	v_fmac_f32_e32 v10, v17, v8
	v_fma_f32 v7, -v7, v10, v11
                                        ; implicit-def: $vgpr11
	s_delay_alu instid0(VALU_DEP_1) | instskip(SKIP_1) | instid1(VALU_DEP_2)
	v_div_fmas_f32 v7, v7, v8, v10
	v_fma_f32 v8, v6, s11, s10
                                        ; implicit-def: $vgpr10
	v_div_fixup_f32 v7, v7, v9, 1.0
	v_fma_f32 v9, -v6, s10, s11
	s_delay_alu instid0(VALU_DEP_2) | instskip(NEXT) | instid1(VALU_DEP_2)
	v_mul_f32_e32 v6, v8, v7
	v_mul_f32_e32 v7, v9, v7
.LBB255_332:                            ;   in Loop: Header=BB255_233 Depth=1
	s_and_not1_saveexec_b32 s2, s0
	s_cbranch_execz .LBB255_334
; %bb.333:                              ;   in Loop: Header=BB255_233 Depth=1
	v_div_scale_f32 v6, null, v10, v10, s10
	v_div_scale_f32 v7, null, v11, v11, s11
	v_div_scale_f32 v19, vcc_lo, s10, v10, s10
	s_delay_alu instid0(VALU_DEP_3) | instskip(NEXT) | instid1(VALU_DEP_2)
	v_rcp_f32_e32 v8, v6
	v_rcp_f32_e32 v9, v7
	s_waitcnt_depctr 0xfff
	v_fma_f32 v17, -v6, v8, 1.0
	v_fma_f32 v18, -v7, v9, 1.0
	s_delay_alu instid0(VALU_DEP_1) | instskip(SKIP_1) | instid1(VALU_DEP_2)
	v_dual_fmac_f32 v8, v17, v8 :: v_dual_fmac_f32 v9, v18, v9
	v_div_scale_f32 v17, s0, s11, v11, s11
	v_mul_f32_e32 v18, v19, v8
	s_delay_alu instid0(VALU_DEP_2) | instskip(NEXT) | instid1(VALU_DEP_2)
	v_mul_f32_e32 v20, v17, v9
	v_fma_f32 v21, -v6, v18, v19
	s_delay_alu instid0(VALU_DEP_2) | instskip(NEXT) | instid1(VALU_DEP_2)
	v_fma_f32 v22, -v7, v20, v17
	v_fmac_f32_e32 v18, v21, v8
	s_delay_alu instid0(VALU_DEP_2) | instskip(NEXT) | instid1(VALU_DEP_2)
	v_fmac_f32_e32 v20, v22, v9
	v_fma_f32 v6, -v6, v18, v19
	s_delay_alu instid0(VALU_DEP_2) | instskip(NEXT) | instid1(VALU_DEP_2)
	v_fma_f32 v7, -v7, v20, v17
	v_div_fmas_f32 v6, v6, v8, v18
	s_mov_b32 vcc_lo, s0
	s_delay_alu instid0(VALU_DEP_2) | instskip(NEXT) | instid1(VALU_DEP_2)
	v_div_fmas_f32 v7, v7, v9, v20
	v_div_fixup_f32 v6, v6, v10, s10
	s_delay_alu instid0(VALU_DEP_2)
	v_div_fixup_f32 v7, v7, v11, s11
.LBB255_334:                            ;   in Loop: Header=BB255_233 Depth=1
	s_or_b32 exec_lo, exec_lo, s2
                                        ; implicit-def: $vgpr8
                                        ; implicit-def: $vgpr9
.LBB255_335:                            ;   in Loop: Header=BB255_233 Depth=1
	s_and_not1_saveexec_b32 s0, s1
	s_cbranch_execz .LBB255_337
; %bb.336:                              ;   in Loop: Header=BB255_233 Depth=1
	v_div_scale_f32 v6, null, v8, v8, v9
	v_div_scale_f32 v11, vcc_lo, v9, v8, v9
	s_delay_alu instid0(VALU_DEP_2) | instskip(SKIP_2) | instid1(VALU_DEP_1)
	v_rcp_f32_e32 v7, v6
	s_waitcnt_depctr 0xfff
	v_fma_f32 v10, -v6, v7, 1.0
	v_fmac_f32_e32 v7, v10, v7
	s_delay_alu instid0(VALU_DEP_1) | instskip(NEXT) | instid1(VALU_DEP_1)
	v_mul_f32_e32 v10, v11, v7
	v_fma_f32 v17, -v6, v10, v11
	s_delay_alu instid0(VALU_DEP_1) | instskip(NEXT) | instid1(VALU_DEP_1)
	v_fmac_f32_e32 v10, v17, v7
	v_fma_f32 v6, -v6, v10, v11
	s_delay_alu instid0(VALU_DEP_1) | instskip(NEXT) | instid1(VALU_DEP_1)
	v_div_fmas_f32 v6, v6, v7, v10
	v_div_fixup_f32 v6, v6, v8, v9
	s_delay_alu instid0(VALU_DEP_1) | instskip(NEXT) | instid1(VALU_DEP_1)
	v_fmac_f32_e32 v8, v9, v6
	v_div_scale_f32 v7, null, v8, v8, 1.0
	v_div_scale_f32 v11, vcc_lo, 1.0, v8, 1.0
	s_delay_alu instid0(VALU_DEP_2) | instskip(SKIP_2) | instid1(VALU_DEP_1)
	v_rcp_f32_e32 v9, v7
	s_waitcnt_depctr 0xfff
	v_fma_f32 v10, -v7, v9, 1.0
	v_fmac_f32_e32 v9, v10, v9
	s_delay_alu instid0(VALU_DEP_1) | instskip(NEXT) | instid1(VALU_DEP_1)
	v_mul_f32_e32 v10, v11, v9
	v_fma_f32 v17, -v7, v10, v11
	s_delay_alu instid0(VALU_DEP_1) | instskip(NEXT) | instid1(VALU_DEP_1)
	v_fmac_f32_e32 v10, v17, v9
	v_fma_f32 v7, -v7, v10, v11
	s_delay_alu instid0(VALU_DEP_1) | instskip(SKIP_1) | instid1(VALU_DEP_2)
	v_div_fmas_f32 v7, v7, v9, v10
	v_fma_f32 v9, v6, s10, s11
	v_div_fixup_f32 v7, v7, v8, 1.0
	v_fma_f32 v8, v6, s11, -s10
	s_delay_alu instid0(VALU_DEP_2) | instskip(NEXT) | instid1(VALU_DEP_2)
	v_mul_f32_e32 v6, v9, v7
	v_mul_f32_e32 v7, v8, v7
.LBB255_337:                            ;   in Loop: Header=BB255_233 Depth=1
	s_or_b32 exec_lo, exec_lo, s0
	s_waitcnt vmcnt(0)
	v_and_b32_e32 v9, 0x7fffffff, v1
	v_xor_b32_e32 v8, 0x80000000, v1
                                        ; implicit-def: $vgpr10
	s_mov_b32 s0, exec_lo
	s_delay_alu instid0(VALU_DEP_2)
	v_cmpx_ne_u32_e32 0, v9
	s_xor_b32 s14, exec_lo, s0
	s_cbranch_execz .LBB255_379
; %bb.338:                              ;   in Loop: Header=BB255_233 Depth=1
	v_and_b32_e32 v17, 0x7fffffff, v0
                                        ; implicit-def: $vgpr10
	s_mov_b32 s0, exec_lo
	s_delay_alu instid0(VALU_DEP_1)
	v_cmpx_ne_u32_e32 0, v17
	s_xor_b32 s15, exec_lo, s0
	s_cbranch_execz .LBB255_368
; %bb.339:                              ;   in Loop: Header=BB255_233 Depth=1
	v_xor_b32_e32 v11, 0x80000000, v0
                                        ; implicit-def: $vgpr10
	s_mov_b32 s0, exec_lo
	v_cmpx_gt_u32_e32 0x7f800000, v9
	s_xor_b32 s16, exec_lo, s0
	s_cbranch_execz .LBB255_361
; %bb.340:                              ;   in Loop: Header=BB255_233 Depth=1
	v_add_nc_u32_e32 v10, 0xbd4e8de8, v11
	s_delay_alu instid0(VALU_DEP_1) | instskip(SKIP_1) | instid1(SALU_CYCLE_1)
	v_cmp_lt_u32_e32 vcc_lo, 0x8e8e5c, v10
                                        ; implicit-def: $vgpr10
	s_and_saveexec_b32 s0, vcc_lo
	s_xor_b32 s17, exec_lo, s0
	s_cbranch_execz .LBB255_350
; %bb.341:                              ;   in Loop: Header=BB255_233 Depth=1
	v_cmp_ngt_f32_e64 s18, 0x48000000, |v1|
                                        ; implicit-def: $vgpr17
                                        ; implicit-def: $vgpr10
	s_delay_alu instid0(VALU_DEP_1) | instskip(NEXT) | instid1(SALU_CYCLE_1)
	s_and_saveexec_b32 s0, s18
	s_xor_b32 s19, exec_lo, s0
	s_cbranch_execz .LBB255_343
; %bb.342:                              ;   in Loop: Header=BB255_233 Depth=1
	v_and_or_b32 v24, v9, s6, 0x800000
	v_lshrrev_b32_e32 v21, 23, v9
	s_delay_alu instid0(VALU_DEP_2) | instskip(NEXT) | instid1(VALU_DEP_2)
	v_mad_u64_u32 v[10:11], null, 0xfe5163ab, v24, 0
	v_add_nc_u32_e32 v22, 0xffffff88, v21
	s_delay_alu instid0(VALU_DEP_1) | instskip(NEXT) | instid1(VALU_DEP_3)
	v_cmp_lt_u32_e32 vcc_lo, 63, v22
	v_mad_u64_u32 v[17:18], null, 0x3c439041, v24, v[11:12]
	v_cndmask_b32_e64 v23, 0, 0xffffffc0, vcc_lo
	s_delay_alu instid0(VALU_DEP_2) | instskip(NEXT) | instid1(VALU_DEP_2)
	v_mov_b32_e32 v11, v18
	v_add_nc_u32_e32 v23, v23, v22
	s_delay_alu instid0(VALU_DEP_2) | instskip(NEXT) | instid1(VALU_DEP_2)
	v_mad_u64_u32 v[18:19], null, 0xdb629599, v24, v[11:12]
	v_cmp_lt_u32_e64 s0, 31, v23
	s_delay_alu instid0(VALU_DEP_1) | instskip(NEXT) | instid1(VALU_DEP_3)
	v_cndmask_b32_e64 v25, 0, 0xffffffe0, s0
	v_dual_mov_b32 v11, v19 :: v_dual_cndmask_b32 v10, v18, v10
	s_delay_alu instid0(VALU_DEP_2) | instskip(NEXT) | instid1(VALU_DEP_2)
	v_add_nc_u32_e32 v25, v25, v23
	v_mad_u64_u32 v[19:20], null, 0xf534ddc0, v24, v[11:12]
	s_delay_alu instid0(VALU_DEP_2) | instskip(NEXT) | instid1(VALU_DEP_2)
	v_cmp_lt_u32_e64 s1, 31, v25
	v_mov_b32_e32 v11, v20
	s_delay_alu instid0(VALU_DEP_3) | instskip(NEXT) | instid1(VALU_DEP_2)
	v_cndmask_b32_e32 v17, v19, v17, vcc_lo
	v_mad_u64_u32 v[20:21], null, 0xfc2757d1, v24, v[11:12]
	s_delay_alu instid0(VALU_DEP_2) | instskip(NEXT) | instid1(VALU_DEP_2)
	v_cndmask_b32_e64 v10, v17, v10, s0
	v_mov_b32_e32 v11, v21
	s_delay_alu instid0(VALU_DEP_1) | instskip(NEXT) | instid1(VALU_DEP_1)
	v_mad_u64_u32 v[21:22], null, 0x4e441529, v24, v[11:12]
	v_mov_b32_e32 v11, v22
	s_delay_alu instid0(VALU_DEP_1) | instskip(SKIP_1) | instid1(VALU_DEP_1)
	v_mad_u64_u32 v[22:23], null, 0xa2f9836e, v24, v[11:12]
	v_cndmask_b32_e64 v11, 0, 0xffffffe0, s1
	v_dual_cndmask_b32 v24, v21, v19 :: v_dual_add_nc_u32 v11, v11, v25
	s_delay_alu instid0(VALU_DEP_3) | instskip(SKIP_1) | instid1(VALU_DEP_3)
	v_dual_cndmask_b32 v22, v22, v20 :: v_dual_cndmask_b32 v21, v23, v21
	v_cndmask_b32_e32 v20, v20, v18, vcc_lo
	v_sub_nc_u32_e32 v23, 32, v11
	s_delay_alu instid0(VALU_DEP_3) | instskip(NEXT) | instid1(VALU_DEP_4)
	v_cndmask_b32_e64 v19, v22, v24, s0
	v_cndmask_b32_e64 v21, v21, v22, s0
	s_delay_alu instid0(VALU_DEP_4) | instskip(SKIP_2) | instid1(VALU_DEP_4)
	v_cndmask_b32_e64 v22, v24, v20, s0
	v_cndmask_b32_e64 v20, v20, v17, s0
	v_cmp_eq_u32_e64 s2, 0, v11
	v_cndmask_b32_e64 v21, v21, v19, s1
	s_delay_alu instid0(VALU_DEP_4) | instskip(NEXT) | instid1(VALU_DEP_4)
	v_cndmask_b32_e64 v19, v19, v22, s1
	v_cndmask_b32_e64 v22, v22, v20, s1
	;; [unrolled: 1-line block ×3, first 2 shown]
	s_delay_alu instid0(VALU_DEP_3) | instskip(NEXT) | instid1(VALU_DEP_3)
	v_alignbit_b32 v24, v21, v19, v23
	v_alignbit_b32 v25, v19, v22, v23
	s_delay_alu instid0(VALU_DEP_3) | instskip(NEXT) | instid1(VALU_DEP_3)
	v_alignbit_b32 v23, v22, v10, v23
	v_cndmask_b32_e64 v11, v24, v21, s2
	s_delay_alu instid0(VALU_DEP_3) | instskip(NEXT) | instid1(VALU_DEP_3)
	v_cndmask_b32_e64 v18, v25, v19, s2
	v_cndmask_b32_e64 v22, v23, v22, s2
	s_delay_alu instid0(VALU_DEP_3) | instskip(NEXT) | instid1(VALU_DEP_3)
	v_bfe_u32 v19, v11, 29, 1
	v_alignbit_b32 v17, v11, v18, 30
	s_delay_alu instid0(VALU_DEP_3) | instskip(SKIP_1) | instid1(VALU_DEP_4)
	v_alignbit_b32 v18, v18, v22, 30
	v_alignbit_b32 v10, v22, v10, 30
	v_sub_nc_u32_e32 v21, 0, v19
	s_delay_alu instid0(VALU_DEP_1) | instskip(SKIP_3) | instid1(VALU_DEP_4)
	v_xor_b32_e32 v20, v17, v21
	v_cmp_ne_u32_e32 vcc_lo, v17, v21
	v_xor_b32_e32 v18, v18, v21
	v_xor_b32_e32 v10, v10, v21
	v_clz_i32_u32_e32 v24, v20
	s_delay_alu instid0(VALU_DEP_1) | instskip(NEXT) | instid1(VALU_DEP_1)
	v_add_nc_u32_e32 v23, 1, v24
	v_cndmask_b32_e32 v17, 33, v23, vcc_lo
	s_delay_alu instid0(VALU_DEP_1) | instskip(NEXT) | instid1(VALU_DEP_1)
	v_sub_nc_u32_e32 v22, 32, v17
	v_alignbit_b32 v20, v20, v18, v22
	v_alignbit_b32 v10, v18, v10, v22
	v_lshrrev_b32_e32 v18, 29, v11
	v_lshrrev_b32_e32 v11, 30, v11
	s_delay_alu instid0(VALU_DEP_3) | instskip(NEXT) | instid1(VALU_DEP_3)
	v_alignbit_b32 v21, v20, v10, 9
	v_lshlrev_b32_e32 v18, 31, v18
	v_alignbit_b32 v20, v17, v20, 9
	s_delay_alu instid0(VALU_DEP_3) | instskip(NEXT) | instid1(VALU_DEP_2)
	v_clz_i32_u32_e32 v22, v21
	v_or_b32_e32 v20, v20, v18
	v_or_b32_e32 v18, 0x33800000, v18
	s_delay_alu instid0(VALU_DEP_3) | instskip(NEXT) | instid1(VALU_DEP_3)
	v_min_u32_e32 v22, 32, v22
	v_xor_b32_e32 v20, 1.0, v20
	s_delay_alu instid0(VALU_DEP_2) | instskip(SKIP_1) | instid1(VALU_DEP_3)
	v_sub_nc_u32_e32 v23, 31, v22
	v_add_lshl_u32 v17, v22, v17, 23
	v_mul_f32_e32 v22, 0x3fc90fda, v20
	s_delay_alu instid0(VALU_DEP_3) | instskip(NEXT) | instid1(VALU_DEP_3)
	v_alignbit_b32 v10, v21, v10, v23
	v_sub_nc_u32_e32 v17, v18, v17
	s_delay_alu instid0(VALU_DEP_3) | instskip(NEXT) | instid1(VALU_DEP_3)
	v_fma_f32 v18, 0x3fc90fda, v20, -v22
	v_lshrrev_b32_e32 v10, 9, v10
	s_delay_alu instid0(VALU_DEP_2) | instskip(NEXT) | instid1(VALU_DEP_2)
	v_fmac_f32_e32 v18, 0x33a22168, v20
	v_or_b32_e32 v10, v17, v10
	s_delay_alu instid0(VALU_DEP_1) | instskip(NEXT) | instid1(VALU_DEP_1)
	v_dual_fmac_f32 v18, 0x3fc90fda, v10 :: v_dual_add_nc_u32 v17, v19, v11
	v_add_f32_e32 v10, v22, v18
	s_and_not1_saveexec_b32 s0, s19
	s_branch .LBB255_344
.LBB255_343:                            ;   in Loop: Header=BB255_233 Depth=1
	s_and_not1_saveexec_b32 s0, s19
.LBB255_344:                            ;   in Loop: Header=BB255_233 Depth=1
	v_mul_f32_e64 v10, 0x3f22f983, |v1|
	s_delay_alu instid0(VALU_DEP_1) | instskip(NEXT) | instid1(VALU_DEP_1)
	v_rndne_f32_e32 v11, v10
	v_fma_f32 v10, 0xbfc90fda, v11, |v1|
	v_cvt_i32_f32_e32 v17, v11
	s_delay_alu instid0(VALU_DEP_2) | instskip(NEXT) | instid1(VALU_DEP_1)
	v_fmac_f32_e32 v10, 0xb3a22168, v11
	v_fmac_f32_e32 v10, 0xa7c234c4, v11
; %bb.345:                              ;   in Loop: Header=BB255_233 Depth=1
	s_or_b32 exec_lo, exec_lo, s0
                                        ; implicit-def: $vgpr18
                                        ; implicit-def: $vgpr11
	s_and_saveexec_b32 s0, s18
	s_delay_alu instid0(SALU_CYCLE_1)
	s_xor_b32 s18, exec_lo, s0
	s_cbranch_execz .LBB255_347
; %bb.346:                              ;   in Loop: Header=BB255_233 Depth=1
	v_and_or_b32 v26, v9, s6, 0x800000
	v_lshrrev_b32_e32 v23, 23, v9
	s_delay_alu instid0(VALU_DEP_2) | instskip(NEXT) | instid1(VALU_DEP_2)
	v_mad_u64_u32 v[18:19], null, 0xfe5163ab, v26, 0
	v_add_nc_u32_e32 v24, 0xffffff88, v23
	s_delay_alu instid0(VALU_DEP_1) | instskip(NEXT) | instid1(VALU_DEP_3)
	v_cmp_lt_u32_e32 vcc_lo, 63, v24
	v_mov_b32_e32 v11, v19
	v_cndmask_b32_e64 v25, 0, 0xffffffc0, vcc_lo
	s_delay_alu instid0(VALU_DEP_2) | instskip(NEXT) | instid1(VALU_DEP_2)
	v_mad_u64_u32 v[19:20], null, 0x3c439041, v26, v[11:12]
	v_add_nc_u32_e32 v25, v25, v24
	s_delay_alu instid0(VALU_DEP_2) | instskip(NEXT) | instid1(VALU_DEP_2)
	v_mov_b32_e32 v11, v20
	v_cmp_lt_u32_e64 s0, 31, v25
	s_delay_alu instid0(VALU_DEP_2) | instskip(NEXT) | instid1(VALU_DEP_2)
	v_mad_u64_u32 v[20:21], null, 0xdb629599, v26, v[11:12]
	v_cndmask_b32_e64 v27, 0, 0xffffffe0, s0
	s_delay_alu instid0(VALU_DEP_1) | instskip(NEXT) | instid1(VALU_DEP_3)
	v_add_nc_u32_e32 v27, v27, v25
	v_dual_mov_b32 v11, v21 :: v_dual_cndmask_b32 v18, v20, v18
	s_delay_alu instid0(VALU_DEP_2) | instskip(NEXT) | instid1(VALU_DEP_2)
	v_cmp_lt_u32_e64 s1, 31, v27
	v_mad_u64_u32 v[21:22], null, 0xf534ddc0, v26, v[11:12]
	s_delay_alu instid0(VALU_DEP_1) | instskip(NEXT) | instid1(VALU_DEP_2)
	v_mov_b32_e32 v11, v22
	v_cndmask_b32_e32 v19, v21, v19, vcc_lo
	s_delay_alu instid0(VALU_DEP_2) | instskip(NEXT) | instid1(VALU_DEP_2)
	v_mad_u64_u32 v[22:23], null, 0xfc2757d1, v26, v[11:12]
	v_cndmask_b32_e64 v18, v19, v18, s0
	s_delay_alu instid0(VALU_DEP_2) | instskip(NEXT) | instid1(VALU_DEP_1)
	v_mov_b32_e32 v11, v23
	v_mad_u64_u32 v[23:24], null, 0x4e441529, v26, v[11:12]
	s_delay_alu instid0(VALU_DEP_1) | instskip(NEXT) | instid1(VALU_DEP_1)
	v_mov_b32_e32 v11, v24
	v_mad_u64_u32 v[24:25], null, 0xa2f9836e, v26, v[11:12]
	v_cndmask_b32_e64 v11, 0, 0xffffffe0, s1
	s_delay_alu instid0(VALU_DEP_4) | instskip(NEXT) | instid1(VALU_DEP_2)
	v_cndmask_b32_e32 v26, v23, v21, vcc_lo
	v_dual_cndmask_b32 v24, v24, v22 :: v_dual_add_nc_u32 v11, v11, v27
	s_delay_alu instid0(VALU_DEP_4) | instskip(NEXT) | instid1(VALU_DEP_2)
	v_dual_cndmask_b32 v23, v25, v23 :: v_dual_cndmask_b32 v22, v22, v20
	v_sub_nc_u32_e32 v25, 32, v11
	s_delay_alu instid0(VALU_DEP_3) | instskip(NEXT) | instid1(VALU_DEP_3)
	v_cndmask_b32_e64 v21, v24, v26, s0
	v_cndmask_b32_e64 v23, v23, v24, s0
	s_delay_alu instid0(VALU_DEP_4) | instskip(SKIP_2) | instid1(VALU_DEP_4)
	v_cndmask_b32_e64 v24, v26, v22, s0
	v_cndmask_b32_e64 v22, v22, v19, s0
	v_cmp_eq_u32_e64 s2, 0, v11
	v_cndmask_b32_e64 v23, v23, v21, s1
	s_delay_alu instid0(VALU_DEP_4) | instskip(NEXT) | instid1(VALU_DEP_4)
	v_cndmask_b32_e64 v21, v21, v24, s1
	v_cndmask_b32_e64 v24, v24, v22, s1
	;; [unrolled: 1-line block ×3, first 2 shown]
	s_delay_alu instid0(VALU_DEP_3) | instskip(NEXT) | instid1(VALU_DEP_3)
	v_alignbit_b32 v26, v23, v21, v25
	v_alignbit_b32 v27, v21, v24, v25
	s_delay_alu instid0(VALU_DEP_3) | instskip(NEXT) | instid1(VALU_DEP_3)
	v_alignbit_b32 v25, v24, v18, v25
	v_cndmask_b32_e64 v11, v26, v23, s2
	s_delay_alu instid0(VALU_DEP_3) | instskip(NEXT) | instid1(VALU_DEP_3)
	v_cndmask_b32_e64 v20, v27, v21, s2
	v_cndmask_b32_e64 v24, v25, v24, s2
	s_delay_alu instid0(VALU_DEP_3) | instskip(NEXT) | instid1(VALU_DEP_3)
	v_bfe_u32 v21, v11, 29, 1
	v_alignbit_b32 v19, v11, v20, 30
	s_delay_alu instid0(VALU_DEP_3) | instskip(SKIP_1) | instid1(VALU_DEP_4)
	v_alignbit_b32 v20, v20, v24, 30
	v_alignbit_b32 v18, v24, v18, 30
	v_sub_nc_u32_e32 v23, 0, v21
	s_delay_alu instid0(VALU_DEP_1) | instskip(SKIP_3) | instid1(VALU_DEP_4)
	v_xor_b32_e32 v22, v19, v23
	v_cmp_ne_u32_e32 vcc_lo, v19, v23
	v_xor_b32_e32 v20, v20, v23
	v_xor_b32_e32 v18, v18, v23
	v_clz_i32_u32_e32 v26, v22
	s_delay_alu instid0(VALU_DEP_1) | instskip(NEXT) | instid1(VALU_DEP_1)
	v_add_nc_u32_e32 v25, 1, v26
	v_cndmask_b32_e32 v19, 33, v25, vcc_lo
	s_delay_alu instid0(VALU_DEP_1) | instskip(NEXT) | instid1(VALU_DEP_1)
	v_sub_nc_u32_e32 v24, 32, v19
	v_alignbit_b32 v22, v22, v20, v24
	v_alignbit_b32 v18, v20, v18, v24
	v_lshrrev_b32_e32 v20, 29, v11
	s_delay_alu instid0(VALU_DEP_2) | instskip(NEXT) | instid1(VALU_DEP_2)
	v_alignbit_b32 v23, v22, v18, 9
	v_lshlrev_b32_e32 v20, 31, v20
	v_alignbit_b32 v22, v19, v22, 9
	s_delay_alu instid0(VALU_DEP_3) | instskip(NEXT) | instid1(VALU_DEP_2)
	v_clz_i32_u32_e32 v24, v23
	v_or_b32_e32 v22, v22, v20
	v_or_b32_e32 v20, 0x33800000, v20
	s_delay_alu instid0(VALU_DEP_3) | instskip(NEXT) | instid1(VALU_DEP_3)
	v_min_u32_e32 v24, 32, v24
	v_xor_b32_e32 v22, 1.0, v22
	s_delay_alu instid0(VALU_DEP_2) | instskip(SKIP_1) | instid1(VALU_DEP_3)
	v_sub_nc_u32_e32 v25, 31, v24
	v_add_lshl_u32 v19, v24, v19, 23
	v_mul_f32_e32 v24, 0x3fc90fda, v22
	s_delay_alu instid0(VALU_DEP_3) | instskip(NEXT) | instid1(VALU_DEP_3)
	v_alignbit_b32 v18, v23, v18, v25
	v_sub_nc_u32_e32 v19, v20, v19
	s_delay_alu instid0(VALU_DEP_3) | instskip(NEXT) | instid1(VALU_DEP_3)
	v_fma_f32 v20, 0x3fc90fda, v22, -v24
	v_lshrrev_b32_e32 v18, 9, v18
	s_delay_alu instid0(VALU_DEP_2) | instskip(NEXT) | instid1(VALU_DEP_2)
	v_fmac_f32_e32 v20, 0x33a22168, v22
	v_or_b32_e32 v18, v19, v18
	s_delay_alu instid0(VALU_DEP_1) | instskip(SKIP_1) | instid1(VALU_DEP_1)
	v_fmac_f32_e32 v20, 0x3fc90fda, v18
	v_lshrrev_b32_e32 v18, 30, v11
	v_dual_add_f32 v11, v24, v20 :: v_dual_add_nc_u32 v18, v21, v18
	s_and_not1_saveexec_b32 s0, s18
	s_cbranch_execnz .LBB255_348
	s_branch .LBB255_349
.LBB255_347:                            ;   in Loop: Header=BB255_233 Depth=1
	s_and_not1_saveexec_b32 s0, s18
.LBB255_348:                            ;   in Loop: Header=BB255_233 Depth=1
	v_mul_f32_e64 v11, 0x3f22f983, |v1|
	s_delay_alu instid0(VALU_DEP_1) | instskip(NEXT) | instid1(VALU_DEP_1)
	v_rndne_f32_e32 v18, v11
	v_fma_f32 v11, 0xbfc90fda, v18, |v1|
	s_delay_alu instid0(VALU_DEP_1) | instskip(NEXT) | instid1(VALU_DEP_1)
	v_fmac_f32_e32 v11, 0xb3a22168, v18
	v_fmac_f32_e32 v11, 0xa7c234c4, v18
	v_cvt_i32_f32_e32 v18, v18
.LBB255_349:                            ;   in Loop: Header=BB255_233 Depth=1
	s_or_b32 exec_lo, exec_lo, s0
	v_dual_mul_f32 v19, 0xbfb8aa3b, v0 :: v_dual_mul_f32 v20, v10, v10
	s_delay_alu instid0(VALU_DEP_2) | instskip(SKIP_1) | instid1(VALU_DEP_3)
	v_dual_mul_f32 v24, v11, v11 :: v_dual_and_b32 v21, 1, v17
	v_lshlrev_b32_e32 v17, 30, v17
	v_rndne_f32_e32 v22, v19
	s_delay_alu instid0(VALU_DEP_4) | instskip(SKIP_4) | instid1(VALU_DEP_4)
	v_fmaak_f32 v26, s7, v20, 0x3c0881c4
	v_fma_f32 v23, 0xbfb8aa3b, v0, -v19
	v_dual_fmaak_f32 v28, s7, v24, 0x3c0881c4 :: v_dual_and_b32 v25, 1, v18
	v_dual_fmaak_f32 v27, s8, v20, 0xbab64f3b :: v_dual_lshlrev_b32 v18, 30, v18
	v_sub_f32_e32 v19, v19, v22
	v_fmac_f32_e32 v23, 0xb2a5705f, v0
	v_fmaak_f32 v29, s8, v24, 0xbab64f3b
	v_cmp_eq_u32_e32 vcc_lo, 0, v21
	v_cvt_i32_f32_e32 v22, v22
	v_and_or_b32 v9, 0x80000000, v18, v9
	v_add_f32_e32 v19, v19, v23
	v_fmaak_f32 v23, v20, v26, 0xbe2aaa9d
	v_cmp_ngt_f32_e64 s0, 0xc2b17218, v0
	s_delay_alu instid0(VALU_DEP_2) | instskip(NEXT) | instid1(VALU_DEP_1)
	v_mul_f32_e32 v23, v20, v23
	v_fmac_f32_e32 v10, v10, v23
	v_fmaak_f32 v26, v20, v27, 0x3d2aabf7
	v_fmaak_f32 v27, v24, v28, 0xbe2aaa9d
	;; [unrolled: 1-line block ×3, first 2 shown]
	v_exp_f32_e32 v19, v19
	s_delay_alu instid0(VALU_DEP_2) | instskip(NEXT) | instid1(VALU_DEP_1)
	v_mul_f32_e32 v27, v24, v27
	v_dual_fmaak_f32 v26, v20, v26, 0xbf000004 :: v_dual_fmac_f32 v11, v11, v27
	s_delay_alu instid0(VALU_DEP_1)
	v_fma_f32 v20, v20, v26, 1.0
	s_waitcnt_depctr 0xfff
	v_ldexp_f32 v19, v19, v22
	v_cndmask_b32_e64 v10, -v10, v20, vcc_lo
	v_cmp_eq_u32_e32 vcc_lo, 0, v25
	v_fmaak_f32 v28, v24, v28, 0xbf000004
	s_delay_alu instid0(VALU_DEP_1) | instskip(NEXT) | instid1(VALU_DEP_1)
	v_fma_f32 v23, v24, v28, 1.0
	v_cndmask_b32_e32 v11, v23, v11, vcc_lo
	v_cmp_nlt_f32_e32 vcc_lo, 0x42ce8ed0, v0
	s_delay_alu instid0(VALU_DEP_2) | instskip(SKIP_2) | instid1(VALU_DEP_2)
	v_xor3_b32 v8, v9, v11, v8
	v_cndmask_b32_e32 v18, 0, v19, vcc_lo
	v_cmp_class_f32_e64 vcc_lo, v1, 0x1f8
	v_cndmask_b32_e64 v9, 0x7f800000, v18, s0
	s_delay_alu instid0(VALU_DEP_4) | instskip(NEXT) | instid1(VALU_DEP_1)
	v_cndmask_b32_e32 v8, 0x7fc00000, v8, vcc_lo
	v_dual_mul_f32 v8, v9, v8 :: v_dual_and_b32 v17, 0x80000000, v17
	s_delay_alu instid0(VALU_DEP_1) | instskip(NEXT) | instid1(VALU_DEP_1)
	v_xor_b32_e32 v10, v17, v10
	v_cndmask_b32_e32 v10, 0x7fc00000, v10, vcc_lo
	s_delay_alu instid0(VALU_DEP_1)
	v_mul_f32_e32 v10, v9, v10
                                        ; implicit-def: $vgpr9
.LBB255_350:                            ;   in Loop: Header=BB255_233 Depth=1
	s_and_not1_saveexec_b32 s17, s17
	s_cbranch_execz .LBB255_360
; %bb.351:                              ;   in Loop: Header=BB255_233 Depth=1
	v_cmp_ngt_f32_e64 s18, 0x48000000, |v1|
                                        ; implicit-def: $vgpr17
                                        ; implicit-def: $vgpr10
	s_delay_alu instid0(VALU_DEP_1) | instskip(NEXT) | instid1(SALU_CYCLE_1)
	s_and_saveexec_b32 s0, s18
	s_xor_b32 s19, exec_lo, s0
	s_cbranch_execz .LBB255_353
; %bb.352:                              ;   in Loop: Header=BB255_233 Depth=1
	v_and_or_b32 v24, v9, s6, 0x800000
	v_lshrrev_b32_e32 v21, 23, v9
	s_delay_alu instid0(VALU_DEP_2) | instskip(NEXT) | instid1(VALU_DEP_2)
	v_mad_u64_u32 v[10:11], null, 0xfe5163ab, v24, 0
	v_add_nc_u32_e32 v22, 0xffffff88, v21
	s_delay_alu instid0(VALU_DEP_1) | instskip(NEXT) | instid1(VALU_DEP_3)
	v_cmp_lt_u32_e32 vcc_lo, 63, v22
	v_mad_u64_u32 v[17:18], null, 0x3c439041, v24, v[11:12]
	v_cndmask_b32_e64 v23, 0, 0xffffffc0, vcc_lo
	s_delay_alu instid0(VALU_DEP_2) | instskip(NEXT) | instid1(VALU_DEP_2)
	v_mov_b32_e32 v11, v18
	v_add_nc_u32_e32 v23, v23, v22
	s_delay_alu instid0(VALU_DEP_2) | instskip(NEXT) | instid1(VALU_DEP_2)
	v_mad_u64_u32 v[18:19], null, 0xdb629599, v24, v[11:12]
	v_cmp_lt_u32_e64 s0, 31, v23
	s_delay_alu instid0(VALU_DEP_1) | instskip(NEXT) | instid1(VALU_DEP_3)
	v_cndmask_b32_e64 v25, 0, 0xffffffe0, s0
	v_dual_mov_b32 v11, v19 :: v_dual_cndmask_b32 v10, v18, v10
	s_delay_alu instid0(VALU_DEP_2) | instskip(NEXT) | instid1(VALU_DEP_2)
	v_add_nc_u32_e32 v25, v25, v23
	v_mad_u64_u32 v[19:20], null, 0xf534ddc0, v24, v[11:12]
	s_delay_alu instid0(VALU_DEP_2) | instskip(NEXT) | instid1(VALU_DEP_2)
	v_cmp_lt_u32_e64 s1, 31, v25
	v_mov_b32_e32 v11, v20
	s_delay_alu instid0(VALU_DEP_3) | instskip(NEXT) | instid1(VALU_DEP_2)
	v_cndmask_b32_e32 v17, v19, v17, vcc_lo
	v_mad_u64_u32 v[20:21], null, 0xfc2757d1, v24, v[11:12]
	s_delay_alu instid0(VALU_DEP_2) | instskip(NEXT) | instid1(VALU_DEP_2)
	v_cndmask_b32_e64 v10, v17, v10, s0
	v_mov_b32_e32 v11, v21
	s_delay_alu instid0(VALU_DEP_1) | instskip(NEXT) | instid1(VALU_DEP_1)
	v_mad_u64_u32 v[21:22], null, 0x4e441529, v24, v[11:12]
	v_mov_b32_e32 v11, v22
	s_delay_alu instid0(VALU_DEP_1) | instskip(SKIP_1) | instid1(VALU_DEP_1)
	v_mad_u64_u32 v[22:23], null, 0xa2f9836e, v24, v[11:12]
	v_cndmask_b32_e64 v11, 0, 0xffffffe0, s1
	v_dual_cndmask_b32 v24, v21, v19 :: v_dual_add_nc_u32 v11, v11, v25
	s_delay_alu instid0(VALU_DEP_3) | instskip(SKIP_1) | instid1(VALU_DEP_3)
	v_dual_cndmask_b32 v22, v22, v20 :: v_dual_cndmask_b32 v21, v23, v21
	v_cndmask_b32_e32 v20, v20, v18, vcc_lo
	v_sub_nc_u32_e32 v23, 32, v11
	s_delay_alu instid0(VALU_DEP_3) | instskip(NEXT) | instid1(VALU_DEP_4)
	v_cndmask_b32_e64 v19, v22, v24, s0
	v_cndmask_b32_e64 v21, v21, v22, s0
	s_delay_alu instid0(VALU_DEP_4) | instskip(SKIP_2) | instid1(VALU_DEP_4)
	v_cndmask_b32_e64 v22, v24, v20, s0
	v_cndmask_b32_e64 v20, v20, v17, s0
	v_cmp_eq_u32_e64 s2, 0, v11
	v_cndmask_b32_e64 v21, v21, v19, s1
	s_delay_alu instid0(VALU_DEP_4) | instskip(NEXT) | instid1(VALU_DEP_4)
	v_cndmask_b32_e64 v19, v19, v22, s1
	v_cndmask_b32_e64 v22, v22, v20, s1
	;; [unrolled: 1-line block ×3, first 2 shown]
	s_delay_alu instid0(VALU_DEP_3) | instskip(NEXT) | instid1(VALU_DEP_3)
	v_alignbit_b32 v24, v21, v19, v23
	v_alignbit_b32 v25, v19, v22, v23
	s_delay_alu instid0(VALU_DEP_3) | instskip(NEXT) | instid1(VALU_DEP_3)
	v_alignbit_b32 v23, v22, v10, v23
	v_cndmask_b32_e64 v11, v24, v21, s2
	s_delay_alu instid0(VALU_DEP_3) | instskip(NEXT) | instid1(VALU_DEP_3)
	v_cndmask_b32_e64 v18, v25, v19, s2
	v_cndmask_b32_e64 v22, v23, v22, s2
	s_delay_alu instid0(VALU_DEP_3) | instskip(NEXT) | instid1(VALU_DEP_3)
	v_bfe_u32 v19, v11, 29, 1
	v_alignbit_b32 v17, v11, v18, 30
	s_delay_alu instid0(VALU_DEP_3) | instskip(SKIP_1) | instid1(VALU_DEP_4)
	v_alignbit_b32 v18, v18, v22, 30
	v_alignbit_b32 v10, v22, v10, 30
	v_sub_nc_u32_e32 v21, 0, v19
	s_delay_alu instid0(VALU_DEP_1) | instskip(SKIP_3) | instid1(VALU_DEP_4)
	v_xor_b32_e32 v20, v17, v21
	v_cmp_ne_u32_e32 vcc_lo, v17, v21
	v_xor_b32_e32 v18, v18, v21
	v_xor_b32_e32 v10, v10, v21
	v_clz_i32_u32_e32 v24, v20
	s_delay_alu instid0(VALU_DEP_1) | instskip(NEXT) | instid1(VALU_DEP_1)
	v_add_nc_u32_e32 v23, 1, v24
	v_cndmask_b32_e32 v17, 33, v23, vcc_lo
	s_delay_alu instid0(VALU_DEP_1) | instskip(NEXT) | instid1(VALU_DEP_1)
	v_sub_nc_u32_e32 v22, 32, v17
	v_alignbit_b32 v20, v20, v18, v22
	v_alignbit_b32 v10, v18, v10, v22
	v_lshrrev_b32_e32 v18, 29, v11
	v_lshrrev_b32_e32 v11, 30, v11
	s_delay_alu instid0(VALU_DEP_3) | instskip(NEXT) | instid1(VALU_DEP_3)
	v_alignbit_b32 v21, v20, v10, 9
	v_lshlrev_b32_e32 v18, 31, v18
	v_alignbit_b32 v20, v17, v20, 9
	s_delay_alu instid0(VALU_DEP_3) | instskip(NEXT) | instid1(VALU_DEP_2)
	v_clz_i32_u32_e32 v22, v21
	v_or_b32_e32 v20, v20, v18
	v_or_b32_e32 v18, 0x33800000, v18
	s_delay_alu instid0(VALU_DEP_3) | instskip(NEXT) | instid1(VALU_DEP_3)
	v_min_u32_e32 v22, 32, v22
	v_xor_b32_e32 v20, 1.0, v20
	s_delay_alu instid0(VALU_DEP_2) | instskip(SKIP_1) | instid1(VALU_DEP_3)
	v_sub_nc_u32_e32 v23, 31, v22
	v_add_lshl_u32 v17, v22, v17, 23
	v_mul_f32_e32 v22, 0x3fc90fda, v20
	s_delay_alu instid0(VALU_DEP_3) | instskip(NEXT) | instid1(VALU_DEP_3)
	v_alignbit_b32 v10, v21, v10, v23
	v_sub_nc_u32_e32 v17, v18, v17
	s_delay_alu instid0(VALU_DEP_3) | instskip(NEXT) | instid1(VALU_DEP_3)
	v_fma_f32 v18, 0x3fc90fda, v20, -v22
	v_lshrrev_b32_e32 v10, 9, v10
	s_delay_alu instid0(VALU_DEP_2) | instskip(NEXT) | instid1(VALU_DEP_2)
	v_fmac_f32_e32 v18, 0x33a22168, v20
	v_or_b32_e32 v10, v17, v10
	s_delay_alu instid0(VALU_DEP_1) | instskip(NEXT) | instid1(VALU_DEP_1)
	v_dual_fmac_f32 v18, 0x3fc90fda, v10 :: v_dual_add_nc_u32 v17, v19, v11
	v_add_f32_e32 v10, v22, v18
	s_and_not1_saveexec_b32 s0, s19
	s_branch .LBB255_354
.LBB255_353:                            ;   in Loop: Header=BB255_233 Depth=1
	s_and_not1_saveexec_b32 s0, s19
.LBB255_354:                            ;   in Loop: Header=BB255_233 Depth=1
	v_mul_f32_e64 v10, 0x3f22f983, |v1|
	s_delay_alu instid0(VALU_DEP_1) | instskip(NEXT) | instid1(VALU_DEP_1)
	v_rndne_f32_e32 v11, v10
	v_fma_f32 v10, 0xbfc90fda, v11, |v1|
	v_cvt_i32_f32_e32 v17, v11
	s_delay_alu instid0(VALU_DEP_2) | instskip(NEXT) | instid1(VALU_DEP_1)
	v_fmac_f32_e32 v10, 0xb3a22168, v11
	v_fmac_f32_e32 v10, 0xa7c234c4, v11
; %bb.355:                              ;   in Loop: Header=BB255_233 Depth=1
	s_or_b32 exec_lo, exec_lo, s0
                                        ; implicit-def: $vgpr18
                                        ; implicit-def: $vgpr11
	s_and_saveexec_b32 s0, s18
	s_delay_alu instid0(SALU_CYCLE_1)
	s_xor_b32 s18, exec_lo, s0
	s_cbranch_execz .LBB255_357
; %bb.356:                              ;   in Loop: Header=BB255_233 Depth=1
	v_and_or_b32 v26, v9, s6, 0x800000
	v_lshrrev_b32_e32 v23, 23, v9
	s_delay_alu instid0(VALU_DEP_2) | instskip(NEXT) | instid1(VALU_DEP_2)
	v_mad_u64_u32 v[18:19], null, 0xfe5163ab, v26, 0
	v_add_nc_u32_e32 v24, 0xffffff88, v23
	s_delay_alu instid0(VALU_DEP_1) | instskip(NEXT) | instid1(VALU_DEP_3)
	v_cmp_lt_u32_e32 vcc_lo, 63, v24
	v_mov_b32_e32 v11, v19
	v_cndmask_b32_e64 v25, 0, 0xffffffc0, vcc_lo
	s_delay_alu instid0(VALU_DEP_2) | instskip(NEXT) | instid1(VALU_DEP_2)
	v_mad_u64_u32 v[19:20], null, 0x3c439041, v26, v[11:12]
	v_add_nc_u32_e32 v25, v25, v24
	s_delay_alu instid0(VALU_DEP_2) | instskip(NEXT) | instid1(VALU_DEP_2)
	v_mov_b32_e32 v11, v20
	v_cmp_lt_u32_e64 s0, 31, v25
	s_delay_alu instid0(VALU_DEP_2) | instskip(NEXT) | instid1(VALU_DEP_2)
	v_mad_u64_u32 v[20:21], null, 0xdb629599, v26, v[11:12]
	v_cndmask_b32_e64 v27, 0, 0xffffffe0, s0
	s_delay_alu instid0(VALU_DEP_1) | instskip(NEXT) | instid1(VALU_DEP_3)
	v_add_nc_u32_e32 v27, v27, v25
	v_dual_mov_b32 v11, v21 :: v_dual_cndmask_b32 v18, v20, v18
	s_delay_alu instid0(VALU_DEP_2) | instskip(NEXT) | instid1(VALU_DEP_2)
	v_cmp_lt_u32_e64 s1, 31, v27
	v_mad_u64_u32 v[21:22], null, 0xf534ddc0, v26, v[11:12]
	s_delay_alu instid0(VALU_DEP_1) | instskip(NEXT) | instid1(VALU_DEP_2)
	v_mov_b32_e32 v11, v22
	v_cndmask_b32_e32 v19, v21, v19, vcc_lo
	s_delay_alu instid0(VALU_DEP_2) | instskip(NEXT) | instid1(VALU_DEP_2)
	v_mad_u64_u32 v[22:23], null, 0xfc2757d1, v26, v[11:12]
	v_cndmask_b32_e64 v18, v19, v18, s0
	s_delay_alu instid0(VALU_DEP_2) | instskip(NEXT) | instid1(VALU_DEP_1)
	v_mov_b32_e32 v11, v23
	v_mad_u64_u32 v[23:24], null, 0x4e441529, v26, v[11:12]
	s_delay_alu instid0(VALU_DEP_1) | instskip(NEXT) | instid1(VALU_DEP_1)
	v_mov_b32_e32 v11, v24
	v_mad_u64_u32 v[24:25], null, 0xa2f9836e, v26, v[11:12]
	v_cndmask_b32_e64 v11, 0, 0xffffffe0, s1
	s_delay_alu instid0(VALU_DEP_4) | instskip(NEXT) | instid1(VALU_DEP_2)
	v_cndmask_b32_e32 v26, v23, v21, vcc_lo
	v_dual_cndmask_b32 v24, v24, v22 :: v_dual_add_nc_u32 v11, v11, v27
	s_delay_alu instid0(VALU_DEP_4) | instskip(NEXT) | instid1(VALU_DEP_2)
	v_dual_cndmask_b32 v23, v25, v23 :: v_dual_cndmask_b32 v22, v22, v20
	v_sub_nc_u32_e32 v25, 32, v11
	s_delay_alu instid0(VALU_DEP_3) | instskip(NEXT) | instid1(VALU_DEP_3)
	v_cndmask_b32_e64 v21, v24, v26, s0
	v_cndmask_b32_e64 v23, v23, v24, s0
	s_delay_alu instid0(VALU_DEP_4) | instskip(SKIP_2) | instid1(VALU_DEP_4)
	v_cndmask_b32_e64 v24, v26, v22, s0
	v_cndmask_b32_e64 v22, v22, v19, s0
	v_cmp_eq_u32_e64 s2, 0, v11
	v_cndmask_b32_e64 v23, v23, v21, s1
	s_delay_alu instid0(VALU_DEP_4) | instskip(NEXT) | instid1(VALU_DEP_4)
	v_cndmask_b32_e64 v21, v21, v24, s1
	v_cndmask_b32_e64 v24, v24, v22, s1
	;; [unrolled: 1-line block ×3, first 2 shown]
	s_delay_alu instid0(VALU_DEP_3) | instskip(NEXT) | instid1(VALU_DEP_3)
	v_alignbit_b32 v26, v23, v21, v25
	v_alignbit_b32 v27, v21, v24, v25
	s_delay_alu instid0(VALU_DEP_3) | instskip(NEXT) | instid1(VALU_DEP_3)
	v_alignbit_b32 v25, v24, v18, v25
	v_cndmask_b32_e64 v11, v26, v23, s2
	s_delay_alu instid0(VALU_DEP_3) | instskip(NEXT) | instid1(VALU_DEP_3)
	v_cndmask_b32_e64 v20, v27, v21, s2
	v_cndmask_b32_e64 v24, v25, v24, s2
	s_delay_alu instid0(VALU_DEP_3) | instskip(NEXT) | instid1(VALU_DEP_3)
	v_bfe_u32 v21, v11, 29, 1
	v_alignbit_b32 v19, v11, v20, 30
	s_delay_alu instid0(VALU_DEP_3) | instskip(SKIP_1) | instid1(VALU_DEP_4)
	v_alignbit_b32 v20, v20, v24, 30
	v_alignbit_b32 v18, v24, v18, 30
	v_sub_nc_u32_e32 v23, 0, v21
	s_delay_alu instid0(VALU_DEP_1) | instskip(SKIP_3) | instid1(VALU_DEP_4)
	v_xor_b32_e32 v22, v19, v23
	v_cmp_ne_u32_e32 vcc_lo, v19, v23
	v_xor_b32_e32 v20, v20, v23
	v_xor_b32_e32 v18, v18, v23
	v_clz_i32_u32_e32 v26, v22
	s_delay_alu instid0(VALU_DEP_1) | instskip(NEXT) | instid1(VALU_DEP_1)
	v_add_nc_u32_e32 v25, 1, v26
	v_cndmask_b32_e32 v19, 33, v25, vcc_lo
	s_delay_alu instid0(VALU_DEP_1) | instskip(NEXT) | instid1(VALU_DEP_1)
	v_sub_nc_u32_e32 v24, 32, v19
	v_alignbit_b32 v22, v22, v20, v24
	v_alignbit_b32 v18, v20, v18, v24
	v_lshrrev_b32_e32 v20, 29, v11
	s_delay_alu instid0(VALU_DEP_2) | instskip(NEXT) | instid1(VALU_DEP_2)
	v_alignbit_b32 v23, v22, v18, 9
	v_lshlrev_b32_e32 v20, 31, v20
	v_alignbit_b32 v22, v19, v22, 9
	s_delay_alu instid0(VALU_DEP_3) | instskip(NEXT) | instid1(VALU_DEP_2)
	v_clz_i32_u32_e32 v24, v23
	v_or_b32_e32 v22, v22, v20
	v_or_b32_e32 v20, 0x33800000, v20
	s_delay_alu instid0(VALU_DEP_3) | instskip(NEXT) | instid1(VALU_DEP_3)
	v_min_u32_e32 v24, 32, v24
	v_xor_b32_e32 v22, 1.0, v22
	s_delay_alu instid0(VALU_DEP_2) | instskip(SKIP_1) | instid1(VALU_DEP_3)
	v_sub_nc_u32_e32 v25, 31, v24
	v_add_lshl_u32 v19, v24, v19, 23
	v_mul_f32_e32 v24, 0x3fc90fda, v22
	s_delay_alu instid0(VALU_DEP_3) | instskip(NEXT) | instid1(VALU_DEP_3)
	v_alignbit_b32 v18, v23, v18, v25
	v_sub_nc_u32_e32 v19, v20, v19
	s_delay_alu instid0(VALU_DEP_3) | instskip(NEXT) | instid1(VALU_DEP_3)
	v_fma_f32 v20, 0x3fc90fda, v22, -v24
	v_lshrrev_b32_e32 v18, 9, v18
	s_delay_alu instid0(VALU_DEP_2) | instskip(NEXT) | instid1(VALU_DEP_2)
	v_fmac_f32_e32 v20, 0x33a22168, v22
	v_or_b32_e32 v18, v19, v18
	s_delay_alu instid0(VALU_DEP_1) | instskip(SKIP_1) | instid1(VALU_DEP_1)
	v_fmac_f32_e32 v20, 0x3fc90fda, v18
	v_lshrrev_b32_e32 v18, 30, v11
	v_dual_add_f32 v11, v24, v20 :: v_dual_add_nc_u32 v18, v21, v18
	s_and_not1_saveexec_b32 s0, s18
	s_cbranch_execnz .LBB255_358
	s_branch .LBB255_359
.LBB255_357:                            ;   in Loop: Header=BB255_233 Depth=1
	s_and_not1_saveexec_b32 s0, s18
.LBB255_358:                            ;   in Loop: Header=BB255_233 Depth=1
	v_mul_f32_e64 v11, 0x3f22f983, |v1|
	s_delay_alu instid0(VALU_DEP_1) | instskip(NEXT) | instid1(VALU_DEP_1)
	v_rndne_f32_e32 v18, v11
	v_fma_f32 v11, 0xbfc90fda, v18, |v1|
	s_delay_alu instid0(VALU_DEP_1) | instskip(NEXT) | instid1(VALU_DEP_1)
	v_fmac_f32_e32 v11, 0xb3a22168, v18
	v_fmac_f32_e32 v11, 0xa7c234c4, v18
	v_cvt_i32_f32_e32 v18, v18
.LBB255_359:                            ;   in Loop: Header=BB255_233 Depth=1
	s_or_b32 exec_lo, exec_lo, s0
	s_delay_alu instid0(VALU_DEP_1) | instskip(NEXT) | instid1(VALU_DEP_1)
	v_dual_sub_f32 v19, 0xc322e3bc, v0 :: v_dual_mul_f32 v24, v11, v11
	v_dual_mul_f32 v23, v10, v10 :: v_dual_mul_f32 v20, 0x3fb8aa3b, v19
	s_delay_alu instid0(VALU_DEP_1) | instskip(NEXT) | instid1(VALU_DEP_2)
	v_fmaak_f32 v25, s8, v23, 0xbab64f3b
	v_fma_f32 v21, 0x3fb8aa3b, v19, -v20
	v_rndne_f32_e32 v22, v20
	s_delay_alu instid0(VALU_DEP_1) | instskip(SKIP_1) | instid1(VALU_DEP_2)
	v_dual_sub_f32 v20, v20, v22 :: v_dual_fmac_f32 v21, 0x32a5705f, v19
	v_cmp_ngt_f32_e32 vcc_lo, 0xc2ce8ed0, v19
	v_add_f32_e32 v20, v20, v21
	v_cvt_i32_f32_e32 v21, v22
	v_lshlrev_b32_e32 v22, 30, v17
	v_and_b32_e32 v17, 1, v17
	s_delay_alu instid0(VALU_DEP_4)
	v_exp_f32_e32 v20, v20
	s_waitcnt_depctr 0xfff
	v_ldexp_f32 v20, v20, v21
	v_and_b32_e32 v21, 1, v18
	v_lshlrev_b32_e32 v18, 30, v18
	v_dual_fmaak_f32 v26, s7, v23, 0x3c0881c4 :: v_dual_fmaak_f32 v27, s7, v24, 0x3c0881c4
	s_delay_alu instid0(VALU_DEP_4) | instskip(SKIP_1) | instid1(VALU_DEP_4)
	v_cndmask_b32_e32 v20, 0, v20, vcc_lo
	v_cmp_nlt_f32_e32 vcc_lo, 0x42b17218, v19
	v_and_or_b32 v9, 0x80000000, v18, v9
	v_fmaak_f32 v18, v23, v25, 0x3d2aabf7
	v_fmaak_f32 v25, v23, v26, 0xbe2aaa9d
	v_and_b32_e32 v22, 0x80000000, v22
	v_fmaak_f32 v27, v24, v27, 0xbe2aaa9d
	s_delay_alu instid0(VALU_DEP_4) | instskip(NEXT) | instid1(VALU_DEP_4)
	v_fmaak_f32 v18, v23, v18, 0xbf000004
	v_mul_f32_e32 v25, v23, v25
	v_cndmask_b32_e32 v19, 0x7f800000, v20, vcc_lo
	s_delay_alu instid0(VALU_DEP_4) | instskip(NEXT) | instid1(VALU_DEP_4)
	v_dual_fmaak_f32 v20, s8, v24, 0xbab64f3b :: v_dual_mul_f32 v27, v24, v27
	v_fma_f32 v18, v23, v18, 1.0
	s_delay_alu instid0(VALU_DEP_4) | instskip(NEXT) | instid1(VALU_DEP_4)
	v_fmac_f32_e32 v10, v10, v25
	v_lshrrev_b32_e32 v26, 23, v19
	s_delay_alu instid0(VALU_DEP_4) | instskip(SKIP_1) | instid1(VALU_DEP_3)
	v_dual_fmaak_f32 v20, v24, v20, 0x3d2aabf7 :: v_dual_fmac_f32 v11, v11, v27
	v_cmp_eq_u32_e32 vcc_lo, 0, v17
	v_subrev_nc_u32_e32 v26, 19, v26
	s_delay_alu instid0(VALU_DEP_3) | instskip(SKIP_2) | instid1(VALU_DEP_4)
	v_fmaak_f32 v20, v24, v20, 0xbf000004
	v_cndmask_b32_e64 v10, -v10, v18, vcc_lo
	v_cmp_eq_u32_e32 vcc_lo, 0, v21
	v_lshrrev_b16 v23, 15, v26
	s_delay_alu instid0(VALU_DEP_4) | instskip(NEXT) | instid1(VALU_DEP_4)
	v_fma_f32 v20, v24, v20, 1.0
	v_xor_b32_e32 v10, v22, v10
	s_delay_alu instid0(VALU_DEP_3) | instskip(NEXT) | instid1(VALU_DEP_3)
	v_add_nc_u16 v17, v26, v23
	v_cndmask_b32_e32 v11, v20, v11, vcc_lo
	v_cmp_class_f32_e64 vcc_lo, v1, 0x1f8
	s_delay_alu instid0(VALU_DEP_3) | instskip(NEXT) | instid1(VALU_DEP_3)
	v_ashrrev_i16 v17, 1, v17
	v_xor3_b32 v8, v9, v11, v8
	s_delay_alu instid0(VALU_DEP_2) | instskip(NEXT) | instid1(VALU_DEP_2)
	v_bfe_i32 v11, v17, 0, 16
	v_cndmask_b32_e32 v8, 0x7fc00000, v8, vcc_lo
	s_delay_alu instid0(VALU_DEP_2) | instskip(SKIP_3) | instid1(VALU_DEP_2)
	v_lshl_add_u32 v17, v11, 23, 1.0
	v_cndmask_b32_e32 v9, 0x7fc00000, v10, vcc_lo
	v_and_or_b32 v10, 0x7fffff, v19, s9
	v_sub_nc_u32_e32 v11, v26, v11
	v_mul_f32_e32 v8, v8, v10
	s_delay_alu instid0(VALU_DEP_2) | instskip(NEXT) | instid1(VALU_DEP_2)
	v_lshl_add_u32 v11, v11, 23, 1.0
	v_dual_mul_f32 v8, v8, v17 :: v_dual_mul_f32 v9, v9, v10
	s_delay_alu instid0(VALU_DEP_1) | instskip(NEXT) | instid1(VALU_DEP_1)
	v_dual_mul_f32 v8, v8, v11 :: v_dual_mul_f32 v9, v9, v17
	v_mul_f32_e32 v10, v9, v11
.LBB255_360:                            ;   in Loop: Header=BB255_233 Depth=1
	s_or_b32 exec_lo, exec_lo, s17
                                        ; implicit-def: $vgpr11
                                        ; implicit-def: $vgpr17
.LBB255_361:                            ;   in Loop: Header=BB255_233 Depth=1
	s_and_not1_saveexec_b32 s0, s16
	s_cbranch_execz .LBB255_367
; %bb.362:                              ;   in Loop: Header=BB255_233 Depth=1
	v_sub_f32_e32 v8, v1, v1
	s_mov_b32 s1, exec_lo
	v_cmpx_ne_u32_e32 0x7f800000, v17
	s_xor_b32 s1, exec_lo, s1
; %bb.363:                              ;   in Loop: Header=BB255_233 Depth=1
                                        ; implicit-def: $vgpr11
; %bb.364:                              ;   in Loop: Header=BB255_233 Depth=1
	s_delay_alu instid0(SALU_CYCLE_1)
	s_or_saveexec_b32 s1, s1
	v_mov_b32_e32 v10, v8
	s_xor_b32 exec_lo, exec_lo, s1
; %bb.365:                              ;   in Loop: Header=BB255_233 Depth=1
	v_cmp_lt_i32_e32 vcc_lo, -1, v11
	v_cndmask_b32_e64 v10, 0, -v0, vcc_lo
	v_cndmask_b32_e32 v8, 0, v8, vcc_lo
; %bb.366:                              ;   in Loop: Header=BB255_233 Depth=1
	s_or_b32 exec_lo, exec_lo, s1
.LBB255_367:                            ;   in Loop: Header=BB255_233 Depth=1
	s_delay_alu instid0(SALU_CYCLE_1)
	s_or_b32 exec_lo, exec_lo, s0
                                        ; implicit-def: $vgpr9
.LBB255_368:                            ;   in Loop: Header=BB255_233 Depth=1
	s_and_not1_saveexec_b32 s15, s15
	s_cbranch_execz .LBB255_378
; %bb.369:                              ;   in Loop: Header=BB255_233 Depth=1
	v_cmp_ngt_f32_e64 s16, 0x48000000, |v1|
                                        ; implicit-def: $vgpr17
                                        ; implicit-def: $vgpr10
	s_delay_alu instid0(VALU_DEP_1) | instskip(NEXT) | instid1(SALU_CYCLE_1)
	s_and_saveexec_b32 s0, s16
	s_xor_b32 s17, exec_lo, s0
	s_cbranch_execz .LBB255_371
; %bb.370:                              ;   in Loop: Header=BB255_233 Depth=1
	v_and_or_b32 v24, v9, s6, 0x800000
	v_lshrrev_b32_e32 v21, 23, v9
	s_delay_alu instid0(VALU_DEP_2) | instskip(NEXT) | instid1(VALU_DEP_2)
	v_mad_u64_u32 v[10:11], null, 0xfe5163ab, v24, 0
	v_add_nc_u32_e32 v22, 0xffffff88, v21
	s_delay_alu instid0(VALU_DEP_1) | instskip(NEXT) | instid1(VALU_DEP_3)
	v_cmp_lt_u32_e32 vcc_lo, 63, v22
	v_mad_u64_u32 v[17:18], null, 0x3c439041, v24, v[11:12]
	v_cndmask_b32_e64 v23, 0, 0xffffffc0, vcc_lo
	s_delay_alu instid0(VALU_DEP_2) | instskip(NEXT) | instid1(VALU_DEP_2)
	v_mov_b32_e32 v11, v18
	v_add_nc_u32_e32 v23, v23, v22
	s_delay_alu instid0(VALU_DEP_2) | instskip(NEXT) | instid1(VALU_DEP_2)
	v_mad_u64_u32 v[18:19], null, 0xdb629599, v24, v[11:12]
	v_cmp_lt_u32_e64 s0, 31, v23
	s_delay_alu instid0(VALU_DEP_1) | instskip(NEXT) | instid1(VALU_DEP_3)
	v_cndmask_b32_e64 v25, 0, 0xffffffe0, s0
	v_dual_mov_b32 v11, v19 :: v_dual_cndmask_b32 v10, v18, v10
	s_delay_alu instid0(VALU_DEP_2) | instskip(NEXT) | instid1(VALU_DEP_2)
	v_add_nc_u32_e32 v25, v25, v23
	v_mad_u64_u32 v[19:20], null, 0xf534ddc0, v24, v[11:12]
	s_delay_alu instid0(VALU_DEP_2) | instskip(NEXT) | instid1(VALU_DEP_2)
	v_cmp_lt_u32_e64 s1, 31, v25
	v_mov_b32_e32 v11, v20
	s_delay_alu instid0(VALU_DEP_3) | instskip(NEXT) | instid1(VALU_DEP_2)
	v_cndmask_b32_e32 v17, v19, v17, vcc_lo
	v_mad_u64_u32 v[20:21], null, 0xfc2757d1, v24, v[11:12]
	s_delay_alu instid0(VALU_DEP_2) | instskip(NEXT) | instid1(VALU_DEP_2)
	v_cndmask_b32_e64 v10, v17, v10, s0
	v_mov_b32_e32 v11, v21
	s_delay_alu instid0(VALU_DEP_1) | instskip(NEXT) | instid1(VALU_DEP_1)
	v_mad_u64_u32 v[21:22], null, 0x4e441529, v24, v[11:12]
	v_mov_b32_e32 v11, v22
	s_delay_alu instid0(VALU_DEP_1) | instskip(SKIP_1) | instid1(VALU_DEP_1)
	v_mad_u64_u32 v[22:23], null, 0xa2f9836e, v24, v[11:12]
	v_cndmask_b32_e64 v11, 0, 0xffffffe0, s1
	v_dual_cndmask_b32 v24, v21, v19 :: v_dual_add_nc_u32 v11, v11, v25
	s_delay_alu instid0(VALU_DEP_3) | instskip(SKIP_1) | instid1(VALU_DEP_3)
	v_dual_cndmask_b32 v22, v22, v20 :: v_dual_cndmask_b32 v21, v23, v21
	v_cndmask_b32_e32 v20, v20, v18, vcc_lo
	v_sub_nc_u32_e32 v23, 32, v11
	s_delay_alu instid0(VALU_DEP_3) | instskip(NEXT) | instid1(VALU_DEP_4)
	v_cndmask_b32_e64 v19, v22, v24, s0
	v_cndmask_b32_e64 v21, v21, v22, s0
	s_delay_alu instid0(VALU_DEP_4) | instskip(SKIP_2) | instid1(VALU_DEP_4)
	v_cndmask_b32_e64 v22, v24, v20, s0
	v_cndmask_b32_e64 v20, v20, v17, s0
	v_cmp_eq_u32_e64 s2, 0, v11
	v_cndmask_b32_e64 v21, v21, v19, s1
	s_delay_alu instid0(VALU_DEP_4) | instskip(NEXT) | instid1(VALU_DEP_4)
	v_cndmask_b32_e64 v19, v19, v22, s1
	v_cndmask_b32_e64 v22, v22, v20, s1
	;; [unrolled: 1-line block ×3, first 2 shown]
	s_delay_alu instid0(VALU_DEP_3) | instskip(NEXT) | instid1(VALU_DEP_3)
	v_alignbit_b32 v24, v21, v19, v23
	v_alignbit_b32 v25, v19, v22, v23
	s_delay_alu instid0(VALU_DEP_3) | instskip(NEXT) | instid1(VALU_DEP_3)
	v_alignbit_b32 v23, v22, v10, v23
	v_cndmask_b32_e64 v11, v24, v21, s2
	s_delay_alu instid0(VALU_DEP_3) | instskip(NEXT) | instid1(VALU_DEP_3)
	v_cndmask_b32_e64 v18, v25, v19, s2
	v_cndmask_b32_e64 v22, v23, v22, s2
	s_delay_alu instid0(VALU_DEP_3) | instskip(NEXT) | instid1(VALU_DEP_3)
	v_bfe_u32 v19, v11, 29, 1
	v_alignbit_b32 v17, v11, v18, 30
	s_delay_alu instid0(VALU_DEP_3) | instskip(SKIP_1) | instid1(VALU_DEP_4)
	v_alignbit_b32 v18, v18, v22, 30
	v_alignbit_b32 v10, v22, v10, 30
	v_sub_nc_u32_e32 v21, 0, v19
	s_delay_alu instid0(VALU_DEP_1) | instskip(SKIP_3) | instid1(VALU_DEP_4)
	v_xor_b32_e32 v20, v17, v21
	v_cmp_ne_u32_e32 vcc_lo, v17, v21
	v_xor_b32_e32 v18, v18, v21
	v_xor_b32_e32 v10, v10, v21
	v_clz_i32_u32_e32 v24, v20
	s_delay_alu instid0(VALU_DEP_1) | instskip(NEXT) | instid1(VALU_DEP_1)
	v_add_nc_u32_e32 v23, 1, v24
	v_cndmask_b32_e32 v17, 33, v23, vcc_lo
	s_delay_alu instid0(VALU_DEP_1) | instskip(NEXT) | instid1(VALU_DEP_1)
	v_sub_nc_u32_e32 v22, 32, v17
	v_alignbit_b32 v20, v20, v18, v22
	v_alignbit_b32 v10, v18, v10, v22
	v_lshrrev_b32_e32 v18, 29, v11
	v_lshrrev_b32_e32 v11, 30, v11
	s_delay_alu instid0(VALU_DEP_3) | instskip(NEXT) | instid1(VALU_DEP_3)
	v_alignbit_b32 v21, v20, v10, 9
	v_lshlrev_b32_e32 v18, 31, v18
	v_alignbit_b32 v20, v17, v20, 9
	s_delay_alu instid0(VALU_DEP_3) | instskip(NEXT) | instid1(VALU_DEP_2)
	v_clz_i32_u32_e32 v22, v21
	v_or_b32_e32 v20, v20, v18
	v_or_b32_e32 v18, 0x33800000, v18
	s_delay_alu instid0(VALU_DEP_3) | instskip(NEXT) | instid1(VALU_DEP_3)
	v_min_u32_e32 v22, 32, v22
	v_xor_b32_e32 v20, 1.0, v20
	s_delay_alu instid0(VALU_DEP_2) | instskip(SKIP_1) | instid1(VALU_DEP_3)
	v_sub_nc_u32_e32 v23, 31, v22
	v_add_lshl_u32 v17, v22, v17, 23
	v_mul_f32_e32 v22, 0x3fc90fda, v20
	s_delay_alu instid0(VALU_DEP_3) | instskip(NEXT) | instid1(VALU_DEP_3)
	v_alignbit_b32 v10, v21, v10, v23
	v_sub_nc_u32_e32 v17, v18, v17
	s_delay_alu instid0(VALU_DEP_3) | instskip(NEXT) | instid1(VALU_DEP_3)
	v_fma_f32 v18, 0x3fc90fda, v20, -v22
	v_lshrrev_b32_e32 v10, 9, v10
	s_delay_alu instid0(VALU_DEP_2) | instskip(NEXT) | instid1(VALU_DEP_2)
	v_fmac_f32_e32 v18, 0x33a22168, v20
	v_or_b32_e32 v10, v17, v10
	s_delay_alu instid0(VALU_DEP_1) | instskip(NEXT) | instid1(VALU_DEP_1)
	v_dual_fmac_f32 v18, 0x3fc90fda, v10 :: v_dual_add_nc_u32 v17, v19, v11
	v_add_f32_e32 v10, v22, v18
	s_and_not1_saveexec_b32 s0, s17
	s_branch .LBB255_372
.LBB255_371:                            ;   in Loop: Header=BB255_233 Depth=1
	s_and_not1_saveexec_b32 s0, s17
.LBB255_372:                            ;   in Loop: Header=BB255_233 Depth=1
	v_mul_f32_e64 v10, 0x3f22f983, |v1|
	s_delay_alu instid0(VALU_DEP_1) | instskip(NEXT) | instid1(VALU_DEP_1)
	v_rndne_f32_e32 v11, v10
	v_fma_f32 v10, 0xbfc90fda, v11, |v1|
	v_cvt_i32_f32_e32 v17, v11
	s_delay_alu instid0(VALU_DEP_2) | instskip(NEXT) | instid1(VALU_DEP_1)
	v_fmac_f32_e32 v10, 0xb3a22168, v11
	v_fmac_f32_e32 v10, 0xa7c234c4, v11
; %bb.373:                              ;   in Loop: Header=BB255_233 Depth=1
	s_or_b32 exec_lo, exec_lo, s0
                                        ; implicit-def: $vgpr18
                                        ; implicit-def: $vgpr11
	s_and_saveexec_b32 s0, s16
	s_delay_alu instid0(SALU_CYCLE_1)
	s_xor_b32 s16, exec_lo, s0
	s_cbranch_execz .LBB255_375
; %bb.374:                              ;   in Loop: Header=BB255_233 Depth=1
	v_and_or_b32 v26, v9, s6, 0x800000
	v_lshrrev_b32_e32 v23, 23, v9
	s_delay_alu instid0(VALU_DEP_2) | instskip(NEXT) | instid1(VALU_DEP_2)
	v_mad_u64_u32 v[18:19], null, 0xfe5163ab, v26, 0
	v_add_nc_u32_e32 v24, 0xffffff88, v23
	s_delay_alu instid0(VALU_DEP_1) | instskip(NEXT) | instid1(VALU_DEP_3)
	v_cmp_lt_u32_e32 vcc_lo, 63, v24
	v_mov_b32_e32 v11, v19
	v_cndmask_b32_e64 v25, 0, 0xffffffc0, vcc_lo
	s_delay_alu instid0(VALU_DEP_2) | instskip(NEXT) | instid1(VALU_DEP_2)
	v_mad_u64_u32 v[19:20], null, 0x3c439041, v26, v[11:12]
	v_add_nc_u32_e32 v25, v25, v24
	s_delay_alu instid0(VALU_DEP_2) | instskip(NEXT) | instid1(VALU_DEP_2)
	v_mov_b32_e32 v11, v20
	v_cmp_lt_u32_e64 s0, 31, v25
	s_delay_alu instid0(VALU_DEP_2) | instskip(NEXT) | instid1(VALU_DEP_2)
	v_mad_u64_u32 v[20:21], null, 0xdb629599, v26, v[11:12]
	v_cndmask_b32_e64 v27, 0, 0xffffffe0, s0
	s_delay_alu instid0(VALU_DEP_1) | instskip(NEXT) | instid1(VALU_DEP_3)
	v_add_nc_u32_e32 v27, v27, v25
	v_dual_mov_b32 v11, v21 :: v_dual_cndmask_b32 v18, v20, v18
	s_delay_alu instid0(VALU_DEP_2) | instskip(NEXT) | instid1(VALU_DEP_2)
	v_cmp_lt_u32_e64 s1, 31, v27
	v_mad_u64_u32 v[21:22], null, 0xf534ddc0, v26, v[11:12]
	s_delay_alu instid0(VALU_DEP_1) | instskip(NEXT) | instid1(VALU_DEP_2)
	v_mov_b32_e32 v11, v22
	v_cndmask_b32_e32 v19, v21, v19, vcc_lo
	s_delay_alu instid0(VALU_DEP_2) | instskip(NEXT) | instid1(VALU_DEP_2)
	v_mad_u64_u32 v[22:23], null, 0xfc2757d1, v26, v[11:12]
	v_cndmask_b32_e64 v18, v19, v18, s0
	s_delay_alu instid0(VALU_DEP_2) | instskip(NEXT) | instid1(VALU_DEP_1)
	v_mov_b32_e32 v11, v23
	v_mad_u64_u32 v[23:24], null, 0x4e441529, v26, v[11:12]
	s_delay_alu instid0(VALU_DEP_1) | instskip(NEXT) | instid1(VALU_DEP_1)
	v_mov_b32_e32 v11, v24
	v_mad_u64_u32 v[24:25], null, 0xa2f9836e, v26, v[11:12]
	v_cndmask_b32_e64 v11, 0, 0xffffffe0, s1
	s_delay_alu instid0(VALU_DEP_4) | instskip(NEXT) | instid1(VALU_DEP_2)
	v_cndmask_b32_e32 v26, v23, v21, vcc_lo
	v_dual_cndmask_b32 v24, v24, v22 :: v_dual_add_nc_u32 v11, v11, v27
	s_delay_alu instid0(VALU_DEP_4) | instskip(NEXT) | instid1(VALU_DEP_2)
	v_dual_cndmask_b32 v23, v25, v23 :: v_dual_cndmask_b32 v22, v22, v20
	v_sub_nc_u32_e32 v25, 32, v11
	s_delay_alu instid0(VALU_DEP_3) | instskip(NEXT) | instid1(VALU_DEP_3)
	v_cndmask_b32_e64 v21, v24, v26, s0
	v_cndmask_b32_e64 v23, v23, v24, s0
	s_delay_alu instid0(VALU_DEP_4) | instskip(SKIP_2) | instid1(VALU_DEP_4)
	v_cndmask_b32_e64 v24, v26, v22, s0
	v_cndmask_b32_e64 v22, v22, v19, s0
	v_cmp_eq_u32_e64 s2, 0, v11
	v_cndmask_b32_e64 v23, v23, v21, s1
	s_delay_alu instid0(VALU_DEP_4) | instskip(NEXT) | instid1(VALU_DEP_4)
	v_cndmask_b32_e64 v21, v21, v24, s1
	v_cndmask_b32_e64 v24, v24, v22, s1
	;; [unrolled: 1-line block ×3, first 2 shown]
	s_delay_alu instid0(VALU_DEP_3) | instskip(NEXT) | instid1(VALU_DEP_3)
	v_alignbit_b32 v26, v23, v21, v25
	v_alignbit_b32 v27, v21, v24, v25
	s_delay_alu instid0(VALU_DEP_3) | instskip(NEXT) | instid1(VALU_DEP_3)
	v_alignbit_b32 v25, v24, v18, v25
	v_cndmask_b32_e64 v11, v26, v23, s2
	s_delay_alu instid0(VALU_DEP_3) | instskip(NEXT) | instid1(VALU_DEP_3)
	v_cndmask_b32_e64 v20, v27, v21, s2
	v_cndmask_b32_e64 v24, v25, v24, s2
	s_delay_alu instid0(VALU_DEP_3) | instskip(NEXT) | instid1(VALU_DEP_3)
	v_bfe_u32 v21, v11, 29, 1
	v_alignbit_b32 v19, v11, v20, 30
	s_delay_alu instid0(VALU_DEP_3) | instskip(SKIP_1) | instid1(VALU_DEP_4)
	v_alignbit_b32 v20, v20, v24, 30
	v_alignbit_b32 v18, v24, v18, 30
	v_sub_nc_u32_e32 v23, 0, v21
	s_delay_alu instid0(VALU_DEP_1) | instskip(SKIP_3) | instid1(VALU_DEP_4)
	v_xor_b32_e32 v22, v19, v23
	v_cmp_ne_u32_e32 vcc_lo, v19, v23
	v_xor_b32_e32 v20, v20, v23
	v_xor_b32_e32 v18, v18, v23
	v_clz_i32_u32_e32 v26, v22
	s_delay_alu instid0(VALU_DEP_1) | instskip(NEXT) | instid1(VALU_DEP_1)
	v_add_nc_u32_e32 v25, 1, v26
	v_cndmask_b32_e32 v19, 33, v25, vcc_lo
	s_delay_alu instid0(VALU_DEP_1) | instskip(NEXT) | instid1(VALU_DEP_1)
	v_sub_nc_u32_e32 v24, 32, v19
	v_alignbit_b32 v22, v22, v20, v24
	v_alignbit_b32 v18, v20, v18, v24
	v_lshrrev_b32_e32 v20, 29, v11
	s_delay_alu instid0(VALU_DEP_2) | instskip(NEXT) | instid1(VALU_DEP_2)
	v_alignbit_b32 v23, v22, v18, 9
	v_lshlrev_b32_e32 v20, 31, v20
	v_alignbit_b32 v22, v19, v22, 9
	s_delay_alu instid0(VALU_DEP_3) | instskip(NEXT) | instid1(VALU_DEP_2)
	v_clz_i32_u32_e32 v24, v23
	v_or_b32_e32 v22, v22, v20
	v_or_b32_e32 v20, 0x33800000, v20
	s_delay_alu instid0(VALU_DEP_3) | instskip(NEXT) | instid1(VALU_DEP_3)
	v_min_u32_e32 v24, 32, v24
	v_xor_b32_e32 v22, 1.0, v22
	s_delay_alu instid0(VALU_DEP_2) | instskip(SKIP_1) | instid1(VALU_DEP_3)
	v_sub_nc_u32_e32 v25, 31, v24
	v_add_lshl_u32 v19, v24, v19, 23
	v_mul_f32_e32 v24, 0x3fc90fda, v22
	s_delay_alu instid0(VALU_DEP_3) | instskip(NEXT) | instid1(VALU_DEP_3)
	v_alignbit_b32 v18, v23, v18, v25
	v_sub_nc_u32_e32 v19, v20, v19
	s_delay_alu instid0(VALU_DEP_3) | instskip(NEXT) | instid1(VALU_DEP_3)
	v_fma_f32 v20, 0x3fc90fda, v22, -v24
	v_lshrrev_b32_e32 v18, 9, v18
	s_delay_alu instid0(VALU_DEP_2) | instskip(NEXT) | instid1(VALU_DEP_2)
	v_fmac_f32_e32 v20, 0x33a22168, v22
	v_or_b32_e32 v18, v19, v18
	s_delay_alu instid0(VALU_DEP_1) | instskip(SKIP_1) | instid1(VALU_DEP_1)
	v_fmac_f32_e32 v20, 0x3fc90fda, v18
	v_lshrrev_b32_e32 v18, 30, v11
	v_dual_add_f32 v11, v24, v20 :: v_dual_add_nc_u32 v18, v21, v18
	s_and_not1_saveexec_b32 s0, s16
	s_cbranch_execnz .LBB255_376
	s_branch .LBB255_377
.LBB255_375:                            ;   in Loop: Header=BB255_233 Depth=1
	s_and_not1_saveexec_b32 s0, s16
.LBB255_376:                            ;   in Loop: Header=BB255_233 Depth=1
	v_mul_f32_e64 v11, 0x3f22f983, |v1|
	s_delay_alu instid0(VALU_DEP_1) | instskip(NEXT) | instid1(VALU_DEP_1)
	v_rndne_f32_e32 v18, v11
	v_fma_f32 v11, 0xbfc90fda, v18, |v1|
	s_delay_alu instid0(VALU_DEP_1) | instskip(NEXT) | instid1(VALU_DEP_1)
	v_fmac_f32_e32 v11, 0xb3a22168, v18
	v_fmac_f32_e32 v11, 0xa7c234c4, v18
	v_cvt_i32_f32_e32 v18, v18
.LBB255_377:                            ;   in Loop: Header=BB255_233 Depth=1
	s_or_b32 exec_lo, exec_lo, s0
	s_delay_alu instid0(VALU_DEP_1) | instskip(SKIP_2) | instid1(VALU_DEP_3)
	v_dual_mul_f32 v19, v10, v10 :: v_dual_mul_f32 v20, v11, v11
	v_and_b32_e32 v21, 1, v17
	v_lshlrev_b32_e32 v17, 30, v17
	v_dual_fmaak_f32 v23, s8, v19, 0xbab64f3b :: v_dual_and_b32 v26, 1, v18
	s_delay_alu instid0(VALU_DEP_4) | instskip(SKIP_3) | instid1(VALU_DEP_4)
	v_fmaak_f32 v24, s7, v20, 0x3c0881c4
	v_dual_fmaak_f32 v25, s8, v20, 0xbab64f3b :: v_dual_lshlrev_b32 v18, 30, v18
	v_fmaak_f32 v22, s7, v19, 0x3c0881c4
	v_cmp_eq_u32_e32 vcc_lo, 0, v21
	v_fmaak_f32 v24, v20, v24, 0xbe2aaa9d
	s_delay_alu instid0(VALU_DEP_4)
	v_fmaak_f32 v25, v20, v25, 0x3d2aabf7
	v_fmaak_f32 v23, v19, v23, 0x3d2aabf7
	v_and_b32_e32 v17, 0x80000000, v17
	v_and_or_b32 v9, 0x80000000, v18, v9
	v_mul_f32_e32 v24, v20, v24
	v_fmaak_f32 v25, v20, v25, 0xbf000004
	s_delay_alu instid0(VALU_DEP_2) | instskip(NEXT) | instid1(VALU_DEP_2)
	v_fmac_f32_e32 v11, v11, v24
	v_fma_f32 v20, v20, v25, 1.0
	v_fmaak_f32 v22, v19, v22, 0xbe2aaa9d
	s_delay_alu instid0(VALU_DEP_1) | instskip(NEXT) | instid1(VALU_DEP_1)
	v_mul_f32_e32 v22, v19, v22
	v_dual_fmaak_f32 v23, v19, v23, 0xbf000004 :: v_dual_fmac_f32 v10, v10, v22
	s_delay_alu instid0(VALU_DEP_1) | instskip(NEXT) | instid1(VALU_DEP_1)
	v_fma_f32 v19, v19, v23, 1.0
	v_cndmask_b32_e64 v10, -v10, v19, vcc_lo
	v_cmp_eq_u32_e32 vcc_lo, 0, v26
	s_delay_alu instid0(VALU_DEP_2) | instskip(SKIP_2) | instid1(VALU_DEP_2)
	v_xor_b32_e32 v10, v17, v10
	v_cndmask_b32_e32 v11, v20, v11, vcc_lo
	v_cmp_class_f32_e64 vcc_lo, v1, 0x1f8
	v_xor3_b32 v8, v9, v11, v8
	s_delay_alu instid0(VALU_DEP_4) | instskip(NEXT) | instid1(VALU_DEP_2)
	v_cndmask_b32_e32 v10, 0x7fc00000, v10, vcc_lo
	v_cndmask_b32_e32 v8, 0x7fc00000, v8, vcc_lo
.LBB255_378:                            ;   in Loop: Header=BB255_233 Depth=1
	s_or_b32 exec_lo, exec_lo, s15
.LBB255_379:                            ;   in Loop: Header=BB255_233 Depth=1
	s_and_not1_saveexec_b32 s0, s14
	s_cbranch_execz .LBB255_381
; %bb.380:                              ;   in Loop: Header=BB255_233 Depth=1
	v_mul_f32_e32 v1, 0xbfb8aa3b, v0
	v_cmp_nlt_f32_e32 vcc_lo, 0x42ce8ed0, v0
	s_delay_alu instid0(VALU_DEP_2) | instskip(SKIP_1) | instid1(VALU_DEP_1)
	v_rndne_f32_e32 v9, v1
	v_fma_f32 v10, 0xbfb8aa3b, v0, -v1
	v_dual_sub_f32 v1, v1, v9 :: v_dual_fmac_f32 v10, 0xb2a5705f, v0
	v_cvt_i32_f32_e32 v9, v9
	s_delay_alu instid0(VALU_DEP_2) | instskip(NEXT) | instid1(VALU_DEP_1)
	v_add_f32_e32 v1, v1, v10
	v_exp_f32_e32 v1, v1
	s_waitcnt_depctr 0xfff
	v_ldexp_f32 v1, v1, v9
	s_delay_alu instid0(VALU_DEP_1) | instskip(SKIP_1) | instid1(VALU_DEP_2)
	v_cndmask_b32_e32 v1, 0, v1, vcc_lo
	v_cmp_ngt_f32_e32 vcc_lo, 0xc2b17218, v0
	v_cndmask_b32_e32 v10, 0x7f800000, v1, vcc_lo
.LBB255_381:                            ;   in Loop: Header=BB255_233 Depth=1
	s_or_b32 exec_lo, exec_lo, s0
	s_delay_alu instid0(VALU_DEP_1) | instskip(SKIP_1) | instid1(VALU_DEP_1)
	v_dual_add_f32 v1, s10, v10 :: v_dual_add_f32 v0, s11, v8
                                        ; implicit-def: $vgpr9
	s_mov_b32 s0, exec_lo
	v_cmp_gt_f32_e32 vcc_lo, 0, v1
	v_cndmask_b32_e64 v10, v1, -v1, vcc_lo
	s_delay_alu instid0(VALU_DEP_3) | instskip(SKIP_1) | instid1(VALU_DEP_1)
	v_cmp_gt_f32_e32 vcc_lo, 0, v0
	v_cndmask_b32_e64 v11, v0, -v0, vcc_lo
	v_cmpx_ge_f32_e32 v10, v11
	s_xor_b32 s1, exec_lo, s0
	s_cbranch_execz .LBB255_387
; %bb.382:                              ;   in Loop: Header=BB255_233 Depth=1
	v_cmp_neq_f32_e32 vcc_lo, 0, v1
	v_cmp_neq_f32_e64 s0, 0, v0
                                        ; implicit-def: $vgpr9
	s_delay_alu instid0(VALU_DEP_1) | instskip(NEXT) | instid1(SALU_CYCLE_1)
	s_or_b32 s0, vcc_lo, s0
	s_and_saveexec_b32 s2, s0
	s_delay_alu instid0(SALU_CYCLE_1)
	s_xor_b32 s0, exec_lo, s2
	s_cbranch_execz .LBB255_384
; %bb.383:                              ;   in Loop: Header=BB255_233 Depth=1
	v_div_scale_f32 v8, null, v1, v1, v0
	v_div_scale_f32 v11, vcc_lo, v0, v1, v0
	s_delay_alu instid0(VALU_DEP_2) | instskip(SKIP_2) | instid1(VALU_DEP_1)
	v_rcp_f32_e32 v9, v8
	s_waitcnt_depctr 0xfff
	v_fma_f32 v10, -v8, v9, 1.0
	v_fmac_f32_e32 v9, v10, v9
	s_delay_alu instid0(VALU_DEP_1) | instskip(NEXT) | instid1(VALU_DEP_1)
	v_mul_f32_e32 v10, v11, v9
	v_fma_f32 v17, -v8, v10, v11
	s_delay_alu instid0(VALU_DEP_1) | instskip(NEXT) | instid1(VALU_DEP_1)
	v_fmac_f32_e32 v10, v17, v9
	v_fma_f32 v8, -v8, v10, v11
	s_delay_alu instid0(VALU_DEP_1) | instskip(NEXT) | instid1(VALU_DEP_1)
	v_div_fmas_f32 v8, v8, v9, v10
	v_div_fixup_f32 v8, v8, v1, v0
	s_delay_alu instid0(VALU_DEP_1) | instskip(NEXT) | instid1(VALU_DEP_1)
	v_fmac_f32_e32 v1, v0, v8
	v_div_scale_f32 v0, null, v1, v1, 1.0
	v_div_scale_f32 v11, vcc_lo, 1.0, v1, 1.0
	s_delay_alu instid0(VALU_DEP_2) | instskip(SKIP_2) | instid1(VALU_DEP_1)
	v_rcp_f32_e32 v9, v0
	s_waitcnt_depctr 0xfff
	v_fma_f32 v10, -v0, v9, 1.0
	v_fmac_f32_e32 v9, v10, v9
	s_delay_alu instid0(VALU_DEP_1) | instskip(NEXT) | instid1(VALU_DEP_1)
	v_mul_f32_e32 v10, v11, v9
	v_fma_f32 v17, -v0, v10, v11
	s_delay_alu instid0(VALU_DEP_1) | instskip(NEXT) | instid1(VALU_DEP_1)
	v_fmac_f32_e32 v10, v17, v9
	v_fma_f32 v0, -v0, v10, v11
                                        ; implicit-def: $vgpr11
	s_delay_alu instid0(VALU_DEP_1) | instskip(SKIP_1) | instid1(VALU_DEP_2)
	v_div_fmas_f32 v0, v0, v9, v10
	v_fma_f32 v9, v8, s11, s10
                                        ; implicit-def: $vgpr10
	v_div_fixup_f32 v0, v0, v1, 1.0
	v_fma_f32 v1, -v8, s10, s11
	s_delay_alu instid0(VALU_DEP_2) | instskip(NEXT) | instid1(VALU_DEP_2)
	v_mul_f32_e32 v8, v9, v0
	v_mul_f32_e32 v9, v1, v0
.LBB255_384:                            ;   in Loop: Header=BB255_233 Depth=1
	s_and_not1_saveexec_b32 s2, s0
	s_cbranch_execz .LBB255_386
; %bb.385:                              ;   in Loop: Header=BB255_233 Depth=1
	v_div_scale_f32 v0, null, v10, v10, s10
	v_div_scale_f32 v1, null, v11, v11, s11
	v_div_scale_f32 v19, vcc_lo, s10, v10, s10
	s_delay_alu instid0(VALU_DEP_3) | instskip(NEXT) | instid1(VALU_DEP_2)
	v_rcp_f32_e32 v8, v0
	v_rcp_f32_e32 v9, v1
	s_waitcnt_depctr 0xfff
	v_fma_f32 v17, -v0, v8, 1.0
	v_fma_f32 v18, -v1, v9, 1.0
	s_delay_alu instid0(VALU_DEP_1) | instskip(SKIP_1) | instid1(VALU_DEP_2)
	v_dual_fmac_f32 v8, v17, v8 :: v_dual_fmac_f32 v9, v18, v9
	v_div_scale_f32 v17, s0, s11, v11, s11
	v_mul_f32_e32 v18, v19, v8
	s_delay_alu instid0(VALU_DEP_2) | instskip(NEXT) | instid1(VALU_DEP_2)
	v_mul_f32_e32 v20, v17, v9
	v_fma_f32 v21, -v0, v18, v19
	s_delay_alu instid0(VALU_DEP_2) | instskip(NEXT) | instid1(VALU_DEP_2)
	v_fma_f32 v22, -v1, v20, v17
	v_fmac_f32_e32 v18, v21, v8
	s_delay_alu instid0(VALU_DEP_2) | instskip(NEXT) | instid1(VALU_DEP_2)
	v_fmac_f32_e32 v20, v22, v9
	v_fma_f32 v0, -v0, v18, v19
	s_delay_alu instid0(VALU_DEP_2) | instskip(NEXT) | instid1(VALU_DEP_2)
	v_fma_f32 v1, -v1, v20, v17
	v_div_fmas_f32 v0, v0, v8, v18
	s_mov_b32 vcc_lo, s0
	s_delay_alu instid0(VALU_DEP_2) | instskip(NEXT) | instid1(VALU_DEP_2)
	v_div_fmas_f32 v1, v1, v9, v20
	v_div_fixup_f32 v8, v0, v10, s10
	s_delay_alu instid0(VALU_DEP_2)
	v_div_fixup_f32 v9, v1, v11, s11
.LBB255_386:                            ;   in Loop: Header=BB255_233 Depth=1
	s_or_b32 exec_lo, exec_lo, s2
                                        ; implicit-def: $vgpr0
                                        ; implicit-def: $vgpr1
.LBB255_387:                            ;   in Loop: Header=BB255_233 Depth=1
	s_and_not1_saveexec_b32 s0, s1
	s_cbranch_execz .LBB255_389
; %bb.388:                              ;   in Loop: Header=BB255_233 Depth=1
	v_div_scale_f32 v8, null, v0, v0, v1
	v_div_scale_f32 v11, vcc_lo, v1, v0, v1
	s_delay_alu instid0(VALU_DEP_2) | instskip(SKIP_2) | instid1(VALU_DEP_1)
	v_rcp_f32_e32 v9, v8
	s_waitcnt_depctr 0xfff
	v_fma_f32 v10, -v8, v9, 1.0
	v_fmac_f32_e32 v9, v10, v9
	s_delay_alu instid0(VALU_DEP_1) | instskip(NEXT) | instid1(VALU_DEP_1)
	v_mul_f32_e32 v10, v11, v9
	v_fma_f32 v17, -v8, v10, v11
	s_delay_alu instid0(VALU_DEP_1) | instskip(NEXT) | instid1(VALU_DEP_1)
	v_fmac_f32_e32 v10, v17, v9
	v_fma_f32 v8, -v8, v10, v11
	s_delay_alu instid0(VALU_DEP_1) | instskip(NEXT) | instid1(VALU_DEP_1)
	v_div_fmas_f32 v8, v8, v9, v10
	v_div_fixup_f32 v8, v8, v0, v1
	s_delay_alu instid0(VALU_DEP_1) | instskip(NEXT) | instid1(VALU_DEP_1)
	v_fmac_f32_e32 v0, v1, v8
	v_div_scale_f32 v1, null, v0, v0, 1.0
	v_div_scale_f32 v11, vcc_lo, 1.0, v0, 1.0
	s_delay_alu instid0(VALU_DEP_2) | instskip(SKIP_2) | instid1(VALU_DEP_1)
	v_rcp_f32_e32 v9, v1
	s_waitcnt_depctr 0xfff
	v_fma_f32 v10, -v1, v9, 1.0
	v_fmac_f32_e32 v9, v10, v9
	s_delay_alu instid0(VALU_DEP_1) | instskip(NEXT) | instid1(VALU_DEP_1)
	v_mul_f32_e32 v10, v11, v9
	v_fma_f32 v17, -v1, v10, v11
	s_delay_alu instid0(VALU_DEP_1) | instskip(NEXT) | instid1(VALU_DEP_1)
	v_fmac_f32_e32 v10, v17, v9
	v_fma_f32 v1, -v1, v10, v11
	s_delay_alu instid0(VALU_DEP_1) | instskip(SKIP_1) | instid1(VALU_DEP_2)
	v_div_fmas_f32 v1, v1, v9, v10
	v_fma_f32 v9, v8, s10, s11
	v_div_fixup_f32 v0, v1, v0, 1.0
	v_fma_f32 v1, v8, s11, -s10
	s_delay_alu instid0(VALU_DEP_2) | instskip(NEXT) | instid1(VALU_DEP_2)
	v_mul_f32_e32 v8, v9, v0
	v_mul_f32_e32 v9, v1, v0
.LBB255_389:                            ;   in Loop: Header=BB255_233 Depth=1
	s_or_b32 exec_lo, exec_lo, s0
	v_and_b32_e32 v0, 0x7fffffff, v3
	v_xor_b32_e32 v10, 0x80000000, v3
                                        ; implicit-def: $vgpr11
	s_mov_b32 s0, exec_lo
	s_delay_alu instid0(VALU_DEP_2)
	v_cmpx_ne_u32_e32 0, v0
	s_xor_b32 s14, exec_lo, s0
	s_cbranch_execz .LBB255_431
; %bb.390:                              ;   in Loop: Header=BB255_233 Depth=1
	v_and_b32_e32 v1, 0x7fffffff, v2
                                        ; implicit-def: $vgpr11
	s_mov_b32 s0, exec_lo
	s_delay_alu instid0(VALU_DEP_1)
	v_cmpx_ne_u32_e32 0, v1
	s_xor_b32 s15, exec_lo, s0
	s_cbranch_execz .LBB255_420
; %bb.391:                              ;   in Loop: Header=BB255_233 Depth=1
	v_xor_b32_e32 v17, 0x80000000, v2
                                        ; implicit-def: $vgpr11
	s_mov_b32 s0, exec_lo
	v_cmpx_gt_u32_e32 0x7f800000, v0
	s_xor_b32 s16, exec_lo, s0
	s_cbranch_execz .LBB255_413
; %bb.392:                              ;   in Loop: Header=BB255_233 Depth=1
	v_add_nc_u32_e32 v1, 0xbd4e8de8, v17
                                        ; implicit-def: $vgpr11
	s_mov_b32 s0, exec_lo
	s_delay_alu instid0(VALU_DEP_1)
	v_cmpx_lt_u32_e32 0x8e8e5c, v1
	s_xor_b32 s17, exec_lo, s0
	s_cbranch_execz .LBB255_402
; %bb.393:                              ;   in Loop: Header=BB255_233 Depth=1
	v_cmp_ngt_f32_e64 s18, 0x48000000, |v3|
                                        ; implicit-def: $vgpr17
                                        ; implicit-def: $vgpr1
	s_delay_alu instid0(VALU_DEP_1) | instskip(NEXT) | instid1(SALU_CYCLE_1)
	s_and_saveexec_b32 s0, s18
	s_xor_b32 s19, exec_lo, s0
	s_cbranch_execz .LBB255_395
; %bb.394:                              ;   in Loop: Header=BB255_233 Depth=1
	v_lshrrev_b32_e32 v22, 23, v0
	v_and_or_b32 v1, v0, s6, 0x800000
	s_delay_alu instid0(VALU_DEP_2) | instskip(NEXT) | instid1(VALU_DEP_2)
	v_add_nc_u32_e32 v23, 0xffffff88, v22
	v_mad_u64_u32 v[17:18], null, 0xfe5163ab, v1, 0
	s_delay_alu instid0(VALU_DEP_2) | instskip(SKIP_1) | instid1(VALU_DEP_1)
	v_cmp_lt_u32_e32 vcc_lo, 63, v23
	v_cndmask_b32_e64 v24, 0, 0xffffffc0, vcc_lo
	v_dual_mov_b32 v11, v18 :: v_dual_add_nc_u32 v24, v24, v23
	s_delay_alu instid0(VALU_DEP_1) | instskip(NEXT) | instid1(VALU_DEP_2)
	v_mad_u64_u32 v[18:19], null, 0x3c439041, v1, v[11:12]
	v_cmp_lt_u32_e64 s0, 31, v24
	s_delay_alu instid0(VALU_DEP_2) | instskip(NEXT) | instid1(VALU_DEP_2)
	v_mov_b32_e32 v11, v19
	v_cndmask_b32_e64 v25, 0, 0xffffffe0, s0
	s_delay_alu instid0(VALU_DEP_2) | instskip(NEXT) | instid1(VALU_DEP_2)
	v_mad_u64_u32 v[19:20], null, 0xdb629599, v1, v[11:12]
	v_add_nc_u32_e32 v25, v25, v24
	s_delay_alu instid0(VALU_DEP_1) | instskip(NEXT) | instid1(VALU_DEP_3)
	v_cmp_lt_u32_e64 s1, 31, v25
	v_mov_b32_e32 v11, v20
	s_delay_alu instid0(VALU_DEP_4) | instskip(NEXT) | instid1(VALU_DEP_2)
	v_cndmask_b32_e32 v17, v19, v17, vcc_lo
	v_mad_u64_u32 v[20:21], null, 0xf534ddc0, v1, v[11:12]
	s_delay_alu instid0(VALU_DEP_1) | instskip(NEXT) | instid1(VALU_DEP_1)
	v_dual_mov_b32 v11, v21 :: v_dual_cndmask_b32 v18, v20, v18
	v_mad_u64_u32 v[21:22], null, 0xfc2757d1, v1, v[11:12]
	s_delay_alu instid0(VALU_DEP_2) | instskip(NEXT) | instid1(VALU_DEP_2)
	v_cndmask_b32_e64 v17, v18, v17, s0
	v_mov_b32_e32 v11, v22
	s_delay_alu instid0(VALU_DEP_1) | instskip(NEXT) | instid1(VALU_DEP_1)
	v_mad_u64_u32 v[22:23], null, 0x4e441529, v1, v[11:12]
	v_mov_b32_e32 v11, v23
	s_delay_alu instid0(VALU_DEP_1) | instskip(SKIP_1) | instid1(VALU_DEP_4)
	v_mad_u64_u32 v[23:24], null, 0xa2f9836e, v1, v[11:12]
	v_cndmask_b32_e64 v1, 0, 0xffffffe0, s1
	v_cndmask_b32_e32 v11, v22, v20, vcc_lo
	s_delay_alu instid0(VALU_DEP_2) | instskip(NEXT) | instid1(VALU_DEP_4)
	v_add_nc_u32_e32 v1, v1, v25
	v_dual_cndmask_b32 v23, v23, v21 :: v_dual_cndmask_b32 v22, v24, v22
	v_cndmask_b32_e32 v21, v21, v19, vcc_lo
	s_delay_alu instid0(VALU_DEP_3) | instskip(NEXT) | instid1(VALU_DEP_3)
	v_cmp_eq_u32_e64 s2, 0, v1
	v_cndmask_b32_e64 v20, v23, v11, s0
	s_delay_alu instid0(VALU_DEP_4) | instskip(NEXT) | instid1(VALU_DEP_4)
	v_cndmask_b32_e64 v22, v22, v23, s0
	v_cndmask_b32_e64 v11, v11, v21, s0
	v_sub_nc_u32_e32 v23, 32, v1
	v_cndmask_b32_e64 v21, v21, v18, s0
	s_delay_alu instid0(VALU_DEP_4) | instskip(NEXT) | instid1(VALU_DEP_4)
	v_cndmask_b32_e64 v22, v22, v20, s1
	v_cndmask_b32_e64 v20, v20, v11, s1
	s_delay_alu instid0(VALU_DEP_3) | instskip(SKIP_1) | instid1(VALU_DEP_3)
	v_cndmask_b32_e64 v11, v11, v21, s1
	v_cndmask_b32_e64 v17, v21, v17, s1
	v_alignbit_b32 v24, v22, v20, v23
	s_delay_alu instid0(VALU_DEP_3) | instskip(NEXT) | instid1(VALU_DEP_3)
	v_alignbit_b32 v25, v20, v11, v23
	v_alignbit_b32 v23, v11, v17, v23
	s_delay_alu instid0(VALU_DEP_3) | instskip(NEXT) | instid1(VALU_DEP_3)
	v_cndmask_b32_e64 v1, v24, v22, s2
	v_cndmask_b32_e64 v19, v25, v20, s2
	s_delay_alu instid0(VALU_DEP_3) | instskip(NEXT) | instid1(VALU_DEP_3)
	v_cndmask_b32_e64 v11, v23, v11, s2
	v_bfe_u32 v20, v1, 29, 1
	s_delay_alu instid0(VALU_DEP_3) | instskip(NEXT) | instid1(VALU_DEP_3)
	v_alignbit_b32 v18, v1, v19, 30
	v_alignbit_b32 v19, v19, v11, 30
	;; [unrolled: 1-line block ×3, first 2 shown]
	s_delay_alu instid0(VALU_DEP_4) | instskip(NEXT) | instid1(VALU_DEP_1)
	v_sub_nc_u32_e32 v22, 0, v20
	v_xor_b32_e32 v21, v18, v22
	v_cmp_ne_u32_e32 vcc_lo, v18, v22
	v_xor_b32_e32 v17, v19, v22
	v_xor_b32_e32 v11, v11, v22
	s_delay_alu instid0(VALU_DEP_4) | instskip(NEXT) | instid1(VALU_DEP_1)
	v_clz_i32_u32_e32 v24, v21
	v_add_nc_u32_e32 v23, 1, v24
	s_delay_alu instid0(VALU_DEP_1) | instskip(NEXT) | instid1(VALU_DEP_1)
	v_cndmask_b32_e32 v18, 33, v23, vcc_lo
	v_sub_nc_u32_e32 v19, 32, v18
	s_delay_alu instid0(VALU_DEP_1) | instskip(SKIP_2) | instid1(VALU_DEP_2)
	v_alignbit_b32 v21, v21, v17, v19
	v_alignbit_b32 v11, v17, v11, v19
	v_lshrrev_b32_e32 v17, 29, v1
	v_alignbit_b32 v19, v21, v11, 9
	s_delay_alu instid0(VALU_DEP_2) | instskip(SKIP_1) | instid1(VALU_DEP_3)
	v_lshlrev_b32_e32 v17, 31, v17
	v_alignbit_b32 v21, v18, v21, 9
	v_clz_i32_u32_e32 v22, v19
	s_delay_alu instid0(VALU_DEP_2) | instskip(SKIP_1) | instid1(VALU_DEP_3)
	v_or_b32_e32 v21, v21, v17
	v_or_b32_e32 v17, 0x33800000, v17
	v_min_u32_e32 v22, 32, v22
	s_delay_alu instid0(VALU_DEP_3) | instskip(NEXT) | instid1(VALU_DEP_2)
	v_xor_b32_e32 v21, 1.0, v21
	v_sub_nc_u32_e32 v23, 31, v22
	v_add_lshl_u32 v18, v22, v18, 23
	s_delay_alu instid0(VALU_DEP_3) | instskip(NEXT) | instid1(VALU_DEP_3)
	v_mul_f32_e32 v22, 0x3fc90fda, v21
	v_alignbit_b32 v11, v19, v11, v23
	s_delay_alu instid0(VALU_DEP_3) | instskip(NEXT) | instid1(VALU_DEP_3)
	v_sub_nc_u32_e32 v17, v17, v18
	v_fma_f32 v18, 0x3fc90fda, v21, -v22
	s_delay_alu instid0(VALU_DEP_3) | instskip(NEXT) | instid1(VALU_DEP_2)
	v_lshrrev_b32_e32 v11, 9, v11
	v_fmac_f32_e32 v18, 0x33a22168, v21
	s_delay_alu instid0(VALU_DEP_2) | instskip(NEXT) | instid1(VALU_DEP_1)
	v_or_b32_e32 v11, v17, v11
	v_fmac_f32_e32 v18, 0x3fc90fda, v11
	v_lshrrev_b32_e32 v11, 30, v1
	s_delay_alu instid0(VALU_DEP_2) | instskip(NEXT) | instid1(VALU_DEP_2)
	v_add_f32_e32 v1, v22, v18
	v_add_nc_u32_e32 v17, v20, v11
	s_and_not1_saveexec_b32 s0, s19
	s_branch .LBB255_396
.LBB255_395:                            ;   in Loop: Header=BB255_233 Depth=1
	s_and_not1_saveexec_b32 s0, s19
.LBB255_396:                            ;   in Loop: Header=BB255_233 Depth=1
	v_mul_f32_e64 v1, 0x3f22f983, |v3|
	s_delay_alu instid0(VALU_DEP_1) | instskip(NEXT) | instid1(VALU_DEP_1)
	v_rndne_f32_e32 v11, v1
	v_fma_f32 v1, 0xbfc90fda, v11, |v3|
	v_cvt_i32_f32_e32 v17, v11
	s_delay_alu instid0(VALU_DEP_2) | instskip(NEXT) | instid1(VALU_DEP_1)
	v_fmac_f32_e32 v1, 0xb3a22168, v11
	v_fmac_f32_e32 v1, 0xa7c234c4, v11
; %bb.397:                              ;   in Loop: Header=BB255_233 Depth=1
	s_or_b32 exec_lo, exec_lo, s0
                                        ; implicit-def: $vgpr18
                                        ; implicit-def: $vgpr11
	s_and_saveexec_b32 s0, s18
	s_delay_alu instid0(SALU_CYCLE_1)
	s_xor_b32 s18, exec_lo, s0
	s_cbranch_execz .LBB255_399
; %bb.398:                              ;   in Loop: Header=BB255_233 Depth=1
	v_and_or_b32 v26, v0, s6, 0x800000
	v_lshrrev_b32_e32 v23, 23, v0
	s_delay_alu instid0(VALU_DEP_2) | instskip(NEXT) | instid1(VALU_DEP_2)
	v_mad_u64_u32 v[18:19], null, 0xfe5163ab, v26, 0
	v_add_nc_u32_e32 v24, 0xffffff88, v23
	s_delay_alu instid0(VALU_DEP_1) | instskip(NEXT) | instid1(VALU_DEP_3)
	v_cmp_lt_u32_e32 vcc_lo, 63, v24
	v_mov_b32_e32 v11, v19
	v_cndmask_b32_e64 v25, 0, 0xffffffc0, vcc_lo
	s_delay_alu instid0(VALU_DEP_2) | instskip(NEXT) | instid1(VALU_DEP_2)
	v_mad_u64_u32 v[19:20], null, 0x3c439041, v26, v[11:12]
	v_add_nc_u32_e32 v25, v25, v24
	s_delay_alu instid0(VALU_DEP_2) | instskip(NEXT) | instid1(VALU_DEP_2)
	v_mov_b32_e32 v11, v20
	v_cmp_lt_u32_e64 s0, 31, v25
	s_delay_alu instid0(VALU_DEP_2) | instskip(NEXT) | instid1(VALU_DEP_2)
	v_mad_u64_u32 v[20:21], null, 0xdb629599, v26, v[11:12]
	v_cndmask_b32_e64 v27, 0, 0xffffffe0, s0
	s_delay_alu instid0(VALU_DEP_1) | instskip(NEXT) | instid1(VALU_DEP_3)
	v_add_nc_u32_e32 v27, v27, v25
	v_dual_mov_b32 v11, v21 :: v_dual_cndmask_b32 v18, v20, v18
	s_delay_alu instid0(VALU_DEP_2) | instskip(NEXT) | instid1(VALU_DEP_2)
	v_cmp_lt_u32_e64 s1, 31, v27
	v_mad_u64_u32 v[21:22], null, 0xf534ddc0, v26, v[11:12]
	s_delay_alu instid0(VALU_DEP_1) | instskip(NEXT) | instid1(VALU_DEP_2)
	v_mov_b32_e32 v11, v22
	v_cndmask_b32_e32 v19, v21, v19, vcc_lo
	s_delay_alu instid0(VALU_DEP_2) | instskip(NEXT) | instid1(VALU_DEP_2)
	v_mad_u64_u32 v[22:23], null, 0xfc2757d1, v26, v[11:12]
	v_cndmask_b32_e64 v18, v19, v18, s0
	s_delay_alu instid0(VALU_DEP_2) | instskip(NEXT) | instid1(VALU_DEP_1)
	v_mov_b32_e32 v11, v23
	v_mad_u64_u32 v[23:24], null, 0x4e441529, v26, v[11:12]
	s_delay_alu instid0(VALU_DEP_1) | instskip(NEXT) | instid1(VALU_DEP_1)
	v_mov_b32_e32 v11, v24
	v_mad_u64_u32 v[24:25], null, 0xa2f9836e, v26, v[11:12]
	v_cndmask_b32_e64 v11, 0, 0xffffffe0, s1
	s_delay_alu instid0(VALU_DEP_4) | instskip(NEXT) | instid1(VALU_DEP_2)
	v_cndmask_b32_e32 v26, v23, v21, vcc_lo
	v_dual_cndmask_b32 v24, v24, v22 :: v_dual_add_nc_u32 v11, v11, v27
	s_delay_alu instid0(VALU_DEP_4) | instskip(NEXT) | instid1(VALU_DEP_2)
	v_dual_cndmask_b32 v23, v25, v23 :: v_dual_cndmask_b32 v22, v22, v20
	v_sub_nc_u32_e32 v25, 32, v11
	s_delay_alu instid0(VALU_DEP_3) | instskip(NEXT) | instid1(VALU_DEP_3)
	v_cndmask_b32_e64 v21, v24, v26, s0
	v_cndmask_b32_e64 v23, v23, v24, s0
	s_delay_alu instid0(VALU_DEP_4) | instskip(SKIP_2) | instid1(VALU_DEP_4)
	v_cndmask_b32_e64 v24, v26, v22, s0
	v_cndmask_b32_e64 v22, v22, v19, s0
	v_cmp_eq_u32_e64 s2, 0, v11
	v_cndmask_b32_e64 v23, v23, v21, s1
	s_delay_alu instid0(VALU_DEP_4) | instskip(NEXT) | instid1(VALU_DEP_4)
	v_cndmask_b32_e64 v21, v21, v24, s1
	v_cndmask_b32_e64 v24, v24, v22, s1
	;; [unrolled: 1-line block ×3, first 2 shown]
	s_delay_alu instid0(VALU_DEP_3) | instskip(NEXT) | instid1(VALU_DEP_3)
	v_alignbit_b32 v26, v23, v21, v25
	v_alignbit_b32 v27, v21, v24, v25
	s_delay_alu instid0(VALU_DEP_3) | instskip(NEXT) | instid1(VALU_DEP_3)
	v_alignbit_b32 v25, v24, v18, v25
	v_cndmask_b32_e64 v11, v26, v23, s2
	s_delay_alu instid0(VALU_DEP_3) | instskip(NEXT) | instid1(VALU_DEP_3)
	v_cndmask_b32_e64 v20, v27, v21, s2
	v_cndmask_b32_e64 v24, v25, v24, s2
	s_delay_alu instid0(VALU_DEP_3) | instskip(NEXT) | instid1(VALU_DEP_3)
	v_bfe_u32 v21, v11, 29, 1
	v_alignbit_b32 v19, v11, v20, 30
	s_delay_alu instid0(VALU_DEP_3) | instskip(SKIP_1) | instid1(VALU_DEP_4)
	v_alignbit_b32 v20, v20, v24, 30
	v_alignbit_b32 v18, v24, v18, 30
	v_sub_nc_u32_e32 v23, 0, v21
	s_delay_alu instid0(VALU_DEP_1) | instskip(SKIP_3) | instid1(VALU_DEP_4)
	v_xor_b32_e32 v22, v19, v23
	v_cmp_ne_u32_e32 vcc_lo, v19, v23
	v_xor_b32_e32 v20, v20, v23
	v_xor_b32_e32 v18, v18, v23
	v_clz_i32_u32_e32 v26, v22
	s_delay_alu instid0(VALU_DEP_1) | instskip(NEXT) | instid1(VALU_DEP_1)
	v_add_nc_u32_e32 v25, 1, v26
	v_cndmask_b32_e32 v19, 33, v25, vcc_lo
	s_delay_alu instid0(VALU_DEP_1) | instskip(NEXT) | instid1(VALU_DEP_1)
	v_sub_nc_u32_e32 v24, 32, v19
	v_alignbit_b32 v22, v22, v20, v24
	v_alignbit_b32 v18, v20, v18, v24
	v_lshrrev_b32_e32 v20, 29, v11
	s_delay_alu instid0(VALU_DEP_2) | instskip(NEXT) | instid1(VALU_DEP_2)
	v_alignbit_b32 v23, v22, v18, 9
	v_lshlrev_b32_e32 v20, 31, v20
	v_alignbit_b32 v22, v19, v22, 9
	s_delay_alu instid0(VALU_DEP_3) | instskip(NEXT) | instid1(VALU_DEP_2)
	v_clz_i32_u32_e32 v24, v23
	v_or_b32_e32 v22, v22, v20
	v_or_b32_e32 v20, 0x33800000, v20
	s_delay_alu instid0(VALU_DEP_3) | instskip(NEXT) | instid1(VALU_DEP_3)
	v_min_u32_e32 v24, 32, v24
	v_xor_b32_e32 v22, 1.0, v22
	s_delay_alu instid0(VALU_DEP_2) | instskip(SKIP_1) | instid1(VALU_DEP_3)
	v_sub_nc_u32_e32 v25, 31, v24
	v_add_lshl_u32 v19, v24, v19, 23
	v_mul_f32_e32 v24, 0x3fc90fda, v22
	s_delay_alu instid0(VALU_DEP_3) | instskip(NEXT) | instid1(VALU_DEP_3)
	v_alignbit_b32 v18, v23, v18, v25
	v_sub_nc_u32_e32 v19, v20, v19
	s_delay_alu instid0(VALU_DEP_3) | instskip(NEXT) | instid1(VALU_DEP_3)
	v_fma_f32 v20, 0x3fc90fda, v22, -v24
	v_lshrrev_b32_e32 v18, 9, v18
	s_delay_alu instid0(VALU_DEP_2) | instskip(NEXT) | instid1(VALU_DEP_2)
	v_fmac_f32_e32 v20, 0x33a22168, v22
	v_or_b32_e32 v18, v19, v18
	s_delay_alu instid0(VALU_DEP_1) | instskip(SKIP_1) | instid1(VALU_DEP_1)
	v_fmac_f32_e32 v20, 0x3fc90fda, v18
	v_lshrrev_b32_e32 v18, 30, v11
	v_dual_add_f32 v11, v24, v20 :: v_dual_add_nc_u32 v18, v21, v18
	s_and_not1_saveexec_b32 s0, s18
	s_cbranch_execnz .LBB255_400
	s_branch .LBB255_401
.LBB255_399:                            ;   in Loop: Header=BB255_233 Depth=1
	s_and_not1_saveexec_b32 s0, s18
.LBB255_400:                            ;   in Loop: Header=BB255_233 Depth=1
	v_mul_f32_e64 v11, 0x3f22f983, |v3|
	s_delay_alu instid0(VALU_DEP_1) | instskip(NEXT) | instid1(VALU_DEP_1)
	v_rndne_f32_e32 v18, v11
	v_fma_f32 v11, 0xbfc90fda, v18, |v3|
	s_delay_alu instid0(VALU_DEP_1) | instskip(NEXT) | instid1(VALU_DEP_1)
	v_fmac_f32_e32 v11, 0xb3a22168, v18
	v_fmac_f32_e32 v11, 0xa7c234c4, v18
	v_cvt_i32_f32_e32 v18, v18
.LBB255_401:                            ;   in Loop: Header=BB255_233 Depth=1
	s_or_b32 exec_lo, exec_lo, s0
	v_dual_mul_f32 v19, 0xbfb8aa3b, v2 :: v_dual_mul_f32 v20, v1, v1
	s_delay_alu instid0(VALU_DEP_2) | instskip(SKIP_1) | instid1(VALU_DEP_3)
	v_dual_mul_f32 v24, v11, v11 :: v_dual_and_b32 v21, 1, v17
	v_lshlrev_b32_e32 v17, 30, v17
	v_rndne_f32_e32 v22, v19
	s_delay_alu instid0(VALU_DEP_4) | instskip(SKIP_4) | instid1(VALU_DEP_4)
	v_fmaak_f32 v26, s7, v20, 0x3c0881c4
	v_fma_f32 v23, 0xbfb8aa3b, v2, -v19
	v_dual_fmaak_f32 v28, s7, v24, 0x3c0881c4 :: v_dual_and_b32 v25, 1, v18
	v_dual_fmaak_f32 v27, s8, v20, 0xbab64f3b :: v_dual_lshlrev_b32 v18, 30, v18
	v_sub_f32_e32 v19, v19, v22
	v_fmac_f32_e32 v23, 0xb2a5705f, v2
	v_fmaak_f32 v29, s8, v24, 0xbab64f3b
	v_cmp_eq_u32_e32 vcc_lo, 0, v21
	v_cvt_i32_f32_e32 v22, v22
	v_and_b32_e32 v17, 0x80000000, v17
	v_add_f32_e32 v19, v19, v23
	v_fmaak_f32 v23, v20, v26, 0xbe2aaa9d
	v_fmaak_f32 v26, v20, v27, 0x3d2aabf7
	;; [unrolled: 1-line block ×4, first 2 shown]
	v_exp_f32_e32 v19, v19
	v_mul_f32_e32 v23, v20, v23
	v_fmaak_f32 v26, v20, v26, 0xbf000004
	v_mul_f32_e32 v27, v24, v27
	v_fmaak_f32 v28, v24, v28, 0xbf000004
	v_and_or_b32 v0, 0x80000000, v18, v0
	v_fmac_f32_e32 v1, v1, v23
	v_fma_f32 v20, v20, v26, 1.0
	v_fmac_f32_e32 v11, v11, v27
	v_fma_f32 v23, v24, v28, 1.0
	v_ldexp_f32 v19, v19, v22
	v_cmp_ngt_f32_e64 s0, 0xc2b17218, v2
	v_cndmask_b32_e64 v1, -v1, v20, vcc_lo
	v_cmp_eq_u32_e32 vcc_lo, 0, v25
	s_delay_alu instid0(VALU_DEP_2) | instskip(SKIP_2) | instid1(VALU_DEP_2)
	v_xor_b32_e32 v1, v17, v1
	v_cndmask_b32_e32 v11, v23, v11, vcc_lo
	v_cmp_nlt_f32_e32 vcc_lo, 0x42ce8ed0, v2
	v_xor3_b32 v0, v0, v11, v10
	v_cndmask_b32_e32 v18, 0, v19, vcc_lo
	v_cmp_class_f32_e64 vcc_lo, v3, 0x1f8
	s_delay_alu instid0(VALU_DEP_2) | instskip(SKIP_1) | instid1(VALU_DEP_1)
	v_cndmask_b32_e64 v2, 0x7f800000, v18, s0
	v_cndmask_b32_e32 v1, 0x7fc00000, v1, vcc_lo
	v_dual_cndmask_b32 v0, 0x7fc00000, v0 :: v_dual_mul_f32 v11, v2, v1
	s_delay_alu instid0(VALU_DEP_1)
	v_mul_f32_e32 v10, v2, v0
                                        ; implicit-def: $vgpr0_vgpr1_vgpr2_vgpr3
                                        ; implicit-def: $vgpr0
.LBB255_402:                            ;   in Loop: Header=BB255_233 Depth=1
	s_and_not1_saveexec_b32 s17, s17
	s_cbranch_execz .LBB255_412
; %bb.403:                              ;   in Loop: Header=BB255_233 Depth=1
	v_cmp_ngt_f32_e64 s18, 0x48000000, |v3|
                                        ; implicit-def: $vgpr17
                                        ; implicit-def: $vgpr1
	s_delay_alu instid0(VALU_DEP_1) | instskip(NEXT) | instid1(SALU_CYCLE_1)
	s_and_saveexec_b32 s0, s18
	s_xor_b32 s19, exec_lo, s0
	s_cbranch_execz .LBB255_405
; %bb.404:                              ;   in Loop: Header=BB255_233 Depth=1
	v_lshrrev_b32_e32 v22, 23, v0
	v_and_or_b32 v1, v0, s6, 0x800000
	s_delay_alu instid0(VALU_DEP_2) | instskip(NEXT) | instid1(VALU_DEP_2)
	v_add_nc_u32_e32 v23, 0xffffff88, v22
	v_mad_u64_u32 v[17:18], null, 0xfe5163ab, v1, 0
	s_delay_alu instid0(VALU_DEP_2) | instskip(SKIP_1) | instid1(VALU_DEP_1)
	v_cmp_lt_u32_e32 vcc_lo, 63, v23
	v_cndmask_b32_e64 v24, 0, 0xffffffc0, vcc_lo
	v_dual_mov_b32 v11, v18 :: v_dual_add_nc_u32 v24, v24, v23
	s_delay_alu instid0(VALU_DEP_1) | instskip(NEXT) | instid1(VALU_DEP_2)
	v_mad_u64_u32 v[18:19], null, 0x3c439041, v1, v[11:12]
	v_cmp_lt_u32_e64 s0, 31, v24
	s_delay_alu instid0(VALU_DEP_2) | instskip(NEXT) | instid1(VALU_DEP_2)
	v_mov_b32_e32 v11, v19
	v_cndmask_b32_e64 v25, 0, 0xffffffe0, s0
	s_delay_alu instid0(VALU_DEP_2) | instskip(NEXT) | instid1(VALU_DEP_2)
	v_mad_u64_u32 v[19:20], null, 0xdb629599, v1, v[11:12]
	v_add_nc_u32_e32 v25, v25, v24
	s_delay_alu instid0(VALU_DEP_1) | instskip(NEXT) | instid1(VALU_DEP_3)
	v_cmp_lt_u32_e64 s1, 31, v25
	v_mov_b32_e32 v11, v20
	s_delay_alu instid0(VALU_DEP_4) | instskip(NEXT) | instid1(VALU_DEP_2)
	v_cndmask_b32_e32 v17, v19, v17, vcc_lo
	v_mad_u64_u32 v[20:21], null, 0xf534ddc0, v1, v[11:12]
	s_delay_alu instid0(VALU_DEP_1) | instskip(NEXT) | instid1(VALU_DEP_1)
	v_dual_mov_b32 v11, v21 :: v_dual_cndmask_b32 v18, v20, v18
	v_mad_u64_u32 v[21:22], null, 0xfc2757d1, v1, v[11:12]
	s_delay_alu instid0(VALU_DEP_2) | instskip(NEXT) | instid1(VALU_DEP_2)
	v_cndmask_b32_e64 v17, v18, v17, s0
	v_mov_b32_e32 v11, v22
	s_delay_alu instid0(VALU_DEP_1) | instskip(NEXT) | instid1(VALU_DEP_1)
	v_mad_u64_u32 v[22:23], null, 0x4e441529, v1, v[11:12]
	v_mov_b32_e32 v11, v23
	s_delay_alu instid0(VALU_DEP_1) | instskip(SKIP_1) | instid1(VALU_DEP_4)
	v_mad_u64_u32 v[23:24], null, 0xa2f9836e, v1, v[11:12]
	v_cndmask_b32_e64 v1, 0, 0xffffffe0, s1
	v_cndmask_b32_e32 v11, v22, v20, vcc_lo
	s_delay_alu instid0(VALU_DEP_2) | instskip(NEXT) | instid1(VALU_DEP_4)
	v_add_nc_u32_e32 v1, v1, v25
	v_dual_cndmask_b32 v23, v23, v21 :: v_dual_cndmask_b32 v22, v24, v22
	v_cndmask_b32_e32 v21, v21, v19, vcc_lo
	s_delay_alu instid0(VALU_DEP_3) | instskip(NEXT) | instid1(VALU_DEP_3)
	v_cmp_eq_u32_e64 s2, 0, v1
	v_cndmask_b32_e64 v20, v23, v11, s0
	s_delay_alu instid0(VALU_DEP_4) | instskip(NEXT) | instid1(VALU_DEP_4)
	v_cndmask_b32_e64 v22, v22, v23, s0
	v_cndmask_b32_e64 v11, v11, v21, s0
	v_sub_nc_u32_e32 v23, 32, v1
	v_cndmask_b32_e64 v21, v21, v18, s0
	s_delay_alu instid0(VALU_DEP_4) | instskip(NEXT) | instid1(VALU_DEP_4)
	v_cndmask_b32_e64 v22, v22, v20, s1
	v_cndmask_b32_e64 v20, v20, v11, s1
	s_delay_alu instid0(VALU_DEP_3) | instskip(SKIP_1) | instid1(VALU_DEP_3)
	v_cndmask_b32_e64 v11, v11, v21, s1
	v_cndmask_b32_e64 v17, v21, v17, s1
	v_alignbit_b32 v24, v22, v20, v23
	s_delay_alu instid0(VALU_DEP_3) | instskip(NEXT) | instid1(VALU_DEP_3)
	v_alignbit_b32 v25, v20, v11, v23
	v_alignbit_b32 v23, v11, v17, v23
	s_delay_alu instid0(VALU_DEP_3) | instskip(NEXT) | instid1(VALU_DEP_3)
	v_cndmask_b32_e64 v1, v24, v22, s2
	v_cndmask_b32_e64 v19, v25, v20, s2
	s_delay_alu instid0(VALU_DEP_3) | instskip(NEXT) | instid1(VALU_DEP_3)
	v_cndmask_b32_e64 v11, v23, v11, s2
	v_bfe_u32 v20, v1, 29, 1
	s_delay_alu instid0(VALU_DEP_3) | instskip(NEXT) | instid1(VALU_DEP_3)
	v_alignbit_b32 v18, v1, v19, 30
	v_alignbit_b32 v19, v19, v11, 30
	;; [unrolled: 1-line block ×3, first 2 shown]
	s_delay_alu instid0(VALU_DEP_4) | instskip(NEXT) | instid1(VALU_DEP_1)
	v_sub_nc_u32_e32 v22, 0, v20
	v_xor_b32_e32 v21, v18, v22
	v_cmp_ne_u32_e32 vcc_lo, v18, v22
	v_xor_b32_e32 v17, v19, v22
	v_xor_b32_e32 v11, v11, v22
	s_delay_alu instid0(VALU_DEP_4) | instskip(NEXT) | instid1(VALU_DEP_1)
	v_clz_i32_u32_e32 v24, v21
	v_add_nc_u32_e32 v23, 1, v24
	s_delay_alu instid0(VALU_DEP_1) | instskip(NEXT) | instid1(VALU_DEP_1)
	v_cndmask_b32_e32 v18, 33, v23, vcc_lo
	v_sub_nc_u32_e32 v19, 32, v18
	s_delay_alu instid0(VALU_DEP_1) | instskip(SKIP_2) | instid1(VALU_DEP_2)
	v_alignbit_b32 v21, v21, v17, v19
	v_alignbit_b32 v11, v17, v11, v19
	v_lshrrev_b32_e32 v17, 29, v1
	v_alignbit_b32 v19, v21, v11, 9
	s_delay_alu instid0(VALU_DEP_2) | instskip(SKIP_1) | instid1(VALU_DEP_3)
	v_lshlrev_b32_e32 v17, 31, v17
	v_alignbit_b32 v21, v18, v21, 9
	v_clz_i32_u32_e32 v22, v19
	s_delay_alu instid0(VALU_DEP_2) | instskip(SKIP_1) | instid1(VALU_DEP_3)
	v_or_b32_e32 v21, v21, v17
	v_or_b32_e32 v17, 0x33800000, v17
	v_min_u32_e32 v22, 32, v22
	s_delay_alu instid0(VALU_DEP_3) | instskip(NEXT) | instid1(VALU_DEP_2)
	v_xor_b32_e32 v21, 1.0, v21
	v_sub_nc_u32_e32 v23, 31, v22
	v_add_lshl_u32 v18, v22, v18, 23
	s_delay_alu instid0(VALU_DEP_3) | instskip(NEXT) | instid1(VALU_DEP_3)
	v_mul_f32_e32 v22, 0x3fc90fda, v21
	v_alignbit_b32 v11, v19, v11, v23
	s_delay_alu instid0(VALU_DEP_3) | instskip(NEXT) | instid1(VALU_DEP_3)
	v_sub_nc_u32_e32 v17, v17, v18
	v_fma_f32 v18, 0x3fc90fda, v21, -v22
	s_delay_alu instid0(VALU_DEP_3) | instskip(NEXT) | instid1(VALU_DEP_2)
	v_lshrrev_b32_e32 v11, 9, v11
	v_fmac_f32_e32 v18, 0x33a22168, v21
	s_delay_alu instid0(VALU_DEP_2) | instskip(NEXT) | instid1(VALU_DEP_1)
	v_or_b32_e32 v11, v17, v11
	v_fmac_f32_e32 v18, 0x3fc90fda, v11
	v_lshrrev_b32_e32 v11, 30, v1
	s_delay_alu instid0(VALU_DEP_2) | instskip(NEXT) | instid1(VALU_DEP_2)
	v_add_f32_e32 v1, v22, v18
	v_add_nc_u32_e32 v17, v20, v11
	s_and_not1_saveexec_b32 s0, s19
	s_branch .LBB255_406
.LBB255_405:                            ;   in Loop: Header=BB255_233 Depth=1
	s_and_not1_saveexec_b32 s0, s19
.LBB255_406:                            ;   in Loop: Header=BB255_233 Depth=1
	v_mul_f32_e64 v1, 0x3f22f983, |v3|
	s_delay_alu instid0(VALU_DEP_1) | instskip(NEXT) | instid1(VALU_DEP_1)
	v_rndne_f32_e32 v11, v1
	v_fma_f32 v1, 0xbfc90fda, v11, |v3|
	v_cvt_i32_f32_e32 v17, v11
	s_delay_alu instid0(VALU_DEP_2) | instskip(NEXT) | instid1(VALU_DEP_1)
	v_fmac_f32_e32 v1, 0xb3a22168, v11
	v_fmac_f32_e32 v1, 0xa7c234c4, v11
; %bb.407:                              ;   in Loop: Header=BB255_233 Depth=1
	s_or_b32 exec_lo, exec_lo, s0
                                        ; implicit-def: $vgpr18
                                        ; implicit-def: $vgpr11
	s_and_saveexec_b32 s0, s18
	s_delay_alu instid0(SALU_CYCLE_1)
	s_xor_b32 s18, exec_lo, s0
	s_cbranch_execz .LBB255_409
; %bb.408:                              ;   in Loop: Header=BB255_233 Depth=1
	v_and_or_b32 v26, v0, s6, 0x800000
	v_lshrrev_b32_e32 v23, 23, v0
	s_delay_alu instid0(VALU_DEP_2) | instskip(NEXT) | instid1(VALU_DEP_2)
	v_mad_u64_u32 v[18:19], null, 0xfe5163ab, v26, 0
	v_add_nc_u32_e32 v24, 0xffffff88, v23
	s_delay_alu instid0(VALU_DEP_1) | instskip(NEXT) | instid1(VALU_DEP_3)
	v_cmp_lt_u32_e32 vcc_lo, 63, v24
	v_mov_b32_e32 v11, v19
	v_cndmask_b32_e64 v25, 0, 0xffffffc0, vcc_lo
	s_delay_alu instid0(VALU_DEP_2) | instskip(NEXT) | instid1(VALU_DEP_2)
	v_mad_u64_u32 v[19:20], null, 0x3c439041, v26, v[11:12]
	v_add_nc_u32_e32 v25, v25, v24
	s_delay_alu instid0(VALU_DEP_2) | instskip(NEXT) | instid1(VALU_DEP_2)
	v_mov_b32_e32 v11, v20
	v_cmp_lt_u32_e64 s0, 31, v25
	s_delay_alu instid0(VALU_DEP_2) | instskip(NEXT) | instid1(VALU_DEP_2)
	v_mad_u64_u32 v[20:21], null, 0xdb629599, v26, v[11:12]
	v_cndmask_b32_e64 v27, 0, 0xffffffe0, s0
	s_delay_alu instid0(VALU_DEP_1) | instskip(NEXT) | instid1(VALU_DEP_3)
	v_add_nc_u32_e32 v27, v27, v25
	v_dual_mov_b32 v11, v21 :: v_dual_cndmask_b32 v18, v20, v18
	s_delay_alu instid0(VALU_DEP_2) | instskip(NEXT) | instid1(VALU_DEP_2)
	v_cmp_lt_u32_e64 s1, 31, v27
	v_mad_u64_u32 v[21:22], null, 0xf534ddc0, v26, v[11:12]
	s_delay_alu instid0(VALU_DEP_1) | instskip(NEXT) | instid1(VALU_DEP_2)
	v_mov_b32_e32 v11, v22
	v_cndmask_b32_e32 v19, v21, v19, vcc_lo
	s_delay_alu instid0(VALU_DEP_2) | instskip(NEXT) | instid1(VALU_DEP_2)
	v_mad_u64_u32 v[22:23], null, 0xfc2757d1, v26, v[11:12]
	v_cndmask_b32_e64 v18, v19, v18, s0
	s_delay_alu instid0(VALU_DEP_2) | instskip(NEXT) | instid1(VALU_DEP_1)
	v_mov_b32_e32 v11, v23
	v_mad_u64_u32 v[23:24], null, 0x4e441529, v26, v[11:12]
	s_delay_alu instid0(VALU_DEP_1) | instskip(NEXT) | instid1(VALU_DEP_1)
	v_mov_b32_e32 v11, v24
	v_mad_u64_u32 v[24:25], null, 0xa2f9836e, v26, v[11:12]
	v_cndmask_b32_e64 v11, 0, 0xffffffe0, s1
	s_delay_alu instid0(VALU_DEP_4) | instskip(NEXT) | instid1(VALU_DEP_2)
	v_cndmask_b32_e32 v26, v23, v21, vcc_lo
	v_dual_cndmask_b32 v24, v24, v22 :: v_dual_add_nc_u32 v11, v11, v27
	s_delay_alu instid0(VALU_DEP_4) | instskip(NEXT) | instid1(VALU_DEP_2)
	v_dual_cndmask_b32 v23, v25, v23 :: v_dual_cndmask_b32 v22, v22, v20
	v_sub_nc_u32_e32 v25, 32, v11
	s_delay_alu instid0(VALU_DEP_3) | instskip(NEXT) | instid1(VALU_DEP_3)
	v_cndmask_b32_e64 v21, v24, v26, s0
	v_cndmask_b32_e64 v23, v23, v24, s0
	s_delay_alu instid0(VALU_DEP_4) | instskip(SKIP_2) | instid1(VALU_DEP_4)
	v_cndmask_b32_e64 v24, v26, v22, s0
	v_cndmask_b32_e64 v22, v22, v19, s0
	v_cmp_eq_u32_e64 s2, 0, v11
	v_cndmask_b32_e64 v23, v23, v21, s1
	s_delay_alu instid0(VALU_DEP_4) | instskip(NEXT) | instid1(VALU_DEP_4)
	v_cndmask_b32_e64 v21, v21, v24, s1
	v_cndmask_b32_e64 v24, v24, v22, s1
	;; [unrolled: 1-line block ×3, first 2 shown]
	s_delay_alu instid0(VALU_DEP_3) | instskip(NEXT) | instid1(VALU_DEP_3)
	v_alignbit_b32 v26, v23, v21, v25
	v_alignbit_b32 v27, v21, v24, v25
	s_delay_alu instid0(VALU_DEP_3) | instskip(NEXT) | instid1(VALU_DEP_3)
	v_alignbit_b32 v25, v24, v18, v25
	v_cndmask_b32_e64 v11, v26, v23, s2
	s_delay_alu instid0(VALU_DEP_3) | instskip(NEXT) | instid1(VALU_DEP_3)
	v_cndmask_b32_e64 v20, v27, v21, s2
	v_cndmask_b32_e64 v24, v25, v24, s2
	s_delay_alu instid0(VALU_DEP_3) | instskip(NEXT) | instid1(VALU_DEP_3)
	v_bfe_u32 v21, v11, 29, 1
	v_alignbit_b32 v19, v11, v20, 30
	s_delay_alu instid0(VALU_DEP_3) | instskip(SKIP_1) | instid1(VALU_DEP_4)
	v_alignbit_b32 v20, v20, v24, 30
	v_alignbit_b32 v18, v24, v18, 30
	v_sub_nc_u32_e32 v23, 0, v21
	s_delay_alu instid0(VALU_DEP_1) | instskip(SKIP_3) | instid1(VALU_DEP_4)
	v_xor_b32_e32 v22, v19, v23
	v_cmp_ne_u32_e32 vcc_lo, v19, v23
	v_xor_b32_e32 v20, v20, v23
	v_xor_b32_e32 v18, v18, v23
	v_clz_i32_u32_e32 v26, v22
	s_delay_alu instid0(VALU_DEP_1) | instskip(NEXT) | instid1(VALU_DEP_1)
	v_add_nc_u32_e32 v25, 1, v26
	v_cndmask_b32_e32 v19, 33, v25, vcc_lo
	s_delay_alu instid0(VALU_DEP_1) | instskip(NEXT) | instid1(VALU_DEP_1)
	v_sub_nc_u32_e32 v24, 32, v19
	v_alignbit_b32 v22, v22, v20, v24
	v_alignbit_b32 v18, v20, v18, v24
	v_lshrrev_b32_e32 v20, 29, v11
	s_delay_alu instid0(VALU_DEP_2) | instskip(NEXT) | instid1(VALU_DEP_2)
	v_alignbit_b32 v23, v22, v18, 9
	v_lshlrev_b32_e32 v20, 31, v20
	v_alignbit_b32 v22, v19, v22, 9
	s_delay_alu instid0(VALU_DEP_3) | instskip(NEXT) | instid1(VALU_DEP_2)
	v_clz_i32_u32_e32 v24, v23
	v_or_b32_e32 v22, v22, v20
	v_or_b32_e32 v20, 0x33800000, v20
	s_delay_alu instid0(VALU_DEP_3) | instskip(NEXT) | instid1(VALU_DEP_3)
	v_min_u32_e32 v24, 32, v24
	v_xor_b32_e32 v22, 1.0, v22
	s_delay_alu instid0(VALU_DEP_2) | instskip(SKIP_1) | instid1(VALU_DEP_3)
	v_sub_nc_u32_e32 v25, 31, v24
	v_add_lshl_u32 v19, v24, v19, 23
	v_mul_f32_e32 v24, 0x3fc90fda, v22
	s_delay_alu instid0(VALU_DEP_3) | instskip(NEXT) | instid1(VALU_DEP_3)
	v_alignbit_b32 v18, v23, v18, v25
	v_sub_nc_u32_e32 v19, v20, v19
	s_delay_alu instid0(VALU_DEP_3) | instskip(NEXT) | instid1(VALU_DEP_3)
	v_fma_f32 v20, 0x3fc90fda, v22, -v24
	v_lshrrev_b32_e32 v18, 9, v18
	s_delay_alu instid0(VALU_DEP_2) | instskip(NEXT) | instid1(VALU_DEP_2)
	v_fmac_f32_e32 v20, 0x33a22168, v22
	v_or_b32_e32 v18, v19, v18
	s_delay_alu instid0(VALU_DEP_1) | instskip(SKIP_1) | instid1(VALU_DEP_1)
	v_fmac_f32_e32 v20, 0x3fc90fda, v18
	v_lshrrev_b32_e32 v18, 30, v11
	v_dual_add_f32 v11, v24, v20 :: v_dual_add_nc_u32 v18, v21, v18
	s_and_not1_saveexec_b32 s0, s18
	s_cbranch_execnz .LBB255_410
	s_branch .LBB255_411
.LBB255_409:                            ;   in Loop: Header=BB255_233 Depth=1
	s_and_not1_saveexec_b32 s0, s18
.LBB255_410:                            ;   in Loop: Header=BB255_233 Depth=1
	v_mul_f32_e64 v11, 0x3f22f983, |v3|
	s_delay_alu instid0(VALU_DEP_1) | instskip(NEXT) | instid1(VALU_DEP_1)
	v_rndne_f32_e32 v18, v11
	v_fma_f32 v11, 0xbfc90fda, v18, |v3|
	s_delay_alu instid0(VALU_DEP_1) | instskip(NEXT) | instid1(VALU_DEP_1)
	v_fmac_f32_e32 v11, 0xb3a22168, v18
	v_fmac_f32_e32 v11, 0xa7c234c4, v18
	v_cvt_i32_f32_e32 v18, v18
.LBB255_411:                            ;   in Loop: Header=BB255_233 Depth=1
	s_or_b32 exec_lo, exec_lo, s0
	s_delay_alu instid0(VALU_DEP_1) | instskip(NEXT) | instid1(VALU_DEP_1)
	v_dual_sub_f32 v2, 0xc322e3bc, v2 :: v_dual_mul_f32 v23, v11, v11
	v_dual_mul_f32 v22, v1, v1 :: v_dual_mul_f32 v19, 0x3fb8aa3b, v2
	s_delay_alu instid0(VALU_DEP_1) | instskip(NEXT) | instid1(VALU_DEP_2)
	v_fmaak_f32 v24, s8, v22, 0xbab64f3b
	v_fma_f32 v20, 0x3fb8aa3b, v2, -v19
	v_rndne_f32_e32 v21, v19
	s_delay_alu instid0(VALU_DEP_1) | instskip(SKIP_1) | instid1(VALU_DEP_2)
	v_dual_sub_f32 v19, v19, v21 :: v_dual_fmac_f32 v20, 0x32a5705f, v2
	v_cmp_ngt_f32_e32 vcc_lo, 0xc2ce8ed0, v2
	v_add_f32_e32 v19, v19, v20
	v_cvt_i32_f32_e32 v20, v21
	v_lshlrev_b32_e32 v21, 30, v17
	v_and_b32_e32 v17, 1, v17
	s_delay_alu instid0(VALU_DEP_4)
	v_exp_f32_e32 v19, v19
	s_waitcnt_depctr 0xfff
	v_ldexp_f32 v19, v19, v20
	v_and_b32_e32 v20, 1, v18
	v_lshlrev_b32_e32 v18, 30, v18
	v_dual_fmaak_f32 v25, s7, v22, 0x3c0881c4 :: v_dual_fmaak_f32 v26, s7, v23, 0x3c0881c4
	s_delay_alu instid0(VALU_DEP_4) | instskip(SKIP_1) | instid1(VALU_DEP_4)
	v_cndmask_b32_e32 v19, 0, v19, vcc_lo
	v_cmp_nlt_f32_e32 vcc_lo, 0x42b17218, v2
	v_and_or_b32 v0, 0x80000000, v18, v0
	v_fmaak_f32 v18, v22, v24, 0x3d2aabf7
	v_fmaak_f32 v24, v22, v25, 0xbe2aaa9d
	v_and_b32_e32 v21, 0x80000000, v21
	v_fmaak_f32 v26, v23, v26, 0xbe2aaa9d
	s_delay_alu instid0(VALU_DEP_3) | instskip(SKIP_1) | instid1(VALU_DEP_3)
	v_mul_f32_e32 v24, v22, v24
	v_cndmask_b32_e32 v2, 0x7f800000, v19, vcc_lo
	v_dual_fmaak_f32 v19, s8, v23, 0xbab64f3b :: v_dual_mul_f32 v26, v23, v26
	v_cmp_eq_u32_e32 vcc_lo, 0, v17
	s_delay_alu instid0(VALU_DEP_4) | instskip(NEXT) | instid1(VALU_DEP_4)
	v_fmac_f32_e32 v1, v1, v24
	v_lshrrev_b32_e32 v25, 23, v2
	v_and_or_b32 v2, 0x7fffff, v2, s9
	v_fmaak_f32 v19, v23, v19, 0x3d2aabf7
	v_fmaak_f32 v18, v22, v18, 0xbf000004
	v_fmac_f32_e32 v11, v11, v26
	v_subrev_nc_u32_e32 v25, 19, v25
	s_delay_alu instid0(VALU_DEP_4) | instskip(NEXT) | instid1(VALU_DEP_4)
	v_fmaak_f32 v19, v23, v19, 0xbf000004
	v_fma_f32 v18, v22, v18, 1.0
	s_delay_alu instid0(VALU_DEP_3) | instskip(NEXT) | instid1(VALU_DEP_3)
	v_lshrrev_b16 v22, 15, v25
	v_fma_f32 v19, v23, v19, 1.0
	s_delay_alu instid0(VALU_DEP_3) | instskip(SKIP_1) | instid1(VALU_DEP_4)
	v_cndmask_b32_e64 v1, -v1, v18, vcc_lo
	v_cmp_eq_u32_e32 vcc_lo, 0, v20
	v_add_nc_u16 v17, v25, v22
	s_delay_alu instid0(VALU_DEP_3) | instskip(SKIP_1) | instid1(VALU_DEP_3)
	v_xor_b32_e32 v1, v21, v1
	v_cndmask_b32_e32 v11, v19, v11, vcc_lo
	v_ashrrev_i16 v17, 1, v17
	v_cmp_class_f32_e64 vcc_lo, v3, 0x1f8
	s_delay_alu instid0(VALU_DEP_3) | instskip(NEXT) | instid1(VALU_DEP_3)
	v_xor3_b32 v0, v0, v11, v10
	v_bfe_i32 v3, v17, 0, 16
	s_delay_alu instid0(VALU_DEP_2) | instskip(NEXT) | instid1(VALU_DEP_2)
	v_cndmask_b32_e32 v0, 0x7fc00000, v0, vcc_lo
	v_lshl_add_u32 v10, v3, 23, 1.0
	v_sub_nc_u32_e32 v3, v25, v3
	s_delay_alu instid0(VALU_DEP_3) | instskip(NEXT) | instid1(VALU_DEP_1)
	v_mul_f32_e32 v0, v0, v2
	v_dual_mul_f32 v0, v0, v10 :: v_dual_cndmask_b32 v1, 0x7fc00000, v1
	s_delay_alu instid0(VALU_DEP_1) | instskip(NEXT) | instid1(VALU_DEP_4)
	v_mul_f32_e32 v1, v1, v2
	v_lshl_add_u32 v2, v3, 23, 1.0
	s_delay_alu instid0(VALU_DEP_2) | instskip(NEXT) | instid1(VALU_DEP_2)
	v_mul_f32_e32 v1, v1, v10
	v_mul_f32_e32 v10, v0, v2
	s_delay_alu instid0(VALU_DEP_2)
	v_mul_f32_e32 v11, v1, v2
.LBB255_412:                            ;   in Loop: Header=BB255_233 Depth=1
	s_or_b32 exec_lo, exec_lo, s17
                                        ; implicit-def: $vgpr0_vgpr1_vgpr2_vgpr3
                                        ; implicit-def: $vgpr17
                                        ; implicit-def: $vgpr1
.LBB255_413:                            ;   in Loop: Header=BB255_233 Depth=1
	s_and_not1_saveexec_b32 s0, s16
	s_cbranch_execz .LBB255_419
; %bb.414:                              ;   in Loop: Header=BB255_233 Depth=1
	v_sub_f32_e32 v10, v3, v3
	s_mov_b32 s1, exec_lo
	v_cmpx_ne_u32_e32 0x7f800000, v1
	s_xor_b32 s1, exec_lo, s1
; %bb.415:                              ;   in Loop: Header=BB255_233 Depth=1
                                        ; implicit-def: $vgpr17
                                        ; implicit-def: $vgpr0_vgpr1_vgpr2_vgpr3
; %bb.416:                              ;   in Loop: Header=BB255_233 Depth=1
	s_delay_alu instid0(SALU_CYCLE_1)
	s_or_saveexec_b32 s1, s1
	v_mov_b32_e32 v11, v10
	s_xor_b32 exec_lo, exec_lo, s1
; %bb.417:                              ;   in Loop: Header=BB255_233 Depth=1
	v_cmp_lt_i32_e32 vcc_lo, -1, v17
	v_cndmask_b32_e64 v11, 0, -v2, vcc_lo
	v_cndmask_b32_e32 v10, 0, v10, vcc_lo
; %bb.418:                              ;   in Loop: Header=BB255_233 Depth=1
	s_or_b32 exec_lo, exec_lo, s1
.LBB255_419:                            ;   in Loop: Header=BB255_233 Depth=1
	s_delay_alu instid0(SALU_CYCLE_1)
	s_or_b32 exec_lo, exec_lo, s0
                                        ; implicit-def: $vgpr0_vgpr1_vgpr2_vgpr3
                                        ; implicit-def: $vgpr0
.LBB255_420:                            ;   in Loop: Header=BB255_233 Depth=1
	s_and_not1_saveexec_b32 s15, s15
	s_cbranch_execz .LBB255_430
; %bb.421:                              ;   in Loop: Header=BB255_233 Depth=1
	v_cmp_ngt_f32_e64 s16, 0x48000000, |v3|
                                        ; implicit-def: $vgpr2
                                        ; implicit-def: $vgpr1
	s_delay_alu instid0(VALU_DEP_1) | instskip(NEXT) | instid1(SALU_CYCLE_1)
	s_and_saveexec_b32 s0, s16
	s_xor_b32 s17, exec_lo, s0
	s_cbranch_execz .LBB255_423
; %bb.422:                              ;   in Loop: Header=BB255_233 Depth=1
	v_and_or_b32 v24, v0, s6, 0x800000
	s_delay_alu instid0(VALU_DEP_1) | instskip(NEXT) | instid1(VALU_DEP_1)
	v_mad_u64_u32 v[1:2], null, 0xfe5163ab, v24, 0
	v_mov_b32_e32 v11, v2
	v_lshrrev_b32_e32 v2, 23, v0
	s_delay_alu instid0(VALU_DEP_1) | instskip(NEXT) | instid1(VALU_DEP_3)
	v_add_nc_u32_e32 v2, 0xffffff88, v2
	v_mad_u64_u32 v[17:18], null, 0x3c439041, v24, v[11:12]
	s_delay_alu instid0(VALU_DEP_2) | instskip(SKIP_1) | instid1(VALU_DEP_1)
	v_cmp_lt_u32_e32 vcc_lo, 63, v2
	v_cndmask_b32_e64 v22, 0, 0xffffffc0, vcc_lo
	v_add_nc_u32_e32 v2, v22, v2
	s_delay_alu instid0(VALU_DEP_1) | instskip(NEXT) | instid1(VALU_DEP_1)
	v_cmp_lt_u32_e64 s0, 31, v2
	v_cndmask_b32_e64 v23, 0, 0xffffffe0, s0
	s_delay_alu instid0(VALU_DEP_1) | instskip(NEXT) | instid1(VALU_DEP_1)
	v_dual_mov_b32 v11, v18 :: v_dual_add_nc_u32 v2, v23, v2
	v_mad_u64_u32 v[18:19], null, 0xdb629599, v24, v[11:12]
	s_delay_alu instid0(VALU_DEP_2) | instskip(NEXT) | instid1(VALU_DEP_2)
	v_cmp_lt_u32_e64 s1, 31, v2
	v_mov_b32_e32 v11, v19
	s_delay_alu instid0(VALU_DEP_3) | instskip(NEXT) | instid1(VALU_DEP_2)
	v_cndmask_b32_e32 v1, v18, v1, vcc_lo
	v_mad_u64_u32 v[19:20], null, 0xf534ddc0, v24, v[11:12]
	s_delay_alu instid0(VALU_DEP_1) | instskip(NEXT) | instid1(VALU_DEP_1)
	v_mov_b32_e32 v11, v20
	v_mad_u64_u32 v[20:21], null, 0xfc2757d1, v24, v[11:12]
	s_delay_alu instid0(VALU_DEP_1) | instskip(NEXT) | instid1(VALU_DEP_1)
	v_mov_b32_e32 v11, v21
	;; [unrolled: 3-line block ×3, first 2 shown]
	v_mad_u64_u32 v[22:23], null, 0xa2f9836e, v24, v[11:12]
	v_cndmask_b32_e64 v11, 0, 0xffffffe0, s1
	s_delay_alu instid0(VALU_DEP_4) | instskip(NEXT) | instid1(VALU_DEP_2)
	v_cndmask_b32_e32 v24, v21, v19, vcc_lo
	v_add_nc_u32_e32 v2, v11, v2
	s_delay_alu instid0(VALU_DEP_4) | instskip(SKIP_1) | instid1(VALU_DEP_3)
	v_dual_cndmask_b32 v22, v22, v20 :: v_dual_cndmask_b32 v21, v23, v21
	v_dual_cndmask_b32 v20, v20, v18 :: v_dual_cndmask_b32 v11, v19, v17
	v_cmp_eq_u32_e64 s2, 0, v2
	s_delay_alu instid0(VALU_DEP_3) | instskip(NEXT) | instid1(VALU_DEP_4)
	v_cndmask_b32_e64 v17, v22, v24, s0
	v_cndmask_b32_e64 v19, v21, v22, s0
	s_delay_alu instid0(VALU_DEP_4)
	v_cndmask_b32_e64 v21, v24, v20, s0
	v_sub_nc_u32_e32 v22, 32, v2
	v_cndmask_b32_e64 v20, v20, v11, s0
	v_cndmask_b32_e64 v1, v11, v1, s0
	;; [unrolled: 1-line block ×4, first 2 shown]
	s_delay_alu instid0(VALU_DEP_4) | instskip(NEXT) | instid1(VALU_DEP_4)
	v_cndmask_b32_e64 v21, v21, v20, s1
	v_cndmask_b32_e64 v1, v20, v1, s1
	s_delay_alu instid0(VALU_DEP_3) | instskip(NEXT) | instid1(VALU_DEP_3)
	v_alignbit_b32 v23, v19, v17, v22
	v_alignbit_b32 v24, v17, v21, v22
	s_delay_alu instid0(VALU_DEP_3) | instskip(NEXT) | instid1(VALU_DEP_3)
	v_alignbit_b32 v22, v21, v1, v22
	v_cndmask_b32_e64 v2, v23, v19, s2
	s_delay_alu instid0(VALU_DEP_3) | instskip(NEXT) | instid1(VALU_DEP_3)
	v_cndmask_b32_e64 v17, v24, v17, s2
	v_cndmask_b32_e64 v21, v22, v21, s2
	s_delay_alu instid0(VALU_DEP_3) | instskip(NEXT) | instid1(VALU_DEP_3)
	v_bfe_u32 v18, v2, 29, 1
	v_alignbit_b32 v11, v2, v17, 30
	s_delay_alu instid0(VALU_DEP_3) | instskip(SKIP_1) | instid1(VALU_DEP_4)
	v_alignbit_b32 v17, v17, v21, 30
	v_alignbit_b32 v1, v21, v1, 30
	v_sub_nc_u32_e32 v19, 0, v18
	s_delay_alu instid0(VALU_DEP_1) | instskip(SKIP_3) | instid1(VALU_DEP_4)
	v_xor_b32_e32 v20, v11, v19
	v_cmp_ne_u32_e32 vcc_lo, v11, v19
	v_xor_b32_e32 v17, v17, v19
	v_xor_b32_e32 v1, v1, v19
	v_clz_i32_u32_e32 v23, v20
	s_delay_alu instid0(VALU_DEP_1) | instskip(NEXT) | instid1(VALU_DEP_1)
	v_add_nc_u32_e32 v22, 1, v23
	v_cndmask_b32_e32 v11, 33, v22, vcc_lo
	s_delay_alu instid0(VALU_DEP_1) | instskip(NEXT) | instid1(VALU_DEP_1)
	v_sub_nc_u32_e32 v21, 32, v11
	v_alignbit_b32 v19, v20, v17, v21
	v_alignbit_b32 v1, v17, v1, v21
	v_lshrrev_b32_e32 v17, 29, v2
	v_lshrrev_b32_e32 v2, 30, v2
	s_delay_alu instid0(VALU_DEP_3) | instskip(NEXT) | instid1(VALU_DEP_3)
	v_alignbit_b32 v20, v19, v1, 9
	v_lshlrev_b32_e32 v17, 31, v17
	s_delay_alu instid0(VALU_DEP_3) | instskip(SKIP_1) | instid1(VALU_DEP_4)
	v_add_nc_u32_e32 v2, v18, v2
	v_alignbit_b32 v19, v11, v19, 9
	v_clz_i32_u32_e32 v21, v20
	s_delay_alu instid0(VALU_DEP_2) | instskip(SKIP_1) | instid1(VALU_DEP_3)
	v_or_b32_e32 v19, v19, v17
	v_or_b32_e32 v17, 0x33800000, v17
	v_min_u32_e32 v21, 32, v21
	s_delay_alu instid0(VALU_DEP_3) | instskip(NEXT) | instid1(VALU_DEP_2)
	v_xor_b32_e32 v19, 1.0, v19
	v_sub_nc_u32_e32 v22, 31, v21
	v_add_lshl_u32 v11, v21, v11, 23
	s_delay_alu instid0(VALU_DEP_3) | instskip(NEXT) | instid1(VALU_DEP_3)
	v_mul_f32_e32 v21, 0x3fc90fda, v19
	v_alignbit_b32 v1, v20, v1, v22
	s_delay_alu instid0(VALU_DEP_3) | instskip(NEXT) | instid1(VALU_DEP_3)
	v_sub_nc_u32_e32 v11, v17, v11
	v_fma_f32 v17, 0x3fc90fda, v19, -v21
	s_delay_alu instid0(VALU_DEP_3) | instskip(NEXT) | instid1(VALU_DEP_2)
	v_lshrrev_b32_e32 v1, 9, v1
	v_fmac_f32_e32 v17, 0x33a22168, v19
	s_delay_alu instid0(VALU_DEP_2) | instskip(NEXT) | instid1(VALU_DEP_1)
	v_or_b32_e32 v1, v11, v1
	v_fmac_f32_e32 v17, 0x3fc90fda, v1
	s_delay_alu instid0(VALU_DEP_1)
	v_add_f32_e32 v1, v21, v17
	s_and_not1_saveexec_b32 s0, s17
	s_branch .LBB255_424
.LBB255_423:                            ;   in Loop: Header=BB255_233 Depth=1
	s_and_not1_saveexec_b32 s0, s17
.LBB255_424:                            ;   in Loop: Header=BB255_233 Depth=1
	v_mul_f32_e64 v1, 0x3f22f983, |v3|
	s_delay_alu instid0(VALU_DEP_1) | instskip(NEXT) | instid1(VALU_DEP_1)
	v_rndne_f32_e32 v2, v1
	v_fma_f32 v1, 0xbfc90fda, v2, |v3|
	s_delay_alu instid0(VALU_DEP_1) | instskip(NEXT) | instid1(VALU_DEP_1)
	v_fmac_f32_e32 v1, 0xb3a22168, v2
	v_fmac_f32_e32 v1, 0xa7c234c4, v2
	v_cvt_i32_f32_e32 v2, v2
; %bb.425:                              ;   in Loop: Header=BB255_233 Depth=1
	s_or_b32 exec_lo, exec_lo, s0
                                        ; implicit-def: $vgpr17
                                        ; implicit-def: $vgpr11
	s_and_saveexec_b32 s0, s16
	s_delay_alu instid0(SALU_CYCLE_1)
	s_xor_b32 s16, exec_lo, s0
	s_cbranch_execz .LBB255_427
; %bb.426:                              ;   in Loop: Header=BB255_233 Depth=1
	v_lshrrev_b32_e32 v22, 23, v0
	v_and_or_b32 v25, v0, s6, 0x800000
	s_delay_alu instid0(VALU_DEP_2) | instskip(NEXT) | instid1(VALU_DEP_2)
	v_add_nc_u32_e32 v23, 0xffffff88, v22
	v_mad_u64_u32 v[17:18], null, 0xfe5163ab, v25, 0
	s_delay_alu instid0(VALU_DEP_2) | instskip(SKIP_1) | instid1(VALU_DEP_1)
	v_cmp_lt_u32_e32 vcc_lo, 63, v23
	v_cndmask_b32_e64 v24, 0, 0xffffffc0, vcc_lo
	v_dual_mov_b32 v11, v18 :: v_dual_add_nc_u32 v24, v24, v23
	s_delay_alu instid0(VALU_DEP_1) | instskip(NEXT) | instid1(VALU_DEP_2)
	v_mad_u64_u32 v[18:19], null, 0x3c439041, v25, v[11:12]
	v_cmp_lt_u32_e64 s0, 31, v24
	s_delay_alu instid0(VALU_DEP_1) | instskip(NEXT) | instid1(VALU_DEP_1)
	v_cndmask_b32_e64 v26, 0, 0xffffffe0, s0
	v_dual_mov_b32 v11, v19 :: v_dual_add_nc_u32 v26, v26, v24
	s_delay_alu instid0(VALU_DEP_1) | instskip(NEXT) | instid1(VALU_DEP_2)
	v_mad_u64_u32 v[19:20], null, 0xdb629599, v25, v[11:12]
	v_cmp_lt_u32_e64 s1, 31, v26
	s_delay_alu instid0(VALU_DEP_2) | instskip(NEXT) | instid1(VALU_DEP_3)
	v_mov_b32_e32 v11, v20
	v_cndmask_b32_e32 v17, v19, v17, vcc_lo
	s_delay_alu instid0(VALU_DEP_2) | instskip(NEXT) | instid1(VALU_DEP_1)
	v_mad_u64_u32 v[20:21], null, 0xf534ddc0, v25, v[11:12]
	v_dual_mov_b32 v11, v21 :: v_dual_cndmask_b32 v18, v20, v18
	s_delay_alu instid0(VALU_DEP_1) | instskip(NEXT) | instid1(VALU_DEP_2)
	v_mad_u64_u32 v[21:22], null, 0xfc2757d1, v25, v[11:12]
	v_cndmask_b32_e64 v17, v18, v17, s0
	s_delay_alu instid0(VALU_DEP_2) | instskip(NEXT) | instid1(VALU_DEP_1)
	v_mov_b32_e32 v11, v22
	v_mad_u64_u32 v[22:23], null, 0x4e441529, v25, v[11:12]
	s_delay_alu instid0(VALU_DEP_1) | instskip(NEXT) | instid1(VALU_DEP_1)
	v_mov_b32_e32 v11, v23
	v_mad_u64_u32 v[23:24], null, 0xa2f9836e, v25, v[11:12]
	v_cndmask_b32_e64 v11, 0, 0xffffffe0, s1
	s_delay_alu instid0(VALU_DEP_4) | instskip(NEXT) | instid1(VALU_DEP_2)
	v_cndmask_b32_e32 v25, v22, v20, vcc_lo
	v_add_nc_u32_e32 v11, v11, v26
	s_delay_alu instid0(VALU_DEP_4) | instskip(SKIP_1) | instid1(VALU_DEP_3)
	v_dual_cndmask_b32 v23, v23, v21 :: v_dual_cndmask_b32 v22, v24, v22
	v_cndmask_b32_e32 v21, v21, v19, vcc_lo
	v_sub_nc_u32_e32 v24, 32, v11
	s_delay_alu instid0(VALU_DEP_3) | instskip(NEXT) | instid1(VALU_DEP_4)
	v_cndmask_b32_e64 v20, v23, v25, s0
	v_cndmask_b32_e64 v22, v22, v23, s0
	s_delay_alu instid0(VALU_DEP_4) | instskip(SKIP_2) | instid1(VALU_DEP_4)
	v_cndmask_b32_e64 v23, v25, v21, s0
	v_cndmask_b32_e64 v21, v21, v18, s0
	v_cmp_eq_u32_e64 s2, 0, v11
	v_cndmask_b32_e64 v22, v22, v20, s1
	s_delay_alu instid0(VALU_DEP_4) | instskip(NEXT) | instid1(VALU_DEP_4)
	v_cndmask_b32_e64 v20, v20, v23, s1
	v_cndmask_b32_e64 v23, v23, v21, s1
	;; [unrolled: 1-line block ×3, first 2 shown]
	s_delay_alu instid0(VALU_DEP_3) | instskip(NEXT) | instid1(VALU_DEP_3)
	v_alignbit_b32 v25, v22, v20, v24
	v_alignbit_b32 v26, v20, v23, v24
	s_delay_alu instid0(VALU_DEP_3) | instskip(NEXT) | instid1(VALU_DEP_3)
	v_alignbit_b32 v24, v23, v17, v24
	v_cndmask_b32_e64 v11, v25, v22, s2
	s_delay_alu instid0(VALU_DEP_3) | instskip(NEXT) | instid1(VALU_DEP_3)
	v_cndmask_b32_e64 v19, v26, v20, s2
	v_cndmask_b32_e64 v23, v24, v23, s2
	s_delay_alu instid0(VALU_DEP_3) | instskip(NEXT) | instid1(VALU_DEP_3)
	v_bfe_u32 v20, v11, 29, 1
	v_alignbit_b32 v18, v11, v19, 30
	s_delay_alu instid0(VALU_DEP_3) | instskip(SKIP_1) | instid1(VALU_DEP_4)
	v_alignbit_b32 v19, v19, v23, 30
	v_alignbit_b32 v17, v23, v17, 30
	v_sub_nc_u32_e32 v22, 0, v20
	s_delay_alu instid0(VALU_DEP_1) | instskip(SKIP_3) | instid1(VALU_DEP_4)
	v_xor_b32_e32 v21, v18, v22
	v_cmp_ne_u32_e32 vcc_lo, v18, v22
	v_xor_b32_e32 v19, v19, v22
	v_xor_b32_e32 v17, v17, v22
	v_clz_i32_u32_e32 v25, v21
	s_delay_alu instid0(VALU_DEP_1) | instskip(NEXT) | instid1(VALU_DEP_1)
	v_add_nc_u32_e32 v24, 1, v25
	v_cndmask_b32_e32 v18, 33, v24, vcc_lo
	s_delay_alu instid0(VALU_DEP_1) | instskip(NEXT) | instid1(VALU_DEP_1)
	v_sub_nc_u32_e32 v23, 32, v18
	v_alignbit_b32 v21, v21, v19, v23
	v_alignbit_b32 v17, v19, v17, v23
	v_lshrrev_b32_e32 v19, 29, v11
	s_delay_alu instid0(VALU_DEP_2) | instskip(NEXT) | instid1(VALU_DEP_2)
	v_alignbit_b32 v22, v21, v17, 9
	v_lshlrev_b32_e32 v19, 31, v19
	v_alignbit_b32 v21, v18, v21, 9
	s_delay_alu instid0(VALU_DEP_3) | instskip(NEXT) | instid1(VALU_DEP_2)
	v_clz_i32_u32_e32 v23, v22
	v_or_b32_e32 v21, v21, v19
	v_or_b32_e32 v19, 0x33800000, v19
	s_delay_alu instid0(VALU_DEP_3) | instskip(NEXT) | instid1(VALU_DEP_3)
	v_min_u32_e32 v23, 32, v23
	v_xor_b32_e32 v21, 1.0, v21
	s_delay_alu instid0(VALU_DEP_2) | instskip(SKIP_1) | instid1(VALU_DEP_3)
	v_sub_nc_u32_e32 v24, 31, v23
	v_add_lshl_u32 v18, v23, v18, 23
	v_mul_f32_e32 v23, 0x3fc90fda, v21
	s_delay_alu instid0(VALU_DEP_3) | instskip(NEXT) | instid1(VALU_DEP_3)
	v_alignbit_b32 v17, v22, v17, v24
	v_sub_nc_u32_e32 v18, v19, v18
	s_delay_alu instid0(VALU_DEP_3) | instskip(NEXT) | instid1(VALU_DEP_3)
	v_fma_f32 v19, 0x3fc90fda, v21, -v23
	v_lshrrev_b32_e32 v17, 9, v17
	s_delay_alu instid0(VALU_DEP_2) | instskip(NEXT) | instid1(VALU_DEP_2)
	v_fmac_f32_e32 v19, 0x33a22168, v21
	v_or_b32_e32 v17, v18, v17
	s_delay_alu instid0(VALU_DEP_1) | instskip(SKIP_1) | instid1(VALU_DEP_2)
	v_fmac_f32_e32 v19, 0x3fc90fda, v17
	v_lshrrev_b32_e32 v17, 30, v11
	v_add_f32_e32 v11, v23, v19
	s_delay_alu instid0(VALU_DEP_2)
	v_add_nc_u32_e32 v17, v20, v17
	s_and_not1_saveexec_b32 s0, s16
	s_cbranch_execnz .LBB255_428
	s_branch .LBB255_429
.LBB255_427:                            ;   in Loop: Header=BB255_233 Depth=1
	s_and_not1_saveexec_b32 s0, s16
.LBB255_428:                            ;   in Loop: Header=BB255_233 Depth=1
	v_mul_f32_e64 v11, 0x3f22f983, |v3|
	s_delay_alu instid0(VALU_DEP_1) | instskip(NEXT) | instid1(VALU_DEP_1)
	v_rndne_f32_e32 v17, v11
	v_fma_f32 v11, 0xbfc90fda, v17, |v3|
	s_delay_alu instid0(VALU_DEP_1) | instskip(NEXT) | instid1(VALU_DEP_1)
	v_fmac_f32_e32 v11, 0xb3a22168, v17
	v_fmac_f32_e32 v11, 0xa7c234c4, v17
	v_cvt_i32_f32_e32 v17, v17
.LBB255_429:                            ;   in Loop: Header=BB255_233 Depth=1
	s_or_b32 exec_lo, exec_lo, s0
	s_delay_alu instid0(VALU_DEP_2) | instskip(SKIP_1) | instid1(VALU_DEP_3)
	v_dual_mul_f32 v18, v1, v1 :: v_dual_mul_f32 v19, v11, v11
	v_and_b32_e32 v20, 1, v2
	v_and_b32_e32 v25, 1, v17
	v_lshlrev_b32_e32 v17, 30, v17
	s_delay_alu instid0(VALU_DEP_4)
	v_fmaak_f32 v21, s7, v18, 0x3c0881c4
	v_fmaak_f32 v23, s7, v19, 0x3c0881c4
	;; [unrolled: 1-line block ×3, first 2 shown]
	v_lshlrev_b32_e32 v2, 30, v2
	v_fmaak_f32 v24, s8, v19, 0xbab64f3b
	v_fmaak_f32 v21, v18, v21, 0xbe2aaa9d
	;; [unrolled: 1-line block ×4, first 2 shown]
	v_cmp_eq_u32_e32 vcc_lo, 0, v20
	s_delay_alu instid0(VALU_DEP_4) | instskip(NEXT) | instid1(VALU_DEP_3)
	v_dual_fmaak_f32 v24, v19, v24, 0x3d2aabf7 :: v_dual_mul_f32 v21, v18, v21
	v_dual_mul_f32 v23, v19, v23 :: v_dual_fmaak_f32 v22, v18, v22, 0xbf000004
	v_and_b32_e32 v2, 0x80000000, v2
	s_delay_alu instid0(VALU_DEP_3) | instskip(NEXT) | instid1(VALU_DEP_3)
	v_dual_fmaak_f32 v24, v19, v24, 0xbf000004 :: v_dual_fmac_f32 v1, v1, v21
	v_fmac_f32_e32 v11, v11, v23
	s_delay_alu instid0(VALU_DEP_4) | instskip(SKIP_1) | instid1(VALU_DEP_4)
	v_fma_f32 v18, v18, v22, 1.0
	v_and_or_b32 v0, 0x80000000, v17, v0
	v_fma_f32 v19, v19, v24, 1.0
	s_delay_alu instid0(VALU_DEP_3) | instskip(SKIP_1) | instid1(VALU_DEP_2)
	v_cndmask_b32_e64 v1, -v1, v18, vcc_lo
	v_cmp_eq_u32_e32 vcc_lo, 0, v25
	v_xor_b32_e32 v1, v2, v1
	s_delay_alu instid0(VALU_DEP_4) | instskip(SKIP_1) | instid1(VALU_DEP_2)
	v_cndmask_b32_e32 v11, v19, v11, vcc_lo
	v_cmp_class_f32_e64 vcc_lo, v3, 0x1f8
	v_xor3_b32 v0, v0, v11, v10
	s_delay_alu instid0(VALU_DEP_4) | instskip(NEXT) | instid1(VALU_DEP_2)
	v_cndmask_b32_e32 v11, 0x7fc00000, v1, vcc_lo
	v_cndmask_b32_e32 v10, 0x7fc00000, v0, vcc_lo
.LBB255_430:                            ;   in Loop: Header=BB255_233 Depth=1
	s_or_b32 exec_lo, exec_lo, s15
                                        ; implicit-def: $vgpr0_vgpr1_vgpr2_vgpr3
.LBB255_431:                            ;   in Loop: Header=BB255_233 Depth=1
	s_and_not1_saveexec_b32 s0, s14
	s_cbranch_execz .LBB255_433
; %bb.432:                              ;   in Loop: Header=BB255_233 Depth=1
	v_mul_f32_e32 v0, 0xbfb8aa3b, v2
	v_cmp_nlt_f32_e32 vcc_lo, 0x42ce8ed0, v2
	s_delay_alu instid0(VALU_DEP_2) | instskip(SKIP_1) | instid1(VALU_DEP_1)
	v_rndne_f32_e32 v1, v0
	v_fma_f32 v3, 0xbfb8aa3b, v2, -v0
	v_dual_sub_f32 v0, v0, v1 :: v_dual_fmac_f32 v3, 0xb2a5705f, v2
	v_cvt_i32_f32_e32 v1, v1
	s_delay_alu instid0(VALU_DEP_2) | instskip(NEXT) | instid1(VALU_DEP_1)
	v_add_f32_e32 v0, v0, v3
	v_exp_f32_e32 v0, v0
	s_waitcnt_depctr 0xfff
	v_ldexp_f32 v0, v0, v1
	s_delay_alu instid0(VALU_DEP_1) | instskip(SKIP_1) | instid1(VALU_DEP_2)
	v_cndmask_b32_e32 v0, 0, v0, vcc_lo
	v_cmp_ngt_f32_e32 vcc_lo, 0xc2b17218, v2
	v_cndmask_b32_e32 v11, 0x7f800000, v0, vcc_lo
.LBB255_433:                            ;   in Loop: Header=BB255_233 Depth=1
	s_or_b32 exec_lo, exec_lo, s0
	s_delay_alu instid0(VALU_DEP_1) | instskip(SKIP_1) | instid1(VALU_DEP_1)
	v_dual_add_f32 v1, s10, v11 :: v_dual_add_f32 v0, s11, v10
	s_mov_b32 s0, exec_lo
	v_cmp_gt_f32_e32 vcc_lo, 0, v1
	v_cndmask_b32_e64 v2, v1, -v1, vcc_lo
	s_delay_alu instid0(VALU_DEP_3) | instskip(SKIP_1) | instid1(VALU_DEP_1)
	v_cmp_gt_f32_e32 vcc_lo, 0, v0
	v_cndmask_b32_e64 v3, v0, -v0, vcc_lo
	v_cmpx_ge_f32_e32 v2, v3
	s_xor_b32 s1, exec_lo, s0
	s_cbranch_execz .LBB255_439
; %bb.434:                              ;   in Loop: Header=BB255_233 Depth=1
	v_cmp_neq_f32_e32 vcc_lo, 0, v1
	v_cmp_neq_f32_e64 s0, 0, v0
	s_delay_alu instid0(VALU_DEP_1) | instskip(NEXT) | instid1(SALU_CYCLE_1)
	s_or_b32 s0, vcc_lo, s0
	s_and_saveexec_b32 s2, s0
	s_delay_alu instid0(SALU_CYCLE_1)
	s_xor_b32 s0, exec_lo, s2
	s_cbranch_execz .LBB255_436
; %bb.435:                              ;   in Loop: Header=BB255_233 Depth=1
	v_div_scale_f32 v2, null, v1, v1, v0
	v_div_scale_f32 v11, vcc_lo, v0, v1, v0
	s_delay_alu instid0(VALU_DEP_2) | instskip(SKIP_2) | instid1(VALU_DEP_1)
	v_rcp_f32_e32 v3, v2
	s_waitcnt_depctr 0xfff
	v_fma_f32 v10, -v2, v3, 1.0
	v_fmac_f32_e32 v3, v10, v3
	s_delay_alu instid0(VALU_DEP_1) | instskip(NEXT) | instid1(VALU_DEP_1)
	v_mul_f32_e32 v10, v11, v3
	v_fma_f32 v17, -v2, v10, v11
	s_delay_alu instid0(VALU_DEP_1) | instskip(NEXT) | instid1(VALU_DEP_1)
	v_fmac_f32_e32 v10, v17, v3
	v_fma_f32 v2, -v2, v10, v11
	s_delay_alu instid0(VALU_DEP_1) | instskip(NEXT) | instid1(VALU_DEP_1)
	v_div_fmas_f32 v2, v2, v3, v10
	v_div_fixup_f32 v2, v2, v1, v0
	s_delay_alu instid0(VALU_DEP_1) | instskip(NEXT) | instid1(VALU_DEP_1)
	v_fmac_f32_e32 v1, v0, v2
	v_div_scale_f32 v0, null, v1, v1, 1.0
	v_div_scale_f32 v11, vcc_lo, 1.0, v1, 1.0
	s_delay_alu instid0(VALU_DEP_2) | instskip(SKIP_2) | instid1(VALU_DEP_1)
	v_rcp_f32_e32 v3, v0
	s_waitcnt_depctr 0xfff
	v_fma_f32 v10, -v0, v3, 1.0
	v_fmac_f32_e32 v3, v10, v3
	s_delay_alu instid0(VALU_DEP_1) | instskip(NEXT) | instid1(VALU_DEP_1)
	v_mul_f32_e32 v10, v11, v3
	v_fma_f32 v17, -v0, v10, v11
	s_delay_alu instid0(VALU_DEP_1) | instskip(NEXT) | instid1(VALU_DEP_1)
	v_fmac_f32_e32 v10, v17, v3
	v_fma_f32 v0, -v0, v10, v11
	s_delay_alu instid0(VALU_DEP_1) | instskip(SKIP_1) | instid1(VALU_DEP_2)
	v_div_fmas_f32 v0, v0, v3, v10
	v_fma_f32 v3, v2, s11, s10
	v_div_fixup_f32 v0, v0, v1, 1.0
	v_fma_f32 v1, -v2, s10, s11
                                        ; implicit-def: $vgpr2
	s_delay_alu instid0(VALU_DEP_2) | instskip(NEXT) | instid1(VALU_DEP_2)
	v_mul_f32_e32 v10, v3, v0
	v_mul_f32_e32 v11, v1, v0
                                        ; implicit-def: $vgpr3
.LBB255_436:                            ;   in Loop: Header=BB255_233 Depth=1
	s_and_not1_saveexec_b32 s2, s0
	s_cbranch_execz .LBB255_438
; %bb.437:                              ;   in Loop: Header=BB255_233 Depth=1
	v_div_scale_f32 v0, null, v2, v2, s10
	v_div_scale_f32 v1, null, v3, v3, s11
	v_div_scale_f32 v19, vcc_lo, s10, v2, s10
	s_delay_alu instid0(VALU_DEP_3) | instskip(NEXT) | instid1(VALU_DEP_2)
	v_rcp_f32_e32 v10, v0
	v_rcp_f32_e32 v11, v1
	s_waitcnt_depctr 0xfff
	v_fma_f32 v17, -v0, v10, 1.0
	v_fma_f32 v18, -v1, v11, 1.0
	s_delay_alu instid0(VALU_DEP_1) | instskip(SKIP_1) | instid1(VALU_DEP_2)
	v_dual_fmac_f32 v10, v17, v10 :: v_dual_fmac_f32 v11, v18, v11
	v_div_scale_f32 v17, s0, s11, v3, s11
	v_mul_f32_e32 v18, v19, v10
	s_delay_alu instid0(VALU_DEP_2) | instskip(NEXT) | instid1(VALU_DEP_2)
	v_mul_f32_e32 v20, v17, v11
	v_fma_f32 v21, -v0, v18, v19
	s_delay_alu instid0(VALU_DEP_2) | instskip(NEXT) | instid1(VALU_DEP_2)
	v_fma_f32 v22, -v1, v20, v17
	v_fmac_f32_e32 v18, v21, v10
	s_delay_alu instid0(VALU_DEP_2) | instskip(NEXT) | instid1(VALU_DEP_2)
	v_fmac_f32_e32 v20, v22, v11
	v_fma_f32 v0, -v0, v18, v19
	s_delay_alu instid0(VALU_DEP_2) | instskip(NEXT) | instid1(VALU_DEP_2)
	v_fma_f32 v1, -v1, v20, v17
	v_div_fmas_f32 v0, v0, v10, v18
	s_mov_b32 vcc_lo, s0
	s_delay_alu instid0(VALU_DEP_2) | instskip(NEXT) | instid1(VALU_DEP_2)
	v_div_fmas_f32 v1, v1, v11, v20
	v_div_fixup_f32 v10, v0, v2, s10
	s_delay_alu instid0(VALU_DEP_2)
	v_div_fixup_f32 v11, v1, v3, s11
.LBB255_438:                            ;   in Loop: Header=BB255_233 Depth=1
	s_or_b32 exec_lo, exec_lo, s2
                                        ; implicit-def: $vgpr0
                                        ; implicit-def: $vgpr1
.LBB255_439:                            ;   in Loop: Header=BB255_233 Depth=1
	s_and_not1_saveexec_b32 s0, s1
	s_cbranch_execz .LBB255_232
; %bb.440:                              ;   in Loop: Header=BB255_233 Depth=1
	v_div_scale_f32 v2, null, v0, v0, v1
	v_div_scale_f32 v11, vcc_lo, v1, v0, v1
	s_delay_alu instid0(VALU_DEP_2) | instskip(SKIP_2) | instid1(VALU_DEP_1)
	v_rcp_f32_e32 v3, v2
	s_waitcnt_depctr 0xfff
	v_fma_f32 v10, -v2, v3, 1.0
	v_fmac_f32_e32 v3, v10, v3
	s_delay_alu instid0(VALU_DEP_1) | instskip(NEXT) | instid1(VALU_DEP_1)
	v_mul_f32_e32 v10, v11, v3
	v_fma_f32 v17, -v2, v10, v11
	s_delay_alu instid0(VALU_DEP_1) | instskip(NEXT) | instid1(VALU_DEP_1)
	v_fmac_f32_e32 v10, v17, v3
	v_fma_f32 v2, -v2, v10, v11
	s_delay_alu instid0(VALU_DEP_1) | instskip(NEXT) | instid1(VALU_DEP_1)
	v_div_fmas_f32 v2, v2, v3, v10
	v_div_fixup_f32 v2, v2, v0, v1
	s_delay_alu instid0(VALU_DEP_1) | instskip(NEXT) | instid1(VALU_DEP_1)
	v_fmac_f32_e32 v0, v1, v2
	v_div_scale_f32 v1, null, v0, v0, 1.0
	v_div_scale_f32 v11, vcc_lo, 1.0, v0, 1.0
	s_delay_alu instid0(VALU_DEP_2) | instskip(SKIP_2) | instid1(VALU_DEP_1)
	v_rcp_f32_e32 v3, v1
	s_waitcnt_depctr 0xfff
	v_fma_f32 v10, -v1, v3, 1.0
	v_fmac_f32_e32 v3, v10, v3
	s_delay_alu instid0(VALU_DEP_1) | instskip(NEXT) | instid1(VALU_DEP_1)
	v_mul_f32_e32 v10, v11, v3
	v_fma_f32 v17, -v1, v10, v11
	s_delay_alu instid0(VALU_DEP_1) | instskip(NEXT) | instid1(VALU_DEP_1)
	v_fmac_f32_e32 v10, v17, v3
	v_fma_f32 v1, -v1, v10, v11
	s_delay_alu instid0(VALU_DEP_1) | instskip(SKIP_1) | instid1(VALU_DEP_2)
	v_div_fmas_f32 v1, v1, v3, v10
	v_fma_f32 v3, v2, s10, s11
	v_div_fixup_f32 v0, v1, v0, 1.0
	v_fma_f32 v1, v2, s11, -s10
	s_delay_alu instid0(VALU_DEP_2) | instskip(NEXT) | instid1(VALU_DEP_2)
	v_mul_f32_e32 v10, v3, v0
	v_mul_f32_e32 v11, v1, v0
	s_branch .LBB255_232
.LBB255_441:
	s_nop 0
	s_sendmsg sendmsg(MSG_DEALLOC_VGPRS)
	s_endpgm
	.section	.rodata,"a",@progbits
	.p2align	6, 0x0
	.amdhsa_kernel _ZN2at6native12_GLOBAL__N_125multi_tensor_apply_kernelINS1_18TensorListMetadataILi1EEENS1_14UnaryOpFunctorIN3c107complexIfEELi1ELi1ELi0EEEJNS0_7SigmoidIS8_EEEEEvT_T0_DpT1_
		.amdhsa_group_segment_fixed_size 0
		.amdhsa_private_segment_fixed_size 0
		.amdhsa_kernarg_size 3640
		.amdhsa_user_sgpr_count 15
		.amdhsa_user_sgpr_dispatch_ptr 0
		.amdhsa_user_sgpr_queue_ptr 0
		.amdhsa_user_sgpr_kernarg_segment_ptr 1
		.amdhsa_user_sgpr_dispatch_id 0
		.amdhsa_user_sgpr_private_segment_size 0
		.amdhsa_wavefront_size32 1
		.amdhsa_uses_dynamic_stack 0
		.amdhsa_enable_private_segment 0
		.amdhsa_system_sgpr_workgroup_id_x 1
		.amdhsa_system_sgpr_workgroup_id_y 0
		.amdhsa_system_sgpr_workgroup_id_z 0
		.amdhsa_system_sgpr_workgroup_info 0
		.amdhsa_system_vgpr_workitem_id 0
		.amdhsa_next_free_vgpr 39
		.amdhsa_next_free_sgpr 36
		.amdhsa_reserve_vcc 1
		.amdhsa_float_round_mode_32 0
		.amdhsa_float_round_mode_16_64 0
		.amdhsa_float_denorm_mode_32 3
		.amdhsa_float_denorm_mode_16_64 3
		.amdhsa_dx10_clamp 1
		.amdhsa_ieee_mode 1
		.amdhsa_fp16_overflow 0
		.amdhsa_workgroup_processor_mode 1
		.amdhsa_memory_ordered 1
		.amdhsa_forward_progress 0
		.amdhsa_shared_vgpr_count 0
		.amdhsa_exception_fp_ieee_invalid_op 0
		.amdhsa_exception_fp_denorm_src 0
		.amdhsa_exception_fp_ieee_div_zero 0
		.amdhsa_exception_fp_ieee_overflow 0
		.amdhsa_exception_fp_ieee_underflow 0
		.amdhsa_exception_fp_ieee_inexact 0
		.amdhsa_exception_int_div_zero 0
	.end_amdhsa_kernel
	.section	.text._ZN2at6native12_GLOBAL__N_125multi_tensor_apply_kernelINS1_18TensorListMetadataILi1EEENS1_14UnaryOpFunctorIN3c107complexIfEELi1ELi1ELi0EEEJNS0_7SigmoidIS8_EEEEEvT_T0_DpT1_,"axG",@progbits,_ZN2at6native12_GLOBAL__N_125multi_tensor_apply_kernelINS1_18TensorListMetadataILi1EEENS1_14UnaryOpFunctorIN3c107complexIfEELi1ELi1ELi0EEEJNS0_7SigmoidIS8_EEEEEvT_T0_DpT1_,comdat
.Lfunc_end255:
	.size	_ZN2at6native12_GLOBAL__N_125multi_tensor_apply_kernelINS1_18TensorListMetadataILi1EEENS1_14UnaryOpFunctorIN3c107complexIfEELi1ELi1ELi0EEEJNS0_7SigmoidIS8_EEEEEvT_T0_DpT1_, .Lfunc_end255-_ZN2at6native12_GLOBAL__N_125multi_tensor_apply_kernelINS1_18TensorListMetadataILi1EEENS1_14UnaryOpFunctorIN3c107complexIfEELi1ELi1ELi0EEEJNS0_7SigmoidIS8_EEEEEvT_T0_DpT1_
                                        ; -- End function
	.section	.AMDGPU.csdata,"",@progbits
; Kernel info:
; codeLenInByte = 56120
; NumSgprs: 38
; NumVgprs: 39
; ScratchSize: 0
; MemoryBound: 1
; FloatMode: 240
; IeeeMode: 1
; LDSByteSize: 0 bytes/workgroup (compile time only)
; SGPRBlocks: 4
; VGPRBlocks: 4
; NumSGPRsForWavesPerEU: 38
; NumVGPRsForWavesPerEU: 39
; Occupancy: 16
; WaveLimiterHint : 0
; COMPUTE_PGM_RSRC2:SCRATCH_EN: 0
; COMPUTE_PGM_RSRC2:USER_SGPR: 15
; COMPUTE_PGM_RSRC2:TRAP_HANDLER: 0
; COMPUTE_PGM_RSRC2:TGID_X_EN: 1
; COMPUTE_PGM_RSRC2:TGID_Y_EN: 0
; COMPUTE_PGM_RSRC2:TGID_Z_EN: 0
; COMPUTE_PGM_RSRC2:TIDIG_COMP_CNT: 0
	.section	.text._ZN2at6native12_GLOBAL__N_125multi_tensor_apply_kernelINS1_18TensorListMetadataILi1EEENS1_14UnaryOpFunctorIN3c104HalfELi1ELi1ELi0EEEJNS0_7SigmoidIfEEEEEvT_T0_DpT1_,"axG",@progbits,_ZN2at6native12_GLOBAL__N_125multi_tensor_apply_kernelINS1_18TensorListMetadataILi1EEENS1_14UnaryOpFunctorIN3c104HalfELi1ELi1ELi0EEEJNS0_7SigmoidIfEEEEEvT_T0_DpT1_,comdat
	.globl	_ZN2at6native12_GLOBAL__N_125multi_tensor_apply_kernelINS1_18TensorListMetadataILi1EEENS1_14UnaryOpFunctorIN3c104HalfELi1ELi1ELi0EEEJNS0_7SigmoidIfEEEEEvT_T0_DpT1_ ; -- Begin function _ZN2at6native12_GLOBAL__N_125multi_tensor_apply_kernelINS1_18TensorListMetadataILi1EEENS1_14UnaryOpFunctorIN3c104HalfELi1ELi1ELi0EEEJNS0_7SigmoidIfEEEEEvT_T0_DpT1_
	.p2align	8
	.type	_ZN2at6native12_GLOBAL__N_125multi_tensor_apply_kernelINS1_18TensorListMetadataILi1EEENS1_14UnaryOpFunctorIN3c104HalfELi1ELi1ELi0EEEJNS0_7SigmoidIfEEEEEvT_T0_DpT1_,@function
_ZN2at6native12_GLOBAL__N_125multi_tensor_apply_kernelINS1_18TensorListMetadataILi1EEENS1_14UnaryOpFunctorIN3c104HalfELi1ELi1ELi0EEEJNS0_7SigmoidIfEEEEEvT_T0_DpT1_: ; @_ZN2at6native12_GLOBAL__N_125multi_tensor_apply_kernelINS1_18TensorListMetadataILi1EEENS1_14UnaryOpFunctorIN3c104HalfELi1ELi1ELi0EEEJNS0_7SigmoidIfEEEEEvT_T0_DpT1_
; %bb.0:
	v_mov_b32_e32 v1, s15
	s_add_u32 s2, s0, s15
	s_mul_hi_u32 s3, s15, 3
	s_mul_i32 s15, s15, 3
	s_addc_u32 s4, s1, 0
	global_load_u8 v1, v1, s[0:1] offset:1760
	s_add_u32 s2, s2, s15
	s_addc_u32 s3, s4, s3
	s_mov_b32 s13, 0
	s_load_b32 s2, s[2:3], 0x820
	s_waitcnt vmcnt(0)
	v_readfirstlane_b32 s5, v1
	s_delay_alu instid0(VALU_DEP_1)
	s_lshl_b32 s3, s5, 3
	s_clause 0x2
	s_load_b64 s[8:9], s[0:1], s3 offset:0x0
	s_load_b64 s[4:5], s[0:1], s3 offset:0x370
	s_load_b32 s16, s[0:1], 0xd2c
	s_waitcnt lgkmcnt(0)
	s_ashr_i32 s3, s2, 31
	s_delay_alu instid0(SALU_CYCLE_1)
	s_lshl_b64 s[10:11], s[2:3], 17
	s_lshl_b64 s[2:3], s[2:3], 16
	s_and_b32 s12, s8, 7
	s_sub_u32 s6, s4, s2
	s_subb_u32 s7, s5, s3
	s_and_b32 s2, s4, 3
	s_mov_b32 s3, s13
	s_delay_alu instid0(SALU_CYCLE_1) | instskip(NEXT) | instid1(SALU_CYCLE_1)
	s_or_b64 s[2:3], s[12:13], s[2:3]
	s_cmp_eq_u64 s[2:3], 0
	s_cbranch_scc1 .LBB256_21
; %bb.1:
	v_cmp_lt_i64_e64 s2, s[6:7], 1
	s_delay_alu instid0(VALU_DEP_1)
	s_and_b32 vcc_lo, exec_lo, s2
	s_cbranch_vccnz .LBB256_20
; %bb.2:
	s_load_b32 s2, s[0:1], 0xd3c
	v_cmp_gt_u64_e64 s3, 0x10000, s[6:7]
	v_lshlrev_b32_e32 v1, 1, v0
	s_mov_b32 s20, 0x3fb8aa3b
	s_mov_b32 s21, 0x32a5705f
	s_waitcnt lgkmcnt(0)
	s_and_b32 s2, s2, 0xffff
	s_and_b32 s3, s3, exec_lo
	v_add_co_u32 v5, s5, v0, s2
	s_cselect_b32 s13, s7, 0
	s_cselect_b32 s12, s6, 0x10000
	s_lshl_b32 s3, s2, 1
	s_mul_i32 s4, s2, 3
	s_lshl_b32 s17, s2, 2
	v_add_co_ci_u32_e64 v6, null, 0, 0, s5
	s_add_u32 s5, s8, s10
	s_mul_i32 s18, s2, 6
	s_addc_u32 s14, s9, s11
	s_lshl_b32 s19, s2, 3
	v_add_co_u32 v7, s2, s4, v0
	v_lshlrev_b32_e32 v3, 1, v5
	v_add_co_ci_u32_e64 v8, null, 0, 0, s2
	v_add_co_u32 v9, s2, s3, v0
	s_delay_alu instid0(VALU_DEP_1) | instskip(SKIP_1) | instid1(VALU_DEP_1)
	v_add_co_ci_u32_e64 v10, null, 0, 0, s2
	v_add_co_u32 v1, s2, s5, v1
	v_add_co_ci_u32_e64 v2, null, s14, 0, s2
	v_add_co_u32 v3, s2, s5, v3
	s_delay_alu instid0(VALU_DEP_1)
	v_add_co_ci_u32_e64 v4, null, s14, 0, s2
	s_mov_b64 s[14:15], 0
	s_branch .LBB256_4
.LBB256_3:                              ;   in Loop: Header=BB256_4 Depth=1
	s_or_b32 exec_lo, exec_lo, s3
	s_add_u32 s14, s14, s17
	s_addc_u32 s15, s15, 0
	v_add_co_u32 v1, vcc_lo, v1, s19
	v_cmp_lt_i64_e64 s2, s[14:15], s[6:7]
	v_cmp_gt_u64_e64 s3, 0x10000, s[14:15]
	v_add_co_ci_u32_e32 v2, vcc_lo, 0, v2, vcc_lo
	v_add_co_u32 v3, vcc_lo, v3, s19
	v_add_co_ci_u32_e32 v4, vcc_lo, 0, v4, vcc_lo
	s_delay_alu instid0(VALU_DEP_4) | instskip(NEXT) | instid1(SALU_CYCLE_1)
	s_and_b32 s2, s2, s3
	s_and_b32 vcc_lo, exec_lo, s2
	s_cbranch_vccz .LBB256_20
.LBB256_4:                              ; =>This Inner Loop Header: Depth=1
	s_waitcnt vmcnt(0)
	v_add_co_u32 v11, s2, v0, s14
	s_delay_alu instid0(VALU_DEP_1) | instskip(SKIP_1) | instid1(VALU_DEP_2)
	v_add_co_ci_u32_e64 v12, null, 0, s15, s2
	v_mov_b32_e32 v14, 0
	v_cmp_gt_u64_e32 vcc_lo, s[12:13], v[11:12]
	s_and_saveexec_b32 s2, vcc_lo
	s_cbranch_execz .LBB256_6
; %bb.5:                                ;   in Loop: Header=BB256_4 Depth=1
	global_load_u16 v14, v[1:2], off
.LBB256_6:                              ;   in Loop: Header=BB256_4 Depth=1
	s_or_b32 exec_lo, exec_lo, s2
	v_add_co_u32 v11, s2, v5, s14
	s_delay_alu instid0(VALU_DEP_1) | instskip(SKIP_1) | instid1(VALU_DEP_2)
	v_add_co_ci_u32_e64 v12, s2, s15, v6, s2
	v_mov_b32_e32 v13, 0
	v_cmp_gt_u64_e64 s4, s[12:13], v[11:12]
	s_delay_alu instid0(VALU_DEP_1)
	s_and_saveexec_b32 s2, s4
	s_cbranch_execz .LBB256_8
; %bb.7:                                ;   in Loop: Header=BB256_4 Depth=1
	global_load_u16 v13, v[3:4], off
.LBB256_8:                              ;   in Loop: Header=BB256_4 Depth=1
	s_or_b32 exec_lo, exec_lo, s2
	v_add_co_u32 v11, s2, v9, s14
	s_delay_alu instid0(VALU_DEP_1) | instskip(NEXT) | instid1(VALU_DEP_1)
	v_add_co_ci_u32_e64 v12, s2, s15, v10, s2
	v_cmp_gt_u64_e64 s3, s[12:13], v[11:12]
	v_dual_mov_b32 v11, 0 :: v_dual_mov_b32 v12, 0
	s_delay_alu instid0(VALU_DEP_2)
	s_and_saveexec_b32 s5, s3
	s_cbranch_execz .LBB256_10
; %bb.9:                                ;   in Loop: Header=BB256_4 Depth=1
	v_add_co_u32 v15, s2, v1, s17
	s_delay_alu instid0(VALU_DEP_1)
	v_add_co_ci_u32_e64 v16, s2, 0, v2, s2
	global_load_u16 v12, v[15:16], off
.LBB256_10:                             ;   in Loop: Header=BB256_4 Depth=1
	s_or_b32 exec_lo, exec_lo, s5
	v_add_co_u32 v15, s2, v7, s14
	s_delay_alu instid0(VALU_DEP_1) | instskip(NEXT) | instid1(VALU_DEP_1)
	v_add_co_ci_u32_e64 v16, s2, s15, v8, s2
	v_cmp_gt_u64_e64 s2, s[12:13], v[15:16]
	s_delay_alu instid0(VALU_DEP_1)
	s_and_saveexec_b32 s22, s2
	s_cbranch_execnz .LBB256_15
; %bb.11:                               ;   in Loop: Header=BB256_4 Depth=1
	s_or_b32 exec_lo, exec_lo, s22
	s_and_saveexec_b32 s5, vcc_lo
	s_cbranch_execnz .LBB256_16
.LBB256_12:                             ;   in Loop: Header=BB256_4 Depth=1
	s_or_b32 exec_lo, exec_lo, s5
	s_and_saveexec_b32 s5, s4
	s_cbranch_execnz .LBB256_17
.LBB256_13:                             ;   in Loop: Header=BB256_4 Depth=1
	s_or_b32 exec_lo, exec_lo, s5
	s_and_saveexec_b32 s4, s3
	s_cbranch_execnz .LBB256_18
.LBB256_14:                             ;   in Loop: Header=BB256_4 Depth=1
	s_or_b32 exec_lo, exec_lo, s4
	s_and_saveexec_b32 s3, s2
	s_cbranch_execz .LBB256_3
	s_branch .LBB256_19
.LBB256_15:                             ;   in Loop: Header=BB256_4 Depth=1
	v_add_co_u32 v15, s5, v1, s18
	s_delay_alu instid0(VALU_DEP_1)
	v_add_co_ci_u32_e64 v16, s5, 0, v2, s5
	global_load_u16 v11, v[15:16], off
	s_or_b32 exec_lo, exec_lo, s22
	s_and_saveexec_b32 s5, vcc_lo
	s_cbranch_execz .LBB256_12
.LBB256_16:                             ;   in Loop: Header=BB256_4 Depth=1
	s_waitcnt vmcnt(0)
	v_cvt_f32_f16_e64 v15, -v14
	s_delay_alu instid0(VALU_DEP_1) | instskip(SKIP_1) | instid1(VALU_DEP_2)
	v_mul_f32_e32 v16, 0x3fb8aa3b, v15
	v_cmp_ngt_f32_e32 vcc_lo, 0xc2ce8ed0, v15
	v_rndne_f32_e32 v17, v16
	v_fma_mix_f32 v18, -v14, s20, -v16 op_sel_hi:[1,0,0]
	s_delay_alu instid0(VALU_DEP_2) | instskip(NEXT) | instid1(VALU_DEP_2)
	v_sub_f32_e32 v16, v16, v17
	v_fma_mix_f32 v14, -v14, s21, v18 op_sel_hi:[1,0,0]
	s_delay_alu instid0(VALU_DEP_1) | instskip(SKIP_1) | instid1(VALU_DEP_2)
	v_add_f32_e32 v14, v16, v14
	v_cvt_i32_f32_e32 v16, v17
	v_exp_f32_e32 v14, v14
	s_waitcnt_depctr 0xfff
	v_ldexp_f32 v14, v14, v16
	s_delay_alu instid0(VALU_DEP_1) | instskip(SKIP_1) | instid1(VALU_DEP_2)
	v_cndmask_b32_e32 v14, 0, v14, vcc_lo
	v_cmp_nlt_f32_e32 vcc_lo, 0x42b17218, v15
	v_cndmask_b32_e32 v14, 0x7f800000, v14, vcc_lo
	s_delay_alu instid0(VALU_DEP_1) | instskip(NEXT) | instid1(VALU_DEP_1)
	v_add_f32_e32 v14, s16, v14
	v_div_scale_f32 v15, null, v14, v14, s16
	s_delay_alu instid0(VALU_DEP_1) | instskip(SKIP_2) | instid1(VALU_DEP_1)
	v_rcp_f32_e32 v16, v15
	s_waitcnt_depctr 0xfff
	v_fma_f32 v17, -v15, v16, 1.0
	v_fmac_f32_e32 v16, v17, v16
	v_div_scale_f32 v17, vcc_lo, s16, v14, s16
	s_delay_alu instid0(VALU_DEP_1) | instskip(NEXT) | instid1(VALU_DEP_1)
	v_mul_f32_e32 v18, v17, v16
	v_fma_f32 v19, -v15, v18, v17
	s_delay_alu instid0(VALU_DEP_1) | instskip(NEXT) | instid1(VALU_DEP_1)
	v_fmac_f32_e32 v18, v19, v16
	v_fma_f32 v15, -v15, v18, v17
	s_delay_alu instid0(VALU_DEP_1) | instskip(NEXT) | instid1(VALU_DEP_1)
	v_div_fmas_f32 v15, v15, v16, v18
	v_div_fixup_f32 v14, v15, v14, s16
	s_delay_alu instid0(VALU_DEP_1)
	v_cvt_f16_f32_e32 v14, v14
	global_store_b16 v[1:2], v14, off
	s_or_b32 exec_lo, exec_lo, s5
	s_and_saveexec_b32 s5, s4
	s_cbranch_execz .LBB256_13
.LBB256_17:                             ;   in Loop: Header=BB256_4 Depth=1
	s_waitcnt vmcnt(0)
	v_cvt_f32_f16_e64 v14, -v13
	s_delay_alu instid0(VALU_DEP_1) | instskip(SKIP_1) | instid1(VALU_DEP_2)
	v_mul_f32_e32 v15, 0x3fb8aa3b, v14
	v_cmp_ngt_f32_e32 vcc_lo, 0xc2ce8ed0, v14
	v_rndne_f32_e32 v16, v15
	v_fma_mix_f32 v17, -v13, s20, -v15 op_sel_hi:[1,0,0]
	s_delay_alu instid0(VALU_DEP_2) | instskip(NEXT) | instid1(VALU_DEP_2)
	v_sub_f32_e32 v15, v15, v16
	v_fma_mix_f32 v13, -v13, s21, v17 op_sel_hi:[1,0,0]
	s_delay_alu instid0(VALU_DEP_1) | instskip(SKIP_1) | instid1(VALU_DEP_2)
	v_add_f32_e32 v13, v15, v13
	v_cvt_i32_f32_e32 v15, v16
	v_exp_f32_e32 v13, v13
	s_waitcnt_depctr 0xfff
	v_ldexp_f32 v13, v13, v15
	s_delay_alu instid0(VALU_DEP_1) | instskip(SKIP_1) | instid1(VALU_DEP_2)
	v_cndmask_b32_e32 v13, 0, v13, vcc_lo
	v_cmp_nlt_f32_e32 vcc_lo, 0x42b17218, v14
	v_cndmask_b32_e32 v13, 0x7f800000, v13, vcc_lo
	s_delay_alu instid0(VALU_DEP_1) | instskip(NEXT) | instid1(VALU_DEP_1)
	v_add_f32_e32 v13, s16, v13
	v_div_scale_f32 v14, null, v13, v13, s16
	s_delay_alu instid0(VALU_DEP_1) | instskip(SKIP_2) | instid1(VALU_DEP_1)
	v_rcp_f32_e32 v15, v14
	s_waitcnt_depctr 0xfff
	v_fma_f32 v16, -v14, v15, 1.0
	v_fmac_f32_e32 v15, v16, v15
	v_div_scale_f32 v16, vcc_lo, s16, v13, s16
	s_delay_alu instid0(VALU_DEP_1) | instskip(NEXT) | instid1(VALU_DEP_1)
	v_mul_f32_e32 v17, v16, v15
	v_fma_f32 v18, -v14, v17, v16
	s_delay_alu instid0(VALU_DEP_1) | instskip(NEXT) | instid1(VALU_DEP_1)
	v_fmac_f32_e32 v17, v18, v15
	v_fma_f32 v14, -v14, v17, v16
	s_delay_alu instid0(VALU_DEP_1) | instskip(NEXT) | instid1(VALU_DEP_1)
	v_div_fmas_f32 v14, v14, v15, v17
	v_div_fixup_f32 v13, v14, v13, s16
	s_delay_alu instid0(VALU_DEP_1)
	v_cvt_f16_f32_e32 v13, v13
	global_store_b16 v[3:4], v13, off
	s_or_b32 exec_lo, exec_lo, s5
	s_and_saveexec_b32 s4, s3
	s_cbranch_execz .LBB256_14
.LBB256_18:                             ;   in Loop: Header=BB256_4 Depth=1
	s_waitcnt vmcnt(0)
	v_cvt_f32_f16_e64 v13, -v12
	s_delay_alu instid0(VALU_DEP_1) | instskip(SKIP_1) | instid1(VALU_DEP_2)
	v_mul_f32_e32 v14, 0x3fb8aa3b, v13
	v_cmp_ngt_f32_e32 vcc_lo, 0xc2ce8ed0, v13
	v_rndne_f32_e32 v15, v14
	v_fma_mix_f32 v16, -v12, s20, -v14 op_sel_hi:[1,0,0]
	s_delay_alu instid0(VALU_DEP_2) | instskip(NEXT) | instid1(VALU_DEP_2)
	v_sub_f32_e32 v14, v14, v15
	v_fma_mix_f32 v12, -v12, s21, v16 op_sel_hi:[1,0,0]
	s_delay_alu instid0(VALU_DEP_1) | instskip(SKIP_1) | instid1(VALU_DEP_2)
	v_add_f32_e32 v12, v14, v12
	v_cvt_i32_f32_e32 v14, v15
	v_exp_f32_e32 v12, v12
	s_waitcnt_depctr 0xfff
	v_ldexp_f32 v12, v12, v14
	s_delay_alu instid0(VALU_DEP_1) | instskip(SKIP_1) | instid1(VALU_DEP_2)
	v_cndmask_b32_e32 v12, 0, v12, vcc_lo
	v_cmp_nlt_f32_e32 vcc_lo, 0x42b17218, v13
	v_cndmask_b32_e32 v12, 0x7f800000, v12, vcc_lo
	s_delay_alu instid0(VALU_DEP_1) | instskip(NEXT) | instid1(VALU_DEP_1)
	v_add_f32_e32 v12, s16, v12
	v_div_scale_f32 v13, null, v12, v12, s16
	v_div_scale_f32 v16, vcc_lo, s16, v12, s16
	s_delay_alu instid0(VALU_DEP_2) | instskip(SKIP_2) | instid1(VALU_DEP_1)
	v_rcp_f32_e32 v14, v13
	s_waitcnt_depctr 0xfff
	v_fma_f32 v15, -v13, v14, 1.0
	v_fmac_f32_e32 v14, v15, v14
	s_delay_alu instid0(VALU_DEP_1) | instskip(NEXT) | instid1(VALU_DEP_1)
	v_mul_f32_e32 v15, v16, v14
	v_fma_f32 v17, -v13, v15, v16
	s_delay_alu instid0(VALU_DEP_1) | instskip(NEXT) | instid1(VALU_DEP_1)
	v_fmac_f32_e32 v15, v17, v14
	v_fma_f32 v13, -v13, v15, v16
	s_delay_alu instid0(VALU_DEP_1) | instskip(NEXT) | instid1(VALU_DEP_1)
	v_div_fmas_f32 v13, v13, v14, v15
	v_div_fixup_f32 v12, v13, v12, s16
	s_delay_alu instid0(VALU_DEP_1)
	v_cvt_f16_f32_e32 v14, v12
	v_add_co_u32 v12, vcc_lo, v1, s17
	v_add_co_ci_u32_e32 v13, vcc_lo, 0, v2, vcc_lo
	global_store_b16 v[12:13], v14, off
	s_or_b32 exec_lo, exec_lo, s4
	s_and_saveexec_b32 s3, s2
	s_cbranch_execz .LBB256_3
.LBB256_19:                             ;   in Loop: Header=BB256_4 Depth=1
	s_waitcnt vmcnt(0)
	v_cvt_f32_f16_e64 v12, -v11
	s_delay_alu instid0(VALU_DEP_1) | instskip(SKIP_1) | instid1(VALU_DEP_2)
	v_mul_f32_e32 v13, 0x3fb8aa3b, v12
	v_cmp_ngt_f32_e32 vcc_lo, 0xc2ce8ed0, v12
	v_rndne_f32_e32 v14, v13
	v_fma_mix_f32 v15, -v11, s20, -v13 op_sel_hi:[1,0,0]
	s_delay_alu instid0(VALU_DEP_2) | instskip(NEXT) | instid1(VALU_DEP_2)
	v_sub_f32_e32 v13, v13, v14
	v_fma_mix_f32 v11, -v11, s21, v15 op_sel_hi:[1,0,0]
	s_delay_alu instid0(VALU_DEP_1) | instskip(SKIP_1) | instid1(VALU_DEP_2)
	v_add_f32_e32 v11, v13, v11
	v_cvt_i32_f32_e32 v13, v14
	v_exp_f32_e32 v11, v11
	s_waitcnt_depctr 0xfff
	v_ldexp_f32 v11, v11, v13
	s_delay_alu instid0(VALU_DEP_1) | instskip(SKIP_1) | instid1(VALU_DEP_2)
	v_cndmask_b32_e32 v11, 0, v11, vcc_lo
	v_cmp_nlt_f32_e32 vcc_lo, 0x42b17218, v12
	v_cndmask_b32_e32 v11, 0x7f800000, v11, vcc_lo
	s_delay_alu instid0(VALU_DEP_1) | instskip(NEXT) | instid1(VALU_DEP_1)
	v_add_f32_e32 v11, s16, v11
	v_div_scale_f32 v12, null, v11, v11, s16
	v_div_scale_f32 v15, vcc_lo, s16, v11, s16
	s_delay_alu instid0(VALU_DEP_2) | instskip(SKIP_2) | instid1(VALU_DEP_1)
	v_rcp_f32_e32 v13, v12
	s_waitcnt_depctr 0xfff
	v_fma_f32 v14, -v12, v13, 1.0
	v_fmac_f32_e32 v13, v14, v13
	s_delay_alu instid0(VALU_DEP_1) | instskip(NEXT) | instid1(VALU_DEP_1)
	v_mul_f32_e32 v14, v15, v13
	v_fma_f32 v16, -v12, v14, v15
	s_delay_alu instid0(VALU_DEP_1) | instskip(NEXT) | instid1(VALU_DEP_1)
	v_fmac_f32_e32 v14, v16, v13
	v_fma_f32 v12, -v12, v14, v15
	s_delay_alu instid0(VALU_DEP_1) | instskip(NEXT) | instid1(VALU_DEP_1)
	v_div_fmas_f32 v12, v12, v13, v14
	v_div_fixup_f32 v11, v12, v11, s16
	s_delay_alu instid0(VALU_DEP_1)
	v_cvt_f16_f32_e32 v13, v11
	v_add_co_u32 v11, vcc_lo, v1, s18
	v_add_co_ci_u32_e32 v12, vcc_lo, 0, v2, vcc_lo
	global_store_b16 v[11:12], v13, off
	s_branch .LBB256_3
.LBB256_20:
	s_cbranch_execz .LBB256_22
	s_branch .LBB256_25
.LBB256_21:
.LBB256_22:
	v_dual_mov_b32 v2, 0 :: v_dual_lshlrev_b32 v1, 2, v0
	s_mov_b32 s3, 0
	s_mov_b32 s2, exec_lo
	s_delay_alu instid0(VALU_DEP_1)
	v_cmpx_gt_i64_e64 s[6:7], v[1:2]
	s_cbranch_execz .LBB256_25
; %bb.23:
	s_load_b32 s0, s[0:1], 0xd3c
	v_lshlrev_b32_e32 v1, 3, v0
	s_waitcnt lgkmcnt(0)
	s_and_b32 s0, s0, 0xffff
	s_delay_alu instid0(SALU_CYCLE_1) | instskip(SKIP_3) | instid1(VALU_DEP_1)
	s_lshl_b32 s4, s0, 2
	s_add_u32 s1, s8, s10
	s_addc_u32 s2, s9, s11
	v_add_co_u32 v3, s1, s1, v1
	v_add_co_ci_u32_e64 v4, null, s2, 0, s1
	v_add_lshl_u32 v1, v0, s0, 2
	s_delay_alu instid0(VALU_DEP_3) | instskip(NEXT) | instid1(VALU_DEP_3)
	v_add_co_u32 v3, vcc_lo, v3, 4
	v_add_co_ci_u32_e32 v4, vcc_lo, 0, v4, vcc_lo
	s_lshl_b32 s5, s0, 3
	s_mov_b32 s8, 0x3fb8aa3b
	s_mov_b32 s9, 0x32a5705f
.LBB256_24:                             ; =>This Inner Loop Header: Depth=1
	global_load_b64 v[5:6], v[3:4], off offset:-4
	s_waitcnt vmcnt(0)
	v_cvt_f32_f16_e64 v0, -v5
	v_lshrrev_b32_e32 v9, 16, v6
	v_lshrrev_b32_e32 v7, 16, v5
	v_cvt_f32_f16_e64 v8, -v6
	s_delay_alu instid0(VALU_DEP_4) | instskip(NEXT) | instid1(VALU_DEP_4)
	v_cmp_ngt_f32_e32 vcc_lo, 0xc2ce8ed0, v0
	v_cvt_f32_f16_e64 v9, -v9
	v_mul_f32_e32 v10, 0x3fb8aa3b, v0
	v_cvt_f32_f16_e64 v7, -v7
	v_mul_f32_e32 v11, 0x3fb8aa3b, v8
	s_delay_alu instid0(VALU_DEP_4) | instskip(NEXT) | instid1(VALU_DEP_4)
	v_mul_f32_e32 v17, 0x3fb8aa3b, v9
	v_rndne_f32_e32 v12, v10
	s_delay_alu instid0(VALU_DEP_4)
	v_mul_f32_e32 v14, 0x3fb8aa3b, v7
	v_fma_mix_f32 v13, -v5, s8, -v10 op_sel_hi:[1,0,0]
	v_rndne_f32_e32 v15, v11
	v_fma_mix_f32 v16, -v6, s8, -v11 op_sel_hi:[1,0,0]
	v_sub_f32_e32 v10, v10, v12
	v_rndne_f32_e32 v18, v14
	v_fma_mix_f32 v13, -v5, s9, v13 op_sel_hi:[1,0,0]
	v_sub_f32_e32 v11, v11, v15
	v_fma_mix_f32 v16, -v6, s9, v16 op_sel_hi:[1,0,0]
	v_fma_mix_f32 v19, -v5, s8, -v14 op_sel:[1,0,0] op_sel_hi:[1,0,0]
	v_rndne_f32_e32 v20, v17
	v_add_f32_e32 v10, v10, v13
	v_fma_mix_f32 v21, -v6, s8, -v17 op_sel:[1,0,0] op_sel_hi:[1,0,0]
	v_add_f32_e32 v11, v11, v16
	s_delay_alu instid0(VALU_DEP_4) | instskip(NEXT) | instid1(VALU_DEP_4)
	v_dual_sub_f32 v13, v14, v18 :: v_dual_sub_f32 v14, v17, v20
	v_exp_f32_e32 v10, v10
	v_fma_mix_f32 v5, -v5, s9, v19 op_sel:[1,0,0] op_sel_hi:[1,0,0]
	s_delay_alu instid0(VALU_DEP_3) | instskip(SKIP_2) | instid1(VALU_DEP_3)
	v_exp_f32_e32 v11, v11
	v_cvt_i32_f32_e32 v12, v12
	v_fma_mix_f32 v6, -v6, s9, v21 op_sel:[1,0,0] op_sel_hi:[1,0,0]
	v_add_f32_e32 v5, v13, v5
	v_cvt_i32_f32_e32 v13, v15
	s_delay_alu instid0(VALU_DEP_3) | instskip(NEXT) | instid1(TRANS32_DEP_2)
	v_add_f32_e32 v6, v14, v6
	v_ldexp_f32 v10, v10, v12
	s_delay_alu instid0(VALU_DEP_4)
	v_exp_f32_e32 v5, v5
	s_delay_alu instid0(TRANS32_DEP_2) | instid1(VALU_DEP_3)
	v_ldexp_f32 v11, v11, v13
	v_cvt_i32_f32_e32 v12, v18
	v_exp_f32_e32 v6, v6
	v_cndmask_b32_e32 v10, 0, v10, vcc_lo
	v_cmp_ngt_f32_e32 vcc_lo, 0xc2ce8ed0, v8
	v_cvt_i32_f32_e32 v14, v20
	v_cndmask_b32_e32 v11, 0, v11, vcc_lo
	v_cmp_nlt_f32_e32 vcc_lo, 0x42b17218, v0
	s_delay_alu instid0(TRANS32_DEP_2)
	v_ldexp_f32 v5, v5, v12
	s_delay_alu instid0(TRANS32_DEP_1) | instid1(VALU_DEP_4)
	v_ldexp_f32 v6, v6, v14
	v_cndmask_b32_e32 v0, 0x7f800000, v10, vcc_lo
	v_cmp_ngt_f32_e32 vcc_lo, 0xc2ce8ed0, v7
	s_delay_alu instid0(VALU_DEP_4)
	v_cndmask_b32_e32 v5, 0, v5, vcc_lo
	v_cmp_nlt_f32_e32 vcc_lo, 0x42b17218, v8
	v_cndmask_b32_e32 v8, 0x7f800000, v11, vcc_lo
	v_cmp_ngt_f32_e32 vcc_lo, 0xc2ce8ed0, v9
	v_cndmask_b32_e32 v6, 0, v6, vcc_lo
	v_cmp_nlt_f32_e32 vcc_lo, 0x42b17218, v7
	v_cndmask_b32_e32 v5, 0x7f800000, v5, vcc_lo
	v_cmp_nlt_f32_e32 vcc_lo, 0x42b17218, v9
	s_delay_alu instid0(VALU_DEP_4) | instskip(NEXT) | instid1(VALU_DEP_1)
	v_cndmask_b32_e32 v6, 0x7f800000, v6, vcc_lo
	v_dual_add_f32 v7, s16, v8 :: v_dual_add_f32 v6, s16, v6
	s_delay_alu instid0(VALU_DEP_1) | instskip(SKIP_1) | instid1(VALU_DEP_3)
	v_div_scale_f32 v9, null, v7, v7, s16
	v_div_scale_f32 v17, s0, s16, v7, s16
	v_div_scale_f32 v13, null, v6, v6, s16
	s_delay_alu instid0(VALU_DEP_3) | instskip(NEXT) | instid1(VALU_DEP_1)
	v_rcp_f32_e32 v12, v9
	v_rcp_f32_e32 v16, v13
	s_waitcnt_depctr 0xfff
	v_fma_f32 v19, -v9, v12, 1.0
	s_delay_alu instid0(VALU_DEP_1) | instskip(SKIP_2) | instid1(VALU_DEP_3)
	v_fmac_f32_e32 v12, v19, v12
	v_dual_add_f32 v0, s16, v0 :: v_dual_add_f32 v5, s16, v5
	v_div_scale_f32 v19, s2, s16, v6, s16
	v_mul_f32_e32 v22, v17, v12
	s_delay_alu instid0(VALU_DEP_3) | instskip(NEXT) | instid1(VALU_DEP_4)
	v_div_scale_f32 v8, null, v0, v0, s16
	v_div_scale_f32 v10, null, v5, v5, s16
	v_div_scale_f32 v15, vcc_lo, s16, v0, s16
	s_delay_alu instid0(VALU_DEP_3) | instskip(NEXT) | instid1(VALU_DEP_2)
	v_rcp_f32_e32 v11, v8
	v_rcp_f32_e32 v14, v10
	v_div_scale_f32 v21, s1, s16, v5, s16
	v_fma_f32 v24, -v9, v22, v17
	s_delay_alu instid0(VALU_DEP_1) | instskip(SKIP_4) | instid1(VALU_DEP_3)
	v_fmac_f32_e32 v22, v24, v12
	s_waitcnt_depctr 0xfff
	v_fma_f32 v18, -v8, v11, 1.0
	v_fma_f32 v20, -v10, v14, 1.0
	v_fma_f32 v9, -v9, v22, v17
	v_fmac_f32_e32 v11, v18, v11
	v_fma_f32 v18, -v13, v16, 1.0
	s_delay_alu instid0(VALU_DEP_4) | instskip(NEXT) | instid1(VALU_DEP_3)
	v_fmac_f32_e32 v14, v20, v14
	v_mul_f32_e32 v20, v15, v11
	s_delay_alu instid0(VALU_DEP_3) | instskip(NEXT) | instid1(VALU_DEP_3)
	v_fmac_f32_e32 v16, v18, v16
	v_mul_f32_e32 v18, v21, v14
	s_delay_alu instid0(VALU_DEP_3) | instskip(NEXT) | instid1(VALU_DEP_3)
	v_fma_f32 v23, -v8, v20, v15
	v_mul_f32_e32 v25, v19, v16
	s_delay_alu instid0(VALU_DEP_3) | instskip(NEXT) | instid1(VALU_DEP_3)
	v_fma_f32 v26, -v10, v18, v21
	v_fmac_f32_e32 v20, v23, v11
	s_delay_alu instid0(VALU_DEP_3) | instskip(NEXT) | instid1(VALU_DEP_3)
	v_fma_f32 v23, -v13, v25, v19
	v_fmac_f32_e32 v18, v26, v14
	;; [unrolled: 3-line block ×3, first 2 shown]
	s_delay_alu instid0(VALU_DEP_3) | instskip(NEXT) | instid1(VALU_DEP_3)
	v_fma_f32 v10, -v10, v18, v21
	v_div_fmas_f32 v8, v8, v11, v20
	s_mov_b32 vcc_lo, s1
	s_delay_alu instid0(VALU_DEP_3) | instskip(NEXT) | instid1(VALU_DEP_3)
	v_fma_f32 v11, -v13, v25, v19
	v_div_fmas_f32 v10, v10, v14, v18
	s_mov_b32 vcc_lo, s0
	v_div_fixup_f32 v0, v8, v0, s16
	v_div_fmas_f32 v9, v9, v12, v22
	s_mov_b32 vcc_lo, s2
	v_div_fixup_f32 v5, v10, v5, s16
	v_div_fmas_f32 v11, v11, v16, v25
	v_cvt_f16_f32_e32 v0, v0
	v_div_fixup_f32 v7, v9, v7, s16
	v_cmp_le_i64_e32 vcc_lo, s[6:7], v[1:2]
	v_cvt_f16_f32_e32 v5, v5
	v_div_fixup_f32 v6, v11, v6, s16
	v_cmp_lt_u64_e64 s0, 0xffff, v[1:2]
	v_cvt_f16_f32_e32 v7, v7
	v_add_co_u32 v1, s1, v1, s4
	s_delay_alu instid0(VALU_DEP_4) | instskip(SKIP_3) | instid1(VALU_DEP_3)
	v_cvt_f16_f32_e32 v6, v6
	v_pack_b32_f16 v5, v0, v5
	s_or_b32 s0, vcc_lo, s0
	v_add_co_ci_u32_e64 v2, s1, 0, v2, s1
	v_pack_b32_f16 v6, v7, v6
	s_and_b32 s0, exec_lo, s0
	s_delay_alu instid0(SALU_CYCLE_1)
	s_or_b32 s3, s0, s3
	global_store_b64 v[3:4], v[5:6], off offset:-4
	v_add_co_u32 v3, vcc_lo, v3, s5
	v_add_co_ci_u32_e32 v4, vcc_lo, 0, v4, vcc_lo
	s_and_not1_b32 exec_lo, exec_lo, s3
	s_cbranch_execnz .LBB256_24
.LBB256_25:
	s_nop 0
	s_sendmsg sendmsg(MSG_DEALLOC_VGPRS)
	s_endpgm
	.section	.rodata,"a",@progbits
	.p2align	6, 0x0
	.amdhsa_kernel _ZN2at6native12_GLOBAL__N_125multi_tensor_apply_kernelINS1_18TensorListMetadataILi1EEENS1_14UnaryOpFunctorIN3c104HalfELi1ELi1ELi0EEEJNS0_7SigmoidIfEEEEEvT_T0_DpT1_
		.amdhsa_group_segment_fixed_size 0
		.amdhsa_private_segment_fixed_size 0
		.amdhsa_kernarg_size 3632
		.amdhsa_user_sgpr_count 15
		.amdhsa_user_sgpr_dispatch_ptr 0
		.amdhsa_user_sgpr_queue_ptr 0
		.amdhsa_user_sgpr_kernarg_segment_ptr 1
		.amdhsa_user_sgpr_dispatch_id 0
		.amdhsa_user_sgpr_private_segment_size 0
		.amdhsa_wavefront_size32 1
		.amdhsa_uses_dynamic_stack 0
		.amdhsa_enable_private_segment 0
		.amdhsa_system_sgpr_workgroup_id_x 1
		.amdhsa_system_sgpr_workgroup_id_y 0
		.amdhsa_system_sgpr_workgroup_id_z 0
		.amdhsa_system_sgpr_workgroup_info 0
		.amdhsa_system_vgpr_workitem_id 0
		.amdhsa_next_free_vgpr 27
		.amdhsa_next_free_sgpr 23
		.amdhsa_reserve_vcc 1
		.amdhsa_float_round_mode_32 0
		.amdhsa_float_round_mode_16_64 0
		.amdhsa_float_denorm_mode_32 3
		.amdhsa_float_denorm_mode_16_64 3
		.amdhsa_dx10_clamp 1
		.amdhsa_ieee_mode 1
		.amdhsa_fp16_overflow 0
		.amdhsa_workgroup_processor_mode 1
		.amdhsa_memory_ordered 1
		.amdhsa_forward_progress 0
		.amdhsa_shared_vgpr_count 0
		.amdhsa_exception_fp_ieee_invalid_op 0
		.amdhsa_exception_fp_denorm_src 0
		.amdhsa_exception_fp_ieee_div_zero 0
		.amdhsa_exception_fp_ieee_overflow 0
		.amdhsa_exception_fp_ieee_underflow 0
		.amdhsa_exception_fp_ieee_inexact 0
		.amdhsa_exception_int_div_zero 0
	.end_amdhsa_kernel
	.section	.text._ZN2at6native12_GLOBAL__N_125multi_tensor_apply_kernelINS1_18TensorListMetadataILi1EEENS1_14UnaryOpFunctorIN3c104HalfELi1ELi1ELi0EEEJNS0_7SigmoidIfEEEEEvT_T0_DpT1_,"axG",@progbits,_ZN2at6native12_GLOBAL__N_125multi_tensor_apply_kernelINS1_18TensorListMetadataILi1EEENS1_14UnaryOpFunctorIN3c104HalfELi1ELi1ELi0EEEJNS0_7SigmoidIfEEEEEvT_T0_DpT1_,comdat
.Lfunc_end256:
	.size	_ZN2at6native12_GLOBAL__N_125multi_tensor_apply_kernelINS1_18TensorListMetadataILi1EEENS1_14UnaryOpFunctorIN3c104HalfELi1ELi1ELi0EEEJNS0_7SigmoidIfEEEEEvT_T0_DpT1_, .Lfunc_end256-_ZN2at6native12_GLOBAL__N_125multi_tensor_apply_kernelINS1_18TensorListMetadataILi1EEENS1_14UnaryOpFunctorIN3c104HalfELi1ELi1ELi0EEEJNS0_7SigmoidIfEEEEEvT_T0_DpT1_
                                        ; -- End function
	.section	.AMDGPU.csdata,"",@progbits
; Kernel info:
; codeLenInByte = 2796
; NumSgprs: 25
; NumVgprs: 27
; ScratchSize: 0
; MemoryBound: 0
; FloatMode: 240
; IeeeMode: 1
; LDSByteSize: 0 bytes/workgroup (compile time only)
; SGPRBlocks: 3
; VGPRBlocks: 3
; NumSGPRsForWavesPerEU: 25
; NumVGPRsForWavesPerEU: 27
; Occupancy: 16
; WaveLimiterHint : 0
; COMPUTE_PGM_RSRC2:SCRATCH_EN: 0
; COMPUTE_PGM_RSRC2:USER_SGPR: 15
; COMPUTE_PGM_RSRC2:TRAP_HANDLER: 0
; COMPUTE_PGM_RSRC2:TGID_X_EN: 1
; COMPUTE_PGM_RSRC2:TGID_Y_EN: 0
; COMPUTE_PGM_RSRC2:TGID_Z_EN: 0
; COMPUTE_PGM_RSRC2:TIDIG_COMP_CNT: 0
	.section	.text._ZN2at6native12_GLOBAL__N_125multi_tensor_apply_kernelINS1_18TensorListMetadataILi1EEENS1_14UnaryOpFunctorIN3c108BFloat16ELi1ELi1ELi0EEEJNS0_7SigmoidIfEEEEEvT_T0_DpT1_,"axG",@progbits,_ZN2at6native12_GLOBAL__N_125multi_tensor_apply_kernelINS1_18TensorListMetadataILi1EEENS1_14UnaryOpFunctorIN3c108BFloat16ELi1ELi1ELi0EEEJNS0_7SigmoidIfEEEEEvT_T0_DpT1_,comdat
	.globl	_ZN2at6native12_GLOBAL__N_125multi_tensor_apply_kernelINS1_18TensorListMetadataILi1EEENS1_14UnaryOpFunctorIN3c108BFloat16ELi1ELi1ELi0EEEJNS0_7SigmoidIfEEEEEvT_T0_DpT1_ ; -- Begin function _ZN2at6native12_GLOBAL__N_125multi_tensor_apply_kernelINS1_18TensorListMetadataILi1EEENS1_14UnaryOpFunctorIN3c108BFloat16ELi1ELi1ELi0EEEJNS0_7SigmoidIfEEEEEvT_T0_DpT1_
	.p2align	8
	.type	_ZN2at6native12_GLOBAL__N_125multi_tensor_apply_kernelINS1_18TensorListMetadataILi1EEENS1_14UnaryOpFunctorIN3c108BFloat16ELi1ELi1ELi0EEEJNS0_7SigmoidIfEEEEEvT_T0_DpT1_,@function
_ZN2at6native12_GLOBAL__N_125multi_tensor_apply_kernelINS1_18TensorListMetadataILi1EEENS1_14UnaryOpFunctorIN3c108BFloat16ELi1ELi1ELi0EEEJNS0_7SigmoidIfEEEEEvT_T0_DpT1_: ; @_ZN2at6native12_GLOBAL__N_125multi_tensor_apply_kernelINS1_18TensorListMetadataILi1EEENS1_14UnaryOpFunctorIN3c108BFloat16ELi1ELi1ELi0EEEJNS0_7SigmoidIfEEEEEvT_T0_DpT1_
; %bb.0:
	v_mov_b32_e32 v1, s15
	s_add_u32 s2, s0, s15
	s_mul_hi_u32 s3, s15, 3
	s_mul_i32 s15, s15, 3
	s_addc_u32 s4, s1, 0
	global_load_u8 v1, v1, s[0:1] offset:1760
	s_add_u32 s2, s2, s15
	s_addc_u32 s3, s4, s3
	s_mov_b32 s13, 0
	s_load_b32 s2, s[2:3], 0x820
	s_waitcnt vmcnt(0)
	v_readfirstlane_b32 s5, v1
	s_delay_alu instid0(VALU_DEP_1)
	s_lshl_b32 s3, s5, 3
	s_clause 0x2
	s_load_b64 s[8:9], s[0:1], s3 offset:0x0
	s_load_b64 s[4:5], s[0:1], s3 offset:0x370
	s_load_b32 s16, s[0:1], 0xd2c
	s_waitcnt lgkmcnt(0)
	s_ashr_i32 s3, s2, 31
	s_delay_alu instid0(SALU_CYCLE_1)
	s_lshl_b64 s[10:11], s[2:3], 17
	s_lshl_b64 s[2:3], s[2:3], 16
	s_and_b32 s12, s8, 7
	s_sub_u32 s6, s4, s2
	s_subb_u32 s7, s5, s3
	s_and_b32 s2, s4, 3
	s_mov_b32 s3, s13
	s_delay_alu instid0(SALU_CYCLE_1) | instskip(NEXT) | instid1(SALU_CYCLE_1)
	s_or_b64 s[2:3], s[12:13], s[2:3]
	s_cmp_eq_u64 s[2:3], 0
	s_cbranch_scc1 .LBB257_21
; %bb.1:
	v_cmp_lt_i64_e64 s2, s[6:7], 1
	s_delay_alu instid0(VALU_DEP_1)
	s_and_b32 vcc_lo, exec_lo, s2
	s_cbranch_vccnz .LBB257_20
; %bb.2:
	s_load_b32 s2, s[0:1], 0xd3c
	v_cmp_gt_u64_e64 s3, 0x10000, s[6:7]
	v_lshlrev_b32_e32 v1, 1, v0
	s_waitcnt lgkmcnt(0)
	s_and_b32 s2, s2, 0xffff
	s_delay_alu instid0(VALU_DEP_2)
	s_and_b32 s3, s3, exec_lo
	v_add_co_u32 v5, s5, v0, s2
	s_cselect_b32 s13, s7, 0
	s_cselect_b32 s12, s6, 0x10000
	s_lshl_b32 s3, s2, 1
	s_lshl_b32 s17, s2, 2
	v_lshlrev_b32_e32 v3, 1, v5
	v_add_co_ci_u32_e64 v6, null, 0, 0, s5
	s_add_u32 s5, s8, s10
	v_add_co_u32 v9, s3, s3, v0
	s_mul_i32 s4, s2, 3
	s_addc_u32 s14, s9, s11
	v_add_co_ci_u32_e64 v10, null, 0, 0, s3
	v_add_co_u32 v1, s3, s5, v1
	v_add_co_u32 v7, s4, s4, v0
	v_add_co_ci_u32_e64 v2, null, s14, 0, s3
	v_add_co_u32 v3, s3, s5, v3
	v_add_co_ci_u32_e64 v8, null, 0, 0, s4
	v_add_co_ci_u32_e64 v4, null, s14, 0, s3
	s_lshl_b32 s18, s2, 3
	s_mul_i32 s19, s2, 6
	s_mov_b64 s[14:15], 0
	s_branch .LBB257_4
.LBB257_3:                              ;   in Loop: Header=BB257_4 Depth=1
	s_or_b32 exec_lo, exec_lo, s3
	s_add_u32 s14, s14, s17
	s_addc_u32 s15, s15, 0
	v_add_co_u32 v1, vcc_lo, v1, s18
	v_cmp_lt_i64_e64 s2, s[14:15], s[6:7]
	v_cmp_gt_u64_e64 s3, 0x10000, s[14:15]
	v_add_co_ci_u32_e32 v2, vcc_lo, 0, v2, vcc_lo
	v_add_co_u32 v3, vcc_lo, v3, s18
	v_add_co_ci_u32_e32 v4, vcc_lo, 0, v4, vcc_lo
	s_delay_alu instid0(VALU_DEP_4) | instskip(NEXT) | instid1(SALU_CYCLE_1)
	s_and_b32 s2, s2, s3
	s_and_b32 vcc_lo, exec_lo, s2
	s_cbranch_vccz .LBB257_20
.LBB257_4:                              ; =>This Inner Loop Header: Depth=1
	s_waitcnt vmcnt(0)
	v_add_co_u32 v11, s2, v0, s14
	s_delay_alu instid0(VALU_DEP_1) | instskip(SKIP_1) | instid1(VALU_DEP_2)
	v_add_co_ci_u32_e64 v12, null, 0, s15, s2
	v_mov_b32_e32 v14, 0
	v_cmp_gt_u64_e32 vcc_lo, s[12:13], v[11:12]
	s_and_saveexec_b32 s2, vcc_lo
	s_cbranch_execz .LBB257_6
; %bb.5:                                ;   in Loop: Header=BB257_4 Depth=1
	global_load_u16 v14, v[1:2], off
.LBB257_6:                              ;   in Loop: Header=BB257_4 Depth=1
	s_or_b32 exec_lo, exec_lo, s2
	v_add_co_u32 v11, s2, v5, s14
	s_delay_alu instid0(VALU_DEP_1) | instskip(SKIP_1) | instid1(VALU_DEP_2)
	v_add_co_ci_u32_e64 v12, s2, s15, v6, s2
	v_mov_b32_e32 v13, 0
	v_cmp_gt_u64_e64 s4, s[12:13], v[11:12]
	s_delay_alu instid0(VALU_DEP_1)
	s_and_saveexec_b32 s2, s4
	s_cbranch_execz .LBB257_8
; %bb.7:                                ;   in Loop: Header=BB257_4 Depth=1
	global_load_u16 v13, v[3:4], off
.LBB257_8:                              ;   in Loop: Header=BB257_4 Depth=1
	s_or_b32 exec_lo, exec_lo, s2
	v_add_co_u32 v11, s2, v9, s14
	s_delay_alu instid0(VALU_DEP_1) | instskip(NEXT) | instid1(VALU_DEP_1)
	v_add_co_ci_u32_e64 v12, s2, s15, v10, s2
	v_cmp_gt_u64_e64 s3, s[12:13], v[11:12]
	v_dual_mov_b32 v11, 0 :: v_dual_mov_b32 v12, 0
	s_delay_alu instid0(VALU_DEP_2)
	s_and_saveexec_b32 s5, s3
	s_cbranch_execz .LBB257_10
; %bb.9:                                ;   in Loop: Header=BB257_4 Depth=1
	v_add_co_u32 v15, s2, v1, s17
	s_delay_alu instid0(VALU_DEP_1)
	v_add_co_ci_u32_e64 v16, s2, 0, v2, s2
	global_load_u16 v12, v[15:16], off
.LBB257_10:                             ;   in Loop: Header=BB257_4 Depth=1
	s_or_b32 exec_lo, exec_lo, s5
	v_add_co_u32 v15, s2, v7, s14
	s_delay_alu instid0(VALU_DEP_1) | instskip(NEXT) | instid1(VALU_DEP_1)
	v_add_co_ci_u32_e64 v16, s2, s15, v8, s2
	v_cmp_gt_u64_e64 s2, s[12:13], v[15:16]
	s_delay_alu instid0(VALU_DEP_1)
	s_and_saveexec_b32 s20, s2
	s_cbranch_execnz .LBB257_15
; %bb.11:                               ;   in Loop: Header=BB257_4 Depth=1
	s_or_b32 exec_lo, exec_lo, s20
	s_and_saveexec_b32 s5, vcc_lo
	s_cbranch_execnz .LBB257_16
.LBB257_12:                             ;   in Loop: Header=BB257_4 Depth=1
	s_or_b32 exec_lo, exec_lo, s5
	s_and_saveexec_b32 s5, s4
	s_cbranch_execnz .LBB257_17
.LBB257_13:                             ;   in Loop: Header=BB257_4 Depth=1
	s_or_b32 exec_lo, exec_lo, s5
	s_and_saveexec_b32 s4, s3
	s_cbranch_execnz .LBB257_18
.LBB257_14:                             ;   in Loop: Header=BB257_4 Depth=1
	s_or_b32 exec_lo, exec_lo, s4
	s_and_saveexec_b32 s3, s2
	s_cbranch_execz .LBB257_3
	s_branch .LBB257_19
.LBB257_15:                             ;   in Loop: Header=BB257_4 Depth=1
	v_add_co_u32 v15, s5, v1, s19
	s_delay_alu instid0(VALU_DEP_1)
	v_add_co_ci_u32_e64 v16, s5, 0, v2, s5
	global_load_u16 v11, v[15:16], off
	s_or_b32 exec_lo, exec_lo, s20
	s_and_saveexec_b32 s5, vcc_lo
	s_cbranch_execz .LBB257_12
.LBB257_16:                             ;   in Loop: Header=BB257_4 Depth=1
	s_waitcnt vmcnt(0)
	v_lshlrev_b32_e32 v14, 16, v14
	s_delay_alu instid0(VALU_DEP_1) | instskip(NEXT) | instid1(VALU_DEP_1)
	v_mul_f32_e32 v15, 0xbfb8aa3b, v14
	v_rndne_f32_e32 v16, v15
	v_fma_f32 v17, 0xbfb8aa3b, v14, -v15
	s_delay_alu instid0(VALU_DEP_2) | instskip(NEXT) | instid1(VALU_DEP_2)
	v_sub_f32_e32 v15, v15, v16
	v_fmac_f32_e32 v17, 0xb2a5705f, v14
	v_cvt_i32_f32_e32 v16, v16
	v_cmp_nlt_f32_e32 vcc_lo, 0x42ce8ed0, v14
	s_delay_alu instid0(VALU_DEP_3) | instskip(NEXT) | instid1(VALU_DEP_1)
	v_add_f32_e32 v15, v15, v17
	v_exp_f32_e32 v15, v15
	s_waitcnt_depctr 0xfff
	v_ldexp_f32 v15, v15, v16
	s_delay_alu instid0(VALU_DEP_1) | instskip(SKIP_1) | instid1(VALU_DEP_2)
	v_cndmask_b32_e32 v15, 0, v15, vcc_lo
	v_cmp_ngt_f32_e32 vcc_lo, 0xc2b17218, v14
	v_cndmask_b32_e32 v14, 0x7f800000, v15, vcc_lo
	s_delay_alu instid0(VALU_DEP_1) | instskip(NEXT) | instid1(VALU_DEP_1)
	v_add_f32_e32 v14, s16, v14
	v_div_scale_f32 v15, null, v14, v14, s16
	s_delay_alu instid0(VALU_DEP_1) | instskip(SKIP_2) | instid1(VALU_DEP_1)
	v_rcp_f32_e32 v16, v15
	s_waitcnt_depctr 0xfff
	v_fma_f32 v17, -v15, v16, 1.0
	v_fmac_f32_e32 v16, v17, v16
	v_div_scale_f32 v17, vcc_lo, s16, v14, s16
	s_delay_alu instid0(VALU_DEP_1) | instskip(NEXT) | instid1(VALU_DEP_1)
	v_mul_f32_e32 v18, v17, v16
	v_fma_f32 v19, -v15, v18, v17
	s_delay_alu instid0(VALU_DEP_1) | instskip(NEXT) | instid1(VALU_DEP_1)
	v_fmac_f32_e32 v18, v19, v16
	v_fma_f32 v15, -v15, v18, v17
	s_delay_alu instid0(VALU_DEP_1) | instskip(NEXT) | instid1(VALU_DEP_1)
	v_div_fmas_f32 v15, v15, v16, v18
	v_div_fixup_f32 v14, v15, v14, s16
	s_delay_alu instid0(VALU_DEP_1) | instskip(SKIP_1) | instid1(VALU_DEP_2)
	v_bfe_u32 v15, v14, 16, 1
	v_cmp_o_f32_e32 vcc_lo, v14, v14
	v_add3_u32 v15, v14, v15, 0x7fff
	s_delay_alu instid0(VALU_DEP_1) | instskip(NEXT) | instid1(VALU_DEP_1)
	v_lshrrev_b32_e32 v15, 16, v15
	v_cndmask_b32_e32 v14, 0x7fc0, v15, vcc_lo
	global_store_b16 v[1:2], v14, off
	s_or_b32 exec_lo, exec_lo, s5
	s_and_saveexec_b32 s5, s4
	s_cbranch_execz .LBB257_13
.LBB257_17:                             ;   in Loop: Header=BB257_4 Depth=1
	s_waitcnt vmcnt(0)
	v_lshlrev_b32_e32 v13, 16, v13
	s_delay_alu instid0(VALU_DEP_1) | instskip(NEXT) | instid1(VALU_DEP_1)
	v_mul_f32_e32 v14, 0xbfb8aa3b, v13
	v_rndne_f32_e32 v15, v14
	v_fma_f32 v16, 0xbfb8aa3b, v13, -v14
	s_delay_alu instid0(VALU_DEP_2) | instskip(NEXT) | instid1(VALU_DEP_2)
	v_sub_f32_e32 v14, v14, v15
	v_fmac_f32_e32 v16, 0xb2a5705f, v13
	v_cvt_i32_f32_e32 v15, v15
	v_cmp_nlt_f32_e32 vcc_lo, 0x42ce8ed0, v13
	s_delay_alu instid0(VALU_DEP_3) | instskip(NEXT) | instid1(VALU_DEP_1)
	v_add_f32_e32 v14, v14, v16
	v_exp_f32_e32 v14, v14
	s_waitcnt_depctr 0xfff
	v_ldexp_f32 v14, v14, v15
	s_delay_alu instid0(VALU_DEP_1) | instskip(SKIP_1) | instid1(VALU_DEP_2)
	v_cndmask_b32_e32 v14, 0, v14, vcc_lo
	v_cmp_ngt_f32_e32 vcc_lo, 0xc2b17218, v13
	v_cndmask_b32_e32 v13, 0x7f800000, v14, vcc_lo
	s_delay_alu instid0(VALU_DEP_1) | instskip(NEXT) | instid1(VALU_DEP_1)
	v_add_f32_e32 v13, s16, v13
	v_div_scale_f32 v14, null, v13, v13, s16
	s_delay_alu instid0(VALU_DEP_1) | instskip(SKIP_2) | instid1(VALU_DEP_1)
	v_rcp_f32_e32 v15, v14
	s_waitcnt_depctr 0xfff
	v_fma_f32 v16, -v14, v15, 1.0
	v_fmac_f32_e32 v15, v16, v15
	v_div_scale_f32 v16, vcc_lo, s16, v13, s16
	s_delay_alu instid0(VALU_DEP_1) | instskip(NEXT) | instid1(VALU_DEP_1)
	v_mul_f32_e32 v17, v16, v15
	v_fma_f32 v18, -v14, v17, v16
	s_delay_alu instid0(VALU_DEP_1) | instskip(NEXT) | instid1(VALU_DEP_1)
	v_fmac_f32_e32 v17, v18, v15
	v_fma_f32 v14, -v14, v17, v16
	s_delay_alu instid0(VALU_DEP_1) | instskip(NEXT) | instid1(VALU_DEP_1)
	v_div_fmas_f32 v14, v14, v15, v17
	v_div_fixup_f32 v13, v14, v13, s16
	s_delay_alu instid0(VALU_DEP_1) | instskip(SKIP_1) | instid1(VALU_DEP_2)
	v_bfe_u32 v14, v13, 16, 1
	v_cmp_o_f32_e32 vcc_lo, v13, v13
	v_add3_u32 v14, v13, v14, 0x7fff
	s_delay_alu instid0(VALU_DEP_1) | instskip(NEXT) | instid1(VALU_DEP_1)
	v_lshrrev_b32_e32 v14, 16, v14
	v_cndmask_b32_e32 v13, 0x7fc0, v14, vcc_lo
	global_store_b16 v[3:4], v13, off
	s_or_b32 exec_lo, exec_lo, s5
	s_and_saveexec_b32 s4, s3
	s_cbranch_execz .LBB257_14
.LBB257_18:                             ;   in Loop: Header=BB257_4 Depth=1
	s_waitcnt vmcnt(0)
	v_lshlrev_b32_e32 v12, 16, v12
	s_delay_alu instid0(VALU_DEP_1) | instskip(NEXT) | instid1(VALU_DEP_1)
	v_mul_f32_e32 v13, 0xbfb8aa3b, v12
	v_rndne_f32_e32 v14, v13
	v_fma_f32 v15, 0xbfb8aa3b, v12, -v13
	s_delay_alu instid0(VALU_DEP_2) | instskip(NEXT) | instid1(VALU_DEP_2)
	v_sub_f32_e32 v13, v13, v14
	v_fmac_f32_e32 v15, 0xb2a5705f, v12
	v_cvt_i32_f32_e32 v14, v14
	v_cmp_nlt_f32_e32 vcc_lo, 0x42ce8ed0, v12
	s_delay_alu instid0(VALU_DEP_3) | instskip(NEXT) | instid1(VALU_DEP_1)
	v_add_f32_e32 v13, v13, v15
	v_exp_f32_e32 v13, v13
	s_waitcnt_depctr 0xfff
	v_ldexp_f32 v13, v13, v14
	s_delay_alu instid0(VALU_DEP_1) | instskip(SKIP_1) | instid1(VALU_DEP_2)
	v_cndmask_b32_e32 v13, 0, v13, vcc_lo
	v_cmp_ngt_f32_e32 vcc_lo, 0xc2b17218, v12
	v_cndmask_b32_e32 v12, 0x7f800000, v13, vcc_lo
	s_delay_alu instid0(VALU_DEP_1) | instskip(NEXT) | instid1(VALU_DEP_1)
	v_add_f32_e32 v12, s16, v12
	v_div_scale_f32 v13, null, v12, v12, s16
	v_div_scale_f32 v16, vcc_lo, s16, v12, s16
	s_delay_alu instid0(VALU_DEP_2) | instskip(SKIP_2) | instid1(VALU_DEP_1)
	v_rcp_f32_e32 v14, v13
	s_waitcnt_depctr 0xfff
	v_fma_f32 v15, -v13, v14, 1.0
	v_fmac_f32_e32 v14, v15, v14
	s_delay_alu instid0(VALU_DEP_1) | instskip(NEXT) | instid1(VALU_DEP_1)
	v_mul_f32_e32 v15, v16, v14
	v_fma_f32 v17, -v13, v15, v16
	s_delay_alu instid0(VALU_DEP_1) | instskip(NEXT) | instid1(VALU_DEP_1)
	v_fmac_f32_e32 v15, v17, v14
	v_fma_f32 v13, -v13, v15, v16
	s_delay_alu instid0(VALU_DEP_1) | instskip(NEXT) | instid1(VALU_DEP_1)
	v_div_fmas_f32 v13, v13, v14, v15
	v_div_fixup_f32 v12, v13, v12, s16
	s_delay_alu instid0(VALU_DEP_1) | instskip(SKIP_1) | instid1(VALU_DEP_2)
	v_bfe_u32 v13, v12, 16, 1
	v_cmp_o_f32_e32 vcc_lo, v12, v12
	v_add3_u32 v13, v12, v13, 0x7fff
	s_delay_alu instid0(VALU_DEP_1) | instskip(NEXT) | instid1(VALU_DEP_1)
	v_lshrrev_b32_e32 v13, 16, v13
	v_cndmask_b32_e32 v14, 0x7fc0, v13, vcc_lo
	v_add_co_u32 v12, vcc_lo, v1, s17
	v_add_co_ci_u32_e32 v13, vcc_lo, 0, v2, vcc_lo
	global_store_b16 v[12:13], v14, off
	s_or_b32 exec_lo, exec_lo, s4
	s_and_saveexec_b32 s3, s2
	s_cbranch_execz .LBB257_3
.LBB257_19:                             ;   in Loop: Header=BB257_4 Depth=1
	s_waitcnt vmcnt(0)
	v_lshlrev_b32_e32 v11, 16, v11
	s_delay_alu instid0(VALU_DEP_1) | instskip(NEXT) | instid1(VALU_DEP_1)
	v_mul_f32_e32 v12, 0xbfb8aa3b, v11
	v_rndne_f32_e32 v13, v12
	v_fma_f32 v14, 0xbfb8aa3b, v11, -v12
	s_delay_alu instid0(VALU_DEP_2) | instskip(NEXT) | instid1(VALU_DEP_2)
	v_sub_f32_e32 v12, v12, v13
	v_fmac_f32_e32 v14, 0xb2a5705f, v11
	v_cvt_i32_f32_e32 v13, v13
	v_cmp_nlt_f32_e32 vcc_lo, 0x42ce8ed0, v11
	s_delay_alu instid0(VALU_DEP_3) | instskip(NEXT) | instid1(VALU_DEP_1)
	v_add_f32_e32 v12, v12, v14
	v_exp_f32_e32 v12, v12
	s_waitcnt_depctr 0xfff
	v_ldexp_f32 v12, v12, v13
	s_delay_alu instid0(VALU_DEP_1) | instskip(SKIP_1) | instid1(VALU_DEP_2)
	v_cndmask_b32_e32 v12, 0, v12, vcc_lo
	v_cmp_ngt_f32_e32 vcc_lo, 0xc2b17218, v11
	v_cndmask_b32_e32 v11, 0x7f800000, v12, vcc_lo
	s_delay_alu instid0(VALU_DEP_1) | instskip(NEXT) | instid1(VALU_DEP_1)
	v_add_f32_e32 v11, s16, v11
	v_div_scale_f32 v12, null, v11, v11, s16
	v_div_scale_f32 v15, vcc_lo, s16, v11, s16
	s_delay_alu instid0(VALU_DEP_2) | instskip(SKIP_2) | instid1(VALU_DEP_1)
	v_rcp_f32_e32 v13, v12
	s_waitcnt_depctr 0xfff
	v_fma_f32 v14, -v12, v13, 1.0
	v_fmac_f32_e32 v13, v14, v13
	s_delay_alu instid0(VALU_DEP_1) | instskip(NEXT) | instid1(VALU_DEP_1)
	v_mul_f32_e32 v14, v15, v13
	v_fma_f32 v16, -v12, v14, v15
	s_delay_alu instid0(VALU_DEP_1) | instskip(NEXT) | instid1(VALU_DEP_1)
	v_fmac_f32_e32 v14, v16, v13
	v_fma_f32 v12, -v12, v14, v15
	s_delay_alu instid0(VALU_DEP_1) | instskip(NEXT) | instid1(VALU_DEP_1)
	v_div_fmas_f32 v12, v12, v13, v14
	v_div_fixup_f32 v11, v12, v11, s16
	s_delay_alu instid0(VALU_DEP_1) | instskip(SKIP_1) | instid1(VALU_DEP_2)
	v_bfe_u32 v12, v11, 16, 1
	v_cmp_o_f32_e32 vcc_lo, v11, v11
	v_add3_u32 v12, v11, v12, 0x7fff
	s_delay_alu instid0(VALU_DEP_1) | instskip(NEXT) | instid1(VALU_DEP_1)
	v_lshrrev_b32_e32 v12, 16, v12
	v_cndmask_b32_e32 v13, 0x7fc0, v12, vcc_lo
	v_add_co_u32 v11, vcc_lo, v1, s19
	v_add_co_ci_u32_e32 v12, vcc_lo, 0, v2, vcc_lo
	global_store_b16 v[11:12], v13, off
	s_branch .LBB257_3
.LBB257_20:
	s_cbranch_execz .LBB257_22
	s_branch .LBB257_25
.LBB257_21:
.LBB257_22:
	v_dual_mov_b32 v2, 0 :: v_dual_lshlrev_b32 v1, 2, v0
	s_mov_b32 s3, 0
	s_mov_b32 s2, exec_lo
	s_delay_alu instid0(VALU_DEP_1)
	v_cmpx_gt_i64_e64 s[6:7], v[1:2]
	s_cbranch_execz .LBB257_25
; %bb.23:
	s_load_b32 s0, s[0:1], 0xd3c
	v_lshlrev_b32_e32 v1, 3, v0
	s_waitcnt lgkmcnt(0)
	s_and_b32 s0, s0, 0xffff
	s_add_u32 s1, s8, s10
	s_addc_u32 s2, s9, s11
	v_add_co_u32 v3, s1, s1, v1
	s_delay_alu instid0(VALU_DEP_1)
	v_add_co_ci_u32_e64 v4, null, s2, 0, s1
	v_add_lshl_u32 v1, v0, s0, 2
	s_lshl_b32 s4, s0, 3
	s_lshl_b32 s5, s0, 2
.LBB257_24:                             ; =>This Inner Loop Header: Depth=1
	global_load_b64 v[5:6], v[3:4], off
	s_waitcnt vmcnt(0)
	v_and_b32_e32 v7, 0xffff0000, v5
	v_lshlrev_b32_e32 v0, 16, v5
	v_alignbit_b32 v5, v6, v5, 16
	s_delay_alu instid0(VALU_DEP_3) | instskip(NEXT) | instid1(VALU_DEP_3)
	v_mul_f32_e32 v9, 0xbfb8aa3b, v7
	v_cmp_nlt_f32_e32 vcc_lo, 0x42ce8ed0, v0
	s_delay_alu instid0(VALU_DEP_3) | instskip(SKIP_1) | instid1(VALU_DEP_4)
	v_and_b32_e32 v5, 0xffff0000, v5
	v_mul_f32_e32 v8, 0xbfb8aa3b, v0
	v_rndne_f32_e32 v14, v9
	s_delay_alu instid0(VALU_DEP_3) | instskip(NEXT) | instid1(VALU_DEP_3)
	v_mul_f32_e32 v15, 0xbfb8aa3b, v5
	v_rndne_f32_e32 v12, v8
	v_fma_f32 v11, 0xbfb8aa3b, v0, -v8
	s_delay_alu instid0(VALU_DEP_3) | instskip(NEXT) | instid1(VALU_DEP_3)
	v_rndne_f32_e32 v19, v15
	v_sub_f32_e32 v8, v8, v12
	v_fma_f32 v13, 0xbfb8aa3b, v7, -v9
	v_sub_f32_e32 v9, v9, v14
	v_cvt_i32_f32_e32 v12, v12
	s_delay_alu instid0(VALU_DEP_3) | instskip(NEXT) | instid1(VALU_DEP_1)
	v_fmac_f32_e32 v13, 0xb2a5705f, v7
	v_dual_add_f32 v9, v9, v13 :: v_dual_and_b32 v6, 0xffff0000, v6
	s_delay_alu instid0(VALU_DEP_1) | instskip(SKIP_2) | instid1(VALU_DEP_4)
	v_mul_f32_e32 v10, 0xbfb8aa3b, v6
	v_fmac_f32_e32 v11, 0xb2a5705f, v0
	v_cvt_i32_f32_e32 v13, v14
	v_exp_f32_e32 v9, v9
	s_delay_alu instid0(VALU_DEP_2)
	v_add_f32_e32 v8, v8, v11
	v_sub_f32_e32 v11, v15, v19
	v_fma_f32 v16, 0xbfb8aa3b, v6, -v10
	v_rndne_f32_e32 v17, v10
	v_fma_f32 v18, 0xbfb8aa3b, v5, -v15
	v_exp_f32_e32 v8, v8
	s_delay_alu instid0(VALU_DEP_3) | instskip(NEXT) | instid1(VALU_DEP_3)
	v_fmac_f32_e32 v16, 0xb2a5705f, v6
	v_sub_f32_e32 v10, v10, v17
	s_delay_alu instid0(VALU_DEP_3) | instskip(SKIP_2) | instid1(VALU_DEP_3)
	v_fmac_f32_e32 v18, 0xb2a5705f, v5
	v_cvt_i32_f32_e32 v14, v17
	v_ldexp_f32 v9, v9, v13
	v_dual_add_f32 v10, v10, v16 :: v_dual_add_f32 v11, v11, v18
	s_delay_alu instid0(TRANS32_DEP_1) | instskip(SKIP_1) | instid1(VALU_DEP_3)
	v_ldexp_f32 v8, v8, v12
	v_cvt_i32_f32_e32 v12, v19
	v_exp_f32_e32 v10, v10
	s_delay_alu instid0(VALU_DEP_3) | instskip(NEXT) | instid1(VALU_DEP_2)
	v_exp_f32_e32 v11, v11
	v_cndmask_b32_e32 v8, 0, v8, vcc_lo
	v_cmp_nlt_f32_e32 vcc_lo, 0x42ce8ed0, v7
	v_cndmask_b32_e32 v9, 0, v9, vcc_lo
	v_cmp_nlt_f32_e32 vcc_lo, 0x42ce8ed0, v6
	s_waitcnt_depctr 0xfff
	v_ldexp_f32 v10, v10, v14
	v_ldexp_f32 v11, v11, v12
	s_delay_alu instid0(VALU_DEP_2) | instskip(SKIP_3) | instid1(VALU_DEP_2)
	v_cndmask_b32_e32 v10, 0, v10, vcc_lo
	v_cmp_ngt_f32_e32 vcc_lo, 0xc2b17218, v0
	v_cndmask_b32_e32 v0, 0x7f800000, v8, vcc_lo
	v_cmp_ngt_f32_e32 vcc_lo, 0xc2b17218, v7
	v_add_f32_e32 v0, s16, v0
	v_cndmask_b32_e32 v7, 0x7f800000, v9, vcc_lo
	v_cmp_nlt_f32_e32 vcc_lo, 0x42ce8ed0, v5
	s_delay_alu instid0(VALU_DEP_2) | instskip(SKIP_2) | instid1(VALU_DEP_3)
	v_add_f32_e32 v7, s16, v7
	v_cndmask_b32_e32 v8, 0, v11, vcc_lo
	v_cmp_ngt_f32_e32 vcc_lo, 0xc2b17218, v6
	v_div_scale_f32 v9, null, v7, v7, s16
	v_cndmask_b32_e32 v6, 0x7f800000, v10, vcc_lo
	v_cmp_ngt_f32_e32 vcc_lo, 0xc2b17218, v5
	v_div_scale_f32 v17, s0, s16, v7, s16
	s_delay_alu instid0(VALU_DEP_4) | instskip(SKIP_3) | instid1(VALU_DEP_3)
	v_rcp_f32_e32 v12, v9
	v_cndmask_b32_e32 v5, 0x7f800000, v8, vcc_lo
	v_div_scale_f32 v8, null, v0, v0, s16
	v_div_scale_f32 v15, vcc_lo, s16, v0, s16
	v_add_f32_e32 v5, s16, v5
	s_delay_alu instid0(VALU_DEP_3) | instskip(SKIP_3) | instid1(VALU_DEP_2)
	v_rcp_f32_e32 v11, v8
	s_waitcnt_depctr 0xfff
	v_fma_f32 v19, -v9, v12, 1.0
	v_div_scale_f32 v13, null, v5, v5, s16
	v_fmac_f32_e32 v12, v19, v12
	v_div_scale_f32 v19, s2, s16, v5, s16
	s_delay_alu instid0(VALU_DEP_3) | instskip(SKIP_1) | instid1(VALU_DEP_1)
	v_rcp_f32_e32 v16, v13
	v_fma_f32 v18, -v8, v11, 1.0
	v_dual_mul_f32 v22, v17, v12 :: v_dual_fmac_f32 v11, v18, v11
	s_delay_alu instid0(VALU_DEP_1) | instskip(SKIP_3) | instid1(VALU_DEP_2)
	v_fma_f32 v24, -v9, v22, v17
	s_waitcnt_depctr 0xfff
	v_fma_f32 v18, -v13, v16, 1.0
	v_fmac_f32_e32 v22, v24, v12
	v_fmac_f32_e32 v16, v18, v16
	s_delay_alu instid0(VALU_DEP_2) | instskip(NEXT) | instid1(VALU_DEP_2)
	v_fma_f32 v9, -v9, v22, v17
	v_dual_mul_f32 v25, v19, v16 :: v_dual_add_f32 v6, s16, v6
	s_delay_alu instid0(VALU_DEP_1) | instskip(NEXT) | instid1(VALU_DEP_1)
	v_div_scale_f32 v10, null, v6, v6, s16
	v_rcp_f32_e32 v14, v10
	s_waitcnt_depctr 0xfff
	v_fma_f32 v20, -v10, v14, 1.0
	s_delay_alu instid0(VALU_DEP_1) | instskip(SKIP_1) | instid1(VALU_DEP_1)
	v_fmac_f32_e32 v14, v20, v14
	v_mul_f32_e32 v20, v15, v11
	v_fma_f32 v23, -v8, v20, v15
	s_delay_alu instid0(VALU_DEP_1) | instskip(SKIP_1) | instid1(VALU_DEP_2)
	v_fmac_f32_e32 v20, v23, v11
	v_fma_f32 v23, -v13, v25, v19
	v_fma_f32 v8, -v8, v20, v15
	s_delay_alu instid0(VALU_DEP_2) | instskip(SKIP_1) | instid1(VALU_DEP_3)
	v_fmac_f32_e32 v25, v23, v16
	v_div_scale_f32 v21, s1, s16, v6, s16
	v_div_fmas_f32 v8, v8, v11, v20
	s_mov_b32 vcc_lo, s0
	s_delay_alu instid0(VALU_DEP_2)
	v_mul_f32_e32 v18, v21, v14
	v_div_fmas_f32 v9, v9, v12, v22
	v_fma_f32 v11, -v13, v25, v19
	s_mov_b32 vcc_lo, s2
	v_cmp_lt_u64_e64 s0, 0xffff, v[1:2]
	v_fma_f32 v26, -v10, v18, v21
	v_div_fixup_f32 v7, v9, v7, s16
	s_delay_alu instid0(VALU_DEP_2) | instskip(NEXT) | instid1(VALU_DEP_2)
	v_fmac_f32_e32 v18, v26, v14
	v_bfe_u32 v9, v7, 16, 1
	s_delay_alu instid0(VALU_DEP_2) | instskip(NEXT) | instid1(VALU_DEP_2)
	v_fma_f32 v10, -v10, v18, v21
	v_add3_u32 v9, v7, v9, 0x7fff
	s_delay_alu instid0(VALU_DEP_1) | instskip(SKIP_4) | instid1(VALU_DEP_3)
	v_and_b32_e32 v9, 0xffff0000, v9
	v_div_fixup_f32 v0, v8, v0, s16
	v_div_fmas_f32 v8, v11, v16, v25
	s_mov_b32 vcc_lo, s1
	v_div_fmas_f32 v10, v10, v14, v18
	v_cmp_o_f32_e32 vcc_lo, v0, v0
	s_delay_alu instid0(VALU_DEP_3) | instskip(SKIP_1) | instid1(VALU_DEP_4)
	v_div_fixup_f32 v5, v8, v5, s16
	v_bfe_u32 v8, v0, 16, 1
	v_div_fixup_f32 v6, v10, v6, s16
	s_delay_alu instid0(VALU_DEP_3) | instskip(NEXT) | instid1(VALU_DEP_3)
	v_bfe_u32 v10, v5, 16, 1
	v_add3_u32 v8, v0, v8, 0x7fff
	s_delay_alu instid0(VALU_DEP_3) | instskip(NEXT) | instid1(VALU_DEP_3)
	v_bfe_u32 v11, v6, 16, 1
	v_add3_u32 v10, v5, v10, 0x7fff
	s_delay_alu instid0(VALU_DEP_3) | instskip(NEXT) | instid1(VALU_DEP_3)
	v_lshrrev_b32_e32 v8, 16, v8
	v_add3_u32 v11, v6, v11, 0x7fff
	s_delay_alu instid0(VALU_DEP_3) | instskip(NEXT) | instid1(VALU_DEP_3)
	v_lshrrev_b32_e32 v10, 16, v10
	v_cndmask_b32_e32 v0, 0x7fc0, v8, vcc_lo
	v_cmp_o_f32_e32 vcc_lo, v7, v7
	s_delay_alu instid0(VALU_DEP_4) | instskip(SKIP_2) | instid1(VALU_DEP_2)
	v_and_b32_e32 v8, 0xffff0000, v11
	v_cndmask_b32_e32 v7, 0x7fc00000, v9, vcc_lo
	v_cmp_o_f32_e32 vcc_lo, v5, v5
	v_or_b32_e32 v0, v0, v7
	v_cndmask_b32_e32 v5, 0x7fc0, v10, vcc_lo
	v_cmp_o_f32_e32 vcc_lo, v6, v6
	v_cndmask_b32_e32 v6, 0x7fc00000, v8, vcc_lo
	v_cmp_le_i64_e32 vcc_lo, s[6:7], v[1:2]
	v_add_co_u32 v1, s1, v1, s5
	s_delay_alu instid0(VALU_DEP_1) | instskip(NEXT) | instid1(VALU_DEP_4)
	v_add_co_ci_u32_e64 v2, s1, 0, v2, s1
	v_or3_b32 v6, 0, v5, v6
	v_or3_b32 v5, v0, 0, 0
	s_or_b32 s0, vcc_lo, s0
	s_delay_alu instid0(SALU_CYCLE_1) | instskip(SKIP_4) | instid1(SALU_CYCLE_1)
	s_and_b32 s0, exec_lo, s0
	global_store_b64 v[3:4], v[5:6], off
	v_add_co_u32 v3, vcc_lo, v3, s4
	v_add_co_ci_u32_e32 v4, vcc_lo, 0, v4, vcc_lo
	s_or_b32 s3, s0, s3
	s_and_not1_b32 exec_lo, exec_lo, s3
	s_cbranch_execnz .LBB257_24
.LBB257_25:
	s_nop 0
	s_sendmsg sendmsg(MSG_DEALLOC_VGPRS)
	s_endpgm
	.section	.rodata,"a",@progbits
	.p2align	6, 0x0
	.amdhsa_kernel _ZN2at6native12_GLOBAL__N_125multi_tensor_apply_kernelINS1_18TensorListMetadataILi1EEENS1_14UnaryOpFunctorIN3c108BFloat16ELi1ELi1ELi0EEEJNS0_7SigmoidIfEEEEEvT_T0_DpT1_
		.amdhsa_group_segment_fixed_size 0
		.amdhsa_private_segment_fixed_size 0
		.amdhsa_kernarg_size 3632
		.amdhsa_user_sgpr_count 15
		.amdhsa_user_sgpr_dispatch_ptr 0
		.amdhsa_user_sgpr_queue_ptr 0
		.amdhsa_user_sgpr_kernarg_segment_ptr 1
		.amdhsa_user_sgpr_dispatch_id 0
		.amdhsa_user_sgpr_private_segment_size 0
		.amdhsa_wavefront_size32 1
		.amdhsa_uses_dynamic_stack 0
		.amdhsa_enable_private_segment 0
		.amdhsa_system_sgpr_workgroup_id_x 1
		.amdhsa_system_sgpr_workgroup_id_y 0
		.amdhsa_system_sgpr_workgroup_id_z 0
		.amdhsa_system_sgpr_workgroup_info 0
		.amdhsa_system_vgpr_workitem_id 0
		.amdhsa_next_free_vgpr 27
		.amdhsa_next_free_sgpr 21
		.amdhsa_reserve_vcc 1
		.amdhsa_float_round_mode_32 0
		.amdhsa_float_round_mode_16_64 0
		.amdhsa_float_denorm_mode_32 3
		.amdhsa_float_denorm_mode_16_64 3
		.amdhsa_dx10_clamp 1
		.amdhsa_ieee_mode 1
		.amdhsa_fp16_overflow 0
		.amdhsa_workgroup_processor_mode 1
		.amdhsa_memory_ordered 1
		.amdhsa_forward_progress 0
		.amdhsa_shared_vgpr_count 0
		.amdhsa_exception_fp_ieee_invalid_op 0
		.amdhsa_exception_fp_denorm_src 0
		.amdhsa_exception_fp_ieee_div_zero 0
		.amdhsa_exception_fp_ieee_overflow 0
		.amdhsa_exception_fp_ieee_underflow 0
		.amdhsa_exception_fp_ieee_inexact 0
		.amdhsa_exception_int_div_zero 0
	.end_amdhsa_kernel
	.section	.text._ZN2at6native12_GLOBAL__N_125multi_tensor_apply_kernelINS1_18TensorListMetadataILi1EEENS1_14UnaryOpFunctorIN3c108BFloat16ELi1ELi1ELi0EEEJNS0_7SigmoidIfEEEEEvT_T0_DpT1_,"axG",@progbits,_ZN2at6native12_GLOBAL__N_125multi_tensor_apply_kernelINS1_18TensorListMetadataILi1EEENS1_14UnaryOpFunctorIN3c108BFloat16ELi1ELi1ELi0EEEJNS0_7SigmoidIfEEEEEvT_T0_DpT1_,comdat
.Lfunc_end257:
	.size	_ZN2at6native12_GLOBAL__N_125multi_tensor_apply_kernelINS1_18TensorListMetadataILi1EEENS1_14UnaryOpFunctorIN3c108BFloat16ELi1ELi1ELi0EEEJNS0_7SigmoidIfEEEEEvT_T0_DpT1_, .Lfunc_end257-_ZN2at6native12_GLOBAL__N_125multi_tensor_apply_kernelINS1_18TensorListMetadataILi1EEENS1_14UnaryOpFunctorIN3c108BFloat16ELi1ELi1ELi0EEEJNS0_7SigmoidIfEEEEEvT_T0_DpT1_
                                        ; -- End function
	.section	.AMDGPU.csdata,"",@progbits
; Kernel info:
; codeLenInByte = 3072
; NumSgprs: 23
; NumVgprs: 27
; ScratchSize: 0
; MemoryBound: 0
; FloatMode: 240
; IeeeMode: 1
; LDSByteSize: 0 bytes/workgroup (compile time only)
; SGPRBlocks: 2
; VGPRBlocks: 3
; NumSGPRsForWavesPerEU: 23
; NumVGPRsForWavesPerEU: 27
; Occupancy: 16
; WaveLimiterHint : 0
; COMPUTE_PGM_RSRC2:SCRATCH_EN: 0
; COMPUTE_PGM_RSRC2:USER_SGPR: 15
; COMPUTE_PGM_RSRC2:TRAP_HANDLER: 0
; COMPUTE_PGM_RSRC2:TGID_X_EN: 1
; COMPUTE_PGM_RSRC2:TGID_Y_EN: 0
; COMPUTE_PGM_RSRC2:TGID_Z_EN: 0
; COMPUTE_PGM_RSRC2:TIDIG_COMP_CNT: 0
	.section	.text._ZN2at6native12_GLOBAL__N_125multi_tensor_apply_kernelINS1_18TensorListMetadataILi2EEENS1_14UnaryOpFunctorIdLi2ELi1ELi1EEEJNS0_5RoundIdEEEEEvT_T0_DpT1_,"axG",@progbits,_ZN2at6native12_GLOBAL__N_125multi_tensor_apply_kernelINS1_18TensorListMetadataILi2EEENS1_14UnaryOpFunctorIdLi2ELi1ELi1EEEJNS0_5RoundIdEEEEEvT_T0_DpT1_,comdat
	.globl	_ZN2at6native12_GLOBAL__N_125multi_tensor_apply_kernelINS1_18TensorListMetadataILi2EEENS1_14UnaryOpFunctorIdLi2ELi1ELi1EEEJNS0_5RoundIdEEEEEvT_T0_DpT1_ ; -- Begin function _ZN2at6native12_GLOBAL__N_125multi_tensor_apply_kernelINS1_18TensorListMetadataILi2EEENS1_14UnaryOpFunctorIdLi2ELi1ELi1EEEJNS0_5RoundIdEEEEEvT_T0_DpT1_
	.p2align	8
	.type	_ZN2at6native12_GLOBAL__N_125multi_tensor_apply_kernelINS1_18TensorListMetadataILi2EEENS1_14UnaryOpFunctorIdLi2ELi1ELi1EEEJNS0_5RoundIdEEEEEvT_T0_DpT1_,@function
_ZN2at6native12_GLOBAL__N_125multi_tensor_apply_kernelINS1_18TensorListMetadataILi2EEENS1_14UnaryOpFunctorIdLi2ELi1ELi1EEEJNS0_5RoundIdEEEEEvT_T0_DpT1_: ; @_ZN2at6native12_GLOBAL__N_125multi_tensor_apply_kernelINS1_18TensorListMetadataILi2EEENS1_14UnaryOpFunctorIdLi2ELi1ELi1EEEJNS0_5RoundIdEEEEEvT_T0_DpT1_
; %bb.0:
	v_mov_b32_e32 v1, s15
	s_add_u32 s2, s0, s15
	s_mul_hi_u32 s3, s15, 3
	s_mul_i32 s15, s15, 3
	s_addc_u32 s4, s1, 0
	global_load_u8 v1, v1, s[0:1] offset:1536
	s_add_u32 s2, s2, s15
	s_addc_u32 s3, s4, s3
	s_mov_b32 s17, 0
	s_load_b32 s2, s[2:3], 0x740
	s_mov_b32 s19, s17
	s_mov_b32 s21, s17
	s_waitcnt vmcnt(0)
	v_readfirstlane_b32 s5, v1
	s_delay_alu instid0(VALU_DEP_1)
	s_lshl_b32 s3, s5, 3
	s_clause 0x2
	s_load_b64 s[10:11], s[0:1], s3 offset:0x0
	s_load_b64 s[12:13], s[0:1], s3 offset:0x200
	;; [unrolled: 1-line block ×3, first 2 shown]
	s_waitcnt lgkmcnt(0)
	s_ashr_i32 s3, s2, 31
	s_delay_alu instid0(SALU_CYCLE_1) | instskip(NEXT) | instid1(SALU_CYCLE_1)
	s_lshl_b64 s[4:5], s[2:3], 19
	s_add_u32 s8, s10, s4
	s_addc_u32 s9, s11, s5
	s_and_b32 s16, s8, 31
	s_add_u32 s14, s12, s4
	s_addc_u32 s15, s13, s5
	s_and_b32 s18, s6, 3
	s_and_b32 s20, s14, 31
	s_or_b64 s[16:17], s[16:17], s[18:19]
	s_lshl_b64 s[2:3], s[2:3], 16
	s_or_b64 s[16:17], s[20:21], s[16:17]
	s_sub_u32 s6, s6, s2
	s_subb_u32 s7, s7, s3
	s_cmp_eq_u64 s[16:17], 0
	s_mov_b32 s2, -1
	s_cbranch_scc0 .LBB258_5
; %bb.1:
	v_dual_mov_b32 v2, 0 :: v_dual_lshlrev_b32 v1, 2, v0
	s_mov_b32 s16, exec_lo
	s_delay_alu instid0(VALU_DEP_1)
	v_cmpx_gt_i64_e64 s[6:7], v[1:2]
	s_cbranch_execz .LBB258_4
; %bb.2:
	s_load_b32 s2, s[0:1], 0xc5c
	v_lshlrev_b32_e32 v3, 5, v0
	s_mov_b32 s17, 0
	s_waitcnt lgkmcnt(0)
	s_and_b32 s2, s2, 0xffff
	s_delay_alu instid0(SALU_CYCLE_1)
	v_add_lshl_u32 v1, v0, s2, 2
	s_lshl_b32 s18, s2, 2
	s_lshl_b32 s19, s2, 5
	s_set_inst_prefetch_distance 0x1
	.p2align	6
.LBB258_3:                              ; =>This Inner Loop Header: Depth=1
	v_add_co_u32 v8, s2, s8, v3
	s_delay_alu instid0(VALU_DEP_1)
	v_add_co_ci_u32_e64 v9, null, s9, 0, s2
	v_cmp_le_i64_e32 vcc_lo, s[6:7], v[1:2]
	v_cmp_lt_u64_e64 s2, 0xffff, v[1:2]
	v_add_co_u32 v12, s3, s14, v3
	s_clause 0x1
	global_load_b128 v[4:7], v[8:9], off
	global_load_b128 v[8:11], v[8:9], off offset:16
	v_add_co_ci_u32_e64 v13, null, s15, 0, s3
	s_or_b32 s2, vcc_lo, s2
	s_add_u32 s8, s8, s19
	v_add_co_u32 v1, s3, v1, s18
	s_addc_u32 s9, s9, 0
	s_add_u32 s14, s14, s19
	v_add_co_ci_u32_e64 v2, s3, 0, v2, s3
	s_addc_u32 s15, s15, 0
	s_and_b32 s2, exec_lo, s2
	s_delay_alu instid0(SALU_CYCLE_1)
	s_or_b32 s17, s2, s17
	s_waitcnt vmcnt(1)
	v_rndne_f64_e32 v[4:5], v[4:5]
	v_rndne_f64_e32 v[6:7], v[6:7]
	s_waitcnt vmcnt(0)
	v_rndne_f64_e32 v[8:9], v[8:9]
	v_rndne_f64_e32 v[10:11], v[10:11]
	s_clause 0x1
	global_store_b128 v[12:13], v[4:7], off
	global_store_b128 v[12:13], v[8:11], off offset:16
	s_and_not1_b32 exec_lo, exec_lo, s17
	s_cbranch_execnz .LBB258_3
.LBB258_4:
	s_set_inst_prefetch_distance 0x2
	s_or_b32 exec_lo, exec_lo, s16
	s_mov_b32 s2, 0
.LBB258_5:
	s_delay_alu instid0(SALU_CYCLE_1)
	s_and_not1_b32 vcc_lo, exec_lo, s2
	s_cbranch_vccnz .LBB258_25
; %bb.6:
	v_cmp_lt_i64_e64 s2, s[6:7], 1
	s_delay_alu instid0(VALU_DEP_1)
	s_and_b32 vcc_lo, exec_lo, s2
	s_cbranch_vccnz .LBB258_25
; %bb.7:
	s_load_b32 s0, s[0:1], 0xc5c
	v_dual_mov_b32 v2, 0 :: v_dual_lshlrev_b32 v1, 3, v0
	v_cmp_gt_u64_e64 s1, 0x10000, s[6:7]
	s_delay_alu instid0(VALU_DEP_2) | instskip(NEXT) | instid1(VALU_DEP_1)
	v_add_co_u32 v9, s2, s10, v1
	v_add_co_ci_u32_e64 v10, null, s11, 0, s2
	v_add_co_u32 v11, s2, s12, v1
	s_delay_alu instid0(VALU_DEP_1)
	v_add_co_ci_u32_e64 v12, null, s13, 0, s2
	s_waitcnt lgkmcnt(0)
	s_and_b32 s0, s0, 0xffff
	s_and_b32 s1, s1, exec_lo
	v_mad_u64_u32 v[3:4], null, s0, 24, v[1:2]
	s_cselect_b32 s9, s7, 0
	s_cselect_b32 s8, s6, 0x10000
	s_lshl_b32 s3, s0, 4
	s_mul_i32 s2, s0, 3
	v_add_co_u32 v1, s3, s3, v1
	s_delay_alu instid0(VALU_DEP_2) | instskip(NEXT) | instid1(VALU_DEP_3)
	v_add_co_u32 v13, vcc_lo, s10, v3
	v_add_co_ci_u32_e32 v14, vcc_lo, s11, v4, vcc_lo
	v_add_co_u32 v17, s2, s2, v0
	v_add_co_u32 v15, vcc_lo, s12, v3
	v_add_co_ci_u32_e64 v2, null, 0, 0, s3
	v_add_co_ci_u32_e64 v18, null, 0, 0, s2
	v_add_co_u32 v21, s2, v0, s0
	v_add_co_ci_u32_e32 v16, vcc_lo, s13, v4, vcc_lo
	v_add_co_u32 v19, vcc_lo, s10, v1
	v_add_co_ci_u32_e32 v20, vcc_lo, s11, v2, vcc_lo
	v_add_co_u32 v22, vcc_lo, s12, v1
	v_lshlrev_b32_e32 v1, 3, v21
	s_lshl_b32 s1, s0, 1
	v_add_co_ci_u32_e32 v23, vcc_lo, s13, v2, vcc_lo
	v_add_co_u32 v25, s1, s1, v0
	s_delay_alu instid0(VALU_DEP_1) | instskip(SKIP_1) | instid1(VALU_DEP_1)
	v_add_co_ci_u32_e64 v26, null, 0, 0, s1
	v_add_co_u32 v27, s1, s10, v1
	v_add_co_ci_u32_e64 v28, null, s11, 0, s1
	v_add_co_u32 v29, s1, s12, v1
	v_add_co_ci_u32_e64 v24, null, 0, 0, s2
	v_add_co_ci_u32_e64 v30, null, s13, 0, s1
	s_lshl_b32 s12, s0, 2
	s_lshl_b32 s13, s0, 5
	s_mov_b64 s[10:11], 0
	s_branch .LBB258_9
.LBB258_8:                              ;   in Loop: Header=BB258_9 Depth=1
	s_or_b32 exec_lo, exec_lo, s0
	v_add_co_u32 v9, vcc_lo, v9, s13
	v_add_co_ci_u32_e32 v10, vcc_lo, 0, v10, vcc_lo
	v_add_co_u32 v11, vcc_lo, v11, s13
	v_add_co_ci_u32_e32 v12, vcc_lo, 0, v12, vcc_lo
	v_add_co_u32 v13, vcc_lo, v13, s13
	v_add_co_ci_u32_e32 v14, vcc_lo, 0, v14, vcc_lo
	v_add_co_u32 v15, vcc_lo, v15, s13
	v_add_co_ci_u32_e32 v16, vcc_lo, 0, v16, vcc_lo
	v_add_co_u32 v19, vcc_lo, v19, s13
	v_add_co_ci_u32_e32 v20, vcc_lo, 0, v20, vcc_lo
	s_add_u32 s10, s10, s12
	v_add_co_u32 v22, vcc_lo, v22, s13
	s_addc_u32 s11, s11, 0
	v_add_co_ci_u32_e32 v23, vcc_lo, 0, v23, vcc_lo
	v_cmp_ge_i64_e64 s0, s[10:11], s[6:7]
	v_cmp_lt_u64_e64 s1, 0xffff, s[10:11]
	v_add_co_u32 v27, vcc_lo, v27, s13
	v_add_co_ci_u32_e32 v28, vcc_lo, 0, v28, vcc_lo
	v_add_co_u32 v29, vcc_lo, v29, s13
	v_add_co_ci_u32_e32 v30, vcc_lo, 0, v30, vcc_lo
	s_or_b32 s0, s0, s1
	s_delay_alu instid0(SALU_CYCLE_1)
	s_and_b32 vcc_lo, exec_lo, s0
	s_cbranch_vccnz .LBB258_25
.LBB258_9:                              ; =>This Inner Loop Header: Depth=1
	s_waitcnt vmcnt(0)
	v_add_co_u32 v3, s0, v0, s10
	s_delay_alu instid0(VALU_DEP_1) | instskip(SKIP_2) | instid1(VALU_DEP_3)
	v_add_co_ci_u32_e64 v4, null, 0, s11, s0
	v_mov_b32_e32 v1, 0
	v_mov_b32_e32 v2, 0
	v_cmp_gt_u64_e32 vcc_lo, s[8:9], v[3:4]
	s_delay_alu instid0(VALU_DEP_2)
	v_dual_mov_b32 v4, v2 :: v_dual_mov_b32 v3, v1
	s_and_saveexec_b32 s1, vcc_lo
	s_cbranch_execz .LBB258_11
; %bb.10:                               ;   in Loop: Header=BB258_9 Depth=1
	v_add_co_u32 v3, s0, v9, s4
	s_delay_alu instid0(VALU_DEP_1)
	v_add_co_ci_u32_e64 v4, s0, s5, v10, s0
	global_load_b64 v[3:4], v[3:4], off
.LBB258_11:                             ;   in Loop: Header=BB258_9 Depth=1
	s_or_b32 exec_lo, exec_lo, s1
	v_add_co_u32 v5, s0, v21, s10
	s_delay_alu instid0(VALU_DEP_1) | instskip(NEXT) | instid1(VALU_DEP_1)
	v_add_co_ci_u32_e64 v6, s0, s11, v24, s0
	v_cmp_gt_u64_e64 s0, s[8:9], v[5:6]
	s_delay_alu instid0(VALU_DEP_1)
	s_and_saveexec_b32 s2, s0
	s_cbranch_execz .LBB258_13
; %bb.12:                               ;   in Loop: Header=BB258_9 Depth=1
	v_add_co_u32 v1, s1, v27, s4
	s_delay_alu instid0(VALU_DEP_1)
	v_add_co_ci_u32_e64 v2, s1, s5, v28, s1
	global_load_b64 v[1:2], v[1:2], off
.LBB258_13:                             ;   in Loop: Header=BB258_9 Depth=1
	s_or_b32 exec_lo, exec_lo, s2
	v_add_co_u32 v7, s1, v25, s10
	s_delay_alu instid0(VALU_DEP_1) | instskip(SKIP_2) | instid1(VALU_DEP_3)
	v_add_co_ci_u32_e64 v8, s1, s11, v26, s1
	v_mov_b32_e32 v5, 0
	v_mov_b32_e32 v6, 0
	v_cmp_gt_u64_e64 s1, s[8:9], v[7:8]
	s_delay_alu instid0(VALU_DEP_2) | instskip(NEXT) | instid1(VALU_DEP_2)
	v_dual_mov_b32 v8, v6 :: v_dual_mov_b32 v7, v5
	s_and_saveexec_b32 s3, s1
	s_cbranch_execz .LBB258_15
; %bb.14:                               ;   in Loop: Header=BB258_9 Depth=1
	v_add_co_u32 v7, s2, v19, s4
	s_delay_alu instid0(VALU_DEP_1)
	v_add_co_ci_u32_e64 v8, s2, s5, v20, s2
	global_load_b64 v[7:8], v[7:8], off
.LBB258_15:                             ;   in Loop: Header=BB258_9 Depth=1
	s_or_b32 exec_lo, exec_lo, s3
	v_add_co_u32 v31, s2, v17, s10
	s_delay_alu instid0(VALU_DEP_1) | instskip(NEXT) | instid1(VALU_DEP_1)
	v_add_co_ci_u32_e64 v32, s2, s11, v18, s2
	v_cmp_gt_u64_e64 s2, s[8:9], v[31:32]
	s_delay_alu instid0(VALU_DEP_1)
	s_and_saveexec_b32 s14, s2
	s_cbranch_execnz .LBB258_20
; %bb.16:                               ;   in Loop: Header=BB258_9 Depth=1
	s_or_b32 exec_lo, exec_lo, s14
	s_and_saveexec_b32 s3, vcc_lo
	s_cbranch_execnz .LBB258_21
.LBB258_17:                             ;   in Loop: Header=BB258_9 Depth=1
	s_or_b32 exec_lo, exec_lo, s3
	s_and_saveexec_b32 s3, s0
	s_cbranch_execnz .LBB258_22
.LBB258_18:                             ;   in Loop: Header=BB258_9 Depth=1
	s_or_b32 exec_lo, exec_lo, s3
	s_and_saveexec_b32 s0, s1
	s_cbranch_execnz .LBB258_23
.LBB258_19:                             ;   in Loop: Header=BB258_9 Depth=1
	s_or_b32 exec_lo, exec_lo, s0
	s_and_saveexec_b32 s0, s2
	s_cbranch_execz .LBB258_8
	s_branch .LBB258_24
.LBB258_20:                             ;   in Loop: Header=BB258_9 Depth=1
	v_add_co_u32 v5, s3, v13, s4
	s_delay_alu instid0(VALU_DEP_1)
	v_add_co_ci_u32_e64 v6, s3, s5, v14, s3
	global_load_b64 v[5:6], v[5:6], off
	s_or_b32 exec_lo, exec_lo, s14
	s_and_saveexec_b32 s3, vcc_lo
	s_cbranch_execz .LBB258_17
.LBB258_21:                             ;   in Loop: Header=BB258_9 Depth=1
	s_waitcnt vmcnt(0)
	v_rndne_f64_e32 v[3:4], v[3:4]
	v_add_co_u32 v31, vcc_lo, v11, s4
	v_add_co_ci_u32_e32 v32, vcc_lo, s5, v12, vcc_lo
	global_store_b64 v[31:32], v[3:4], off
	s_or_b32 exec_lo, exec_lo, s3
	s_and_saveexec_b32 s3, s0
	s_cbranch_execz .LBB258_18
.LBB258_22:                             ;   in Loop: Header=BB258_9 Depth=1
	s_waitcnt vmcnt(0)
	v_rndne_f64_e32 v[1:2], v[1:2]
	v_add_co_u32 v3, vcc_lo, v29, s4
	v_add_co_ci_u32_e32 v4, vcc_lo, s5, v30, vcc_lo
	global_store_b64 v[3:4], v[1:2], off
	s_or_b32 exec_lo, exec_lo, s3
	s_and_saveexec_b32 s0, s1
	s_cbranch_execz .LBB258_19
.LBB258_23:                             ;   in Loop: Header=BB258_9 Depth=1
	s_waitcnt vmcnt(0)
	v_rndne_f64_e32 v[1:2], v[7:8]
	v_add_co_u32 v3, vcc_lo, v22, s4
	v_add_co_ci_u32_e32 v4, vcc_lo, s5, v23, vcc_lo
	global_store_b64 v[3:4], v[1:2], off
	s_or_b32 exec_lo, exec_lo, s0
	s_and_saveexec_b32 s0, s2
	s_cbranch_execz .LBB258_8
.LBB258_24:                             ;   in Loop: Header=BB258_9 Depth=1
	s_waitcnt vmcnt(0)
	v_rndne_f64_e32 v[1:2], v[5:6]
	v_add_co_u32 v3, vcc_lo, v15, s4
	v_add_co_ci_u32_e32 v4, vcc_lo, s5, v16, vcc_lo
	global_store_b64 v[3:4], v[1:2], off
	s_branch .LBB258_8
.LBB258_25:
	s_nop 0
	s_sendmsg sendmsg(MSG_DEALLOC_VGPRS)
	s_endpgm
	.section	.rodata,"a",@progbits
	.p2align	6, 0x0
	.amdhsa_kernel _ZN2at6native12_GLOBAL__N_125multi_tensor_apply_kernelINS1_18TensorListMetadataILi2EEENS1_14UnaryOpFunctorIdLi2ELi1ELi1EEEJNS0_5RoundIdEEEEEvT_T0_DpT1_
		.amdhsa_group_segment_fixed_size 0
		.amdhsa_private_segment_fixed_size 0
		.amdhsa_kernarg_size 3408
		.amdhsa_user_sgpr_count 15
		.amdhsa_user_sgpr_dispatch_ptr 0
		.amdhsa_user_sgpr_queue_ptr 0
		.amdhsa_user_sgpr_kernarg_segment_ptr 1
		.amdhsa_user_sgpr_dispatch_id 0
		.amdhsa_user_sgpr_private_segment_size 0
		.amdhsa_wavefront_size32 1
		.amdhsa_uses_dynamic_stack 0
		.amdhsa_enable_private_segment 0
		.amdhsa_system_sgpr_workgroup_id_x 1
		.amdhsa_system_sgpr_workgroup_id_y 0
		.amdhsa_system_sgpr_workgroup_id_z 0
		.amdhsa_system_sgpr_workgroup_info 0
		.amdhsa_system_vgpr_workitem_id 0
		.amdhsa_next_free_vgpr 33
		.amdhsa_next_free_sgpr 22
		.amdhsa_reserve_vcc 1
		.amdhsa_float_round_mode_32 0
		.amdhsa_float_round_mode_16_64 0
		.amdhsa_float_denorm_mode_32 3
		.amdhsa_float_denorm_mode_16_64 3
		.amdhsa_dx10_clamp 1
		.amdhsa_ieee_mode 1
		.amdhsa_fp16_overflow 0
		.amdhsa_workgroup_processor_mode 1
		.amdhsa_memory_ordered 1
		.amdhsa_forward_progress 0
		.amdhsa_shared_vgpr_count 0
		.amdhsa_exception_fp_ieee_invalid_op 0
		.amdhsa_exception_fp_denorm_src 0
		.amdhsa_exception_fp_ieee_div_zero 0
		.amdhsa_exception_fp_ieee_overflow 0
		.amdhsa_exception_fp_ieee_underflow 0
		.amdhsa_exception_fp_ieee_inexact 0
		.amdhsa_exception_int_div_zero 0
	.end_amdhsa_kernel
	.section	.text._ZN2at6native12_GLOBAL__N_125multi_tensor_apply_kernelINS1_18TensorListMetadataILi2EEENS1_14UnaryOpFunctorIdLi2ELi1ELi1EEEJNS0_5RoundIdEEEEEvT_T0_DpT1_,"axG",@progbits,_ZN2at6native12_GLOBAL__N_125multi_tensor_apply_kernelINS1_18TensorListMetadataILi2EEENS1_14UnaryOpFunctorIdLi2ELi1ELi1EEEJNS0_5RoundIdEEEEEvT_T0_DpT1_,comdat
.Lfunc_end258:
	.size	_ZN2at6native12_GLOBAL__N_125multi_tensor_apply_kernelINS1_18TensorListMetadataILi2EEENS1_14UnaryOpFunctorIdLi2ELi1ELi1EEEJNS0_5RoundIdEEEEEvT_T0_DpT1_, .Lfunc_end258-_ZN2at6native12_GLOBAL__N_125multi_tensor_apply_kernelINS1_18TensorListMetadataILi2EEENS1_14UnaryOpFunctorIdLi2ELi1ELi1EEEJNS0_5RoundIdEEEEEvT_T0_DpT1_
                                        ; -- End function
	.section	.AMDGPU.csdata,"",@progbits
; Kernel info:
; codeLenInByte = 1448
; NumSgprs: 24
; NumVgprs: 33
; ScratchSize: 0
; MemoryBound: 0
; FloatMode: 240
; IeeeMode: 1
; LDSByteSize: 0 bytes/workgroup (compile time only)
; SGPRBlocks: 2
; VGPRBlocks: 4
; NumSGPRsForWavesPerEU: 24
; NumVGPRsForWavesPerEU: 33
; Occupancy: 16
; WaveLimiterHint : 0
; COMPUTE_PGM_RSRC2:SCRATCH_EN: 0
; COMPUTE_PGM_RSRC2:USER_SGPR: 15
; COMPUTE_PGM_RSRC2:TRAP_HANDLER: 0
; COMPUTE_PGM_RSRC2:TGID_X_EN: 1
; COMPUTE_PGM_RSRC2:TGID_Y_EN: 0
; COMPUTE_PGM_RSRC2:TGID_Z_EN: 0
; COMPUTE_PGM_RSRC2:TIDIG_COMP_CNT: 0
	.section	.text._ZN2at6native12_GLOBAL__N_125multi_tensor_apply_kernelINS1_18TensorListMetadataILi2EEENS1_14UnaryOpFunctorIfLi2ELi1ELi1EEEJNS0_5RoundIfEEEEEvT_T0_DpT1_,"axG",@progbits,_ZN2at6native12_GLOBAL__N_125multi_tensor_apply_kernelINS1_18TensorListMetadataILi2EEENS1_14UnaryOpFunctorIfLi2ELi1ELi1EEEJNS0_5RoundIfEEEEEvT_T0_DpT1_,comdat
	.globl	_ZN2at6native12_GLOBAL__N_125multi_tensor_apply_kernelINS1_18TensorListMetadataILi2EEENS1_14UnaryOpFunctorIfLi2ELi1ELi1EEEJNS0_5RoundIfEEEEEvT_T0_DpT1_ ; -- Begin function _ZN2at6native12_GLOBAL__N_125multi_tensor_apply_kernelINS1_18TensorListMetadataILi2EEENS1_14UnaryOpFunctorIfLi2ELi1ELi1EEEJNS0_5RoundIfEEEEEvT_T0_DpT1_
	.p2align	8
	.type	_ZN2at6native12_GLOBAL__N_125multi_tensor_apply_kernelINS1_18TensorListMetadataILi2EEENS1_14UnaryOpFunctorIfLi2ELi1ELi1EEEJNS0_5RoundIfEEEEEvT_T0_DpT1_,@function
_ZN2at6native12_GLOBAL__N_125multi_tensor_apply_kernelINS1_18TensorListMetadataILi2EEENS1_14UnaryOpFunctorIfLi2ELi1ELi1EEEJNS0_5RoundIfEEEEEvT_T0_DpT1_: ; @_ZN2at6native12_GLOBAL__N_125multi_tensor_apply_kernelINS1_18TensorListMetadataILi2EEENS1_14UnaryOpFunctorIfLi2ELi1ELi1EEEJNS0_5RoundIfEEEEEvT_T0_DpT1_
; %bb.0:
	v_mov_b32_e32 v1, s15
	s_add_u32 s2, s0, s15
	s_mul_hi_u32 s3, s15, 3
	s_mul_i32 s15, s15, 3
	s_addc_u32 s4, s1, 0
	global_load_u8 v1, v1, s[0:1] offset:1536
	s_add_u32 s2, s2, s15
	s_addc_u32 s3, s4, s3
	s_mov_b32 s17, 0
	s_load_b32 s2, s[2:3], 0x740
	s_mov_b32 s19, s17
	s_mov_b32 s21, s17
	s_waitcnt vmcnt(0)
	v_readfirstlane_b32 s5, v1
	s_delay_alu instid0(VALU_DEP_1)
	s_lshl_b32 s3, s5, 3
	s_clause 0x2
	s_load_b64 s[10:11], s[0:1], s3 offset:0x0
	s_load_b64 s[12:13], s[0:1], s3 offset:0x200
	;; [unrolled: 1-line block ×3, first 2 shown]
	s_waitcnt lgkmcnt(0)
	s_ashr_i32 s3, s2, 31
	s_delay_alu instid0(SALU_CYCLE_1) | instskip(NEXT) | instid1(SALU_CYCLE_1)
	s_lshl_b64 s[4:5], s[2:3], 18
	s_add_u32 s8, s10, s4
	s_addc_u32 s9, s11, s5
	s_and_b32 s16, s8, 15
	s_add_u32 s14, s12, s4
	s_addc_u32 s15, s13, s5
	s_and_b32 s18, s6, 3
	s_and_b32 s20, s14, 15
	s_or_b64 s[16:17], s[16:17], s[18:19]
	s_lshl_b64 s[2:3], s[2:3], 16
	s_or_b64 s[16:17], s[20:21], s[16:17]
	s_sub_u32 s6, s6, s2
	s_subb_u32 s7, s7, s3
	s_cmp_eq_u64 s[16:17], 0
	s_mov_b32 s2, -1
	s_cbranch_scc0 .LBB259_5
; %bb.1:
	v_dual_mov_b32 v2, 0 :: v_dual_lshlrev_b32 v1, 2, v0
	s_mov_b32 s16, exec_lo
	s_delay_alu instid0(VALU_DEP_1)
	v_cmpx_gt_i64_e64 s[6:7], v[1:2]
	s_cbranch_execz .LBB259_4
; %bb.2:
	s_load_b32 s2, s[0:1], 0xc5c
	v_lshlrev_b32_e32 v3, 4, v0
	s_mov_b32 s17, 0
	s_waitcnt lgkmcnt(0)
	s_and_b32 s2, s2, 0xffff
	s_delay_alu instid0(SALU_CYCLE_1)
	v_add_lshl_u32 v1, v0, s2, 2
	s_lshl_b32 s18, s2, 2
	s_lshl_b32 s19, s2, 4
	s_set_inst_prefetch_distance 0x1
	.p2align	6
.LBB259_3:                              ; =>This Inner Loop Header: Depth=1
	v_add_co_u32 v4, s2, s8, v3
	s_delay_alu instid0(VALU_DEP_1)
	v_add_co_ci_u32_e64 v5, null, s9, 0, s2
	v_cmp_le_i64_e32 vcc_lo, s[6:7], v[1:2]
	v_cmp_lt_u64_e64 s2, 0xffff, v[1:2]
	v_add_co_u32 v8, s3, s14, v3
	global_load_b128 v[4:7], v[4:5], off
	v_add_co_ci_u32_e64 v9, null, s15, 0, s3
	s_or_b32 s2, vcc_lo, s2
	s_add_u32 s8, s8, s19
	v_add_co_u32 v1, s3, v1, s18
	s_addc_u32 s9, s9, 0
	s_add_u32 s14, s14, s19
	v_add_co_ci_u32_e64 v2, s3, 0, v2, s3
	s_addc_u32 s15, s15, 0
	s_and_b32 s2, exec_lo, s2
	s_delay_alu instid0(SALU_CYCLE_1)
	s_or_b32 s17, s2, s17
	s_waitcnt vmcnt(0)
	v_rndne_f32_e32 v4, v4
	v_rndne_f32_e32 v5, v5
	;; [unrolled: 1-line block ×4, first 2 shown]
	global_store_b128 v[8:9], v[4:7], off
	s_and_not1_b32 exec_lo, exec_lo, s17
	s_cbranch_execnz .LBB259_3
.LBB259_4:
	s_set_inst_prefetch_distance 0x2
	s_or_b32 exec_lo, exec_lo, s16
	s_mov_b32 s2, 0
.LBB259_5:
	s_delay_alu instid0(SALU_CYCLE_1)
	s_and_not1_b32 vcc_lo, exec_lo, s2
	s_cbranch_vccnz .LBB259_25
; %bb.6:
	v_cmp_lt_i64_e64 s2, s[6:7], 1
	s_delay_alu instid0(VALU_DEP_1)
	s_and_b32 vcc_lo, exec_lo, s2
	s_cbranch_vccnz .LBB259_25
; %bb.7:
	s_load_b32 s0, s[0:1], 0xc5c
	v_dual_mov_b32 v10, 0 :: v_dual_lshlrev_b32 v9, 2, v0
	v_cmp_gt_u64_e64 s1, 0x10000, s[6:7]
	s_delay_alu instid0(VALU_DEP_2) | instskip(NEXT) | instid1(VALU_DEP_1)
	v_add_co_u32 v1, s2, s10, v9
	v_add_co_ci_u32_e64 v2, null, s11, 0, s2
	v_add_co_u32 v3, s2, s12, v9
	s_delay_alu instid0(VALU_DEP_1)
	v_add_co_ci_u32_e64 v4, null, s13, 0, s2
	s_waitcnt lgkmcnt(0)
	s_and_b32 s0, s0, 0xffff
	s_and_b32 s1, s1, exec_lo
	v_mad_u64_u32 v[7:8], null, s0, 12, v[9:10]
	s_cselect_b32 s9, s7, 0
	s_cselect_b32 s8, s6, 0x10000
	s_mul_i32 s2, s0, 3
	s_lshl_b32 s3, s0, 3
	s_lshl_b32 s1, s0, 1
	v_add_co_u32 v14, s3, s3, v9
	v_add_co_u32 v9, s2, s2, v0
	s_delay_alu instid0(VALU_DEP_1) | instskip(SKIP_3) | instid1(VALU_DEP_3)
	v_add_co_ci_u32_e64 v10, null, 0, 0, s2
	v_add_co_u32 v13, s2, v0, s0
	v_add_co_u32 v5, vcc_lo, s10, v7
	v_add_co_ci_u32_e32 v6, vcc_lo, s11, v8, vcc_lo
	v_lshlrev_b32_e32 v21, 2, v13
	v_add_co_u32 v7, vcc_lo, s12, v7
	v_add_co_ci_u32_e64 v15, null, 0, 0, s3
	v_add_co_ci_u32_e32 v8, vcc_lo, s13, v8, vcc_lo
	v_add_co_u32 v17, s1, s1, v0
	v_add_co_u32 v11, vcc_lo, s10, v14
	v_add_co_ci_u32_e64 v18, null, 0, 0, s1
	v_add_co_u32 v19, s1, s10, v21
	v_add_co_ci_u32_e32 v12, vcc_lo, s11, v15, vcc_lo
	v_add_co_u32 v14, vcc_lo, s12, v14
	v_add_co_ci_u32_e64 v20, null, s11, 0, s1
	v_add_co_u32 v21, s1, s12, v21
	v_add_co_ci_u32_e32 v15, vcc_lo, s13, v15, vcc_lo
	v_add_co_ci_u32_e64 v16, null, 0, 0, s2
	v_add_co_ci_u32_e64 v22, null, s13, 0, s1
	s_lshl_b32 s12, s0, 2
	s_lshl_b32 s13, s0, 4
	s_mov_b64 s[10:11], 0
	s_branch .LBB259_9
.LBB259_8:                              ;   in Loop: Header=BB259_9 Depth=1
	s_or_b32 exec_lo, exec_lo, s0
	v_add_co_u32 v1, vcc_lo, v1, s13
	v_add_co_ci_u32_e32 v2, vcc_lo, 0, v2, vcc_lo
	v_add_co_u32 v3, vcc_lo, v3, s13
	v_add_co_ci_u32_e32 v4, vcc_lo, 0, v4, vcc_lo
	;; [unrolled: 2-line block ×5, first 2 shown]
	s_add_u32 s10, s10, s12
	v_add_co_u32 v14, vcc_lo, v14, s13
	s_addc_u32 s11, s11, 0
	v_add_co_ci_u32_e32 v15, vcc_lo, 0, v15, vcc_lo
	v_cmp_ge_i64_e64 s0, s[10:11], s[6:7]
	v_cmp_lt_u64_e64 s1, 0xffff, s[10:11]
	v_add_co_u32 v19, vcc_lo, v19, s13
	v_add_co_ci_u32_e32 v20, vcc_lo, 0, v20, vcc_lo
	v_add_co_u32 v21, vcc_lo, v21, s13
	v_add_co_ci_u32_e32 v22, vcc_lo, 0, v22, vcc_lo
	s_or_b32 s0, s0, s1
	s_delay_alu instid0(SALU_CYCLE_1)
	s_and_b32 vcc_lo, exec_lo, s0
	s_cbranch_vccnz .LBB259_25
.LBB259_9:                              ; =>This Inner Loop Header: Depth=1
	s_waitcnt vmcnt(0)
	v_add_co_u32 v23, s0, v0, s10
	s_delay_alu instid0(VALU_DEP_1) | instskip(NEXT) | instid1(VALU_DEP_1)
	v_add_co_ci_u32_e64 v24, null, 0, s11, s0
	v_cmp_gt_u64_e32 vcc_lo, s[8:9], v[23:24]
	v_mov_b32_e32 v23, 0
	s_and_saveexec_b32 s1, vcc_lo
	s_cbranch_execz .LBB259_11
; %bb.10:                               ;   in Loop: Header=BB259_9 Depth=1
	v_add_co_u32 v23, s0, v1, s4
	s_delay_alu instid0(VALU_DEP_1)
	v_add_co_ci_u32_e64 v24, s0, s5, v2, s0
	global_load_b32 v23, v[23:24], off
.LBB259_11:                             ;   in Loop: Header=BB259_9 Depth=1
	s_or_b32 exec_lo, exec_lo, s1
	v_add_co_u32 v24, s0, v13, s10
	s_delay_alu instid0(VALU_DEP_1) | instskip(NEXT) | instid1(VALU_DEP_1)
	v_add_co_ci_u32_e64 v25, s0, s11, v16, s0
	v_cmp_gt_u64_e64 s0, s[8:9], v[24:25]
	v_mov_b32_e32 v25, 0
	s_delay_alu instid0(VALU_DEP_2)
	s_and_saveexec_b32 s2, s0
	s_cbranch_execz .LBB259_13
; %bb.12:                               ;   in Loop: Header=BB259_9 Depth=1
	v_add_co_u32 v24, s1, v19, s4
	s_delay_alu instid0(VALU_DEP_1)
	v_add_co_ci_u32_e64 v25, s1, s5, v20, s1
	global_load_b32 v25, v[24:25], off
.LBB259_13:                             ;   in Loop: Header=BB259_9 Depth=1
	s_or_b32 exec_lo, exec_lo, s2
	v_add_co_u32 v26, s1, v17, s10
	s_delay_alu instid0(VALU_DEP_1) | instskip(SKIP_1) | instid1(VALU_DEP_2)
	v_add_co_ci_u32_e64 v27, s1, s11, v18, s1
	v_mov_b32_e32 v24, 0
	v_cmp_gt_u64_e64 s1, s[8:9], v[26:27]
	v_mov_b32_e32 v26, 0
	s_delay_alu instid0(VALU_DEP_2)
	s_and_saveexec_b32 s3, s1
	s_cbranch_execz .LBB259_15
; %bb.14:                               ;   in Loop: Header=BB259_9 Depth=1
	v_add_co_u32 v26, s2, v11, s4
	s_delay_alu instid0(VALU_DEP_1)
	v_add_co_ci_u32_e64 v27, s2, s5, v12, s2
	global_load_b32 v26, v[26:27], off
.LBB259_15:                             ;   in Loop: Header=BB259_9 Depth=1
	s_or_b32 exec_lo, exec_lo, s3
	v_add_co_u32 v27, s2, v9, s10
	s_delay_alu instid0(VALU_DEP_1) | instskip(NEXT) | instid1(VALU_DEP_1)
	v_add_co_ci_u32_e64 v28, s2, s11, v10, s2
	v_cmp_gt_u64_e64 s2, s[8:9], v[27:28]
	s_delay_alu instid0(VALU_DEP_1)
	s_and_saveexec_b32 s14, s2
	s_cbranch_execnz .LBB259_20
; %bb.16:                               ;   in Loop: Header=BB259_9 Depth=1
	s_or_b32 exec_lo, exec_lo, s14
	s_and_saveexec_b32 s3, vcc_lo
	s_cbranch_execnz .LBB259_21
.LBB259_17:                             ;   in Loop: Header=BB259_9 Depth=1
	s_or_b32 exec_lo, exec_lo, s3
	s_and_saveexec_b32 s3, s0
	s_cbranch_execnz .LBB259_22
.LBB259_18:                             ;   in Loop: Header=BB259_9 Depth=1
	s_or_b32 exec_lo, exec_lo, s3
	s_and_saveexec_b32 s0, s1
	s_cbranch_execnz .LBB259_23
.LBB259_19:                             ;   in Loop: Header=BB259_9 Depth=1
	s_or_b32 exec_lo, exec_lo, s0
	s_and_saveexec_b32 s0, s2
	s_cbranch_execz .LBB259_8
	s_branch .LBB259_24
.LBB259_20:                             ;   in Loop: Header=BB259_9 Depth=1
	v_add_co_u32 v27, s3, v5, s4
	s_delay_alu instid0(VALU_DEP_1)
	v_add_co_ci_u32_e64 v28, s3, s5, v6, s3
	global_load_b32 v24, v[27:28], off
	s_or_b32 exec_lo, exec_lo, s14
	s_and_saveexec_b32 s3, vcc_lo
	s_cbranch_execz .LBB259_17
.LBB259_21:                             ;   in Loop: Header=BB259_9 Depth=1
	v_add_co_u32 v27, vcc_lo, v3, s4
	v_add_co_ci_u32_e32 v28, vcc_lo, s5, v4, vcc_lo
	s_waitcnt vmcnt(0)
	v_rndne_f32_e32 v23, v23
	global_store_b32 v[27:28], v23, off
	s_or_b32 exec_lo, exec_lo, s3
	s_and_saveexec_b32 s3, s0
	s_cbranch_execz .LBB259_18
.LBB259_22:                             ;   in Loop: Header=BB259_9 Depth=1
	v_add_co_u32 v27, vcc_lo, v21, s4
	s_waitcnt vmcnt(0)
	v_rndne_f32_e32 v23, v25
	v_add_co_ci_u32_e32 v28, vcc_lo, s5, v22, vcc_lo
	global_store_b32 v[27:28], v23, off
	s_or_b32 exec_lo, exec_lo, s3
	s_and_saveexec_b32 s0, s1
	s_cbranch_execz .LBB259_19
.LBB259_23:                             ;   in Loop: Header=BB259_9 Depth=1
	s_waitcnt vmcnt(0)
	v_add_co_u32 v25, vcc_lo, v14, s4
	v_rndne_f32_e32 v23, v26
	v_add_co_ci_u32_e32 v26, vcc_lo, s5, v15, vcc_lo
	global_store_b32 v[25:26], v23, off
	s_or_b32 exec_lo, exec_lo, s0
	s_and_saveexec_b32 s0, s2
	s_cbranch_execz .LBB259_8
.LBB259_24:                             ;   in Loop: Header=BB259_9 Depth=1
	s_waitcnt vmcnt(0)
	v_add_co_u32 v23, vcc_lo, v7, s4
	v_rndne_f32_e32 v25, v24
	v_add_co_ci_u32_e32 v24, vcc_lo, s5, v8, vcc_lo
	global_store_b32 v[23:24], v25, off
	s_branch .LBB259_8
.LBB259_25:
	s_nop 0
	s_sendmsg sendmsg(MSG_DEALLOC_VGPRS)
	s_endpgm
	.section	.rodata,"a",@progbits
	.p2align	6, 0x0
	.amdhsa_kernel _ZN2at6native12_GLOBAL__N_125multi_tensor_apply_kernelINS1_18TensorListMetadataILi2EEENS1_14UnaryOpFunctorIfLi2ELi1ELi1EEEJNS0_5RoundIfEEEEEvT_T0_DpT1_
		.amdhsa_group_segment_fixed_size 0
		.amdhsa_private_segment_fixed_size 0
		.amdhsa_kernarg_size 3408
		.amdhsa_user_sgpr_count 15
		.amdhsa_user_sgpr_dispatch_ptr 0
		.amdhsa_user_sgpr_queue_ptr 0
		.amdhsa_user_sgpr_kernarg_segment_ptr 1
		.amdhsa_user_sgpr_dispatch_id 0
		.amdhsa_user_sgpr_private_segment_size 0
		.amdhsa_wavefront_size32 1
		.amdhsa_uses_dynamic_stack 0
		.amdhsa_enable_private_segment 0
		.amdhsa_system_sgpr_workgroup_id_x 1
		.amdhsa_system_sgpr_workgroup_id_y 0
		.amdhsa_system_sgpr_workgroup_id_z 0
		.amdhsa_system_sgpr_workgroup_info 0
		.amdhsa_system_vgpr_workitem_id 0
		.amdhsa_next_free_vgpr 29
		.amdhsa_next_free_sgpr 22
		.amdhsa_reserve_vcc 1
		.amdhsa_float_round_mode_32 0
		.amdhsa_float_round_mode_16_64 0
		.amdhsa_float_denorm_mode_32 3
		.amdhsa_float_denorm_mode_16_64 3
		.amdhsa_dx10_clamp 1
		.amdhsa_ieee_mode 1
		.amdhsa_fp16_overflow 0
		.amdhsa_workgroup_processor_mode 1
		.amdhsa_memory_ordered 1
		.amdhsa_forward_progress 0
		.amdhsa_shared_vgpr_count 0
		.amdhsa_exception_fp_ieee_invalid_op 0
		.amdhsa_exception_fp_denorm_src 0
		.amdhsa_exception_fp_ieee_div_zero 0
		.amdhsa_exception_fp_ieee_overflow 0
		.amdhsa_exception_fp_ieee_underflow 0
		.amdhsa_exception_fp_ieee_inexact 0
		.amdhsa_exception_int_div_zero 0
	.end_amdhsa_kernel
	.section	.text._ZN2at6native12_GLOBAL__N_125multi_tensor_apply_kernelINS1_18TensorListMetadataILi2EEENS1_14UnaryOpFunctorIfLi2ELi1ELi1EEEJNS0_5RoundIfEEEEEvT_T0_DpT1_,"axG",@progbits,_ZN2at6native12_GLOBAL__N_125multi_tensor_apply_kernelINS1_18TensorListMetadataILi2EEENS1_14UnaryOpFunctorIfLi2ELi1ELi1EEEJNS0_5RoundIfEEEEEvT_T0_DpT1_,comdat
.Lfunc_end259:
	.size	_ZN2at6native12_GLOBAL__N_125multi_tensor_apply_kernelINS1_18TensorListMetadataILi2EEENS1_14UnaryOpFunctorIfLi2ELi1ELi1EEEJNS0_5RoundIfEEEEEvT_T0_DpT1_, .Lfunc_end259-_ZN2at6native12_GLOBAL__N_125multi_tensor_apply_kernelINS1_18TensorListMetadataILi2EEENS1_14UnaryOpFunctorIfLi2ELi1ELi1EEEJNS0_5RoundIfEEEEEvT_T0_DpT1_
                                        ; -- End function
	.section	.AMDGPU.csdata,"",@progbits
; Kernel info:
; codeLenInByte = 1396
; NumSgprs: 24
; NumVgprs: 29
; ScratchSize: 0
; MemoryBound: 0
; FloatMode: 240
; IeeeMode: 1
; LDSByteSize: 0 bytes/workgroup (compile time only)
; SGPRBlocks: 2
; VGPRBlocks: 3
; NumSGPRsForWavesPerEU: 24
; NumVGPRsForWavesPerEU: 29
; Occupancy: 16
; WaveLimiterHint : 0
; COMPUTE_PGM_RSRC2:SCRATCH_EN: 0
; COMPUTE_PGM_RSRC2:USER_SGPR: 15
; COMPUTE_PGM_RSRC2:TRAP_HANDLER: 0
; COMPUTE_PGM_RSRC2:TGID_X_EN: 1
; COMPUTE_PGM_RSRC2:TGID_Y_EN: 0
; COMPUTE_PGM_RSRC2:TGID_Z_EN: 0
; COMPUTE_PGM_RSRC2:TIDIG_COMP_CNT: 0
	.section	.text._ZN2at6native12_GLOBAL__N_125multi_tensor_apply_kernelINS1_18TensorListMetadataILi2EEENS1_14UnaryOpFunctorIN3c104HalfELi2ELi1ELi1EEEJNS0_5RoundIfEEEEEvT_T0_DpT1_,"axG",@progbits,_ZN2at6native12_GLOBAL__N_125multi_tensor_apply_kernelINS1_18TensorListMetadataILi2EEENS1_14UnaryOpFunctorIN3c104HalfELi2ELi1ELi1EEEJNS0_5RoundIfEEEEEvT_T0_DpT1_,comdat
	.globl	_ZN2at6native12_GLOBAL__N_125multi_tensor_apply_kernelINS1_18TensorListMetadataILi2EEENS1_14UnaryOpFunctorIN3c104HalfELi2ELi1ELi1EEEJNS0_5RoundIfEEEEEvT_T0_DpT1_ ; -- Begin function _ZN2at6native12_GLOBAL__N_125multi_tensor_apply_kernelINS1_18TensorListMetadataILi2EEENS1_14UnaryOpFunctorIN3c104HalfELi2ELi1ELi1EEEJNS0_5RoundIfEEEEEvT_T0_DpT1_
	.p2align	8
	.type	_ZN2at6native12_GLOBAL__N_125multi_tensor_apply_kernelINS1_18TensorListMetadataILi2EEENS1_14UnaryOpFunctorIN3c104HalfELi2ELi1ELi1EEEJNS0_5RoundIfEEEEEvT_T0_DpT1_,@function
_ZN2at6native12_GLOBAL__N_125multi_tensor_apply_kernelINS1_18TensorListMetadataILi2EEENS1_14UnaryOpFunctorIN3c104HalfELi2ELi1ELi1EEEJNS0_5RoundIfEEEEEvT_T0_DpT1_: ; @_ZN2at6native12_GLOBAL__N_125multi_tensor_apply_kernelINS1_18TensorListMetadataILi2EEENS1_14UnaryOpFunctorIN3c104HalfELi2ELi1ELi1EEEJNS0_5RoundIfEEEEEvT_T0_DpT1_
; %bb.0:
	v_mov_b32_e32 v1, s15
	s_add_u32 s2, s0, s15
	s_mul_hi_u32 s3, s15, 3
	s_mul_i32 s15, s15, 3
	s_addc_u32 s4, s1, 0
	global_load_u8 v1, v1, s[0:1] offset:1536
	s_add_u32 s2, s2, s15
	s_addc_u32 s3, s4, s3
	s_mov_b32 s17, 0
	s_load_b32 s2, s[2:3], 0x740
	s_mov_b32 s19, s17
	s_mov_b32 s21, s17
	s_waitcnt vmcnt(0)
	v_readfirstlane_b32 s5, v1
	s_delay_alu instid0(VALU_DEP_1)
	s_lshl_b32 s3, s5, 3
	s_clause 0x2
	s_load_b64 s[10:11], s[0:1], s3 offset:0x0
	s_load_b64 s[12:13], s[0:1], s3 offset:0x200
	;; [unrolled: 1-line block ×3, first 2 shown]
	s_waitcnt lgkmcnt(0)
	s_ashr_i32 s3, s2, 31
	s_delay_alu instid0(SALU_CYCLE_1) | instskip(NEXT) | instid1(SALU_CYCLE_1)
	s_lshl_b64 s[4:5], s[2:3], 17
	s_add_u32 s8, s10, s4
	s_addc_u32 s9, s11, s5
	s_and_b32 s16, s8, 7
	s_add_u32 s14, s12, s4
	s_addc_u32 s15, s13, s5
	s_and_b32 s18, s6, 3
	s_and_b32 s20, s14, 7
	s_or_b64 s[16:17], s[16:17], s[18:19]
	s_lshl_b64 s[2:3], s[2:3], 16
	s_or_b64 s[16:17], s[20:21], s[16:17]
	s_sub_u32 s6, s6, s2
	s_subb_u32 s7, s7, s3
	s_cmp_eq_u64 s[16:17], 0
	s_mov_b32 s2, -1
	s_cbranch_scc0 .LBB260_5
; %bb.1:
	v_dual_mov_b32 v2, 0 :: v_dual_lshlrev_b32 v1, 2, v0
	s_mov_b32 s16, exec_lo
	s_delay_alu instid0(VALU_DEP_1)
	v_cmpx_gt_i64_e64 s[6:7], v[1:2]
	s_cbranch_execz .LBB260_4
; %bb.2:
	s_load_b32 s2, s[0:1], 0xc5c
	v_lshlrev_b32_e32 v3, 3, v0
	s_mov_b32 s17, 0
	s_waitcnt lgkmcnt(0)
	s_and_b32 s2, s2, 0xffff
	s_delay_alu instid0(SALU_CYCLE_1)
	v_add_lshl_u32 v1, v0, s2, 2
	s_lshl_b32 s18, s2, 2
	s_lshl_b32 s19, s2, 3
	s_set_inst_prefetch_distance 0x1
	.p2align	6
.LBB260_3:                              ; =>This Inner Loop Header: Depth=1
	v_add_co_u32 v4, s2, s8, v3
	s_delay_alu instid0(VALU_DEP_1)
	v_add_co_ci_u32_e64 v5, null, s9, 0, s2
	v_cmp_le_i64_e32 vcc_lo, s[6:7], v[1:2]
	v_cmp_lt_u64_e64 s2, 0xffff, v[1:2]
	v_add_co_u32 v6, s3, s14, v3
	global_load_b64 v[4:5], v[4:5], off
	v_add_co_ci_u32_e64 v7, null, s15, 0, s3
	s_or_b32 s2, vcc_lo, s2
	s_add_u32 s8, s8, s19
	v_add_co_u32 v1, s3, v1, s18
	s_addc_u32 s9, s9, 0
	s_add_u32 s14, s14, s19
	v_add_co_ci_u32_e64 v2, s3, 0, v2, s3
	s_addc_u32 s15, s15, 0
	s_and_b32 s2, exec_lo, s2
	s_delay_alu instid0(SALU_CYCLE_1)
	s_or_b32 s17, s2, s17
	s_waitcnt vmcnt(0)
	v_lshrrev_b32_e32 v8, 16, v5
	v_lshrrev_b32_e32 v9, 16, v4
	v_rndne_f16_e32 v4, v4
	v_rndne_f16_e32 v5, v5
	s_delay_alu instid0(VALU_DEP_4) | instskip(NEXT) | instid1(VALU_DEP_4)
	v_rndne_f16_e32 v8, v8
	v_rndne_f16_e32 v9, v9
	s_delay_alu instid0(VALU_DEP_2) | instskip(NEXT) | instid1(VALU_DEP_2)
	v_pack_b32_f16 v5, v5, v8
	v_pack_b32_f16 v4, v4, v9
	global_store_b64 v[6:7], v[4:5], off
	s_and_not1_b32 exec_lo, exec_lo, s17
	s_cbranch_execnz .LBB260_3
.LBB260_4:
	s_set_inst_prefetch_distance 0x2
	s_or_b32 exec_lo, exec_lo, s16
	s_mov_b32 s2, 0
.LBB260_5:
	s_delay_alu instid0(SALU_CYCLE_1)
	s_and_not1_b32 vcc_lo, exec_lo, s2
	s_cbranch_vccnz .LBB260_25
; %bb.6:
	v_cmp_lt_i64_e64 s2, s[6:7], 1
	s_delay_alu instid0(VALU_DEP_1)
	s_and_b32 vcc_lo, exec_lo, s2
	s_cbranch_vccnz .LBB260_25
; %bb.7:
	s_load_b32 s0, s[0:1], 0xc5c
	v_dual_mov_b32 v10, 0 :: v_dual_lshlrev_b32 v9, 1, v0
	v_cmp_gt_u64_e64 s1, 0x10000, s[6:7]
	s_delay_alu instid0(VALU_DEP_2) | instskip(NEXT) | instid1(VALU_DEP_1)
	v_add_co_u32 v1, s2, s10, v9
	v_add_co_ci_u32_e64 v2, null, s11, 0, s2
	v_add_co_u32 v3, s2, s12, v9
	s_delay_alu instid0(VALU_DEP_1)
	v_add_co_ci_u32_e64 v4, null, s13, 0, s2
	s_waitcnt lgkmcnt(0)
	s_and_b32 s0, s0, 0xffff
	s_and_b32 s1, s1, exec_lo
	v_mad_u64_u32 v[7:8], null, s0, 6, v[9:10]
	s_cselect_b32 s9, s7, 0
	s_cselect_b32 s8, s6, 0x10000
	s_mul_i32 s2, s0, 3
	s_lshl_b32 s14, s0, 2
	s_lshl_b32 s1, s0, 1
	v_add_co_u32 v14, s3, s14, v9
	v_add_co_u32 v9, s2, s2, v0
	s_delay_alu instid0(VALU_DEP_1) | instskip(SKIP_3) | instid1(VALU_DEP_3)
	v_add_co_ci_u32_e64 v10, null, 0, 0, s2
	v_add_co_u32 v13, s2, v0, s0
	v_add_co_u32 v5, vcc_lo, s10, v7
	v_add_co_ci_u32_e32 v6, vcc_lo, s11, v8, vcc_lo
	v_lshlrev_b32_e32 v21, 1, v13
	v_add_co_u32 v7, vcc_lo, s12, v7
	v_add_co_ci_u32_e64 v15, null, 0, 0, s3
	v_add_co_ci_u32_e32 v8, vcc_lo, s13, v8, vcc_lo
	v_add_co_u32 v17, s1, s1, v0
	v_add_co_u32 v11, vcc_lo, s10, v14
	v_add_co_ci_u32_e64 v18, null, 0, 0, s1
	v_add_co_u32 v19, s1, s10, v21
	v_add_co_ci_u32_e32 v12, vcc_lo, s11, v15, vcc_lo
	v_add_co_u32 v14, vcc_lo, s12, v14
	v_add_co_ci_u32_e64 v20, null, s11, 0, s1
	v_add_co_u32 v21, s1, s12, v21
	v_add_co_ci_u32_e32 v15, vcc_lo, s13, v15, vcc_lo
	v_add_co_ci_u32_e64 v16, null, 0, 0, s2
	v_add_co_ci_u32_e64 v22, null, s13, 0, s1
	s_lshl_b32 s12, s0, 3
	s_mov_b64 s[10:11], 0
	s_branch .LBB260_9
.LBB260_8:                              ;   in Loop: Header=BB260_9 Depth=1
	s_or_b32 exec_lo, exec_lo, s0
	v_add_co_u32 v1, vcc_lo, v1, s12
	v_add_co_ci_u32_e32 v2, vcc_lo, 0, v2, vcc_lo
	v_add_co_u32 v3, vcc_lo, v3, s12
	v_add_co_ci_u32_e32 v4, vcc_lo, 0, v4, vcc_lo
	;; [unrolled: 2-line block ×5, first 2 shown]
	s_add_u32 s10, s10, s14
	v_add_co_u32 v14, vcc_lo, v14, s12
	s_addc_u32 s11, s11, 0
	v_add_co_ci_u32_e32 v15, vcc_lo, 0, v15, vcc_lo
	v_cmp_ge_i64_e64 s0, s[10:11], s[6:7]
	v_cmp_lt_u64_e64 s1, 0xffff, s[10:11]
	v_add_co_u32 v19, vcc_lo, v19, s12
	v_add_co_ci_u32_e32 v20, vcc_lo, 0, v20, vcc_lo
	v_add_co_u32 v21, vcc_lo, v21, s12
	v_add_co_ci_u32_e32 v22, vcc_lo, 0, v22, vcc_lo
	s_or_b32 s0, s0, s1
	s_delay_alu instid0(SALU_CYCLE_1)
	s_and_b32 vcc_lo, exec_lo, s0
	s_cbranch_vccnz .LBB260_25
.LBB260_9:                              ; =>This Inner Loop Header: Depth=1
	s_waitcnt vmcnt(0)
	v_add_co_u32 v23, s0, v0, s10
	s_delay_alu instid0(VALU_DEP_1) | instskip(NEXT) | instid1(VALU_DEP_1)
	v_add_co_ci_u32_e64 v24, null, 0, s11, s0
	v_cmp_gt_u64_e32 vcc_lo, s[8:9], v[23:24]
	v_mov_b32_e32 v23, 0
	s_and_saveexec_b32 s1, vcc_lo
	s_cbranch_execz .LBB260_11
; %bb.10:                               ;   in Loop: Header=BB260_9 Depth=1
	v_add_co_u32 v23, s0, v1, s4
	s_delay_alu instid0(VALU_DEP_1)
	v_add_co_ci_u32_e64 v24, s0, s5, v2, s0
	global_load_u16 v23, v[23:24], off
.LBB260_11:                             ;   in Loop: Header=BB260_9 Depth=1
	s_or_b32 exec_lo, exec_lo, s1
	v_add_co_u32 v24, s0, v13, s10
	s_delay_alu instid0(VALU_DEP_1) | instskip(NEXT) | instid1(VALU_DEP_1)
	v_add_co_ci_u32_e64 v25, s0, s11, v16, s0
	v_cmp_gt_u64_e64 s0, s[8:9], v[24:25]
	v_mov_b32_e32 v25, 0
	s_delay_alu instid0(VALU_DEP_2)
	s_and_saveexec_b32 s2, s0
	s_cbranch_execz .LBB260_13
; %bb.12:                               ;   in Loop: Header=BB260_9 Depth=1
	v_add_co_u32 v24, s1, v19, s4
	s_delay_alu instid0(VALU_DEP_1)
	v_add_co_ci_u32_e64 v25, s1, s5, v20, s1
	global_load_u16 v25, v[24:25], off
.LBB260_13:                             ;   in Loop: Header=BB260_9 Depth=1
	s_or_b32 exec_lo, exec_lo, s2
	v_add_co_u32 v26, s1, v17, s10
	s_delay_alu instid0(VALU_DEP_1) | instskip(SKIP_1) | instid1(VALU_DEP_2)
	v_add_co_ci_u32_e64 v27, s1, s11, v18, s1
	v_mov_b32_e32 v24, 0
	v_cmp_gt_u64_e64 s1, s[8:9], v[26:27]
	v_mov_b32_e32 v26, 0
	s_delay_alu instid0(VALU_DEP_2)
	s_and_saveexec_b32 s3, s1
	s_cbranch_execz .LBB260_15
; %bb.14:                               ;   in Loop: Header=BB260_9 Depth=1
	v_add_co_u32 v26, s2, v11, s4
	s_delay_alu instid0(VALU_DEP_1)
	v_add_co_ci_u32_e64 v27, s2, s5, v12, s2
	global_load_u16 v26, v[26:27], off
.LBB260_15:                             ;   in Loop: Header=BB260_9 Depth=1
	s_or_b32 exec_lo, exec_lo, s3
	v_add_co_u32 v27, s2, v9, s10
	s_delay_alu instid0(VALU_DEP_1) | instskip(NEXT) | instid1(VALU_DEP_1)
	v_add_co_ci_u32_e64 v28, s2, s11, v10, s2
	v_cmp_gt_u64_e64 s2, s[8:9], v[27:28]
	s_delay_alu instid0(VALU_DEP_1)
	s_and_saveexec_b32 s13, s2
	s_cbranch_execnz .LBB260_20
; %bb.16:                               ;   in Loop: Header=BB260_9 Depth=1
	s_or_b32 exec_lo, exec_lo, s13
	s_and_saveexec_b32 s3, vcc_lo
	s_cbranch_execnz .LBB260_21
.LBB260_17:                             ;   in Loop: Header=BB260_9 Depth=1
	s_or_b32 exec_lo, exec_lo, s3
	s_and_saveexec_b32 s3, s0
	s_cbranch_execnz .LBB260_22
.LBB260_18:                             ;   in Loop: Header=BB260_9 Depth=1
	s_or_b32 exec_lo, exec_lo, s3
	s_and_saveexec_b32 s0, s1
	s_cbranch_execnz .LBB260_23
.LBB260_19:                             ;   in Loop: Header=BB260_9 Depth=1
	s_or_b32 exec_lo, exec_lo, s0
	s_and_saveexec_b32 s0, s2
	s_cbranch_execz .LBB260_8
	s_branch .LBB260_24
.LBB260_20:                             ;   in Loop: Header=BB260_9 Depth=1
	v_add_co_u32 v27, s3, v5, s4
	s_delay_alu instid0(VALU_DEP_1)
	v_add_co_ci_u32_e64 v28, s3, s5, v6, s3
	global_load_u16 v24, v[27:28], off
	s_or_b32 exec_lo, exec_lo, s13
	s_and_saveexec_b32 s3, vcc_lo
	s_cbranch_execz .LBB260_17
.LBB260_21:                             ;   in Loop: Header=BB260_9 Depth=1
	v_add_co_u32 v27, vcc_lo, v3, s4
	v_add_co_ci_u32_e32 v28, vcc_lo, s5, v4, vcc_lo
	s_waitcnt vmcnt(0)
	v_rndne_f16_e32 v23, v23
	global_store_b16 v[27:28], v23, off
	s_or_b32 exec_lo, exec_lo, s3
	s_and_saveexec_b32 s3, s0
	s_cbranch_execz .LBB260_18
.LBB260_22:                             ;   in Loop: Header=BB260_9 Depth=1
	v_add_co_u32 v27, vcc_lo, v21, s4
	s_waitcnt vmcnt(0)
	v_rndne_f16_e32 v23, v25
	v_add_co_ci_u32_e32 v28, vcc_lo, s5, v22, vcc_lo
	global_store_b16 v[27:28], v23, off
	s_or_b32 exec_lo, exec_lo, s3
	s_and_saveexec_b32 s0, s1
	s_cbranch_execz .LBB260_19
.LBB260_23:                             ;   in Loop: Header=BB260_9 Depth=1
	s_waitcnt vmcnt(0)
	v_add_co_u32 v25, vcc_lo, v14, s4
	v_rndne_f16_e32 v23, v26
	v_add_co_ci_u32_e32 v26, vcc_lo, s5, v15, vcc_lo
	global_store_b16 v[25:26], v23, off
	s_or_b32 exec_lo, exec_lo, s0
	s_and_saveexec_b32 s0, s2
	s_cbranch_execz .LBB260_8
.LBB260_24:                             ;   in Loop: Header=BB260_9 Depth=1
	s_waitcnt vmcnt(0)
	v_add_co_u32 v23, vcc_lo, v7, s4
	v_rndne_f16_e32 v25, v24
	v_add_co_ci_u32_e32 v24, vcc_lo, s5, v8, vcc_lo
	global_store_b16 v[23:24], v25, off
	s_branch .LBB260_8
.LBB260_25:
	s_nop 0
	s_sendmsg sendmsg(MSG_DEALLOC_VGPRS)
	s_endpgm
	.section	.rodata,"a",@progbits
	.p2align	6, 0x0
	.amdhsa_kernel _ZN2at6native12_GLOBAL__N_125multi_tensor_apply_kernelINS1_18TensorListMetadataILi2EEENS1_14UnaryOpFunctorIN3c104HalfELi2ELi1ELi1EEEJNS0_5RoundIfEEEEEvT_T0_DpT1_
		.amdhsa_group_segment_fixed_size 0
		.amdhsa_private_segment_fixed_size 0
		.amdhsa_kernarg_size 3408
		.amdhsa_user_sgpr_count 15
		.amdhsa_user_sgpr_dispatch_ptr 0
		.amdhsa_user_sgpr_queue_ptr 0
		.amdhsa_user_sgpr_kernarg_segment_ptr 1
		.amdhsa_user_sgpr_dispatch_id 0
		.amdhsa_user_sgpr_private_segment_size 0
		.amdhsa_wavefront_size32 1
		.amdhsa_uses_dynamic_stack 0
		.amdhsa_enable_private_segment 0
		.amdhsa_system_sgpr_workgroup_id_x 1
		.amdhsa_system_sgpr_workgroup_id_y 0
		.amdhsa_system_sgpr_workgroup_id_z 0
		.amdhsa_system_sgpr_workgroup_info 0
		.amdhsa_system_vgpr_workitem_id 0
		.amdhsa_next_free_vgpr 29
		.amdhsa_next_free_sgpr 22
		.amdhsa_reserve_vcc 1
		.amdhsa_float_round_mode_32 0
		.amdhsa_float_round_mode_16_64 0
		.amdhsa_float_denorm_mode_32 3
		.amdhsa_float_denorm_mode_16_64 3
		.amdhsa_dx10_clamp 1
		.amdhsa_ieee_mode 1
		.amdhsa_fp16_overflow 0
		.amdhsa_workgroup_processor_mode 1
		.amdhsa_memory_ordered 1
		.amdhsa_forward_progress 0
		.amdhsa_shared_vgpr_count 0
		.amdhsa_exception_fp_ieee_invalid_op 0
		.amdhsa_exception_fp_denorm_src 0
		.amdhsa_exception_fp_ieee_div_zero 0
		.amdhsa_exception_fp_ieee_overflow 0
		.amdhsa_exception_fp_ieee_underflow 0
		.amdhsa_exception_fp_ieee_inexact 0
		.amdhsa_exception_int_div_zero 0
	.end_amdhsa_kernel
	.section	.text._ZN2at6native12_GLOBAL__N_125multi_tensor_apply_kernelINS1_18TensorListMetadataILi2EEENS1_14UnaryOpFunctorIN3c104HalfELi2ELi1ELi1EEEJNS0_5RoundIfEEEEEvT_T0_DpT1_,"axG",@progbits,_ZN2at6native12_GLOBAL__N_125multi_tensor_apply_kernelINS1_18TensorListMetadataILi2EEENS1_14UnaryOpFunctorIN3c104HalfELi2ELi1ELi1EEEJNS0_5RoundIfEEEEEvT_T0_DpT1_,comdat
.Lfunc_end260:
	.size	_ZN2at6native12_GLOBAL__N_125multi_tensor_apply_kernelINS1_18TensorListMetadataILi2EEENS1_14UnaryOpFunctorIN3c104HalfELi2ELi1ELi1EEEJNS0_5RoundIfEEEEEvT_T0_DpT1_, .Lfunc_end260-_ZN2at6native12_GLOBAL__N_125multi_tensor_apply_kernelINS1_18TensorListMetadataILi2EEENS1_14UnaryOpFunctorIN3c104HalfELi2ELi1ELi1EEEJNS0_5RoundIfEEEEEvT_T0_DpT1_
                                        ; -- End function
	.section	.AMDGPU.csdata,"",@progbits
; Kernel info:
; codeLenInByte = 1424
; NumSgprs: 24
; NumVgprs: 29
; ScratchSize: 0
; MemoryBound: 0
; FloatMode: 240
; IeeeMode: 1
; LDSByteSize: 0 bytes/workgroup (compile time only)
; SGPRBlocks: 2
; VGPRBlocks: 3
; NumSGPRsForWavesPerEU: 24
; NumVGPRsForWavesPerEU: 29
; Occupancy: 16
; WaveLimiterHint : 0
; COMPUTE_PGM_RSRC2:SCRATCH_EN: 0
; COMPUTE_PGM_RSRC2:USER_SGPR: 15
; COMPUTE_PGM_RSRC2:TRAP_HANDLER: 0
; COMPUTE_PGM_RSRC2:TGID_X_EN: 1
; COMPUTE_PGM_RSRC2:TGID_Y_EN: 0
; COMPUTE_PGM_RSRC2:TGID_Z_EN: 0
; COMPUTE_PGM_RSRC2:TIDIG_COMP_CNT: 0
	.section	.text._ZN2at6native12_GLOBAL__N_125multi_tensor_apply_kernelINS1_18TensorListMetadataILi2EEENS1_14UnaryOpFunctorIN3c108BFloat16ELi2ELi1ELi1EEEJNS0_5RoundIfEEEEEvT_T0_DpT1_,"axG",@progbits,_ZN2at6native12_GLOBAL__N_125multi_tensor_apply_kernelINS1_18TensorListMetadataILi2EEENS1_14UnaryOpFunctorIN3c108BFloat16ELi2ELi1ELi1EEEJNS0_5RoundIfEEEEEvT_T0_DpT1_,comdat
	.globl	_ZN2at6native12_GLOBAL__N_125multi_tensor_apply_kernelINS1_18TensorListMetadataILi2EEENS1_14UnaryOpFunctorIN3c108BFloat16ELi2ELi1ELi1EEEJNS0_5RoundIfEEEEEvT_T0_DpT1_ ; -- Begin function _ZN2at6native12_GLOBAL__N_125multi_tensor_apply_kernelINS1_18TensorListMetadataILi2EEENS1_14UnaryOpFunctorIN3c108BFloat16ELi2ELi1ELi1EEEJNS0_5RoundIfEEEEEvT_T0_DpT1_
	.p2align	8
	.type	_ZN2at6native12_GLOBAL__N_125multi_tensor_apply_kernelINS1_18TensorListMetadataILi2EEENS1_14UnaryOpFunctorIN3c108BFloat16ELi2ELi1ELi1EEEJNS0_5RoundIfEEEEEvT_T0_DpT1_,@function
_ZN2at6native12_GLOBAL__N_125multi_tensor_apply_kernelINS1_18TensorListMetadataILi2EEENS1_14UnaryOpFunctorIN3c108BFloat16ELi2ELi1ELi1EEEJNS0_5RoundIfEEEEEvT_T0_DpT1_: ; @_ZN2at6native12_GLOBAL__N_125multi_tensor_apply_kernelINS1_18TensorListMetadataILi2EEENS1_14UnaryOpFunctorIN3c108BFloat16ELi2ELi1ELi1EEEJNS0_5RoundIfEEEEEvT_T0_DpT1_
; %bb.0:
	v_mov_b32_e32 v1, s15
	s_add_u32 s2, s0, s15
	s_mul_hi_u32 s3, s15, 3
	s_mul_i32 s15, s15, 3
	s_addc_u32 s4, s1, 0
	global_load_u8 v1, v1, s[0:1] offset:1536
	s_add_u32 s2, s2, s15
	s_addc_u32 s3, s4, s3
	s_mov_b32 s9, 0
	s_load_b32 s2, s[2:3], 0x740
	s_mov_b32 s17, s9
	s_mov_b32 s15, s9
	s_waitcnt vmcnt(0)
	v_readfirstlane_b32 s5, v1
	s_delay_alu instid0(VALU_DEP_1)
	s_lshl_b32 s3, s5, 3
	s_clause 0x2
	s_load_b64 s[10:11], s[0:1], s3 offset:0x0
	s_load_b64 s[12:13], s[0:1], s3 offset:0x200
	;; [unrolled: 1-line block ×3, first 2 shown]
	s_waitcnt lgkmcnt(0)
	s_ashr_i32 s3, s2, 31
	s_delay_alu instid0(SALU_CYCLE_1) | instskip(SKIP_4) | instid1(SALU_CYCLE_1)
	s_lshl_b64 s[6:7], s[2:3], 17
	s_lshl_b64 s[2:3], s[2:3], 16
	s_and_b32 s8, s10, 7
	s_and_b32 s14, s12, 7
	;; [unrolled: 1-line block ×3, first 2 shown]
	s_or_b64 s[8:9], s[8:9], s[16:17]
	s_delay_alu instid0(SALU_CYCLE_1)
	s_or_b64 s[14:15], s[14:15], s[8:9]
	s_sub_u32 s8, s4, s2
	s_subb_u32 s9, s5, s3
	s_cmp_eq_u64 s[14:15], 0
	s_mov_b32 s2, -1
	s_cbranch_scc0 .LBB261_5
; %bb.1:
	v_dual_mov_b32 v2, 0 :: v_dual_lshlrev_b32 v1, 2, v0
	s_mov_b32 s14, exec_lo
	s_delay_alu instid0(VALU_DEP_1)
	v_cmpx_gt_i64_e64 s[8:9], v[1:2]
	s_cbranch_execz .LBB261_4
; %bb.2:
	s_load_b32 s2, s[0:1], 0xc5c
	v_lshlrev_b32_e32 v1, 3, v0
	s_mov_b32 s15, 0
	s_delay_alu instid0(VALU_DEP_1) | instskip(NEXT) | instid1(VALU_DEP_1)
	v_add_co_u32 v3, s3, s6, v1
	v_add_co_ci_u32_e64 v4, null, s7, 0, s3
	s_waitcnt lgkmcnt(0)
	s_and_b32 s2, s2, 0xffff
	s_delay_alu instid0(SALU_CYCLE_1)
	v_add_lshl_u32 v1, v0, s2, 2
	s_lshl_b32 s16, s2, 3
	s_lshl_b32 s17, s2, 2
.LBB261_3:                              ; =>This Inner Loop Header: Depth=1
	v_add_co_u32 v5, vcc_lo, s10, v3
	v_add_co_ci_u32_e32 v6, vcc_lo, s11, v4, vcc_lo
	v_add_co_u32 v7, vcc_lo, s12, v3
	v_add_co_ci_u32_e32 v8, vcc_lo, s13, v4, vcc_lo
	global_load_b64 v[5:6], v[5:6], off
	v_cmp_le_i64_e32 vcc_lo, s[8:9], v[1:2]
	v_cmp_lt_u64_e64 s2, 0xffff, v[1:2]
	v_add_co_u32 v3, s3, v3, s16
	s_delay_alu instid0(VALU_DEP_1) | instskip(SKIP_1) | instid1(VALU_DEP_4)
	v_add_co_ci_u32_e64 v4, s3, 0, v4, s3
	v_add_co_u32 v1, s3, v1, s17
	s_or_b32 s2, vcc_lo, s2
	v_add_co_ci_u32_e64 v2, s3, 0, v2, s3
	s_and_b32 s2, exec_lo, s2
	s_delay_alu instid0(SALU_CYCLE_1)
	s_or_b32 s15, s2, s15
	s_waitcnt vmcnt(0)
	v_lshlrev_b32_e32 v9, 16, v5
	v_alignbit_b32 v10, v6, v5, 16
	v_and_b32_e32 v5, 0xffff0000, v5
	v_and_b32_e32 v6, 0xffff0000, v6
	s_delay_alu instid0(VALU_DEP_4) | instskip(NEXT) | instid1(VALU_DEP_4)
	v_rndne_f32_e32 v9, v9
	v_and_b32_e32 v10, 0xffff0000, v10
	s_delay_alu instid0(VALU_DEP_4) | instskip(NEXT) | instid1(VALU_DEP_4)
	v_rndne_f32_e32 v5, v5
	v_rndne_f32_e32 v6, v6
	s_delay_alu instid0(VALU_DEP_4) | instskip(NEXT) | instid1(VALU_DEP_4)
	v_bfe_u32 v11, v9, 16, 1
	v_rndne_f32_e32 v10, v10
	s_delay_alu instid0(VALU_DEP_4) | instskip(NEXT) | instid1(VALU_DEP_4)
	v_bfe_u32 v12, v5, 16, 1
	v_bfe_u32 v13, v6, 16, 1
	v_cmp_o_f32_e64 s4, v9, v9
	v_add3_u32 v11, v9, v11, 0x7fff
	v_bfe_u32 v14, v10, 16, 1
	v_add3_u32 v12, v5, v12, 0x7fff
	v_add3_u32 v13, v6, v13, 0x7fff
	v_cmp_o_f32_e64 s5, v5, v5
	v_lshrrev_b32_e32 v11, 16, v11
	v_add3_u32 v14, v10, v14, 0x7fff
	v_and_b32_e32 v12, 0xffff0000, v12
	v_and_b32_e32 v13, 0xffff0000, v13
	s_delay_alu instid0(VALU_DEP_4) | instskip(SKIP_3) | instid1(VALU_DEP_3)
	v_cndmask_b32_e64 v11, 0x7fc0, v11, s4
	v_cmp_o_f32_e64 s4, v6, v6
	v_lshrrev_b32_e32 v5, 16, v14
	v_cndmask_b32_e64 v9, 0x7fc00000, v12, s5
	v_cndmask_b32_e64 v6, 0x7fc00000, v13, s4
	v_cmp_o_f32_e64 s4, v10, v10
	s_delay_alu instid0(VALU_DEP_3) | instskip(NEXT) | instid1(VALU_DEP_2)
	v_or_b32_e32 v9, v11, v9
	v_cndmask_b32_e64 v5, 0x7fc0, v5, s4
	s_delay_alu instid0(VALU_DEP_1) | instskip(NEXT) | instid1(VALU_DEP_3)
	v_or3_b32 v6, 0, v5, v6
	v_or3_b32 v5, v9, 0, 0
	global_store_b64 v[7:8], v[5:6], off
	s_and_not1_b32 exec_lo, exec_lo, s15
	s_cbranch_execnz .LBB261_3
.LBB261_4:
	s_or_b32 exec_lo, exec_lo, s14
	s_mov_b32 s2, 0
.LBB261_5:
	s_delay_alu instid0(SALU_CYCLE_1)
	s_and_not1_b32 vcc_lo, exec_lo, s2
	s_cbranch_vccnz .LBB261_25
; %bb.6:
	v_cmp_lt_i64_e64 s2, s[8:9], 1
	s_delay_alu instid0(VALU_DEP_1)
	s_and_b32 vcc_lo, exec_lo, s2
	s_cbranch_vccnz .LBB261_25
; %bb.7:
	s_load_b32 s0, s[0:1], 0xc5c
	v_dual_mov_b32 v10, 0 :: v_dual_lshlrev_b32 v9, 1, v0
	v_cmp_gt_u64_e64 s1, 0x10000, s[8:9]
	s_delay_alu instid0(VALU_DEP_2) | instskip(NEXT) | instid1(VALU_DEP_1)
	v_add_co_u32 v1, s2, s10, v9
	v_add_co_ci_u32_e64 v2, null, s11, 0, s2
	v_add_co_u32 v3, s2, s12, v9
	s_delay_alu instid0(VALU_DEP_1)
	v_add_co_ci_u32_e64 v4, null, s13, 0, s2
	s_waitcnt lgkmcnt(0)
	s_and_b32 s0, s0, 0xffff
	s_and_b32 s1, s1, exec_lo
	v_mad_u64_u32 v[7:8], null, s0, 6, v[9:10]
	s_cselect_b32 s5, s9, 0
	s_cselect_b32 s4, s8, 0x10000
	s_mul_i32 s2, s0, 3
	s_lshl_b32 s14, s0, 2
	s_lshl_b32 s1, s0, 1
	v_add_co_u32 v14, s3, s14, v9
	v_add_co_u32 v9, s2, s2, v0
	s_delay_alu instid0(VALU_DEP_1) | instskip(SKIP_3) | instid1(VALU_DEP_3)
	v_add_co_ci_u32_e64 v10, null, 0, 0, s2
	v_add_co_u32 v13, s2, v0, s0
	v_add_co_u32 v5, vcc_lo, s10, v7
	v_add_co_ci_u32_e32 v6, vcc_lo, s11, v8, vcc_lo
	v_lshlrev_b32_e32 v21, 1, v13
	v_add_co_u32 v7, vcc_lo, s12, v7
	v_add_co_ci_u32_e64 v15, null, 0, 0, s3
	v_add_co_ci_u32_e32 v8, vcc_lo, s13, v8, vcc_lo
	v_add_co_u32 v17, s1, s1, v0
	v_add_co_u32 v11, vcc_lo, s10, v14
	v_add_co_ci_u32_e64 v18, null, 0, 0, s1
	v_add_co_u32 v19, s1, s10, v21
	v_add_co_ci_u32_e32 v12, vcc_lo, s11, v15, vcc_lo
	v_add_co_u32 v14, vcc_lo, s12, v14
	v_add_co_ci_u32_e64 v20, null, s11, 0, s1
	v_add_co_u32 v21, s1, s12, v21
	v_add_co_ci_u32_e32 v15, vcc_lo, s13, v15, vcc_lo
	v_add_co_ci_u32_e64 v16, null, 0, 0, s2
	v_add_co_ci_u32_e64 v22, null, s13, 0, s1
	s_lshl_b32 s12, s0, 3
	s_mov_b64 s[10:11], 0
	s_branch .LBB261_9
.LBB261_8:                              ;   in Loop: Header=BB261_9 Depth=1
	s_or_b32 exec_lo, exec_lo, s0
	v_add_co_u32 v1, vcc_lo, v1, s12
	v_add_co_ci_u32_e32 v2, vcc_lo, 0, v2, vcc_lo
	v_add_co_u32 v3, vcc_lo, v3, s12
	v_add_co_ci_u32_e32 v4, vcc_lo, 0, v4, vcc_lo
	;; [unrolled: 2-line block ×5, first 2 shown]
	s_add_u32 s10, s10, s14
	v_add_co_u32 v14, vcc_lo, v14, s12
	s_addc_u32 s11, s11, 0
	v_add_co_ci_u32_e32 v15, vcc_lo, 0, v15, vcc_lo
	v_cmp_ge_i64_e64 s0, s[10:11], s[8:9]
	v_cmp_lt_u64_e64 s1, 0xffff, s[10:11]
	v_add_co_u32 v19, vcc_lo, v19, s12
	v_add_co_ci_u32_e32 v20, vcc_lo, 0, v20, vcc_lo
	v_add_co_u32 v21, vcc_lo, v21, s12
	v_add_co_ci_u32_e32 v22, vcc_lo, 0, v22, vcc_lo
	s_or_b32 s0, s0, s1
	s_delay_alu instid0(SALU_CYCLE_1)
	s_and_b32 vcc_lo, exec_lo, s0
	s_cbranch_vccnz .LBB261_25
.LBB261_9:                              ; =>This Inner Loop Header: Depth=1
	s_waitcnt vmcnt(0)
	v_add_co_u32 v23, s0, v0, s10
	s_delay_alu instid0(VALU_DEP_1) | instskip(NEXT) | instid1(VALU_DEP_1)
	v_add_co_ci_u32_e64 v24, null, 0, s11, s0
	v_cmp_gt_u64_e32 vcc_lo, s[4:5], v[23:24]
	v_mov_b32_e32 v24, 0
	s_and_saveexec_b32 s1, vcc_lo
	s_cbranch_execz .LBB261_11
; %bb.10:                               ;   in Loop: Header=BB261_9 Depth=1
	v_add_co_u32 v23, s0, v1, s6
	s_delay_alu instid0(VALU_DEP_1)
	v_add_co_ci_u32_e64 v24, s0, s7, v2, s0
	global_load_u16 v24, v[23:24], off
.LBB261_11:                             ;   in Loop: Header=BB261_9 Depth=1
	s_or_b32 exec_lo, exec_lo, s1
	v_add_co_u32 v25, s0, v13, s10
	s_delay_alu instid0(VALU_DEP_1) | instskip(NEXT) | instid1(VALU_DEP_1)
	v_add_co_ci_u32_e64 v26, s0, s11, v16, s0
	v_cmp_gt_u64_e64 s0, s[4:5], v[25:26]
	v_mov_b32_e32 v25, 0
	s_delay_alu instid0(VALU_DEP_2)
	s_and_saveexec_b32 s2, s0
	s_cbranch_execz .LBB261_13
; %bb.12:                               ;   in Loop: Header=BB261_9 Depth=1
	v_add_co_u32 v25, s1, v19, s6
	s_delay_alu instid0(VALU_DEP_1)
	v_add_co_ci_u32_e64 v26, s1, s7, v20, s1
	global_load_u16 v25, v[25:26], off
.LBB261_13:                             ;   in Loop: Header=BB261_9 Depth=1
	s_or_b32 exec_lo, exec_lo, s2
	v_add_co_u32 v26, s1, v17, s10
	s_delay_alu instid0(VALU_DEP_1) | instskip(SKIP_1) | instid1(VALU_DEP_2)
	v_add_co_ci_u32_e64 v27, s1, s11, v18, s1
	v_mov_b32_e32 v23, 0
	v_cmp_gt_u64_e64 s1, s[4:5], v[26:27]
	v_mov_b32_e32 v26, 0
	s_delay_alu instid0(VALU_DEP_2)
	s_and_saveexec_b32 s3, s1
	s_cbranch_execz .LBB261_15
; %bb.14:                               ;   in Loop: Header=BB261_9 Depth=1
	v_add_co_u32 v26, s2, v11, s6
	s_delay_alu instid0(VALU_DEP_1)
	v_add_co_ci_u32_e64 v27, s2, s7, v12, s2
	global_load_u16 v26, v[26:27], off
.LBB261_15:                             ;   in Loop: Header=BB261_9 Depth=1
	s_or_b32 exec_lo, exec_lo, s3
	v_add_co_u32 v27, s2, v9, s10
	s_delay_alu instid0(VALU_DEP_1) | instskip(NEXT) | instid1(VALU_DEP_1)
	v_add_co_ci_u32_e64 v28, s2, s11, v10, s2
	v_cmp_gt_u64_e64 s2, s[4:5], v[27:28]
	s_delay_alu instid0(VALU_DEP_1)
	s_and_saveexec_b32 s13, s2
	s_cbranch_execnz .LBB261_20
; %bb.16:                               ;   in Loop: Header=BB261_9 Depth=1
	s_or_b32 exec_lo, exec_lo, s13
	s_and_saveexec_b32 s3, vcc_lo
	s_cbranch_execnz .LBB261_21
.LBB261_17:                             ;   in Loop: Header=BB261_9 Depth=1
	s_or_b32 exec_lo, exec_lo, s3
	s_and_saveexec_b32 s3, s0
	s_cbranch_execnz .LBB261_22
.LBB261_18:                             ;   in Loop: Header=BB261_9 Depth=1
	s_or_b32 exec_lo, exec_lo, s3
	s_and_saveexec_b32 s0, s1
	s_cbranch_execnz .LBB261_23
.LBB261_19:                             ;   in Loop: Header=BB261_9 Depth=1
	s_or_b32 exec_lo, exec_lo, s0
	s_and_saveexec_b32 s0, s2
	s_cbranch_execz .LBB261_8
	s_branch .LBB261_24
.LBB261_20:                             ;   in Loop: Header=BB261_9 Depth=1
	v_add_co_u32 v27, s3, v5, s6
	s_delay_alu instid0(VALU_DEP_1)
	v_add_co_ci_u32_e64 v28, s3, s7, v6, s3
	global_load_u16 v23, v[27:28], off
	s_or_b32 exec_lo, exec_lo, s13
	s_and_saveexec_b32 s3, vcc_lo
	s_cbranch_execz .LBB261_17
.LBB261_21:                             ;   in Loop: Header=BB261_9 Depth=1
	s_waitcnt vmcnt(0)
	v_lshlrev_b32_e32 v24, 16, v24
	s_delay_alu instid0(VALU_DEP_1) | instskip(NEXT) | instid1(VALU_DEP_1)
	v_rndne_f32_e32 v24, v24
	v_bfe_u32 v27, v24, 16, 1
	v_cmp_o_f32_e32 vcc_lo, v24, v24
	s_delay_alu instid0(VALU_DEP_2) | instskip(NEXT) | instid1(VALU_DEP_1)
	v_add3_u32 v27, v24, v27, 0x7fff
	v_lshrrev_b32_e32 v27, 16, v27
	s_delay_alu instid0(VALU_DEP_1)
	v_cndmask_b32_e32 v24, 0x7fc0, v27, vcc_lo
	v_add_co_u32 v27, vcc_lo, v3, s6
	v_add_co_ci_u32_e32 v28, vcc_lo, s7, v4, vcc_lo
	global_store_b16 v[27:28], v24, off
	s_or_b32 exec_lo, exec_lo, s3
	s_and_saveexec_b32 s3, s0
	s_cbranch_execz .LBB261_18
.LBB261_22:                             ;   in Loop: Header=BB261_9 Depth=1
	s_waitcnt vmcnt(0)
	v_lshlrev_b32_e32 v24, 16, v25
	s_delay_alu instid0(VALU_DEP_1) | instskip(NEXT) | instid1(VALU_DEP_1)
	v_rndne_f32_e32 v24, v24
	v_bfe_u32 v25, v24, 16, 1
	v_cmp_o_f32_e32 vcc_lo, v24, v24
	s_delay_alu instid0(VALU_DEP_2) | instskip(NEXT) | instid1(VALU_DEP_1)
	v_add3_u32 v25, v24, v25, 0x7fff
	v_lshrrev_b32_e32 v25, 16, v25
	s_delay_alu instid0(VALU_DEP_1)
	v_cndmask_b32_e32 v27, 0x7fc0, v25, vcc_lo
	v_add_co_u32 v24, vcc_lo, v21, s6
	v_add_co_ci_u32_e32 v25, vcc_lo, s7, v22, vcc_lo
	global_store_b16 v[24:25], v27, off
	s_or_b32 exec_lo, exec_lo, s3
	s_and_saveexec_b32 s0, s1
	s_cbranch_execz .LBB261_19
.LBB261_23:                             ;   in Loop: Header=BB261_9 Depth=1
	s_waitcnt vmcnt(0)
	v_lshlrev_b32_e32 v24, 16, v26
	s_delay_alu instid0(VALU_DEP_1) | instskip(NEXT) | instid1(VALU_DEP_1)
	v_rndne_f32_e32 v24, v24
	v_bfe_u32 v25, v24, 16, 1
	v_cmp_o_f32_e32 vcc_lo, v24, v24
	s_delay_alu instid0(VALU_DEP_2) | instskip(NEXT) | instid1(VALU_DEP_1)
	v_add3_u32 v25, v24, v25, 0x7fff
	v_lshrrev_b32_e32 v25, 16, v25
	s_delay_alu instid0(VALU_DEP_1)
	v_cndmask_b32_e32 v26, 0x7fc0, v25, vcc_lo
	v_add_co_u32 v24, vcc_lo, v14, s6
	v_add_co_ci_u32_e32 v25, vcc_lo, s7, v15, vcc_lo
	global_store_b16 v[24:25], v26, off
	s_or_b32 exec_lo, exec_lo, s0
	s_and_saveexec_b32 s0, s2
	s_cbranch_execz .LBB261_8
.LBB261_24:                             ;   in Loop: Header=BB261_9 Depth=1
	s_waitcnt vmcnt(0)
	v_lshlrev_b32_e32 v23, 16, v23
	s_delay_alu instid0(VALU_DEP_1) | instskip(NEXT) | instid1(VALU_DEP_1)
	v_rndne_f32_e32 v23, v23
	v_bfe_u32 v24, v23, 16, 1
	v_cmp_o_f32_e32 vcc_lo, v23, v23
	s_delay_alu instid0(VALU_DEP_2) | instskip(NEXT) | instid1(VALU_DEP_1)
	v_add3_u32 v24, v23, v24, 0x7fff
	v_lshrrev_b32_e32 v24, 16, v24
	s_delay_alu instid0(VALU_DEP_1)
	v_cndmask_b32_e32 v25, 0x7fc0, v24, vcc_lo
	v_add_co_u32 v23, vcc_lo, v7, s6
	v_add_co_ci_u32_e32 v24, vcc_lo, s7, v8, vcc_lo
	global_store_b16 v[23:24], v25, off
	s_branch .LBB261_8
.LBB261_25:
	s_nop 0
	s_sendmsg sendmsg(MSG_DEALLOC_VGPRS)
	s_endpgm
	.section	.rodata,"a",@progbits
	.p2align	6, 0x0
	.amdhsa_kernel _ZN2at6native12_GLOBAL__N_125multi_tensor_apply_kernelINS1_18TensorListMetadataILi2EEENS1_14UnaryOpFunctorIN3c108BFloat16ELi2ELi1ELi1EEEJNS0_5RoundIfEEEEEvT_T0_DpT1_
		.amdhsa_group_segment_fixed_size 0
		.amdhsa_private_segment_fixed_size 0
		.amdhsa_kernarg_size 3408
		.amdhsa_user_sgpr_count 15
		.amdhsa_user_sgpr_dispatch_ptr 0
		.amdhsa_user_sgpr_queue_ptr 0
		.amdhsa_user_sgpr_kernarg_segment_ptr 1
		.amdhsa_user_sgpr_dispatch_id 0
		.amdhsa_user_sgpr_private_segment_size 0
		.amdhsa_wavefront_size32 1
		.amdhsa_uses_dynamic_stack 0
		.amdhsa_enable_private_segment 0
		.amdhsa_system_sgpr_workgroup_id_x 1
		.amdhsa_system_sgpr_workgroup_id_y 0
		.amdhsa_system_sgpr_workgroup_id_z 0
		.amdhsa_system_sgpr_workgroup_info 0
		.amdhsa_system_vgpr_workitem_id 0
		.amdhsa_next_free_vgpr 29
		.amdhsa_next_free_sgpr 18
		.amdhsa_reserve_vcc 1
		.amdhsa_float_round_mode_32 0
		.amdhsa_float_round_mode_16_64 0
		.amdhsa_float_denorm_mode_32 3
		.amdhsa_float_denorm_mode_16_64 3
		.amdhsa_dx10_clamp 1
		.amdhsa_ieee_mode 1
		.amdhsa_fp16_overflow 0
		.amdhsa_workgroup_processor_mode 1
		.amdhsa_memory_ordered 1
		.amdhsa_forward_progress 0
		.amdhsa_shared_vgpr_count 0
		.amdhsa_exception_fp_ieee_invalid_op 0
		.amdhsa_exception_fp_denorm_src 0
		.amdhsa_exception_fp_ieee_div_zero 0
		.amdhsa_exception_fp_ieee_overflow 0
		.amdhsa_exception_fp_ieee_underflow 0
		.amdhsa_exception_fp_ieee_inexact 0
		.amdhsa_exception_int_div_zero 0
	.end_amdhsa_kernel
	.section	.text._ZN2at6native12_GLOBAL__N_125multi_tensor_apply_kernelINS1_18TensorListMetadataILi2EEENS1_14UnaryOpFunctorIN3c108BFloat16ELi2ELi1ELi1EEEJNS0_5RoundIfEEEEEvT_T0_DpT1_,"axG",@progbits,_ZN2at6native12_GLOBAL__N_125multi_tensor_apply_kernelINS1_18TensorListMetadataILi2EEENS1_14UnaryOpFunctorIN3c108BFloat16ELi2ELi1ELi1EEEJNS0_5RoundIfEEEEEvT_T0_DpT1_,comdat
.Lfunc_end261:
	.size	_ZN2at6native12_GLOBAL__N_125multi_tensor_apply_kernelINS1_18TensorListMetadataILi2EEENS1_14UnaryOpFunctorIN3c108BFloat16ELi2ELi1ELi1EEEJNS0_5RoundIfEEEEEvT_T0_DpT1_, .Lfunc_end261-_ZN2at6native12_GLOBAL__N_125multi_tensor_apply_kernelINS1_18TensorListMetadataILi2EEENS1_14UnaryOpFunctorIN3c108BFloat16ELi2ELi1ELi1EEEJNS0_5RoundIfEEEEEvT_T0_DpT1_
                                        ; -- End function
	.section	.AMDGPU.csdata,"",@progbits
; Kernel info:
; codeLenInByte = 1860
; NumSgprs: 20
; NumVgprs: 29
; ScratchSize: 0
; MemoryBound: 0
; FloatMode: 240
; IeeeMode: 1
; LDSByteSize: 0 bytes/workgroup (compile time only)
; SGPRBlocks: 2
; VGPRBlocks: 3
; NumSGPRsForWavesPerEU: 20
; NumVGPRsForWavesPerEU: 29
; Occupancy: 16
; WaveLimiterHint : 0
; COMPUTE_PGM_RSRC2:SCRATCH_EN: 0
; COMPUTE_PGM_RSRC2:USER_SGPR: 15
; COMPUTE_PGM_RSRC2:TRAP_HANDLER: 0
; COMPUTE_PGM_RSRC2:TGID_X_EN: 1
; COMPUTE_PGM_RSRC2:TGID_Y_EN: 0
; COMPUTE_PGM_RSRC2:TGID_Z_EN: 0
; COMPUTE_PGM_RSRC2:TIDIG_COMP_CNT: 0
	.section	.text._ZN2at6native12_GLOBAL__N_125multi_tensor_apply_kernelINS1_18TensorListMetadataILi1EEENS1_14UnaryOpFunctorIdLi1ELi1ELi0EEEJNS0_5RoundIdEEEEEvT_T0_DpT1_,"axG",@progbits,_ZN2at6native12_GLOBAL__N_125multi_tensor_apply_kernelINS1_18TensorListMetadataILi1EEENS1_14UnaryOpFunctorIdLi1ELi1ELi0EEEJNS0_5RoundIdEEEEEvT_T0_DpT1_,comdat
	.globl	_ZN2at6native12_GLOBAL__N_125multi_tensor_apply_kernelINS1_18TensorListMetadataILi1EEENS1_14UnaryOpFunctorIdLi1ELi1ELi0EEEJNS0_5RoundIdEEEEEvT_T0_DpT1_ ; -- Begin function _ZN2at6native12_GLOBAL__N_125multi_tensor_apply_kernelINS1_18TensorListMetadataILi1EEENS1_14UnaryOpFunctorIdLi1ELi1ELi0EEEJNS0_5RoundIdEEEEEvT_T0_DpT1_
	.p2align	8
	.type	_ZN2at6native12_GLOBAL__N_125multi_tensor_apply_kernelINS1_18TensorListMetadataILi1EEENS1_14UnaryOpFunctorIdLi1ELi1ELi0EEEJNS0_5RoundIdEEEEEvT_T0_DpT1_,@function
_ZN2at6native12_GLOBAL__N_125multi_tensor_apply_kernelINS1_18TensorListMetadataILi1EEENS1_14UnaryOpFunctorIdLi1ELi1ELi0EEEJNS0_5RoundIdEEEEEvT_T0_DpT1_: ; @_ZN2at6native12_GLOBAL__N_125multi_tensor_apply_kernelINS1_18TensorListMetadataILi1EEENS1_14UnaryOpFunctorIdLi1ELi1ELi0EEEJNS0_5RoundIdEEEEEvT_T0_DpT1_
; %bb.0:
	v_mov_b32_e32 v1, s15
	s_add_u32 s2, s0, s15
	s_mul_hi_u32 s3, s15, 3
	s_mul_i32 s15, s15, 3
	s_addc_u32 s4, s1, 0
	global_load_u8 v1, v1, s[0:1] offset:1760
	s_add_u32 s2, s2, s15
	s_addc_u32 s3, s4, s3
	s_mov_b32 s13, 0
	s_load_b32 s2, s[2:3], 0x820
	s_waitcnt vmcnt(0)
	v_readfirstlane_b32 s5, v1
	s_delay_alu instid0(VALU_DEP_1)
	s_lshl_b32 s3, s5, 3
	s_clause 0x1
	s_load_b64 s[8:9], s[0:1], s3 offset:0x0
	s_load_b64 s[4:5], s[0:1], s3 offset:0x370
	s_waitcnt lgkmcnt(0)
	s_ashr_i32 s3, s2, 31
	s_delay_alu instid0(SALU_CYCLE_1)
	s_lshl_b64 s[10:11], s[2:3], 19
	s_lshl_b64 s[2:3], s[2:3], 16
	s_and_b32 s12, s8, 31
	s_sub_u32 s6, s4, s2
	s_subb_u32 s7, s5, s3
	s_and_b32 s2, s4, 3
	s_mov_b32 s3, s13
	s_delay_alu instid0(SALU_CYCLE_1) | instskip(NEXT) | instid1(SALU_CYCLE_1)
	s_or_b64 s[2:3], s[12:13], s[2:3]
	s_cmp_eq_u64 s[2:3], 0
	s_cbranch_scc1 .LBB262_21
; %bb.1:
	v_cmp_lt_i64_e64 s2, s[6:7], 1
	s_delay_alu instid0(VALU_DEP_1)
	s_and_b32 vcc_lo, exec_lo, s2
	s_cbranch_vccnz .LBB262_20
; %bb.2:
	s_load_b32 s2, s[0:1], 0xd3c
	v_cmp_gt_u64_e64 s3, 0x10000, s[6:7]
	v_lshlrev_b32_e32 v1, 3, v0
	s_waitcnt lgkmcnt(0)
	s_and_b32 s2, s2, 0xffff
	s_delay_alu instid0(VALU_DEP_2)
	s_and_b32 s3, s3, exec_lo
	v_add_co_u32 v13, s5, v0, s2
	s_cselect_b32 s13, s7, 0
	s_cselect_b32 s12, s6, 0x10000
	s_lshl_b32 s3, s2, 1
	s_lshl_b32 s16, s2, 2
	v_lshlrev_b32_e32 v3, 3, v13
	v_add_co_ci_u32_e64 v14, null, 0, 0, s5
	s_add_u32 s5, s8, s10
	v_add_co_u32 v17, s3, s3, v0
	s_mul_i32 s4, s2, 3
	s_addc_u32 s14, s9, s11
	v_add_co_ci_u32_e64 v18, null, 0, 0, s3
	v_add_co_u32 v1, s3, s5, v1
	v_add_co_u32 v15, s4, s4, v0
	v_add_co_ci_u32_e64 v2, null, s14, 0, s3
	v_add_co_u32 v3, s3, s5, v3
	v_add_co_ci_u32_e64 v16, null, 0, 0, s4
	v_add_co_ci_u32_e64 v4, null, s14, 0, s3
	s_lshl_b32 s17, s2, 5
	s_mul_i32 s18, s2, 24
	s_lshl_b32 s19, s2, 4
	s_mov_b64 s[14:15], 0
	s_branch .LBB262_4
.LBB262_3:                              ;   in Loop: Header=BB262_4 Depth=1
	s_or_b32 exec_lo, exec_lo, s2
	s_add_u32 s14, s14, s16
	s_addc_u32 s15, s15, 0
	v_add_co_u32 v1, vcc_lo, v1, s17
	v_cmp_lt_i64_e64 s2, s[14:15], s[6:7]
	v_cmp_gt_u64_e64 s3, 0x10000, s[14:15]
	v_add_co_ci_u32_e32 v2, vcc_lo, 0, v2, vcc_lo
	v_add_co_u32 v3, vcc_lo, v3, s17
	v_add_co_ci_u32_e32 v4, vcc_lo, 0, v4, vcc_lo
	s_delay_alu instid0(VALU_DEP_4) | instskip(NEXT) | instid1(SALU_CYCLE_1)
	s_and_b32 s2, s2, s3
	s_and_b32 vcc_lo, exec_lo, s2
	s_cbranch_vccz .LBB262_20
.LBB262_4:                              ; =>This Inner Loop Header: Depth=1
	s_waitcnt vmcnt(0)
	v_add_co_u32 v7, s2, v0, s14
	s_delay_alu instid0(VALU_DEP_1) | instskip(SKIP_2) | instid1(VALU_DEP_3)
	v_add_co_ci_u32_e64 v8, null, 0, s15, s2
	v_mov_b32_e32 v5, 0
	v_mov_b32_e32 v6, 0
	v_cmp_gt_u64_e32 vcc_lo, s[12:13], v[7:8]
	s_delay_alu instid0(VALU_DEP_2)
	v_dual_mov_b32 v8, v6 :: v_dual_mov_b32 v7, v5
	s_and_saveexec_b32 s2, vcc_lo
	s_cbranch_execz .LBB262_6
; %bb.5:                                ;   in Loop: Header=BB262_4 Depth=1
	global_load_b64 v[7:8], v[1:2], off
.LBB262_6:                              ;   in Loop: Header=BB262_4 Depth=1
	s_or_b32 exec_lo, exec_lo, s2
	v_add_co_u32 v9, s2, v13, s14
	s_delay_alu instid0(VALU_DEP_1) | instskip(NEXT) | instid1(VALU_DEP_1)
	v_add_co_ci_u32_e64 v10, s2, s15, v14, s2
	v_cmp_gt_u64_e64 s2, s[12:13], v[9:10]
	s_delay_alu instid0(VALU_DEP_1)
	s_and_saveexec_b32 s3, s2
	s_cbranch_execz .LBB262_8
; %bb.7:                                ;   in Loop: Header=BB262_4 Depth=1
	global_load_b64 v[5:6], v[3:4], off
.LBB262_8:                              ;   in Loop: Header=BB262_4 Depth=1
	s_or_b32 exec_lo, exec_lo, s3
	v_add_co_u32 v11, s3, v17, s14
	s_delay_alu instid0(VALU_DEP_1) | instskip(SKIP_2) | instid1(VALU_DEP_3)
	v_add_co_ci_u32_e64 v12, s3, s15, v18, s3
	v_mov_b32_e32 v9, 0
	v_mov_b32_e32 v10, 0
	v_cmp_gt_u64_e64 s3, s[12:13], v[11:12]
	s_delay_alu instid0(VALU_DEP_2) | instskip(NEXT) | instid1(VALU_DEP_2)
	v_dual_mov_b32 v12, v10 :: v_dual_mov_b32 v11, v9
	s_and_saveexec_b32 s5, s3
	s_cbranch_execz .LBB262_10
; %bb.9:                                ;   in Loop: Header=BB262_4 Depth=1
	v_add_co_u32 v11, s4, v1, s19
	s_delay_alu instid0(VALU_DEP_1)
	v_add_co_ci_u32_e64 v12, s4, 0, v2, s4
	global_load_b64 v[11:12], v[11:12], off
.LBB262_10:                             ;   in Loop: Header=BB262_4 Depth=1
	s_or_b32 exec_lo, exec_lo, s5
	v_add_co_u32 v19, s4, v15, s14
	s_delay_alu instid0(VALU_DEP_1) | instskip(NEXT) | instid1(VALU_DEP_1)
	v_add_co_ci_u32_e64 v20, s4, s15, v16, s4
	v_cmp_gt_u64_e64 s4, s[12:13], v[19:20]
	s_delay_alu instid0(VALU_DEP_1)
	s_and_saveexec_b32 s20, s4
	s_cbranch_execnz .LBB262_15
; %bb.11:                               ;   in Loop: Header=BB262_4 Depth=1
	s_or_b32 exec_lo, exec_lo, s20
	s_and_saveexec_b32 s5, vcc_lo
	s_cbranch_execnz .LBB262_16
.LBB262_12:                             ;   in Loop: Header=BB262_4 Depth=1
	s_or_b32 exec_lo, exec_lo, s5
	s_and_saveexec_b32 s5, s2
	s_cbranch_execnz .LBB262_17
.LBB262_13:                             ;   in Loop: Header=BB262_4 Depth=1
	s_or_b32 exec_lo, exec_lo, s5
	s_and_saveexec_b32 s2, s3
	s_cbranch_execnz .LBB262_18
.LBB262_14:                             ;   in Loop: Header=BB262_4 Depth=1
	s_or_b32 exec_lo, exec_lo, s2
	s_and_saveexec_b32 s2, s4
	s_cbranch_execz .LBB262_3
	s_branch .LBB262_19
.LBB262_15:                             ;   in Loop: Header=BB262_4 Depth=1
	v_add_co_u32 v9, s5, v1, s18
	s_delay_alu instid0(VALU_DEP_1)
	v_add_co_ci_u32_e64 v10, s5, 0, v2, s5
	global_load_b64 v[9:10], v[9:10], off
	s_or_b32 exec_lo, exec_lo, s20
	s_and_saveexec_b32 s5, vcc_lo
	s_cbranch_execz .LBB262_12
.LBB262_16:                             ;   in Loop: Header=BB262_4 Depth=1
	s_waitcnt vmcnt(0)
	v_rndne_f64_e32 v[7:8], v[7:8]
	global_store_b64 v[1:2], v[7:8], off
	s_or_b32 exec_lo, exec_lo, s5
	s_and_saveexec_b32 s5, s2
	s_cbranch_execz .LBB262_13
.LBB262_17:                             ;   in Loop: Header=BB262_4 Depth=1
	s_waitcnt vmcnt(0)
	v_rndne_f64_e32 v[5:6], v[5:6]
	global_store_b64 v[3:4], v[5:6], off
	s_or_b32 exec_lo, exec_lo, s5
	s_and_saveexec_b32 s2, s3
	s_cbranch_execz .LBB262_14
.LBB262_18:                             ;   in Loop: Header=BB262_4 Depth=1
	s_waitcnt vmcnt(0)
	v_rndne_f64_e32 v[5:6], v[11:12]
	v_add_co_u32 v7, vcc_lo, v1, s19
	v_add_co_ci_u32_e32 v8, vcc_lo, 0, v2, vcc_lo
	global_store_b64 v[7:8], v[5:6], off
	s_or_b32 exec_lo, exec_lo, s2
	s_and_saveexec_b32 s2, s4
	s_cbranch_execz .LBB262_3
.LBB262_19:                             ;   in Loop: Header=BB262_4 Depth=1
	s_waitcnt vmcnt(0)
	v_rndne_f64_e32 v[5:6], v[9:10]
	v_add_co_u32 v7, vcc_lo, v1, s18
	v_add_co_ci_u32_e32 v8, vcc_lo, 0, v2, vcc_lo
	global_store_b64 v[7:8], v[5:6], off
	s_branch .LBB262_3
.LBB262_20:
	s_cbranch_execz .LBB262_22
	s_branch .LBB262_25
.LBB262_21:
.LBB262_22:
	v_dual_mov_b32 v2, 0 :: v_dual_lshlrev_b32 v1, 2, v0
	s_mov_b32 s2, 0
	s_mov_b32 s3, exec_lo
	s_delay_alu instid0(VALU_DEP_1)
	v_cmpx_gt_i64_e64 s[6:7], v[1:2]
	s_cbranch_execz .LBB262_25
; %bb.23:
	s_load_b32 s0, s[0:1], 0xd3c
	v_lshlrev_b32_e32 v1, 5, v0
	s_waitcnt lgkmcnt(0)
	s_and_b32 s0, s0, 0xffff
	s_delay_alu instid0(SALU_CYCLE_1) | instskip(SKIP_3) | instid1(VALU_DEP_1)
	s_lshl_b32 s3, s0, 2
	s_add_u32 s1, s8, s10
	s_addc_u32 s4, s9, s11
	v_add_co_u32 v3, s1, s1, v1
	v_add_co_ci_u32_e64 v4, null, s4, 0, s1
	v_add_lshl_u32 v1, v0, s0, 2
	s_delay_alu instid0(VALU_DEP_3) | instskip(NEXT) | instid1(VALU_DEP_3)
	v_add_co_u32 v3, vcc_lo, v3, 16
	v_add_co_ci_u32_e32 v4, vcc_lo, 0, v4, vcc_lo
	s_lshl_b32 s4, s0, 5
	.p2align	6
.LBB262_24:                             ; =>This Inner Loop Header: Depth=1
	s_clause 0x1
	global_load_b128 v[5:8], v[3:4], off offset:-16
	global_load_b128 v[9:12], v[3:4], off
	v_cmp_le_i64_e32 vcc_lo, s[6:7], v[1:2]
	v_cmp_lt_u64_e64 s0, 0xffff, v[1:2]
	v_add_co_u32 v1, s1, v1, s3
	s_delay_alu instid0(VALU_DEP_1) | instskip(NEXT) | instid1(VALU_DEP_3)
	v_add_co_ci_u32_e64 v2, s1, 0, v2, s1
	s_or_b32 s0, vcc_lo, s0
	s_delay_alu instid0(SALU_CYCLE_1) | instskip(NEXT) | instid1(SALU_CYCLE_1)
	s_and_b32 s0, exec_lo, s0
	s_or_b32 s2, s0, s2
	s_waitcnt vmcnt(1)
	v_rndne_f64_e32 v[5:6], v[5:6]
	v_rndne_f64_e32 v[7:8], v[7:8]
	s_waitcnt vmcnt(0)
	v_rndne_f64_e32 v[9:10], v[9:10]
	v_rndne_f64_e32 v[11:12], v[11:12]
	s_clause 0x1
	global_store_b128 v[3:4], v[5:8], off offset:-16
	global_store_b128 v[3:4], v[9:12], off
	v_add_co_u32 v3, vcc_lo, v3, s4
	v_add_co_ci_u32_e32 v4, vcc_lo, 0, v4, vcc_lo
	s_and_not1_b32 exec_lo, exec_lo, s2
	s_cbranch_execnz .LBB262_24
.LBB262_25:
	s_nop 0
	s_sendmsg sendmsg(MSG_DEALLOC_VGPRS)
	s_endpgm
	.section	.rodata,"a",@progbits
	.p2align	6, 0x0
	.amdhsa_kernel _ZN2at6native12_GLOBAL__N_125multi_tensor_apply_kernelINS1_18TensorListMetadataILi1EEENS1_14UnaryOpFunctorIdLi1ELi1ELi0EEEJNS0_5RoundIdEEEEEvT_T0_DpT1_
		.amdhsa_group_segment_fixed_size 0
		.amdhsa_private_segment_fixed_size 0
		.amdhsa_kernarg_size 3632
		.amdhsa_user_sgpr_count 15
		.amdhsa_user_sgpr_dispatch_ptr 0
		.amdhsa_user_sgpr_queue_ptr 0
		.amdhsa_user_sgpr_kernarg_segment_ptr 1
		.amdhsa_user_sgpr_dispatch_id 0
		.amdhsa_user_sgpr_private_segment_size 0
		.amdhsa_wavefront_size32 1
		.amdhsa_uses_dynamic_stack 0
		.amdhsa_enable_private_segment 0
		.amdhsa_system_sgpr_workgroup_id_x 1
		.amdhsa_system_sgpr_workgroup_id_y 0
		.amdhsa_system_sgpr_workgroup_id_z 0
		.amdhsa_system_sgpr_workgroup_info 0
		.amdhsa_system_vgpr_workitem_id 0
		.amdhsa_next_free_vgpr 21
		.amdhsa_next_free_sgpr 21
		.amdhsa_reserve_vcc 1
		.amdhsa_float_round_mode_32 0
		.amdhsa_float_round_mode_16_64 0
		.amdhsa_float_denorm_mode_32 3
		.amdhsa_float_denorm_mode_16_64 3
		.amdhsa_dx10_clamp 1
		.amdhsa_ieee_mode 1
		.amdhsa_fp16_overflow 0
		.amdhsa_workgroup_processor_mode 1
		.amdhsa_memory_ordered 1
		.amdhsa_forward_progress 0
		.amdhsa_shared_vgpr_count 0
		.amdhsa_exception_fp_ieee_invalid_op 0
		.amdhsa_exception_fp_denorm_src 0
		.amdhsa_exception_fp_ieee_div_zero 0
		.amdhsa_exception_fp_ieee_overflow 0
		.amdhsa_exception_fp_ieee_underflow 0
		.amdhsa_exception_fp_ieee_inexact 0
		.amdhsa_exception_int_div_zero 0
	.end_amdhsa_kernel
	.section	.text._ZN2at6native12_GLOBAL__N_125multi_tensor_apply_kernelINS1_18TensorListMetadataILi1EEENS1_14UnaryOpFunctorIdLi1ELi1ELi0EEEJNS0_5RoundIdEEEEEvT_T0_DpT1_,"axG",@progbits,_ZN2at6native12_GLOBAL__N_125multi_tensor_apply_kernelINS1_18TensorListMetadataILi1EEENS1_14UnaryOpFunctorIdLi1ELi1ELi0EEEJNS0_5RoundIdEEEEEvT_T0_DpT1_,comdat
.Lfunc_end262:
	.size	_ZN2at6native12_GLOBAL__N_125multi_tensor_apply_kernelINS1_18TensorListMetadataILi1EEENS1_14UnaryOpFunctorIdLi1ELi1ELi0EEEJNS0_5RoundIdEEEEEvT_T0_DpT1_, .Lfunc_end262-_ZN2at6native12_GLOBAL__N_125multi_tensor_apply_kernelINS1_18TensorListMetadataILi1EEENS1_14UnaryOpFunctorIdLi1ELi1ELi0EEEJNS0_5RoundIdEEEEEvT_T0_DpT1_
                                        ; -- End function
	.section	.AMDGPU.csdata,"",@progbits
; Kernel info:
; codeLenInByte = 1152
; NumSgprs: 23
; NumVgprs: 21
; ScratchSize: 0
; MemoryBound: 0
; FloatMode: 240
; IeeeMode: 1
; LDSByteSize: 0 bytes/workgroup (compile time only)
; SGPRBlocks: 2
; VGPRBlocks: 2
; NumSGPRsForWavesPerEU: 23
; NumVGPRsForWavesPerEU: 21
; Occupancy: 16
; WaveLimiterHint : 0
; COMPUTE_PGM_RSRC2:SCRATCH_EN: 0
; COMPUTE_PGM_RSRC2:USER_SGPR: 15
; COMPUTE_PGM_RSRC2:TRAP_HANDLER: 0
; COMPUTE_PGM_RSRC2:TGID_X_EN: 1
; COMPUTE_PGM_RSRC2:TGID_Y_EN: 0
; COMPUTE_PGM_RSRC2:TGID_Z_EN: 0
; COMPUTE_PGM_RSRC2:TIDIG_COMP_CNT: 0
	.section	.text._ZN2at6native12_GLOBAL__N_125multi_tensor_apply_kernelINS1_18TensorListMetadataILi1EEENS1_14UnaryOpFunctorIfLi1ELi1ELi0EEEJNS0_5RoundIfEEEEEvT_T0_DpT1_,"axG",@progbits,_ZN2at6native12_GLOBAL__N_125multi_tensor_apply_kernelINS1_18TensorListMetadataILi1EEENS1_14UnaryOpFunctorIfLi1ELi1ELi0EEEJNS0_5RoundIfEEEEEvT_T0_DpT1_,comdat
	.globl	_ZN2at6native12_GLOBAL__N_125multi_tensor_apply_kernelINS1_18TensorListMetadataILi1EEENS1_14UnaryOpFunctorIfLi1ELi1ELi0EEEJNS0_5RoundIfEEEEEvT_T0_DpT1_ ; -- Begin function _ZN2at6native12_GLOBAL__N_125multi_tensor_apply_kernelINS1_18TensorListMetadataILi1EEENS1_14UnaryOpFunctorIfLi1ELi1ELi0EEEJNS0_5RoundIfEEEEEvT_T0_DpT1_
	.p2align	8
	.type	_ZN2at6native12_GLOBAL__N_125multi_tensor_apply_kernelINS1_18TensorListMetadataILi1EEENS1_14UnaryOpFunctorIfLi1ELi1ELi0EEEJNS0_5RoundIfEEEEEvT_T0_DpT1_,@function
_ZN2at6native12_GLOBAL__N_125multi_tensor_apply_kernelINS1_18TensorListMetadataILi1EEENS1_14UnaryOpFunctorIfLi1ELi1ELi0EEEJNS0_5RoundIfEEEEEvT_T0_DpT1_: ; @_ZN2at6native12_GLOBAL__N_125multi_tensor_apply_kernelINS1_18TensorListMetadataILi1EEENS1_14UnaryOpFunctorIfLi1ELi1ELi0EEEJNS0_5RoundIfEEEEEvT_T0_DpT1_
; %bb.0:
	v_mov_b32_e32 v1, s15
	s_add_u32 s2, s0, s15
	s_mul_hi_u32 s3, s15, 3
	s_mul_i32 s15, s15, 3
	s_addc_u32 s4, s1, 0
	global_load_u8 v1, v1, s[0:1] offset:1760
	s_add_u32 s2, s2, s15
	s_addc_u32 s3, s4, s3
	s_mov_b32 s13, 0
	s_load_b32 s2, s[2:3], 0x820
	s_waitcnt vmcnt(0)
	v_readfirstlane_b32 s5, v1
	s_delay_alu instid0(VALU_DEP_1)
	s_lshl_b32 s3, s5, 3
	s_clause 0x1
	s_load_b64 s[8:9], s[0:1], s3 offset:0x0
	s_load_b64 s[4:5], s[0:1], s3 offset:0x370
	s_waitcnt lgkmcnt(0)
	s_ashr_i32 s3, s2, 31
	s_delay_alu instid0(SALU_CYCLE_1)
	s_lshl_b64 s[10:11], s[2:3], 18
	s_lshl_b64 s[2:3], s[2:3], 16
	s_and_b32 s12, s8, 15
	s_sub_u32 s6, s4, s2
	s_subb_u32 s7, s5, s3
	s_and_b32 s2, s4, 3
	s_mov_b32 s3, s13
	s_delay_alu instid0(SALU_CYCLE_1) | instskip(NEXT) | instid1(SALU_CYCLE_1)
	s_or_b64 s[2:3], s[12:13], s[2:3]
	s_cmp_eq_u64 s[2:3], 0
	s_cbranch_scc1 .LBB263_21
; %bb.1:
	v_cmp_lt_i64_e64 s2, s[6:7], 1
	s_delay_alu instid0(VALU_DEP_1)
	s_and_b32 vcc_lo, exec_lo, s2
	s_cbranch_vccnz .LBB263_20
; %bb.2:
	s_load_b32 s2, s[0:1], 0xd3c
	v_cmp_gt_u64_e64 s3, 0x10000, s[6:7]
	v_lshlrev_b32_e32 v1, 2, v0
	s_waitcnt lgkmcnt(0)
	s_and_b32 s2, s2, 0xffff
	s_delay_alu instid0(VALU_DEP_2)
	s_and_b32 s3, s3, exec_lo
	v_add_co_u32 v5, s5, v0, s2
	s_cselect_b32 s13, s7, 0
	s_cselect_b32 s12, s6, 0x10000
	s_lshl_b32 s3, s2, 1
	s_lshl_b32 s16, s2, 2
	v_lshlrev_b32_e32 v3, 2, v5
	v_add_co_ci_u32_e64 v6, null, 0, 0, s5
	s_add_u32 s5, s8, s10
	v_add_co_u32 v9, s3, s3, v0
	s_mul_i32 s4, s2, 3
	s_addc_u32 s14, s9, s11
	v_add_co_ci_u32_e64 v10, null, 0, 0, s3
	v_add_co_u32 v1, s3, s5, v1
	v_add_co_u32 v7, s4, s4, v0
	v_add_co_ci_u32_e64 v2, null, s14, 0, s3
	v_add_co_u32 v3, s3, s5, v3
	v_add_co_ci_u32_e64 v8, null, 0, 0, s4
	v_add_co_ci_u32_e64 v4, null, s14, 0, s3
	s_lshl_b32 s17, s2, 4
	s_mul_i32 s18, s2, 12
	s_lshl_b32 s19, s2, 3
	s_mov_b64 s[14:15], 0
	s_branch .LBB263_4
.LBB263_3:                              ;   in Loop: Header=BB263_4 Depth=1
	s_or_b32 exec_lo, exec_lo, s2
	s_add_u32 s14, s14, s16
	s_addc_u32 s15, s15, 0
	v_add_co_u32 v1, vcc_lo, v1, s17
	v_cmp_lt_i64_e64 s2, s[14:15], s[6:7]
	v_cmp_gt_u64_e64 s3, 0x10000, s[14:15]
	v_add_co_ci_u32_e32 v2, vcc_lo, 0, v2, vcc_lo
	v_add_co_u32 v3, vcc_lo, v3, s17
	v_add_co_ci_u32_e32 v4, vcc_lo, 0, v4, vcc_lo
	s_delay_alu instid0(VALU_DEP_4) | instskip(NEXT) | instid1(SALU_CYCLE_1)
	s_and_b32 s2, s2, s3
	s_and_b32 vcc_lo, exec_lo, s2
	s_cbranch_vccz .LBB263_20
.LBB263_4:                              ; =>This Inner Loop Header: Depth=1
	s_waitcnt vmcnt(0)
	v_add_co_u32 v11, s2, v0, s14
	s_delay_alu instid0(VALU_DEP_1) | instskip(NEXT) | instid1(VALU_DEP_1)
	v_add_co_ci_u32_e64 v12, null, 0, s15, s2
	v_cmp_gt_u64_e32 vcc_lo, s[12:13], v[11:12]
	v_mov_b32_e32 v11, 0
	s_and_saveexec_b32 s2, vcc_lo
	s_cbranch_execz .LBB263_6
; %bb.5:                                ;   in Loop: Header=BB263_4 Depth=1
	global_load_b32 v11, v[1:2], off
.LBB263_6:                              ;   in Loop: Header=BB263_4 Depth=1
	s_or_b32 exec_lo, exec_lo, s2
	v_add_co_u32 v12, s2, v5, s14
	s_delay_alu instid0(VALU_DEP_1) | instskip(NEXT) | instid1(VALU_DEP_1)
	v_add_co_ci_u32_e64 v13, s2, s15, v6, s2
	v_cmp_gt_u64_e64 s2, s[12:13], v[12:13]
	v_mov_b32_e32 v13, 0
	s_delay_alu instid0(VALU_DEP_2)
	s_and_saveexec_b32 s3, s2
	s_cbranch_execz .LBB263_8
; %bb.7:                                ;   in Loop: Header=BB263_4 Depth=1
	global_load_b32 v13, v[3:4], off
.LBB263_8:                              ;   in Loop: Header=BB263_4 Depth=1
	s_or_b32 exec_lo, exec_lo, s3
	v_add_co_u32 v14, s3, v9, s14
	s_delay_alu instid0(VALU_DEP_1) | instskip(SKIP_1) | instid1(VALU_DEP_2)
	v_add_co_ci_u32_e64 v15, s3, s15, v10, s3
	v_mov_b32_e32 v12, 0
	v_cmp_gt_u64_e64 s3, s[12:13], v[14:15]
	v_mov_b32_e32 v14, 0
	s_delay_alu instid0(VALU_DEP_2)
	s_and_saveexec_b32 s5, s3
	s_cbranch_execz .LBB263_10
; %bb.9:                                ;   in Loop: Header=BB263_4 Depth=1
	v_add_co_u32 v14, s4, v1, s19
	s_delay_alu instid0(VALU_DEP_1)
	v_add_co_ci_u32_e64 v15, s4, 0, v2, s4
	global_load_b32 v14, v[14:15], off
.LBB263_10:                             ;   in Loop: Header=BB263_4 Depth=1
	s_or_b32 exec_lo, exec_lo, s5
	v_add_co_u32 v15, s4, v7, s14
	s_delay_alu instid0(VALU_DEP_1) | instskip(NEXT) | instid1(VALU_DEP_1)
	v_add_co_ci_u32_e64 v16, s4, s15, v8, s4
	v_cmp_gt_u64_e64 s4, s[12:13], v[15:16]
	s_delay_alu instid0(VALU_DEP_1)
	s_and_saveexec_b32 s20, s4
	s_cbranch_execnz .LBB263_15
; %bb.11:                               ;   in Loop: Header=BB263_4 Depth=1
	s_or_b32 exec_lo, exec_lo, s20
	s_and_saveexec_b32 s5, vcc_lo
	s_cbranch_execnz .LBB263_16
.LBB263_12:                             ;   in Loop: Header=BB263_4 Depth=1
	s_or_b32 exec_lo, exec_lo, s5
	s_and_saveexec_b32 s5, s2
	s_cbranch_execnz .LBB263_17
.LBB263_13:                             ;   in Loop: Header=BB263_4 Depth=1
	s_or_b32 exec_lo, exec_lo, s5
	s_and_saveexec_b32 s2, s3
	s_cbranch_execnz .LBB263_18
.LBB263_14:                             ;   in Loop: Header=BB263_4 Depth=1
	s_or_b32 exec_lo, exec_lo, s2
	s_and_saveexec_b32 s2, s4
	s_cbranch_execz .LBB263_3
	s_branch .LBB263_19
.LBB263_15:                             ;   in Loop: Header=BB263_4 Depth=1
	v_add_co_u32 v15, s5, v1, s18
	s_delay_alu instid0(VALU_DEP_1)
	v_add_co_ci_u32_e64 v16, s5, 0, v2, s5
	global_load_b32 v12, v[15:16], off
	s_or_b32 exec_lo, exec_lo, s20
	s_and_saveexec_b32 s5, vcc_lo
	s_cbranch_execz .LBB263_12
.LBB263_16:                             ;   in Loop: Header=BB263_4 Depth=1
	s_waitcnt vmcnt(0)
	v_rndne_f32_e32 v11, v11
	global_store_b32 v[1:2], v11, off
	s_or_b32 exec_lo, exec_lo, s5
	s_and_saveexec_b32 s5, s2
	s_cbranch_execz .LBB263_13
.LBB263_17:                             ;   in Loop: Header=BB263_4 Depth=1
	s_waitcnt vmcnt(0)
	v_rndne_f32_e32 v11, v13
	global_store_b32 v[3:4], v11, off
	s_or_b32 exec_lo, exec_lo, s5
	s_and_saveexec_b32 s2, s3
	s_cbranch_execz .LBB263_14
.LBB263_18:                             ;   in Loop: Header=BB263_4 Depth=1
	s_waitcnt vmcnt(0)
	v_add_co_u32 v13, vcc_lo, v1, s19
	v_rndne_f32_e32 v11, v14
	v_add_co_ci_u32_e32 v14, vcc_lo, 0, v2, vcc_lo
	global_store_b32 v[13:14], v11, off
	s_or_b32 exec_lo, exec_lo, s2
	s_and_saveexec_b32 s2, s4
	s_cbranch_execz .LBB263_3
.LBB263_19:                             ;   in Loop: Header=BB263_4 Depth=1
	s_waitcnt vmcnt(0)
	v_add_co_u32 v11, vcc_lo, v1, s18
	v_rndne_f32_e32 v13, v12
	v_add_co_ci_u32_e32 v12, vcc_lo, 0, v2, vcc_lo
	global_store_b32 v[11:12], v13, off
	s_branch .LBB263_3
.LBB263_20:
	s_cbranch_execz .LBB263_22
	s_branch .LBB263_25
.LBB263_21:
.LBB263_22:
	v_dual_mov_b32 v2, 0 :: v_dual_lshlrev_b32 v1, 2, v0
	s_mov_b32 s2, 0
	s_mov_b32 s3, exec_lo
	s_delay_alu instid0(VALU_DEP_1)
	v_cmpx_gt_i64_e64 s[6:7], v[1:2]
	s_cbranch_execz .LBB263_25
; %bb.23:
	s_load_b32 s0, s[0:1], 0xd3c
	v_lshlrev_b32_e32 v1, 4, v0
	s_waitcnt lgkmcnt(0)
	s_and_b32 s0, s0, 0xffff
	s_delay_alu instid0(SALU_CYCLE_1) | instskip(SKIP_3) | instid1(VALU_DEP_1)
	s_lshl_b32 s3, s0, 2
	s_add_u32 s1, s8, s10
	s_addc_u32 s4, s9, s11
	v_add_co_u32 v3, s1, s1, v1
	v_add_co_ci_u32_e64 v4, null, s4, 0, s1
	v_add_lshl_u32 v1, v0, s0, 2
	s_delay_alu instid0(VALU_DEP_3) | instskip(NEXT) | instid1(VALU_DEP_3)
	v_add_co_u32 v3, vcc_lo, v3, 8
	v_add_co_ci_u32_e32 v4, vcc_lo, 0, v4, vcc_lo
	s_lshl_b32 s4, s0, 4
	.p2align	6
.LBB263_24:                             ; =>This Inner Loop Header: Depth=1
	global_load_b128 v[5:8], v[3:4], off offset:-8
	v_cmp_le_i64_e32 vcc_lo, s[6:7], v[1:2]
	v_cmp_lt_u64_e64 s0, 0xffff, v[1:2]
	v_add_co_u32 v1, s1, v1, s3
	s_delay_alu instid0(VALU_DEP_1) | instskip(NEXT) | instid1(VALU_DEP_3)
	v_add_co_ci_u32_e64 v2, s1, 0, v2, s1
	s_or_b32 s0, vcc_lo, s0
	s_delay_alu instid0(SALU_CYCLE_1) | instskip(NEXT) | instid1(SALU_CYCLE_1)
	s_and_b32 s0, exec_lo, s0
	s_or_b32 s2, s0, s2
	s_waitcnt vmcnt(0)
	v_rndne_f32_e32 v5, v5
	v_rndne_f32_e32 v6, v6
	;; [unrolled: 1-line block ×4, first 2 shown]
	global_store_b128 v[3:4], v[5:8], off offset:-8
	v_add_co_u32 v3, vcc_lo, v3, s4
	v_add_co_ci_u32_e32 v4, vcc_lo, 0, v4, vcc_lo
	s_and_not1_b32 exec_lo, exec_lo, s2
	s_cbranch_execnz .LBB263_24
.LBB263_25:
	s_nop 0
	s_sendmsg sendmsg(MSG_DEALLOC_VGPRS)
	s_endpgm
	.section	.rodata,"a",@progbits
	.p2align	6, 0x0
	.amdhsa_kernel _ZN2at6native12_GLOBAL__N_125multi_tensor_apply_kernelINS1_18TensorListMetadataILi1EEENS1_14UnaryOpFunctorIfLi1ELi1ELi0EEEJNS0_5RoundIfEEEEEvT_T0_DpT1_
		.amdhsa_group_segment_fixed_size 0
		.amdhsa_private_segment_fixed_size 0
		.amdhsa_kernarg_size 3632
		.amdhsa_user_sgpr_count 15
		.amdhsa_user_sgpr_dispatch_ptr 0
		.amdhsa_user_sgpr_queue_ptr 0
		.amdhsa_user_sgpr_kernarg_segment_ptr 1
		.amdhsa_user_sgpr_dispatch_id 0
		.amdhsa_user_sgpr_private_segment_size 0
		.amdhsa_wavefront_size32 1
		.amdhsa_uses_dynamic_stack 0
		.amdhsa_enable_private_segment 0
		.amdhsa_system_sgpr_workgroup_id_x 1
		.amdhsa_system_sgpr_workgroup_id_y 0
		.amdhsa_system_sgpr_workgroup_id_z 0
		.amdhsa_system_sgpr_workgroup_info 0
		.amdhsa_system_vgpr_workitem_id 0
		.amdhsa_next_free_vgpr 17
		.amdhsa_next_free_sgpr 21
		.amdhsa_reserve_vcc 1
		.amdhsa_float_round_mode_32 0
		.amdhsa_float_round_mode_16_64 0
		.amdhsa_float_denorm_mode_32 3
		.amdhsa_float_denorm_mode_16_64 3
		.amdhsa_dx10_clamp 1
		.amdhsa_ieee_mode 1
		.amdhsa_fp16_overflow 0
		.amdhsa_workgroup_processor_mode 1
		.amdhsa_memory_ordered 1
		.amdhsa_forward_progress 0
		.amdhsa_shared_vgpr_count 0
		.amdhsa_exception_fp_ieee_invalid_op 0
		.amdhsa_exception_fp_denorm_src 0
		.amdhsa_exception_fp_ieee_div_zero 0
		.amdhsa_exception_fp_ieee_overflow 0
		.amdhsa_exception_fp_ieee_underflow 0
		.amdhsa_exception_fp_ieee_inexact 0
		.amdhsa_exception_int_div_zero 0
	.end_amdhsa_kernel
	.section	.text._ZN2at6native12_GLOBAL__N_125multi_tensor_apply_kernelINS1_18TensorListMetadataILi1EEENS1_14UnaryOpFunctorIfLi1ELi1ELi0EEEJNS0_5RoundIfEEEEEvT_T0_DpT1_,"axG",@progbits,_ZN2at6native12_GLOBAL__N_125multi_tensor_apply_kernelINS1_18TensorListMetadataILi1EEENS1_14UnaryOpFunctorIfLi1ELi1ELi0EEEJNS0_5RoundIfEEEEEvT_T0_DpT1_,comdat
.Lfunc_end263:
	.size	_ZN2at6native12_GLOBAL__N_125multi_tensor_apply_kernelINS1_18TensorListMetadataILi1EEENS1_14UnaryOpFunctorIfLi1ELi1ELi0EEEJNS0_5RoundIfEEEEEvT_T0_DpT1_, .Lfunc_end263-_ZN2at6native12_GLOBAL__N_125multi_tensor_apply_kernelINS1_18TensorListMetadataILi1EEENS1_14UnaryOpFunctorIfLi1ELi1ELi0EEEJNS0_5RoundIfEEEEEvT_T0_DpT1_
                                        ; -- End function
	.section	.AMDGPU.csdata,"",@progbits
; Kernel info:
; codeLenInByte = 1104
; NumSgprs: 23
; NumVgprs: 17
; ScratchSize: 0
; MemoryBound: 0
; FloatMode: 240
; IeeeMode: 1
; LDSByteSize: 0 bytes/workgroup (compile time only)
; SGPRBlocks: 2
; VGPRBlocks: 2
; NumSGPRsForWavesPerEU: 23
; NumVGPRsForWavesPerEU: 17
; Occupancy: 16
; WaveLimiterHint : 0
; COMPUTE_PGM_RSRC2:SCRATCH_EN: 0
; COMPUTE_PGM_RSRC2:USER_SGPR: 15
; COMPUTE_PGM_RSRC2:TRAP_HANDLER: 0
; COMPUTE_PGM_RSRC2:TGID_X_EN: 1
; COMPUTE_PGM_RSRC2:TGID_Y_EN: 0
; COMPUTE_PGM_RSRC2:TGID_Z_EN: 0
; COMPUTE_PGM_RSRC2:TIDIG_COMP_CNT: 0
	.section	.text._ZN2at6native12_GLOBAL__N_125multi_tensor_apply_kernelINS1_18TensorListMetadataILi1EEENS1_14UnaryOpFunctorIN3c104HalfELi1ELi1ELi0EEEJNS0_5RoundIfEEEEEvT_T0_DpT1_,"axG",@progbits,_ZN2at6native12_GLOBAL__N_125multi_tensor_apply_kernelINS1_18TensorListMetadataILi1EEENS1_14UnaryOpFunctorIN3c104HalfELi1ELi1ELi0EEEJNS0_5RoundIfEEEEEvT_T0_DpT1_,comdat
	.globl	_ZN2at6native12_GLOBAL__N_125multi_tensor_apply_kernelINS1_18TensorListMetadataILi1EEENS1_14UnaryOpFunctorIN3c104HalfELi1ELi1ELi0EEEJNS0_5RoundIfEEEEEvT_T0_DpT1_ ; -- Begin function _ZN2at6native12_GLOBAL__N_125multi_tensor_apply_kernelINS1_18TensorListMetadataILi1EEENS1_14UnaryOpFunctorIN3c104HalfELi1ELi1ELi0EEEJNS0_5RoundIfEEEEEvT_T0_DpT1_
	.p2align	8
	.type	_ZN2at6native12_GLOBAL__N_125multi_tensor_apply_kernelINS1_18TensorListMetadataILi1EEENS1_14UnaryOpFunctorIN3c104HalfELi1ELi1ELi0EEEJNS0_5RoundIfEEEEEvT_T0_DpT1_,@function
_ZN2at6native12_GLOBAL__N_125multi_tensor_apply_kernelINS1_18TensorListMetadataILi1EEENS1_14UnaryOpFunctorIN3c104HalfELi1ELi1ELi0EEEJNS0_5RoundIfEEEEEvT_T0_DpT1_: ; @_ZN2at6native12_GLOBAL__N_125multi_tensor_apply_kernelINS1_18TensorListMetadataILi1EEENS1_14UnaryOpFunctorIN3c104HalfELi1ELi1ELi0EEEJNS0_5RoundIfEEEEEvT_T0_DpT1_
; %bb.0:
	v_mov_b32_e32 v1, s15
	s_add_u32 s2, s0, s15
	s_mul_hi_u32 s3, s15, 3
	s_mul_i32 s15, s15, 3
	s_addc_u32 s4, s1, 0
	global_load_u8 v1, v1, s[0:1] offset:1760
	s_add_u32 s2, s2, s15
	s_addc_u32 s3, s4, s3
	s_mov_b32 s13, 0
	s_load_b32 s2, s[2:3], 0x820
	s_waitcnt vmcnt(0)
	v_readfirstlane_b32 s5, v1
	s_delay_alu instid0(VALU_DEP_1)
	s_lshl_b32 s3, s5, 3
	s_clause 0x1
	s_load_b64 s[8:9], s[0:1], s3 offset:0x0
	s_load_b64 s[4:5], s[0:1], s3 offset:0x370
	s_waitcnt lgkmcnt(0)
	s_ashr_i32 s3, s2, 31
	s_delay_alu instid0(SALU_CYCLE_1)
	s_lshl_b64 s[10:11], s[2:3], 17
	s_lshl_b64 s[2:3], s[2:3], 16
	s_and_b32 s12, s8, 7
	s_sub_u32 s6, s4, s2
	s_subb_u32 s7, s5, s3
	s_and_b32 s2, s4, 3
	s_mov_b32 s3, s13
	s_delay_alu instid0(SALU_CYCLE_1) | instskip(NEXT) | instid1(SALU_CYCLE_1)
	s_or_b64 s[2:3], s[12:13], s[2:3]
	s_cmp_eq_u64 s[2:3], 0
	s_cbranch_scc1 .LBB264_21
; %bb.1:
	v_cmp_lt_i64_e64 s2, s[6:7], 1
	s_delay_alu instid0(VALU_DEP_1)
	s_and_b32 vcc_lo, exec_lo, s2
	s_cbranch_vccnz .LBB264_20
; %bb.2:
	s_load_b32 s2, s[0:1], 0xd3c
	v_cmp_gt_u64_e64 s3, 0x10000, s[6:7]
	v_lshlrev_b32_e32 v1, 1, v0
	s_waitcnt lgkmcnt(0)
	s_and_b32 s2, s2, 0xffff
	s_delay_alu instid0(VALU_DEP_2)
	s_and_b32 s3, s3, exec_lo
	v_add_co_u32 v5, s5, v0, s2
	s_cselect_b32 s13, s7, 0
	s_cselect_b32 s12, s6, 0x10000
	s_lshl_b32 s3, s2, 1
	s_lshl_b32 s16, s2, 2
	v_lshlrev_b32_e32 v3, 1, v5
	v_add_co_ci_u32_e64 v6, null, 0, 0, s5
	s_add_u32 s5, s8, s10
	v_add_co_u32 v9, s3, s3, v0
	s_mul_i32 s4, s2, 3
	s_addc_u32 s14, s9, s11
	v_add_co_ci_u32_e64 v10, null, 0, 0, s3
	v_add_co_u32 v1, s3, s5, v1
	v_add_co_u32 v7, s4, s4, v0
	v_add_co_ci_u32_e64 v2, null, s14, 0, s3
	v_add_co_u32 v3, s3, s5, v3
	v_add_co_ci_u32_e64 v8, null, 0, 0, s4
	v_add_co_ci_u32_e64 v4, null, s14, 0, s3
	s_lshl_b32 s17, s2, 3
	s_mul_i32 s18, s2, 6
	s_mov_b64 s[14:15], 0
	s_branch .LBB264_4
.LBB264_3:                              ;   in Loop: Header=BB264_4 Depth=1
	s_or_b32 exec_lo, exec_lo, s2
	s_add_u32 s14, s14, s16
	s_addc_u32 s15, s15, 0
	v_add_co_u32 v1, vcc_lo, v1, s17
	v_cmp_lt_i64_e64 s2, s[14:15], s[6:7]
	v_cmp_gt_u64_e64 s3, 0x10000, s[14:15]
	v_add_co_ci_u32_e32 v2, vcc_lo, 0, v2, vcc_lo
	v_add_co_u32 v3, vcc_lo, v3, s17
	v_add_co_ci_u32_e32 v4, vcc_lo, 0, v4, vcc_lo
	s_delay_alu instid0(VALU_DEP_4) | instskip(NEXT) | instid1(SALU_CYCLE_1)
	s_and_b32 s2, s2, s3
	s_and_b32 vcc_lo, exec_lo, s2
	s_cbranch_vccz .LBB264_20
.LBB264_4:                              ; =>This Inner Loop Header: Depth=1
	s_waitcnt vmcnt(0)
	v_add_co_u32 v11, s2, v0, s14
	s_delay_alu instid0(VALU_DEP_1) | instskip(NEXT) | instid1(VALU_DEP_1)
	v_add_co_ci_u32_e64 v12, null, 0, s15, s2
	v_cmp_gt_u64_e32 vcc_lo, s[12:13], v[11:12]
	v_mov_b32_e32 v11, 0
	s_and_saveexec_b32 s2, vcc_lo
	s_cbranch_execz .LBB264_6
; %bb.5:                                ;   in Loop: Header=BB264_4 Depth=1
	global_load_u16 v11, v[1:2], off
.LBB264_6:                              ;   in Loop: Header=BB264_4 Depth=1
	s_or_b32 exec_lo, exec_lo, s2
	v_add_co_u32 v12, s2, v5, s14
	s_delay_alu instid0(VALU_DEP_1) | instskip(NEXT) | instid1(VALU_DEP_1)
	v_add_co_ci_u32_e64 v13, s2, s15, v6, s2
	v_cmp_gt_u64_e64 s2, s[12:13], v[12:13]
	v_mov_b32_e32 v13, 0
	s_delay_alu instid0(VALU_DEP_2)
	s_and_saveexec_b32 s3, s2
	s_cbranch_execz .LBB264_8
; %bb.7:                                ;   in Loop: Header=BB264_4 Depth=1
	global_load_u16 v13, v[3:4], off
.LBB264_8:                              ;   in Loop: Header=BB264_4 Depth=1
	s_or_b32 exec_lo, exec_lo, s3
	v_add_co_u32 v14, s3, v9, s14
	s_delay_alu instid0(VALU_DEP_1) | instskip(SKIP_1) | instid1(VALU_DEP_2)
	v_add_co_ci_u32_e64 v15, s3, s15, v10, s3
	v_mov_b32_e32 v12, 0
	v_cmp_gt_u64_e64 s3, s[12:13], v[14:15]
	v_mov_b32_e32 v14, 0
	s_delay_alu instid0(VALU_DEP_2)
	s_and_saveexec_b32 s5, s3
	s_cbranch_execz .LBB264_10
; %bb.9:                                ;   in Loop: Header=BB264_4 Depth=1
	v_add_co_u32 v14, s4, v1, s16
	s_delay_alu instid0(VALU_DEP_1)
	v_add_co_ci_u32_e64 v15, s4, 0, v2, s4
	global_load_u16 v14, v[14:15], off
.LBB264_10:                             ;   in Loop: Header=BB264_4 Depth=1
	s_or_b32 exec_lo, exec_lo, s5
	v_add_co_u32 v15, s4, v7, s14
	s_delay_alu instid0(VALU_DEP_1) | instskip(NEXT) | instid1(VALU_DEP_1)
	v_add_co_ci_u32_e64 v16, s4, s15, v8, s4
	v_cmp_gt_u64_e64 s4, s[12:13], v[15:16]
	s_delay_alu instid0(VALU_DEP_1)
	s_and_saveexec_b32 s19, s4
	s_cbranch_execnz .LBB264_15
; %bb.11:                               ;   in Loop: Header=BB264_4 Depth=1
	s_or_b32 exec_lo, exec_lo, s19
	s_and_saveexec_b32 s5, vcc_lo
	s_cbranch_execnz .LBB264_16
.LBB264_12:                             ;   in Loop: Header=BB264_4 Depth=1
	s_or_b32 exec_lo, exec_lo, s5
	s_and_saveexec_b32 s5, s2
	s_cbranch_execnz .LBB264_17
.LBB264_13:                             ;   in Loop: Header=BB264_4 Depth=1
	s_or_b32 exec_lo, exec_lo, s5
	s_and_saveexec_b32 s2, s3
	s_cbranch_execnz .LBB264_18
.LBB264_14:                             ;   in Loop: Header=BB264_4 Depth=1
	s_or_b32 exec_lo, exec_lo, s2
	s_and_saveexec_b32 s2, s4
	s_cbranch_execz .LBB264_3
	s_branch .LBB264_19
.LBB264_15:                             ;   in Loop: Header=BB264_4 Depth=1
	v_add_co_u32 v15, s5, v1, s18
	s_delay_alu instid0(VALU_DEP_1)
	v_add_co_ci_u32_e64 v16, s5, 0, v2, s5
	global_load_u16 v12, v[15:16], off
	s_or_b32 exec_lo, exec_lo, s19
	s_and_saveexec_b32 s5, vcc_lo
	s_cbranch_execz .LBB264_12
.LBB264_16:                             ;   in Loop: Header=BB264_4 Depth=1
	s_waitcnt vmcnt(0)
	v_rndne_f16_e32 v11, v11
	global_store_b16 v[1:2], v11, off
	s_or_b32 exec_lo, exec_lo, s5
	s_and_saveexec_b32 s5, s2
	s_cbranch_execz .LBB264_13
.LBB264_17:                             ;   in Loop: Header=BB264_4 Depth=1
	s_waitcnt vmcnt(0)
	v_rndne_f16_e32 v11, v13
	global_store_b16 v[3:4], v11, off
	s_or_b32 exec_lo, exec_lo, s5
	s_and_saveexec_b32 s2, s3
	s_cbranch_execz .LBB264_14
.LBB264_18:                             ;   in Loop: Header=BB264_4 Depth=1
	s_waitcnt vmcnt(0)
	v_add_co_u32 v13, vcc_lo, v1, s16
	v_rndne_f16_e32 v11, v14
	v_add_co_ci_u32_e32 v14, vcc_lo, 0, v2, vcc_lo
	global_store_b16 v[13:14], v11, off
	s_or_b32 exec_lo, exec_lo, s2
	s_and_saveexec_b32 s2, s4
	s_cbranch_execz .LBB264_3
.LBB264_19:                             ;   in Loop: Header=BB264_4 Depth=1
	s_waitcnt vmcnt(0)
	v_add_co_u32 v11, vcc_lo, v1, s18
	v_rndne_f16_e32 v13, v12
	v_add_co_ci_u32_e32 v12, vcc_lo, 0, v2, vcc_lo
	global_store_b16 v[11:12], v13, off
	s_branch .LBB264_3
.LBB264_20:
	s_cbranch_execz .LBB264_22
	s_branch .LBB264_25
.LBB264_21:
.LBB264_22:
	v_dual_mov_b32 v2, 0 :: v_dual_lshlrev_b32 v1, 2, v0
	s_mov_b32 s2, 0
	s_mov_b32 s3, exec_lo
	s_delay_alu instid0(VALU_DEP_1)
	v_cmpx_gt_i64_e64 s[6:7], v[1:2]
	s_cbranch_execz .LBB264_25
; %bb.23:
	s_load_b32 s0, s[0:1], 0xd3c
	v_lshlrev_b32_e32 v1, 3, v0
	s_waitcnt lgkmcnt(0)
	s_and_b32 s0, s0, 0xffff
	s_delay_alu instid0(SALU_CYCLE_1) | instskip(SKIP_3) | instid1(VALU_DEP_1)
	s_lshl_b32 s3, s0, 2
	s_add_u32 s1, s8, s10
	s_addc_u32 s4, s9, s11
	v_add_co_u32 v3, s1, s1, v1
	v_add_co_ci_u32_e64 v4, null, s4, 0, s1
	v_add_lshl_u32 v1, v0, s0, 2
	s_delay_alu instid0(VALU_DEP_3) | instskip(NEXT) | instid1(VALU_DEP_3)
	v_add_co_u32 v3, vcc_lo, v3, 4
	v_add_co_ci_u32_e32 v4, vcc_lo, 0, v4, vcc_lo
	s_lshl_b32 s4, s0, 3
	.p2align	6
.LBB264_24:                             ; =>This Inner Loop Header: Depth=1
	global_load_b64 v[5:6], v[3:4], off offset:-4
	v_cmp_le_i64_e32 vcc_lo, s[6:7], v[1:2]
	v_cmp_lt_u64_e64 s0, 0xffff, v[1:2]
	v_add_co_u32 v1, s1, v1, s3
	s_delay_alu instid0(VALU_DEP_1) | instskip(NEXT) | instid1(VALU_DEP_3)
	v_add_co_ci_u32_e64 v2, s1, 0, v2, s1
	s_or_b32 s0, vcc_lo, s0
	s_delay_alu instid0(SALU_CYCLE_1) | instskip(NEXT) | instid1(SALU_CYCLE_1)
	s_and_b32 s0, exec_lo, s0
	s_or_b32 s2, s0, s2
	s_waitcnt vmcnt(0)
	v_lshrrev_b32_e32 v0, 16, v6
	v_lshrrev_b32_e32 v7, 16, v5
	v_rndne_f16_e32 v5, v5
	v_rndne_f16_e32 v6, v6
	s_delay_alu instid0(VALU_DEP_4) | instskip(NEXT) | instid1(VALU_DEP_4)
	v_rndne_f16_e32 v0, v0
	v_rndne_f16_e32 v7, v7
	s_delay_alu instid0(VALU_DEP_2) | instskip(NEXT) | instid1(VALU_DEP_2)
	v_pack_b32_f16 v6, v6, v0
	v_pack_b32_f16 v5, v5, v7
	global_store_b64 v[3:4], v[5:6], off offset:-4
	v_add_co_u32 v3, vcc_lo, v3, s4
	v_add_co_ci_u32_e32 v4, vcc_lo, 0, v4, vcc_lo
	s_and_not1_b32 exec_lo, exec_lo, s2
	s_cbranch_execnz .LBB264_24
.LBB264_25:
	s_nop 0
	s_sendmsg sendmsg(MSG_DEALLOC_VGPRS)
	s_endpgm
	.section	.rodata,"a",@progbits
	.p2align	6, 0x0
	.amdhsa_kernel _ZN2at6native12_GLOBAL__N_125multi_tensor_apply_kernelINS1_18TensorListMetadataILi1EEENS1_14UnaryOpFunctorIN3c104HalfELi1ELi1ELi0EEEJNS0_5RoundIfEEEEEvT_T0_DpT1_
		.amdhsa_group_segment_fixed_size 0
		.amdhsa_private_segment_fixed_size 0
		.amdhsa_kernarg_size 3632
		.amdhsa_user_sgpr_count 15
		.amdhsa_user_sgpr_dispatch_ptr 0
		.amdhsa_user_sgpr_queue_ptr 0
		.amdhsa_user_sgpr_kernarg_segment_ptr 1
		.amdhsa_user_sgpr_dispatch_id 0
		.amdhsa_user_sgpr_private_segment_size 0
		.amdhsa_wavefront_size32 1
		.amdhsa_uses_dynamic_stack 0
		.amdhsa_enable_private_segment 0
		.amdhsa_system_sgpr_workgroup_id_x 1
		.amdhsa_system_sgpr_workgroup_id_y 0
		.amdhsa_system_sgpr_workgroup_id_z 0
		.amdhsa_system_sgpr_workgroup_info 0
		.amdhsa_system_vgpr_workitem_id 0
		.amdhsa_next_free_vgpr 17
		.amdhsa_next_free_sgpr 20
		.amdhsa_reserve_vcc 1
		.amdhsa_float_round_mode_32 0
		.amdhsa_float_round_mode_16_64 0
		.amdhsa_float_denorm_mode_32 3
		.amdhsa_float_denorm_mode_16_64 3
		.amdhsa_dx10_clamp 1
		.amdhsa_ieee_mode 1
		.amdhsa_fp16_overflow 0
		.amdhsa_workgroup_processor_mode 1
		.amdhsa_memory_ordered 1
		.amdhsa_forward_progress 0
		.amdhsa_shared_vgpr_count 0
		.amdhsa_exception_fp_ieee_invalid_op 0
		.amdhsa_exception_fp_denorm_src 0
		.amdhsa_exception_fp_ieee_div_zero 0
		.amdhsa_exception_fp_ieee_overflow 0
		.amdhsa_exception_fp_ieee_underflow 0
		.amdhsa_exception_fp_ieee_inexact 0
		.amdhsa_exception_int_div_zero 0
	.end_amdhsa_kernel
	.section	.text._ZN2at6native12_GLOBAL__N_125multi_tensor_apply_kernelINS1_18TensorListMetadataILi1EEENS1_14UnaryOpFunctorIN3c104HalfELi1ELi1ELi0EEEJNS0_5RoundIfEEEEEvT_T0_DpT1_,"axG",@progbits,_ZN2at6native12_GLOBAL__N_125multi_tensor_apply_kernelINS1_18TensorListMetadataILi1EEENS1_14UnaryOpFunctorIN3c104HalfELi1ELi1ELi0EEEJNS0_5RoundIfEEEEEvT_T0_DpT1_,comdat
.Lfunc_end264:
	.size	_ZN2at6native12_GLOBAL__N_125multi_tensor_apply_kernelINS1_18TensorListMetadataILi1EEENS1_14UnaryOpFunctorIN3c104HalfELi1ELi1ELi0EEEJNS0_5RoundIfEEEEEvT_T0_DpT1_, .Lfunc_end264-_ZN2at6native12_GLOBAL__N_125multi_tensor_apply_kernelINS1_18TensorListMetadataILi1EEENS1_14UnaryOpFunctorIN3c104HalfELi1ELi1ELi0EEEJNS0_5RoundIfEEEEEvT_T0_DpT1_
                                        ; -- End function
	.section	.AMDGPU.csdata,"",@progbits
; Kernel info:
; codeLenInByte = 1132
; NumSgprs: 22
; NumVgprs: 17
; ScratchSize: 0
; MemoryBound: 0
; FloatMode: 240
; IeeeMode: 1
; LDSByteSize: 0 bytes/workgroup (compile time only)
; SGPRBlocks: 2
; VGPRBlocks: 2
; NumSGPRsForWavesPerEU: 22
; NumVGPRsForWavesPerEU: 17
; Occupancy: 16
; WaveLimiterHint : 0
; COMPUTE_PGM_RSRC2:SCRATCH_EN: 0
; COMPUTE_PGM_RSRC2:USER_SGPR: 15
; COMPUTE_PGM_RSRC2:TRAP_HANDLER: 0
; COMPUTE_PGM_RSRC2:TGID_X_EN: 1
; COMPUTE_PGM_RSRC2:TGID_Y_EN: 0
; COMPUTE_PGM_RSRC2:TGID_Z_EN: 0
; COMPUTE_PGM_RSRC2:TIDIG_COMP_CNT: 0
	.section	.text._ZN2at6native12_GLOBAL__N_125multi_tensor_apply_kernelINS1_18TensorListMetadataILi1EEENS1_14UnaryOpFunctorIN3c108BFloat16ELi1ELi1ELi0EEEJNS0_5RoundIfEEEEEvT_T0_DpT1_,"axG",@progbits,_ZN2at6native12_GLOBAL__N_125multi_tensor_apply_kernelINS1_18TensorListMetadataILi1EEENS1_14UnaryOpFunctorIN3c108BFloat16ELi1ELi1ELi0EEEJNS0_5RoundIfEEEEEvT_T0_DpT1_,comdat
	.globl	_ZN2at6native12_GLOBAL__N_125multi_tensor_apply_kernelINS1_18TensorListMetadataILi1EEENS1_14UnaryOpFunctorIN3c108BFloat16ELi1ELi1ELi0EEEJNS0_5RoundIfEEEEEvT_T0_DpT1_ ; -- Begin function _ZN2at6native12_GLOBAL__N_125multi_tensor_apply_kernelINS1_18TensorListMetadataILi1EEENS1_14UnaryOpFunctorIN3c108BFloat16ELi1ELi1ELi0EEEJNS0_5RoundIfEEEEEvT_T0_DpT1_
	.p2align	8
	.type	_ZN2at6native12_GLOBAL__N_125multi_tensor_apply_kernelINS1_18TensorListMetadataILi1EEENS1_14UnaryOpFunctorIN3c108BFloat16ELi1ELi1ELi0EEEJNS0_5RoundIfEEEEEvT_T0_DpT1_,@function
_ZN2at6native12_GLOBAL__N_125multi_tensor_apply_kernelINS1_18TensorListMetadataILi1EEENS1_14UnaryOpFunctorIN3c108BFloat16ELi1ELi1ELi0EEEJNS0_5RoundIfEEEEEvT_T0_DpT1_: ; @_ZN2at6native12_GLOBAL__N_125multi_tensor_apply_kernelINS1_18TensorListMetadataILi1EEENS1_14UnaryOpFunctorIN3c108BFloat16ELi1ELi1ELi0EEEJNS0_5RoundIfEEEEEvT_T0_DpT1_
; %bb.0:
	v_mov_b32_e32 v1, s15
	s_add_u32 s2, s0, s15
	s_mul_hi_u32 s3, s15, 3
	s_mul_i32 s15, s15, 3
	s_addc_u32 s4, s1, 0
	global_load_u8 v1, v1, s[0:1] offset:1760
	s_add_u32 s2, s2, s15
	s_addc_u32 s3, s4, s3
	s_mov_b32 s13, 0
	s_load_b32 s2, s[2:3], 0x820
	s_waitcnt vmcnt(0)
	v_readfirstlane_b32 s5, v1
	s_delay_alu instid0(VALU_DEP_1)
	s_lshl_b32 s3, s5, 3
	s_clause 0x1
	s_load_b64 s[8:9], s[0:1], s3 offset:0x0
	s_load_b64 s[4:5], s[0:1], s3 offset:0x370
	s_waitcnt lgkmcnt(0)
	s_ashr_i32 s3, s2, 31
	s_delay_alu instid0(SALU_CYCLE_1)
	s_lshl_b64 s[10:11], s[2:3], 17
	s_lshl_b64 s[2:3], s[2:3], 16
	s_and_b32 s12, s8, 7
	s_sub_u32 s6, s4, s2
	s_subb_u32 s7, s5, s3
	s_and_b32 s2, s4, 3
	s_mov_b32 s3, s13
	s_delay_alu instid0(SALU_CYCLE_1) | instskip(NEXT) | instid1(SALU_CYCLE_1)
	s_or_b64 s[2:3], s[12:13], s[2:3]
	s_cmp_eq_u64 s[2:3], 0
	s_cbranch_scc1 .LBB265_21
; %bb.1:
	v_cmp_lt_i64_e64 s2, s[6:7], 1
	s_delay_alu instid0(VALU_DEP_1)
	s_and_b32 vcc_lo, exec_lo, s2
	s_cbranch_vccnz .LBB265_20
; %bb.2:
	s_load_b32 s2, s[0:1], 0xd3c
	v_cmp_gt_u64_e64 s3, 0x10000, s[6:7]
	v_lshlrev_b32_e32 v1, 1, v0
	s_waitcnt lgkmcnt(0)
	s_and_b32 s2, s2, 0xffff
	s_delay_alu instid0(VALU_DEP_2)
	s_and_b32 s3, s3, exec_lo
	v_add_co_u32 v5, s5, v0, s2
	s_cselect_b32 s13, s7, 0
	s_cselect_b32 s12, s6, 0x10000
	s_lshl_b32 s3, s2, 1
	s_lshl_b32 s16, s2, 2
	v_lshlrev_b32_e32 v3, 1, v5
	v_add_co_ci_u32_e64 v6, null, 0, 0, s5
	s_add_u32 s5, s8, s10
	v_add_co_u32 v9, s3, s3, v0
	s_mul_i32 s4, s2, 3
	s_addc_u32 s14, s9, s11
	v_add_co_ci_u32_e64 v10, null, 0, 0, s3
	v_add_co_u32 v1, s3, s5, v1
	v_add_co_u32 v7, s4, s4, v0
	v_add_co_ci_u32_e64 v2, null, s14, 0, s3
	v_add_co_u32 v3, s3, s5, v3
	v_add_co_ci_u32_e64 v8, null, 0, 0, s4
	v_add_co_ci_u32_e64 v4, null, s14, 0, s3
	s_lshl_b32 s17, s2, 3
	s_mul_i32 s18, s2, 6
	s_mov_b64 s[14:15], 0
	s_branch .LBB265_4
.LBB265_3:                              ;   in Loop: Header=BB265_4 Depth=1
	s_or_b32 exec_lo, exec_lo, s2
	s_add_u32 s14, s14, s16
	s_addc_u32 s15, s15, 0
	v_add_co_u32 v1, vcc_lo, v1, s17
	v_cmp_lt_i64_e64 s2, s[14:15], s[6:7]
	v_cmp_gt_u64_e64 s3, 0x10000, s[14:15]
	v_add_co_ci_u32_e32 v2, vcc_lo, 0, v2, vcc_lo
	v_add_co_u32 v3, vcc_lo, v3, s17
	v_add_co_ci_u32_e32 v4, vcc_lo, 0, v4, vcc_lo
	s_delay_alu instid0(VALU_DEP_4) | instskip(NEXT) | instid1(SALU_CYCLE_1)
	s_and_b32 s2, s2, s3
	s_and_b32 vcc_lo, exec_lo, s2
	s_cbranch_vccz .LBB265_20
.LBB265_4:                              ; =>This Inner Loop Header: Depth=1
	s_waitcnt vmcnt(0)
	v_add_co_u32 v11, s2, v0, s14
	s_delay_alu instid0(VALU_DEP_1) | instskip(NEXT) | instid1(VALU_DEP_1)
	v_add_co_ci_u32_e64 v12, null, 0, s15, s2
	v_cmp_gt_u64_e32 vcc_lo, s[12:13], v[11:12]
	v_mov_b32_e32 v12, 0
	s_and_saveexec_b32 s2, vcc_lo
	s_cbranch_execz .LBB265_6
; %bb.5:                                ;   in Loop: Header=BB265_4 Depth=1
	global_load_u16 v12, v[1:2], off
.LBB265_6:                              ;   in Loop: Header=BB265_4 Depth=1
	s_or_b32 exec_lo, exec_lo, s2
	v_add_co_u32 v13, s2, v5, s14
	s_delay_alu instid0(VALU_DEP_1) | instskip(NEXT) | instid1(VALU_DEP_1)
	v_add_co_ci_u32_e64 v14, s2, s15, v6, s2
	v_cmp_gt_u64_e64 s2, s[12:13], v[13:14]
	v_mov_b32_e32 v13, 0
	s_delay_alu instid0(VALU_DEP_2)
	s_and_saveexec_b32 s3, s2
	s_cbranch_execz .LBB265_8
; %bb.7:                                ;   in Loop: Header=BB265_4 Depth=1
	global_load_u16 v13, v[3:4], off
.LBB265_8:                              ;   in Loop: Header=BB265_4 Depth=1
	s_or_b32 exec_lo, exec_lo, s3
	v_add_co_u32 v14, s3, v9, s14
	s_delay_alu instid0(VALU_DEP_1) | instskip(SKIP_1) | instid1(VALU_DEP_2)
	v_add_co_ci_u32_e64 v15, s3, s15, v10, s3
	v_mov_b32_e32 v11, 0
	v_cmp_gt_u64_e64 s3, s[12:13], v[14:15]
	v_mov_b32_e32 v14, 0
	s_delay_alu instid0(VALU_DEP_2)
	s_and_saveexec_b32 s5, s3
	s_cbranch_execz .LBB265_10
; %bb.9:                                ;   in Loop: Header=BB265_4 Depth=1
	v_add_co_u32 v14, s4, v1, s16
	s_delay_alu instid0(VALU_DEP_1)
	v_add_co_ci_u32_e64 v15, s4, 0, v2, s4
	global_load_u16 v14, v[14:15], off
.LBB265_10:                             ;   in Loop: Header=BB265_4 Depth=1
	s_or_b32 exec_lo, exec_lo, s5
	v_add_co_u32 v15, s4, v7, s14
	s_delay_alu instid0(VALU_DEP_1) | instskip(NEXT) | instid1(VALU_DEP_1)
	v_add_co_ci_u32_e64 v16, s4, s15, v8, s4
	v_cmp_gt_u64_e64 s4, s[12:13], v[15:16]
	s_delay_alu instid0(VALU_DEP_1)
	s_and_saveexec_b32 s19, s4
	s_cbranch_execnz .LBB265_15
; %bb.11:                               ;   in Loop: Header=BB265_4 Depth=1
	s_or_b32 exec_lo, exec_lo, s19
	s_and_saveexec_b32 s5, vcc_lo
	s_cbranch_execnz .LBB265_16
.LBB265_12:                             ;   in Loop: Header=BB265_4 Depth=1
	s_or_b32 exec_lo, exec_lo, s5
	s_and_saveexec_b32 s5, s2
	s_cbranch_execnz .LBB265_17
.LBB265_13:                             ;   in Loop: Header=BB265_4 Depth=1
	s_or_b32 exec_lo, exec_lo, s5
	s_and_saveexec_b32 s2, s3
	s_cbranch_execnz .LBB265_18
.LBB265_14:                             ;   in Loop: Header=BB265_4 Depth=1
	s_or_b32 exec_lo, exec_lo, s2
	s_and_saveexec_b32 s2, s4
	s_cbranch_execz .LBB265_3
	s_branch .LBB265_19
.LBB265_15:                             ;   in Loop: Header=BB265_4 Depth=1
	v_add_co_u32 v15, s5, v1, s18
	s_delay_alu instid0(VALU_DEP_1)
	v_add_co_ci_u32_e64 v16, s5, 0, v2, s5
	global_load_u16 v11, v[15:16], off
	s_or_b32 exec_lo, exec_lo, s19
	s_and_saveexec_b32 s5, vcc_lo
	s_cbranch_execz .LBB265_12
.LBB265_16:                             ;   in Loop: Header=BB265_4 Depth=1
	s_waitcnt vmcnt(0)
	v_lshlrev_b32_e32 v12, 16, v12
	s_delay_alu instid0(VALU_DEP_1) | instskip(NEXT) | instid1(VALU_DEP_1)
	v_rndne_f32_e32 v12, v12
	v_bfe_u32 v15, v12, 16, 1
	v_cmp_o_f32_e32 vcc_lo, v12, v12
	s_delay_alu instid0(VALU_DEP_2) | instskip(NEXT) | instid1(VALU_DEP_1)
	v_add3_u32 v15, v12, v15, 0x7fff
	v_lshrrev_b32_e32 v15, 16, v15
	s_delay_alu instid0(VALU_DEP_1)
	v_cndmask_b32_e32 v12, 0x7fc0, v15, vcc_lo
	global_store_b16 v[1:2], v12, off
	s_or_b32 exec_lo, exec_lo, s5
	s_and_saveexec_b32 s5, s2
	s_cbranch_execz .LBB265_13
.LBB265_17:                             ;   in Loop: Header=BB265_4 Depth=1
	s_waitcnt vmcnt(0)
	v_lshlrev_b32_e32 v12, 16, v13
	s_delay_alu instid0(VALU_DEP_1) | instskip(NEXT) | instid1(VALU_DEP_1)
	v_rndne_f32_e32 v12, v12
	v_bfe_u32 v13, v12, 16, 1
	v_cmp_o_f32_e32 vcc_lo, v12, v12
	s_delay_alu instid0(VALU_DEP_2) | instskip(NEXT) | instid1(VALU_DEP_1)
	v_add3_u32 v13, v12, v13, 0x7fff
	v_lshrrev_b32_e32 v13, 16, v13
	s_delay_alu instid0(VALU_DEP_1)
	v_cndmask_b32_e32 v12, 0x7fc0, v13, vcc_lo
	global_store_b16 v[3:4], v12, off
	s_or_b32 exec_lo, exec_lo, s5
	s_and_saveexec_b32 s2, s3
	s_cbranch_execz .LBB265_14
.LBB265_18:                             ;   in Loop: Header=BB265_4 Depth=1
	s_waitcnt vmcnt(0)
	v_lshlrev_b32_e32 v12, 16, v14
	s_delay_alu instid0(VALU_DEP_1) | instskip(NEXT) | instid1(VALU_DEP_1)
	v_rndne_f32_e32 v12, v12
	v_bfe_u32 v13, v12, 16, 1
	v_cmp_o_f32_e32 vcc_lo, v12, v12
	s_delay_alu instid0(VALU_DEP_2) | instskip(NEXT) | instid1(VALU_DEP_1)
	v_add3_u32 v13, v12, v13, 0x7fff
	v_lshrrev_b32_e32 v13, 16, v13
	s_delay_alu instid0(VALU_DEP_1)
	v_cndmask_b32_e32 v14, 0x7fc0, v13, vcc_lo
	v_add_co_u32 v12, vcc_lo, v1, s16
	v_add_co_ci_u32_e32 v13, vcc_lo, 0, v2, vcc_lo
	global_store_b16 v[12:13], v14, off
	s_or_b32 exec_lo, exec_lo, s2
	s_and_saveexec_b32 s2, s4
	s_cbranch_execz .LBB265_3
.LBB265_19:                             ;   in Loop: Header=BB265_4 Depth=1
	s_waitcnt vmcnt(0)
	v_lshlrev_b32_e32 v11, 16, v11
	s_delay_alu instid0(VALU_DEP_1) | instskip(NEXT) | instid1(VALU_DEP_1)
	v_rndne_f32_e32 v11, v11
	v_bfe_u32 v12, v11, 16, 1
	v_cmp_o_f32_e32 vcc_lo, v11, v11
	s_delay_alu instid0(VALU_DEP_2) | instskip(NEXT) | instid1(VALU_DEP_1)
	v_add3_u32 v12, v11, v12, 0x7fff
	v_lshrrev_b32_e32 v12, 16, v12
	s_delay_alu instid0(VALU_DEP_1)
	v_cndmask_b32_e32 v13, 0x7fc0, v12, vcc_lo
	v_add_co_u32 v11, vcc_lo, v1, s18
	v_add_co_ci_u32_e32 v12, vcc_lo, 0, v2, vcc_lo
	global_store_b16 v[11:12], v13, off
	s_branch .LBB265_3
.LBB265_20:
	s_cbranch_execz .LBB265_22
	s_branch .LBB265_25
.LBB265_21:
.LBB265_22:
	v_dual_mov_b32 v2, 0 :: v_dual_lshlrev_b32 v1, 2, v0
	s_mov_b32 s2, 0
	s_mov_b32 s3, exec_lo
	s_delay_alu instid0(VALU_DEP_1)
	v_cmpx_gt_i64_e64 s[6:7], v[1:2]
	s_cbranch_execz .LBB265_25
; %bb.23:
	s_load_b32 s0, s[0:1], 0xd3c
	v_lshlrev_b32_e32 v1, 3, v0
	s_waitcnt lgkmcnt(0)
	s_and_b32 s0, s0, 0xffff
	s_add_u32 s1, s8, s10
	s_addc_u32 s3, s9, s11
	v_add_co_u32 v3, s1, s1, v1
	s_delay_alu instid0(VALU_DEP_1)
	v_add_co_ci_u32_e64 v4, null, s3, 0, s1
	v_add_lshl_u32 v1, v0, s0, 2
	s_lshl_b32 s3, s0, 3
	s_lshl_b32 s4, s0, 2
.LBB265_24:                             ; =>This Inner Loop Header: Depth=1
	global_load_b64 v[5:6], v[3:4], off
	v_cmp_lt_u64_e64 s0, 0xffff, v[1:2]
	s_waitcnt vmcnt(0)
	v_alignbit_b32 v0, v6, v5, 16
	v_and_b32_e32 v6, 0xffff0000, v6
	v_and_b32_e32 v7, 0xffff0000, v5
	s_delay_alu instid0(VALU_DEP_3) | instskip(NEXT) | instid1(VALU_DEP_3)
	v_and_b32_e32 v0, 0xffff0000, v0
	v_rndne_f32_e32 v6, v6
	s_delay_alu instid0(VALU_DEP_3) | instskip(NEXT) | instid1(VALU_DEP_3)
	v_rndne_f32_e32 v7, v7
	v_rndne_f32_e32 v0, v0
	s_delay_alu instid0(VALU_DEP_3) | instskip(NEXT) | instid1(VALU_DEP_3)
	v_bfe_u32 v10, v6, 16, 1
	v_bfe_u32 v8, v7, 16, 1
	v_cmp_o_f32_e32 vcc_lo, v7, v7
	s_delay_alu instid0(VALU_DEP_4) | instskip(NEXT) | instid1(VALU_DEP_4)
	v_bfe_u32 v11, v0, 16, 1
	v_add3_u32 v10, v6, v10, 0x7fff
	s_delay_alu instid0(VALU_DEP_4) | instskip(NEXT) | instid1(VALU_DEP_3)
	v_add3_u32 v8, v7, v8, 0x7fff
	v_add3_u32 v11, v0, v11, 0x7fff
	s_delay_alu instid0(VALU_DEP_3) | instskip(SKIP_1) | instid1(VALU_DEP_4)
	v_and_b32_e32 v10, 0xffff0000, v10
	v_lshlrev_b32_e32 v5, 16, v5
	v_and_b32_e32 v8, 0xffff0000, v8
	s_delay_alu instid0(VALU_DEP_4) | instskip(NEXT) | instid1(VALU_DEP_3)
	v_lshrrev_b32_e32 v11, 16, v11
	v_rndne_f32_e32 v5, v5
	s_delay_alu instid0(VALU_DEP_3) | instskip(NEXT) | instid1(VALU_DEP_2)
	v_cndmask_b32_e32 v7, 0x7fc00000, v8, vcc_lo
	v_bfe_u32 v9, v5, 16, 1
	v_cmp_o_f32_e32 vcc_lo, v5, v5
	s_delay_alu instid0(VALU_DEP_2) | instskip(NEXT) | instid1(VALU_DEP_1)
	v_add3_u32 v9, v5, v9, 0x7fff
	v_lshrrev_b32_e32 v9, 16, v9
	s_delay_alu instid0(VALU_DEP_1) | instskip(SKIP_1) | instid1(VALU_DEP_2)
	v_cndmask_b32_e32 v5, 0x7fc0, v9, vcc_lo
	v_cmp_o_f32_e32 vcc_lo, v6, v6
	v_or_b32_e32 v5, v5, v7
	v_cndmask_b32_e32 v6, 0x7fc00000, v10, vcc_lo
	v_cmp_o_f32_e32 vcc_lo, v0, v0
	s_delay_alu instid0(VALU_DEP_3) | instskip(SKIP_3) | instid1(VALU_DEP_1)
	v_or3_b32 v5, v5, 0, 0
	v_cndmask_b32_e32 v0, 0x7fc0, v11, vcc_lo
	v_cmp_le_i64_e32 vcc_lo, s[6:7], v[1:2]
	v_add_co_u32 v1, s1, v1, s4
	v_add_co_ci_u32_e64 v2, s1, 0, v2, s1
	s_delay_alu instid0(VALU_DEP_4) | instskip(SKIP_1) | instid1(SALU_CYCLE_1)
	v_or3_b32 v6, 0, v0, v6
	s_or_b32 s0, vcc_lo, s0
	s_and_b32 s0, exec_lo, s0
	global_store_b64 v[3:4], v[5:6], off
	v_add_co_u32 v3, vcc_lo, v3, s3
	v_add_co_ci_u32_e32 v4, vcc_lo, 0, v4, vcc_lo
	s_or_b32 s2, s0, s2
	s_delay_alu instid0(SALU_CYCLE_1)
	s_and_not1_b32 exec_lo, exec_lo, s2
	s_cbranch_execnz .LBB265_24
.LBB265_25:
	s_nop 0
	s_sendmsg sendmsg(MSG_DEALLOC_VGPRS)
	s_endpgm
	.section	.rodata,"a",@progbits
	.p2align	6, 0x0
	.amdhsa_kernel _ZN2at6native12_GLOBAL__N_125multi_tensor_apply_kernelINS1_18TensorListMetadataILi1EEENS1_14UnaryOpFunctorIN3c108BFloat16ELi1ELi1ELi0EEEJNS0_5RoundIfEEEEEvT_T0_DpT1_
		.amdhsa_group_segment_fixed_size 0
		.amdhsa_private_segment_fixed_size 0
		.amdhsa_kernarg_size 3632
		.amdhsa_user_sgpr_count 15
		.amdhsa_user_sgpr_dispatch_ptr 0
		.amdhsa_user_sgpr_queue_ptr 0
		.amdhsa_user_sgpr_kernarg_segment_ptr 1
		.amdhsa_user_sgpr_dispatch_id 0
		.amdhsa_user_sgpr_private_segment_size 0
		.amdhsa_wavefront_size32 1
		.amdhsa_uses_dynamic_stack 0
		.amdhsa_enable_private_segment 0
		.amdhsa_system_sgpr_workgroup_id_x 1
		.amdhsa_system_sgpr_workgroup_id_y 0
		.amdhsa_system_sgpr_workgroup_id_z 0
		.amdhsa_system_sgpr_workgroup_info 0
		.amdhsa_system_vgpr_workitem_id 0
		.amdhsa_next_free_vgpr 17
		.amdhsa_next_free_sgpr 20
		.amdhsa_reserve_vcc 1
		.amdhsa_float_round_mode_32 0
		.amdhsa_float_round_mode_16_64 0
		.amdhsa_float_denorm_mode_32 3
		.amdhsa_float_denorm_mode_16_64 3
		.amdhsa_dx10_clamp 1
		.amdhsa_ieee_mode 1
		.amdhsa_fp16_overflow 0
		.amdhsa_workgroup_processor_mode 1
		.amdhsa_memory_ordered 1
		.amdhsa_forward_progress 0
		.amdhsa_shared_vgpr_count 0
		.amdhsa_exception_fp_ieee_invalid_op 0
		.amdhsa_exception_fp_denorm_src 0
		.amdhsa_exception_fp_ieee_div_zero 0
		.amdhsa_exception_fp_ieee_overflow 0
		.amdhsa_exception_fp_ieee_underflow 0
		.amdhsa_exception_fp_ieee_inexact 0
		.amdhsa_exception_int_div_zero 0
	.end_amdhsa_kernel
	.section	.text._ZN2at6native12_GLOBAL__N_125multi_tensor_apply_kernelINS1_18TensorListMetadataILi1EEENS1_14UnaryOpFunctorIN3c108BFloat16ELi1ELi1ELi0EEEJNS0_5RoundIfEEEEEvT_T0_DpT1_,"axG",@progbits,_ZN2at6native12_GLOBAL__N_125multi_tensor_apply_kernelINS1_18TensorListMetadataILi1EEENS1_14UnaryOpFunctorIN3c108BFloat16ELi1ELi1ELi0EEEJNS0_5RoundIfEEEEEvT_T0_DpT1_,comdat
.Lfunc_end265:
	.size	_ZN2at6native12_GLOBAL__N_125multi_tensor_apply_kernelINS1_18TensorListMetadataILi1EEENS1_14UnaryOpFunctorIN3c108BFloat16ELi1ELi1ELi0EEEJNS0_5RoundIfEEEEEvT_T0_DpT1_, .Lfunc_end265-_ZN2at6native12_GLOBAL__N_125multi_tensor_apply_kernelINS1_18TensorListMetadataILi1EEENS1_14UnaryOpFunctorIN3c108BFloat16ELi1ELi1ELi0EEEJNS0_5RoundIfEEEEEvT_T0_DpT1_
                                        ; -- End function
	.section	.AMDGPU.csdata,"",@progbits
; Kernel info:
; codeLenInByte = 1544
; NumSgprs: 22
; NumVgprs: 17
; ScratchSize: 0
; MemoryBound: 0
; FloatMode: 240
; IeeeMode: 1
; LDSByteSize: 0 bytes/workgroup (compile time only)
; SGPRBlocks: 2
; VGPRBlocks: 2
; NumSGPRsForWavesPerEU: 22
; NumVGPRsForWavesPerEU: 17
; Occupancy: 16
; WaveLimiterHint : 0
; COMPUTE_PGM_RSRC2:SCRATCH_EN: 0
; COMPUTE_PGM_RSRC2:USER_SGPR: 15
; COMPUTE_PGM_RSRC2:TRAP_HANDLER: 0
; COMPUTE_PGM_RSRC2:TGID_X_EN: 1
; COMPUTE_PGM_RSRC2:TGID_Y_EN: 0
; COMPUTE_PGM_RSRC2:TGID_Z_EN: 0
; COMPUTE_PGM_RSRC2:TIDIG_COMP_CNT: 0
	.section	.text._ZN2at6native12_GLOBAL__N_125multi_tensor_apply_kernelINS1_18TensorListMetadataILi2EEENS1_14UnaryOpFunctorIdLi2ELi1ELi1EEEJNS0_5TruncIdEEEEEvT_T0_DpT1_,"axG",@progbits,_ZN2at6native12_GLOBAL__N_125multi_tensor_apply_kernelINS1_18TensorListMetadataILi2EEENS1_14UnaryOpFunctorIdLi2ELi1ELi1EEEJNS0_5TruncIdEEEEEvT_T0_DpT1_,comdat
	.globl	_ZN2at6native12_GLOBAL__N_125multi_tensor_apply_kernelINS1_18TensorListMetadataILi2EEENS1_14UnaryOpFunctorIdLi2ELi1ELi1EEEJNS0_5TruncIdEEEEEvT_T0_DpT1_ ; -- Begin function _ZN2at6native12_GLOBAL__N_125multi_tensor_apply_kernelINS1_18TensorListMetadataILi2EEENS1_14UnaryOpFunctorIdLi2ELi1ELi1EEEJNS0_5TruncIdEEEEEvT_T0_DpT1_
	.p2align	8
	.type	_ZN2at6native12_GLOBAL__N_125multi_tensor_apply_kernelINS1_18TensorListMetadataILi2EEENS1_14UnaryOpFunctorIdLi2ELi1ELi1EEEJNS0_5TruncIdEEEEEvT_T0_DpT1_,@function
_ZN2at6native12_GLOBAL__N_125multi_tensor_apply_kernelINS1_18TensorListMetadataILi2EEENS1_14UnaryOpFunctorIdLi2ELi1ELi1EEEJNS0_5TruncIdEEEEEvT_T0_DpT1_: ; @_ZN2at6native12_GLOBAL__N_125multi_tensor_apply_kernelINS1_18TensorListMetadataILi2EEENS1_14UnaryOpFunctorIdLi2ELi1ELi1EEEJNS0_5TruncIdEEEEEvT_T0_DpT1_
; %bb.0:
	v_mov_b32_e32 v1, s15
	s_add_u32 s2, s0, s15
	s_mul_hi_u32 s3, s15, 3
	s_mul_i32 s15, s15, 3
	s_addc_u32 s4, s1, 0
	global_load_u8 v1, v1, s[0:1] offset:1536
	s_add_u32 s2, s2, s15
	s_addc_u32 s3, s4, s3
	s_mov_b32 s17, 0
	s_load_b32 s2, s[2:3], 0x740
	s_mov_b32 s19, s17
	s_mov_b32 s21, s17
	s_waitcnt vmcnt(0)
	v_readfirstlane_b32 s5, v1
	s_delay_alu instid0(VALU_DEP_1)
	s_lshl_b32 s3, s5, 3
	s_clause 0x2
	s_load_b64 s[10:11], s[0:1], s3 offset:0x0
	s_load_b64 s[12:13], s[0:1], s3 offset:0x200
	s_load_b64 s[6:7], s[0:1], s3 offset:0x400
	s_waitcnt lgkmcnt(0)
	s_ashr_i32 s3, s2, 31
	s_delay_alu instid0(SALU_CYCLE_1) | instskip(NEXT) | instid1(SALU_CYCLE_1)
	s_lshl_b64 s[4:5], s[2:3], 19
	s_add_u32 s8, s10, s4
	s_addc_u32 s9, s11, s5
	s_and_b32 s16, s8, 31
	s_add_u32 s14, s12, s4
	s_addc_u32 s15, s13, s5
	s_and_b32 s18, s6, 3
	s_and_b32 s20, s14, 31
	s_or_b64 s[16:17], s[16:17], s[18:19]
	s_lshl_b64 s[2:3], s[2:3], 16
	s_or_b64 s[16:17], s[20:21], s[16:17]
	s_sub_u32 s6, s6, s2
	s_subb_u32 s7, s7, s3
	s_cmp_eq_u64 s[16:17], 0
	s_mov_b32 s2, -1
	s_cbranch_scc0 .LBB266_5
; %bb.1:
	v_dual_mov_b32 v2, 0 :: v_dual_lshlrev_b32 v1, 2, v0
	s_mov_b32 s16, exec_lo
	s_delay_alu instid0(VALU_DEP_1)
	v_cmpx_gt_i64_e64 s[6:7], v[1:2]
	s_cbranch_execz .LBB266_4
; %bb.2:
	s_load_b32 s2, s[0:1], 0xc5c
	v_lshlrev_b32_e32 v3, 5, v0
	s_mov_b32 s17, 0
	s_waitcnt lgkmcnt(0)
	s_and_b32 s2, s2, 0xffff
	s_delay_alu instid0(SALU_CYCLE_1)
	v_add_lshl_u32 v1, v0, s2, 2
	s_lshl_b32 s18, s2, 2
	s_lshl_b32 s19, s2, 5
	s_set_inst_prefetch_distance 0x1
	.p2align	6
.LBB266_3:                              ; =>This Inner Loop Header: Depth=1
	v_add_co_u32 v8, s2, s8, v3
	s_delay_alu instid0(VALU_DEP_1)
	v_add_co_ci_u32_e64 v9, null, s9, 0, s2
	v_cmp_le_i64_e32 vcc_lo, s[6:7], v[1:2]
	v_cmp_lt_u64_e64 s2, 0xffff, v[1:2]
	s_clause 0x1
	global_load_b128 v[4:7], v[8:9], off
	global_load_b128 v[8:11], v[8:9], off offset:16
	s_or_b32 s2, vcc_lo, s2
	s_add_u32 s8, s8, s19
	s_addc_u32 s9, s9, 0
	s_waitcnt vmcnt(1)
	v_trunc_f64_e32 v[12:13], v[4:5]
	v_trunc_f64_e32 v[14:15], v[6:7]
	s_waitcnt vmcnt(0)
	v_trunc_f64_e32 v[16:17], v[8:9]
	v_trunc_f64_e32 v[18:19], v[10:11]
	s_delay_alu instid0(VALU_DEP_4) | instskip(NEXT) | instid1(VALU_DEP_4)
	v_add_f64 v[4:5], v[4:5], -v[12:13]
	v_add_f64 v[6:7], v[6:7], -v[14:15]
	s_delay_alu instid0(VALU_DEP_4) | instskip(NEXT) | instid1(VALU_DEP_4)
	v_add_f64 v[8:9], v[8:9], -v[16:17]
	v_add_f64 v[10:11], v[10:11], -v[18:19]
	v_add_co_u32 v12, s3, s14, v3
	s_delay_alu instid0(VALU_DEP_1)
	v_add_co_ci_u32_e64 v13, null, s15, 0, s3
	v_add_co_u32 v1, s3, v1, s18
	s_add_u32 s14, s14, s19
	v_add_co_ci_u32_e64 v2, s3, 0, v2, s3
	s_addc_u32 s15, s15, 0
	s_and_b32 s2, exec_lo, s2
	s_clause 0x1
	global_store_b128 v[12:13], v[4:7], off
	global_store_b128 v[12:13], v[8:11], off offset:16
	s_or_b32 s17, s2, s17
	s_delay_alu instid0(SALU_CYCLE_1)
	s_and_not1_b32 exec_lo, exec_lo, s17
	s_cbranch_execnz .LBB266_3
.LBB266_4:
	s_set_inst_prefetch_distance 0x2
	s_or_b32 exec_lo, exec_lo, s16
	s_mov_b32 s2, 0
.LBB266_5:
	s_delay_alu instid0(SALU_CYCLE_1)
	s_and_not1_b32 vcc_lo, exec_lo, s2
	s_cbranch_vccnz .LBB266_25
; %bb.6:
	v_cmp_lt_i64_e64 s2, s[6:7], 1
	s_delay_alu instid0(VALU_DEP_1)
	s_and_b32 vcc_lo, exec_lo, s2
	s_cbranch_vccnz .LBB266_25
; %bb.7:
	s_load_b32 s0, s[0:1], 0xc5c
	v_dual_mov_b32 v2, 0 :: v_dual_lshlrev_b32 v1, 3, v0
	v_cmp_gt_u64_e64 s1, 0x10000, s[6:7]
	s_delay_alu instid0(VALU_DEP_2) | instskip(NEXT) | instid1(VALU_DEP_1)
	v_add_co_u32 v9, s2, s10, v1
	v_add_co_ci_u32_e64 v10, null, s11, 0, s2
	v_add_co_u32 v11, s2, s12, v1
	s_delay_alu instid0(VALU_DEP_1)
	v_add_co_ci_u32_e64 v12, null, s13, 0, s2
	s_waitcnt lgkmcnt(0)
	s_and_b32 s0, s0, 0xffff
	s_and_b32 s1, s1, exec_lo
	v_mad_u64_u32 v[3:4], null, s0, 24, v[1:2]
	s_cselect_b32 s9, s7, 0
	s_cselect_b32 s8, s6, 0x10000
	s_lshl_b32 s3, s0, 4
	s_mul_i32 s2, s0, 3
	v_add_co_u32 v1, s3, s3, v1
	s_delay_alu instid0(VALU_DEP_2) | instskip(NEXT) | instid1(VALU_DEP_3)
	v_add_co_u32 v13, vcc_lo, s10, v3
	v_add_co_ci_u32_e32 v14, vcc_lo, s11, v4, vcc_lo
	v_add_co_u32 v17, s2, s2, v0
	v_add_co_u32 v15, vcc_lo, s12, v3
	v_add_co_ci_u32_e64 v2, null, 0, 0, s3
	v_add_co_ci_u32_e64 v18, null, 0, 0, s2
	v_add_co_u32 v21, s2, v0, s0
	v_add_co_ci_u32_e32 v16, vcc_lo, s13, v4, vcc_lo
	v_add_co_u32 v19, vcc_lo, s10, v1
	v_add_co_ci_u32_e32 v20, vcc_lo, s11, v2, vcc_lo
	v_add_co_u32 v22, vcc_lo, s12, v1
	v_lshlrev_b32_e32 v1, 3, v21
	s_lshl_b32 s1, s0, 1
	v_add_co_ci_u32_e32 v23, vcc_lo, s13, v2, vcc_lo
	v_add_co_u32 v25, s1, s1, v0
	s_delay_alu instid0(VALU_DEP_1) | instskip(SKIP_1) | instid1(VALU_DEP_1)
	v_add_co_ci_u32_e64 v26, null, 0, 0, s1
	v_add_co_u32 v27, s1, s10, v1
	v_add_co_ci_u32_e64 v28, null, s11, 0, s1
	v_add_co_u32 v29, s1, s12, v1
	v_add_co_ci_u32_e64 v24, null, 0, 0, s2
	v_add_co_ci_u32_e64 v30, null, s13, 0, s1
	s_lshl_b32 s12, s0, 2
	s_lshl_b32 s13, s0, 5
	s_mov_b64 s[10:11], 0
	s_branch .LBB266_9
.LBB266_8:                              ;   in Loop: Header=BB266_9 Depth=1
	s_or_b32 exec_lo, exec_lo, s0
	v_add_co_u32 v9, vcc_lo, v9, s13
	v_add_co_ci_u32_e32 v10, vcc_lo, 0, v10, vcc_lo
	v_add_co_u32 v11, vcc_lo, v11, s13
	v_add_co_ci_u32_e32 v12, vcc_lo, 0, v12, vcc_lo
	v_add_co_u32 v13, vcc_lo, v13, s13
	v_add_co_ci_u32_e32 v14, vcc_lo, 0, v14, vcc_lo
	v_add_co_u32 v15, vcc_lo, v15, s13
	v_add_co_ci_u32_e32 v16, vcc_lo, 0, v16, vcc_lo
	v_add_co_u32 v19, vcc_lo, v19, s13
	v_add_co_ci_u32_e32 v20, vcc_lo, 0, v20, vcc_lo
	s_add_u32 s10, s10, s12
	v_add_co_u32 v22, vcc_lo, v22, s13
	s_addc_u32 s11, s11, 0
	v_add_co_ci_u32_e32 v23, vcc_lo, 0, v23, vcc_lo
	v_cmp_ge_i64_e64 s0, s[10:11], s[6:7]
	v_cmp_lt_u64_e64 s1, 0xffff, s[10:11]
	v_add_co_u32 v27, vcc_lo, v27, s13
	v_add_co_ci_u32_e32 v28, vcc_lo, 0, v28, vcc_lo
	v_add_co_u32 v29, vcc_lo, v29, s13
	v_add_co_ci_u32_e32 v30, vcc_lo, 0, v30, vcc_lo
	s_or_b32 s0, s0, s1
	s_delay_alu instid0(SALU_CYCLE_1)
	s_and_b32 vcc_lo, exec_lo, s0
	s_cbranch_vccnz .LBB266_25
.LBB266_9:                              ; =>This Inner Loop Header: Depth=1
	s_waitcnt vmcnt(0)
	v_add_co_u32 v3, s0, v0, s10
	s_delay_alu instid0(VALU_DEP_1) | instskip(SKIP_2) | instid1(VALU_DEP_3)
	v_add_co_ci_u32_e64 v4, null, 0, s11, s0
	v_mov_b32_e32 v1, 0
	v_mov_b32_e32 v2, 0
	v_cmp_gt_u64_e32 vcc_lo, s[8:9], v[3:4]
	s_delay_alu instid0(VALU_DEP_2)
	v_dual_mov_b32 v6, v2 :: v_dual_mov_b32 v5, v1
	s_and_saveexec_b32 s1, vcc_lo
	s_cbranch_execz .LBB266_11
; %bb.10:                               ;   in Loop: Header=BB266_9 Depth=1
	v_add_co_u32 v3, s0, v9, s4
	s_delay_alu instid0(VALU_DEP_1)
	v_add_co_ci_u32_e64 v4, s0, s5, v10, s0
	global_load_b64 v[5:6], v[3:4], off
.LBB266_11:                             ;   in Loop: Header=BB266_9 Depth=1
	s_or_b32 exec_lo, exec_lo, s1
	v_add_co_u32 v3, s0, v21, s10
	s_delay_alu instid0(VALU_DEP_1) | instskip(NEXT) | instid1(VALU_DEP_1)
	v_add_co_ci_u32_e64 v4, s0, s11, v24, s0
	v_cmp_gt_u64_e64 s0, s[8:9], v[3:4]
	s_delay_alu instid0(VALU_DEP_1)
	s_and_saveexec_b32 s2, s0
	s_cbranch_execz .LBB266_13
; %bb.12:                               ;   in Loop: Header=BB266_9 Depth=1
	v_add_co_u32 v1, s1, v27, s4
	s_delay_alu instid0(VALU_DEP_1)
	v_add_co_ci_u32_e64 v2, s1, s5, v28, s1
	global_load_b64 v[1:2], v[1:2], off
.LBB266_13:                             ;   in Loop: Header=BB266_9 Depth=1
	s_or_b32 exec_lo, exec_lo, s2
	v_add_co_u32 v7, s1, v25, s10
	s_delay_alu instid0(VALU_DEP_1) | instskip(SKIP_2) | instid1(VALU_DEP_3)
	v_add_co_ci_u32_e64 v8, s1, s11, v26, s1
	v_mov_b32_e32 v3, 0
	v_mov_b32_e32 v4, 0
	v_cmp_gt_u64_e64 s1, s[8:9], v[7:8]
	s_delay_alu instid0(VALU_DEP_2) | instskip(NEXT) | instid1(VALU_DEP_2)
	v_dual_mov_b32 v8, v4 :: v_dual_mov_b32 v7, v3
	s_and_saveexec_b32 s3, s1
	s_cbranch_execz .LBB266_15
; %bb.14:                               ;   in Loop: Header=BB266_9 Depth=1
	v_add_co_u32 v7, s2, v19, s4
	s_delay_alu instid0(VALU_DEP_1)
	v_add_co_ci_u32_e64 v8, s2, s5, v20, s2
	global_load_b64 v[7:8], v[7:8], off
.LBB266_15:                             ;   in Loop: Header=BB266_9 Depth=1
	s_or_b32 exec_lo, exec_lo, s3
	v_add_co_u32 v31, s2, v17, s10
	s_delay_alu instid0(VALU_DEP_1) | instskip(NEXT) | instid1(VALU_DEP_1)
	v_add_co_ci_u32_e64 v32, s2, s11, v18, s2
	v_cmp_gt_u64_e64 s2, s[8:9], v[31:32]
	s_delay_alu instid0(VALU_DEP_1)
	s_and_saveexec_b32 s14, s2
	s_cbranch_execnz .LBB266_20
; %bb.16:                               ;   in Loop: Header=BB266_9 Depth=1
	s_or_b32 exec_lo, exec_lo, s14
	s_and_saveexec_b32 s3, vcc_lo
	s_cbranch_execnz .LBB266_21
.LBB266_17:                             ;   in Loop: Header=BB266_9 Depth=1
	s_or_b32 exec_lo, exec_lo, s3
	s_and_saveexec_b32 s3, s0
	s_cbranch_execnz .LBB266_22
.LBB266_18:                             ;   in Loop: Header=BB266_9 Depth=1
	s_or_b32 exec_lo, exec_lo, s3
	s_and_saveexec_b32 s0, s1
	s_cbranch_execnz .LBB266_23
.LBB266_19:                             ;   in Loop: Header=BB266_9 Depth=1
	s_or_b32 exec_lo, exec_lo, s0
	s_and_saveexec_b32 s0, s2
	s_cbranch_execz .LBB266_8
	s_branch .LBB266_24
.LBB266_20:                             ;   in Loop: Header=BB266_9 Depth=1
	v_add_co_u32 v3, s3, v13, s4
	s_delay_alu instid0(VALU_DEP_1)
	v_add_co_ci_u32_e64 v4, s3, s5, v14, s3
	global_load_b64 v[3:4], v[3:4], off
	s_or_b32 exec_lo, exec_lo, s14
	s_and_saveexec_b32 s3, vcc_lo
	s_cbranch_execz .LBB266_17
.LBB266_21:                             ;   in Loop: Header=BB266_9 Depth=1
	s_waitcnt vmcnt(0)
	v_trunc_f64_e32 v[31:32], v[5:6]
	s_delay_alu instid0(VALU_DEP_1)
	v_add_f64 v[5:6], v[5:6], -v[31:32]
	v_add_co_u32 v31, vcc_lo, v11, s4
	v_add_co_ci_u32_e32 v32, vcc_lo, s5, v12, vcc_lo
	global_store_b64 v[31:32], v[5:6], off
	s_or_b32 exec_lo, exec_lo, s3
	s_and_saveexec_b32 s3, s0
	s_cbranch_execz .LBB266_18
.LBB266_22:                             ;   in Loop: Header=BB266_9 Depth=1
	s_waitcnt vmcnt(0)
	v_trunc_f64_e32 v[5:6], v[1:2]
	s_delay_alu instid0(VALU_DEP_1)
	v_add_f64 v[1:2], v[1:2], -v[5:6]
	v_add_co_u32 v5, vcc_lo, v29, s4
	v_add_co_ci_u32_e32 v6, vcc_lo, s5, v30, vcc_lo
	global_store_b64 v[5:6], v[1:2], off
	s_or_b32 exec_lo, exec_lo, s3
	s_and_saveexec_b32 s0, s1
	s_cbranch_execz .LBB266_19
.LBB266_23:                             ;   in Loop: Header=BB266_9 Depth=1
	s_waitcnt vmcnt(0)
	v_trunc_f64_e32 v[1:2], v[7:8]
	v_add_co_u32 v5, vcc_lo, v22, s4
	v_add_co_ci_u32_e32 v6, vcc_lo, s5, v23, vcc_lo
	s_delay_alu instid0(VALU_DEP_3)
	v_add_f64 v[1:2], v[7:8], -v[1:2]
	global_store_b64 v[5:6], v[1:2], off
	s_or_b32 exec_lo, exec_lo, s0
	s_and_saveexec_b32 s0, s2
	s_cbranch_execz .LBB266_8
.LBB266_24:                             ;   in Loop: Header=BB266_9 Depth=1
	s_waitcnt vmcnt(0)
	v_trunc_f64_e32 v[1:2], v[3:4]
	s_delay_alu instid0(VALU_DEP_1)
	v_add_f64 v[1:2], v[3:4], -v[1:2]
	v_add_co_u32 v3, vcc_lo, v15, s4
	v_add_co_ci_u32_e32 v4, vcc_lo, s5, v16, vcc_lo
	global_store_b64 v[3:4], v[1:2], off
	s_branch .LBB266_8
.LBB266_25:
	s_nop 0
	s_sendmsg sendmsg(MSG_DEALLOC_VGPRS)
	s_endpgm
	.section	.rodata,"a",@progbits
	.p2align	6, 0x0
	.amdhsa_kernel _ZN2at6native12_GLOBAL__N_125multi_tensor_apply_kernelINS1_18TensorListMetadataILi2EEENS1_14UnaryOpFunctorIdLi2ELi1ELi1EEEJNS0_5TruncIdEEEEEvT_T0_DpT1_
		.amdhsa_group_segment_fixed_size 0
		.amdhsa_private_segment_fixed_size 0
		.amdhsa_kernarg_size 3408
		.amdhsa_user_sgpr_count 15
		.amdhsa_user_sgpr_dispatch_ptr 0
		.amdhsa_user_sgpr_queue_ptr 0
		.amdhsa_user_sgpr_kernarg_segment_ptr 1
		.amdhsa_user_sgpr_dispatch_id 0
		.amdhsa_user_sgpr_private_segment_size 0
		.amdhsa_wavefront_size32 1
		.amdhsa_uses_dynamic_stack 0
		.amdhsa_enable_private_segment 0
		.amdhsa_system_sgpr_workgroup_id_x 1
		.amdhsa_system_sgpr_workgroup_id_y 0
		.amdhsa_system_sgpr_workgroup_id_z 0
		.amdhsa_system_sgpr_workgroup_info 0
		.amdhsa_system_vgpr_workitem_id 0
		.amdhsa_next_free_vgpr 33
		.amdhsa_next_free_sgpr 22
		.amdhsa_reserve_vcc 1
		.amdhsa_float_round_mode_32 0
		.amdhsa_float_round_mode_16_64 0
		.amdhsa_float_denorm_mode_32 3
		.amdhsa_float_denorm_mode_16_64 3
		.amdhsa_dx10_clamp 1
		.amdhsa_ieee_mode 1
		.amdhsa_fp16_overflow 0
		.amdhsa_workgroup_processor_mode 1
		.amdhsa_memory_ordered 1
		.amdhsa_forward_progress 0
		.amdhsa_shared_vgpr_count 0
		.amdhsa_exception_fp_ieee_invalid_op 0
		.amdhsa_exception_fp_denorm_src 0
		.amdhsa_exception_fp_ieee_div_zero 0
		.amdhsa_exception_fp_ieee_overflow 0
		.amdhsa_exception_fp_ieee_underflow 0
		.amdhsa_exception_fp_ieee_inexact 0
		.amdhsa_exception_int_div_zero 0
	.end_amdhsa_kernel
	.section	.text._ZN2at6native12_GLOBAL__N_125multi_tensor_apply_kernelINS1_18TensorListMetadataILi2EEENS1_14UnaryOpFunctorIdLi2ELi1ELi1EEEJNS0_5TruncIdEEEEEvT_T0_DpT1_,"axG",@progbits,_ZN2at6native12_GLOBAL__N_125multi_tensor_apply_kernelINS1_18TensorListMetadataILi2EEENS1_14UnaryOpFunctorIdLi2ELi1ELi1EEEJNS0_5TruncIdEEEEEvT_T0_DpT1_,comdat
.Lfunc_end266:
	.size	_ZN2at6native12_GLOBAL__N_125multi_tensor_apply_kernelINS1_18TensorListMetadataILi2EEENS1_14UnaryOpFunctorIdLi2ELi1ELi1EEEJNS0_5TruncIdEEEEEvT_T0_DpT1_, .Lfunc_end266-_ZN2at6native12_GLOBAL__N_125multi_tensor_apply_kernelINS1_18TensorListMetadataILi2EEENS1_14UnaryOpFunctorIdLi2ELi1ELi1EEEJNS0_5TruncIdEEEEEvT_T0_DpT1_
                                        ; -- End function
	.section	.AMDGPU.csdata,"",@progbits
; Kernel info:
; codeLenInByte = 1540
; NumSgprs: 24
; NumVgprs: 33
; ScratchSize: 0
; MemoryBound: 0
; FloatMode: 240
; IeeeMode: 1
; LDSByteSize: 0 bytes/workgroup (compile time only)
; SGPRBlocks: 2
; VGPRBlocks: 4
; NumSGPRsForWavesPerEU: 24
; NumVGPRsForWavesPerEU: 33
; Occupancy: 16
; WaveLimiterHint : 0
; COMPUTE_PGM_RSRC2:SCRATCH_EN: 0
; COMPUTE_PGM_RSRC2:USER_SGPR: 15
; COMPUTE_PGM_RSRC2:TRAP_HANDLER: 0
; COMPUTE_PGM_RSRC2:TGID_X_EN: 1
; COMPUTE_PGM_RSRC2:TGID_Y_EN: 0
; COMPUTE_PGM_RSRC2:TGID_Z_EN: 0
; COMPUTE_PGM_RSRC2:TIDIG_COMP_CNT: 0
	.section	.text._ZN2at6native12_GLOBAL__N_125multi_tensor_apply_kernelINS1_18TensorListMetadataILi2EEENS1_14UnaryOpFunctorIfLi2ELi1ELi1EEEJNS0_5TruncIfEEEEEvT_T0_DpT1_,"axG",@progbits,_ZN2at6native12_GLOBAL__N_125multi_tensor_apply_kernelINS1_18TensorListMetadataILi2EEENS1_14UnaryOpFunctorIfLi2ELi1ELi1EEEJNS0_5TruncIfEEEEEvT_T0_DpT1_,comdat
	.globl	_ZN2at6native12_GLOBAL__N_125multi_tensor_apply_kernelINS1_18TensorListMetadataILi2EEENS1_14UnaryOpFunctorIfLi2ELi1ELi1EEEJNS0_5TruncIfEEEEEvT_T0_DpT1_ ; -- Begin function _ZN2at6native12_GLOBAL__N_125multi_tensor_apply_kernelINS1_18TensorListMetadataILi2EEENS1_14UnaryOpFunctorIfLi2ELi1ELi1EEEJNS0_5TruncIfEEEEEvT_T0_DpT1_
	.p2align	8
	.type	_ZN2at6native12_GLOBAL__N_125multi_tensor_apply_kernelINS1_18TensorListMetadataILi2EEENS1_14UnaryOpFunctorIfLi2ELi1ELi1EEEJNS0_5TruncIfEEEEEvT_T0_DpT1_,@function
_ZN2at6native12_GLOBAL__N_125multi_tensor_apply_kernelINS1_18TensorListMetadataILi2EEENS1_14UnaryOpFunctorIfLi2ELi1ELi1EEEJNS0_5TruncIfEEEEEvT_T0_DpT1_: ; @_ZN2at6native12_GLOBAL__N_125multi_tensor_apply_kernelINS1_18TensorListMetadataILi2EEENS1_14UnaryOpFunctorIfLi2ELi1ELi1EEEJNS0_5TruncIfEEEEEvT_T0_DpT1_
; %bb.0:
	v_mov_b32_e32 v1, s15
	s_add_u32 s2, s0, s15
	s_mul_hi_u32 s3, s15, 3
	s_mul_i32 s15, s15, 3
	s_addc_u32 s4, s1, 0
	global_load_u8 v1, v1, s[0:1] offset:1536
	s_add_u32 s2, s2, s15
	s_addc_u32 s3, s4, s3
	s_mov_b32 s17, 0
	s_load_b32 s2, s[2:3], 0x740
	s_mov_b32 s19, s17
	s_mov_b32 s21, s17
	s_waitcnt vmcnt(0)
	v_readfirstlane_b32 s5, v1
	s_delay_alu instid0(VALU_DEP_1)
	s_lshl_b32 s3, s5, 3
	s_clause 0x2
	s_load_b64 s[10:11], s[0:1], s3 offset:0x0
	s_load_b64 s[12:13], s[0:1], s3 offset:0x200
	;; [unrolled: 1-line block ×3, first 2 shown]
	s_waitcnt lgkmcnt(0)
	s_ashr_i32 s3, s2, 31
	s_delay_alu instid0(SALU_CYCLE_1) | instskip(NEXT) | instid1(SALU_CYCLE_1)
	s_lshl_b64 s[4:5], s[2:3], 18
	s_add_u32 s8, s10, s4
	s_addc_u32 s9, s11, s5
	s_and_b32 s16, s8, 15
	s_add_u32 s14, s12, s4
	s_addc_u32 s15, s13, s5
	s_and_b32 s18, s6, 3
	s_and_b32 s20, s14, 15
	s_or_b64 s[16:17], s[16:17], s[18:19]
	s_lshl_b64 s[2:3], s[2:3], 16
	s_or_b64 s[16:17], s[20:21], s[16:17]
	s_sub_u32 s6, s6, s2
	s_subb_u32 s7, s7, s3
	s_cmp_eq_u64 s[16:17], 0
	s_mov_b32 s2, -1
	s_cbranch_scc0 .LBB267_5
; %bb.1:
	v_dual_mov_b32 v2, 0 :: v_dual_lshlrev_b32 v1, 2, v0
	s_mov_b32 s16, exec_lo
	s_delay_alu instid0(VALU_DEP_1)
	v_cmpx_gt_i64_e64 s[6:7], v[1:2]
	s_cbranch_execz .LBB267_4
; %bb.2:
	s_load_b32 s2, s[0:1], 0xc5c
	v_lshlrev_b32_e32 v3, 4, v0
	s_mov_b32 s17, 0
	s_waitcnt lgkmcnt(0)
	s_and_b32 s2, s2, 0xffff
	s_delay_alu instid0(SALU_CYCLE_1)
	v_add_lshl_u32 v1, v0, s2, 2
	s_lshl_b32 s18, s2, 2
	s_lshl_b32 s19, s2, 4
	s_set_inst_prefetch_distance 0x1
	.p2align	6
.LBB267_3:                              ; =>This Inner Loop Header: Depth=1
	v_add_co_u32 v4, s2, s8, v3
	s_delay_alu instid0(VALU_DEP_1)
	v_add_co_ci_u32_e64 v5, null, s9, 0, s2
	v_cmp_le_i64_e32 vcc_lo, s[6:7], v[1:2]
	v_cmp_lt_u64_e64 s2, 0xffff, v[1:2]
	v_add_co_u32 v8, s3, s14, v3
	global_load_b128 v[4:7], v[4:5], off
	v_add_co_ci_u32_e64 v9, null, s15, 0, s3
	s_or_b32 s2, vcc_lo, s2
	s_add_u32 s8, s8, s19
	v_add_co_u32 v1, s3, v1, s18
	s_addc_u32 s9, s9, 0
	s_add_u32 s14, s14, s19
	v_add_co_ci_u32_e64 v2, s3, 0, v2, s3
	s_addc_u32 s15, s15, 0
	s_and_b32 s2, exec_lo, s2
	s_delay_alu instid0(SALU_CYCLE_1)
	s_or_b32 s17, s2, s17
	s_waitcnt vmcnt(0)
	v_trunc_f32_e32 v10, v4
	v_trunc_f32_e32 v11, v5
	;; [unrolled: 1-line block ×4, first 2 shown]
	s_delay_alu instid0(VALU_DEP_3) | instskip(NEXT) | instid1(VALU_DEP_2)
	v_dual_sub_f32 v4, v4, v10 :: v_dual_sub_f32 v5, v5, v11
	v_dual_sub_f32 v6, v6, v12 :: v_dual_sub_f32 v7, v7, v13
	global_store_b128 v[8:9], v[4:7], off
	s_and_not1_b32 exec_lo, exec_lo, s17
	s_cbranch_execnz .LBB267_3
.LBB267_4:
	s_set_inst_prefetch_distance 0x2
	s_or_b32 exec_lo, exec_lo, s16
	s_mov_b32 s2, 0
.LBB267_5:
	s_delay_alu instid0(SALU_CYCLE_1)
	s_and_not1_b32 vcc_lo, exec_lo, s2
	s_cbranch_vccnz .LBB267_25
; %bb.6:
	v_cmp_lt_i64_e64 s2, s[6:7], 1
	s_delay_alu instid0(VALU_DEP_1)
	s_and_b32 vcc_lo, exec_lo, s2
	s_cbranch_vccnz .LBB267_25
; %bb.7:
	s_load_b32 s0, s[0:1], 0xc5c
	v_dual_mov_b32 v10, 0 :: v_dual_lshlrev_b32 v9, 2, v0
	v_cmp_gt_u64_e64 s1, 0x10000, s[6:7]
	s_delay_alu instid0(VALU_DEP_2) | instskip(NEXT) | instid1(VALU_DEP_1)
	v_add_co_u32 v1, s2, s10, v9
	v_add_co_ci_u32_e64 v2, null, s11, 0, s2
	v_add_co_u32 v3, s2, s12, v9
	s_delay_alu instid0(VALU_DEP_1)
	v_add_co_ci_u32_e64 v4, null, s13, 0, s2
	s_waitcnt lgkmcnt(0)
	s_and_b32 s0, s0, 0xffff
	s_and_b32 s1, s1, exec_lo
	v_mad_u64_u32 v[7:8], null, s0, 12, v[9:10]
	s_cselect_b32 s9, s7, 0
	s_cselect_b32 s8, s6, 0x10000
	s_mul_i32 s2, s0, 3
	s_lshl_b32 s3, s0, 3
	s_lshl_b32 s1, s0, 1
	v_add_co_u32 v14, s3, s3, v9
	v_add_co_u32 v9, s2, s2, v0
	s_delay_alu instid0(VALU_DEP_1) | instskip(SKIP_3) | instid1(VALU_DEP_3)
	v_add_co_ci_u32_e64 v10, null, 0, 0, s2
	v_add_co_u32 v13, s2, v0, s0
	v_add_co_u32 v5, vcc_lo, s10, v7
	v_add_co_ci_u32_e32 v6, vcc_lo, s11, v8, vcc_lo
	v_lshlrev_b32_e32 v21, 2, v13
	v_add_co_u32 v7, vcc_lo, s12, v7
	v_add_co_ci_u32_e64 v15, null, 0, 0, s3
	v_add_co_ci_u32_e32 v8, vcc_lo, s13, v8, vcc_lo
	v_add_co_u32 v17, s1, s1, v0
	v_add_co_u32 v11, vcc_lo, s10, v14
	v_add_co_ci_u32_e64 v18, null, 0, 0, s1
	v_add_co_u32 v19, s1, s10, v21
	v_add_co_ci_u32_e32 v12, vcc_lo, s11, v15, vcc_lo
	v_add_co_u32 v14, vcc_lo, s12, v14
	v_add_co_ci_u32_e64 v20, null, s11, 0, s1
	v_add_co_u32 v21, s1, s12, v21
	v_add_co_ci_u32_e32 v15, vcc_lo, s13, v15, vcc_lo
	v_add_co_ci_u32_e64 v16, null, 0, 0, s2
	v_add_co_ci_u32_e64 v22, null, s13, 0, s1
	s_lshl_b32 s12, s0, 2
	s_lshl_b32 s13, s0, 4
	s_mov_b64 s[10:11], 0
	s_branch .LBB267_9
.LBB267_8:                              ;   in Loop: Header=BB267_9 Depth=1
	s_or_b32 exec_lo, exec_lo, s0
	v_add_co_u32 v1, vcc_lo, v1, s13
	v_add_co_ci_u32_e32 v2, vcc_lo, 0, v2, vcc_lo
	v_add_co_u32 v3, vcc_lo, v3, s13
	v_add_co_ci_u32_e32 v4, vcc_lo, 0, v4, vcc_lo
	;; [unrolled: 2-line block ×5, first 2 shown]
	s_add_u32 s10, s10, s12
	v_add_co_u32 v14, vcc_lo, v14, s13
	s_addc_u32 s11, s11, 0
	v_add_co_ci_u32_e32 v15, vcc_lo, 0, v15, vcc_lo
	v_cmp_ge_i64_e64 s0, s[10:11], s[6:7]
	v_cmp_lt_u64_e64 s1, 0xffff, s[10:11]
	v_add_co_u32 v19, vcc_lo, v19, s13
	v_add_co_ci_u32_e32 v20, vcc_lo, 0, v20, vcc_lo
	v_add_co_u32 v21, vcc_lo, v21, s13
	v_add_co_ci_u32_e32 v22, vcc_lo, 0, v22, vcc_lo
	s_or_b32 s0, s0, s1
	s_delay_alu instid0(SALU_CYCLE_1)
	s_and_b32 vcc_lo, exec_lo, s0
	s_cbranch_vccnz .LBB267_25
.LBB267_9:                              ; =>This Inner Loop Header: Depth=1
	s_waitcnt vmcnt(0)
	v_add_co_u32 v23, s0, v0, s10
	s_delay_alu instid0(VALU_DEP_1) | instskip(NEXT) | instid1(VALU_DEP_1)
	v_add_co_ci_u32_e64 v24, null, 0, s11, s0
	v_cmp_gt_u64_e32 vcc_lo, s[8:9], v[23:24]
	v_mov_b32_e32 v23, 0
	s_and_saveexec_b32 s1, vcc_lo
	s_cbranch_execz .LBB267_11
; %bb.10:                               ;   in Loop: Header=BB267_9 Depth=1
	v_add_co_u32 v23, s0, v1, s4
	s_delay_alu instid0(VALU_DEP_1)
	v_add_co_ci_u32_e64 v24, s0, s5, v2, s0
	global_load_b32 v23, v[23:24], off
.LBB267_11:                             ;   in Loop: Header=BB267_9 Depth=1
	s_or_b32 exec_lo, exec_lo, s1
	v_add_co_u32 v24, s0, v13, s10
	s_delay_alu instid0(VALU_DEP_1) | instskip(NEXT) | instid1(VALU_DEP_1)
	v_add_co_ci_u32_e64 v25, s0, s11, v16, s0
	v_cmp_gt_u64_e64 s0, s[8:9], v[24:25]
	v_mov_b32_e32 v25, 0
	s_delay_alu instid0(VALU_DEP_2)
	s_and_saveexec_b32 s2, s0
	s_cbranch_execz .LBB267_13
; %bb.12:                               ;   in Loop: Header=BB267_9 Depth=1
	v_add_co_u32 v24, s1, v19, s4
	s_delay_alu instid0(VALU_DEP_1)
	v_add_co_ci_u32_e64 v25, s1, s5, v20, s1
	global_load_b32 v25, v[24:25], off
.LBB267_13:                             ;   in Loop: Header=BB267_9 Depth=1
	s_or_b32 exec_lo, exec_lo, s2
	v_add_co_u32 v26, s1, v17, s10
	s_delay_alu instid0(VALU_DEP_1) | instskip(SKIP_1) | instid1(VALU_DEP_2)
	v_add_co_ci_u32_e64 v27, s1, s11, v18, s1
	v_mov_b32_e32 v24, 0
	v_cmp_gt_u64_e64 s1, s[8:9], v[26:27]
	v_mov_b32_e32 v26, 0
	s_delay_alu instid0(VALU_DEP_2)
	s_and_saveexec_b32 s3, s1
	s_cbranch_execz .LBB267_15
; %bb.14:                               ;   in Loop: Header=BB267_9 Depth=1
	v_add_co_u32 v26, s2, v11, s4
	s_delay_alu instid0(VALU_DEP_1)
	v_add_co_ci_u32_e64 v27, s2, s5, v12, s2
	global_load_b32 v26, v[26:27], off
.LBB267_15:                             ;   in Loop: Header=BB267_9 Depth=1
	s_or_b32 exec_lo, exec_lo, s3
	v_add_co_u32 v27, s2, v9, s10
	s_delay_alu instid0(VALU_DEP_1) | instskip(NEXT) | instid1(VALU_DEP_1)
	v_add_co_ci_u32_e64 v28, s2, s11, v10, s2
	v_cmp_gt_u64_e64 s2, s[8:9], v[27:28]
	s_delay_alu instid0(VALU_DEP_1)
	s_and_saveexec_b32 s14, s2
	s_cbranch_execnz .LBB267_20
; %bb.16:                               ;   in Loop: Header=BB267_9 Depth=1
	s_or_b32 exec_lo, exec_lo, s14
	s_and_saveexec_b32 s3, vcc_lo
	s_cbranch_execnz .LBB267_21
.LBB267_17:                             ;   in Loop: Header=BB267_9 Depth=1
	s_or_b32 exec_lo, exec_lo, s3
	s_and_saveexec_b32 s3, s0
	s_cbranch_execnz .LBB267_22
.LBB267_18:                             ;   in Loop: Header=BB267_9 Depth=1
	s_or_b32 exec_lo, exec_lo, s3
	s_and_saveexec_b32 s0, s1
	s_cbranch_execnz .LBB267_23
.LBB267_19:                             ;   in Loop: Header=BB267_9 Depth=1
	s_or_b32 exec_lo, exec_lo, s0
	s_and_saveexec_b32 s0, s2
	s_cbranch_execz .LBB267_8
	s_branch .LBB267_24
.LBB267_20:                             ;   in Loop: Header=BB267_9 Depth=1
	v_add_co_u32 v27, s3, v5, s4
	s_delay_alu instid0(VALU_DEP_1)
	v_add_co_ci_u32_e64 v28, s3, s5, v6, s3
	global_load_b32 v24, v[27:28], off
	s_or_b32 exec_lo, exec_lo, s14
	s_and_saveexec_b32 s3, vcc_lo
	s_cbranch_execz .LBB267_17
.LBB267_21:                             ;   in Loop: Header=BB267_9 Depth=1
	s_waitcnt vmcnt(0)
	v_trunc_f32_e32 v29, v23
	v_add_co_u32 v27, vcc_lo, v3, s4
	v_add_co_ci_u32_e32 v28, vcc_lo, s5, v4, vcc_lo
	s_delay_alu instid0(VALU_DEP_3)
	v_sub_f32_e32 v23, v23, v29
	global_store_b32 v[27:28], v23, off
	s_or_b32 exec_lo, exec_lo, s3
	s_and_saveexec_b32 s3, s0
	s_cbranch_execz .LBB267_18
.LBB267_22:                             ;   in Loop: Header=BB267_9 Depth=1
	s_waitcnt vmcnt(0)
	v_trunc_f32_e32 v23, v25
	v_add_co_u32 v27, vcc_lo, v21, s4
	v_add_co_ci_u32_e32 v28, vcc_lo, s5, v22, vcc_lo
	s_delay_alu instid0(VALU_DEP_3)
	v_sub_f32_e32 v23, v25, v23
	global_store_b32 v[27:28], v23, off
	s_or_b32 exec_lo, exec_lo, s3
	s_and_saveexec_b32 s0, s1
	s_cbranch_execz .LBB267_19
.LBB267_23:                             ;   in Loop: Header=BB267_9 Depth=1
	s_waitcnt vmcnt(0)
	v_trunc_f32_e32 v23, v26
	v_add_co_u32 v25, vcc_lo, v14, s4
	s_delay_alu instid0(VALU_DEP_2)
	v_sub_f32_e32 v23, v26, v23
	v_add_co_ci_u32_e32 v26, vcc_lo, s5, v15, vcc_lo
	global_store_b32 v[25:26], v23, off
	s_or_b32 exec_lo, exec_lo, s0
	s_and_saveexec_b32 s0, s2
	s_cbranch_execz .LBB267_8
.LBB267_24:                             ;   in Loop: Header=BB267_9 Depth=1
	s_waitcnt vmcnt(0)
	v_trunc_f32_e32 v23, v24
	s_delay_alu instid0(VALU_DEP_1)
	v_sub_f32_e32 v25, v24, v23
	v_add_co_u32 v23, vcc_lo, v7, s4
	v_add_co_ci_u32_e32 v24, vcc_lo, s5, v8, vcc_lo
	global_store_b32 v[23:24], v25, off
	s_branch .LBB267_8
.LBB267_25:
	s_nop 0
	s_sendmsg sendmsg(MSG_DEALLOC_VGPRS)
	s_endpgm
	.section	.rodata,"a",@progbits
	.p2align	6, 0x0
	.amdhsa_kernel _ZN2at6native12_GLOBAL__N_125multi_tensor_apply_kernelINS1_18TensorListMetadataILi2EEENS1_14UnaryOpFunctorIfLi2ELi1ELi1EEEJNS0_5TruncIfEEEEEvT_T0_DpT1_
		.amdhsa_group_segment_fixed_size 0
		.amdhsa_private_segment_fixed_size 0
		.amdhsa_kernarg_size 3408
		.amdhsa_user_sgpr_count 15
		.amdhsa_user_sgpr_dispatch_ptr 0
		.amdhsa_user_sgpr_queue_ptr 0
		.amdhsa_user_sgpr_kernarg_segment_ptr 1
		.amdhsa_user_sgpr_dispatch_id 0
		.amdhsa_user_sgpr_private_segment_size 0
		.amdhsa_wavefront_size32 1
		.amdhsa_uses_dynamic_stack 0
		.amdhsa_enable_private_segment 0
		.amdhsa_system_sgpr_workgroup_id_x 1
		.amdhsa_system_sgpr_workgroup_id_y 0
		.amdhsa_system_sgpr_workgroup_id_z 0
		.amdhsa_system_sgpr_workgroup_info 0
		.amdhsa_system_vgpr_workitem_id 0
		.amdhsa_next_free_vgpr 30
		.amdhsa_next_free_sgpr 22
		.amdhsa_reserve_vcc 1
		.amdhsa_float_round_mode_32 0
		.amdhsa_float_round_mode_16_64 0
		.amdhsa_float_denorm_mode_32 3
		.amdhsa_float_denorm_mode_16_64 3
		.amdhsa_dx10_clamp 1
		.amdhsa_ieee_mode 1
		.amdhsa_fp16_overflow 0
		.amdhsa_workgroup_processor_mode 1
		.amdhsa_memory_ordered 1
		.amdhsa_forward_progress 0
		.amdhsa_shared_vgpr_count 0
		.amdhsa_exception_fp_ieee_invalid_op 0
		.amdhsa_exception_fp_denorm_src 0
		.amdhsa_exception_fp_ieee_div_zero 0
		.amdhsa_exception_fp_ieee_overflow 0
		.amdhsa_exception_fp_ieee_underflow 0
		.amdhsa_exception_fp_ieee_inexact 0
		.amdhsa_exception_int_div_zero 0
	.end_amdhsa_kernel
	.section	.text._ZN2at6native12_GLOBAL__N_125multi_tensor_apply_kernelINS1_18TensorListMetadataILi2EEENS1_14UnaryOpFunctorIfLi2ELi1ELi1EEEJNS0_5TruncIfEEEEEvT_T0_DpT1_,"axG",@progbits,_ZN2at6native12_GLOBAL__N_125multi_tensor_apply_kernelINS1_18TensorListMetadataILi2EEENS1_14UnaryOpFunctorIfLi2ELi1ELi1EEEJNS0_5TruncIfEEEEEvT_T0_DpT1_,comdat
.Lfunc_end267:
	.size	_ZN2at6native12_GLOBAL__N_125multi_tensor_apply_kernelINS1_18TensorListMetadataILi2EEENS1_14UnaryOpFunctorIfLi2ELi1ELi1EEEJNS0_5TruncIfEEEEEvT_T0_DpT1_, .Lfunc_end267-_ZN2at6native12_GLOBAL__N_125multi_tensor_apply_kernelINS1_18TensorListMetadataILi2EEENS1_14UnaryOpFunctorIfLi2ELi1ELi1EEEJNS0_5TruncIfEEEEEvT_T0_DpT1_
                                        ; -- End function
	.section	.AMDGPU.csdata,"",@progbits
; Kernel info:
; codeLenInByte = 1448
; NumSgprs: 24
; NumVgprs: 30
; ScratchSize: 0
; MemoryBound: 0
; FloatMode: 240
; IeeeMode: 1
; LDSByteSize: 0 bytes/workgroup (compile time only)
; SGPRBlocks: 2
; VGPRBlocks: 3
; NumSGPRsForWavesPerEU: 24
; NumVGPRsForWavesPerEU: 30
; Occupancy: 16
; WaveLimiterHint : 0
; COMPUTE_PGM_RSRC2:SCRATCH_EN: 0
; COMPUTE_PGM_RSRC2:USER_SGPR: 15
; COMPUTE_PGM_RSRC2:TRAP_HANDLER: 0
; COMPUTE_PGM_RSRC2:TGID_X_EN: 1
; COMPUTE_PGM_RSRC2:TGID_Y_EN: 0
; COMPUTE_PGM_RSRC2:TGID_Z_EN: 0
; COMPUTE_PGM_RSRC2:TIDIG_COMP_CNT: 0
	.section	.text._ZN2at6native12_GLOBAL__N_125multi_tensor_apply_kernelINS1_18TensorListMetadataILi2EEENS1_14UnaryOpFunctorIN3c104HalfELi2ELi1ELi1EEEJNS0_5TruncIfEEEEEvT_T0_DpT1_,"axG",@progbits,_ZN2at6native12_GLOBAL__N_125multi_tensor_apply_kernelINS1_18TensorListMetadataILi2EEENS1_14UnaryOpFunctorIN3c104HalfELi2ELi1ELi1EEEJNS0_5TruncIfEEEEEvT_T0_DpT1_,comdat
	.globl	_ZN2at6native12_GLOBAL__N_125multi_tensor_apply_kernelINS1_18TensorListMetadataILi2EEENS1_14UnaryOpFunctorIN3c104HalfELi2ELi1ELi1EEEJNS0_5TruncIfEEEEEvT_T0_DpT1_ ; -- Begin function _ZN2at6native12_GLOBAL__N_125multi_tensor_apply_kernelINS1_18TensorListMetadataILi2EEENS1_14UnaryOpFunctorIN3c104HalfELi2ELi1ELi1EEEJNS0_5TruncIfEEEEEvT_T0_DpT1_
	.p2align	8
	.type	_ZN2at6native12_GLOBAL__N_125multi_tensor_apply_kernelINS1_18TensorListMetadataILi2EEENS1_14UnaryOpFunctorIN3c104HalfELi2ELi1ELi1EEEJNS0_5TruncIfEEEEEvT_T0_DpT1_,@function
_ZN2at6native12_GLOBAL__N_125multi_tensor_apply_kernelINS1_18TensorListMetadataILi2EEENS1_14UnaryOpFunctorIN3c104HalfELi2ELi1ELi1EEEJNS0_5TruncIfEEEEEvT_T0_DpT1_: ; @_ZN2at6native12_GLOBAL__N_125multi_tensor_apply_kernelINS1_18TensorListMetadataILi2EEENS1_14UnaryOpFunctorIN3c104HalfELi2ELi1ELi1EEEJNS0_5TruncIfEEEEEvT_T0_DpT1_
; %bb.0:
	v_mov_b32_e32 v1, s15
	s_add_u32 s2, s0, s15
	s_mul_hi_u32 s3, s15, 3
	s_mul_i32 s15, s15, 3
	s_addc_u32 s4, s1, 0
	global_load_u8 v1, v1, s[0:1] offset:1536
	s_add_u32 s2, s2, s15
	s_addc_u32 s3, s4, s3
	s_mov_b32 s17, 0
	s_load_b32 s2, s[2:3], 0x740
	s_mov_b32 s19, s17
	s_mov_b32 s21, s17
	s_waitcnt vmcnt(0)
	v_readfirstlane_b32 s5, v1
	s_delay_alu instid0(VALU_DEP_1)
	s_lshl_b32 s3, s5, 3
	s_clause 0x2
	s_load_b64 s[10:11], s[0:1], s3 offset:0x0
	s_load_b64 s[12:13], s[0:1], s3 offset:0x200
	;; [unrolled: 1-line block ×3, first 2 shown]
	s_waitcnt lgkmcnt(0)
	s_ashr_i32 s3, s2, 31
	s_delay_alu instid0(SALU_CYCLE_1) | instskip(NEXT) | instid1(SALU_CYCLE_1)
	s_lshl_b64 s[4:5], s[2:3], 17
	s_add_u32 s8, s10, s4
	s_addc_u32 s9, s11, s5
	s_and_b32 s16, s8, 7
	s_add_u32 s14, s12, s4
	s_addc_u32 s15, s13, s5
	s_and_b32 s18, s6, 3
	s_and_b32 s20, s14, 7
	s_or_b64 s[16:17], s[16:17], s[18:19]
	s_lshl_b64 s[2:3], s[2:3], 16
	s_or_b64 s[16:17], s[20:21], s[16:17]
	s_sub_u32 s6, s6, s2
	s_subb_u32 s7, s7, s3
	s_cmp_eq_u64 s[16:17], 0
	s_mov_b32 s2, -1
	s_cbranch_scc0 .LBB268_5
; %bb.1:
	v_dual_mov_b32 v2, 0 :: v_dual_lshlrev_b32 v1, 2, v0
	s_mov_b32 s16, exec_lo
	s_delay_alu instid0(VALU_DEP_1)
	v_cmpx_gt_i64_e64 s[6:7], v[1:2]
	s_cbranch_execz .LBB268_4
; %bb.2:
	s_load_b32 s2, s[0:1], 0xc5c
	v_lshlrev_b32_e32 v3, 3, v0
	s_mov_b32 s17, 0
	s_waitcnt lgkmcnt(0)
	s_and_b32 s2, s2, 0xffff
	s_delay_alu instid0(SALU_CYCLE_1)
	v_add_lshl_u32 v1, v0, s2, 2
	s_lshl_b32 s18, s2, 2
	s_lshl_b32 s19, s2, 3
.LBB268_3:                              ; =>This Inner Loop Header: Depth=1
	v_add_co_u32 v4, s2, s8, v3
	s_delay_alu instid0(VALU_DEP_1) | instskip(SKIP_1) | instid1(VALU_DEP_1)
	v_add_co_ci_u32_e64 v5, null, s9, 0, s2
	v_add_co_u32 v6, s2, s14, v3
	v_add_co_ci_u32_e64 v7, null, s15, 0, s2
	global_load_b64 v[4:5], v[4:5], off
	v_cmp_le_i64_e32 vcc_lo, s[6:7], v[1:2]
	v_cmp_lt_u64_e64 s2, 0xffff, v[1:2]
	v_add_co_u32 v1, s3, v1, s18
	s_delay_alu instid0(VALU_DEP_1) | instskip(NEXT) | instid1(VALU_DEP_3)
	v_add_co_ci_u32_e64 v2, s3, 0, v2, s3
	s_or_b32 s2, vcc_lo, s2
	s_add_u32 s8, s8, s19
	s_addc_u32 s9, s9, 0
	s_add_u32 s14, s14, s19
	s_addc_u32 s15, s15, 0
	s_and_b32 s2, exec_lo, s2
	s_delay_alu instid0(SALU_CYCLE_1)
	s_or_b32 s17, s2, s17
	s_waitcnt vmcnt(0)
	v_lshrrev_b32_e32 v8, 16, v4
	v_lshrrev_b32_e32 v9, 16, v5
	v_cvt_f32_f16_e32 v4, v4
	v_cvt_f32_f16_e32 v5, v5
	s_delay_alu instid0(VALU_DEP_4) | instskip(NEXT) | instid1(VALU_DEP_4)
	v_cvt_f32_f16_e32 v8, v8
	v_cvt_f32_f16_e32 v9, v9
	s_delay_alu instid0(VALU_DEP_4) | instskip(NEXT) | instid1(VALU_DEP_4)
	v_trunc_f32_e32 v10, v4
	v_trunc_f32_e32 v11, v5
	s_delay_alu instid0(VALU_DEP_4) | instskip(NEXT) | instid1(VALU_DEP_4)
	v_trunc_f32_e32 v13, v8
	v_trunc_f32_e32 v12, v9
	s_delay_alu instid0(VALU_DEP_3) | instskip(NEXT) | instid1(VALU_DEP_2)
	v_dual_sub_f32 v4, v4, v10 :: v_dual_sub_f32 v5, v5, v11
	v_dual_sub_f32 v8, v8, v13 :: v_dual_sub_f32 v9, v9, v12
	s_delay_alu instid0(VALU_DEP_2) | instskip(NEXT) | instid1(VALU_DEP_3)
	v_cvt_f16_f32_e32 v4, v4
	v_cvt_f16_f32_e32 v5, v5
	s_delay_alu instid0(VALU_DEP_3) | instskip(NEXT) | instid1(VALU_DEP_4)
	v_cvt_f16_f32_e32 v8, v8
	v_cvt_f16_f32_e32 v9, v9
	s_delay_alu instid0(VALU_DEP_2) | instskip(NEXT) | instid1(VALU_DEP_2)
	v_pack_b32_f16 v4, v4, v8
	v_pack_b32_f16 v5, v5, v9
	global_store_b64 v[6:7], v[4:5], off
	s_and_not1_b32 exec_lo, exec_lo, s17
	s_cbranch_execnz .LBB268_3
.LBB268_4:
	s_or_b32 exec_lo, exec_lo, s16
	s_mov_b32 s2, 0
.LBB268_5:
	s_delay_alu instid0(SALU_CYCLE_1)
	s_and_not1_b32 vcc_lo, exec_lo, s2
	s_cbranch_vccnz .LBB268_25
; %bb.6:
	v_cmp_lt_i64_e64 s2, s[6:7], 1
	s_delay_alu instid0(VALU_DEP_1)
	s_and_b32 vcc_lo, exec_lo, s2
	s_cbranch_vccnz .LBB268_25
; %bb.7:
	s_load_b32 s0, s[0:1], 0xc5c
	v_dual_mov_b32 v10, 0 :: v_dual_lshlrev_b32 v9, 1, v0
	v_cmp_gt_u64_e64 s1, 0x10000, s[6:7]
	s_delay_alu instid0(VALU_DEP_2) | instskip(NEXT) | instid1(VALU_DEP_1)
	v_add_co_u32 v1, s2, s10, v9
	v_add_co_ci_u32_e64 v2, null, s11, 0, s2
	v_add_co_u32 v3, s2, s12, v9
	s_delay_alu instid0(VALU_DEP_1)
	v_add_co_ci_u32_e64 v4, null, s13, 0, s2
	s_waitcnt lgkmcnt(0)
	s_and_b32 s0, s0, 0xffff
	s_and_b32 s1, s1, exec_lo
	v_mad_u64_u32 v[7:8], null, s0, 6, v[9:10]
	s_cselect_b32 s9, s7, 0
	s_cselect_b32 s8, s6, 0x10000
	s_mul_i32 s2, s0, 3
	s_lshl_b32 s14, s0, 2
	s_lshl_b32 s1, s0, 1
	v_add_co_u32 v14, s3, s14, v9
	v_add_co_u32 v9, s2, s2, v0
	s_delay_alu instid0(VALU_DEP_1) | instskip(SKIP_3) | instid1(VALU_DEP_3)
	v_add_co_ci_u32_e64 v10, null, 0, 0, s2
	v_add_co_u32 v13, s2, v0, s0
	v_add_co_u32 v5, vcc_lo, s10, v7
	v_add_co_ci_u32_e32 v6, vcc_lo, s11, v8, vcc_lo
	v_lshlrev_b32_e32 v21, 1, v13
	v_add_co_u32 v7, vcc_lo, s12, v7
	v_add_co_ci_u32_e64 v15, null, 0, 0, s3
	v_add_co_ci_u32_e32 v8, vcc_lo, s13, v8, vcc_lo
	v_add_co_u32 v17, s1, s1, v0
	v_add_co_u32 v11, vcc_lo, s10, v14
	v_add_co_ci_u32_e64 v18, null, 0, 0, s1
	v_add_co_u32 v19, s1, s10, v21
	v_add_co_ci_u32_e32 v12, vcc_lo, s11, v15, vcc_lo
	v_add_co_u32 v14, vcc_lo, s12, v14
	v_add_co_ci_u32_e64 v20, null, s11, 0, s1
	v_add_co_u32 v21, s1, s12, v21
	v_add_co_ci_u32_e32 v15, vcc_lo, s13, v15, vcc_lo
	v_add_co_ci_u32_e64 v16, null, 0, 0, s2
	v_add_co_ci_u32_e64 v22, null, s13, 0, s1
	s_lshl_b32 s12, s0, 3
	s_mov_b64 s[10:11], 0
	s_branch .LBB268_9
.LBB268_8:                              ;   in Loop: Header=BB268_9 Depth=1
	s_or_b32 exec_lo, exec_lo, s0
	v_add_co_u32 v1, vcc_lo, v1, s12
	v_add_co_ci_u32_e32 v2, vcc_lo, 0, v2, vcc_lo
	v_add_co_u32 v3, vcc_lo, v3, s12
	v_add_co_ci_u32_e32 v4, vcc_lo, 0, v4, vcc_lo
	;; [unrolled: 2-line block ×5, first 2 shown]
	s_add_u32 s10, s10, s14
	v_add_co_u32 v14, vcc_lo, v14, s12
	s_addc_u32 s11, s11, 0
	v_add_co_ci_u32_e32 v15, vcc_lo, 0, v15, vcc_lo
	v_cmp_ge_i64_e64 s0, s[10:11], s[6:7]
	v_cmp_lt_u64_e64 s1, 0xffff, s[10:11]
	v_add_co_u32 v19, vcc_lo, v19, s12
	v_add_co_ci_u32_e32 v20, vcc_lo, 0, v20, vcc_lo
	v_add_co_u32 v21, vcc_lo, v21, s12
	v_add_co_ci_u32_e32 v22, vcc_lo, 0, v22, vcc_lo
	s_or_b32 s0, s0, s1
	s_delay_alu instid0(SALU_CYCLE_1)
	s_and_b32 vcc_lo, exec_lo, s0
	s_cbranch_vccnz .LBB268_25
.LBB268_9:                              ; =>This Inner Loop Header: Depth=1
	s_waitcnt vmcnt(0)
	v_add_co_u32 v23, s0, v0, s10
	s_delay_alu instid0(VALU_DEP_1) | instskip(NEXT) | instid1(VALU_DEP_1)
	v_add_co_ci_u32_e64 v24, null, 0, s11, s0
	v_cmp_gt_u64_e32 vcc_lo, s[8:9], v[23:24]
	v_mov_b32_e32 v24, 0
	s_and_saveexec_b32 s1, vcc_lo
	s_cbranch_execz .LBB268_11
; %bb.10:                               ;   in Loop: Header=BB268_9 Depth=1
	v_add_co_u32 v23, s0, v1, s4
	s_delay_alu instid0(VALU_DEP_1)
	v_add_co_ci_u32_e64 v24, s0, s5, v2, s0
	global_load_u16 v24, v[23:24], off
.LBB268_11:                             ;   in Loop: Header=BB268_9 Depth=1
	s_or_b32 exec_lo, exec_lo, s1
	v_add_co_u32 v25, s0, v13, s10
	s_delay_alu instid0(VALU_DEP_1) | instskip(NEXT) | instid1(VALU_DEP_1)
	v_add_co_ci_u32_e64 v26, s0, s11, v16, s0
	v_cmp_gt_u64_e64 s0, s[8:9], v[25:26]
	v_mov_b32_e32 v25, 0
	s_delay_alu instid0(VALU_DEP_2)
	s_and_saveexec_b32 s2, s0
	s_cbranch_execz .LBB268_13
; %bb.12:                               ;   in Loop: Header=BB268_9 Depth=1
	v_add_co_u32 v25, s1, v19, s4
	s_delay_alu instid0(VALU_DEP_1)
	v_add_co_ci_u32_e64 v26, s1, s5, v20, s1
	global_load_u16 v25, v[25:26], off
.LBB268_13:                             ;   in Loop: Header=BB268_9 Depth=1
	s_or_b32 exec_lo, exec_lo, s2
	v_add_co_u32 v26, s1, v17, s10
	s_delay_alu instid0(VALU_DEP_1) | instskip(SKIP_1) | instid1(VALU_DEP_2)
	v_add_co_ci_u32_e64 v27, s1, s11, v18, s1
	v_mov_b32_e32 v23, 0
	v_cmp_gt_u64_e64 s1, s[8:9], v[26:27]
	v_mov_b32_e32 v26, 0
	s_delay_alu instid0(VALU_DEP_2)
	s_and_saveexec_b32 s3, s1
	s_cbranch_execz .LBB268_15
; %bb.14:                               ;   in Loop: Header=BB268_9 Depth=1
	v_add_co_u32 v26, s2, v11, s4
	s_delay_alu instid0(VALU_DEP_1)
	v_add_co_ci_u32_e64 v27, s2, s5, v12, s2
	global_load_u16 v26, v[26:27], off
.LBB268_15:                             ;   in Loop: Header=BB268_9 Depth=1
	s_or_b32 exec_lo, exec_lo, s3
	v_add_co_u32 v27, s2, v9, s10
	s_delay_alu instid0(VALU_DEP_1) | instskip(NEXT) | instid1(VALU_DEP_1)
	v_add_co_ci_u32_e64 v28, s2, s11, v10, s2
	v_cmp_gt_u64_e64 s2, s[8:9], v[27:28]
	s_delay_alu instid0(VALU_DEP_1)
	s_and_saveexec_b32 s13, s2
	s_cbranch_execnz .LBB268_20
; %bb.16:                               ;   in Loop: Header=BB268_9 Depth=1
	s_or_b32 exec_lo, exec_lo, s13
	s_and_saveexec_b32 s3, vcc_lo
	s_cbranch_execnz .LBB268_21
.LBB268_17:                             ;   in Loop: Header=BB268_9 Depth=1
	s_or_b32 exec_lo, exec_lo, s3
	s_and_saveexec_b32 s3, s0
	s_cbranch_execnz .LBB268_22
.LBB268_18:                             ;   in Loop: Header=BB268_9 Depth=1
	s_or_b32 exec_lo, exec_lo, s3
	s_and_saveexec_b32 s0, s1
	s_cbranch_execnz .LBB268_23
.LBB268_19:                             ;   in Loop: Header=BB268_9 Depth=1
	s_or_b32 exec_lo, exec_lo, s0
	s_and_saveexec_b32 s0, s2
	s_cbranch_execz .LBB268_8
	s_branch .LBB268_24
.LBB268_20:                             ;   in Loop: Header=BB268_9 Depth=1
	v_add_co_u32 v27, s3, v5, s4
	s_delay_alu instid0(VALU_DEP_1)
	v_add_co_ci_u32_e64 v28, s3, s5, v6, s3
	global_load_u16 v23, v[27:28], off
	s_or_b32 exec_lo, exec_lo, s13
	s_and_saveexec_b32 s3, vcc_lo
	s_cbranch_execz .LBB268_17
.LBB268_21:                             ;   in Loop: Header=BB268_9 Depth=1
	s_waitcnt vmcnt(0)
	v_cvt_f32_f16_e32 v24, v24
	s_delay_alu instid0(VALU_DEP_1) | instskip(NEXT) | instid1(VALU_DEP_1)
	v_trunc_f32_e32 v27, v24
	v_sub_f32_e32 v24, v24, v27
	v_add_co_u32 v27, vcc_lo, v3, s4
	v_add_co_ci_u32_e32 v28, vcc_lo, s5, v4, vcc_lo
	s_delay_alu instid0(VALU_DEP_3)
	v_cvt_f16_f32_e32 v24, v24
	global_store_b16 v[27:28], v24, off
	s_or_b32 exec_lo, exec_lo, s3
	s_and_saveexec_b32 s3, s0
	s_cbranch_execz .LBB268_18
.LBB268_22:                             ;   in Loop: Header=BB268_9 Depth=1
	s_waitcnt vmcnt(0)
	v_cvt_f32_f16_e32 v24, v25
	s_delay_alu instid0(VALU_DEP_1) | instskip(NEXT) | instid1(VALU_DEP_1)
	v_trunc_f32_e32 v25, v24
	v_sub_f32_e32 v24, v24, v25
	s_delay_alu instid0(VALU_DEP_1)
	v_cvt_f16_f32_e32 v27, v24
	v_add_co_u32 v24, vcc_lo, v21, s4
	v_add_co_ci_u32_e32 v25, vcc_lo, s5, v22, vcc_lo
	global_store_b16 v[24:25], v27, off
	s_or_b32 exec_lo, exec_lo, s3
	s_and_saveexec_b32 s0, s1
	s_cbranch_execz .LBB268_19
.LBB268_23:                             ;   in Loop: Header=BB268_9 Depth=1
	s_waitcnt vmcnt(0)
	v_cvt_f32_f16_e32 v24, v26
	s_delay_alu instid0(VALU_DEP_1) | instskip(NEXT) | instid1(VALU_DEP_1)
	v_trunc_f32_e32 v25, v24
	v_sub_f32_e32 v24, v24, v25
	s_delay_alu instid0(VALU_DEP_1)
	v_cvt_f16_f32_e32 v26, v24
	v_add_co_u32 v24, vcc_lo, v14, s4
	v_add_co_ci_u32_e32 v25, vcc_lo, s5, v15, vcc_lo
	global_store_b16 v[24:25], v26, off
	s_or_b32 exec_lo, exec_lo, s0
	s_and_saveexec_b32 s0, s2
	s_cbranch_execz .LBB268_8
.LBB268_24:                             ;   in Loop: Header=BB268_9 Depth=1
	s_waitcnt vmcnt(0)
	v_cvt_f32_f16_e32 v23, v23
	s_delay_alu instid0(VALU_DEP_1) | instskip(NEXT) | instid1(VALU_DEP_1)
	v_trunc_f32_e32 v24, v23
	v_sub_f32_e32 v23, v23, v24
	s_delay_alu instid0(VALU_DEP_1)
	v_cvt_f16_f32_e32 v25, v23
	v_add_co_u32 v23, vcc_lo, v7, s4
	v_add_co_ci_u32_e32 v24, vcc_lo, s5, v8, vcc_lo
	global_store_b16 v[23:24], v25, off
	s_branch .LBB268_8
.LBB268_25:
	s_nop 0
	s_sendmsg sendmsg(MSG_DEALLOC_VGPRS)
	s_endpgm
	.section	.rodata,"a",@progbits
	.p2align	6, 0x0
	.amdhsa_kernel _ZN2at6native12_GLOBAL__N_125multi_tensor_apply_kernelINS1_18TensorListMetadataILi2EEENS1_14UnaryOpFunctorIN3c104HalfELi2ELi1ELi1EEEJNS0_5TruncIfEEEEEvT_T0_DpT1_
		.amdhsa_group_segment_fixed_size 0
		.amdhsa_private_segment_fixed_size 0
		.amdhsa_kernarg_size 3408
		.amdhsa_user_sgpr_count 15
		.amdhsa_user_sgpr_dispatch_ptr 0
		.amdhsa_user_sgpr_queue_ptr 0
		.amdhsa_user_sgpr_kernarg_segment_ptr 1
		.amdhsa_user_sgpr_dispatch_id 0
		.amdhsa_user_sgpr_private_segment_size 0
		.amdhsa_wavefront_size32 1
		.amdhsa_uses_dynamic_stack 0
		.amdhsa_enable_private_segment 0
		.amdhsa_system_sgpr_workgroup_id_x 1
		.amdhsa_system_sgpr_workgroup_id_y 0
		.amdhsa_system_sgpr_workgroup_id_z 0
		.amdhsa_system_sgpr_workgroup_info 0
		.amdhsa_system_vgpr_workitem_id 0
		.amdhsa_next_free_vgpr 29
		.amdhsa_next_free_sgpr 22
		.amdhsa_reserve_vcc 1
		.amdhsa_float_round_mode_32 0
		.amdhsa_float_round_mode_16_64 0
		.amdhsa_float_denorm_mode_32 3
		.amdhsa_float_denorm_mode_16_64 3
		.amdhsa_dx10_clamp 1
		.amdhsa_ieee_mode 1
		.amdhsa_fp16_overflow 0
		.amdhsa_workgroup_processor_mode 1
		.amdhsa_memory_ordered 1
		.amdhsa_forward_progress 0
		.amdhsa_shared_vgpr_count 0
		.amdhsa_exception_fp_ieee_invalid_op 0
		.amdhsa_exception_fp_denorm_src 0
		.amdhsa_exception_fp_ieee_div_zero 0
		.amdhsa_exception_fp_ieee_overflow 0
		.amdhsa_exception_fp_ieee_underflow 0
		.amdhsa_exception_fp_ieee_inexact 0
		.amdhsa_exception_int_div_zero 0
	.end_amdhsa_kernel
	.section	.text._ZN2at6native12_GLOBAL__N_125multi_tensor_apply_kernelINS1_18TensorListMetadataILi2EEENS1_14UnaryOpFunctorIN3c104HalfELi2ELi1ELi1EEEJNS0_5TruncIfEEEEEvT_T0_DpT1_,"axG",@progbits,_ZN2at6native12_GLOBAL__N_125multi_tensor_apply_kernelINS1_18TensorListMetadataILi2EEENS1_14UnaryOpFunctorIN3c104HalfELi2ELi1ELi1EEEJNS0_5TruncIfEEEEEvT_T0_DpT1_,comdat
.Lfunc_end268:
	.size	_ZN2at6native12_GLOBAL__N_125multi_tensor_apply_kernelINS1_18TensorListMetadataILi2EEENS1_14UnaryOpFunctorIN3c104HalfELi2ELi1ELi1EEEJNS0_5TruncIfEEEEEvT_T0_DpT1_, .Lfunc_end268-_ZN2at6native12_GLOBAL__N_125multi_tensor_apply_kernelINS1_18TensorListMetadataILi2EEENS1_14UnaryOpFunctorIN3c104HalfELi2ELi1ELi1EEEJNS0_5TruncIfEEEEEvT_T0_DpT1_
                                        ; -- End function
	.section	.AMDGPU.csdata,"",@progbits
; Kernel info:
; codeLenInByte = 1568
; NumSgprs: 24
; NumVgprs: 29
; ScratchSize: 0
; MemoryBound: 0
; FloatMode: 240
; IeeeMode: 1
; LDSByteSize: 0 bytes/workgroup (compile time only)
; SGPRBlocks: 2
; VGPRBlocks: 3
; NumSGPRsForWavesPerEU: 24
; NumVGPRsForWavesPerEU: 29
; Occupancy: 16
; WaveLimiterHint : 0
; COMPUTE_PGM_RSRC2:SCRATCH_EN: 0
; COMPUTE_PGM_RSRC2:USER_SGPR: 15
; COMPUTE_PGM_RSRC2:TRAP_HANDLER: 0
; COMPUTE_PGM_RSRC2:TGID_X_EN: 1
; COMPUTE_PGM_RSRC2:TGID_Y_EN: 0
; COMPUTE_PGM_RSRC2:TGID_Z_EN: 0
; COMPUTE_PGM_RSRC2:TIDIG_COMP_CNT: 0
	.section	.text._ZN2at6native12_GLOBAL__N_125multi_tensor_apply_kernelINS1_18TensorListMetadataILi2EEENS1_14UnaryOpFunctorIN3c108BFloat16ELi2ELi1ELi1EEEJNS0_5TruncIfEEEEEvT_T0_DpT1_,"axG",@progbits,_ZN2at6native12_GLOBAL__N_125multi_tensor_apply_kernelINS1_18TensorListMetadataILi2EEENS1_14UnaryOpFunctorIN3c108BFloat16ELi2ELi1ELi1EEEJNS0_5TruncIfEEEEEvT_T0_DpT1_,comdat
	.globl	_ZN2at6native12_GLOBAL__N_125multi_tensor_apply_kernelINS1_18TensorListMetadataILi2EEENS1_14UnaryOpFunctorIN3c108BFloat16ELi2ELi1ELi1EEEJNS0_5TruncIfEEEEEvT_T0_DpT1_ ; -- Begin function _ZN2at6native12_GLOBAL__N_125multi_tensor_apply_kernelINS1_18TensorListMetadataILi2EEENS1_14UnaryOpFunctorIN3c108BFloat16ELi2ELi1ELi1EEEJNS0_5TruncIfEEEEEvT_T0_DpT1_
	.p2align	8
	.type	_ZN2at6native12_GLOBAL__N_125multi_tensor_apply_kernelINS1_18TensorListMetadataILi2EEENS1_14UnaryOpFunctorIN3c108BFloat16ELi2ELi1ELi1EEEJNS0_5TruncIfEEEEEvT_T0_DpT1_,@function
_ZN2at6native12_GLOBAL__N_125multi_tensor_apply_kernelINS1_18TensorListMetadataILi2EEENS1_14UnaryOpFunctorIN3c108BFloat16ELi2ELi1ELi1EEEJNS0_5TruncIfEEEEEvT_T0_DpT1_: ; @_ZN2at6native12_GLOBAL__N_125multi_tensor_apply_kernelINS1_18TensorListMetadataILi2EEENS1_14UnaryOpFunctorIN3c108BFloat16ELi2ELi1ELi1EEEJNS0_5TruncIfEEEEEvT_T0_DpT1_
; %bb.0:
	v_mov_b32_e32 v1, s15
	s_add_u32 s2, s0, s15
	s_mul_hi_u32 s3, s15, 3
	s_mul_i32 s15, s15, 3
	s_addc_u32 s4, s1, 0
	global_load_u8 v1, v1, s[0:1] offset:1536
	s_add_u32 s2, s2, s15
	s_addc_u32 s3, s4, s3
	s_mov_b32 s9, 0
	s_load_b32 s2, s[2:3], 0x740
	s_mov_b32 s17, s9
	s_mov_b32 s15, s9
	s_waitcnt vmcnt(0)
	v_readfirstlane_b32 s5, v1
	s_delay_alu instid0(VALU_DEP_1)
	s_lshl_b32 s3, s5, 3
	s_clause 0x2
	s_load_b64 s[10:11], s[0:1], s3 offset:0x0
	s_load_b64 s[12:13], s[0:1], s3 offset:0x200
	s_load_b64 s[4:5], s[0:1], s3 offset:0x400
	s_waitcnt lgkmcnt(0)
	s_ashr_i32 s3, s2, 31
	s_delay_alu instid0(SALU_CYCLE_1) | instskip(SKIP_4) | instid1(SALU_CYCLE_1)
	s_lshl_b64 s[6:7], s[2:3], 17
	s_lshl_b64 s[2:3], s[2:3], 16
	s_and_b32 s8, s10, 7
	s_and_b32 s14, s12, 7
	;; [unrolled: 1-line block ×3, first 2 shown]
	s_or_b64 s[8:9], s[8:9], s[16:17]
	s_delay_alu instid0(SALU_CYCLE_1)
	s_or_b64 s[14:15], s[14:15], s[8:9]
	s_sub_u32 s8, s4, s2
	s_subb_u32 s9, s5, s3
	s_cmp_eq_u64 s[14:15], 0
	s_mov_b32 s2, -1
	s_cbranch_scc0 .LBB269_5
; %bb.1:
	v_dual_mov_b32 v2, 0 :: v_dual_lshlrev_b32 v1, 2, v0
	s_mov_b32 s14, exec_lo
	s_delay_alu instid0(VALU_DEP_1)
	v_cmpx_gt_i64_e64 s[8:9], v[1:2]
	s_cbranch_execz .LBB269_4
; %bb.2:
	s_load_b32 s2, s[0:1], 0xc5c
	v_lshlrev_b32_e32 v1, 3, v0
	s_mov_b32 s15, 0
	s_delay_alu instid0(VALU_DEP_1) | instskip(NEXT) | instid1(VALU_DEP_1)
	v_add_co_u32 v3, s3, s6, v1
	v_add_co_ci_u32_e64 v4, null, s7, 0, s3
	s_waitcnt lgkmcnt(0)
	s_and_b32 s2, s2, 0xffff
	s_delay_alu instid0(SALU_CYCLE_1)
	v_add_lshl_u32 v1, v0, s2, 2
	s_lshl_b32 s16, s2, 3
	s_lshl_b32 s17, s2, 2
.LBB269_3:                              ; =>This Inner Loop Header: Depth=1
	v_add_co_u32 v5, vcc_lo, s10, v3
	v_add_co_ci_u32_e32 v6, vcc_lo, s11, v4, vcc_lo
	v_add_co_u32 v7, vcc_lo, s12, v3
	v_add_co_ci_u32_e32 v8, vcc_lo, s13, v4, vcc_lo
	global_load_b64 v[5:6], v[5:6], off
	v_cmp_le_i64_e32 vcc_lo, s[8:9], v[1:2]
	v_cmp_lt_u64_e64 s2, 0xffff, v[1:2]
	v_add_co_u32 v3, s3, v3, s16
	s_delay_alu instid0(VALU_DEP_1) | instskip(SKIP_1) | instid1(VALU_DEP_4)
	v_add_co_ci_u32_e64 v4, s3, 0, v4, s3
	v_add_co_u32 v1, s3, v1, s17
	s_or_b32 s2, vcc_lo, s2
	v_add_co_ci_u32_e64 v2, s3, 0, v2, s3
	s_and_b32 s2, exec_lo, s2
	s_delay_alu instid0(SALU_CYCLE_1) | instskip(SKIP_2) | instid1(VALU_DEP_1)
	s_or_b32 s15, s2, s15
	s_waitcnt vmcnt(0)
	v_alignbit_b32 v10, v6, v5, 16
	v_and_b32_e32 v10, 0xffff0000, v10
	v_lshlrev_b32_e32 v9, 16, v5
	v_and_b32_e32 v5, 0xffff0000, v5
	s_delay_alu instid0(VALU_DEP_2) | instskip(NEXT) | instid1(VALU_DEP_2)
	v_trunc_f32_e32 v11, v9
	v_trunc_f32_e32 v12, v5
	s_delay_alu instid0(VALU_DEP_2) | instskip(NEXT) | instid1(VALU_DEP_2)
	v_dual_sub_f32 v9, v9, v11 :: v_dual_and_b32 v6, 0xffff0000, v6
	v_sub_f32_e32 v5, v5, v12
	v_trunc_f32_e32 v11, v10
	s_delay_alu instid0(VALU_DEP_3) | instskip(NEXT) | instid1(VALU_DEP_4)
	v_trunc_f32_e32 v13, v6
	v_bfe_u32 v12, v9, 16, 1
	v_cmp_o_f32_e64 s4, v9, v9
	s_delay_alu instid0(VALU_DEP_4) | instskip(SKIP_3) | instid1(VALU_DEP_4)
	v_sub_f32_e32 v10, v10, v11
	v_bfe_u32 v11, v5, 16, 1
	v_cmp_o_f32_e64 s5, v5, v5
	v_add3_u32 v12, v9, v12, 0x7fff
	v_bfe_u32 v14, v10, 16, 1
	s_delay_alu instid0(VALU_DEP_4) | instskip(SKIP_1) | instid1(VALU_DEP_4)
	v_add3_u32 v11, v5, v11, 0x7fff
	v_sub_f32_e32 v6, v6, v13
	v_lshrrev_b32_e32 v12, 16, v12
	s_delay_alu instid0(VALU_DEP_4) | instskip(NEXT) | instid1(VALU_DEP_4)
	v_add3_u32 v14, v10, v14, 0x7fff
	v_and_b32_e32 v11, 0xffff0000, v11
	s_delay_alu instid0(VALU_DEP_4) | instskip(NEXT) | instid1(VALU_DEP_3)
	v_bfe_u32 v13, v6, 16, 1
	v_lshrrev_b32_e32 v5, 16, v14
	s_delay_alu instid0(VALU_DEP_3) | instskip(NEXT) | instid1(VALU_DEP_3)
	v_cndmask_b32_e64 v9, 0x7fc00000, v11, s5
	v_add3_u32 v13, v6, v13, 0x7fff
	v_cndmask_b32_e64 v11, 0x7fc0, v12, s4
	v_cmp_o_f32_e64 s4, v6, v6
	s_delay_alu instid0(VALU_DEP_3) | instskip(NEXT) | instid1(VALU_DEP_3)
	v_and_b32_e32 v13, 0xffff0000, v13
	v_or_b32_e32 v9, v11, v9
	s_delay_alu instid0(VALU_DEP_2) | instskip(SKIP_1) | instid1(VALU_DEP_1)
	v_cndmask_b32_e64 v6, 0x7fc00000, v13, s4
	v_cmp_o_f32_e64 s4, v10, v10
	v_cndmask_b32_e64 v5, 0x7fc0, v5, s4
	s_delay_alu instid0(VALU_DEP_1)
	v_or3_b32 v6, 0, v5, v6
	v_or3_b32 v5, v9, 0, 0
	global_store_b64 v[7:8], v[5:6], off
	s_and_not1_b32 exec_lo, exec_lo, s15
	s_cbranch_execnz .LBB269_3
.LBB269_4:
	s_or_b32 exec_lo, exec_lo, s14
	s_mov_b32 s2, 0
.LBB269_5:
	s_delay_alu instid0(SALU_CYCLE_1)
	s_and_not1_b32 vcc_lo, exec_lo, s2
	s_cbranch_vccnz .LBB269_25
; %bb.6:
	v_cmp_lt_i64_e64 s2, s[8:9], 1
	s_delay_alu instid0(VALU_DEP_1)
	s_and_b32 vcc_lo, exec_lo, s2
	s_cbranch_vccnz .LBB269_25
; %bb.7:
	s_load_b32 s0, s[0:1], 0xc5c
	v_dual_mov_b32 v10, 0 :: v_dual_lshlrev_b32 v9, 1, v0
	v_cmp_gt_u64_e64 s1, 0x10000, s[8:9]
	s_delay_alu instid0(VALU_DEP_2) | instskip(NEXT) | instid1(VALU_DEP_1)
	v_add_co_u32 v1, s2, s10, v9
	v_add_co_ci_u32_e64 v2, null, s11, 0, s2
	v_add_co_u32 v3, s2, s12, v9
	s_delay_alu instid0(VALU_DEP_1)
	v_add_co_ci_u32_e64 v4, null, s13, 0, s2
	s_waitcnt lgkmcnt(0)
	s_and_b32 s0, s0, 0xffff
	s_and_b32 s1, s1, exec_lo
	v_mad_u64_u32 v[7:8], null, s0, 6, v[9:10]
	s_cselect_b32 s5, s9, 0
	s_cselect_b32 s4, s8, 0x10000
	s_mul_i32 s2, s0, 3
	s_lshl_b32 s14, s0, 2
	s_lshl_b32 s1, s0, 1
	v_add_co_u32 v14, s3, s14, v9
	v_add_co_u32 v9, s2, s2, v0
	s_delay_alu instid0(VALU_DEP_1) | instskip(SKIP_3) | instid1(VALU_DEP_3)
	v_add_co_ci_u32_e64 v10, null, 0, 0, s2
	v_add_co_u32 v13, s2, v0, s0
	v_add_co_u32 v5, vcc_lo, s10, v7
	v_add_co_ci_u32_e32 v6, vcc_lo, s11, v8, vcc_lo
	v_lshlrev_b32_e32 v21, 1, v13
	v_add_co_u32 v7, vcc_lo, s12, v7
	v_add_co_ci_u32_e64 v15, null, 0, 0, s3
	v_add_co_ci_u32_e32 v8, vcc_lo, s13, v8, vcc_lo
	v_add_co_u32 v17, s1, s1, v0
	v_add_co_u32 v11, vcc_lo, s10, v14
	v_add_co_ci_u32_e64 v18, null, 0, 0, s1
	v_add_co_u32 v19, s1, s10, v21
	v_add_co_ci_u32_e32 v12, vcc_lo, s11, v15, vcc_lo
	v_add_co_u32 v14, vcc_lo, s12, v14
	v_add_co_ci_u32_e64 v20, null, s11, 0, s1
	v_add_co_u32 v21, s1, s12, v21
	v_add_co_ci_u32_e32 v15, vcc_lo, s13, v15, vcc_lo
	v_add_co_ci_u32_e64 v16, null, 0, 0, s2
	v_add_co_ci_u32_e64 v22, null, s13, 0, s1
	s_lshl_b32 s12, s0, 3
	s_mov_b64 s[10:11], 0
	s_branch .LBB269_9
.LBB269_8:                              ;   in Loop: Header=BB269_9 Depth=1
	s_or_b32 exec_lo, exec_lo, s0
	v_add_co_u32 v1, vcc_lo, v1, s12
	v_add_co_ci_u32_e32 v2, vcc_lo, 0, v2, vcc_lo
	v_add_co_u32 v3, vcc_lo, v3, s12
	v_add_co_ci_u32_e32 v4, vcc_lo, 0, v4, vcc_lo
	;; [unrolled: 2-line block ×5, first 2 shown]
	s_add_u32 s10, s10, s14
	v_add_co_u32 v14, vcc_lo, v14, s12
	s_addc_u32 s11, s11, 0
	v_add_co_ci_u32_e32 v15, vcc_lo, 0, v15, vcc_lo
	v_cmp_ge_i64_e64 s0, s[10:11], s[8:9]
	v_cmp_lt_u64_e64 s1, 0xffff, s[10:11]
	v_add_co_u32 v19, vcc_lo, v19, s12
	v_add_co_ci_u32_e32 v20, vcc_lo, 0, v20, vcc_lo
	v_add_co_u32 v21, vcc_lo, v21, s12
	v_add_co_ci_u32_e32 v22, vcc_lo, 0, v22, vcc_lo
	s_or_b32 s0, s0, s1
	s_delay_alu instid0(SALU_CYCLE_1)
	s_and_b32 vcc_lo, exec_lo, s0
	s_cbranch_vccnz .LBB269_25
.LBB269_9:                              ; =>This Inner Loop Header: Depth=1
	s_waitcnt vmcnt(0)
	v_add_co_u32 v23, s0, v0, s10
	s_delay_alu instid0(VALU_DEP_1) | instskip(NEXT) | instid1(VALU_DEP_1)
	v_add_co_ci_u32_e64 v24, null, 0, s11, s0
	v_cmp_gt_u64_e32 vcc_lo, s[4:5], v[23:24]
	v_mov_b32_e32 v24, 0
	s_and_saveexec_b32 s1, vcc_lo
	s_cbranch_execz .LBB269_11
; %bb.10:                               ;   in Loop: Header=BB269_9 Depth=1
	v_add_co_u32 v23, s0, v1, s6
	s_delay_alu instid0(VALU_DEP_1)
	v_add_co_ci_u32_e64 v24, s0, s7, v2, s0
	global_load_u16 v24, v[23:24], off
.LBB269_11:                             ;   in Loop: Header=BB269_9 Depth=1
	s_or_b32 exec_lo, exec_lo, s1
	v_add_co_u32 v25, s0, v13, s10
	s_delay_alu instid0(VALU_DEP_1) | instskip(NEXT) | instid1(VALU_DEP_1)
	v_add_co_ci_u32_e64 v26, s0, s11, v16, s0
	v_cmp_gt_u64_e64 s0, s[4:5], v[25:26]
	v_mov_b32_e32 v25, 0
	s_delay_alu instid0(VALU_DEP_2)
	s_and_saveexec_b32 s2, s0
	s_cbranch_execz .LBB269_13
; %bb.12:                               ;   in Loop: Header=BB269_9 Depth=1
	v_add_co_u32 v25, s1, v19, s6
	s_delay_alu instid0(VALU_DEP_1)
	v_add_co_ci_u32_e64 v26, s1, s7, v20, s1
	global_load_u16 v25, v[25:26], off
.LBB269_13:                             ;   in Loop: Header=BB269_9 Depth=1
	s_or_b32 exec_lo, exec_lo, s2
	v_add_co_u32 v26, s1, v17, s10
	s_delay_alu instid0(VALU_DEP_1) | instskip(SKIP_1) | instid1(VALU_DEP_2)
	v_add_co_ci_u32_e64 v27, s1, s11, v18, s1
	v_mov_b32_e32 v23, 0
	v_cmp_gt_u64_e64 s1, s[4:5], v[26:27]
	v_mov_b32_e32 v26, 0
	s_delay_alu instid0(VALU_DEP_2)
	s_and_saveexec_b32 s3, s1
	s_cbranch_execz .LBB269_15
; %bb.14:                               ;   in Loop: Header=BB269_9 Depth=1
	v_add_co_u32 v26, s2, v11, s6
	s_delay_alu instid0(VALU_DEP_1)
	v_add_co_ci_u32_e64 v27, s2, s7, v12, s2
	global_load_u16 v26, v[26:27], off
.LBB269_15:                             ;   in Loop: Header=BB269_9 Depth=1
	s_or_b32 exec_lo, exec_lo, s3
	v_add_co_u32 v27, s2, v9, s10
	s_delay_alu instid0(VALU_DEP_1) | instskip(NEXT) | instid1(VALU_DEP_1)
	v_add_co_ci_u32_e64 v28, s2, s11, v10, s2
	v_cmp_gt_u64_e64 s2, s[4:5], v[27:28]
	s_delay_alu instid0(VALU_DEP_1)
	s_and_saveexec_b32 s13, s2
	s_cbranch_execnz .LBB269_20
; %bb.16:                               ;   in Loop: Header=BB269_9 Depth=1
	s_or_b32 exec_lo, exec_lo, s13
	s_and_saveexec_b32 s3, vcc_lo
	s_cbranch_execnz .LBB269_21
.LBB269_17:                             ;   in Loop: Header=BB269_9 Depth=1
	s_or_b32 exec_lo, exec_lo, s3
	s_and_saveexec_b32 s3, s0
	s_cbranch_execnz .LBB269_22
.LBB269_18:                             ;   in Loop: Header=BB269_9 Depth=1
	s_or_b32 exec_lo, exec_lo, s3
	s_and_saveexec_b32 s0, s1
	s_cbranch_execnz .LBB269_23
.LBB269_19:                             ;   in Loop: Header=BB269_9 Depth=1
	s_or_b32 exec_lo, exec_lo, s0
	s_and_saveexec_b32 s0, s2
	s_cbranch_execz .LBB269_8
	s_branch .LBB269_24
.LBB269_20:                             ;   in Loop: Header=BB269_9 Depth=1
	v_add_co_u32 v27, s3, v5, s6
	s_delay_alu instid0(VALU_DEP_1)
	v_add_co_ci_u32_e64 v28, s3, s7, v6, s3
	global_load_u16 v23, v[27:28], off
	s_or_b32 exec_lo, exec_lo, s13
	s_and_saveexec_b32 s3, vcc_lo
	s_cbranch_execz .LBB269_17
.LBB269_21:                             ;   in Loop: Header=BB269_9 Depth=1
	s_waitcnt vmcnt(0)
	v_lshlrev_b32_e32 v24, 16, v24
	s_delay_alu instid0(VALU_DEP_1) | instskip(NEXT) | instid1(VALU_DEP_1)
	v_trunc_f32_e32 v27, v24
	v_sub_f32_e32 v24, v24, v27
	s_delay_alu instid0(VALU_DEP_1) | instskip(SKIP_1) | instid1(VALU_DEP_2)
	v_bfe_u32 v27, v24, 16, 1
	v_cmp_o_f32_e32 vcc_lo, v24, v24
	v_add3_u32 v27, v24, v27, 0x7fff
	s_delay_alu instid0(VALU_DEP_1) | instskip(NEXT) | instid1(VALU_DEP_1)
	v_lshrrev_b32_e32 v27, 16, v27
	v_cndmask_b32_e32 v24, 0x7fc0, v27, vcc_lo
	v_add_co_u32 v27, vcc_lo, v3, s6
	v_add_co_ci_u32_e32 v28, vcc_lo, s7, v4, vcc_lo
	global_store_b16 v[27:28], v24, off
	s_or_b32 exec_lo, exec_lo, s3
	s_and_saveexec_b32 s3, s0
	s_cbranch_execz .LBB269_18
.LBB269_22:                             ;   in Loop: Header=BB269_9 Depth=1
	s_waitcnt vmcnt(0)
	v_lshlrev_b32_e32 v24, 16, v25
	s_delay_alu instid0(VALU_DEP_1) | instskip(NEXT) | instid1(VALU_DEP_1)
	v_trunc_f32_e32 v25, v24
	v_sub_f32_e32 v24, v24, v25
	s_delay_alu instid0(VALU_DEP_1) | instskip(SKIP_1) | instid1(VALU_DEP_2)
	v_bfe_u32 v25, v24, 16, 1
	v_cmp_o_f32_e32 vcc_lo, v24, v24
	v_add3_u32 v25, v24, v25, 0x7fff
	s_delay_alu instid0(VALU_DEP_1) | instskip(NEXT) | instid1(VALU_DEP_1)
	v_lshrrev_b32_e32 v25, 16, v25
	v_cndmask_b32_e32 v27, 0x7fc0, v25, vcc_lo
	v_add_co_u32 v24, vcc_lo, v21, s6
	v_add_co_ci_u32_e32 v25, vcc_lo, s7, v22, vcc_lo
	global_store_b16 v[24:25], v27, off
	s_or_b32 exec_lo, exec_lo, s3
	s_and_saveexec_b32 s0, s1
	s_cbranch_execz .LBB269_19
.LBB269_23:                             ;   in Loop: Header=BB269_9 Depth=1
	s_waitcnt vmcnt(0)
	v_lshlrev_b32_e32 v24, 16, v26
	s_delay_alu instid0(VALU_DEP_1) | instskip(NEXT) | instid1(VALU_DEP_1)
	v_trunc_f32_e32 v25, v24
	v_sub_f32_e32 v24, v24, v25
	s_delay_alu instid0(VALU_DEP_1) | instskip(SKIP_1) | instid1(VALU_DEP_2)
	v_bfe_u32 v25, v24, 16, 1
	v_cmp_o_f32_e32 vcc_lo, v24, v24
	v_add3_u32 v25, v24, v25, 0x7fff
	s_delay_alu instid0(VALU_DEP_1) | instskip(NEXT) | instid1(VALU_DEP_1)
	v_lshrrev_b32_e32 v25, 16, v25
	v_cndmask_b32_e32 v26, 0x7fc0, v25, vcc_lo
	v_add_co_u32 v24, vcc_lo, v14, s6
	v_add_co_ci_u32_e32 v25, vcc_lo, s7, v15, vcc_lo
	global_store_b16 v[24:25], v26, off
	s_or_b32 exec_lo, exec_lo, s0
	s_and_saveexec_b32 s0, s2
	s_cbranch_execz .LBB269_8
.LBB269_24:                             ;   in Loop: Header=BB269_9 Depth=1
	s_waitcnt vmcnt(0)
	v_lshlrev_b32_e32 v23, 16, v23
	s_delay_alu instid0(VALU_DEP_1) | instskip(NEXT) | instid1(VALU_DEP_1)
	v_trunc_f32_e32 v24, v23
	v_sub_f32_e32 v23, v23, v24
	s_delay_alu instid0(VALU_DEP_1) | instskip(SKIP_1) | instid1(VALU_DEP_2)
	v_bfe_u32 v24, v23, 16, 1
	v_cmp_o_f32_e32 vcc_lo, v23, v23
	v_add3_u32 v24, v23, v24, 0x7fff
	s_delay_alu instid0(VALU_DEP_1) | instskip(NEXT) | instid1(VALU_DEP_1)
	v_lshrrev_b32_e32 v24, 16, v24
	v_cndmask_b32_e32 v25, 0x7fc0, v24, vcc_lo
	v_add_co_u32 v23, vcc_lo, v7, s6
	v_add_co_ci_u32_e32 v24, vcc_lo, s7, v8, vcc_lo
	global_store_b16 v[23:24], v25, off
	s_branch .LBB269_8
.LBB269_25:
	s_nop 0
	s_sendmsg sendmsg(MSG_DEALLOC_VGPRS)
	s_endpgm
	.section	.rodata,"a",@progbits
	.p2align	6, 0x0
	.amdhsa_kernel _ZN2at6native12_GLOBAL__N_125multi_tensor_apply_kernelINS1_18TensorListMetadataILi2EEENS1_14UnaryOpFunctorIN3c108BFloat16ELi2ELi1ELi1EEEJNS0_5TruncIfEEEEEvT_T0_DpT1_
		.amdhsa_group_segment_fixed_size 0
		.amdhsa_private_segment_fixed_size 0
		.amdhsa_kernarg_size 3408
		.amdhsa_user_sgpr_count 15
		.amdhsa_user_sgpr_dispatch_ptr 0
		.amdhsa_user_sgpr_queue_ptr 0
		.amdhsa_user_sgpr_kernarg_segment_ptr 1
		.amdhsa_user_sgpr_dispatch_id 0
		.amdhsa_user_sgpr_private_segment_size 0
		.amdhsa_wavefront_size32 1
		.amdhsa_uses_dynamic_stack 0
		.amdhsa_enable_private_segment 0
		.amdhsa_system_sgpr_workgroup_id_x 1
		.amdhsa_system_sgpr_workgroup_id_y 0
		.amdhsa_system_sgpr_workgroup_id_z 0
		.amdhsa_system_sgpr_workgroup_info 0
		.amdhsa_system_vgpr_workitem_id 0
		.amdhsa_next_free_vgpr 29
		.amdhsa_next_free_sgpr 18
		.amdhsa_reserve_vcc 1
		.amdhsa_float_round_mode_32 0
		.amdhsa_float_round_mode_16_64 0
		.amdhsa_float_denorm_mode_32 3
		.amdhsa_float_denorm_mode_16_64 3
		.amdhsa_dx10_clamp 1
		.amdhsa_ieee_mode 1
		.amdhsa_fp16_overflow 0
		.amdhsa_workgroup_processor_mode 1
		.amdhsa_memory_ordered 1
		.amdhsa_forward_progress 0
		.amdhsa_shared_vgpr_count 0
		.amdhsa_exception_fp_ieee_invalid_op 0
		.amdhsa_exception_fp_denorm_src 0
		.amdhsa_exception_fp_ieee_div_zero 0
		.amdhsa_exception_fp_ieee_overflow 0
		.amdhsa_exception_fp_ieee_underflow 0
		.amdhsa_exception_fp_ieee_inexact 0
		.amdhsa_exception_int_div_zero 0
	.end_amdhsa_kernel
	.section	.text._ZN2at6native12_GLOBAL__N_125multi_tensor_apply_kernelINS1_18TensorListMetadataILi2EEENS1_14UnaryOpFunctorIN3c108BFloat16ELi2ELi1ELi1EEEJNS0_5TruncIfEEEEEvT_T0_DpT1_,"axG",@progbits,_ZN2at6native12_GLOBAL__N_125multi_tensor_apply_kernelINS1_18TensorListMetadataILi2EEENS1_14UnaryOpFunctorIN3c108BFloat16ELi2ELi1ELi1EEEJNS0_5TruncIfEEEEEvT_T0_DpT1_,comdat
.Lfunc_end269:
	.size	_ZN2at6native12_GLOBAL__N_125multi_tensor_apply_kernelINS1_18TensorListMetadataILi2EEENS1_14UnaryOpFunctorIN3c108BFloat16ELi2ELi1ELi1EEEJNS0_5TruncIfEEEEEvT_T0_DpT1_, .Lfunc_end269-_ZN2at6native12_GLOBAL__N_125multi_tensor_apply_kernelINS1_18TensorListMetadataILi2EEENS1_14UnaryOpFunctorIN3c108BFloat16ELi2ELi1ELi1EEEJNS0_5TruncIfEEEEEvT_T0_DpT1_
                                        ; -- End function
	.section	.AMDGPU.csdata,"",@progbits
; Kernel info:
; codeLenInByte = 1908
; NumSgprs: 20
; NumVgprs: 29
; ScratchSize: 0
; MemoryBound: 0
; FloatMode: 240
; IeeeMode: 1
; LDSByteSize: 0 bytes/workgroup (compile time only)
; SGPRBlocks: 2
; VGPRBlocks: 3
; NumSGPRsForWavesPerEU: 20
; NumVGPRsForWavesPerEU: 29
; Occupancy: 16
; WaveLimiterHint : 0
; COMPUTE_PGM_RSRC2:SCRATCH_EN: 0
; COMPUTE_PGM_RSRC2:USER_SGPR: 15
; COMPUTE_PGM_RSRC2:TRAP_HANDLER: 0
; COMPUTE_PGM_RSRC2:TGID_X_EN: 1
; COMPUTE_PGM_RSRC2:TGID_Y_EN: 0
; COMPUTE_PGM_RSRC2:TGID_Z_EN: 0
; COMPUTE_PGM_RSRC2:TIDIG_COMP_CNT: 0
	.section	.text._ZN2at6native12_GLOBAL__N_125multi_tensor_apply_kernelINS1_18TensorListMetadataILi1EEENS1_14UnaryOpFunctorIdLi1ELi1ELi0EEEJNS0_5TruncIdEEEEEvT_T0_DpT1_,"axG",@progbits,_ZN2at6native12_GLOBAL__N_125multi_tensor_apply_kernelINS1_18TensorListMetadataILi1EEENS1_14UnaryOpFunctorIdLi1ELi1ELi0EEEJNS0_5TruncIdEEEEEvT_T0_DpT1_,comdat
	.globl	_ZN2at6native12_GLOBAL__N_125multi_tensor_apply_kernelINS1_18TensorListMetadataILi1EEENS1_14UnaryOpFunctorIdLi1ELi1ELi0EEEJNS0_5TruncIdEEEEEvT_T0_DpT1_ ; -- Begin function _ZN2at6native12_GLOBAL__N_125multi_tensor_apply_kernelINS1_18TensorListMetadataILi1EEENS1_14UnaryOpFunctorIdLi1ELi1ELi0EEEJNS0_5TruncIdEEEEEvT_T0_DpT1_
	.p2align	8
	.type	_ZN2at6native12_GLOBAL__N_125multi_tensor_apply_kernelINS1_18TensorListMetadataILi1EEENS1_14UnaryOpFunctorIdLi1ELi1ELi0EEEJNS0_5TruncIdEEEEEvT_T0_DpT1_,@function
_ZN2at6native12_GLOBAL__N_125multi_tensor_apply_kernelINS1_18TensorListMetadataILi1EEENS1_14UnaryOpFunctorIdLi1ELi1ELi0EEEJNS0_5TruncIdEEEEEvT_T0_DpT1_: ; @_ZN2at6native12_GLOBAL__N_125multi_tensor_apply_kernelINS1_18TensorListMetadataILi1EEENS1_14UnaryOpFunctorIdLi1ELi1ELi0EEEJNS0_5TruncIdEEEEEvT_T0_DpT1_
; %bb.0:
	v_mov_b32_e32 v1, s15
	s_add_u32 s2, s0, s15
	s_mul_hi_u32 s3, s15, 3
	s_mul_i32 s15, s15, 3
	s_addc_u32 s4, s1, 0
	global_load_u8 v1, v1, s[0:1] offset:1760
	s_add_u32 s2, s2, s15
	s_addc_u32 s3, s4, s3
	s_mov_b32 s13, 0
	s_load_b32 s2, s[2:3], 0x820
	s_waitcnt vmcnt(0)
	v_readfirstlane_b32 s5, v1
	s_delay_alu instid0(VALU_DEP_1)
	s_lshl_b32 s3, s5, 3
	s_clause 0x1
	s_load_b64 s[8:9], s[0:1], s3 offset:0x0
	s_load_b64 s[4:5], s[0:1], s3 offset:0x370
	s_waitcnt lgkmcnt(0)
	s_ashr_i32 s3, s2, 31
	s_delay_alu instid0(SALU_CYCLE_1)
	s_lshl_b64 s[10:11], s[2:3], 19
	s_lshl_b64 s[2:3], s[2:3], 16
	s_and_b32 s12, s8, 31
	s_sub_u32 s6, s4, s2
	s_subb_u32 s7, s5, s3
	s_and_b32 s2, s4, 3
	s_mov_b32 s3, s13
	s_delay_alu instid0(SALU_CYCLE_1) | instskip(NEXT) | instid1(SALU_CYCLE_1)
	s_or_b64 s[2:3], s[12:13], s[2:3]
	s_cmp_eq_u64 s[2:3], 0
	s_cbranch_scc1 .LBB270_21
; %bb.1:
	v_cmp_lt_i64_e64 s2, s[6:7], 1
	s_delay_alu instid0(VALU_DEP_1)
	s_and_b32 vcc_lo, exec_lo, s2
	s_cbranch_vccnz .LBB270_20
; %bb.2:
	s_load_b32 s2, s[0:1], 0xd3c
	v_cmp_gt_u64_e64 s3, 0x10000, s[6:7]
	v_lshlrev_b32_e32 v1, 3, v0
	s_waitcnt lgkmcnt(0)
	s_and_b32 s2, s2, 0xffff
	s_delay_alu instid0(VALU_DEP_2)
	s_and_b32 s3, s3, exec_lo
	v_add_co_u32 v13, s5, v0, s2
	s_cselect_b32 s13, s7, 0
	s_cselect_b32 s12, s6, 0x10000
	s_lshl_b32 s3, s2, 1
	s_lshl_b32 s16, s2, 2
	v_lshlrev_b32_e32 v3, 3, v13
	v_add_co_ci_u32_e64 v14, null, 0, 0, s5
	s_add_u32 s5, s8, s10
	v_add_co_u32 v17, s3, s3, v0
	s_mul_i32 s4, s2, 3
	s_addc_u32 s14, s9, s11
	v_add_co_ci_u32_e64 v18, null, 0, 0, s3
	v_add_co_u32 v1, s3, s5, v1
	v_add_co_u32 v15, s4, s4, v0
	v_add_co_ci_u32_e64 v2, null, s14, 0, s3
	v_add_co_u32 v3, s3, s5, v3
	v_add_co_ci_u32_e64 v16, null, 0, 0, s4
	v_add_co_ci_u32_e64 v4, null, s14, 0, s3
	s_lshl_b32 s17, s2, 5
	s_mul_i32 s18, s2, 24
	s_lshl_b32 s19, s2, 4
	s_mov_b64 s[14:15], 0
	s_branch .LBB270_4
.LBB270_3:                              ;   in Loop: Header=BB270_4 Depth=1
	s_or_b32 exec_lo, exec_lo, s2
	s_add_u32 s14, s14, s16
	s_addc_u32 s15, s15, 0
	v_add_co_u32 v1, vcc_lo, v1, s17
	v_cmp_lt_i64_e64 s2, s[14:15], s[6:7]
	v_cmp_gt_u64_e64 s3, 0x10000, s[14:15]
	v_add_co_ci_u32_e32 v2, vcc_lo, 0, v2, vcc_lo
	v_add_co_u32 v3, vcc_lo, v3, s17
	v_add_co_ci_u32_e32 v4, vcc_lo, 0, v4, vcc_lo
	s_delay_alu instid0(VALU_DEP_4) | instskip(NEXT) | instid1(SALU_CYCLE_1)
	s_and_b32 s2, s2, s3
	s_and_b32 vcc_lo, exec_lo, s2
	s_cbranch_vccz .LBB270_20
.LBB270_4:                              ; =>This Inner Loop Header: Depth=1
	s_waitcnt vmcnt(0)
	v_add_co_u32 v7, s2, v0, s14
	s_delay_alu instid0(VALU_DEP_1) | instskip(SKIP_2) | instid1(VALU_DEP_3)
	v_add_co_ci_u32_e64 v8, null, 0, s15, s2
	v_mov_b32_e32 v5, 0
	v_mov_b32_e32 v6, 0
	v_cmp_gt_u64_e32 vcc_lo, s[12:13], v[7:8]
	s_delay_alu instid0(VALU_DEP_2)
	v_dual_mov_b32 v8, v6 :: v_dual_mov_b32 v7, v5
	s_and_saveexec_b32 s2, vcc_lo
	s_cbranch_execz .LBB270_6
; %bb.5:                                ;   in Loop: Header=BB270_4 Depth=1
	global_load_b64 v[7:8], v[1:2], off
.LBB270_6:                              ;   in Loop: Header=BB270_4 Depth=1
	s_or_b32 exec_lo, exec_lo, s2
	v_add_co_u32 v9, s2, v13, s14
	s_delay_alu instid0(VALU_DEP_1) | instskip(NEXT) | instid1(VALU_DEP_1)
	v_add_co_ci_u32_e64 v10, s2, s15, v14, s2
	v_cmp_gt_u64_e64 s2, s[12:13], v[9:10]
	s_delay_alu instid0(VALU_DEP_1)
	s_and_saveexec_b32 s3, s2
	s_cbranch_execz .LBB270_8
; %bb.7:                                ;   in Loop: Header=BB270_4 Depth=1
	global_load_b64 v[5:6], v[3:4], off
.LBB270_8:                              ;   in Loop: Header=BB270_4 Depth=1
	s_or_b32 exec_lo, exec_lo, s3
	v_add_co_u32 v11, s3, v17, s14
	s_delay_alu instid0(VALU_DEP_1) | instskip(SKIP_2) | instid1(VALU_DEP_3)
	v_add_co_ci_u32_e64 v12, s3, s15, v18, s3
	v_mov_b32_e32 v9, 0
	v_mov_b32_e32 v10, 0
	v_cmp_gt_u64_e64 s3, s[12:13], v[11:12]
	s_delay_alu instid0(VALU_DEP_2) | instskip(NEXT) | instid1(VALU_DEP_2)
	v_dual_mov_b32 v12, v10 :: v_dual_mov_b32 v11, v9
	s_and_saveexec_b32 s5, s3
	s_cbranch_execz .LBB270_10
; %bb.9:                                ;   in Loop: Header=BB270_4 Depth=1
	v_add_co_u32 v11, s4, v1, s19
	s_delay_alu instid0(VALU_DEP_1)
	v_add_co_ci_u32_e64 v12, s4, 0, v2, s4
	global_load_b64 v[11:12], v[11:12], off
.LBB270_10:                             ;   in Loop: Header=BB270_4 Depth=1
	s_or_b32 exec_lo, exec_lo, s5
	v_add_co_u32 v19, s4, v15, s14
	s_delay_alu instid0(VALU_DEP_1) | instskip(NEXT) | instid1(VALU_DEP_1)
	v_add_co_ci_u32_e64 v20, s4, s15, v16, s4
	v_cmp_gt_u64_e64 s4, s[12:13], v[19:20]
	s_delay_alu instid0(VALU_DEP_1)
	s_and_saveexec_b32 s20, s4
	s_cbranch_execnz .LBB270_15
; %bb.11:                               ;   in Loop: Header=BB270_4 Depth=1
	s_or_b32 exec_lo, exec_lo, s20
	s_and_saveexec_b32 s5, vcc_lo
	s_cbranch_execnz .LBB270_16
.LBB270_12:                             ;   in Loop: Header=BB270_4 Depth=1
	s_or_b32 exec_lo, exec_lo, s5
	s_and_saveexec_b32 s5, s2
	s_cbranch_execnz .LBB270_17
.LBB270_13:                             ;   in Loop: Header=BB270_4 Depth=1
	s_or_b32 exec_lo, exec_lo, s5
	s_and_saveexec_b32 s2, s3
	s_cbranch_execnz .LBB270_18
.LBB270_14:                             ;   in Loop: Header=BB270_4 Depth=1
	s_or_b32 exec_lo, exec_lo, s2
	s_and_saveexec_b32 s2, s4
	s_cbranch_execz .LBB270_3
	s_branch .LBB270_19
.LBB270_15:                             ;   in Loop: Header=BB270_4 Depth=1
	v_add_co_u32 v9, s5, v1, s18
	s_delay_alu instid0(VALU_DEP_1)
	v_add_co_ci_u32_e64 v10, s5, 0, v2, s5
	global_load_b64 v[9:10], v[9:10], off
	s_or_b32 exec_lo, exec_lo, s20
	s_and_saveexec_b32 s5, vcc_lo
	s_cbranch_execz .LBB270_12
.LBB270_16:                             ;   in Loop: Header=BB270_4 Depth=1
	s_waitcnt vmcnt(0)
	v_trunc_f64_e32 v[19:20], v[7:8]
	s_delay_alu instid0(VALU_DEP_1)
	v_add_f64 v[7:8], v[7:8], -v[19:20]
	global_store_b64 v[1:2], v[7:8], off
	s_or_b32 exec_lo, exec_lo, s5
	s_and_saveexec_b32 s5, s2
	s_cbranch_execz .LBB270_13
.LBB270_17:                             ;   in Loop: Header=BB270_4 Depth=1
	s_waitcnt vmcnt(0)
	v_trunc_f64_e32 v[7:8], v[5:6]
	s_delay_alu instid0(VALU_DEP_1)
	v_add_f64 v[5:6], v[5:6], -v[7:8]
	global_store_b64 v[3:4], v[5:6], off
	s_or_b32 exec_lo, exec_lo, s5
	s_and_saveexec_b32 s2, s3
	s_cbranch_execz .LBB270_14
.LBB270_18:                             ;   in Loop: Header=BB270_4 Depth=1
	s_waitcnt vmcnt(0)
	v_trunc_f64_e32 v[5:6], v[11:12]
	v_add_co_u32 v7, vcc_lo, v1, s19
	v_add_co_ci_u32_e32 v8, vcc_lo, 0, v2, vcc_lo
	s_delay_alu instid0(VALU_DEP_3)
	v_add_f64 v[5:6], v[11:12], -v[5:6]
	global_store_b64 v[7:8], v[5:6], off
	s_or_b32 exec_lo, exec_lo, s2
	s_and_saveexec_b32 s2, s4
	s_cbranch_execz .LBB270_3
.LBB270_19:                             ;   in Loop: Header=BB270_4 Depth=1
	s_waitcnt vmcnt(0)
	v_trunc_f64_e32 v[5:6], v[9:10]
	v_add_co_u32 v7, vcc_lo, v1, s18
	v_add_co_ci_u32_e32 v8, vcc_lo, 0, v2, vcc_lo
	s_delay_alu instid0(VALU_DEP_3)
	v_add_f64 v[5:6], v[9:10], -v[5:6]
	global_store_b64 v[7:8], v[5:6], off
	s_branch .LBB270_3
.LBB270_20:
	s_cbranch_execz .LBB270_22
	s_branch .LBB270_25
.LBB270_21:
.LBB270_22:
	v_dual_mov_b32 v2, 0 :: v_dual_lshlrev_b32 v1, 2, v0
	s_mov_b32 s2, 0
	s_mov_b32 s3, exec_lo
	s_delay_alu instid0(VALU_DEP_1)
	v_cmpx_gt_i64_e64 s[6:7], v[1:2]
	s_cbranch_execz .LBB270_25
; %bb.23:
	s_load_b32 s0, s[0:1], 0xd3c
	v_lshlrev_b32_e32 v1, 5, v0
	s_waitcnt lgkmcnt(0)
	s_and_b32 s0, s0, 0xffff
	s_delay_alu instid0(SALU_CYCLE_1) | instskip(SKIP_3) | instid1(VALU_DEP_1)
	s_lshl_b32 s3, s0, 2
	s_add_u32 s1, s8, s10
	s_addc_u32 s4, s9, s11
	v_add_co_u32 v3, s1, s1, v1
	v_add_co_ci_u32_e64 v4, null, s4, 0, s1
	v_add_lshl_u32 v1, v0, s0, 2
	s_delay_alu instid0(VALU_DEP_3) | instskip(NEXT) | instid1(VALU_DEP_3)
	v_add_co_u32 v3, vcc_lo, v3, 16
	v_add_co_ci_u32_e32 v4, vcc_lo, 0, v4, vcc_lo
	s_lshl_b32 s4, s0, 5
	s_set_inst_prefetch_distance 0x1
	.p2align	6
.LBB270_24:                             ; =>This Inner Loop Header: Depth=1
	s_clause 0x1
	global_load_b128 v[5:8], v[3:4], off offset:-16
	global_load_b128 v[9:12], v[3:4], off
	v_cmp_le_i64_e32 vcc_lo, s[6:7], v[1:2]
	v_cmp_lt_u64_e64 s0, 0xffff, v[1:2]
	v_add_co_u32 v1, s1, v1, s3
	s_delay_alu instid0(VALU_DEP_1) | instskip(NEXT) | instid1(VALU_DEP_3)
	v_add_co_ci_u32_e64 v2, s1, 0, v2, s1
	s_or_b32 s0, vcc_lo, s0
	s_delay_alu instid0(SALU_CYCLE_1) | instskip(NEXT) | instid1(SALU_CYCLE_1)
	s_and_b32 s0, exec_lo, s0
	s_or_b32 s2, s0, s2
	s_waitcnt vmcnt(1)
	v_trunc_f64_e32 v[13:14], v[5:6]
	v_trunc_f64_e32 v[15:16], v[7:8]
	s_waitcnt vmcnt(0)
	v_trunc_f64_e32 v[17:18], v[9:10]
	v_trunc_f64_e32 v[19:20], v[11:12]
	s_delay_alu instid0(VALU_DEP_4) | instskip(NEXT) | instid1(VALU_DEP_4)
	v_add_f64 v[5:6], v[5:6], -v[13:14]
	v_add_f64 v[7:8], v[7:8], -v[15:16]
	s_delay_alu instid0(VALU_DEP_4) | instskip(NEXT) | instid1(VALU_DEP_4)
	v_add_f64 v[9:10], v[9:10], -v[17:18]
	v_add_f64 v[11:12], v[11:12], -v[19:20]
	s_clause 0x1
	global_store_b128 v[3:4], v[5:8], off offset:-16
	global_store_b128 v[3:4], v[9:12], off
	v_add_co_u32 v3, vcc_lo, v3, s4
	v_add_co_ci_u32_e32 v4, vcc_lo, 0, v4, vcc_lo
	s_and_not1_b32 exec_lo, exec_lo, s2
	s_cbranch_execnz .LBB270_24
.LBB270_25:
	s_set_inst_prefetch_distance 0x2
	s_nop 0
	s_sendmsg sendmsg(MSG_DEALLOC_VGPRS)
	s_endpgm
	.section	.rodata,"a",@progbits
	.p2align	6, 0x0
	.amdhsa_kernel _ZN2at6native12_GLOBAL__N_125multi_tensor_apply_kernelINS1_18TensorListMetadataILi1EEENS1_14UnaryOpFunctorIdLi1ELi1ELi0EEEJNS0_5TruncIdEEEEEvT_T0_DpT1_
		.amdhsa_group_segment_fixed_size 0
		.amdhsa_private_segment_fixed_size 0
		.amdhsa_kernarg_size 3632
		.amdhsa_user_sgpr_count 15
		.amdhsa_user_sgpr_dispatch_ptr 0
		.amdhsa_user_sgpr_queue_ptr 0
		.amdhsa_user_sgpr_kernarg_segment_ptr 1
		.amdhsa_user_sgpr_dispatch_id 0
		.amdhsa_user_sgpr_private_segment_size 0
		.amdhsa_wavefront_size32 1
		.amdhsa_uses_dynamic_stack 0
		.amdhsa_enable_private_segment 0
		.amdhsa_system_sgpr_workgroup_id_x 1
		.amdhsa_system_sgpr_workgroup_id_y 0
		.amdhsa_system_sgpr_workgroup_id_z 0
		.amdhsa_system_sgpr_workgroup_info 0
		.amdhsa_system_vgpr_workitem_id 0
		.amdhsa_next_free_vgpr 21
		.amdhsa_next_free_sgpr 21
		.amdhsa_reserve_vcc 1
		.amdhsa_float_round_mode_32 0
		.amdhsa_float_round_mode_16_64 0
		.amdhsa_float_denorm_mode_32 3
		.amdhsa_float_denorm_mode_16_64 3
		.amdhsa_dx10_clamp 1
		.amdhsa_ieee_mode 1
		.amdhsa_fp16_overflow 0
		.amdhsa_workgroup_processor_mode 1
		.amdhsa_memory_ordered 1
		.amdhsa_forward_progress 0
		.amdhsa_shared_vgpr_count 0
		.amdhsa_exception_fp_ieee_invalid_op 0
		.amdhsa_exception_fp_denorm_src 0
		.amdhsa_exception_fp_ieee_div_zero 0
		.amdhsa_exception_fp_ieee_overflow 0
		.amdhsa_exception_fp_ieee_underflow 0
		.amdhsa_exception_fp_ieee_inexact 0
		.amdhsa_exception_int_div_zero 0
	.end_amdhsa_kernel
	.section	.text._ZN2at6native12_GLOBAL__N_125multi_tensor_apply_kernelINS1_18TensorListMetadataILi1EEENS1_14UnaryOpFunctorIdLi1ELi1ELi0EEEJNS0_5TruncIdEEEEEvT_T0_DpT1_,"axG",@progbits,_ZN2at6native12_GLOBAL__N_125multi_tensor_apply_kernelINS1_18TensorListMetadataILi1EEENS1_14UnaryOpFunctorIdLi1ELi1ELi0EEEJNS0_5TruncIdEEEEEvT_T0_DpT1_,comdat
.Lfunc_end270:
	.size	_ZN2at6native12_GLOBAL__N_125multi_tensor_apply_kernelINS1_18TensorListMetadataILi1EEENS1_14UnaryOpFunctorIdLi1ELi1ELi0EEEJNS0_5TruncIdEEEEEvT_T0_DpT1_, .Lfunc_end270-_ZN2at6native12_GLOBAL__N_125multi_tensor_apply_kernelINS1_18TensorListMetadataILi1EEENS1_14UnaryOpFunctorIdLi1ELi1ELi0EEEJNS0_5TruncIdEEEEEvT_T0_DpT1_
                                        ; -- End function
	.section	.AMDGPU.csdata,"",@progbits
; Kernel info:
; codeLenInByte = 1248
; NumSgprs: 23
; NumVgprs: 21
; ScratchSize: 0
; MemoryBound: 0
; FloatMode: 240
; IeeeMode: 1
; LDSByteSize: 0 bytes/workgroup (compile time only)
; SGPRBlocks: 2
; VGPRBlocks: 2
; NumSGPRsForWavesPerEU: 23
; NumVGPRsForWavesPerEU: 21
; Occupancy: 16
; WaveLimiterHint : 0
; COMPUTE_PGM_RSRC2:SCRATCH_EN: 0
; COMPUTE_PGM_RSRC2:USER_SGPR: 15
; COMPUTE_PGM_RSRC2:TRAP_HANDLER: 0
; COMPUTE_PGM_RSRC2:TGID_X_EN: 1
; COMPUTE_PGM_RSRC2:TGID_Y_EN: 0
; COMPUTE_PGM_RSRC2:TGID_Z_EN: 0
; COMPUTE_PGM_RSRC2:TIDIG_COMP_CNT: 0
	.section	.text._ZN2at6native12_GLOBAL__N_125multi_tensor_apply_kernelINS1_18TensorListMetadataILi1EEENS1_14UnaryOpFunctorIfLi1ELi1ELi0EEEJNS0_5TruncIfEEEEEvT_T0_DpT1_,"axG",@progbits,_ZN2at6native12_GLOBAL__N_125multi_tensor_apply_kernelINS1_18TensorListMetadataILi1EEENS1_14UnaryOpFunctorIfLi1ELi1ELi0EEEJNS0_5TruncIfEEEEEvT_T0_DpT1_,comdat
	.globl	_ZN2at6native12_GLOBAL__N_125multi_tensor_apply_kernelINS1_18TensorListMetadataILi1EEENS1_14UnaryOpFunctorIfLi1ELi1ELi0EEEJNS0_5TruncIfEEEEEvT_T0_DpT1_ ; -- Begin function _ZN2at6native12_GLOBAL__N_125multi_tensor_apply_kernelINS1_18TensorListMetadataILi1EEENS1_14UnaryOpFunctorIfLi1ELi1ELi0EEEJNS0_5TruncIfEEEEEvT_T0_DpT1_
	.p2align	8
	.type	_ZN2at6native12_GLOBAL__N_125multi_tensor_apply_kernelINS1_18TensorListMetadataILi1EEENS1_14UnaryOpFunctorIfLi1ELi1ELi0EEEJNS0_5TruncIfEEEEEvT_T0_DpT1_,@function
_ZN2at6native12_GLOBAL__N_125multi_tensor_apply_kernelINS1_18TensorListMetadataILi1EEENS1_14UnaryOpFunctorIfLi1ELi1ELi0EEEJNS0_5TruncIfEEEEEvT_T0_DpT1_: ; @_ZN2at6native12_GLOBAL__N_125multi_tensor_apply_kernelINS1_18TensorListMetadataILi1EEENS1_14UnaryOpFunctorIfLi1ELi1ELi0EEEJNS0_5TruncIfEEEEEvT_T0_DpT1_
; %bb.0:
	v_mov_b32_e32 v1, s15
	s_add_u32 s2, s0, s15
	s_mul_hi_u32 s3, s15, 3
	s_mul_i32 s15, s15, 3
	s_addc_u32 s4, s1, 0
	global_load_u8 v1, v1, s[0:1] offset:1760
	s_add_u32 s2, s2, s15
	s_addc_u32 s3, s4, s3
	s_mov_b32 s13, 0
	s_load_b32 s2, s[2:3], 0x820
	s_waitcnt vmcnt(0)
	v_readfirstlane_b32 s5, v1
	s_delay_alu instid0(VALU_DEP_1)
	s_lshl_b32 s3, s5, 3
	s_clause 0x1
	s_load_b64 s[8:9], s[0:1], s3 offset:0x0
	s_load_b64 s[4:5], s[0:1], s3 offset:0x370
	s_waitcnt lgkmcnt(0)
	s_ashr_i32 s3, s2, 31
	s_delay_alu instid0(SALU_CYCLE_1)
	s_lshl_b64 s[10:11], s[2:3], 18
	s_lshl_b64 s[2:3], s[2:3], 16
	s_and_b32 s12, s8, 15
	s_sub_u32 s6, s4, s2
	s_subb_u32 s7, s5, s3
	s_and_b32 s2, s4, 3
	s_mov_b32 s3, s13
	s_delay_alu instid0(SALU_CYCLE_1) | instskip(NEXT) | instid1(SALU_CYCLE_1)
	s_or_b64 s[2:3], s[12:13], s[2:3]
	s_cmp_eq_u64 s[2:3], 0
	s_cbranch_scc1 .LBB271_21
; %bb.1:
	v_cmp_lt_i64_e64 s2, s[6:7], 1
	s_delay_alu instid0(VALU_DEP_1)
	s_and_b32 vcc_lo, exec_lo, s2
	s_cbranch_vccnz .LBB271_20
; %bb.2:
	s_load_b32 s2, s[0:1], 0xd3c
	v_cmp_gt_u64_e64 s3, 0x10000, s[6:7]
	v_lshlrev_b32_e32 v1, 2, v0
	s_waitcnt lgkmcnt(0)
	s_and_b32 s2, s2, 0xffff
	s_delay_alu instid0(VALU_DEP_2)
	s_and_b32 s3, s3, exec_lo
	v_add_co_u32 v5, s5, v0, s2
	s_cselect_b32 s13, s7, 0
	s_cselect_b32 s12, s6, 0x10000
	s_lshl_b32 s3, s2, 1
	s_lshl_b32 s16, s2, 2
	v_lshlrev_b32_e32 v3, 2, v5
	v_add_co_ci_u32_e64 v6, null, 0, 0, s5
	s_add_u32 s5, s8, s10
	v_add_co_u32 v9, s3, s3, v0
	s_mul_i32 s4, s2, 3
	s_addc_u32 s14, s9, s11
	v_add_co_ci_u32_e64 v10, null, 0, 0, s3
	v_add_co_u32 v1, s3, s5, v1
	v_add_co_u32 v7, s4, s4, v0
	v_add_co_ci_u32_e64 v2, null, s14, 0, s3
	v_add_co_u32 v3, s3, s5, v3
	v_add_co_ci_u32_e64 v8, null, 0, 0, s4
	v_add_co_ci_u32_e64 v4, null, s14, 0, s3
	s_lshl_b32 s17, s2, 4
	s_mul_i32 s18, s2, 12
	s_lshl_b32 s19, s2, 3
	s_mov_b64 s[14:15], 0
	s_branch .LBB271_4
.LBB271_3:                              ;   in Loop: Header=BB271_4 Depth=1
	s_or_b32 exec_lo, exec_lo, s2
	s_add_u32 s14, s14, s16
	s_addc_u32 s15, s15, 0
	v_add_co_u32 v1, vcc_lo, v1, s17
	v_cmp_lt_i64_e64 s2, s[14:15], s[6:7]
	v_cmp_gt_u64_e64 s3, 0x10000, s[14:15]
	v_add_co_ci_u32_e32 v2, vcc_lo, 0, v2, vcc_lo
	v_add_co_u32 v3, vcc_lo, v3, s17
	v_add_co_ci_u32_e32 v4, vcc_lo, 0, v4, vcc_lo
	s_delay_alu instid0(VALU_DEP_4) | instskip(NEXT) | instid1(SALU_CYCLE_1)
	s_and_b32 s2, s2, s3
	s_and_b32 vcc_lo, exec_lo, s2
	s_cbranch_vccz .LBB271_20
.LBB271_4:                              ; =>This Inner Loop Header: Depth=1
	s_waitcnt vmcnt(0)
	v_add_co_u32 v11, s2, v0, s14
	s_delay_alu instid0(VALU_DEP_1) | instskip(NEXT) | instid1(VALU_DEP_1)
	v_add_co_ci_u32_e64 v12, null, 0, s15, s2
	v_cmp_gt_u64_e32 vcc_lo, s[12:13], v[11:12]
	v_mov_b32_e32 v11, 0
	s_and_saveexec_b32 s2, vcc_lo
	s_cbranch_execz .LBB271_6
; %bb.5:                                ;   in Loop: Header=BB271_4 Depth=1
	global_load_b32 v11, v[1:2], off
.LBB271_6:                              ;   in Loop: Header=BB271_4 Depth=1
	s_or_b32 exec_lo, exec_lo, s2
	v_add_co_u32 v12, s2, v5, s14
	s_delay_alu instid0(VALU_DEP_1) | instskip(NEXT) | instid1(VALU_DEP_1)
	v_add_co_ci_u32_e64 v13, s2, s15, v6, s2
	v_cmp_gt_u64_e64 s2, s[12:13], v[12:13]
	v_mov_b32_e32 v13, 0
	s_delay_alu instid0(VALU_DEP_2)
	s_and_saveexec_b32 s3, s2
	s_cbranch_execz .LBB271_8
; %bb.7:                                ;   in Loop: Header=BB271_4 Depth=1
	global_load_b32 v13, v[3:4], off
.LBB271_8:                              ;   in Loop: Header=BB271_4 Depth=1
	s_or_b32 exec_lo, exec_lo, s3
	v_add_co_u32 v14, s3, v9, s14
	s_delay_alu instid0(VALU_DEP_1) | instskip(SKIP_1) | instid1(VALU_DEP_2)
	v_add_co_ci_u32_e64 v15, s3, s15, v10, s3
	v_mov_b32_e32 v12, 0
	v_cmp_gt_u64_e64 s3, s[12:13], v[14:15]
	v_mov_b32_e32 v14, 0
	s_delay_alu instid0(VALU_DEP_2)
	s_and_saveexec_b32 s5, s3
	s_cbranch_execz .LBB271_10
; %bb.9:                                ;   in Loop: Header=BB271_4 Depth=1
	v_add_co_u32 v14, s4, v1, s19
	s_delay_alu instid0(VALU_DEP_1)
	v_add_co_ci_u32_e64 v15, s4, 0, v2, s4
	global_load_b32 v14, v[14:15], off
.LBB271_10:                             ;   in Loop: Header=BB271_4 Depth=1
	s_or_b32 exec_lo, exec_lo, s5
	v_add_co_u32 v15, s4, v7, s14
	s_delay_alu instid0(VALU_DEP_1) | instskip(NEXT) | instid1(VALU_DEP_1)
	v_add_co_ci_u32_e64 v16, s4, s15, v8, s4
	v_cmp_gt_u64_e64 s4, s[12:13], v[15:16]
	s_delay_alu instid0(VALU_DEP_1)
	s_and_saveexec_b32 s20, s4
	s_cbranch_execnz .LBB271_15
; %bb.11:                               ;   in Loop: Header=BB271_4 Depth=1
	s_or_b32 exec_lo, exec_lo, s20
	s_and_saveexec_b32 s5, vcc_lo
	s_cbranch_execnz .LBB271_16
.LBB271_12:                             ;   in Loop: Header=BB271_4 Depth=1
	s_or_b32 exec_lo, exec_lo, s5
	s_and_saveexec_b32 s5, s2
	s_cbranch_execnz .LBB271_17
.LBB271_13:                             ;   in Loop: Header=BB271_4 Depth=1
	s_or_b32 exec_lo, exec_lo, s5
	s_and_saveexec_b32 s2, s3
	s_cbranch_execnz .LBB271_18
.LBB271_14:                             ;   in Loop: Header=BB271_4 Depth=1
	s_or_b32 exec_lo, exec_lo, s2
	s_and_saveexec_b32 s2, s4
	s_cbranch_execz .LBB271_3
	s_branch .LBB271_19
.LBB271_15:                             ;   in Loop: Header=BB271_4 Depth=1
	v_add_co_u32 v15, s5, v1, s18
	s_delay_alu instid0(VALU_DEP_1)
	v_add_co_ci_u32_e64 v16, s5, 0, v2, s5
	global_load_b32 v12, v[15:16], off
	s_or_b32 exec_lo, exec_lo, s20
	s_and_saveexec_b32 s5, vcc_lo
	s_cbranch_execz .LBB271_12
.LBB271_16:                             ;   in Loop: Header=BB271_4 Depth=1
	s_waitcnt vmcnt(0)
	v_trunc_f32_e32 v15, v11
	s_delay_alu instid0(VALU_DEP_1)
	v_sub_f32_e32 v11, v11, v15
	global_store_b32 v[1:2], v11, off
	s_or_b32 exec_lo, exec_lo, s5
	s_and_saveexec_b32 s5, s2
	s_cbranch_execz .LBB271_13
.LBB271_17:                             ;   in Loop: Header=BB271_4 Depth=1
	s_waitcnt vmcnt(0)
	v_trunc_f32_e32 v11, v13
	s_delay_alu instid0(VALU_DEP_1)
	v_sub_f32_e32 v11, v13, v11
	global_store_b32 v[3:4], v11, off
	s_or_b32 exec_lo, exec_lo, s5
	s_and_saveexec_b32 s2, s3
	s_cbranch_execz .LBB271_14
.LBB271_18:                             ;   in Loop: Header=BB271_4 Depth=1
	s_waitcnt vmcnt(0)
	v_trunc_f32_e32 v11, v14
	v_add_co_u32 v13, vcc_lo, v1, s19
	s_delay_alu instid0(VALU_DEP_2)
	v_sub_f32_e32 v11, v14, v11
	v_add_co_ci_u32_e32 v14, vcc_lo, 0, v2, vcc_lo
	global_store_b32 v[13:14], v11, off
	s_or_b32 exec_lo, exec_lo, s2
	s_and_saveexec_b32 s2, s4
	s_cbranch_execz .LBB271_3
.LBB271_19:                             ;   in Loop: Header=BB271_4 Depth=1
	s_waitcnt vmcnt(0)
	v_trunc_f32_e32 v11, v12
	s_delay_alu instid0(VALU_DEP_1)
	v_sub_f32_e32 v13, v12, v11
	v_add_co_u32 v11, vcc_lo, v1, s18
	v_add_co_ci_u32_e32 v12, vcc_lo, 0, v2, vcc_lo
	global_store_b32 v[11:12], v13, off
	s_branch .LBB271_3
.LBB271_20:
	s_cbranch_execz .LBB271_22
	s_branch .LBB271_25
.LBB271_21:
.LBB271_22:
	v_dual_mov_b32 v2, 0 :: v_dual_lshlrev_b32 v1, 2, v0
	s_mov_b32 s2, 0
	s_mov_b32 s3, exec_lo
	s_delay_alu instid0(VALU_DEP_1)
	v_cmpx_gt_i64_e64 s[6:7], v[1:2]
	s_cbranch_execz .LBB271_25
; %bb.23:
	s_load_b32 s0, s[0:1], 0xd3c
	v_lshlrev_b32_e32 v1, 4, v0
	s_waitcnt lgkmcnt(0)
	s_and_b32 s0, s0, 0xffff
	s_delay_alu instid0(SALU_CYCLE_1) | instskip(SKIP_3) | instid1(VALU_DEP_1)
	s_lshl_b32 s3, s0, 2
	s_add_u32 s1, s8, s10
	s_addc_u32 s4, s9, s11
	v_add_co_u32 v3, s1, s1, v1
	v_add_co_ci_u32_e64 v4, null, s4, 0, s1
	v_add_lshl_u32 v1, v0, s0, 2
	s_delay_alu instid0(VALU_DEP_3) | instskip(NEXT) | instid1(VALU_DEP_3)
	v_add_co_u32 v3, vcc_lo, v3, 8
	v_add_co_ci_u32_e32 v4, vcc_lo, 0, v4, vcc_lo
	s_lshl_b32 s4, s0, 4
	.p2align	6
.LBB271_24:                             ; =>This Inner Loop Header: Depth=1
	global_load_b128 v[5:8], v[3:4], off offset:-8
	v_cmp_le_i64_e32 vcc_lo, s[6:7], v[1:2]
	v_cmp_lt_u64_e64 s0, 0xffff, v[1:2]
	v_add_co_u32 v1, s1, v1, s3
	s_delay_alu instid0(VALU_DEP_1) | instskip(NEXT) | instid1(VALU_DEP_3)
	v_add_co_ci_u32_e64 v2, s1, 0, v2, s1
	s_or_b32 s0, vcc_lo, s0
	s_delay_alu instid0(SALU_CYCLE_1) | instskip(NEXT) | instid1(SALU_CYCLE_1)
	s_and_b32 s0, exec_lo, s0
	s_or_b32 s2, s0, s2
	s_waitcnt vmcnt(0)
	v_trunc_f32_e32 v0, v5
	v_trunc_f32_e32 v9, v6
	;; [unrolled: 1-line block ×4, first 2 shown]
	s_delay_alu instid0(VALU_DEP_3) | instskip(NEXT) | instid1(VALU_DEP_2)
	v_dual_sub_f32 v5, v5, v0 :: v_dual_sub_f32 v6, v6, v9
	v_dual_sub_f32 v7, v7, v10 :: v_dual_sub_f32 v8, v8, v11
	global_store_b128 v[3:4], v[5:8], off offset:-8
	v_add_co_u32 v3, vcc_lo, v3, s4
	v_add_co_ci_u32_e32 v4, vcc_lo, 0, v4, vcc_lo
	s_and_not1_b32 exec_lo, exec_lo, s2
	s_cbranch_execnz .LBB271_24
.LBB271_25:
	s_nop 0
	s_sendmsg sendmsg(MSG_DEALLOC_VGPRS)
	s_endpgm
	.section	.rodata,"a",@progbits
	.p2align	6, 0x0
	.amdhsa_kernel _ZN2at6native12_GLOBAL__N_125multi_tensor_apply_kernelINS1_18TensorListMetadataILi1EEENS1_14UnaryOpFunctorIfLi1ELi1ELi0EEEJNS0_5TruncIfEEEEEvT_T0_DpT1_
		.amdhsa_group_segment_fixed_size 0
		.amdhsa_private_segment_fixed_size 0
		.amdhsa_kernarg_size 3632
		.amdhsa_user_sgpr_count 15
		.amdhsa_user_sgpr_dispatch_ptr 0
		.amdhsa_user_sgpr_queue_ptr 0
		.amdhsa_user_sgpr_kernarg_segment_ptr 1
		.amdhsa_user_sgpr_dispatch_id 0
		.amdhsa_user_sgpr_private_segment_size 0
		.amdhsa_wavefront_size32 1
		.amdhsa_uses_dynamic_stack 0
		.amdhsa_enable_private_segment 0
		.amdhsa_system_sgpr_workgroup_id_x 1
		.amdhsa_system_sgpr_workgroup_id_y 0
		.amdhsa_system_sgpr_workgroup_id_z 0
		.amdhsa_system_sgpr_workgroup_info 0
		.amdhsa_system_vgpr_workitem_id 0
		.amdhsa_next_free_vgpr 17
		.amdhsa_next_free_sgpr 21
		.amdhsa_reserve_vcc 1
		.amdhsa_float_round_mode_32 0
		.amdhsa_float_round_mode_16_64 0
		.amdhsa_float_denorm_mode_32 3
		.amdhsa_float_denorm_mode_16_64 3
		.amdhsa_dx10_clamp 1
		.amdhsa_ieee_mode 1
		.amdhsa_fp16_overflow 0
		.amdhsa_workgroup_processor_mode 1
		.amdhsa_memory_ordered 1
		.amdhsa_forward_progress 0
		.amdhsa_shared_vgpr_count 0
		.amdhsa_exception_fp_ieee_invalid_op 0
		.amdhsa_exception_fp_denorm_src 0
		.amdhsa_exception_fp_ieee_div_zero 0
		.amdhsa_exception_fp_ieee_overflow 0
		.amdhsa_exception_fp_ieee_underflow 0
		.amdhsa_exception_fp_ieee_inexact 0
		.amdhsa_exception_int_div_zero 0
	.end_amdhsa_kernel
	.section	.text._ZN2at6native12_GLOBAL__N_125multi_tensor_apply_kernelINS1_18TensorListMetadataILi1EEENS1_14UnaryOpFunctorIfLi1ELi1ELi0EEEJNS0_5TruncIfEEEEEvT_T0_DpT1_,"axG",@progbits,_ZN2at6native12_GLOBAL__N_125multi_tensor_apply_kernelINS1_18TensorListMetadataILi1EEENS1_14UnaryOpFunctorIfLi1ELi1ELi0EEEJNS0_5TruncIfEEEEEvT_T0_DpT1_,comdat
.Lfunc_end271:
	.size	_ZN2at6native12_GLOBAL__N_125multi_tensor_apply_kernelINS1_18TensorListMetadataILi1EEENS1_14UnaryOpFunctorIfLi1ELi1ELi0EEEJNS0_5TruncIfEEEEEvT_T0_DpT1_, .Lfunc_end271-_ZN2at6native12_GLOBAL__N_125multi_tensor_apply_kernelINS1_18TensorListMetadataILi1EEENS1_14UnaryOpFunctorIfLi1ELi1ELi0EEEJNS0_5TruncIfEEEEEvT_T0_DpT1_
                                        ; -- End function
	.section	.AMDGPU.csdata,"",@progbits
; Kernel info:
; codeLenInByte = 1156
; NumSgprs: 23
; NumVgprs: 17
; ScratchSize: 0
; MemoryBound: 0
; FloatMode: 240
; IeeeMode: 1
; LDSByteSize: 0 bytes/workgroup (compile time only)
; SGPRBlocks: 2
; VGPRBlocks: 2
; NumSGPRsForWavesPerEU: 23
; NumVGPRsForWavesPerEU: 17
; Occupancy: 16
; WaveLimiterHint : 0
; COMPUTE_PGM_RSRC2:SCRATCH_EN: 0
; COMPUTE_PGM_RSRC2:USER_SGPR: 15
; COMPUTE_PGM_RSRC2:TRAP_HANDLER: 0
; COMPUTE_PGM_RSRC2:TGID_X_EN: 1
; COMPUTE_PGM_RSRC2:TGID_Y_EN: 0
; COMPUTE_PGM_RSRC2:TGID_Z_EN: 0
; COMPUTE_PGM_RSRC2:TIDIG_COMP_CNT: 0
	.section	.text._ZN2at6native12_GLOBAL__N_125multi_tensor_apply_kernelINS1_18TensorListMetadataILi1EEENS1_14UnaryOpFunctorIN3c104HalfELi1ELi1ELi0EEEJNS0_5TruncIfEEEEEvT_T0_DpT1_,"axG",@progbits,_ZN2at6native12_GLOBAL__N_125multi_tensor_apply_kernelINS1_18TensorListMetadataILi1EEENS1_14UnaryOpFunctorIN3c104HalfELi1ELi1ELi0EEEJNS0_5TruncIfEEEEEvT_T0_DpT1_,comdat
	.globl	_ZN2at6native12_GLOBAL__N_125multi_tensor_apply_kernelINS1_18TensorListMetadataILi1EEENS1_14UnaryOpFunctorIN3c104HalfELi1ELi1ELi0EEEJNS0_5TruncIfEEEEEvT_T0_DpT1_ ; -- Begin function _ZN2at6native12_GLOBAL__N_125multi_tensor_apply_kernelINS1_18TensorListMetadataILi1EEENS1_14UnaryOpFunctorIN3c104HalfELi1ELi1ELi0EEEJNS0_5TruncIfEEEEEvT_T0_DpT1_
	.p2align	8
	.type	_ZN2at6native12_GLOBAL__N_125multi_tensor_apply_kernelINS1_18TensorListMetadataILi1EEENS1_14UnaryOpFunctorIN3c104HalfELi1ELi1ELi0EEEJNS0_5TruncIfEEEEEvT_T0_DpT1_,@function
_ZN2at6native12_GLOBAL__N_125multi_tensor_apply_kernelINS1_18TensorListMetadataILi1EEENS1_14UnaryOpFunctorIN3c104HalfELi1ELi1ELi0EEEJNS0_5TruncIfEEEEEvT_T0_DpT1_: ; @_ZN2at6native12_GLOBAL__N_125multi_tensor_apply_kernelINS1_18TensorListMetadataILi1EEENS1_14UnaryOpFunctorIN3c104HalfELi1ELi1ELi0EEEJNS0_5TruncIfEEEEEvT_T0_DpT1_
; %bb.0:
	v_mov_b32_e32 v1, s15
	s_add_u32 s2, s0, s15
	s_mul_hi_u32 s3, s15, 3
	s_mul_i32 s15, s15, 3
	s_addc_u32 s4, s1, 0
	global_load_u8 v1, v1, s[0:1] offset:1760
	s_add_u32 s2, s2, s15
	s_addc_u32 s3, s4, s3
	s_mov_b32 s13, 0
	s_load_b32 s2, s[2:3], 0x820
	s_waitcnt vmcnt(0)
	v_readfirstlane_b32 s5, v1
	s_delay_alu instid0(VALU_DEP_1)
	s_lshl_b32 s3, s5, 3
	s_clause 0x1
	s_load_b64 s[8:9], s[0:1], s3 offset:0x0
	s_load_b64 s[4:5], s[0:1], s3 offset:0x370
	s_waitcnt lgkmcnt(0)
	s_ashr_i32 s3, s2, 31
	s_delay_alu instid0(SALU_CYCLE_1)
	s_lshl_b64 s[10:11], s[2:3], 17
	s_lshl_b64 s[2:3], s[2:3], 16
	s_and_b32 s12, s8, 7
	s_sub_u32 s6, s4, s2
	s_subb_u32 s7, s5, s3
	s_and_b32 s2, s4, 3
	s_mov_b32 s3, s13
	s_delay_alu instid0(SALU_CYCLE_1) | instskip(NEXT) | instid1(SALU_CYCLE_1)
	s_or_b64 s[2:3], s[12:13], s[2:3]
	s_cmp_eq_u64 s[2:3], 0
	s_cbranch_scc1 .LBB272_21
; %bb.1:
	v_cmp_lt_i64_e64 s2, s[6:7], 1
	s_delay_alu instid0(VALU_DEP_1)
	s_and_b32 vcc_lo, exec_lo, s2
	s_cbranch_vccnz .LBB272_20
; %bb.2:
	s_load_b32 s2, s[0:1], 0xd3c
	v_cmp_gt_u64_e64 s3, 0x10000, s[6:7]
	v_lshlrev_b32_e32 v1, 1, v0
	s_waitcnt lgkmcnt(0)
	s_and_b32 s2, s2, 0xffff
	s_delay_alu instid0(VALU_DEP_2)
	s_and_b32 s3, s3, exec_lo
	v_add_co_u32 v5, s5, v0, s2
	s_cselect_b32 s13, s7, 0
	s_cselect_b32 s12, s6, 0x10000
	s_lshl_b32 s3, s2, 1
	s_lshl_b32 s16, s2, 2
	v_lshlrev_b32_e32 v3, 1, v5
	v_add_co_ci_u32_e64 v6, null, 0, 0, s5
	s_add_u32 s5, s8, s10
	v_add_co_u32 v9, s3, s3, v0
	s_mul_i32 s4, s2, 3
	s_addc_u32 s14, s9, s11
	v_add_co_ci_u32_e64 v10, null, 0, 0, s3
	v_add_co_u32 v1, s3, s5, v1
	v_add_co_u32 v7, s4, s4, v0
	v_add_co_ci_u32_e64 v2, null, s14, 0, s3
	v_add_co_u32 v3, s3, s5, v3
	v_add_co_ci_u32_e64 v8, null, 0, 0, s4
	v_add_co_ci_u32_e64 v4, null, s14, 0, s3
	s_lshl_b32 s17, s2, 3
	s_mul_i32 s18, s2, 6
	s_mov_b64 s[14:15], 0
	s_branch .LBB272_4
.LBB272_3:                              ;   in Loop: Header=BB272_4 Depth=1
	s_or_b32 exec_lo, exec_lo, s2
	s_add_u32 s14, s14, s16
	s_addc_u32 s15, s15, 0
	v_add_co_u32 v1, vcc_lo, v1, s17
	v_cmp_lt_i64_e64 s2, s[14:15], s[6:7]
	v_cmp_gt_u64_e64 s3, 0x10000, s[14:15]
	v_add_co_ci_u32_e32 v2, vcc_lo, 0, v2, vcc_lo
	v_add_co_u32 v3, vcc_lo, v3, s17
	v_add_co_ci_u32_e32 v4, vcc_lo, 0, v4, vcc_lo
	s_delay_alu instid0(VALU_DEP_4) | instskip(NEXT) | instid1(SALU_CYCLE_1)
	s_and_b32 s2, s2, s3
	s_and_b32 vcc_lo, exec_lo, s2
	s_cbranch_vccz .LBB272_20
.LBB272_4:                              ; =>This Inner Loop Header: Depth=1
	s_waitcnt vmcnt(0)
	v_add_co_u32 v11, s2, v0, s14
	s_delay_alu instid0(VALU_DEP_1) | instskip(NEXT) | instid1(VALU_DEP_1)
	v_add_co_ci_u32_e64 v12, null, 0, s15, s2
	v_cmp_gt_u64_e32 vcc_lo, s[12:13], v[11:12]
	v_mov_b32_e32 v12, 0
	s_and_saveexec_b32 s2, vcc_lo
	s_cbranch_execz .LBB272_6
; %bb.5:                                ;   in Loop: Header=BB272_4 Depth=1
	global_load_u16 v12, v[1:2], off
.LBB272_6:                              ;   in Loop: Header=BB272_4 Depth=1
	s_or_b32 exec_lo, exec_lo, s2
	v_add_co_u32 v13, s2, v5, s14
	s_delay_alu instid0(VALU_DEP_1) | instskip(NEXT) | instid1(VALU_DEP_1)
	v_add_co_ci_u32_e64 v14, s2, s15, v6, s2
	v_cmp_gt_u64_e64 s2, s[12:13], v[13:14]
	v_mov_b32_e32 v13, 0
	s_delay_alu instid0(VALU_DEP_2)
	s_and_saveexec_b32 s3, s2
	s_cbranch_execz .LBB272_8
; %bb.7:                                ;   in Loop: Header=BB272_4 Depth=1
	global_load_u16 v13, v[3:4], off
.LBB272_8:                              ;   in Loop: Header=BB272_4 Depth=1
	s_or_b32 exec_lo, exec_lo, s3
	v_add_co_u32 v14, s3, v9, s14
	s_delay_alu instid0(VALU_DEP_1) | instskip(SKIP_1) | instid1(VALU_DEP_2)
	v_add_co_ci_u32_e64 v15, s3, s15, v10, s3
	v_mov_b32_e32 v11, 0
	v_cmp_gt_u64_e64 s3, s[12:13], v[14:15]
	v_mov_b32_e32 v14, 0
	s_delay_alu instid0(VALU_DEP_2)
	s_and_saveexec_b32 s5, s3
	s_cbranch_execz .LBB272_10
; %bb.9:                                ;   in Loop: Header=BB272_4 Depth=1
	v_add_co_u32 v14, s4, v1, s16
	s_delay_alu instid0(VALU_DEP_1)
	v_add_co_ci_u32_e64 v15, s4, 0, v2, s4
	global_load_u16 v14, v[14:15], off
.LBB272_10:                             ;   in Loop: Header=BB272_4 Depth=1
	s_or_b32 exec_lo, exec_lo, s5
	v_add_co_u32 v15, s4, v7, s14
	s_delay_alu instid0(VALU_DEP_1) | instskip(NEXT) | instid1(VALU_DEP_1)
	v_add_co_ci_u32_e64 v16, s4, s15, v8, s4
	v_cmp_gt_u64_e64 s4, s[12:13], v[15:16]
	s_delay_alu instid0(VALU_DEP_1)
	s_and_saveexec_b32 s19, s4
	s_cbranch_execnz .LBB272_15
; %bb.11:                               ;   in Loop: Header=BB272_4 Depth=1
	s_or_b32 exec_lo, exec_lo, s19
	s_and_saveexec_b32 s5, vcc_lo
	s_cbranch_execnz .LBB272_16
.LBB272_12:                             ;   in Loop: Header=BB272_4 Depth=1
	s_or_b32 exec_lo, exec_lo, s5
	s_and_saveexec_b32 s5, s2
	s_cbranch_execnz .LBB272_17
.LBB272_13:                             ;   in Loop: Header=BB272_4 Depth=1
	s_or_b32 exec_lo, exec_lo, s5
	s_and_saveexec_b32 s2, s3
	s_cbranch_execnz .LBB272_18
.LBB272_14:                             ;   in Loop: Header=BB272_4 Depth=1
	s_or_b32 exec_lo, exec_lo, s2
	s_and_saveexec_b32 s2, s4
	s_cbranch_execz .LBB272_3
	s_branch .LBB272_19
.LBB272_15:                             ;   in Loop: Header=BB272_4 Depth=1
	v_add_co_u32 v15, s5, v1, s18
	s_delay_alu instid0(VALU_DEP_1)
	v_add_co_ci_u32_e64 v16, s5, 0, v2, s5
	global_load_u16 v11, v[15:16], off
	s_or_b32 exec_lo, exec_lo, s19
	s_and_saveexec_b32 s5, vcc_lo
	s_cbranch_execz .LBB272_12
.LBB272_16:                             ;   in Loop: Header=BB272_4 Depth=1
	s_waitcnt vmcnt(0)
	v_cvt_f32_f16_e32 v12, v12
	s_delay_alu instid0(VALU_DEP_1) | instskip(NEXT) | instid1(VALU_DEP_1)
	v_trunc_f32_e32 v15, v12
	v_sub_f32_e32 v12, v12, v15
	s_delay_alu instid0(VALU_DEP_1)
	v_cvt_f16_f32_e32 v12, v12
	global_store_b16 v[1:2], v12, off
	s_or_b32 exec_lo, exec_lo, s5
	s_and_saveexec_b32 s5, s2
	s_cbranch_execz .LBB272_13
.LBB272_17:                             ;   in Loop: Header=BB272_4 Depth=1
	s_waitcnt vmcnt(0)
	v_cvt_f32_f16_e32 v12, v13
	s_delay_alu instid0(VALU_DEP_1) | instskip(NEXT) | instid1(VALU_DEP_1)
	v_trunc_f32_e32 v13, v12
	v_sub_f32_e32 v12, v12, v13
	s_delay_alu instid0(VALU_DEP_1)
	v_cvt_f16_f32_e32 v12, v12
	global_store_b16 v[3:4], v12, off
	s_or_b32 exec_lo, exec_lo, s5
	s_and_saveexec_b32 s2, s3
	s_cbranch_execz .LBB272_14
.LBB272_18:                             ;   in Loop: Header=BB272_4 Depth=1
	s_waitcnt vmcnt(0)
	v_cvt_f32_f16_e32 v12, v14
	s_delay_alu instid0(VALU_DEP_1) | instskip(NEXT) | instid1(VALU_DEP_1)
	v_trunc_f32_e32 v13, v12
	v_sub_f32_e32 v12, v12, v13
	s_delay_alu instid0(VALU_DEP_1)
	v_cvt_f16_f32_e32 v14, v12
	v_add_co_u32 v12, vcc_lo, v1, s16
	v_add_co_ci_u32_e32 v13, vcc_lo, 0, v2, vcc_lo
	global_store_b16 v[12:13], v14, off
	s_or_b32 exec_lo, exec_lo, s2
	s_and_saveexec_b32 s2, s4
	s_cbranch_execz .LBB272_3
.LBB272_19:                             ;   in Loop: Header=BB272_4 Depth=1
	s_waitcnt vmcnt(0)
	v_cvt_f32_f16_e32 v11, v11
	s_delay_alu instid0(VALU_DEP_1) | instskip(NEXT) | instid1(VALU_DEP_1)
	v_trunc_f32_e32 v12, v11
	v_sub_f32_e32 v11, v11, v12
	s_delay_alu instid0(VALU_DEP_1)
	v_cvt_f16_f32_e32 v13, v11
	v_add_co_u32 v11, vcc_lo, v1, s18
	v_add_co_ci_u32_e32 v12, vcc_lo, 0, v2, vcc_lo
	global_store_b16 v[11:12], v13, off
	s_branch .LBB272_3
.LBB272_20:
	s_cbranch_execz .LBB272_22
	s_branch .LBB272_25
.LBB272_21:
.LBB272_22:
	v_dual_mov_b32 v2, 0 :: v_dual_lshlrev_b32 v1, 2, v0
	s_mov_b32 s2, 0
	s_mov_b32 s3, exec_lo
	s_delay_alu instid0(VALU_DEP_1)
	v_cmpx_gt_i64_e64 s[6:7], v[1:2]
	s_cbranch_execz .LBB272_25
; %bb.23:
	s_load_b32 s0, s[0:1], 0xd3c
	v_lshlrev_b32_e32 v1, 3, v0
	s_waitcnt lgkmcnt(0)
	s_and_b32 s0, s0, 0xffff
	s_delay_alu instid0(SALU_CYCLE_1) | instskip(SKIP_3) | instid1(VALU_DEP_1)
	s_lshl_b32 s3, s0, 2
	s_add_u32 s1, s8, s10
	s_addc_u32 s4, s9, s11
	v_add_co_u32 v3, s1, s1, v1
	v_add_co_ci_u32_e64 v4, null, s4, 0, s1
	v_add_lshl_u32 v1, v0, s0, 2
	s_delay_alu instid0(VALU_DEP_3) | instskip(NEXT) | instid1(VALU_DEP_3)
	v_add_co_u32 v3, vcc_lo, v3, 4
	v_add_co_ci_u32_e32 v4, vcc_lo, 0, v4, vcc_lo
	s_lshl_b32 s4, s0, 3
	s_set_inst_prefetch_distance 0x1
	.p2align	6
.LBB272_24:                             ; =>This Inner Loop Header: Depth=1
	global_load_b64 v[5:6], v[3:4], off offset:-4
	v_cmp_le_i64_e32 vcc_lo, s[6:7], v[1:2]
	v_cmp_lt_u64_e64 s0, 0xffff, v[1:2]
	v_add_co_u32 v1, s1, v1, s3
	s_delay_alu instid0(VALU_DEP_1) | instskip(NEXT) | instid1(VALU_DEP_3)
	v_add_co_ci_u32_e64 v2, s1, 0, v2, s1
	s_or_b32 s0, vcc_lo, s0
	s_delay_alu instid0(SALU_CYCLE_1) | instskip(NEXT) | instid1(SALU_CYCLE_1)
	s_and_b32 s0, exec_lo, s0
	s_or_b32 s2, s0, s2
	s_waitcnt vmcnt(0)
	v_lshrrev_b32_e32 v0, 16, v6
	v_lshrrev_b32_e32 v7, 16, v5
	v_cvt_f32_f16_e32 v5, v5
	v_cvt_f32_f16_e32 v6, v6
	s_delay_alu instid0(VALU_DEP_4) | instskip(NEXT) | instid1(VALU_DEP_4)
	v_cvt_f32_f16_e32 v0, v0
	v_cvt_f32_f16_e32 v7, v7
	s_delay_alu instid0(VALU_DEP_4) | instskip(NEXT) | instid1(VALU_DEP_4)
	v_trunc_f32_e32 v8, v5
	v_trunc_f32_e32 v9, v6
	s_delay_alu instid0(VALU_DEP_4) | instskip(NEXT) | instid1(VALU_DEP_4)
	v_trunc_f32_e32 v10, v0
	v_trunc_f32_e32 v11, v7
	s_delay_alu instid0(VALU_DEP_3) | instskip(NEXT) | instid1(VALU_DEP_2)
	v_dual_sub_f32 v5, v5, v8 :: v_dual_sub_f32 v6, v6, v9
	v_dual_sub_f32 v0, v0, v10 :: v_dual_sub_f32 v7, v7, v11
	s_delay_alu instid0(VALU_DEP_2) | instskip(NEXT) | instid1(VALU_DEP_3)
	v_cvt_f16_f32_e32 v5, v5
	v_cvt_f16_f32_e32 v6, v6
	s_delay_alu instid0(VALU_DEP_3) | instskip(NEXT) | instid1(VALU_DEP_4)
	v_cvt_f16_f32_e32 v0, v0
	v_cvt_f16_f32_e32 v7, v7
	s_delay_alu instid0(VALU_DEP_2) | instskip(NEXT) | instid1(VALU_DEP_2)
	v_pack_b32_f16 v6, v6, v0
	v_pack_b32_f16 v5, v5, v7
	global_store_b64 v[3:4], v[5:6], off offset:-4
	v_add_co_u32 v3, vcc_lo, v3, s4
	v_add_co_ci_u32_e32 v4, vcc_lo, 0, v4, vcc_lo
	s_and_not1_b32 exec_lo, exec_lo, s2
	s_cbranch_execnz .LBB272_24
.LBB272_25:
	s_set_inst_prefetch_distance 0x2
	s_nop 0
	s_sendmsg sendmsg(MSG_DEALLOC_VGPRS)
	s_endpgm
	.section	.rodata,"a",@progbits
	.p2align	6, 0x0
	.amdhsa_kernel _ZN2at6native12_GLOBAL__N_125multi_tensor_apply_kernelINS1_18TensorListMetadataILi1EEENS1_14UnaryOpFunctorIN3c104HalfELi1ELi1ELi0EEEJNS0_5TruncIfEEEEEvT_T0_DpT1_
		.amdhsa_group_segment_fixed_size 0
		.amdhsa_private_segment_fixed_size 0
		.amdhsa_kernarg_size 3632
		.amdhsa_user_sgpr_count 15
		.amdhsa_user_sgpr_dispatch_ptr 0
		.amdhsa_user_sgpr_queue_ptr 0
		.amdhsa_user_sgpr_kernarg_segment_ptr 1
		.amdhsa_user_sgpr_dispatch_id 0
		.amdhsa_user_sgpr_private_segment_size 0
		.amdhsa_wavefront_size32 1
		.amdhsa_uses_dynamic_stack 0
		.amdhsa_enable_private_segment 0
		.amdhsa_system_sgpr_workgroup_id_x 1
		.amdhsa_system_sgpr_workgroup_id_y 0
		.amdhsa_system_sgpr_workgroup_id_z 0
		.amdhsa_system_sgpr_workgroup_info 0
		.amdhsa_system_vgpr_workitem_id 0
		.amdhsa_next_free_vgpr 17
		.amdhsa_next_free_sgpr 20
		.amdhsa_reserve_vcc 1
		.amdhsa_float_round_mode_32 0
		.amdhsa_float_round_mode_16_64 0
		.amdhsa_float_denorm_mode_32 3
		.amdhsa_float_denorm_mode_16_64 3
		.amdhsa_dx10_clamp 1
		.amdhsa_ieee_mode 1
		.amdhsa_fp16_overflow 0
		.amdhsa_workgroup_processor_mode 1
		.amdhsa_memory_ordered 1
		.amdhsa_forward_progress 0
		.amdhsa_shared_vgpr_count 0
		.amdhsa_exception_fp_ieee_invalid_op 0
		.amdhsa_exception_fp_denorm_src 0
		.amdhsa_exception_fp_ieee_div_zero 0
		.amdhsa_exception_fp_ieee_overflow 0
		.amdhsa_exception_fp_ieee_underflow 0
		.amdhsa_exception_fp_ieee_inexact 0
		.amdhsa_exception_int_div_zero 0
	.end_amdhsa_kernel
	.section	.text._ZN2at6native12_GLOBAL__N_125multi_tensor_apply_kernelINS1_18TensorListMetadataILi1EEENS1_14UnaryOpFunctorIN3c104HalfELi1ELi1ELi0EEEJNS0_5TruncIfEEEEEvT_T0_DpT1_,"axG",@progbits,_ZN2at6native12_GLOBAL__N_125multi_tensor_apply_kernelINS1_18TensorListMetadataILi1EEENS1_14UnaryOpFunctorIN3c104HalfELi1ELi1ELi0EEEJNS0_5TruncIfEEEEEvT_T0_DpT1_,comdat
.Lfunc_end272:
	.size	_ZN2at6native12_GLOBAL__N_125multi_tensor_apply_kernelINS1_18TensorListMetadataILi1EEENS1_14UnaryOpFunctorIN3c104HalfELi1ELi1ELi0EEEJNS0_5TruncIfEEEEEvT_T0_DpT1_, .Lfunc_end272-_ZN2at6native12_GLOBAL__N_125multi_tensor_apply_kernelINS1_18TensorListMetadataILi1EEENS1_14UnaryOpFunctorIN3c104HalfELi1ELi1ELi0EEEJNS0_5TruncIfEEEEEvT_T0_DpT1_
                                        ; -- End function
	.section	.AMDGPU.csdata,"",@progbits
; Kernel info:
; codeLenInByte = 1288
; NumSgprs: 22
; NumVgprs: 17
; ScratchSize: 0
; MemoryBound: 0
; FloatMode: 240
; IeeeMode: 1
; LDSByteSize: 0 bytes/workgroup (compile time only)
; SGPRBlocks: 2
; VGPRBlocks: 2
; NumSGPRsForWavesPerEU: 22
; NumVGPRsForWavesPerEU: 17
; Occupancy: 16
; WaveLimiterHint : 0
; COMPUTE_PGM_RSRC2:SCRATCH_EN: 0
; COMPUTE_PGM_RSRC2:USER_SGPR: 15
; COMPUTE_PGM_RSRC2:TRAP_HANDLER: 0
; COMPUTE_PGM_RSRC2:TGID_X_EN: 1
; COMPUTE_PGM_RSRC2:TGID_Y_EN: 0
; COMPUTE_PGM_RSRC2:TGID_Z_EN: 0
; COMPUTE_PGM_RSRC2:TIDIG_COMP_CNT: 0
	.section	.text._ZN2at6native12_GLOBAL__N_125multi_tensor_apply_kernelINS1_18TensorListMetadataILi1EEENS1_14UnaryOpFunctorIN3c108BFloat16ELi1ELi1ELi0EEEJNS0_5TruncIfEEEEEvT_T0_DpT1_,"axG",@progbits,_ZN2at6native12_GLOBAL__N_125multi_tensor_apply_kernelINS1_18TensorListMetadataILi1EEENS1_14UnaryOpFunctorIN3c108BFloat16ELi1ELi1ELi0EEEJNS0_5TruncIfEEEEEvT_T0_DpT1_,comdat
	.globl	_ZN2at6native12_GLOBAL__N_125multi_tensor_apply_kernelINS1_18TensorListMetadataILi1EEENS1_14UnaryOpFunctorIN3c108BFloat16ELi1ELi1ELi0EEEJNS0_5TruncIfEEEEEvT_T0_DpT1_ ; -- Begin function _ZN2at6native12_GLOBAL__N_125multi_tensor_apply_kernelINS1_18TensorListMetadataILi1EEENS1_14UnaryOpFunctorIN3c108BFloat16ELi1ELi1ELi0EEEJNS0_5TruncIfEEEEEvT_T0_DpT1_
	.p2align	8
	.type	_ZN2at6native12_GLOBAL__N_125multi_tensor_apply_kernelINS1_18TensorListMetadataILi1EEENS1_14UnaryOpFunctorIN3c108BFloat16ELi1ELi1ELi0EEEJNS0_5TruncIfEEEEEvT_T0_DpT1_,@function
_ZN2at6native12_GLOBAL__N_125multi_tensor_apply_kernelINS1_18TensorListMetadataILi1EEENS1_14UnaryOpFunctorIN3c108BFloat16ELi1ELi1ELi0EEEJNS0_5TruncIfEEEEEvT_T0_DpT1_: ; @_ZN2at6native12_GLOBAL__N_125multi_tensor_apply_kernelINS1_18TensorListMetadataILi1EEENS1_14UnaryOpFunctorIN3c108BFloat16ELi1ELi1ELi0EEEJNS0_5TruncIfEEEEEvT_T0_DpT1_
; %bb.0:
	v_mov_b32_e32 v1, s15
	s_add_u32 s2, s0, s15
	s_mul_hi_u32 s3, s15, 3
	s_mul_i32 s15, s15, 3
	s_addc_u32 s4, s1, 0
	global_load_u8 v1, v1, s[0:1] offset:1760
	s_add_u32 s2, s2, s15
	s_addc_u32 s3, s4, s3
	s_mov_b32 s13, 0
	s_load_b32 s2, s[2:3], 0x820
	s_waitcnt vmcnt(0)
	v_readfirstlane_b32 s5, v1
	s_delay_alu instid0(VALU_DEP_1)
	s_lshl_b32 s3, s5, 3
	s_clause 0x1
	s_load_b64 s[8:9], s[0:1], s3 offset:0x0
	s_load_b64 s[4:5], s[0:1], s3 offset:0x370
	s_waitcnt lgkmcnt(0)
	s_ashr_i32 s3, s2, 31
	s_delay_alu instid0(SALU_CYCLE_1)
	s_lshl_b64 s[10:11], s[2:3], 17
	s_lshl_b64 s[2:3], s[2:3], 16
	s_and_b32 s12, s8, 7
	s_sub_u32 s6, s4, s2
	s_subb_u32 s7, s5, s3
	s_and_b32 s2, s4, 3
	s_mov_b32 s3, s13
	s_delay_alu instid0(SALU_CYCLE_1) | instskip(NEXT) | instid1(SALU_CYCLE_1)
	s_or_b64 s[2:3], s[12:13], s[2:3]
	s_cmp_eq_u64 s[2:3], 0
	s_cbranch_scc1 .LBB273_21
; %bb.1:
	v_cmp_lt_i64_e64 s2, s[6:7], 1
	s_delay_alu instid0(VALU_DEP_1)
	s_and_b32 vcc_lo, exec_lo, s2
	s_cbranch_vccnz .LBB273_20
; %bb.2:
	s_load_b32 s2, s[0:1], 0xd3c
	v_cmp_gt_u64_e64 s3, 0x10000, s[6:7]
	v_lshlrev_b32_e32 v1, 1, v0
	s_waitcnt lgkmcnt(0)
	s_and_b32 s2, s2, 0xffff
	s_delay_alu instid0(VALU_DEP_2)
	s_and_b32 s3, s3, exec_lo
	v_add_co_u32 v5, s5, v0, s2
	s_cselect_b32 s13, s7, 0
	s_cselect_b32 s12, s6, 0x10000
	s_lshl_b32 s3, s2, 1
	s_lshl_b32 s16, s2, 2
	v_lshlrev_b32_e32 v3, 1, v5
	v_add_co_ci_u32_e64 v6, null, 0, 0, s5
	s_add_u32 s5, s8, s10
	v_add_co_u32 v9, s3, s3, v0
	s_mul_i32 s4, s2, 3
	s_addc_u32 s14, s9, s11
	v_add_co_ci_u32_e64 v10, null, 0, 0, s3
	v_add_co_u32 v1, s3, s5, v1
	v_add_co_u32 v7, s4, s4, v0
	v_add_co_ci_u32_e64 v2, null, s14, 0, s3
	v_add_co_u32 v3, s3, s5, v3
	v_add_co_ci_u32_e64 v8, null, 0, 0, s4
	v_add_co_ci_u32_e64 v4, null, s14, 0, s3
	s_lshl_b32 s17, s2, 3
	s_mul_i32 s18, s2, 6
	s_mov_b64 s[14:15], 0
	s_branch .LBB273_4
.LBB273_3:                              ;   in Loop: Header=BB273_4 Depth=1
	s_or_b32 exec_lo, exec_lo, s2
	s_add_u32 s14, s14, s16
	s_addc_u32 s15, s15, 0
	v_add_co_u32 v1, vcc_lo, v1, s17
	v_cmp_lt_i64_e64 s2, s[14:15], s[6:7]
	v_cmp_gt_u64_e64 s3, 0x10000, s[14:15]
	v_add_co_ci_u32_e32 v2, vcc_lo, 0, v2, vcc_lo
	v_add_co_u32 v3, vcc_lo, v3, s17
	v_add_co_ci_u32_e32 v4, vcc_lo, 0, v4, vcc_lo
	s_delay_alu instid0(VALU_DEP_4) | instskip(NEXT) | instid1(SALU_CYCLE_1)
	s_and_b32 s2, s2, s3
	s_and_b32 vcc_lo, exec_lo, s2
	s_cbranch_vccz .LBB273_20
.LBB273_4:                              ; =>This Inner Loop Header: Depth=1
	s_waitcnt vmcnt(0)
	v_add_co_u32 v11, s2, v0, s14
	s_delay_alu instid0(VALU_DEP_1) | instskip(NEXT) | instid1(VALU_DEP_1)
	v_add_co_ci_u32_e64 v12, null, 0, s15, s2
	v_cmp_gt_u64_e32 vcc_lo, s[12:13], v[11:12]
	v_mov_b32_e32 v12, 0
	s_and_saveexec_b32 s2, vcc_lo
	s_cbranch_execz .LBB273_6
; %bb.5:                                ;   in Loop: Header=BB273_4 Depth=1
	global_load_u16 v12, v[1:2], off
.LBB273_6:                              ;   in Loop: Header=BB273_4 Depth=1
	s_or_b32 exec_lo, exec_lo, s2
	v_add_co_u32 v13, s2, v5, s14
	s_delay_alu instid0(VALU_DEP_1) | instskip(NEXT) | instid1(VALU_DEP_1)
	v_add_co_ci_u32_e64 v14, s2, s15, v6, s2
	v_cmp_gt_u64_e64 s2, s[12:13], v[13:14]
	v_mov_b32_e32 v13, 0
	s_delay_alu instid0(VALU_DEP_2)
	s_and_saveexec_b32 s3, s2
	s_cbranch_execz .LBB273_8
; %bb.7:                                ;   in Loop: Header=BB273_4 Depth=1
	global_load_u16 v13, v[3:4], off
.LBB273_8:                              ;   in Loop: Header=BB273_4 Depth=1
	s_or_b32 exec_lo, exec_lo, s3
	v_add_co_u32 v14, s3, v9, s14
	s_delay_alu instid0(VALU_DEP_1) | instskip(SKIP_1) | instid1(VALU_DEP_2)
	v_add_co_ci_u32_e64 v15, s3, s15, v10, s3
	v_mov_b32_e32 v11, 0
	v_cmp_gt_u64_e64 s3, s[12:13], v[14:15]
	v_mov_b32_e32 v14, 0
	s_delay_alu instid0(VALU_DEP_2)
	s_and_saveexec_b32 s5, s3
	s_cbranch_execz .LBB273_10
; %bb.9:                                ;   in Loop: Header=BB273_4 Depth=1
	v_add_co_u32 v14, s4, v1, s16
	s_delay_alu instid0(VALU_DEP_1)
	v_add_co_ci_u32_e64 v15, s4, 0, v2, s4
	global_load_u16 v14, v[14:15], off
.LBB273_10:                             ;   in Loop: Header=BB273_4 Depth=1
	s_or_b32 exec_lo, exec_lo, s5
	v_add_co_u32 v15, s4, v7, s14
	s_delay_alu instid0(VALU_DEP_1) | instskip(NEXT) | instid1(VALU_DEP_1)
	v_add_co_ci_u32_e64 v16, s4, s15, v8, s4
	v_cmp_gt_u64_e64 s4, s[12:13], v[15:16]
	s_delay_alu instid0(VALU_DEP_1)
	s_and_saveexec_b32 s19, s4
	s_cbranch_execnz .LBB273_15
; %bb.11:                               ;   in Loop: Header=BB273_4 Depth=1
	s_or_b32 exec_lo, exec_lo, s19
	s_and_saveexec_b32 s5, vcc_lo
	s_cbranch_execnz .LBB273_16
.LBB273_12:                             ;   in Loop: Header=BB273_4 Depth=1
	s_or_b32 exec_lo, exec_lo, s5
	s_and_saveexec_b32 s5, s2
	s_cbranch_execnz .LBB273_17
.LBB273_13:                             ;   in Loop: Header=BB273_4 Depth=1
	s_or_b32 exec_lo, exec_lo, s5
	s_and_saveexec_b32 s2, s3
	s_cbranch_execnz .LBB273_18
.LBB273_14:                             ;   in Loop: Header=BB273_4 Depth=1
	s_or_b32 exec_lo, exec_lo, s2
	s_and_saveexec_b32 s2, s4
	s_cbranch_execz .LBB273_3
	s_branch .LBB273_19
.LBB273_15:                             ;   in Loop: Header=BB273_4 Depth=1
	v_add_co_u32 v15, s5, v1, s18
	s_delay_alu instid0(VALU_DEP_1)
	v_add_co_ci_u32_e64 v16, s5, 0, v2, s5
	global_load_u16 v11, v[15:16], off
	s_or_b32 exec_lo, exec_lo, s19
	s_and_saveexec_b32 s5, vcc_lo
	s_cbranch_execz .LBB273_12
.LBB273_16:                             ;   in Loop: Header=BB273_4 Depth=1
	s_waitcnt vmcnt(0)
	v_lshlrev_b32_e32 v12, 16, v12
	s_delay_alu instid0(VALU_DEP_1) | instskip(NEXT) | instid1(VALU_DEP_1)
	v_trunc_f32_e32 v15, v12
	v_sub_f32_e32 v12, v12, v15
	s_delay_alu instid0(VALU_DEP_1) | instskip(SKIP_1) | instid1(VALU_DEP_2)
	v_bfe_u32 v15, v12, 16, 1
	v_cmp_o_f32_e32 vcc_lo, v12, v12
	v_add3_u32 v15, v12, v15, 0x7fff
	s_delay_alu instid0(VALU_DEP_1) | instskip(NEXT) | instid1(VALU_DEP_1)
	v_lshrrev_b32_e32 v15, 16, v15
	v_cndmask_b32_e32 v12, 0x7fc0, v15, vcc_lo
	global_store_b16 v[1:2], v12, off
	s_or_b32 exec_lo, exec_lo, s5
	s_and_saveexec_b32 s5, s2
	s_cbranch_execz .LBB273_13
.LBB273_17:                             ;   in Loop: Header=BB273_4 Depth=1
	s_waitcnt vmcnt(0)
	v_lshlrev_b32_e32 v12, 16, v13
	s_delay_alu instid0(VALU_DEP_1) | instskip(NEXT) | instid1(VALU_DEP_1)
	v_trunc_f32_e32 v13, v12
	v_sub_f32_e32 v12, v12, v13
	s_delay_alu instid0(VALU_DEP_1) | instskip(SKIP_1) | instid1(VALU_DEP_2)
	v_bfe_u32 v13, v12, 16, 1
	v_cmp_o_f32_e32 vcc_lo, v12, v12
	v_add3_u32 v13, v12, v13, 0x7fff
	s_delay_alu instid0(VALU_DEP_1) | instskip(NEXT) | instid1(VALU_DEP_1)
	v_lshrrev_b32_e32 v13, 16, v13
	v_cndmask_b32_e32 v12, 0x7fc0, v13, vcc_lo
	global_store_b16 v[3:4], v12, off
	s_or_b32 exec_lo, exec_lo, s5
	s_and_saveexec_b32 s2, s3
	s_cbranch_execz .LBB273_14
.LBB273_18:                             ;   in Loop: Header=BB273_4 Depth=1
	s_waitcnt vmcnt(0)
	v_lshlrev_b32_e32 v12, 16, v14
	s_delay_alu instid0(VALU_DEP_1) | instskip(NEXT) | instid1(VALU_DEP_1)
	v_trunc_f32_e32 v13, v12
	v_sub_f32_e32 v12, v12, v13
	s_delay_alu instid0(VALU_DEP_1) | instskip(SKIP_1) | instid1(VALU_DEP_2)
	v_bfe_u32 v13, v12, 16, 1
	v_cmp_o_f32_e32 vcc_lo, v12, v12
	v_add3_u32 v13, v12, v13, 0x7fff
	s_delay_alu instid0(VALU_DEP_1) | instskip(NEXT) | instid1(VALU_DEP_1)
	v_lshrrev_b32_e32 v13, 16, v13
	v_cndmask_b32_e32 v14, 0x7fc0, v13, vcc_lo
	v_add_co_u32 v12, vcc_lo, v1, s16
	v_add_co_ci_u32_e32 v13, vcc_lo, 0, v2, vcc_lo
	global_store_b16 v[12:13], v14, off
	s_or_b32 exec_lo, exec_lo, s2
	s_and_saveexec_b32 s2, s4
	s_cbranch_execz .LBB273_3
.LBB273_19:                             ;   in Loop: Header=BB273_4 Depth=1
	s_waitcnt vmcnt(0)
	v_lshlrev_b32_e32 v11, 16, v11
	s_delay_alu instid0(VALU_DEP_1) | instskip(NEXT) | instid1(VALU_DEP_1)
	v_trunc_f32_e32 v12, v11
	v_sub_f32_e32 v11, v11, v12
	s_delay_alu instid0(VALU_DEP_1) | instskip(SKIP_1) | instid1(VALU_DEP_2)
	v_bfe_u32 v12, v11, 16, 1
	v_cmp_o_f32_e32 vcc_lo, v11, v11
	v_add3_u32 v12, v11, v12, 0x7fff
	s_delay_alu instid0(VALU_DEP_1) | instskip(NEXT) | instid1(VALU_DEP_1)
	v_lshrrev_b32_e32 v12, 16, v12
	v_cndmask_b32_e32 v13, 0x7fc0, v12, vcc_lo
	v_add_co_u32 v11, vcc_lo, v1, s18
	v_add_co_ci_u32_e32 v12, vcc_lo, 0, v2, vcc_lo
	global_store_b16 v[11:12], v13, off
	s_branch .LBB273_3
.LBB273_20:
	s_cbranch_execz .LBB273_22
	s_branch .LBB273_25
.LBB273_21:
.LBB273_22:
	v_dual_mov_b32 v2, 0 :: v_dual_lshlrev_b32 v1, 2, v0
	s_mov_b32 s2, 0
	s_mov_b32 s3, exec_lo
	s_delay_alu instid0(VALU_DEP_1)
	v_cmpx_gt_i64_e64 s[6:7], v[1:2]
	s_cbranch_execz .LBB273_25
; %bb.23:
	s_load_b32 s0, s[0:1], 0xd3c
	v_lshlrev_b32_e32 v1, 3, v0
	s_waitcnt lgkmcnt(0)
	s_and_b32 s0, s0, 0xffff
	s_add_u32 s1, s8, s10
	s_addc_u32 s3, s9, s11
	v_add_co_u32 v3, s1, s1, v1
	s_delay_alu instid0(VALU_DEP_1)
	v_add_co_ci_u32_e64 v4, null, s3, 0, s1
	v_add_lshl_u32 v1, v0, s0, 2
	s_lshl_b32 s3, s0, 3
	s_lshl_b32 s4, s0, 2
.LBB273_24:                             ; =>This Inner Loop Header: Depth=1
	global_load_b64 v[5:6], v[3:4], off
	v_cmp_lt_u64_e64 s0, 0xffff, v[1:2]
	s_waitcnt vmcnt(0)
	v_alignbit_b32 v0, v6, v5, 16
	v_and_b32_e32 v6, 0xffff0000, v6
	s_delay_alu instid0(VALU_DEP_2) | instskip(NEXT) | instid1(VALU_DEP_2)
	v_and_b32_e32 v0, 0xffff0000, v0
	v_trunc_f32_e32 v10, v6
	v_and_b32_e32 v7, 0xffff0000, v5
	s_delay_alu instid0(VALU_DEP_3) | instskip(NEXT) | instid1(VALU_DEP_3)
	v_trunc_f32_e32 v11, v0
	v_dual_sub_f32 v6, v6, v10 :: v_dual_lshlrev_b32 v5, 16, v5
	s_delay_alu instid0(VALU_DEP_3) | instskip(NEXT) | instid1(VALU_DEP_3)
	v_trunc_f32_e32 v8, v7
	v_sub_f32_e32 v0, v0, v11
	s_delay_alu instid0(VALU_DEP_3) | instskip(NEXT) | instid1(VALU_DEP_4)
	v_bfe_u32 v10, v6, 16, 1
	v_trunc_f32_e32 v9, v5
	s_delay_alu instid0(VALU_DEP_4) | instskip(NEXT) | instid1(VALU_DEP_4)
	v_sub_f32_e32 v7, v7, v8
	v_bfe_u32 v11, v0, 16, 1
	s_delay_alu instid0(VALU_DEP_4) | instskip(NEXT) | instid1(VALU_DEP_4)
	v_add3_u32 v10, v6, v10, 0x7fff
	v_sub_f32_e32 v5, v5, v9
	s_delay_alu instid0(VALU_DEP_4)
	v_bfe_u32 v8, v7, 16, 1
	v_cmp_o_f32_e32 vcc_lo, v7, v7
	v_add3_u32 v11, v0, v11, 0x7fff
	v_and_b32_e32 v10, 0xffff0000, v10
	v_bfe_u32 v9, v5, 16, 1
	v_add3_u32 v8, v7, v8, 0x7fff
	s_delay_alu instid0(VALU_DEP_4) | instskip(NEXT) | instid1(VALU_DEP_3)
	v_lshrrev_b32_e32 v11, 16, v11
	v_add3_u32 v9, v5, v9, 0x7fff
	s_delay_alu instid0(VALU_DEP_3) | instskip(NEXT) | instid1(VALU_DEP_2)
	v_and_b32_e32 v8, 0xffff0000, v8
	v_lshrrev_b32_e32 v9, 16, v9
	s_delay_alu instid0(VALU_DEP_2) | instskip(SKIP_1) | instid1(VALU_DEP_3)
	v_cndmask_b32_e32 v7, 0x7fc00000, v8, vcc_lo
	v_cmp_o_f32_e32 vcc_lo, v5, v5
	v_cndmask_b32_e32 v5, 0x7fc0, v9, vcc_lo
	v_cmp_o_f32_e32 vcc_lo, v6, v6
	s_delay_alu instid0(VALU_DEP_2) | instskip(SKIP_2) | instid1(VALU_DEP_3)
	v_or_b32_e32 v5, v5, v7
	v_cndmask_b32_e32 v6, 0x7fc00000, v10, vcc_lo
	v_cmp_o_f32_e32 vcc_lo, v0, v0
	v_or3_b32 v5, v5, 0, 0
	v_cndmask_b32_e32 v0, 0x7fc0, v11, vcc_lo
	v_cmp_le_i64_e32 vcc_lo, s[6:7], v[1:2]
	v_add_co_u32 v1, s1, v1, s4
	s_delay_alu instid0(VALU_DEP_1) | instskip(NEXT) | instid1(VALU_DEP_4)
	v_add_co_ci_u32_e64 v2, s1, 0, v2, s1
	v_or3_b32 v6, 0, v0, v6
	s_or_b32 s0, vcc_lo, s0
	s_delay_alu instid0(SALU_CYCLE_1) | instskip(SKIP_4) | instid1(SALU_CYCLE_1)
	s_and_b32 s0, exec_lo, s0
	global_store_b64 v[3:4], v[5:6], off
	v_add_co_u32 v3, vcc_lo, v3, s3
	v_add_co_ci_u32_e32 v4, vcc_lo, 0, v4, vcc_lo
	s_or_b32 s2, s0, s2
	s_and_not1_b32 exec_lo, exec_lo, s2
	s_cbranch_execnz .LBB273_24
.LBB273_25:
	s_nop 0
	s_sendmsg sendmsg(MSG_DEALLOC_VGPRS)
	s_endpgm
	.section	.rodata,"a",@progbits
	.p2align	6, 0x0
	.amdhsa_kernel _ZN2at6native12_GLOBAL__N_125multi_tensor_apply_kernelINS1_18TensorListMetadataILi1EEENS1_14UnaryOpFunctorIN3c108BFloat16ELi1ELi1ELi0EEEJNS0_5TruncIfEEEEEvT_T0_DpT1_
		.amdhsa_group_segment_fixed_size 0
		.amdhsa_private_segment_fixed_size 0
		.amdhsa_kernarg_size 3632
		.amdhsa_user_sgpr_count 15
		.amdhsa_user_sgpr_dispatch_ptr 0
		.amdhsa_user_sgpr_queue_ptr 0
		.amdhsa_user_sgpr_kernarg_segment_ptr 1
		.amdhsa_user_sgpr_dispatch_id 0
		.amdhsa_user_sgpr_private_segment_size 0
		.amdhsa_wavefront_size32 1
		.amdhsa_uses_dynamic_stack 0
		.amdhsa_enable_private_segment 0
		.amdhsa_system_sgpr_workgroup_id_x 1
		.amdhsa_system_sgpr_workgroup_id_y 0
		.amdhsa_system_sgpr_workgroup_id_z 0
		.amdhsa_system_sgpr_workgroup_info 0
		.amdhsa_system_vgpr_workitem_id 0
		.amdhsa_next_free_vgpr 17
		.amdhsa_next_free_sgpr 20
		.amdhsa_reserve_vcc 1
		.amdhsa_float_round_mode_32 0
		.amdhsa_float_round_mode_16_64 0
		.amdhsa_float_denorm_mode_32 3
		.amdhsa_float_denorm_mode_16_64 3
		.amdhsa_dx10_clamp 1
		.amdhsa_ieee_mode 1
		.amdhsa_fp16_overflow 0
		.amdhsa_workgroup_processor_mode 1
		.amdhsa_memory_ordered 1
		.amdhsa_forward_progress 0
		.amdhsa_shared_vgpr_count 0
		.amdhsa_exception_fp_ieee_invalid_op 0
		.amdhsa_exception_fp_denorm_src 0
		.amdhsa_exception_fp_ieee_div_zero 0
		.amdhsa_exception_fp_ieee_overflow 0
		.amdhsa_exception_fp_ieee_underflow 0
		.amdhsa_exception_fp_ieee_inexact 0
		.amdhsa_exception_int_div_zero 0
	.end_amdhsa_kernel
	.section	.text._ZN2at6native12_GLOBAL__N_125multi_tensor_apply_kernelINS1_18TensorListMetadataILi1EEENS1_14UnaryOpFunctorIN3c108BFloat16ELi1ELi1ELi0EEEJNS0_5TruncIfEEEEEvT_T0_DpT1_,"axG",@progbits,_ZN2at6native12_GLOBAL__N_125multi_tensor_apply_kernelINS1_18TensorListMetadataILi1EEENS1_14UnaryOpFunctorIN3c108BFloat16ELi1ELi1ELi0EEEJNS0_5TruncIfEEEEEvT_T0_DpT1_,comdat
.Lfunc_end273:
	.size	_ZN2at6native12_GLOBAL__N_125multi_tensor_apply_kernelINS1_18TensorListMetadataILi1EEENS1_14UnaryOpFunctorIN3c108BFloat16ELi1ELi1ELi0EEEJNS0_5TruncIfEEEEEvT_T0_DpT1_, .Lfunc_end273-_ZN2at6native12_GLOBAL__N_125multi_tensor_apply_kernelINS1_18TensorListMetadataILi1EEENS1_14UnaryOpFunctorIN3c108BFloat16ELi1ELi1ELi0EEEJNS0_5TruncIfEEEEEvT_T0_DpT1_
                                        ; -- End function
	.section	.AMDGPU.csdata,"",@progbits
; Kernel info:
; codeLenInByte = 1576
; NumSgprs: 22
; NumVgprs: 17
; ScratchSize: 0
; MemoryBound: 0
; FloatMode: 240
; IeeeMode: 1
; LDSByteSize: 0 bytes/workgroup (compile time only)
; SGPRBlocks: 2
; VGPRBlocks: 2
; NumSGPRsForWavesPerEU: 22
; NumVGPRsForWavesPerEU: 17
; Occupancy: 16
; WaveLimiterHint : 0
; COMPUTE_PGM_RSRC2:SCRATCH_EN: 0
; COMPUTE_PGM_RSRC2:USER_SGPR: 15
; COMPUTE_PGM_RSRC2:TRAP_HANDLER: 0
; COMPUTE_PGM_RSRC2:TGID_X_EN: 1
; COMPUTE_PGM_RSRC2:TGID_Y_EN: 0
; COMPUTE_PGM_RSRC2:TGID_Z_EN: 0
; COMPUTE_PGM_RSRC2:TIDIG_COMP_CNT: 0
	.section	.text._ZN2at6native12_GLOBAL__N_125multi_tensor_apply_kernelINS1_18TensorListMetadataILi2EEENS1_14UnaryOpFunctorIdLi2ELi1ELi1EEEJNS0_10ReciprocalIdEEEEEvT_T0_DpT1_,"axG",@progbits,_ZN2at6native12_GLOBAL__N_125multi_tensor_apply_kernelINS1_18TensorListMetadataILi2EEENS1_14UnaryOpFunctorIdLi2ELi1ELi1EEEJNS0_10ReciprocalIdEEEEEvT_T0_DpT1_,comdat
	.globl	_ZN2at6native12_GLOBAL__N_125multi_tensor_apply_kernelINS1_18TensorListMetadataILi2EEENS1_14UnaryOpFunctorIdLi2ELi1ELi1EEEJNS0_10ReciprocalIdEEEEEvT_T0_DpT1_ ; -- Begin function _ZN2at6native12_GLOBAL__N_125multi_tensor_apply_kernelINS1_18TensorListMetadataILi2EEENS1_14UnaryOpFunctorIdLi2ELi1ELi1EEEJNS0_10ReciprocalIdEEEEEvT_T0_DpT1_
	.p2align	8
	.type	_ZN2at6native12_GLOBAL__N_125multi_tensor_apply_kernelINS1_18TensorListMetadataILi2EEENS1_14UnaryOpFunctorIdLi2ELi1ELi1EEEJNS0_10ReciprocalIdEEEEEvT_T0_DpT1_,@function
_ZN2at6native12_GLOBAL__N_125multi_tensor_apply_kernelINS1_18TensorListMetadataILi2EEENS1_14UnaryOpFunctorIdLi2ELi1ELi1EEEJNS0_10ReciprocalIdEEEEEvT_T0_DpT1_: ; @_ZN2at6native12_GLOBAL__N_125multi_tensor_apply_kernelINS1_18TensorListMetadataILi2EEENS1_14UnaryOpFunctorIdLi2ELi1ELi1EEEJNS0_10ReciprocalIdEEEEEvT_T0_DpT1_
; %bb.0:
	v_mov_b32_e32 v1, s15
	s_add_u32 s2, s0, s15
	s_mul_hi_u32 s3, s15, 3
	s_mul_i32 s15, s15, 3
	s_addc_u32 s4, s1, 0
	global_load_u8 v1, v1, s[0:1] offset:1536
	s_add_u32 s2, s2, s15
	s_addc_u32 s3, s4, s3
	s_mov_b32 s21, 0
	s_load_b32 s2, s[2:3], 0x740
	s_mov_b32 s23, s21
	s_mov_b32 s25, s21
	s_waitcnt vmcnt(0)
	v_readfirstlane_b32 s3, v1
	s_delay_alu instid0(VALU_DEP_1)
	s_lshl_b32 s3, s3, 3
	s_clause 0x3
	s_load_b64 s[12:13], s[0:1], s3 offset:0x0
	s_load_b64 s[14:15], s[0:1], s3 offset:0x200
	;; [unrolled: 1-line block ×3, first 2 shown]
	s_load_b64 s[6:7], s[0:1], 0xc50
	s_waitcnt lgkmcnt(0)
	s_ashr_i32 s3, s2, 31
	s_delay_alu instid0(SALU_CYCLE_1) | instskip(NEXT) | instid1(SALU_CYCLE_1)
	s_lshl_b64 s[8:9], s[2:3], 19
	s_add_u32 s5, s12, s8
	s_addc_u32 s16, s13, s9
	s_and_b32 s20, s5, 31
	s_add_u32 s17, s14, s8
	s_addc_u32 s18, s15, s9
	s_and_b32 s22, s10, 3
	s_and_b32 s24, s17, 31
	s_or_b64 s[20:21], s[20:21], s[22:23]
	s_lshl_b64 s[2:3], s[2:3], 16
	s_or_b64 s[20:21], s[24:25], s[20:21]
	s_sub_u32 s10, s10, s2
	s_subb_u32 s11, s11, s3
	s_cmp_eq_u64 s[20:21], 0
	s_mov_b32 s2, -1
	s_cbranch_scc0 .LBB274_5
; %bb.1:
	v_dual_mov_b32 v2, 0 :: v_dual_lshlrev_b32 v1, 2, v0
	s_mov_b32 s19, exec_lo
	s_delay_alu instid0(VALU_DEP_1)
	v_cmpx_gt_i64_e64 s[10:11], v[1:2]
	s_cbranch_execz .LBB274_4
; %bb.2:
	s_load_b32 s2, s[0:1], 0xc64
	v_lshlrev_b32_e32 v3, 5, v0
	s_mov_b32 s20, 0
	s_waitcnt lgkmcnt(0)
	s_and_b32 s2, s2, 0xffff
	s_delay_alu instid0(SALU_CYCLE_1)
	v_add_lshl_u32 v1, v0, s2, 2
	s_lshl_b32 s21, s2, 2
	s_lshl_b32 s22, s2, 5
.LBB274_3:                              ; =>This Inner Loop Header: Depth=1
	v_add_co_u32 v8, s2, s5, v3
	s_delay_alu instid0(VALU_DEP_1)
	v_add_co_ci_u32_e64 v9, null, s16, 0, s2
	s_clause 0x1
	global_load_b128 v[4:7], v[8:9], off
	global_load_b128 v[8:11], v[8:9], off offset:16
	s_waitcnt vmcnt(1)
	v_div_scale_f64 v[12:13], null, v[4:5], v[4:5], s[6:7]
	v_div_scale_f64 v[14:15], null, v[6:7], v[6:7], s[6:7]
	s_waitcnt vmcnt(0)
	v_div_scale_f64 v[16:17], null, v[8:9], v[8:9], s[6:7]
	v_div_scale_f64 v[18:19], null, v[10:11], v[10:11], s[6:7]
	v_div_scale_f64 v[36:37], vcc_lo, s[6:7], v[4:5], s[6:7]
	v_div_scale_f64 v[38:39], s2, s[6:7], v[6:7], s[6:7]
	v_div_scale_f64 v[40:41], s3, s[6:7], v[8:9], s[6:7]
	v_rcp_f64_e32 v[20:21], v[12:13]
	v_rcp_f64_e32 v[22:23], v[14:15]
	;; [unrolled: 1-line block ×3, first 2 shown]
	s_delay_alu instid0(VALU_DEP_4) | instskip(SKIP_1) | instid1(TRANS32_DEP_3)
	v_rcp_f64_e32 v[26:27], v[18:19]
	v_fma_f64 v[28:29], -v[12:13], v[20:21], 1.0
	v_fma_f64 v[30:31], -v[14:15], v[22:23], 1.0
	s_waitcnt_depctr 0xfff
	v_fma_f64 v[32:33], -v[16:17], v[24:25], 1.0
	v_fma_f64 v[34:35], -v[18:19], v[26:27], 1.0
	v_fma_f64 v[20:21], v[20:21], v[28:29], v[20:21]
	v_fma_f64 v[22:23], v[22:23], v[30:31], v[22:23]
	s_delay_alu instid0(VALU_DEP_4) | instskip(NEXT) | instid1(VALU_DEP_4)
	v_fma_f64 v[24:25], v[24:25], v[32:33], v[24:25]
	v_fma_f64 v[26:27], v[26:27], v[34:35], v[26:27]
	s_delay_alu instid0(VALU_DEP_4) | instskip(NEXT) | instid1(VALU_DEP_4)
	v_fma_f64 v[28:29], -v[12:13], v[20:21], 1.0
	v_fma_f64 v[30:31], -v[14:15], v[22:23], 1.0
	s_delay_alu instid0(VALU_DEP_4) | instskip(NEXT) | instid1(VALU_DEP_4)
	v_fma_f64 v[32:33], -v[16:17], v[24:25], 1.0
	v_fma_f64 v[34:35], -v[18:19], v[26:27], 1.0
	s_delay_alu instid0(VALU_DEP_4)
	v_fma_f64 v[20:21], v[20:21], v[28:29], v[20:21]
	v_div_scale_f64 v[28:29], s4, s[6:7], v[10:11], s[6:7]
	v_fma_f64 v[22:23], v[22:23], v[30:31], v[22:23]
	v_fma_f64 v[24:25], v[24:25], v[32:33], v[24:25]
	;; [unrolled: 1-line block ×3, first 2 shown]
	v_mul_f64 v[30:31], v[36:37], v[20:21]
	s_delay_alu instid0(VALU_DEP_4) | instskip(NEXT) | instid1(VALU_DEP_4)
	v_mul_f64 v[32:33], v[38:39], v[22:23]
	v_mul_f64 v[34:35], v[40:41], v[24:25]
	s_delay_alu instid0(VALU_DEP_4) | instskip(NEXT) | instid1(VALU_DEP_4)
	v_mul_f64 v[42:43], v[28:29], v[26:27]
	v_fma_f64 v[12:13], -v[12:13], v[30:31], v[36:37]
	s_delay_alu instid0(VALU_DEP_4) | instskip(NEXT) | instid1(VALU_DEP_4)
	v_fma_f64 v[14:15], -v[14:15], v[32:33], v[38:39]
	v_fma_f64 v[16:17], -v[16:17], v[34:35], v[40:41]
	s_delay_alu instid0(VALU_DEP_4) | instskip(NEXT) | instid1(VALU_DEP_4)
	v_fma_f64 v[18:19], -v[18:19], v[42:43], v[28:29]
	v_div_fmas_f64 v[12:13], v[12:13], v[20:21], v[30:31]
	s_mov_b32 vcc_lo, s2
	v_cmp_lt_u64_e64 s2, 0xffff, v[1:2]
	v_div_fmas_f64 v[14:15], v[14:15], v[22:23], v[32:33]
	s_mov_b32 vcc_lo, s3
	v_div_fmas_f64 v[16:17], v[16:17], v[24:25], v[34:35]
	s_mov_b32 vcc_lo, s4
	v_div_fmas_f64 v[18:19], v[18:19], v[26:27], v[42:43]
	v_cmp_le_i64_e32 vcc_lo, s[10:11], v[1:2]
	s_or_b32 s2, vcc_lo, s2
	s_add_u32 s5, s5, s22
	s_addc_u32 s16, s16, 0
	v_div_fixup_f64 v[4:5], v[12:13], v[4:5], s[6:7]
	v_add_co_u32 v12, s3, s17, v3
	v_div_fixup_f64 v[6:7], v[14:15], v[6:7], s[6:7]
	v_add_co_ci_u32_e64 v13, null, s18, 0, s3
	v_div_fixup_f64 v[8:9], v[16:17], v[8:9], s[6:7]
	v_add_co_u32 v1, s3, v1, s21
	v_div_fixup_f64 v[10:11], v[18:19], v[10:11], s[6:7]
	s_add_u32 s17, s17, s22
	v_add_co_ci_u32_e64 v2, s3, 0, v2, s3
	s_addc_u32 s18, s18, 0
	s_and_b32 s2, exec_lo, s2
	s_clause 0x1
	global_store_b128 v[12:13], v[4:7], off
	global_store_b128 v[12:13], v[8:11], off offset:16
	s_or_b32 s20, s2, s20
	s_delay_alu instid0(SALU_CYCLE_1)
	s_and_not1_b32 exec_lo, exec_lo, s20
	s_cbranch_execnz .LBB274_3
.LBB274_4:
	s_or_b32 exec_lo, exec_lo, s19
	s_mov_b32 s2, 0
.LBB274_5:
	s_delay_alu instid0(SALU_CYCLE_1)
	s_and_not1_b32 vcc_lo, exec_lo, s2
	s_cbranch_vccnz .LBB274_25
; %bb.6:
	v_cmp_lt_i64_e64 s2, s[10:11], 1
	s_delay_alu instid0(VALU_DEP_1)
	s_and_b32 vcc_lo, exec_lo, s2
	s_cbranch_vccnz .LBB274_25
; %bb.7:
	s_load_b32 s0, s[0:1], 0xc64
	v_dual_mov_b32 v2, 0 :: v_dual_lshlrev_b32 v1, 3, v0
	v_cmp_gt_u64_e64 s1, 0x10000, s[10:11]
	s_delay_alu instid0(VALU_DEP_2) | instskip(NEXT) | instid1(VALU_DEP_1)
	v_add_co_u32 v9, s2, s12, v1
	v_add_co_ci_u32_e64 v10, null, s13, 0, s2
	v_add_co_u32 v11, s2, s14, v1
	s_delay_alu instid0(VALU_DEP_1)
	v_add_co_ci_u32_e64 v12, null, s15, 0, s2
	s_waitcnt lgkmcnt(0)
	s_and_b32 s0, s0, 0xffff
	s_and_b32 s1, s1, exec_lo
	v_mad_u64_u32 v[3:4], null, s0, 24, v[1:2]
	s_cselect_b32 s5, s11, 0
	s_cselect_b32 s4, s10, 0x10000
	s_lshl_b32 s3, s0, 4
	s_mul_i32 s2, s0, 3
	v_add_co_u32 v1, s3, s3, v1
	s_delay_alu instid0(VALU_DEP_2) | instskip(NEXT) | instid1(VALU_DEP_3)
	v_add_co_u32 v13, vcc_lo, s12, v3
	v_add_co_ci_u32_e32 v14, vcc_lo, s13, v4, vcc_lo
	v_add_co_u32 v17, s2, s2, v0
	v_add_co_u32 v15, vcc_lo, s14, v3
	v_add_co_ci_u32_e64 v2, null, 0, 0, s3
	v_add_co_ci_u32_e64 v18, null, 0, 0, s2
	v_add_co_u32 v21, s2, v0, s0
	v_add_co_ci_u32_e32 v16, vcc_lo, s15, v4, vcc_lo
	v_add_co_u32 v19, vcc_lo, s12, v1
	v_add_co_ci_u32_e32 v20, vcc_lo, s13, v2, vcc_lo
	v_add_co_u32 v22, vcc_lo, s14, v1
	v_lshlrev_b32_e32 v1, 3, v21
	s_lshl_b32 s1, s0, 1
	v_add_co_ci_u32_e32 v23, vcc_lo, s15, v2, vcc_lo
	v_add_co_u32 v25, s1, s1, v0
	s_delay_alu instid0(VALU_DEP_1) | instskip(SKIP_1) | instid1(VALU_DEP_1)
	v_add_co_ci_u32_e64 v26, null, 0, 0, s1
	v_add_co_u32 v27, s1, s12, v1
	v_add_co_ci_u32_e64 v28, null, s13, 0, s1
	v_add_co_u32 v29, s1, s14, v1
	v_add_co_ci_u32_e64 v24, null, 0, 0, s2
	v_add_co_ci_u32_e64 v30, null, s15, 0, s1
	s_lshl_b32 s14, s0, 2
	s_lshl_b32 s15, s0, 5
	s_mov_b64 s[12:13], 0
	s_branch .LBB274_9
.LBB274_8:                              ;   in Loop: Header=BB274_9 Depth=1
	s_or_b32 exec_lo, exec_lo, s1
	v_add_co_u32 v9, vcc_lo, v9, s15
	v_add_co_ci_u32_e32 v10, vcc_lo, 0, v10, vcc_lo
	v_add_co_u32 v11, vcc_lo, v11, s15
	v_add_co_ci_u32_e32 v12, vcc_lo, 0, v12, vcc_lo
	;; [unrolled: 2-line block ×5, first 2 shown]
	s_add_u32 s12, s12, s14
	v_add_co_u32 v22, vcc_lo, v22, s15
	s_addc_u32 s13, s13, 0
	v_add_co_ci_u32_e32 v23, vcc_lo, 0, v23, vcc_lo
	v_cmp_ge_i64_e64 s0, s[12:13], s[10:11]
	v_cmp_lt_u64_e64 s1, 0xffff, s[12:13]
	v_add_co_u32 v27, vcc_lo, v27, s15
	v_add_co_ci_u32_e32 v28, vcc_lo, 0, v28, vcc_lo
	v_add_co_u32 v29, vcc_lo, v29, s15
	v_add_co_ci_u32_e32 v30, vcc_lo, 0, v30, vcc_lo
	s_or_b32 s0, s0, s1
	s_delay_alu instid0(SALU_CYCLE_1)
	s_and_b32 vcc_lo, exec_lo, s0
	s_cbranch_vccnz .LBB274_25
.LBB274_9:                              ; =>This Inner Loop Header: Depth=1
	s_waitcnt vmcnt(0)
	v_add_co_u32 v1, s0, v0, s12
	s_delay_alu instid0(VALU_DEP_1) | instskip(SKIP_2) | instid1(VALU_DEP_3)
	v_add_co_ci_u32_e64 v2, null, 0, s13, s0
	v_mov_b32_e32 v3, 0
	v_mov_b32_e32 v4, 0
	v_cmp_gt_u64_e32 vcc_lo, s[4:5], v[1:2]
	s_delay_alu instid0(VALU_DEP_2)
	v_dual_mov_b32 v8, v4 :: v_dual_mov_b32 v7, v3
	s_and_saveexec_b32 s1, vcc_lo
	s_cbranch_execz .LBB274_11
; %bb.10:                               ;   in Loop: Header=BB274_9 Depth=1
	v_add_co_u32 v1, s0, v9, s8
	s_delay_alu instid0(VALU_DEP_1)
	v_add_co_ci_u32_e64 v2, s0, s9, v10, s0
	global_load_b64 v[7:8], v[1:2], off
.LBB274_11:                             ;   in Loop: Header=BB274_9 Depth=1
	s_or_b32 exec_lo, exec_lo, s1
	v_add_co_u32 v1, s0, v21, s12
	s_delay_alu instid0(VALU_DEP_1) | instskip(NEXT) | instid1(VALU_DEP_1)
	v_add_co_ci_u32_e64 v2, s0, s13, v24, s0
	v_cmp_gt_u64_e64 s2, s[4:5], v[1:2]
	s_delay_alu instid0(VALU_DEP_1)
	s_and_saveexec_b32 s1, s2
	s_cbranch_execz .LBB274_13
; %bb.12:                               ;   in Loop: Header=BB274_9 Depth=1
	v_add_co_u32 v1, s0, v27, s8
	s_delay_alu instid0(VALU_DEP_1)
	v_add_co_ci_u32_e64 v2, s0, s9, v28, s0
	global_load_b64 v[3:4], v[1:2], off
.LBB274_13:                             ;   in Loop: Header=BB274_9 Depth=1
	s_or_b32 exec_lo, exec_lo, s1
	v_add_co_u32 v5, s0, v25, s12
	s_delay_alu instid0(VALU_DEP_1) | instskip(SKIP_2) | instid1(VALU_DEP_3)
	v_add_co_ci_u32_e64 v6, s0, s13, v26, s0
	v_mov_b32_e32 v1, 0
	v_mov_b32_e32 v2, 0
	v_cmp_gt_u64_e64 s1, s[4:5], v[5:6]
	s_delay_alu instid0(VALU_DEP_2) | instskip(NEXT) | instid1(VALU_DEP_2)
	v_dual_mov_b32 v6, v2 :: v_dual_mov_b32 v5, v1
	s_and_saveexec_b32 s3, s1
	s_cbranch_execz .LBB274_15
; %bb.14:                               ;   in Loop: Header=BB274_9 Depth=1
	v_add_co_u32 v5, s0, v19, s8
	s_delay_alu instid0(VALU_DEP_1)
	v_add_co_ci_u32_e64 v6, s0, s9, v20, s0
	global_load_b64 v[5:6], v[5:6], off
.LBB274_15:                             ;   in Loop: Header=BB274_9 Depth=1
	s_or_b32 exec_lo, exec_lo, s3
	v_add_co_u32 v31, s0, v17, s12
	s_delay_alu instid0(VALU_DEP_1) | instskip(NEXT) | instid1(VALU_DEP_1)
	v_add_co_ci_u32_e64 v32, s0, s13, v18, s0
	v_cmp_gt_u64_e64 s0, s[4:5], v[31:32]
	s_delay_alu instid0(VALU_DEP_1)
	s_and_saveexec_b32 s16, s0
	s_cbranch_execnz .LBB274_20
; %bb.16:                               ;   in Loop: Header=BB274_9 Depth=1
	s_or_b32 exec_lo, exec_lo, s16
	s_and_saveexec_b32 s3, vcc_lo
	s_cbranch_execnz .LBB274_21
.LBB274_17:                             ;   in Loop: Header=BB274_9 Depth=1
	s_or_b32 exec_lo, exec_lo, s3
	s_and_saveexec_b32 s3, s2
	s_cbranch_execnz .LBB274_22
.LBB274_18:                             ;   in Loop: Header=BB274_9 Depth=1
	s_or_b32 exec_lo, exec_lo, s3
	s_and_saveexec_b32 s2, s1
	s_cbranch_execnz .LBB274_23
.LBB274_19:                             ;   in Loop: Header=BB274_9 Depth=1
	s_or_b32 exec_lo, exec_lo, s2
	s_and_saveexec_b32 s1, s0
	s_cbranch_execz .LBB274_8
	s_branch .LBB274_24
.LBB274_20:                             ;   in Loop: Header=BB274_9 Depth=1
	v_add_co_u32 v1, s3, v13, s8
	s_delay_alu instid0(VALU_DEP_1)
	v_add_co_ci_u32_e64 v2, s3, s9, v14, s3
	global_load_b64 v[1:2], v[1:2], off
	s_or_b32 exec_lo, exec_lo, s16
	s_and_saveexec_b32 s3, vcc_lo
	s_cbranch_execz .LBB274_17
.LBB274_21:                             ;   in Loop: Header=BB274_9 Depth=1
	s_waitcnt vmcnt(0)
	v_div_scale_f64 v[31:32], null, v[7:8], v[7:8], s[6:7]
	s_delay_alu instid0(VALU_DEP_1) | instskip(SKIP_2) | instid1(VALU_DEP_1)
	v_rcp_f64_e32 v[33:34], v[31:32]
	s_waitcnt_depctr 0xfff
	v_fma_f64 v[35:36], -v[31:32], v[33:34], 1.0
	v_fma_f64 v[33:34], v[33:34], v[35:36], v[33:34]
	s_delay_alu instid0(VALU_DEP_1) | instskip(NEXT) | instid1(VALU_DEP_1)
	v_fma_f64 v[35:36], -v[31:32], v[33:34], 1.0
	v_fma_f64 v[33:34], v[33:34], v[35:36], v[33:34]
	v_div_scale_f64 v[35:36], vcc_lo, s[6:7], v[7:8], s[6:7]
	s_delay_alu instid0(VALU_DEP_1) | instskip(NEXT) | instid1(VALU_DEP_1)
	v_mul_f64 v[37:38], v[35:36], v[33:34]
	v_fma_f64 v[31:32], -v[31:32], v[37:38], v[35:36]
	s_delay_alu instid0(VALU_DEP_1) | instskip(NEXT) | instid1(VALU_DEP_1)
	v_div_fmas_f64 v[31:32], v[31:32], v[33:34], v[37:38]
	v_div_fixup_f64 v[7:8], v[31:32], v[7:8], s[6:7]
	v_add_co_u32 v31, vcc_lo, v11, s8
	v_add_co_ci_u32_e32 v32, vcc_lo, s9, v12, vcc_lo
	global_store_b64 v[31:32], v[7:8], off
	s_or_b32 exec_lo, exec_lo, s3
	s_and_saveexec_b32 s3, s2
	s_cbranch_execz .LBB274_18
.LBB274_22:                             ;   in Loop: Header=BB274_9 Depth=1
	s_waitcnt vmcnt(0)
	v_div_scale_f64 v[7:8], null, v[3:4], v[3:4], s[6:7]
	s_delay_alu instid0(VALU_DEP_1) | instskip(SKIP_2) | instid1(VALU_DEP_1)
	v_rcp_f64_e32 v[31:32], v[7:8]
	s_waitcnt_depctr 0xfff
	v_fma_f64 v[33:34], -v[7:8], v[31:32], 1.0
	v_fma_f64 v[31:32], v[31:32], v[33:34], v[31:32]
	s_delay_alu instid0(VALU_DEP_1) | instskip(NEXT) | instid1(VALU_DEP_1)
	v_fma_f64 v[33:34], -v[7:8], v[31:32], 1.0
	v_fma_f64 v[31:32], v[31:32], v[33:34], v[31:32]
	v_div_scale_f64 v[33:34], vcc_lo, s[6:7], v[3:4], s[6:7]
	s_delay_alu instid0(VALU_DEP_1) | instskip(NEXT) | instid1(VALU_DEP_1)
	v_mul_f64 v[35:36], v[33:34], v[31:32]
	v_fma_f64 v[7:8], -v[7:8], v[35:36], v[33:34]
	s_delay_alu instid0(VALU_DEP_1) | instskip(NEXT) | instid1(VALU_DEP_1)
	v_div_fmas_f64 v[7:8], v[7:8], v[31:32], v[35:36]
	v_div_fixup_f64 v[3:4], v[7:8], v[3:4], s[6:7]
	v_add_co_u32 v7, vcc_lo, v29, s8
	v_add_co_ci_u32_e32 v8, vcc_lo, s9, v30, vcc_lo
	global_store_b64 v[7:8], v[3:4], off
	s_or_b32 exec_lo, exec_lo, s3
	s_and_saveexec_b32 s2, s1
	s_cbranch_execz .LBB274_19
.LBB274_23:                             ;   in Loop: Header=BB274_9 Depth=1
	s_waitcnt vmcnt(0)
	v_div_scale_f64 v[3:4], null, v[5:6], v[5:6], s[6:7]
	s_delay_alu instid0(VALU_DEP_1) | instskip(SKIP_2) | instid1(VALU_DEP_1)
	v_rcp_f64_e32 v[7:8], v[3:4]
	s_waitcnt_depctr 0xfff
	v_fma_f64 v[31:32], -v[3:4], v[7:8], 1.0
	v_fma_f64 v[7:8], v[7:8], v[31:32], v[7:8]
	s_delay_alu instid0(VALU_DEP_1) | instskip(NEXT) | instid1(VALU_DEP_1)
	v_fma_f64 v[31:32], -v[3:4], v[7:8], 1.0
	v_fma_f64 v[7:8], v[7:8], v[31:32], v[7:8]
	v_div_scale_f64 v[31:32], vcc_lo, s[6:7], v[5:6], s[6:7]
	s_delay_alu instid0(VALU_DEP_1) | instskip(NEXT) | instid1(VALU_DEP_1)
	v_mul_f64 v[33:34], v[31:32], v[7:8]
	v_fma_f64 v[3:4], -v[3:4], v[33:34], v[31:32]
	s_delay_alu instid0(VALU_DEP_1) | instskip(NEXT) | instid1(VALU_DEP_1)
	v_div_fmas_f64 v[3:4], v[3:4], v[7:8], v[33:34]
	v_div_fixup_f64 v[3:4], v[3:4], v[5:6], s[6:7]
	v_add_co_u32 v5, vcc_lo, v22, s8
	v_add_co_ci_u32_e32 v6, vcc_lo, s9, v23, vcc_lo
	global_store_b64 v[5:6], v[3:4], off
	s_or_b32 exec_lo, exec_lo, s2
	s_and_saveexec_b32 s1, s0
	s_cbranch_execz .LBB274_8
.LBB274_24:                             ;   in Loop: Header=BB274_9 Depth=1
	s_waitcnt vmcnt(0)
	v_div_scale_f64 v[3:4], null, v[1:2], v[1:2], s[6:7]
	s_delay_alu instid0(VALU_DEP_1) | instskip(SKIP_2) | instid1(VALU_DEP_1)
	v_rcp_f64_e32 v[5:6], v[3:4]
	s_waitcnt_depctr 0xfff
	v_fma_f64 v[7:8], -v[3:4], v[5:6], 1.0
	v_fma_f64 v[5:6], v[5:6], v[7:8], v[5:6]
	s_delay_alu instid0(VALU_DEP_1) | instskip(NEXT) | instid1(VALU_DEP_1)
	v_fma_f64 v[7:8], -v[3:4], v[5:6], 1.0
	v_fma_f64 v[5:6], v[5:6], v[7:8], v[5:6]
	v_div_scale_f64 v[7:8], vcc_lo, s[6:7], v[1:2], s[6:7]
	s_delay_alu instid0(VALU_DEP_1) | instskip(NEXT) | instid1(VALU_DEP_1)
	v_mul_f64 v[31:32], v[7:8], v[5:6]
	v_fma_f64 v[3:4], -v[3:4], v[31:32], v[7:8]
	s_delay_alu instid0(VALU_DEP_1) | instskip(NEXT) | instid1(VALU_DEP_1)
	v_div_fmas_f64 v[3:4], v[3:4], v[5:6], v[31:32]
	v_div_fixup_f64 v[1:2], v[3:4], v[1:2], s[6:7]
	v_add_co_u32 v3, vcc_lo, v15, s8
	v_add_co_ci_u32_e32 v4, vcc_lo, s9, v16, vcc_lo
	global_store_b64 v[3:4], v[1:2], off
	s_branch .LBB274_8
.LBB274_25:
	s_nop 0
	s_sendmsg sendmsg(MSG_DEALLOC_VGPRS)
	s_endpgm
	.section	.rodata,"a",@progbits
	.p2align	6, 0x0
	.amdhsa_kernel _ZN2at6native12_GLOBAL__N_125multi_tensor_apply_kernelINS1_18TensorListMetadataILi2EEENS1_14UnaryOpFunctorIdLi2ELi1ELi1EEEJNS0_10ReciprocalIdEEEEEvT_T0_DpT1_
		.amdhsa_group_segment_fixed_size 0
		.amdhsa_private_segment_fixed_size 0
		.amdhsa_kernarg_size 3416
		.amdhsa_user_sgpr_count 15
		.amdhsa_user_sgpr_dispatch_ptr 0
		.amdhsa_user_sgpr_queue_ptr 0
		.amdhsa_user_sgpr_kernarg_segment_ptr 1
		.amdhsa_user_sgpr_dispatch_id 0
		.amdhsa_user_sgpr_private_segment_size 0
		.amdhsa_wavefront_size32 1
		.amdhsa_uses_dynamic_stack 0
		.amdhsa_enable_private_segment 0
		.amdhsa_system_sgpr_workgroup_id_x 1
		.amdhsa_system_sgpr_workgroup_id_y 0
		.amdhsa_system_sgpr_workgroup_id_z 0
		.amdhsa_system_sgpr_workgroup_info 0
		.amdhsa_system_vgpr_workitem_id 0
		.amdhsa_next_free_vgpr 44
		.amdhsa_next_free_sgpr 26
		.amdhsa_reserve_vcc 1
		.amdhsa_float_round_mode_32 0
		.amdhsa_float_round_mode_16_64 0
		.amdhsa_float_denorm_mode_32 3
		.amdhsa_float_denorm_mode_16_64 3
		.amdhsa_dx10_clamp 1
		.amdhsa_ieee_mode 1
		.amdhsa_fp16_overflow 0
		.amdhsa_workgroup_processor_mode 1
		.amdhsa_memory_ordered 1
		.amdhsa_forward_progress 0
		.amdhsa_shared_vgpr_count 0
		.amdhsa_exception_fp_ieee_invalid_op 0
		.amdhsa_exception_fp_denorm_src 0
		.amdhsa_exception_fp_ieee_div_zero 0
		.amdhsa_exception_fp_ieee_overflow 0
		.amdhsa_exception_fp_ieee_underflow 0
		.amdhsa_exception_fp_ieee_inexact 0
		.amdhsa_exception_int_div_zero 0
	.end_amdhsa_kernel
	.section	.text._ZN2at6native12_GLOBAL__N_125multi_tensor_apply_kernelINS1_18TensorListMetadataILi2EEENS1_14UnaryOpFunctorIdLi2ELi1ELi1EEEJNS0_10ReciprocalIdEEEEEvT_T0_DpT1_,"axG",@progbits,_ZN2at6native12_GLOBAL__N_125multi_tensor_apply_kernelINS1_18TensorListMetadataILi2EEENS1_14UnaryOpFunctorIdLi2ELi1ELi1EEEJNS0_10ReciprocalIdEEEEEvT_T0_DpT1_,comdat
.Lfunc_end274:
	.size	_ZN2at6native12_GLOBAL__N_125multi_tensor_apply_kernelINS1_18TensorListMetadataILi2EEENS1_14UnaryOpFunctorIdLi2ELi1ELi1EEEJNS0_10ReciprocalIdEEEEEvT_T0_DpT1_, .Lfunc_end274-_ZN2at6native12_GLOBAL__N_125multi_tensor_apply_kernelINS1_18TensorListMetadataILi2EEENS1_14UnaryOpFunctorIdLi2ELi1ELi1EEEJNS0_10ReciprocalIdEEEEEvT_T0_DpT1_
                                        ; -- End function
	.section	.AMDGPU.csdata,"",@progbits
; Kernel info:
; codeLenInByte = 2220
; NumSgprs: 28
; NumVgprs: 44
; ScratchSize: 0
; MemoryBound: 0
; FloatMode: 240
; IeeeMode: 1
; LDSByteSize: 0 bytes/workgroup (compile time only)
; SGPRBlocks: 3
; VGPRBlocks: 5
; NumSGPRsForWavesPerEU: 28
; NumVGPRsForWavesPerEU: 44
; Occupancy: 16
; WaveLimiterHint : 0
; COMPUTE_PGM_RSRC2:SCRATCH_EN: 0
; COMPUTE_PGM_RSRC2:USER_SGPR: 15
; COMPUTE_PGM_RSRC2:TRAP_HANDLER: 0
; COMPUTE_PGM_RSRC2:TGID_X_EN: 1
; COMPUTE_PGM_RSRC2:TGID_Y_EN: 0
; COMPUTE_PGM_RSRC2:TGID_Z_EN: 0
; COMPUTE_PGM_RSRC2:TIDIG_COMP_CNT: 0
	.section	.text._ZN2at6native12_GLOBAL__N_125multi_tensor_apply_kernelINS1_18TensorListMetadataILi2EEENS1_14UnaryOpFunctorIfLi2ELi1ELi1EEEJNS0_10ReciprocalIfEEEEEvT_T0_DpT1_,"axG",@progbits,_ZN2at6native12_GLOBAL__N_125multi_tensor_apply_kernelINS1_18TensorListMetadataILi2EEENS1_14UnaryOpFunctorIfLi2ELi1ELi1EEEJNS0_10ReciprocalIfEEEEEvT_T0_DpT1_,comdat
	.globl	_ZN2at6native12_GLOBAL__N_125multi_tensor_apply_kernelINS1_18TensorListMetadataILi2EEENS1_14UnaryOpFunctorIfLi2ELi1ELi1EEEJNS0_10ReciprocalIfEEEEEvT_T0_DpT1_ ; -- Begin function _ZN2at6native12_GLOBAL__N_125multi_tensor_apply_kernelINS1_18TensorListMetadataILi2EEENS1_14UnaryOpFunctorIfLi2ELi1ELi1EEEJNS0_10ReciprocalIfEEEEEvT_T0_DpT1_
	.p2align	8
	.type	_ZN2at6native12_GLOBAL__N_125multi_tensor_apply_kernelINS1_18TensorListMetadataILi2EEENS1_14UnaryOpFunctorIfLi2ELi1ELi1EEEJNS0_10ReciprocalIfEEEEEvT_T0_DpT1_,@function
_ZN2at6native12_GLOBAL__N_125multi_tensor_apply_kernelINS1_18TensorListMetadataILi2EEENS1_14UnaryOpFunctorIfLi2ELi1ELi1EEEJNS0_10ReciprocalIfEEEEEvT_T0_DpT1_: ; @_ZN2at6native12_GLOBAL__N_125multi_tensor_apply_kernelINS1_18TensorListMetadataILi2EEENS1_14UnaryOpFunctorIfLi2ELi1ELi1EEEJNS0_10ReciprocalIfEEEEEvT_T0_DpT1_
; %bb.0:
	v_mov_b32_e32 v1, s15
	s_add_u32 s2, s0, s15
	s_mul_hi_u32 s3, s15, 3
	s_mul_i32 s15, s15, 3
	s_addc_u32 s4, s1, 0
	global_load_u8 v1, v1, s[0:1] offset:1536
	s_add_u32 s2, s2, s15
	s_addc_u32 s3, s4, s3
	s_mov_b32 s19, 0
	s_load_b32 s2, s[2:3], 0x740
	s_mov_b32 s21, s19
	s_mov_b32 s23, s19
	s_waitcnt vmcnt(0)
	v_readfirstlane_b32 s3, v1
	s_delay_alu instid0(VALU_DEP_1)
	s_lshl_b32 s3, s3, 3
	s_clause 0x3
	s_load_b64 s[10:11], s[0:1], s3 offset:0x0
	s_load_b64 s[12:13], s[0:1], s3 offset:0x200
	;; [unrolled: 1-line block ×3, first 2 shown]
	s_load_b32 s14, s[0:1], 0xc4c
	s_waitcnt lgkmcnt(0)
	s_ashr_i32 s3, s2, 31
	s_delay_alu instid0(SALU_CYCLE_1) | instskip(NEXT) | instid1(SALU_CYCLE_1)
	s_lshl_b64 s[6:7], s[2:3], 18
	s_add_u32 s5, s10, s6
	s_addc_u32 s15, s11, s7
	s_and_b32 s18, s5, 15
	s_add_u32 s16, s12, s6
	s_addc_u32 s17, s13, s7
	s_and_b32 s20, s8, 3
	s_and_b32 s22, s16, 15
	s_or_b64 s[18:19], s[18:19], s[20:21]
	s_lshl_b64 s[2:3], s[2:3], 16
	s_or_b64 s[18:19], s[22:23], s[18:19]
	s_sub_u32 s8, s8, s2
	s_subb_u32 s9, s9, s3
	s_cmp_eq_u64 s[18:19], 0
	s_mov_b32 s2, -1
	s_cbranch_scc0 .LBB275_5
; %bb.1:
	v_dual_mov_b32 v2, 0 :: v_dual_lshlrev_b32 v1, 2, v0
	s_mov_b32 s18, exec_lo
	s_delay_alu instid0(VALU_DEP_1)
	v_cmpx_gt_i64_e64 s[8:9], v[1:2]
	s_cbranch_execz .LBB275_4
; %bb.2:
	s_load_b32 s2, s[0:1], 0xc5c
	v_lshlrev_b32_e32 v3, 4, v0
	s_mov_b32 s19, 0
	s_waitcnt lgkmcnt(0)
	s_and_b32 s2, s2, 0xffff
	s_delay_alu instid0(SALU_CYCLE_1)
	v_add_lshl_u32 v1, v0, s2, 2
	s_lshl_b32 s20, s2, 2
	s_lshl_b32 s21, s2, 4
.LBB275_3:                              ; =>This Inner Loop Header: Depth=1
	v_add_co_u32 v4, s2, s5, v3
	s_delay_alu instid0(VALU_DEP_1)
	v_add_co_ci_u32_e64 v5, null, s15, 0, s2
	v_cmp_le_i64_e32 vcc_lo, s[8:9], v[1:2]
	v_cmp_lt_u64_e64 s2, 0xffff, v[1:2]
	v_add_co_u32 v8, s3, s16, v3
	global_load_b128 v[4:7], v[4:5], off
	v_add_co_ci_u32_e64 v9, null, s17, 0, s3
	s_or_b32 s22, vcc_lo, s2
	v_add_co_u32 v1, s3, v1, s20
	s_delay_alu instid0(VALU_DEP_1)
	v_add_co_ci_u32_e64 v2, s3, 0, v2, s3
	s_add_u32 s5, s5, s21
	s_addc_u32 s15, s15, 0
	s_add_u32 s16, s16, s21
	s_addc_u32 s17, s17, 0
	s_waitcnt vmcnt(0)
	v_div_scale_f32 v10, null, v4, v4, s14
	v_div_scale_f32 v12, null, v5, v5, s14
	;; [unrolled: 1-line block ×3, first 2 shown]
	s_delay_alu instid0(VALU_DEP_3) | instskip(SKIP_1) | instid1(VALU_DEP_3)
	v_rcp_f32_e32 v18, v10
	v_div_scale_f32 v16, null, v7, v7, s14
	v_rcp_f32_e32 v19, v12
	s_delay_alu instid0(VALU_DEP_2) | instskip(SKIP_1) | instid1(VALU_DEP_2)
	v_rcp_f32_e32 v20, v14
	v_div_scale_f32 v11, vcc_lo, s14, v4, s14
	v_rcp_f32_e32 v21, v16
	v_div_scale_f32 v13, s2, s14, v5, s14
	v_fma_f32 v22, -v10, v18, 1.0
	v_div_scale_f32 v15, s3, s14, v6, s14
	s_delay_alu instid0(TRANS32_DEP_3) | instskip(NEXT) | instid1(TRANS32_DEP_2)
	v_fma_f32 v23, -v12, v19, 1.0
	v_fma_f32 v24, -v14, v20, 1.0
	s_delay_alu instid0(VALU_DEP_4) | instskip(SKIP_1) | instid1(VALU_DEP_4)
	v_fmac_f32_e32 v18, v22, v18
	v_div_scale_f32 v17, s4, s14, v7, s14
	v_fmac_f32_e32 v19, v23, v19
	s_delay_alu instid0(TRANS32_DEP_1) | instskip(SKIP_1) | instid1(VALU_DEP_3)
	v_fma_f32 v25, -v16, v21, 1.0
	v_fmac_f32_e32 v20, v24, v20
	v_dual_mul_f32 v22, v11, v18 :: v_dual_mul_f32 v23, v13, v19
	s_delay_alu instid0(VALU_DEP_2) | instskip(NEXT) | instid1(VALU_DEP_2)
	v_dual_fmac_f32 v21, v25, v21 :: v_dual_mul_f32 v24, v15, v20
	v_fma_f32 v26, -v10, v22, v11
	s_delay_alu instid0(VALU_DEP_3) | instskip(NEXT) | instid1(VALU_DEP_3)
	v_fma_f32 v27, -v12, v23, v13
	v_mul_f32_e32 v25, v17, v21
	s_delay_alu instid0(VALU_DEP_4) | instskip(NEXT) | instid1(VALU_DEP_3)
	v_fma_f32 v28, -v14, v24, v15
	v_dual_fmac_f32 v22, v26, v18 :: v_dual_fmac_f32 v23, v27, v19
	s_delay_alu instid0(VALU_DEP_3) | instskip(NEXT) | instid1(VALU_DEP_3)
	v_fma_f32 v29, -v16, v25, v17
	v_fmac_f32_e32 v24, v28, v20
	s_delay_alu instid0(VALU_DEP_3) | instskip(NEXT) | instid1(VALU_DEP_4)
	v_fma_f32 v10, -v10, v22, v11
	v_fma_f32 v11, -v12, v23, v13
	s_delay_alu instid0(VALU_DEP_4) | instskip(NEXT) | instid1(VALU_DEP_4)
	v_fmac_f32_e32 v25, v29, v21
	v_fma_f32 v12, -v14, v24, v15
	s_delay_alu instid0(VALU_DEP_4)
	v_div_fmas_f32 v10, v10, v18, v22
	s_mov_b32 vcc_lo, s2
	s_and_b32 s2, exec_lo, s22
	v_fma_f32 v13, -v16, v25, v17
	v_div_fmas_f32 v11, v11, v19, v23
	s_mov_b32 vcc_lo, s3
	v_div_fixup_f32 v4, v10, v4, s14
	v_div_fmas_f32 v12, v12, v20, v24
	s_mov_b32 vcc_lo, s4
	v_div_fixup_f32 v5, v11, v5, s14
	v_div_fmas_f32 v13, v13, v21, v25
	s_or_b32 s19, s2, s19
	v_div_fixup_f32 v6, v12, v6, s14
	s_delay_alu instid0(VALU_DEP_2)
	v_div_fixup_f32 v7, v13, v7, s14
	global_store_b128 v[8:9], v[4:7], off
	s_and_not1_b32 exec_lo, exec_lo, s19
	s_cbranch_execnz .LBB275_3
.LBB275_4:
	s_or_b32 exec_lo, exec_lo, s18
	s_mov_b32 s2, 0
.LBB275_5:
	s_delay_alu instid0(SALU_CYCLE_1)
	s_and_not1_b32 vcc_lo, exec_lo, s2
	s_cbranch_vccnz .LBB275_25
; %bb.6:
	v_cmp_lt_i64_e64 s2, s[8:9], 1
	s_delay_alu instid0(VALU_DEP_1)
	s_and_b32 vcc_lo, exec_lo, s2
	s_cbranch_vccnz .LBB275_25
; %bb.7:
	s_load_b32 s0, s[0:1], 0xc5c
	v_dual_mov_b32 v10, 0 :: v_dual_lshlrev_b32 v9, 2, v0
	v_cmp_gt_u64_e64 s1, 0x10000, s[8:9]
	s_delay_alu instid0(VALU_DEP_2) | instskip(NEXT) | instid1(VALU_DEP_1)
	v_add_co_u32 v1, s2, s10, v9
	v_add_co_ci_u32_e64 v2, null, s11, 0, s2
	v_add_co_u32 v3, s2, s12, v9
	s_delay_alu instid0(VALU_DEP_1)
	v_add_co_ci_u32_e64 v4, null, s13, 0, s2
	s_waitcnt lgkmcnt(0)
	s_and_b32 s0, s0, 0xffff
	s_and_b32 s1, s1, exec_lo
	v_mad_u64_u32 v[7:8], null, s0, 12, v[9:10]
	s_cselect_b32 s5, s9, 0
	s_cselect_b32 s4, s8, 0x10000
	s_mul_i32 s2, s0, 3
	s_lshl_b32 s3, s0, 3
	s_lshl_b32 s1, s0, 1
	v_add_co_u32 v14, s3, s3, v9
	v_add_co_u32 v9, s2, s2, v0
	s_delay_alu instid0(VALU_DEP_1) | instskip(SKIP_3) | instid1(VALU_DEP_3)
	v_add_co_ci_u32_e64 v10, null, 0, 0, s2
	v_add_co_u32 v13, s2, v0, s0
	v_add_co_u32 v5, vcc_lo, s10, v7
	v_add_co_ci_u32_e32 v6, vcc_lo, s11, v8, vcc_lo
	v_lshlrev_b32_e32 v21, 2, v13
	v_add_co_u32 v7, vcc_lo, s12, v7
	v_add_co_ci_u32_e64 v15, null, 0, 0, s3
	v_add_co_ci_u32_e32 v8, vcc_lo, s13, v8, vcc_lo
	v_add_co_u32 v17, s1, s1, v0
	v_add_co_u32 v11, vcc_lo, s10, v14
	v_add_co_ci_u32_e64 v18, null, 0, 0, s1
	v_add_co_u32 v19, s1, s10, v21
	v_add_co_ci_u32_e32 v12, vcc_lo, s11, v15, vcc_lo
	v_add_co_u32 v14, vcc_lo, s12, v14
	v_add_co_ci_u32_e64 v20, null, s11, 0, s1
	v_add_co_u32 v21, s1, s12, v21
	v_add_co_ci_u32_e32 v15, vcc_lo, s13, v15, vcc_lo
	v_add_co_ci_u32_e64 v16, null, 0, 0, s2
	v_add_co_ci_u32_e64 v22, null, s13, 0, s1
	s_lshl_b32 s12, s0, 2
	s_lshl_b32 s13, s0, 4
	s_mov_b64 s[10:11], 0
	s_branch .LBB275_9
.LBB275_8:                              ;   in Loop: Header=BB275_9 Depth=1
	s_or_b32 exec_lo, exec_lo, s1
	v_add_co_u32 v1, vcc_lo, v1, s13
	v_add_co_ci_u32_e32 v2, vcc_lo, 0, v2, vcc_lo
	v_add_co_u32 v3, vcc_lo, v3, s13
	v_add_co_ci_u32_e32 v4, vcc_lo, 0, v4, vcc_lo
	v_add_co_u32 v5, vcc_lo, v5, s13
	v_add_co_ci_u32_e32 v6, vcc_lo, 0, v6, vcc_lo
	v_add_co_u32 v7, vcc_lo, v7, s13
	v_add_co_ci_u32_e32 v8, vcc_lo, 0, v8, vcc_lo
	v_add_co_u32 v11, vcc_lo, v11, s13
	v_add_co_ci_u32_e32 v12, vcc_lo, 0, v12, vcc_lo
	s_add_u32 s10, s10, s12
	v_add_co_u32 v14, vcc_lo, v14, s13
	s_addc_u32 s11, s11, 0
	v_add_co_ci_u32_e32 v15, vcc_lo, 0, v15, vcc_lo
	v_cmp_ge_i64_e64 s0, s[10:11], s[8:9]
	v_cmp_lt_u64_e64 s1, 0xffff, s[10:11]
	v_add_co_u32 v19, vcc_lo, v19, s13
	v_add_co_ci_u32_e32 v20, vcc_lo, 0, v20, vcc_lo
	v_add_co_u32 v21, vcc_lo, v21, s13
	v_add_co_ci_u32_e32 v22, vcc_lo, 0, v22, vcc_lo
	s_or_b32 s0, s0, s1
	s_delay_alu instid0(SALU_CYCLE_1)
	s_and_b32 vcc_lo, exec_lo, s0
	s_cbranch_vccnz .LBB275_25
.LBB275_9:                              ; =>This Inner Loop Header: Depth=1
	s_waitcnt vmcnt(0)
	v_add_co_u32 v23, s0, v0, s10
	s_delay_alu instid0(VALU_DEP_1) | instskip(SKIP_1) | instid1(VALU_DEP_2)
	v_add_co_ci_u32_e64 v24, null, 0, s11, s0
	v_mov_b32_e32 v26, 0
	v_cmp_gt_u64_e32 vcc_lo, s[4:5], v[23:24]
	s_and_saveexec_b32 s1, vcc_lo
	s_cbranch_execz .LBB275_11
; %bb.10:                               ;   in Loop: Header=BB275_9 Depth=1
	v_add_co_u32 v23, s0, v1, s6
	s_delay_alu instid0(VALU_DEP_1)
	v_add_co_ci_u32_e64 v24, s0, s7, v2, s0
	global_load_b32 v26, v[23:24], off
.LBB275_11:                             ;   in Loop: Header=BB275_9 Depth=1
	s_or_b32 exec_lo, exec_lo, s1
	v_add_co_u32 v23, s0, v13, s10
	s_delay_alu instid0(VALU_DEP_1) | instskip(SKIP_1) | instid1(VALU_DEP_2)
	v_add_co_ci_u32_e64 v24, s0, s11, v16, s0
	v_mov_b32_e32 v25, 0
	v_cmp_gt_u64_e64 s2, s[4:5], v[23:24]
	s_delay_alu instid0(VALU_DEP_1)
	s_and_saveexec_b32 s1, s2
	s_cbranch_execz .LBB275_13
; %bb.12:                               ;   in Loop: Header=BB275_9 Depth=1
	v_add_co_u32 v23, s0, v19, s6
	s_delay_alu instid0(VALU_DEP_1)
	v_add_co_ci_u32_e64 v24, s0, s7, v20, s0
	global_load_b32 v25, v[23:24], off
.LBB275_13:                             ;   in Loop: Header=BB275_9 Depth=1
	s_or_b32 exec_lo, exec_lo, s1
	v_add_co_u32 v23, s0, v17, s10
	s_delay_alu instid0(VALU_DEP_1) | instskip(NEXT) | instid1(VALU_DEP_1)
	v_add_co_ci_u32_e64 v24, s0, s11, v18, s0
	v_cmp_gt_u64_e64 s1, s[4:5], v[23:24]
	v_dual_mov_b32 v23, 0 :: v_dual_mov_b32 v24, 0
	s_delay_alu instid0(VALU_DEP_2)
	s_and_saveexec_b32 s3, s1
	s_cbranch_execz .LBB275_15
; %bb.14:                               ;   in Loop: Header=BB275_9 Depth=1
	v_add_co_u32 v27, s0, v11, s6
	s_delay_alu instid0(VALU_DEP_1)
	v_add_co_ci_u32_e64 v28, s0, s7, v12, s0
	global_load_b32 v24, v[27:28], off
.LBB275_15:                             ;   in Loop: Header=BB275_9 Depth=1
	s_or_b32 exec_lo, exec_lo, s3
	v_add_co_u32 v27, s0, v9, s10
	s_delay_alu instid0(VALU_DEP_1) | instskip(NEXT) | instid1(VALU_DEP_1)
	v_add_co_ci_u32_e64 v28, s0, s11, v10, s0
	v_cmp_gt_u64_e64 s0, s[4:5], v[27:28]
	s_delay_alu instid0(VALU_DEP_1)
	s_and_saveexec_b32 s15, s0
	s_cbranch_execnz .LBB275_20
; %bb.16:                               ;   in Loop: Header=BB275_9 Depth=1
	s_or_b32 exec_lo, exec_lo, s15
	s_and_saveexec_b32 s3, vcc_lo
	s_cbranch_execnz .LBB275_21
.LBB275_17:                             ;   in Loop: Header=BB275_9 Depth=1
	s_or_b32 exec_lo, exec_lo, s3
	s_and_saveexec_b32 s3, s2
	s_cbranch_execnz .LBB275_22
.LBB275_18:                             ;   in Loop: Header=BB275_9 Depth=1
	s_or_b32 exec_lo, exec_lo, s3
	s_and_saveexec_b32 s2, s1
	s_cbranch_execnz .LBB275_23
.LBB275_19:                             ;   in Loop: Header=BB275_9 Depth=1
	s_or_b32 exec_lo, exec_lo, s2
	s_and_saveexec_b32 s1, s0
	s_cbranch_execz .LBB275_8
	s_branch .LBB275_24
.LBB275_20:                             ;   in Loop: Header=BB275_9 Depth=1
	v_add_co_u32 v27, s3, v5, s6
	s_delay_alu instid0(VALU_DEP_1)
	v_add_co_ci_u32_e64 v28, s3, s7, v6, s3
	global_load_b32 v23, v[27:28], off
	s_or_b32 exec_lo, exec_lo, s15
	s_and_saveexec_b32 s3, vcc_lo
	s_cbranch_execz .LBB275_17
.LBB275_21:                             ;   in Loop: Header=BB275_9 Depth=1
	s_waitcnt vmcnt(0)
	v_div_scale_f32 v27, null, v26, v26, s14
	v_div_scale_f32 v30, vcc_lo, s14, v26, s14
	s_delay_alu instid0(VALU_DEP_2) | instskip(SKIP_2) | instid1(VALU_DEP_1)
	v_rcp_f32_e32 v28, v27
	s_waitcnt_depctr 0xfff
	v_fma_f32 v29, -v27, v28, 1.0
	v_fmac_f32_e32 v28, v29, v28
	s_delay_alu instid0(VALU_DEP_1) | instskip(NEXT) | instid1(VALU_DEP_1)
	v_mul_f32_e32 v29, v30, v28
	v_fma_f32 v31, -v27, v29, v30
	s_delay_alu instid0(VALU_DEP_1) | instskip(NEXT) | instid1(VALU_DEP_1)
	v_fmac_f32_e32 v29, v31, v28
	v_fma_f32 v27, -v27, v29, v30
	s_delay_alu instid0(VALU_DEP_1) | instskip(NEXT) | instid1(VALU_DEP_1)
	v_div_fmas_f32 v27, v27, v28, v29
	v_div_fixup_f32 v28, v27, v26, s14
	v_add_co_u32 v26, vcc_lo, v3, s6
	v_add_co_ci_u32_e32 v27, vcc_lo, s7, v4, vcc_lo
	global_store_b32 v[26:27], v28, off
	s_or_b32 exec_lo, exec_lo, s3
	s_and_saveexec_b32 s3, s2
	s_cbranch_execz .LBB275_18
.LBB275_22:                             ;   in Loop: Header=BB275_9 Depth=1
	s_waitcnt vmcnt(0)
	v_div_scale_f32 v26, null, v25, v25, s14
	v_div_scale_f32 v29, vcc_lo, s14, v25, s14
	s_delay_alu instid0(VALU_DEP_2) | instskip(SKIP_2) | instid1(VALU_DEP_1)
	v_rcp_f32_e32 v27, v26
	s_waitcnt_depctr 0xfff
	v_fma_f32 v28, -v26, v27, 1.0
	v_fmac_f32_e32 v27, v28, v27
	s_delay_alu instid0(VALU_DEP_1) | instskip(NEXT) | instid1(VALU_DEP_1)
	v_mul_f32_e32 v28, v29, v27
	v_fma_f32 v30, -v26, v28, v29
	s_delay_alu instid0(VALU_DEP_1) | instskip(NEXT) | instid1(VALU_DEP_1)
	v_fmac_f32_e32 v28, v30, v27
	v_fma_f32 v26, -v26, v28, v29
	s_delay_alu instid0(VALU_DEP_1) | instskip(NEXT) | instid1(VALU_DEP_1)
	v_div_fmas_f32 v26, v26, v27, v28
	v_div_fixup_f32 v27, v26, v25, s14
	v_add_co_u32 v25, vcc_lo, v21, s6
	v_add_co_ci_u32_e32 v26, vcc_lo, s7, v22, vcc_lo
	global_store_b32 v[25:26], v27, off
	s_or_b32 exec_lo, exec_lo, s3
	s_and_saveexec_b32 s2, s1
	s_cbranch_execz .LBB275_19
.LBB275_23:                             ;   in Loop: Header=BB275_9 Depth=1
	s_waitcnt vmcnt(0)
	v_div_scale_f32 v25, null, v24, v24, s14
	v_div_scale_f32 v28, vcc_lo, s14, v24, s14
	s_delay_alu instid0(VALU_DEP_2) | instskip(SKIP_2) | instid1(VALU_DEP_1)
	v_rcp_f32_e32 v26, v25
	s_waitcnt_depctr 0xfff
	v_fma_f32 v27, -v25, v26, 1.0
	v_fmac_f32_e32 v26, v27, v26
	s_delay_alu instid0(VALU_DEP_1) | instskip(NEXT) | instid1(VALU_DEP_1)
	v_mul_f32_e32 v27, v28, v26
	v_fma_f32 v29, -v25, v27, v28
	s_delay_alu instid0(VALU_DEP_1) | instskip(NEXT) | instid1(VALU_DEP_1)
	v_fmac_f32_e32 v27, v29, v26
	v_fma_f32 v25, -v25, v27, v28
	s_delay_alu instid0(VALU_DEP_1) | instskip(NEXT) | instid1(VALU_DEP_1)
	v_div_fmas_f32 v25, v25, v26, v27
	v_div_fixup_f32 v26, v25, v24, s14
	v_add_co_u32 v24, vcc_lo, v14, s6
	v_add_co_ci_u32_e32 v25, vcc_lo, s7, v15, vcc_lo
	global_store_b32 v[24:25], v26, off
	s_or_b32 exec_lo, exec_lo, s2
	s_and_saveexec_b32 s1, s0
	s_cbranch_execz .LBB275_8
.LBB275_24:                             ;   in Loop: Header=BB275_9 Depth=1
	s_waitcnt vmcnt(0)
	v_div_scale_f32 v24, null, v23, v23, s14
	v_div_scale_f32 v27, vcc_lo, s14, v23, s14
	s_delay_alu instid0(VALU_DEP_2) | instskip(SKIP_2) | instid1(VALU_DEP_1)
	v_rcp_f32_e32 v25, v24
	s_waitcnt_depctr 0xfff
	v_fma_f32 v26, -v24, v25, 1.0
	v_fmac_f32_e32 v25, v26, v25
	s_delay_alu instid0(VALU_DEP_1) | instskip(NEXT) | instid1(VALU_DEP_1)
	v_mul_f32_e32 v26, v27, v25
	v_fma_f32 v28, -v24, v26, v27
	s_delay_alu instid0(VALU_DEP_1) | instskip(NEXT) | instid1(VALU_DEP_1)
	v_fmac_f32_e32 v26, v28, v25
	v_fma_f32 v24, -v24, v26, v27
	s_delay_alu instid0(VALU_DEP_1) | instskip(NEXT) | instid1(VALU_DEP_1)
	v_div_fmas_f32 v24, v24, v25, v26
	v_div_fixup_f32 v25, v24, v23, s14
	v_add_co_u32 v23, vcc_lo, v7, s6
	v_add_co_ci_u32_e32 v24, vcc_lo, s7, v8, vcc_lo
	global_store_b32 v[23:24], v25, off
	s_branch .LBB275_8
.LBB275_25:
	s_nop 0
	s_sendmsg sendmsg(MSG_DEALLOC_VGPRS)
	s_endpgm
	.section	.rodata,"a",@progbits
	.p2align	6, 0x0
	.amdhsa_kernel _ZN2at6native12_GLOBAL__N_125multi_tensor_apply_kernelINS1_18TensorListMetadataILi2EEENS1_14UnaryOpFunctorIfLi2ELi1ELi1EEEJNS0_10ReciprocalIfEEEEEvT_T0_DpT1_
		.amdhsa_group_segment_fixed_size 0
		.amdhsa_private_segment_fixed_size 0
		.amdhsa_kernarg_size 3408
		.amdhsa_user_sgpr_count 15
		.amdhsa_user_sgpr_dispatch_ptr 0
		.amdhsa_user_sgpr_queue_ptr 0
		.amdhsa_user_sgpr_kernarg_segment_ptr 1
		.amdhsa_user_sgpr_dispatch_id 0
		.amdhsa_user_sgpr_private_segment_size 0
		.amdhsa_wavefront_size32 1
		.amdhsa_uses_dynamic_stack 0
		.amdhsa_enable_private_segment 0
		.amdhsa_system_sgpr_workgroup_id_x 1
		.amdhsa_system_sgpr_workgroup_id_y 0
		.amdhsa_system_sgpr_workgroup_id_z 0
		.amdhsa_system_sgpr_workgroup_info 0
		.amdhsa_system_vgpr_workitem_id 0
		.amdhsa_next_free_vgpr 32
		.amdhsa_next_free_sgpr 24
		.amdhsa_reserve_vcc 1
		.amdhsa_float_round_mode_32 0
		.amdhsa_float_round_mode_16_64 0
		.amdhsa_float_denorm_mode_32 3
		.amdhsa_float_denorm_mode_16_64 3
		.amdhsa_dx10_clamp 1
		.amdhsa_ieee_mode 1
		.amdhsa_fp16_overflow 0
		.amdhsa_workgroup_processor_mode 1
		.amdhsa_memory_ordered 1
		.amdhsa_forward_progress 0
		.amdhsa_shared_vgpr_count 0
		.amdhsa_exception_fp_ieee_invalid_op 0
		.amdhsa_exception_fp_denorm_src 0
		.amdhsa_exception_fp_ieee_div_zero 0
		.amdhsa_exception_fp_ieee_overflow 0
		.amdhsa_exception_fp_ieee_underflow 0
		.amdhsa_exception_fp_ieee_inexact 0
		.amdhsa_exception_int_div_zero 0
	.end_amdhsa_kernel
	.section	.text._ZN2at6native12_GLOBAL__N_125multi_tensor_apply_kernelINS1_18TensorListMetadataILi2EEENS1_14UnaryOpFunctorIfLi2ELi1ELi1EEEJNS0_10ReciprocalIfEEEEEvT_T0_DpT1_,"axG",@progbits,_ZN2at6native12_GLOBAL__N_125multi_tensor_apply_kernelINS1_18TensorListMetadataILi2EEENS1_14UnaryOpFunctorIfLi2ELi1ELi1EEEJNS0_10ReciprocalIfEEEEEvT_T0_DpT1_,comdat
.Lfunc_end275:
	.size	_ZN2at6native12_GLOBAL__N_125multi_tensor_apply_kernelINS1_18TensorListMetadataILi2EEENS1_14UnaryOpFunctorIfLi2ELi1ELi1EEEJNS0_10ReciprocalIfEEEEEvT_T0_DpT1_, .Lfunc_end275-_ZN2at6native12_GLOBAL__N_125multi_tensor_apply_kernelINS1_18TensorListMetadataILi2EEENS1_14UnaryOpFunctorIfLi2ELi1ELi1EEEJNS0_10ReciprocalIfEEEEEvT_T0_DpT1_
                                        ; -- End function
	.section	.AMDGPU.csdata,"",@progbits
; Kernel info:
; codeLenInByte = 2084
; NumSgprs: 26
; NumVgprs: 32
; ScratchSize: 0
; MemoryBound: 0
; FloatMode: 240
; IeeeMode: 1
; LDSByteSize: 0 bytes/workgroup (compile time only)
; SGPRBlocks: 3
; VGPRBlocks: 3
; NumSGPRsForWavesPerEU: 26
; NumVGPRsForWavesPerEU: 32
; Occupancy: 16
; WaveLimiterHint : 0
; COMPUTE_PGM_RSRC2:SCRATCH_EN: 0
; COMPUTE_PGM_RSRC2:USER_SGPR: 15
; COMPUTE_PGM_RSRC2:TRAP_HANDLER: 0
; COMPUTE_PGM_RSRC2:TGID_X_EN: 1
; COMPUTE_PGM_RSRC2:TGID_Y_EN: 0
; COMPUTE_PGM_RSRC2:TGID_Z_EN: 0
; COMPUTE_PGM_RSRC2:TIDIG_COMP_CNT: 0
	.section	.text._ZN2at6native12_GLOBAL__N_125multi_tensor_apply_kernelINS1_18TensorListMetadataILi2EEENS1_14UnaryOpFunctorIN3c107complexIdEELi2ELi1ELi1EEEJNS0_10ReciprocalIS8_EEEEEvT_T0_DpT1_,"axG",@progbits,_ZN2at6native12_GLOBAL__N_125multi_tensor_apply_kernelINS1_18TensorListMetadataILi2EEENS1_14UnaryOpFunctorIN3c107complexIdEELi2ELi1ELi1EEEJNS0_10ReciprocalIS8_EEEEEvT_T0_DpT1_,comdat
	.globl	_ZN2at6native12_GLOBAL__N_125multi_tensor_apply_kernelINS1_18TensorListMetadataILi2EEENS1_14UnaryOpFunctorIN3c107complexIdEELi2ELi1ELi1EEEJNS0_10ReciprocalIS8_EEEEEvT_T0_DpT1_ ; -- Begin function _ZN2at6native12_GLOBAL__N_125multi_tensor_apply_kernelINS1_18TensorListMetadataILi2EEENS1_14UnaryOpFunctorIN3c107complexIdEELi2ELi1ELi1EEEJNS0_10ReciprocalIS8_EEEEEvT_T0_DpT1_
	.p2align	8
	.type	_ZN2at6native12_GLOBAL__N_125multi_tensor_apply_kernelINS1_18TensorListMetadataILi2EEENS1_14UnaryOpFunctorIN3c107complexIdEELi2ELi1ELi1EEEJNS0_10ReciprocalIS8_EEEEEvT_T0_DpT1_,@function
_ZN2at6native12_GLOBAL__N_125multi_tensor_apply_kernelINS1_18TensorListMetadataILi2EEENS1_14UnaryOpFunctorIN3c107complexIdEELi2ELi1ELi1EEEJNS0_10ReciprocalIS8_EEEEEvT_T0_DpT1_: ; @_ZN2at6native12_GLOBAL__N_125multi_tensor_apply_kernelINS1_18TensorListMetadataILi2EEENS1_14UnaryOpFunctorIN3c107complexIdEELi2ELi1ELi1EEEJNS0_10ReciprocalIS8_EEEEEvT_T0_DpT1_
; %bb.0:
	v_mov_b32_e32 v1, s15
	s_add_u32 s2, s0, s15
	s_mul_hi_u32 s3, s15, 3
	s_mul_i32 s15, s15, 3
	s_addc_u32 s4, s1, 0
	global_load_u8 v1, v1, s[0:1] offset:1536
	s_add_u32 s2, s2, s15
	s_addc_u32 s3, s4, s3
	s_mov_b32 s23, 0
	s_load_b32 s12, s[2:3], 0x740
	s_mov_b32 s25, s23
	s_mov_b32 s27, s23
	s_waitcnt lgkmcnt(0)
	s_ashr_i32 s13, s12, 31
	s_delay_alu instid0(SALU_CYCLE_1) | instskip(SKIP_2) | instid1(VALU_DEP_1)
	s_lshl_b64 s[6:7], s[12:13], 20
	s_waitcnt vmcnt(0)
	v_readfirstlane_b32 s2, v1
	s_lshl_b32 s2, s2, 3
	s_clause 0x3
	s_load_b64 s[4:5], s[0:1], s2 offset:0x0
	s_load_b64 s[18:19], s[0:1], s2 offset:0x200
	;; [unrolled: 1-line block ×3, first 2 shown]
	s_load_b128 s[8:11], s[0:1], 0xc50
	s_mov_b32 s2, -1
	s_waitcnt lgkmcnt(0)
	s_add_u32 s3, s4, s6
	s_addc_u32 s14, s5, s7
	s_add_u32 s15, s18, s6
	s_addc_u32 s16, s19, s7
	s_and_b32 s24, s3, 63
	s_and_b32 s26, s20, 3
	;; [unrolled: 1-line block ×3, first 2 shown]
	s_or_b64 s[24:25], s[24:25], s[26:27]
	s_lshl_b64 s[12:13], s[12:13], 16
	s_or_b64 s[22:23], s[22:23], s[24:25]
	s_sub_u32 s12, s20, s12
	s_subb_u32 s13, s21, s13
	s_cmp_eq_u64 s[22:23], 0
	s_cbranch_scc0 .LBB276_37
; %bb.1:
	v_dual_mov_b32 v22, 0 :: v_dual_lshlrev_b32 v21, 2, v0
	s_mov_b32 s17, exec_lo
	s_delay_alu instid0(VALU_DEP_1)
	v_cmpx_gt_i64_e64 s[12:13], v[21:22]
	s_cbranch_execz .LBB276_36
; %bb.2:
	s_load_b32 s2, s[0:1], 0xc6c
	v_lshlrev_b32_e32 v27, 6, v0
	s_mov_b32 s20, 0
	s_waitcnt lgkmcnt(0)
	s_and_b32 s2, s2, 0xffff
	s_delay_alu instid0(SALU_CYCLE_1)
	v_add_lshl_u32 v21, v0, s2, 2
	s_lshl_b32 s21, s2, 2
	s_lshl_b32 s22, s2, 6
	s_branch .LBB276_4
.LBB276_3:                              ;   in Loop: Header=BB276_4 Depth=1
	s_or_b32 exec_lo, exec_lo, s2
	v_cmp_le_i64_e32 vcc_lo, s[12:13], v[21:22]
	v_cmp_lt_u64_e64 s2, 0xffff, v[21:22]
	v_add_co_u32 v5, s23, s15, v27
	s_delay_alu instid0(VALU_DEP_1)
	v_add_co_ci_u32_e64 v6, null, s16, 0, s23
	s_clause 0x1
	global_store_b128 v[5:6], v[1:4], off
	global_store_b128 v[5:6], v[9:12], off offset:16
	s_or_b32 s2, vcc_lo, s2
	s_add_u32 s3, s3, s22
	v_add_co_u32 v21, vcc_lo, v21, s21
	s_addc_u32 s14, s14, 0
	s_add_u32 s15, s15, s22
	v_add_co_ci_u32_e32 v22, vcc_lo, 0, v22, vcc_lo
	s_addc_u32 s16, s16, 0
	s_and_b32 s2, exec_lo, s2
	s_clause 0x1
	global_store_b128 v[5:6], v[17:20], off offset:32
	global_store_b128 v[5:6], v[13:16], off offset:48
	s_or_b32 s20, s2, s20
	s_delay_alu instid0(SALU_CYCLE_1)
	s_and_not1_b32 exec_lo, exec_lo, s20
	s_cbranch_execz .LBB276_36
.LBB276_4:                              ; =>This Inner Loop Header: Depth=1
	v_add_co_u32 v1, s2, s3, v27
	s_delay_alu instid0(VALU_DEP_1)
	v_add_co_ci_u32_e64 v2, null, s14, 0, s2
                                        ; implicit-def: $vgpr3_vgpr4
	s_mov_b32 s2, exec_lo
	s_clause 0x3
	global_load_b128 v[9:12], v[1:2], off
	global_load_b128 v[17:20], v[1:2], off offset:16
	global_load_b128 v[5:8], v[1:2], off offset:48
	;; [unrolled: 1-line block ×3, first 2 shown]
	s_waitcnt vmcnt(3)
	v_cmp_gt_f64_e32 vcc_lo, 0, v[9:10]
	v_xor_b32_e32 v1, 0x80000000, v10
	v_mov_b32_e32 v23, v9
	v_xor_b32_e32 v2, 0x80000000, v12
	s_delay_alu instid0(VALU_DEP_3) | instskip(SKIP_1) | instid1(VALU_DEP_3)
	v_dual_mov_b32 v25, v11 :: v_dual_cndmask_b32 v24, v10, v1
	v_cmp_gt_f64_e32 vcc_lo, 0, v[11:12]
	v_cndmask_b32_e32 v26, v12, v2, vcc_lo
	s_delay_alu instid0(VALU_DEP_1)
	v_cmpx_ge_f64_e32 v[23:24], v[25:26]
	s_xor_b32 s23, exec_lo, s2
	s_cbranch_execz .LBB276_10
; %bb.5:                                ;   in Loop: Header=BB276_4 Depth=1
	v_cmp_neq_f64_e32 vcc_lo, 0, v[9:10]
	v_cmp_neq_f64_e64 s2, 0, v[11:12]
                                        ; implicit-def: $vgpr3_vgpr4
	s_delay_alu instid0(VALU_DEP_1) | instskip(NEXT) | instid1(SALU_CYCLE_1)
	s_or_b32 s2, vcc_lo, s2
	s_and_saveexec_b32 s24, s2
	s_delay_alu instid0(SALU_CYCLE_1)
	s_xor_b32 s2, exec_lo, s24
	s_cbranch_execz .LBB276_7
; %bb.6:                                ;   in Loop: Header=BB276_4 Depth=1
	v_div_scale_f64 v[1:2], null, v[9:10], v[9:10], v[11:12]
	v_div_scale_f64 v[25:26], vcc_lo, v[11:12], v[9:10], v[11:12]
	s_delay_alu instid0(VALU_DEP_2) | instskip(SKIP_2) | instid1(VALU_DEP_1)
	v_rcp_f64_e32 v[3:4], v[1:2]
	s_waitcnt_depctr 0xfff
	v_fma_f64 v[23:24], -v[1:2], v[3:4], 1.0
	v_fma_f64 v[3:4], v[3:4], v[23:24], v[3:4]
	s_delay_alu instid0(VALU_DEP_1) | instskip(NEXT) | instid1(VALU_DEP_1)
	v_fma_f64 v[23:24], -v[1:2], v[3:4], 1.0
	v_fma_f64 v[3:4], v[3:4], v[23:24], v[3:4]
	s_delay_alu instid0(VALU_DEP_1) | instskip(NEXT) | instid1(VALU_DEP_1)
	v_mul_f64 v[23:24], v[25:26], v[3:4]
	v_fma_f64 v[1:2], -v[1:2], v[23:24], v[25:26]
	s_delay_alu instid0(VALU_DEP_1) | instskip(NEXT) | instid1(VALU_DEP_1)
	v_div_fmas_f64 v[1:2], v[1:2], v[3:4], v[23:24]
	v_div_fixup_f64 v[1:2], v[1:2], v[9:10], v[11:12]
	s_delay_alu instid0(VALU_DEP_1) | instskip(NEXT) | instid1(VALU_DEP_1)
	v_fma_f64 v[3:4], v[11:12], v[1:2], v[9:10]
	v_div_scale_f64 v[9:10], null, v[3:4], v[3:4], 1.0
	v_div_scale_f64 v[25:26], vcc_lo, 1.0, v[3:4], 1.0
	s_delay_alu instid0(VALU_DEP_2) | instskip(SKIP_2) | instid1(VALU_DEP_1)
	v_rcp_f64_e32 v[11:12], v[9:10]
	s_waitcnt_depctr 0xfff
	v_fma_f64 v[23:24], -v[9:10], v[11:12], 1.0
	v_fma_f64 v[11:12], v[11:12], v[23:24], v[11:12]
	s_delay_alu instid0(VALU_DEP_1) | instskip(NEXT) | instid1(VALU_DEP_1)
	v_fma_f64 v[23:24], -v[9:10], v[11:12], 1.0
	v_fma_f64 v[11:12], v[11:12], v[23:24], v[11:12]
	s_delay_alu instid0(VALU_DEP_1) | instskip(NEXT) | instid1(VALU_DEP_1)
	v_mul_f64 v[23:24], v[25:26], v[11:12]
	v_fma_f64 v[9:10], -v[9:10], v[23:24], v[25:26]
                                        ; implicit-def: $vgpr25_vgpr26
	s_delay_alu instid0(VALU_DEP_1) | instskip(SKIP_1) | instid1(VALU_DEP_2)
	v_div_fmas_f64 v[9:10], v[9:10], v[11:12], v[23:24]
	v_fma_f64 v[11:12], s[10:11], v[1:2], s[8:9]
                                        ; implicit-def: $vgpr23_vgpr24
	v_div_fixup_f64 v[3:4], v[9:10], v[3:4], 1.0
	v_fma_f64 v[9:10], -s[8:9], v[1:2], s[10:11]
	s_delay_alu instid0(VALU_DEP_2) | instskip(NEXT) | instid1(VALU_DEP_2)
	v_mul_f64 v[1:2], v[11:12], v[3:4]
	v_mul_f64 v[3:4], v[9:10], v[3:4]
.LBB276_7:                              ;   in Loop: Header=BB276_4 Depth=1
	s_and_not1_saveexec_b32 s24, s2
	s_cbranch_execz .LBB276_9
; %bb.8:                                ;   in Loop: Header=BB276_4 Depth=1
	v_div_scale_f64 v[1:2], null, v[23:24], v[23:24], s[8:9]
	v_div_scale_f64 v[3:4], null, v[25:26], v[25:26], s[10:11]
	v_div_scale_f64 v[32:33], vcc_lo, s[8:9], v[23:24], s[8:9]
	s_delay_alu instid0(VALU_DEP_3) | instskip(NEXT) | instid1(VALU_DEP_2)
	v_rcp_f64_e32 v[9:10], v[1:2]
	v_rcp_f64_e32 v[11:12], v[3:4]
	s_waitcnt_depctr 0xfff
	v_fma_f64 v[28:29], -v[1:2], v[9:10], 1.0
	v_fma_f64 v[30:31], -v[3:4], v[11:12], 1.0
	s_delay_alu instid0(VALU_DEP_2) | instskip(NEXT) | instid1(VALU_DEP_2)
	v_fma_f64 v[9:10], v[9:10], v[28:29], v[9:10]
	v_fma_f64 v[11:12], v[11:12], v[30:31], v[11:12]
	s_delay_alu instid0(VALU_DEP_2) | instskip(NEXT) | instid1(VALU_DEP_2)
	v_fma_f64 v[28:29], -v[1:2], v[9:10], 1.0
	v_fma_f64 v[30:31], -v[3:4], v[11:12], 1.0
	s_delay_alu instid0(VALU_DEP_2) | instskip(SKIP_1) | instid1(VALU_DEP_3)
	v_fma_f64 v[9:10], v[9:10], v[28:29], v[9:10]
	v_div_scale_f64 v[28:29], s2, s[10:11], v[25:26], s[10:11]
	v_fma_f64 v[11:12], v[11:12], v[30:31], v[11:12]
	s_delay_alu instid0(VALU_DEP_3) | instskip(NEXT) | instid1(VALU_DEP_2)
	v_mul_f64 v[30:31], v[32:33], v[9:10]
	v_mul_f64 v[34:35], v[28:29], v[11:12]
	s_delay_alu instid0(VALU_DEP_2) | instskip(NEXT) | instid1(VALU_DEP_2)
	v_fma_f64 v[1:2], -v[1:2], v[30:31], v[32:33]
	v_fma_f64 v[3:4], -v[3:4], v[34:35], v[28:29]
	s_delay_alu instid0(VALU_DEP_2) | instskip(SKIP_1) | instid1(VALU_DEP_2)
	v_div_fmas_f64 v[1:2], v[1:2], v[9:10], v[30:31]
	s_mov_b32 vcc_lo, s2
	v_div_fmas_f64 v[3:4], v[3:4], v[11:12], v[34:35]
	s_delay_alu instid0(VALU_DEP_2) | instskip(NEXT) | instid1(VALU_DEP_2)
	v_div_fixup_f64 v[1:2], v[1:2], v[23:24], s[8:9]
	v_div_fixup_f64 v[3:4], v[3:4], v[25:26], s[10:11]
.LBB276_9:                              ;   in Loop: Header=BB276_4 Depth=1
	s_or_b32 exec_lo, exec_lo, s24
                                        ; implicit-def: $vgpr11_vgpr12
.LBB276_10:                             ;   in Loop: Header=BB276_4 Depth=1
	s_and_not1_saveexec_b32 s2, s23
	s_cbranch_execz .LBB276_12
; %bb.11:                               ;   in Loop: Header=BB276_4 Depth=1
	v_div_scale_f64 v[1:2], null, v[11:12], v[11:12], v[9:10]
	v_div_scale_f64 v[25:26], vcc_lo, v[9:10], v[11:12], v[9:10]
	s_delay_alu instid0(VALU_DEP_2) | instskip(SKIP_2) | instid1(VALU_DEP_1)
	v_rcp_f64_e32 v[3:4], v[1:2]
	s_waitcnt_depctr 0xfff
	v_fma_f64 v[23:24], -v[1:2], v[3:4], 1.0
	v_fma_f64 v[3:4], v[3:4], v[23:24], v[3:4]
	s_delay_alu instid0(VALU_DEP_1) | instskip(NEXT) | instid1(VALU_DEP_1)
	v_fma_f64 v[23:24], -v[1:2], v[3:4], 1.0
	v_fma_f64 v[3:4], v[3:4], v[23:24], v[3:4]
	s_delay_alu instid0(VALU_DEP_1) | instskip(NEXT) | instid1(VALU_DEP_1)
	v_mul_f64 v[23:24], v[25:26], v[3:4]
	v_fma_f64 v[1:2], -v[1:2], v[23:24], v[25:26]
	s_delay_alu instid0(VALU_DEP_1) | instskip(NEXT) | instid1(VALU_DEP_1)
	v_div_fmas_f64 v[1:2], v[1:2], v[3:4], v[23:24]
	v_div_fixup_f64 v[1:2], v[1:2], v[11:12], v[9:10]
	s_delay_alu instid0(VALU_DEP_1) | instskip(NEXT) | instid1(VALU_DEP_1)
	v_fma_f64 v[3:4], v[9:10], v[1:2], v[11:12]
	v_div_scale_f64 v[9:10], null, v[3:4], v[3:4], 1.0
	v_div_scale_f64 v[25:26], vcc_lo, 1.0, v[3:4], 1.0
	s_delay_alu instid0(VALU_DEP_2) | instskip(SKIP_2) | instid1(VALU_DEP_1)
	v_rcp_f64_e32 v[11:12], v[9:10]
	s_waitcnt_depctr 0xfff
	v_fma_f64 v[23:24], -v[9:10], v[11:12], 1.0
	v_fma_f64 v[11:12], v[11:12], v[23:24], v[11:12]
	s_delay_alu instid0(VALU_DEP_1) | instskip(NEXT) | instid1(VALU_DEP_1)
	v_fma_f64 v[23:24], -v[9:10], v[11:12], 1.0
	v_fma_f64 v[11:12], v[11:12], v[23:24], v[11:12]
	s_delay_alu instid0(VALU_DEP_1) | instskip(NEXT) | instid1(VALU_DEP_1)
	v_mul_f64 v[23:24], v[25:26], v[11:12]
	v_fma_f64 v[9:10], -v[9:10], v[23:24], v[25:26]
	s_delay_alu instid0(VALU_DEP_1) | instskip(SKIP_1) | instid1(VALU_DEP_2)
	v_div_fmas_f64 v[9:10], v[9:10], v[11:12], v[23:24]
	v_fma_f64 v[11:12], s[8:9], v[1:2], s[10:11]
	v_div_fixup_f64 v[3:4], v[9:10], v[3:4], 1.0
	v_fma_f64 v[9:10], s[10:11], v[1:2], -s[8:9]
	s_delay_alu instid0(VALU_DEP_2) | instskip(NEXT) | instid1(VALU_DEP_2)
	v_mul_f64 v[1:2], v[11:12], v[3:4]
	v_mul_f64 v[3:4], v[9:10], v[3:4]
.LBB276_12:                             ;   in Loop: Header=BB276_4 Depth=1
	s_or_b32 exec_lo, exec_lo, s2
	s_waitcnt vmcnt(2)
	v_cmp_gt_f64_e32 vcc_lo, 0, v[17:18]
	v_xor_b32_e32 v9, 0x80000000, v18
	v_mov_b32_e32 v23, v17
	v_xor_b32_e32 v10, 0x80000000, v20
                                        ; implicit-def: $vgpr11_vgpr12
	s_mov_b32 s2, exec_lo
	s_delay_alu instid0(VALU_DEP_3) | instskip(SKIP_1) | instid1(VALU_DEP_3)
	v_dual_mov_b32 v25, v19 :: v_dual_cndmask_b32 v24, v18, v9
	v_cmp_gt_f64_e32 vcc_lo, 0, v[19:20]
	v_cndmask_b32_e32 v26, v20, v10, vcc_lo
	s_delay_alu instid0(VALU_DEP_1)
	v_cmpx_ge_f64_e32 v[23:24], v[25:26]
	s_xor_b32 s23, exec_lo, s2
	s_cbranch_execz .LBB276_18
; %bb.13:                               ;   in Loop: Header=BB276_4 Depth=1
	v_cmp_neq_f64_e32 vcc_lo, 0, v[17:18]
	v_cmp_neq_f64_e64 s2, 0, v[19:20]
                                        ; implicit-def: $vgpr11_vgpr12
	s_delay_alu instid0(VALU_DEP_1) | instskip(NEXT) | instid1(SALU_CYCLE_1)
	s_or_b32 s2, vcc_lo, s2
	s_and_saveexec_b32 s24, s2
	s_delay_alu instid0(SALU_CYCLE_1)
	s_xor_b32 s2, exec_lo, s24
	s_cbranch_execz .LBB276_15
; %bb.14:                               ;   in Loop: Header=BB276_4 Depth=1
	v_div_scale_f64 v[9:10], null, v[17:18], v[17:18], v[19:20]
	v_div_scale_f64 v[25:26], vcc_lo, v[19:20], v[17:18], v[19:20]
	s_delay_alu instid0(VALU_DEP_2) | instskip(SKIP_2) | instid1(VALU_DEP_1)
	v_rcp_f64_e32 v[11:12], v[9:10]
	s_waitcnt_depctr 0xfff
	v_fma_f64 v[23:24], -v[9:10], v[11:12], 1.0
	v_fma_f64 v[11:12], v[11:12], v[23:24], v[11:12]
	s_delay_alu instid0(VALU_DEP_1) | instskip(NEXT) | instid1(VALU_DEP_1)
	v_fma_f64 v[23:24], -v[9:10], v[11:12], 1.0
	v_fma_f64 v[11:12], v[11:12], v[23:24], v[11:12]
	s_delay_alu instid0(VALU_DEP_1) | instskip(NEXT) | instid1(VALU_DEP_1)
	v_mul_f64 v[23:24], v[25:26], v[11:12]
	v_fma_f64 v[9:10], -v[9:10], v[23:24], v[25:26]
	s_delay_alu instid0(VALU_DEP_1) | instskip(NEXT) | instid1(VALU_DEP_1)
	v_div_fmas_f64 v[9:10], v[9:10], v[11:12], v[23:24]
	v_div_fixup_f64 v[9:10], v[9:10], v[17:18], v[19:20]
	s_delay_alu instid0(VALU_DEP_1) | instskip(NEXT) | instid1(VALU_DEP_1)
	v_fma_f64 v[11:12], v[19:20], v[9:10], v[17:18]
	v_div_scale_f64 v[17:18], null, v[11:12], v[11:12], 1.0
	v_div_scale_f64 v[25:26], vcc_lo, 1.0, v[11:12], 1.0
	s_delay_alu instid0(VALU_DEP_2) | instskip(SKIP_2) | instid1(VALU_DEP_1)
	v_rcp_f64_e32 v[19:20], v[17:18]
	s_waitcnt_depctr 0xfff
	v_fma_f64 v[23:24], -v[17:18], v[19:20], 1.0
	v_fma_f64 v[19:20], v[19:20], v[23:24], v[19:20]
	s_delay_alu instid0(VALU_DEP_1) | instskip(NEXT) | instid1(VALU_DEP_1)
	v_fma_f64 v[23:24], -v[17:18], v[19:20], 1.0
	v_fma_f64 v[19:20], v[19:20], v[23:24], v[19:20]
	s_delay_alu instid0(VALU_DEP_1) | instskip(NEXT) | instid1(VALU_DEP_1)
	v_mul_f64 v[23:24], v[25:26], v[19:20]
	v_fma_f64 v[17:18], -v[17:18], v[23:24], v[25:26]
                                        ; implicit-def: $vgpr25_vgpr26
	s_delay_alu instid0(VALU_DEP_1) | instskip(SKIP_1) | instid1(VALU_DEP_2)
	v_div_fmas_f64 v[17:18], v[17:18], v[19:20], v[23:24]
	v_fma_f64 v[19:20], s[10:11], v[9:10], s[8:9]
                                        ; implicit-def: $vgpr23_vgpr24
	v_div_fixup_f64 v[11:12], v[17:18], v[11:12], 1.0
	v_fma_f64 v[17:18], -s[8:9], v[9:10], s[10:11]
	s_delay_alu instid0(VALU_DEP_2) | instskip(NEXT) | instid1(VALU_DEP_2)
	v_mul_f64 v[9:10], v[19:20], v[11:12]
	v_mul_f64 v[11:12], v[17:18], v[11:12]
.LBB276_15:                             ;   in Loop: Header=BB276_4 Depth=1
	s_and_not1_saveexec_b32 s24, s2
	s_cbranch_execz .LBB276_17
; %bb.16:                               ;   in Loop: Header=BB276_4 Depth=1
	v_div_scale_f64 v[9:10], null, v[23:24], v[23:24], s[8:9]
	v_div_scale_f64 v[11:12], null, v[25:26], v[25:26], s[10:11]
	v_div_scale_f64 v[32:33], vcc_lo, s[8:9], v[23:24], s[8:9]
	s_delay_alu instid0(VALU_DEP_3) | instskip(NEXT) | instid1(VALU_DEP_2)
	v_rcp_f64_e32 v[17:18], v[9:10]
	v_rcp_f64_e32 v[19:20], v[11:12]
	s_waitcnt_depctr 0xfff
	v_fma_f64 v[28:29], -v[9:10], v[17:18], 1.0
	v_fma_f64 v[30:31], -v[11:12], v[19:20], 1.0
	s_delay_alu instid0(VALU_DEP_2) | instskip(NEXT) | instid1(VALU_DEP_2)
	v_fma_f64 v[17:18], v[17:18], v[28:29], v[17:18]
	v_fma_f64 v[19:20], v[19:20], v[30:31], v[19:20]
	s_delay_alu instid0(VALU_DEP_2) | instskip(NEXT) | instid1(VALU_DEP_2)
	v_fma_f64 v[28:29], -v[9:10], v[17:18], 1.0
	v_fma_f64 v[30:31], -v[11:12], v[19:20], 1.0
	s_delay_alu instid0(VALU_DEP_2) | instskip(SKIP_1) | instid1(VALU_DEP_3)
	v_fma_f64 v[17:18], v[17:18], v[28:29], v[17:18]
	v_div_scale_f64 v[28:29], s2, s[10:11], v[25:26], s[10:11]
	v_fma_f64 v[19:20], v[19:20], v[30:31], v[19:20]
	s_delay_alu instid0(VALU_DEP_3) | instskip(NEXT) | instid1(VALU_DEP_2)
	v_mul_f64 v[30:31], v[32:33], v[17:18]
	v_mul_f64 v[34:35], v[28:29], v[19:20]
	s_delay_alu instid0(VALU_DEP_2) | instskip(NEXT) | instid1(VALU_DEP_2)
	v_fma_f64 v[9:10], -v[9:10], v[30:31], v[32:33]
	v_fma_f64 v[11:12], -v[11:12], v[34:35], v[28:29]
	s_delay_alu instid0(VALU_DEP_2) | instskip(SKIP_1) | instid1(VALU_DEP_2)
	v_div_fmas_f64 v[9:10], v[9:10], v[17:18], v[30:31]
	s_mov_b32 vcc_lo, s2
	v_div_fmas_f64 v[11:12], v[11:12], v[19:20], v[34:35]
	s_delay_alu instid0(VALU_DEP_2) | instskip(NEXT) | instid1(VALU_DEP_2)
	v_div_fixup_f64 v[9:10], v[9:10], v[23:24], s[8:9]
	v_div_fixup_f64 v[11:12], v[11:12], v[25:26], s[10:11]
.LBB276_17:                             ;   in Loop: Header=BB276_4 Depth=1
	s_or_b32 exec_lo, exec_lo, s24
                                        ; implicit-def: $vgpr19_vgpr20
.LBB276_18:                             ;   in Loop: Header=BB276_4 Depth=1
	s_and_not1_saveexec_b32 s2, s23
	s_cbranch_execz .LBB276_20
; %bb.19:                               ;   in Loop: Header=BB276_4 Depth=1
	v_div_scale_f64 v[9:10], null, v[19:20], v[19:20], v[17:18]
	v_div_scale_f64 v[25:26], vcc_lo, v[17:18], v[19:20], v[17:18]
	s_delay_alu instid0(VALU_DEP_2) | instskip(SKIP_2) | instid1(VALU_DEP_1)
	v_rcp_f64_e32 v[11:12], v[9:10]
	s_waitcnt_depctr 0xfff
	v_fma_f64 v[23:24], -v[9:10], v[11:12], 1.0
	v_fma_f64 v[11:12], v[11:12], v[23:24], v[11:12]
	s_delay_alu instid0(VALU_DEP_1) | instskip(NEXT) | instid1(VALU_DEP_1)
	v_fma_f64 v[23:24], -v[9:10], v[11:12], 1.0
	v_fma_f64 v[11:12], v[11:12], v[23:24], v[11:12]
	s_delay_alu instid0(VALU_DEP_1) | instskip(NEXT) | instid1(VALU_DEP_1)
	v_mul_f64 v[23:24], v[25:26], v[11:12]
	v_fma_f64 v[9:10], -v[9:10], v[23:24], v[25:26]
	s_delay_alu instid0(VALU_DEP_1) | instskip(NEXT) | instid1(VALU_DEP_1)
	v_div_fmas_f64 v[9:10], v[9:10], v[11:12], v[23:24]
	v_div_fixup_f64 v[9:10], v[9:10], v[19:20], v[17:18]
	s_delay_alu instid0(VALU_DEP_1) | instskip(NEXT) | instid1(VALU_DEP_1)
	v_fma_f64 v[11:12], v[17:18], v[9:10], v[19:20]
	v_div_scale_f64 v[17:18], null, v[11:12], v[11:12], 1.0
	v_div_scale_f64 v[25:26], vcc_lo, 1.0, v[11:12], 1.0
	s_delay_alu instid0(VALU_DEP_2) | instskip(SKIP_2) | instid1(VALU_DEP_1)
	v_rcp_f64_e32 v[19:20], v[17:18]
	s_waitcnt_depctr 0xfff
	v_fma_f64 v[23:24], -v[17:18], v[19:20], 1.0
	v_fma_f64 v[19:20], v[19:20], v[23:24], v[19:20]
	s_delay_alu instid0(VALU_DEP_1) | instskip(NEXT) | instid1(VALU_DEP_1)
	v_fma_f64 v[23:24], -v[17:18], v[19:20], 1.0
	v_fma_f64 v[19:20], v[19:20], v[23:24], v[19:20]
	s_delay_alu instid0(VALU_DEP_1) | instskip(NEXT) | instid1(VALU_DEP_1)
	v_mul_f64 v[23:24], v[25:26], v[19:20]
	v_fma_f64 v[17:18], -v[17:18], v[23:24], v[25:26]
	s_delay_alu instid0(VALU_DEP_1) | instskip(SKIP_1) | instid1(VALU_DEP_2)
	v_div_fmas_f64 v[17:18], v[17:18], v[19:20], v[23:24]
	v_fma_f64 v[19:20], s[8:9], v[9:10], s[10:11]
	v_div_fixup_f64 v[11:12], v[17:18], v[11:12], 1.0
	v_fma_f64 v[17:18], s[10:11], v[9:10], -s[8:9]
	s_delay_alu instid0(VALU_DEP_2) | instskip(NEXT) | instid1(VALU_DEP_2)
	v_mul_f64 v[9:10], v[19:20], v[11:12]
	v_mul_f64 v[11:12], v[17:18], v[11:12]
.LBB276_20:                             ;   in Loop: Header=BB276_4 Depth=1
	s_or_b32 exec_lo, exec_lo, s2
	s_waitcnt vmcnt(0)
	v_cmp_gt_f64_e32 vcc_lo, 0, v[13:14]
	v_xor_b32_e32 v17, 0x80000000, v14
	v_mov_b32_e32 v23, v13
	v_xor_b32_e32 v18, 0x80000000, v16
                                        ; implicit-def: $vgpr19_vgpr20
	s_mov_b32 s2, exec_lo
	s_delay_alu instid0(VALU_DEP_3) | instskip(SKIP_1) | instid1(VALU_DEP_3)
	v_dual_mov_b32 v25, v15 :: v_dual_cndmask_b32 v24, v14, v17
	v_cmp_gt_f64_e32 vcc_lo, 0, v[15:16]
	v_cndmask_b32_e32 v26, v16, v18, vcc_lo
	s_delay_alu instid0(VALU_DEP_1)
	v_cmpx_ge_f64_e32 v[23:24], v[25:26]
	s_xor_b32 s23, exec_lo, s2
	s_cbranch_execz .LBB276_26
; %bb.21:                               ;   in Loop: Header=BB276_4 Depth=1
	v_cmp_neq_f64_e32 vcc_lo, 0, v[13:14]
	v_cmp_neq_f64_e64 s2, 0, v[15:16]
                                        ; implicit-def: $vgpr19_vgpr20
	s_delay_alu instid0(VALU_DEP_1) | instskip(NEXT) | instid1(SALU_CYCLE_1)
	s_or_b32 s2, vcc_lo, s2
	s_and_saveexec_b32 s24, s2
	s_delay_alu instid0(SALU_CYCLE_1)
	s_xor_b32 s2, exec_lo, s24
	s_cbranch_execz .LBB276_23
; %bb.22:                               ;   in Loop: Header=BB276_4 Depth=1
	v_div_scale_f64 v[17:18], null, v[13:14], v[13:14], v[15:16]
	v_div_scale_f64 v[25:26], vcc_lo, v[15:16], v[13:14], v[15:16]
	s_delay_alu instid0(VALU_DEP_2) | instskip(SKIP_2) | instid1(VALU_DEP_1)
	v_rcp_f64_e32 v[19:20], v[17:18]
	s_waitcnt_depctr 0xfff
	v_fma_f64 v[23:24], -v[17:18], v[19:20], 1.0
	v_fma_f64 v[19:20], v[19:20], v[23:24], v[19:20]
	s_delay_alu instid0(VALU_DEP_1) | instskip(NEXT) | instid1(VALU_DEP_1)
	v_fma_f64 v[23:24], -v[17:18], v[19:20], 1.0
	v_fma_f64 v[19:20], v[19:20], v[23:24], v[19:20]
	s_delay_alu instid0(VALU_DEP_1) | instskip(NEXT) | instid1(VALU_DEP_1)
	v_mul_f64 v[23:24], v[25:26], v[19:20]
	v_fma_f64 v[17:18], -v[17:18], v[23:24], v[25:26]
	s_delay_alu instid0(VALU_DEP_1) | instskip(NEXT) | instid1(VALU_DEP_1)
	v_div_fmas_f64 v[17:18], v[17:18], v[19:20], v[23:24]
	v_div_fixup_f64 v[17:18], v[17:18], v[13:14], v[15:16]
	s_delay_alu instid0(VALU_DEP_1) | instskip(NEXT) | instid1(VALU_DEP_1)
	v_fma_f64 v[13:14], v[15:16], v[17:18], v[13:14]
	v_div_scale_f64 v[15:16], null, v[13:14], v[13:14], 1.0
	v_div_scale_f64 v[25:26], vcc_lo, 1.0, v[13:14], 1.0
	s_delay_alu instid0(VALU_DEP_2) | instskip(SKIP_2) | instid1(VALU_DEP_1)
	v_rcp_f64_e32 v[19:20], v[15:16]
	s_waitcnt_depctr 0xfff
	v_fma_f64 v[23:24], -v[15:16], v[19:20], 1.0
	v_fma_f64 v[19:20], v[19:20], v[23:24], v[19:20]
	s_delay_alu instid0(VALU_DEP_1) | instskip(NEXT) | instid1(VALU_DEP_1)
	v_fma_f64 v[23:24], -v[15:16], v[19:20], 1.0
	v_fma_f64 v[19:20], v[19:20], v[23:24], v[19:20]
	s_delay_alu instid0(VALU_DEP_1) | instskip(NEXT) | instid1(VALU_DEP_1)
	v_mul_f64 v[23:24], v[25:26], v[19:20]
	v_fma_f64 v[15:16], -v[15:16], v[23:24], v[25:26]
                                        ; implicit-def: $vgpr25_vgpr26
	s_delay_alu instid0(VALU_DEP_1) | instskip(SKIP_1) | instid1(VALU_DEP_2)
	v_div_fmas_f64 v[15:16], v[15:16], v[19:20], v[23:24]
	v_fma_f64 v[19:20], s[10:11], v[17:18], s[8:9]
                                        ; implicit-def: $vgpr23_vgpr24
	v_div_fixup_f64 v[13:14], v[15:16], v[13:14], 1.0
	v_fma_f64 v[15:16], -s[8:9], v[17:18], s[10:11]
	s_delay_alu instid0(VALU_DEP_2) | instskip(NEXT) | instid1(VALU_DEP_2)
	v_mul_f64 v[17:18], v[19:20], v[13:14]
	v_mul_f64 v[19:20], v[15:16], v[13:14]
.LBB276_23:                             ;   in Loop: Header=BB276_4 Depth=1
	s_and_not1_saveexec_b32 s24, s2
	s_cbranch_execz .LBB276_25
; %bb.24:                               ;   in Loop: Header=BB276_4 Depth=1
	v_div_scale_f64 v[13:14], null, v[23:24], v[23:24], s[8:9]
	v_div_scale_f64 v[15:16], null, v[25:26], v[25:26], s[10:11]
	v_div_scale_f64 v[32:33], vcc_lo, s[8:9], v[23:24], s[8:9]
	s_delay_alu instid0(VALU_DEP_3) | instskip(NEXT) | instid1(VALU_DEP_2)
	v_rcp_f64_e32 v[17:18], v[13:14]
	v_rcp_f64_e32 v[19:20], v[15:16]
	s_waitcnt_depctr 0xfff
	v_fma_f64 v[28:29], -v[13:14], v[17:18], 1.0
	v_fma_f64 v[30:31], -v[15:16], v[19:20], 1.0
	s_delay_alu instid0(VALU_DEP_2) | instskip(NEXT) | instid1(VALU_DEP_2)
	v_fma_f64 v[17:18], v[17:18], v[28:29], v[17:18]
	v_fma_f64 v[19:20], v[19:20], v[30:31], v[19:20]
	s_delay_alu instid0(VALU_DEP_2) | instskip(NEXT) | instid1(VALU_DEP_2)
	v_fma_f64 v[28:29], -v[13:14], v[17:18], 1.0
	v_fma_f64 v[30:31], -v[15:16], v[19:20], 1.0
	s_delay_alu instid0(VALU_DEP_2) | instskip(SKIP_1) | instid1(VALU_DEP_3)
	v_fma_f64 v[17:18], v[17:18], v[28:29], v[17:18]
	v_div_scale_f64 v[28:29], s2, s[10:11], v[25:26], s[10:11]
	v_fma_f64 v[19:20], v[19:20], v[30:31], v[19:20]
	s_delay_alu instid0(VALU_DEP_3) | instskip(NEXT) | instid1(VALU_DEP_2)
	v_mul_f64 v[30:31], v[32:33], v[17:18]
	v_mul_f64 v[34:35], v[28:29], v[19:20]
	s_delay_alu instid0(VALU_DEP_2) | instskip(NEXT) | instid1(VALU_DEP_2)
	v_fma_f64 v[13:14], -v[13:14], v[30:31], v[32:33]
	v_fma_f64 v[15:16], -v[15:16], v[34:35], v[28:29]
	s_delay_alu instid0(VALU_DEP_2) | instskip(SKIP_1) | instid1(VALU_DEP_2)
	v_div_fmas_f64 v[13:14], v[13:14], v[17:18], v[30:31]
	s_mov_b32 vcc_lo, s2
	v_div_fmas_f64 v[15:16], v[15:16], v[19:20], v[34:35]
	s_delay_alu instid0(VALU_DEP_2) | instskip(NEXT) | instid1(VALU_DEP_2)
	v_div_fixup_f64 v[17:18], v[13:14], v[23:24], s[8:9]
	v_div_fixup_f64 v[19:20], v[15:16], v[25:26], s[10:11]
.LBB276_25:                             ;   in Loop: Header=BB276_4 Depth=1
	s_or_b32 exec_lo, exec_lo, s24
                                        ; implicit-def: $vgpr15_vgpr16
.LBB276_26:                             ;   in Loop: Header=BB276_4 Depth=1
	s_and_not1_saveexec_b32 s2, s23
	s_cbranch_execz .LBB276_28
; %bb.27:                               ;   in Loop: Header=BB276_4 Depth=1
	v_div_scale_f64 v[17:18], null, v[15:16], v[15:16], v[13:14]
	v_div_scale_f64 v[25:26], vcc_lo, v[13:14], v[15:16], v[13:14]
	s_delay_alu instid0(VALU_DEP_2) | instskip(SKIP_2) | instid1(VALU_DEP_1)
	v_rcp_f64_e32 v[19:20], v[17:18]
	s_waitcnt_depctr 0xfff
	v_fma_f64 v[23:24], -v[17:18], v[19:20], 1.0
	v_fma_f64 v[19:20], v[19:20], v[23:24], v[19:20]
	s_delay_alu instid0(VALU_DEP_1) | instskip(NEXT) | instid1(VALU_DEP_1)
	v_fma_f64 v[23:24], -v[17:18], v[19:20], 1.0
	v_fma_f64 v[19:20], v[19:20], v[23:24], v[19:20]
	s_delay_alu instid0(VALU_DEP_1) | instskip(NEXT) | instid1(VALU_DEP_1)
	v_mul_f64 v[23:24], v[25:26], v[19:20]
	v_fma_f64 v[17:18], -v[17:18], v[23:24], v[25:26]
	s_delay_alu instid0(VALU_DEP_1) | instskip(NEXT) | instid1(VALU_DEP_1)
	v_div_fmas_f64 v[17:18], v[17:18], v[19:20], v[23:24]
	v_div_fixup_f64 v[17:18], v[17:18], v[15:16], v[13:14]
	s_delay_alu instid0(VALU_DEP_1) | instskip(NEXT) | instid1(VALU_DEP_1)
	v_fma_f64 v[13:14], v[13:14], v[17:18], v[15:16]
	v_div_scale_f64 v[15:16], null, v[13:14], v[13:14], 1.0
	v_div_scale_f64 v[25:26], vcc_lo, 1.0, v[13:14], 1.0
	s_delay_alu instid0(VALU_DEP_2) | instskip(SKIP_2) | instid1(VALU_DEP_1)
	v_rcp_f64_e32 v[19:20], v[15:16]
	s_waitcnt_depctr 0xfff
	v_fma_f64 v[23:24], -v[15:16], v[19:20], 1.0
	v_fma_f64 v[19:20], v[19:20], v[23:24], v[19:20]
	s_delay_alu instid0(VALU_DEP_1) | instskip(NEXT) | instid1(VALU_DEP_1)
	v_fma_f64 v[23:24], -v[15:16], v[19:20], 1.0
	v_fma_f64 v[19:20], v[19:20], v[23:24], v[19:20]
	s_delay_alu instid0(VALU_DEP_1) | instskip(NEXT) | instid1(VALU_DEP_1)
	v_mul_f64 v[23:24], v[25:26], v[19:20]
	v_fma_f64 v[15:16], -v[15:16], v[23:24], v[25:26]
	s_delay_alu instid0(VALU_DEP_1) | instskip(SKIP_1) | instid1(VALU_DEP_2)
	v_div_fmas_f64 v[15:16], v[15:16], v[19:20], v[23:24]
	v_fma_f64 v[19:20], s[8:9], v[17:18], s[10:11]
	v_div_fixup_f64 v[13:14], v[15:16], v[13:14], 1.0
	v_fma_f64 v[15:16], s[10:11], v[17:18], -s[8:9]
	s_delay_alu instid0(VALU_DEP_2) | instskip(NEXT) | instid1(VALU_DEP_2)
	v_mul_f64 v[17:18], v[19:20], v[13:14]
	v_mul_f64 v[19:20], v[15:16], v[13:14]
.LBB276_28:                             ;   in Loop: Header=BB276_4 Depth=1
	s_or_b32 exec_lo, exec_lo, s2
	v_cmp_gt_f64_e32 vcc_lo, 0, v[5:6]
	v_xor_b32_e32 v13, 0x80000000, v6
	v_mov_b32_e32 v23, v5
	v_xor_b32_e32 v14, 0x80000000, v8
                                        ; implicit-def: $vgpr15_vgpr16
	s_mov_b32 s2, exec_lo
	s_delay_alu instid0(VALU_DEP_3) | instskip(SKIP_1) | instid1(VALU_DEP_3)
	v_dual_mov_b32 v25, v7 :: v_dual_cndmask_b32 v24, v6, v13
	v_cmp_gt_f64_e32 vcc_lo, 0, v[7:8]
	v_cndmask_b32_e32 v26, v8, v14, vcc_lo
	s_delay_alu instid0(VALU_DEP_1)
	v_cmpx_ge_f64_e32 v[23:24], v[25:26]
	s_xor_b32 s23, exec_lo, s2
	s_cbranch_execz .LBB276_34
; %bb.29:                               ;   in Loop: Header=BB276_4 Depth=1
	v_cmp_neq_f64_e32 vcc_lo, 0, v[5:6]
	v_cmp_neq_f64_e64 s2, 0, v[7:8]
                                        ; implicit-def: $vgpr15_vgpr16
	s_delay_alu instid0(VALU_DEP_1) | instskip(NEXT) | instid1(SALU_CYCLE_1)
	s_or_b32 s2, vcc_lo, s2
	s_and_saveexec_b32 s24, s2
	s_delay_alu instid0(SALU_CYCLE_1)
	s_xor_b32 s2, exec_lo, s24
	s_cbranch_execz .LBB276_31
; %bb.30:                               ;   in Loop: Header=BB276_4 Depth=1
	v_div_scale_f64 v[13:14], null, v[5:6], v[5:6], v[7:8]
	v_div_scale_f64 v[25:26], vcc_lo, v[7:8], v[5:6], v[7:8]
	s_delay_alu instid0(VALU_DEP_2) | instskip(SKIP_2) | instid1(VALU_DEP_1)
	v_rcp_f64_e32 v[15:16], v[13:14]
	s_waitcnt_depctr 0xfff
	v_fma_f64 v[23:24], -v[13:14], v[15:16], 1.0
	v_fma_f64 v[15:16], v[15:16], v[23:24], v[15:16]
	s_delay_alu instid0(VALU_DEP_1) | instskip(NEXT) | instid1(VALU_DEP_1)
	v_fma_f64 v[23:24], -v[13:14], v[15:16], 1.0
	v_fma_f64 v[15:16], v[15:16], v[23:24], v[15:16]
	s_delay_alu instid0(VALU_DEP_1) | instskip(NEXT) | instid1(VALU_DEP_1)
	v_mul_f64 v[23:24], v[25:26], v[15:16]
	v_fma_f64 v[13:14], -v[13:14], v[23:24], v[25:26]
	s_delay_alu instid0(VALU_DEP_1) | instskip(NEXT) | instid1(VALU_DEP_1)
	v_div_fmas_f64 v[13:14], v[13:14], v[15:16], v[23:24]
	v_div_fixup_f64 v[13:14], v[13:14], v[5:6], v[7:8]
	s_delay_alu instid0(VALU_DEP_1) | instskip(NEXT) | instid1(VALU_DEP_1)
	v_fma_f64 v[5:6], v[7:8], v[13:14], v[5:6]
	v_div_scale_f64 v[7:8], null, v[5:6], v[5:6], 1.0
	v_div_scale_f64 v[25:26], vcc_lo, 1.0, v[5:6], 1.0
	s_delay_alu instid0(VALU_DEP_2) | instskip(SKIP_2) | instid1(VALU_DEP_1)
	v_rcp_f64_e32 v[15:16], v[7:8]
	s_waitcnt_depctr 0xfff
	v_fma_f64 v[23:24], -v[7:8], v[15:16], 1.0
	v_fma_f64 v[15:16], v[15:16], v[23:24], v[15:16]
	s_delay_alu instid0(VALU_DEP_1) | instskip(NEXT) | instid1(VALU_DEP_1)
	v_fma_f64 v[23:24], -v[7:8], v[15:16], 1.0
	v_fma_f64 v[15:16], v[15:16], v[23:24], v[15:16]
	s_delay_alu instid0(VALU_DEP_1) | instskip(NEXT) | instid1(VALU_DEP_1)
	v_mul_f64 v[23:24], v[25:26], v[15:16]
	v_fma_f64 v[7:8], -v[7:8], v[23:24], v[25:26]
                                        ; implicit-def: $vgpr25_vgpr26
	s_delay_alu instid0(VALU_DEP_1) | instskip(SKIP_1) | instid1(VALU_DEP_2)
	v_div_fmas_f64 v[7:8], v[7:8], v[15:16], v[23:24]
	v_fma_f64 v[15:16], s[10:11], v[13:14], s[8:9]
                                        ; implicit-def: $vgpr23_vgpr24
	v_div_fixup_f64 v[5:6], v[7:8], v[5:6], 1.0
	v_fma_f64 v[7:8], -s[8:9], v[13:14], s[10:11]
	s_delay_alu instid0(VALU_DEP_2) | instskip(NEXT) | instid1(VALU_DEP_2)
	v_mul_f64 v[13:14], v[15:16], v[5:6]
	v_mul_f64 v[15:16], v[7:8], v[5:6]
.LBB276_31:                             ;   in Loop: Header=BB276_4 Depth=1
	s_and_not1_saveexec_b32 s24, s2
	s_cbranch_execz .LBB276_33
; %bb.32:                               ;   in Loop: Header=BB276_4 Depth=1
	v_div_scale_f64 v[5:6], null, v[23:24], v[23:24], s[8:9]
	v_div_scale_f64 v[7:8], null, v[25:26], v[25:26], s[10:11]
	v_div_scale_f64 v[32:33], vcc_lo, s[8:9], v[23:24], s[8:9]
	s_delay_alu instid0(VALU_DEP_3) | instskip(NEXT) | instid1(VALU_DEP_2)
	v_rcp_f64_e32 v[13:14], v[5:6]
	v_rcp_f64_e32 v[15:16], v[7:8]
	s_waitcnt_depctr 0xfff
	v_fma_f64 v[28:29], -v[5:6], v[13:14], 1.0
	v_fma_f64 v[30:31], -v[7:8], v[15:16], 1.0
	s_delay_alu instid0(VALU_DEP_2) | instskip(NEXT) | instid1(VALU_DEP_2)
	v_fma_f64 v[13:14], v[13:14], v[28:29], v[13:14]
	v_fma_f64 v[15:16], v[15:16], v[30:31], v[15:16]
	s_delay_alu instid0(VALU_DEP_2) | instskip(NEXT) | instid1(VALU_DEP_2)
	v_fma_f64 v[28:29], -v[5:6], v[13:14], 1.0
	v_fma_f64 v[30:31], -v[7:8], v[15:16], 1.0
	s_delay_alu instid0(VALU_DEP_2) | instskip(SKIP_1) | instid1(VALU_DEP_3)
	v_fma_f64 v[13:14], v[13:14], v[28:29], v[13:14]
	v_div_scale_f64 v[28:29], s2, s[10:11], v[25:26], s[10:11]
	v_fma_f64 v[15:16], v[15:16], v[30:31], v[15:16]
	s_delay_alu instid0(VALU_DEP_3) | instskip(NEXT) | instid1(VALU_DEP_2)
	v_mul_f64 v[30:31], v[32:33], v[13:14]
	v_mul_f64 v[34:35], v[28:29], v[15:16]
	s_delay_alu instid0(VALU_DEP_2) | instskip(NEXT) | instid1(VALU_DEP_2)
	v_fma_f64 v[5:6], -v[5:6], v[30:31], v[32:33]
	v_fma_f64 v[7:8], -v[7:8], v[34:35], v[28:29]
	s_delay_alu instid0(VALU_DEP_2) | instskip(SKIP_1) | instid1(VALU_DEP_2)
	v_div_fmas_f64 v[5:6], v[5:6], v[13:14], v[30:31]
	s_mov_b32 vcc_lo, s2
	v_div_fmas_f64 v[7:8], v[7:8], v[15:16], v[34:35]
	s_delay_alu instid0(VALU_DEP_2) | instskip(NEXT) | instid1(VALU_DEP_2)
	v_div_fixup_f64 v[13:14], v[5:6], v[23:24], s[8:9]
	v_div_fixup_f64 v[15:16], v[7:8], v[25:26], s[10:11]
.LBB276_33:                             ;   in Loop: Header=BB276_4 Depth=1
	s_or_b32 exec_lo, exec_lo, s24
                                        ; implicit-def: $vgpr7_vgpr8
.LBB276_34:                             ;   in Loop: Header=BB276_4 Depth=1
	s_and_not1_saveexec_b32 s2, s23
	s_cbranch_execz .LBB276_3
; %bb.35:                               ;   in Loop: Header=BB276_4 Depth=1
	v_div_scale_f64 v[13:14], null, v[7:8], v[7:8], v[5:6]
	v_div_scale_f64 v[25:26], vcc_lo, v[5:6], v[7:8], v[5:6]
	s_delay_alu instid0(VALU_DEP_2) | instskip(SKIP_2) | instid1(VALU_DEP_1)
	v_rcp_f64_e32 v[15:16], v[13:14]
	s_waitcnt_depctr 0xfff
	v_fma_f64 v[23:24], -v[13:14], v[15:16], 1.0
	v_fma_f64 v[15:16], v[15:16], v[23:24], v[15:16]
	s_delay_alu instid0(VALU_DEP_1) | instskip(NEXT) | instid1(VALU_DEP_1)
	v_fma_f64 v[23:24], -v[13:14], v[15:16], 1.0
	v_fma_f64 v[15:16], v[15:16], v[23:24], v[15:16]
	s_delay_alu instid0(VALU_DEP_1) | instskip(NEXT) | instid1(VALU_DEP_1)
	v_mul_f64 v[23:24], v[25:26], v[15:16]
	v_fma_f64 v[13:14], -v[13:14], v[23:24], v[25:26]
	s_delay_alu instid0(VALU_DEP_1) | instskip(NEXT) | instid1(VALU_DEP_1)
	v_div_fmas_f64 v[13:14], v[13:14], v[15:16], v[23:24]
	v_div_fixup_f64 v[13:14], v[13:14], v[7:8], v[5:6]
	s_delay_alu instid0(VALU_DEP_1) | instskip(NEXT) | instid1(VALU_DEP_1)
	v_fma_f64 v[5:6], v[5:6], v[13:14], v[7:8]
	v_div_scale_f64 v[7:8], null, v[5:6], v[5:6], 1.0
	v_div_scale_f64 v[25:26], vcc_lo, 1.0, v[5:6], 1.0
	s_delay_alu instid0(VALU_DEP_2) | instskip(SKIP_2) | instid1(VALU_DEP_1)
	v_rcp_f64_e32 v[15:16], v[7:8]
	s_waitcnt_depctr 0xfff
	v_fma_f64 v[23:24], -v[7:8], v[15:16], 1.0
	v_fma_f64 v[15:16], v[15:16], v[23:24], v[15:16]
	s_delay_alu instid0(VALU_DEP_1) | instskip(NEXT) | instid1(VALU_DEP_1)
	v_fma_f64 v[23:24], -v[7:8], v[15:16], 1.0
	v_fma_f64 v[15:16], v[15:16], v[23:24], v[15:16]
	s_delay_alu instid0(VALU_DEP_1) | instskip(NEXT) | instid1(VALU_DEP_1)
	v_mul_f64 v[23:24], v[25:26], v[15:16]
	v_fma_f64 v[7:8], -v[7:8], v[23:24], v[25:26]
	s_delay_alu instid0(VALU_DEP_1) | instskip(SKIP_1) | instid1(VALU_DEP_2)
	v_div_fmas_f64 v[7:8], v[7:8], v[15:16], v[23:24]
	v_fma_f64 v[15:16], s[8:9], v[13:14], s[10:11]
	v_div_fixup_f64 v[5:6], v[7:8], v[5:6], 1.0
	v_fma_f64 v[7:8], s[10:11], v[13:14], -s[8:9]
	s_delay_alu instid0(VALU_DEP_2) | instskip(NEXT) | instid1(VALU_DEP_2)
	v_mul_f64 v[13:14], v[15:16], v[5:6]
	v_mul_f64 v[15:16], v[7:8], v[5:6]
	s_branch .LBB276_3
.LBB276_36:
	s_or_b32 exec_lo, exec_lo, s17
	s_mov_b32 s2, 0
.LBB276_37:
	s_delay_alu instid0(SALU_CYCLE_1)
	s_and_not1_b32 vcc_lo, exec_lo, s2
	s_cbranch_vccnz .LBB276_89
; %bb.38:
	v_cmp_lt_i64_e64 s2, s[12:13], 1
	s_delay_alu instid0(VALU_DEP_1)
	s_and_b32 vcc_lo, exec_lo, s2
	s_cbranch_vccnz .LBB276_89
; %bb.39:
	s_load_b32 s0, s[0:1], 0xc6c
	v_mov_b32_e32 v1, 0
	v_lshl_or_b32 v2, v0, 4, 8
	v_cmp_gt_u64_e64 s1, 0x10000, s[12:13]
	s_mov_b32 s15, 0
	s_delay_alu instid0(VALU_DEP_3) | instskip(NEXT) | instid1(VALU_DEP_3)
	v_mov_b32_e32 v3, v1
	v_add_co_u32 v26, s2, s4, v2
	s_delay_alu instid0(VALU_DEP_1) | instskip(SKIP_1) | instid1(VALU_DEP_1)
	v_add_co_ci_u32_e64 v27, null, s5, 0, s2
	v_add_co_u32 v28, s2, s18, v2
	v_add_co_ci_u32_e64 v29, null, s19, 0, s2
	s_waitcnt lgkmcnt(0)
	s_and_b32 s20, s0, 0xffff
	s_and_b32 s0, s1, exec_lo
	v_add_lshl_u32 v6, v0, s20, 4
	v_mad_u64_u32 v[4:5], null, s20, 48, v[2:3]
	s_cselect_b32 s17, s13, 0
	s_cselect_b32 s16, s12, 0x10000
	s_delay_alu instid0(VALU_DEP_2) | instskip(NEXT) | instid1(VALU_DEP_1)
	v_add_co_u32 v30, s0, s18, v6
	v_add_co_ci_u32_e64 v31, null, s19, 0, s0
	v_add_co_u32 v34, s0, s4, v6
	s_delay_alu instid0(VALU_DEP_1)
	v_add_co_ci_u32_e64 v35, null, s5, 0, s0
	s_lshl_b32 s0, s20, 5
	v_add_co_u32 v32, vcc_lo, s4, v4
	v_add_co_u32 v2, s0, v2, s0
	v_add_co_ci_u32_e32 v33, vcc_lo, s5, v5, vcc_lo
	v_add_co_ci_u32_e64 v3, null, 0, 0, s0
	v_add_co_u32 v36, vcc_lo, s18, v4
	v_add_co_ci_u32_e32 v37, vcc_lo, s19, v5, vcc_lo
	v_add_co_u32 v38, vcc_lo, s4, v2
	s_delay_alu instid0(VALU_DEP_4)
	v_add_co_ci_u32_e32 v39, vcc_lo, s5, v3, vcc_lo
	v_add_co_u32 v40, vcc_lo, s18, v2
	v_add_co_ci_u32_e32 v41, vcc_lo, s19, v3, vcc_lo
	s_lshl_b32 s14, s20, 2
	s_lshl_b32 s21, s20, 1
	s_mul_i32 s22, s20, 3
	s_lshl_b32 s5, s20, 6
	s_mov_b64 s[18:19], s[14:15]
	s_branch .LBB276_41
.LBB276_40:                             ;   in Loop: Header=BB276_41 Depth=1
	s_or_b32 exec_lo, exec_lo, s0
	v_add_co_u32 v0, vcc_lo, v0, s14
	v_add_co_ci_u32_e32 v1, vcc_lo, 0, v1, vcc_lo
	v_add_co_u32 v26, vcc_lo, v26, s5
	v_add_co_ci_u32_e32 v27, vcc_lo, 0, v27, vcc_lo
	;; [unrolled: 2-line block ×7, first 2 shown]
	v_cmp_ge_i64_e64 s0, s[18:19], s[12:13]
	v_cmp_lt_u64_e64 s1, 0xffff, s[18:19]
	v_add_co_u32 v38, vcc_lo, v38, s5
	v_add_co_ci_u32_e32 v39, vcc_lo, 0, v39, vcc_lo
	v_add_co_u32 v40, vcc_lo, v40, s5
	v_add_co_ci_u32_e32 v41, vcc_lo, 0, v41, vcc_lo
	s_or_b32 s0, s0, s1
	s_add_u32 s18, s18, s14
	s_addc_u32 s19, s19, 0
	s_and_b32 vcc_lo, exec_lo, s0
	s_cbranch_vccnz .LBB276_89
.LBB276_41:                             ; =>This Inner Loop Header: Depth=1
	v_mov_b32_e32 v20, 0
	v_mov_b32_e32 v21, 0
	v_cmp_gt_u64_e64 s0, s[16:17], v[0:1]
	s_delay_alu instid0(VALU_DEP_3) | instskip(NEXT) | instid1(VALU_DEP_3)
	v_mov_b32_e32 v16, v20
	v_dual_mov_b32 v14, v20 :: v_dual_mov_b32 v15, v21
	v_mov_b32_e32 v17, v21
	s_delay_alu instid0(VALU_DEP_4)
	s_and_saveexec_b32 s1, s0
	s_cbranch_execz .LBB276_43
; %bb.42:                               ;   in Loop: Header=BB276_41 Depth=1
	v_add_co_u32 v2, vcc_lo, v26, s6
	v_add_co_ci_u32_e32 v3, vcc_lo, s7, v27, vcc_lo
	global_load_b128 v[14:17], v[2:3], off offset:-8
.LBB276_43:                             ;   in Loop: Header=BB276_41 Depth=1
	s_or_b32 exec_lo, exec_lo, s1
	v_add_co_u32 v2, vcc_lo, s20, v0
	v_add_co_ci_u32_e32 v3, vcc_lo, 0, v1, vcc_lo
	v_dual_mov_b32 v18, v20 :: v_dual_mov_b32 v19, v21
	s_delay_alu instid0(VALU_DEP_2) | instskip(NEXT) | instid1(VALU_DEP_1)
	v_cmp_gt_u64_e64 s1, s[16:17], v[2:3]
	s_and_saveexec_b32 s2, s1
	s_cbranch_execz .LBB276_45
; %bb.44:                               ;   in Loop: Header=BB276_41 Depth=1
	v_add_co_u32 v2, vcc_lo, v34, s6
	v_add_co_ci_u32_e32 v3, vcc_lo, s7, v35, vcc_lo
	global_load_b128 v[18:21], v[2:3], off
.LBB276_45:                             ;   in Loop: Header=BB276_41 Depth=1
	s_or_b32 exec_lo, exec_lo, s2
	v_add_co_u32 v2, vcc_lo, s21, v0
	v_add_co_ci_u32_e32 v3, vcc_lo, 0, v1, vcc_lo
	v_mov_b32_e32 v4, 0
	v_mov_b32_e32 v5, 0
	s_delay_alu instid0(VALU_DEP_3) | instskip(NEXT) | instid1(VALU_DEP_2)
	v_cmp_gt_u64_e64 s2, s[16:17], v[2:3]
	v_dual_mov_b32 v13, v5 :: v_dual_mov_b32 v12, v4
	v_dual_mov_b32 v11, v5 :: v_dual_mov_b32 v10, v4
	s_delay_alu instid0(VALU_DEP_3)
	s_and_saveexec_b32 s3, s2
	s_cbranch_execz .LBB276_47
; %bb.46:                               ;   in Loop: Header=BB276_41 Depth=1
	v_add_co_u32 v2, vcc_lo, v38, s6
	v_add_co_ci_u32_e32 v3, vcc_lo, s7, v39, vcc_lo
	global_load_b128 v[10:13], v[2:3], off offset:-8
.LBB276_47:                             ;   in Loop: Header=BB276_41 Depth=1
	s_or_b32 exec_lo, exec_lo, s3
	v_add_co_u32 v2, vcc_lo, s22, v0
	v_add_co_ci_u32_e32 v3, vcc_lo, 0, v1, vcc_lo
	s_delay_alu instid0(VALU_DEP_1) | instskip(SKIP_1) | instid1(VALU_DEP_2)
	v_cmp_gt_u64_e64 s3, s[16:17], v[2:3]
	v_dual_mov_b32 v2, v4 :: v_dual_mov_b32 v3, v5
	s_and_saveexec_b32 s4, s3
	s_cbranch_execz .LBB276_49
; %bb.48:                               ;   in Loop: Header=BB276_41 Depth=1
	v_add_co_u32 v2, vcc_lo, v32, s6
	v_add_co_ci_u32_e32 v3, vcc_lo, s7, v33, vcc_lo
	global_load_b128 v[2:5], v[2:3], off offset:-8
.LBB276_49:                             ;   in Loop: Header=BB276_41 Depth=1
	s_or_b32 exec_lo, exec_lo, s4
	s_waitcnt vmcnt(0)
	v_cmp_gt_f64_e32 vcc_lo, 0, v[14:15]
	v_cmp_gt_f64_e64 s4, 0, v[16:17]
	v_xor_b32_e32 v6, 0x80000000, v15
	v_xor_b32_e32 v7, 0x80000000, v17
                                        ; implicit-def: $vgpr8_vgpr9
	s_delay_alu instid0(VALU_DEP_2) | instskip(NEXT) | instid1(VALU_DEP_2)
	v_cndmask_b32_e32 v23, v15, v6, vcc_lo
	v_cndmask_b32_e64 v25, v17, v7, s4
	v_cndmask_b32_e32 v22, v14, v14, vcc_lo
	v_cndmask_b32_e64 v24, v16, v16, s4
	s_mov_b32 s4, exec_lo
	s_delay_alu instid0(VALU_DEP_1)
	v_cmpx_ge_f64_e32 v[22:23], v[24:25]
	s_xor_b32 s15, exec_lo, s4
	s_cbranch_execz .LBB276_55
; %bb.50:                               ;   in Loop: Header=BB276_41 Depth=1
	v_cmp_neq_f64_e32 vcc_lo, 0, v[14:15]
	v_cmp_neq_f64_e64 s4, 0, v[16:17]
                                        ; implicit-def: $vgpr8_vgpr9
	s_delay_alu instid0(VALU_DEP_1) | instskip(NEXT) | instid1(SALU_CYCLE_1)
	s_or_b32 s4, s4, vcc_lo
	s_and_saveexec_b32 s23, s4
	s_delay_alu instid0(SALU_CYCLE_1)
	s_xor_b32 s4, exec_lo, s23
	s_cbranch_execz .LBB276_52
; %bb.51:                               ;   in Loop: Header=BB276_41 Depth=1
	v_div_scale_f64 v[6:7], null, v[14:15], v[14:15], v[16:17]
	v_div_scale_f64 v[24:25], vcc_lo, v[16:17], v[14:15], v[16:17]
	s_delay_alu instid0(VALU_DEP_2) | instskip(SKIP_2) | instid1(VALU_DEP_1)
	v_rcp_f64_e32 v[8:9], v[6:7]
	s_waitcnt_depctr 0xfff
	v_fma_f64 v[22:23], -v[6:7], v[8:9], 1.0
	v_fma_f64 v[8:9], v[8:9], v[22:23], v[8:9]
	s_delay_alu instid0(VALU_DEP_1) | instskip(NEXT) | instid1(VALU_DEP_1)
	v_fma_f64 v[22:23], -v[6:7], v[8:9], 1.0
	v_fma_f64 v[8:9], v[8:9], v[22:23], v[8:9]
	s_delay_alu instid0(VALU_DEP_1) | instskip(NEXT) | instid1(VALU_DEP_1)
	v_mul_f64 v[22:23], v[24:25], v[8:9]
	v_fma_f64 v[6:7], -v[6:7], v[22:23], v[24:25]
	s_delay_alu instid0(VALU_DEP_1) | instskip(NEXT) | instid1(VALU_DEP_1)
	v_div_fmas_f64 v[6:7], v[6:7], v[8:9], v[22:23]
	v_div_fixup_f64 v[6:7], v[6:7], v[14:15], v[16:17]
	s_delay_alu instid0(VALU_DEP_1) | instskip(NEXT) | instid1(VALU_DEP_1)
	v_fma_f64 v[8:9], v[16:17], v[6:7], v[14:15]
	v_div_scale_f64 v[14:15], null, v[8:9], v[8:9], 1.0
	v_div_scale_f64 v[24:25], vcc_lo, 1.0, v[8:9], 1.0
	s_delay_alu instid0(VALU_DEP_2) | instskip(SKIP_2) | instid1(VALU_DEP_1)
	v_rcp_f64_e32 v[16:17], v[14:15]
	s_waitcnt_depctr 0xfff
	v_fma_f64 v[22:23], -v[14:15], v[16:17], 1.0
	v_fma_f64 v[16:17], v[16:17], v[22:23], v[16:17]
	s_delay_alu instid0(VALU_DEP_1) | instskip(NEXT) | instid1(VALU_DEP_1)
	v_fma_f64 v[22:23], -v[14:15], v[16:17], 1.0
	v_fma_f64 v[16:17], v[16:17], v[22:23], v[16:17]
	s_delay_alu instid0(VALU_DEP_1) | instskip(NEXT) | instid1(VALU_DEP_1)
	v_mul_f64 v[22:23], v[24:25], v[16:17]
	v_fma_f64 v[14:15], -v[14:15], v[22:23], v[24:25]
                                        ; implicit-def: $vgpr24_vgpr25
	s_delay_alu instid0(VALU_DEP_1) | instskip(SKIP_1) | instid1(VALU_DEP_2)
	v_div_fmas_f64 v[14:15], v[14:15], v[16:17], v[22:23]
	v_fma_f64 v[16:17], s[10:11], v[6:7], s[8:9]
                                        ; implicit-def: $vgpr22_vgpr23
	v_div_fixup_f64 v[8:9], v[14:15], v[8:9], 1.0
	v_fma_f64 v[14:15], -s[8:9], v[6:7], s[10:11]
	s_delay_alu instid0(VALU_DEP_2) | instskip(NEXT) | instid1(VALU_DEP_2)
	v_mul_f64 v[6:7], v[16:17], v[8:9]
	v_mul_f64 v[8:9], v[14:15], v[8:9]
.LBB276_52:                             ;   in Loop: Header=BB276_41 Depth=1
	s_and_not1_saveexec_b32 s23, s4
	s_cbranch_execz .LBB276_54
; %bb.53:                               ;   in Loop: Header=BB276_41 Depth=1
	v_div_scale_f64 v[6:7], null, v[22:23], v[22:23], s[8:9]
	v_div_scale_f64 v[8:9], null, v[24:25], v[24:25], s[10:11]
	v_div_scale_f64 v[46:47], vcc_lo, s[8:9], v[22:23], s[8:9]
	s_delay_alu instid0(VALU_DEP_3) | instskip(NEXT) | instid1(VALU_DEP_2)
	v_rcp_f64_e32 v[14:15], v[6:7]
	v_rcp_f64_e32 v[16:17], v[8:9]
	s_waitcnt_depctr 0xfff
	v_fma_f64 v[42:43], -v[6:7], v[14:15], 1.0
	v_fma_f64 v[44:45], -v[8:9], v[16:17], 1.0
	s_delay_alu instid0(VALU_DEP_2) | instskip(NEXT) | instid1(VALU_DEP_2)
	v_fma_f64 v[14:15], v[14:15], v[42:43], v[14:15]
	v_fma_f64 v[16:17], v[16:17], v[44:45], v[16:17]
	s_delay_alu instid0(VALU_DEP_2) | instskip(NEXT) | instid1(VALU_DEP_2)
	v_fma_f64 v[42:43], -v[6:7], v[14:15], 1.0
	v_fma_f64 v[44:45], -v[8:9], v[16:17], 1.0
	s_delay_alu instid0(VALU_DEP_2) | instskip(SKIP_1) | instid1(VALU_DEP_3)
	v_fma_f64 v[14:15], v[14:15], v[42:43], v[14:15]
	v_div_scale_f64 v[42:43], s4, s[10:11], v[24:25], s[10:11]
	v_fma_f64 v[16:17], v[16:17], v[44:45], v[16:17]
	s_delay_alu instid0(VALU_DEP_3) | instskip(NEXT) | instid1(VALU_DEP_2)
	v_mul_f64 v[44:45], v[46:47], v[14:15]
	v_mul_f64 v[48:49], v[42:43], v[16:17]
	s_delay_alu instid0(VALU_DEP_2) | instskip(NEXT) | instid1(VALU_DEP_2)
	v_fma_f64 v[6:7], -v[6:7], v[44:45], v[46:47]
	v_fma_f64 v[8:9], -v[8:9], v[48:49], v[42:43]
	s_delay_alu instid0(VALU_DEP_2) | instskip(SKIP_1) | instid1(VALU_DEP_2)
	v_div_fmas_f64 v[6:7], v[6:7], v[14:15], v[44:45]
	s_mov_b32 vcc_lo, s4
	v_div_fmas_f64 v[8:9], v[8:9], v[16:17], v[48:49]
	s_delay_alu instid0(VALU_DEP_2) | instskip(NEXT) | instid1(VALU_DEP_2)
	v_div_fixup_f64 v[6:7], v[6:7], v[22:23], s[8:9]
	v_div_fixup_f64 v[8:9], v[8:9], v[24:25], s[10:11]
.LBB276_54:                             ;   in Loop: Header=BB276_41 Depth=1
	s_or_b32 exec_lo, exec_lo, s23
                                        ; implicit-def: $vgpr16_vgpr17
.LBB276_55:                             ;   in Loop: Header=BB276_41 Depth=1
	s_and_not1_saveexec_b32 s4, s15
	s_cbranch_execz .LBB276_57
; %bb.56:                               ;   in Loop: Header=BB276_41 Depth=1
	v_div_scale_f64 v[6:7], null, v[16:17], v[16:17], v[14:15]
	v_div_scale_f64 v[24:25], vcc_lo, v[14:15], v[16:17], v[14:15]
	s_delay_alu instid0(VALU_DEP_2) | instskip(SKIP_2) | instid1(VALU_DEP_1)
	v_rcp_f64_e32 v[8:9], v[6:7]
	s_waitcnt_depctr 0xfff
	v_fma_f64 v[22:23], -v[6:7], v[8:9], 1.0
	v_fma_f64 v[8:9], v[8:9], v[22:23], v[8:9]
	s_delay_alu instid0(VALU_DEP_1) | instskip(NEXT) | instid1(VALU_DEP_1)
	v_fma_f64 v[22:23], -v[6:7], v[8:9], 1.0
	v_fma_f64 v[8:9], v[8:9], v[22:23], v[8:9]
	s_delay_alu instid0(VALU_DEP_1) | instskip(NEXT) | instid1(VALU_DEP_1)
	v_mul_f64 v[22:23], v[24:25], v[8:9]
	v_fma_f64 v[6:7], -v[6:7], v[22:23], v[24:25]
	s_delay_alu instid0(VALU_DEP_1) | instskip(NEXT) | instid1(VALU_DEP_1)
	v_div_fmas_f64 v[6:7], v[6:7], v[8:9], v[22:23]
	v_div_fixup_f64 v[6:7], v[6:7], v[16:17], v[14:15]
	s_delay_alu instid0(VALU_DEP_1) | instskip(NEXT) | instid1(VALU_DEP_1)
	v_fma_f64 v[8:9], v[14:15], v[6:7], v[16:17]
	v_div_scale_f64 v[14:15], null, v[8:9], v[8:9], 1.0
	v_div_scale_f64 v[24:25], vcc_lo, 1.0, v[8:9], 1.0
	s_delay_alu instid0(VALU_DEP_2) | instskip(SKIP_2) | instid1(VALU_DEP_1)
	v_rcp_f64_e32 v[16:17], v[14:15]
	s_waitcnt_depctr 0xfff
	v_fma_f64 v[22:23], -v[14:15], v[16:17], 1.0
	v_fma_f64 v[16:17], v[16:17], v[22:23], v[16:17]
	s_delay_alu instid0(VALU_DEP_1) | instskip(NEXT) | instid1(VALU_DEP_1)
	v_fma_f64 v[22:23], -v[14:15], v[16:17], 1.0
	v_fma_f64 v[16:17], v[16:17], v[22:23], v[16:17]
	s_delay_alu instid0(VALU_DEP_1) | instskip(NEXT) | instid1(VALU_DEP_1)
	v_mul_f64 v[22:23], v[24:25], v[16:17]
	v_fma_f64 v[14:15], -v[14:15], v[22:23], v[24:25]
	s_delay_alu instid0(VALU_DEP_1) | instskip(SKIP_1) | instid1(VALU_DEP_2)
	v_div_fmas_f64 v[14:15], v[14:15], v[16:17], v[22:23]
	v_fma_f64 v[16:17], s[8:9], v[6:7], s[10:11]
	v_div_fixup_f64 v[8:9], v[14:15], v[8:9], 1.0
	v_fma_f64 v[14:15], s[10:11], v[6:7], -s[8:9]
	s_delay_alu instid0(VALU_DEP_2) | instskip(NEXT) | instid1(VALU_DEP_2)
	v_mul_f64 v[6:7], v[16:17], v[8:9]
	v_mul_f64 v[8:9], v[14:15], v[8:9]
.LBB276_57:                             ;   in Loop: Header=BB276_41 Depth=1
	s_or_b32 exec_lo, exec_lo, s4
	v_cmp_gt_f64_e32 vcc_lo, 0, v[18:19]
	v_cmp_gt_f64_e64 s4, 0, v[20:21]
	v_xor_b32_e32 v14, 0x80000000, v19
	v_xor_b32_e32 v15, 0x80000000, v21
                                        ; implicit-def: $vgpr16_vgpr17
	s_delay_alu instid0(VALU_DEP_2) | instskip(NEXT) | instid1(VALU_DEP_2)
	v_cndmask_b32_e32 v23, v19, v14, vcc_lo
	v_cndmask_b32_e64 v25, v21, v15, s4
	v_cndmask_b32_e32 v22, v18, v18, vcc_lo
	v_cndmask_b32_e64 v24, v20, v20, s4
	s_mov_b32 s4, exec_lo
	s_delay_alu instid0(VALU_DEP_1)
	v_cmpx_ge_f64_e32 v[22:23], v[24:25]
	s_xor_b32 s15, exec_lo, s4
	s_cbranch_execz .LBB276_63
; %bb.58:                               ;   in Loop: Header=BB276_41 Depth=1
	v_cmp_neq_f64_e32 vcc_lo, 0, v[18:19]
	v_cmp_neq_f64_e64 s4, 0, v[20:21]
                                        ; implicit-def: $vgpr16_vgpr17
	s_delay_alu instid0(VALU_DEP_1) | instskip(NEXT) | instid1(SALU_CYCLE_1)
	s_or_b32 s4, s4, vcc_lo
	s_and_saveexec_b32 s23, s4
	s_delay_alu instid0(SALU_CYCLE_1)
	s_xor_b32 s4, exec_lo, s23
	s_cbranch_execz .LBB276_60
; %bb.59:                               ;   in Loop: Header=BB276_41 Depth=1
	v_div_scale_f64 v[14:15], null, v[18:19], v[18:19], v[20:21]
	v_div_scale_f64 v[24:25], vcc_lo, v[20:21], v[18:19], v[20:21]
	s_delay_alu instid0(VALU_DEP_2) | instskip(SKIP_2) | instid1(VALU_DEP_1)
	v_rcp_f64_e32 v[16:17], v[14:15]
	s_waitcnt_depctr 0xfff
	v_fma_f64 v[22:23], -v[14:15], v[16:17], 1.0
	v_fma_f64 v[16:17], v[16:17], v[22:23], v[16:17]
	s_delay_alu instid0(VALU_DEP_1) | instskip(NEXT) | instid1(VALU_DEP_1)
	v_fma_f64 v[22:23], -v[14:15], v[16:17], 1.0
	v_fma_f64 v[16:17], v[16:17], v[22:23], v[16:17]
	s_delay_alu instid0(VALU_DEP_1) | instskip(NEXT) | instid1(VALU_DEP_1)
	v_mul_f64 v[22:23], v[24:25], v[16:17]
	v_fma_f64 v[14:15], -v[14:15], v[22:23], v[24:25]
	s_delay_alu instid0(VALU_DEP_1) | instskip(NEXT) | instid1(VALU_DEP_1)
	v_div_fmas_f64 v[14:15], v[14:15], v[16:17], v[22:23]
	v_div_fixup_f64 v[14:15], v[14:15], v[18:19], v[20:21]
	s_delay_alu instid0(VALU_DEP_1) | instskip(NEXT) | instid1(VALU_DEP_1)
	v_fma_f64 v[16:17], v[20:21], v[14:15], v[18:19]
	v_div_scale_f64 v[18:19], null, v[16:17], v[16:17], 1.0
	v_div_scale_f64 v[24:25], vcc_lo, 1.0, v[16:17], 1.0
	s_delay_alu instid0(VALU_DEP_2) | instskip(SKIP_2) | instid1(VALU_DEP_1)
	v_rcp_f64_e32 v[20:21], v[18:19]
	s_waitcnt_depctr 0xfff
	v_fma_f64 v[22:23], -v[18:19], v[20:21], 1.0
	v_fma_f64 v[20:21], v[20:21], v[22:23], v[20:21]
	s_delay_alu instid0(VALU_DEP_1) | instskip(NEXT) | instid1(VALU_DEP_1)
	v_fma_f64 v[22:23], -v[18:19], v[20:21], 1.0
	v_fma_f64 v[20:21], v[20:21], v[22:23], v[20:21]
	s_delay_alu instid0(VALU_DEP_1) | instskip(NEXT) | instid1(VALU_DEP_1)
	v_mul_f64 v[22:23], v[24:25], v[20:21]
	v_fma_f64 v[18:19], -v[18:19], v[22:23], v[24:25]
                                        ; implicit-def: $vgpr24_vgpr25
	s_delay_alu instid0(VALU_DEP_1) | instskip(SKIP_1) | instid1(VALU_DEP_2)
	v_div_fmas_f64 v[18:19], v[18:19], v[20:21], v[22:23]
	v_fma_f64 v[20:21], s[10:11], v[14:15], s[8:9]
                                        ; implicit-def: $vgpr22_vgpr23
	v_div_fixup_f64 v[16:17], v[18:19], v[16:17], 1.0
	v_fma_f64 v[18:19], -s[8:9], v[14:15], s[10:11]
	s_delay_alu instid0(VALU_DEP_2) | instskip(NEXT) | instid1(VALU_DEP_2)
	v_mul_f64 v[14:15], v[20:21], v[16:17]
	v_mul_f64 v[16:17], v[18:19], v[16:17]
.LBB276_60:                             ;   in Loop: Header=BB276_41 Depth=1
	s_and_not1_saveexec_b32 s23, s4
	s_cbranch_execz .LBB276_62
; %bb.61:                               ;   in Loop: Header=BB276_41 Depth=1
	v_div_scale_f64 v[14:15], null, v[22:23], v[22:23], s[8:9]
	v_div_scale_f64 v[16:17], null, v[24:25], v[24:25], s[10:11]
	v_div_scale_f64 v[46:47], vcc_lo, s[8:9], v[22:23], s[8:9]
	s_delay_alu instid0(VALU_DEP_3) | instskip(NEXT) | instid1(VALU_DEP_2)
	v_rcp_f64_e32 v[18:19], v[14:15]
	v_rcp_f64_e32 v[20:21], v[16:17]
	s_waitcnt_depctr 0xfff
	v_fma_f64 v[42:43], -v[14:15], v[18:19], 1.0
	v_fma_f64 v[44:45], -v[16:17], v[20:21], 1.0
	s_delay_alu instid0(VALU_DEP_2) | instskip(NEXT) | instid1(VALU_DEP_2)
	v_fma_f64 v[18:19], v[18:19], v[42:43], v[18:19]
	v_fma_f64 v[20:21], v[20:21], v[44:45], v[20:21]
	s_delay_alu instid0(VALU_DEP_2) | instskip(NEXT) | instid1(VALU_DEP_2)
	v_fma_f64 v[42:43], -v[14:15], v[18:19], 1.0
	v_fma_f64 v[44:45], -v[16:17], v[20:21], 1.0
	s_delay_alu instid0(VALU_DEP_2) | instskip(SKIP_1) | instid1(VALU_DEP_3)
	v_fma_f64 v[18:19], v[18:19], v[42:43], v[18:19]
	v_div_scale_f64 v[42:43], s4, s[10:11], v[24:25], s[10:11]
	v_fma_f64 v[20:21], v[20:21], v[44:45], v[20:21]
	s_delay_alu instid0(VALU_DEP_3) | instskip(NEXT) | instid1(VALU_DEP_2)
	v_mul_f64 v[44:45], v[46:47], v[18:19]
	v_mul_f64 v[48:49], v[42:43], v[20:21]
	s_delay_alu instid0(VALU_DEP_2) | instskip(NEXT) | instid1(VALU_DEP_2)
	v_fma_f64 v[14:15], -v[14:15], v[44:45], v[46:47]
	v_fma_f64 v[16:17], -v[16:17], v[48:49], v[42:43]
	s_delay_alu instid0(VALU_DEP_2) | instskip(SKIP_1) | instid1(VALU_DEP_2)
	v_div_fmas_f64 v[14:15], v[14:15], v[18:19], v[44:45]
	s_mov_b32 vcc_lo, s4
	v_div_fmas_f64 v[16:17], v[16:17], v[20:21], v[48:49]
	s_delay_alu instid0(VALU_DEP_2) | instskip(NEXT) | instid1(VALU_DEP_2)
	v_div_fixup_f64 v[14:15], v[14:15], v[22:23], s[8:9]
	v_div_fixup_f64 v[16:17], v[16:17], v[24:25], s[10:11]
.LBB276_62:                             ;   in Loop: Header=BB276_41 Depth=1
	s_or_b32 exec_lo, exec_lo, s23
                                        ; implicit-def: $vgpr20_vgpr21
.LBB276_63:                             ;   in Loop: Header=BB276_41 Depth=1
	s_and_not1_saveexec_b32 s4, s15
	s_cbranch_execz .LBB276_65
; %bb.64:                               ;   in Loop: Header=BB276_41 Depth=1
	v_div_scale_f64 v[14:15], null, v[20:21], v[20:21], v[18:19]
	v_div_scale_f64 v[24:25], vcc_lo, v[18:19], v[20:21], v[18:19]
	s_delay_alu instid0(VALU_DEP_2) | instskip(SKIP_2) | instid1(VALU_DEP_1)
	v_rcp_f64_e32 v[16:17], v[14:15]
	s_waitcnt_depctr 0xfff
	v_fma_f64 v[22:23], -v[14:15], v[16:17], 1.0
	v_fma_f64 v[16:17], v[16:17], v[22:23], v[16:17]
	s_delay_alu instid0(VALU_DEP_1) | instskip(NEXT) | instid1(VALU_DEP_1)
	v_fma_f64 v[22:23], -v[14:15], v[16:17], 1.0
	v_fma_f64 v[16:17], v[16:17], v[22:23], v[16:17]
	s_delay_alu instid0(VALU_DEP_1) | instskip(NEXT) | instid1(VALU_DEP_1)
	v_mul_f64 v[22:23], v[24:25], v[16:17]
	v_fma_f64 v[14:15], -v[14:15], v[22:23], v[24:25]
	s_delay_alu instid0(VALU_DEP_1) | instskip(NEXT) | instid1(VALU_DEP_1)
	v_div_fmas_f64 v[14:15], v[14:15], v[16:17], v[22:23]
	v_div_fixup_f64 v[14:15], v[14:15], v[20:21], v[18:19]
	s_delay_alu instid0(VALU_DEP_1) | instskip(NEXT) | instid1(VALU_DEP_1)
	v_fma_f64 v[16:17], v[18:19], v[14:15], v[20:21]
	v_div_scale_f64 v[18:19], null, v[16:17], v[16:17], 1.0
	v_div_scale_f64 v[24:25], vcc_lo, 1.0, v[16:17], 1.0
	s_delay_alu instid0(VALU_DEP_2) | instskip(SKIP_2) | instid1(VALU_DEP_1)
	v_rcp_f64_e32 v[20:21], v[18:19]
	s_waitcnt_depctr 0xfff
	v_fma_f64 v[22:23], -v[18:19], v[20:21], 1.0
	v_fma_f64 v[20:21], v[20:21], v[22:23], v[20:21]
	s_delay_alu instid0(VALU_DEP_1) | instskip(NEXT) | instid1(VALU_DEP_1)
	v_fma_f64 v[22:23], -v[18:19], v[20:21], 1.0
	v_fma_f64 v[20:21], v[20:21], v[22:23], v[20:21]
	s_delay_alu instid0(VALU_DEP_1) | instskip(NEXT) | instid1(VALU_DEP_1)
	v_mul_f64 v[22:23], v[24:25], v[20:21]
	v_fma_f64 v[18:19], -v[18:19], v[22:23], v[24:25]
	s_delay_alu instid0(VALU_DEP_1) | instskip(SKIP_1) | instid1(VALU_DEP_2)
	v_div_fmas_f64 v[18:19], v[18:19], v[20:21], v[22:23]
	v_fma_f64 v[20:21], s[8:9], v[14:15], s[10:11]
	v_div_fixup_f64 v[16:17], v[18:19], v[16:17], 1.0
	v_fma_f64 v[18:19], s[10:11], v[14:15], -s[8:9]
	s_delay_alu instid0(VALU_DEP_2) | instskip(NEXT) | instid1(VALU_DEP_2)
	v_mul_f64 v[14:15], v[20:21], v[16:17]
	v_mul_f64 v[16:17], v[18:19], v[16:17]
.LBB276_65:                             ;   in Loop: Header=BB276_41 Depth=1
	s_or_b32 exec_lo, exec_lo, s4
	v_cmp_gt_f64_e32 vcc_lo, 0, v[10:11]
	v_cmp_gt_f64_e64 s4, 0, v[12:13]
	v_xor_b32_e32 v18, 0x80000000, v11
	v_xor_b32_e32 v19, 0x80000000, v13
                                        ; implicit-def: $vgpr20_vgpr21
	s_delay_alu instid0(VALU_DEP_2) | instskip(NEXT) | instid1(VALU_DEP_2)
	v_cndmask_b32_e32 v23, v11, v18, vcc_lo
	v_cndmask_b32_e64 v25, v13, v19, s4
	v_cndmask_b32_e32 v22, v10, v10, vcc_lo
	v_cndmask_b32_e64 v24, v12, v12, s4
	s_mov_b32 s4, exec_lo
	s_delay_alu instid0(VALU_DEP_1)
	v_cmpx_ge_f64_e32 v[22:23], v[24:25]
	s_xor_b32 s15, exec_lo, s4
	s_cbranch_execz .LBB276_71
; %bb.66:                               ;   in Loop: Header=BB276_41 Depth=1
	v_cmp_neq_f64_e32 vcc_lo, 0, v[10:11]
	v_cmp_neq_f64_e64 s4, 0, v[12:13]
                                        ; implicit-def: $vgpr20_vgpr21
	s_delay_alu instid0(VALU_DEP_1) | instskip(NEXT) | instid1(SALU_CYCLE_1)
	s_or_b32 s4, s4, vcc_lo
	s_and_saveexec_b32 s23, s4
	s_delay_alu instid0(SALU_CYCLE_1)
	s_xor_b32 s4, exec_lo, s23
	s_cbranch_execz .LBB276_68
; %bb.67:                               ;   in Loop: Header=BB276_41 Depth=1
	v_div_scale_f64 v[18:19], null, v[10:11], v[10:11], v[12:13]
	v_div_scale_f64 v[24:25], vcc_lo, v[12:13], v[10:11], v[12:13]
	s_delay_alu instid0(VALU_DEP_2) | instskip(SKIP_2) | instid1(VALU_DEP_1)
	v_rcp_f64_e32 v[20:21], v[18:19]
	s_waitcnt_depctr 0xfff
	v_fma_f64 v[22:23], -v[18:19], v[20:21], 1.0
	v_fma_f64 v[20:21], v[20:21], v[22:23], v[20:21]
	s_delay_alu instid0(VALU_DEP_1) | instskip(NEXT) | instid1(VALU_DEP_1)
	v_fma_f64 v[22:23], -v[18:19], v[20:21], 1.0
	v_fma_f64 v[20:21], v[20:21], v[22:23], v[20:21]
	s_delay_alu instid0(VALU_DEP_1) | instskip(NEXT) | instid1(VALU_DEP_1)
	v_mul_f64 v[22:23], v[24:25], v[20:21]
	v_fma_f64 v[18:19], -v[18:19], v[22:23], v[24:25]
	s_delay_alu instid0(VALU_DEP_1) | instskip(NEXT) | instid1(VALU_DEP_1)
	v_div_fmas_f64 v[18:19], v[18:19], v[20:21], v[22:23]
	v_div_fixup_f64 v[18:19], v[18:19], v[10:11], v[12:13]
	s_delay_alu instid0(VALU_DEP_1) | instskip(NEXT) | instid1(VALU_DEP_1)
	v_fma_f64 v[10:11], v[12:13], v[18:19], v[10:11]
	v_div_scale_f64 v[12:13], null, v[10:11], v[10:11], 1.0
	v_div_scale_f64 v[24:25], vcc_lo, 1.0, v[10:11], 1.0
	s_delay_alu instid0(VALU_DEP_2) | instskip(SKIP_2) | instid1(VALU_DEP_1)
	v_rcp_f64_e32 v[20:21], v[12:13]
	s_waitcnt_depctr 0xfff
	v_fma_f64 v[22:23], -v[12:13], v[20:21], 1.0
	v_fma_f64 v[20:21], v[20:21], v[22:23], v[20:21]
	s_delay_alu instid0(VALU_DEP_1) | instskip(NEXT) | instid1(VALU_DEP_1)
	v_fma_f64 v[22:23], -v[12:13], v[20:21], 1.0
	v_fma_f64 v[20:21], v[20:21], v[22:23], v[20:21]
	s_delay_alu instid0(VALU_DEP_1) | instskip(NEXT) | instid1(VALU_DEP_1)
	v_mul_f64 v[22:23], v[24:25], v[20:21]
	v_fma_f64 v[12:13], -v[12:13], v[22:23], v[24:25]
                                        ; implicit-def: $vgpr24_vgpr25
	s_delay_alu instid0(VALU_DEP_1) | instskip(SKIP_1) | instid1(VALU_DEP_2)
	v_div_fmas_f64 v[12:13], v[12:13], v[20:21], v[22:23]
	v_fma_f64 v[20:21], s[10:11], v[18:19], s[8:9]
                                        ; implicit-def: $vgpr22_vgpr23
	v_div_fixup_f64 v[10:11], v[12:13], v[10:11], 1.0
	v_fma_f64 v[12:13], -s[8:9], v[18:19], s[10:11]
	s_delay_alu instid0(VALU_DEP_2) | instskip(NEXT) | instid1(VALU_DEP_2)
	v_mul_f64 v[18:19], v[20:21], v[10:11]
	v_mul_f64 v[20:21], v[12:13], v[10:11]
.LBB276_68:                             ;   in Loop: Header=BB276_41 Depth=1
	s_and_not1_saveexec_b32 s23, s4
	s_cbranch_execz .LBB276_70
; %bb.69:                               ;   in Loop: Header=BB276_41 Depth=1
	v_div_scale_f64 v[10:11], null, v[22:23], v[22:23], s[8:9]
	v_div_scale_f64 v[12:13], null, v[24:25], v[24:25], s[10:11]
	v_div_scale_f64 v[46:47], vcc_lo, s[8:9], v[22:23], s[8:9]
	s_delay_alu instid0(VALU_DEP_3) | instskip(NEXT) | instid1(VALU_DEP_2)
	v_rcp_f64_e32 v[18:19], v[10:11]
	v_rcp_f64_e32 v[20:21], v[12:13]
	s_waitcnt_depctr 0xfff
	v_fma_f64 v[42:43], -v[10:11], v[18:19], 1.0
	v_fma_f64 v[44:45], -v[12:13], v[20:21], 1.0
	s_delay_alu instid0(VALU_DEP_2) | instskip(NEXT) | instid1(VALU_DEP_2)
	v_fma_f64 v[18:19], v[18:19], v[42:43], v[18:19]
	v_fma_f64 v[20:21], v[20:21], v[44:45], v[20:21]
	s_delay_alu instid0(VALU_DEP_2) | instskip(NEXT) | instid1(VALU_DEP_2)
	v_fma_f64 v[42:43], -v[10:11], v[18:19], 1.0
	v_fma_f64 v[44:45], -v[12:13], v[20:21], 1.0
	s_delay_alu instid0(VALU_DEP_2) | instskip(SKIP_1) | instid1(VALU_DEP_3)
	v_fma_f64 v[18:19], v[18:19], v[42:43], v[18:19]
	v_div_scale_f64 v[42:43], s4, s[10:11], v[24:25], s[10:11]
	v_fma_f64 v[20:21], v[20:21], v[44:45], v[20:21]
	s_delay_alu instid0(VALU_DEP_3) | instskip(NEXT) | instid1(VALU_DEP_2)
	v_mul_f64 v[44:45], v[46:47], v[18:19]
	v_mul_f64 v[48:49], v[42:43], v[20:21]
	s_delay_alu instid0(VALU_DEP_2) | instskip(NEXT) | instid1(VALU_DEP_2)
	v_fma_f64 v[10:11], -v[10:11], v[44:45], v[46:47]
	v_fma_f64 v[12:13], -v[12:13], v[48:49], v[42:43]
	s_delay_alu instid0(VALU_DEP_2) | instskip(SKIP_1) | instid1(VALU_DEP_2)
	v_div_fmas_f64 v[10:11], v[10:11], v[18:19], v[44:45]
	s_mov_b32 vcc_lo, s4
	v_div_fmas_f64 v[12:13], v[12:13], v[20:21], v[48:49]
	s_delay_alu instid0(VALU_DEP_2) | instskip(NEXT) | instid1(VALU_DEP_2)
	v_div_fixup_f64 v[18:19], v[10:11], v[22:23], s[8:9]
	v_div_fixup_f64 v[20:21], v[12:13], v[24:25], s[10:11]
.LBB276_70:                             ;   in Loop: Header=BB276_41 Depth=1
	s_or_b32 exec_lo, exec_lo, s23
                                        ; implicit-def: $vgpr12_vgpr13
.LBB276_71:                             ;   in Loop: Header=BB276_41 Depth=1
	s_and_not1_saveexec_b32 s4, s15
	s_cbranch_execz .LBB276_73
; %bb.72:                               ;   in Loop: Header=BB276_41 Depth=1
	v_div_scale_f64 v[18:19], null, v[12:13], v[12:13], v[10:11]
	v_div_scale_f64 v[24:25], vcc_lo, v[10:11], v[12:13], v[10:11]
	s_delay_alu instid0(VALU_DEP_2) | instskip(SKIP_2) | instid1(VALU_DEP_1)
	v_rcp_f64_e32 v[20:21], v[18:19]
	s_waitcnt_depctr 0xfff
	v_fma_f64 v[22:23], -v[18:19], v[20:21], 1.0
	v_fma_f64 v[20:21], v[20:21], v[22:23], v[20:21]
	s_delay_alu instid0(VALU_DEP_1) | instskip(NEXT) | instid1(VALU_DEP_1)
	v_fma_f64 v[22:23], -v[18:19], v[20:21], 1.0
	v_fma_f64 v[20:21], v[20:21], v[22:23], v[20:21]
	s_delay_alu instid0(VALU_DEP_1) | instskip(NEXT) | instid1(VALU_DEP_1)
	v_mul_f64 v[22:23], v[24:25], v[20:21]
	v_fma_f64 v[18:19], -v[18:19], v[22:23], v[24:25]
	s_delay_alu instid0(VALU_DEP_1) | instskip(NEXT) | instid1(VALU_DEP_1)
	v_div_fmas_f64 v[18:19], v[18:19], v[20:21], v[22:23]
	v_div_fixup_f64 v[18:19], v[18:19], v[12:13], v[10:11]
	s_delay_alu instid0(VALU_DEP_1) | instskip(NEXT) | instid1(VALU_DEP_1)
	v_fma_f64 v[10:11], v[10:11], v[18:19], v[12:13]
	v_div_scale_f64 v[12:13], null, v[10:11], v[10:11], 1.0
	v_div_scale_f64 v[24:25], vcc_lo, 1.0, v[10:11], 1.0
	s_delay_alu instid0(VALU_DEP_2) | instskip(SKIP_2) | instid1(VALU_DEP_1)
	v_rcp_f64_e32 v[20:21], v[12:13]
	s_waitcnt_depctr 0xfff
	v_fma_f64 v[22:23], -v[12:13], v[20:21], 1.0
	v_fma_f64 v[20:21], v[20:21], v[22:23], v[20:21]
	s_delay_alu instid0(VALU_DEP_1) | instskip(NEXT) | instid1(VALU_DEP_1)
	v_fma_f64 v[22:23], -v[12:13], v[20:21], 1.0
	v_fma_f64 v[20:21], v[20:21], v[22:23], v[20:21]
	s_delay_alu instid0(VALU_DEP_1) | instskip(NEXT) | instid1(VALU_DEP_1)
	v_mul_f64 v[22:23], v[24:25], v[20:21]
	v_fma_f64 v[12:13], -v[12:13], v[22:23], v[24:25]
	s_delay_alu instid0(VALU_DEP_1) | instskip(SKIP_1) | instid1(VALU_DEP_2)
	v_div_fmas_f64 v[12:13], v[12:13], v[20:21], v[22:23]
	v_fma_f64 v[20:21], s[8:9], v[18:19], s[10:11]
	v_div_fixup_f64 v[10:11], v[12:13], v[10:11], 1.0
	v_fma_f64 v[12:13], s[10:11], v[18:19], -s[8:9]
	s_delay_alu instid0(VALU_DEP_2) | instskip(NEXT) | instid1(VALU_DEP_2)
	v_mul_f64 v[18:19], v[20:21], v[10:11]
	v_mul_f64 v[20:21], v[12:13], v[10:11]
.LBB276_73:                             ;   in Loop: Header=BB276_41 Depth=1
	s_or_b32 exec_lo, exec_lo, s4
	v_cmp_gt_f64_e32 vcc_lo, 0, v[2:3]
	v_cmp_gt_f64_e64 s4, 0, v[4:5]
	v_xor_b32_e32 v10, 0x80000000, v3
	v_xor_b32_e32 v11, 0x80000000, v5
                                        ; implicit-def: $vgpr12_vgpr13
	s_delay_alu instid0(VALU_DEP_2) | instskip(NEXT) | instid1(VALU_DEP_2)
	v_cndmask_b32_e32 v23, v3, v10, vcc_lo
	v_cndmask_b32_e64 v25, v5, v11, s4
	v_cndmask_b32_e32 v22, v2, v2, vcc_lo
	v_cndmask_b32_e64 v24, v4, v4, s4
	s_mov_b32 s4, exec_lo
	s_delay_alu instid0(VALU_DEP_1)
	v_cmpx_ge_f64_e32 v[22:23], v[24:25]
	s_xor_b32 s15, exec_lo, s4
	s_cbranch_execnz .LBB276_79
; %bb.74:                               ;   in Loop: Header=BB276_41 Depth=1
	s_and_not1_saveexec_b32 s4, s15
	s_cbranch_execnz .LBB276_84
.LBB276_75:                             ;   in Loop: Header=BB276_41 Depth=1
	s_or_b32 exec_lo, exec_lo, s4
	s_and_saveexec_b32 s4, s0
	s_delay_alu instid0(SALU_CYCLE_1)
	s_xor_b32 s0, exec_lo, s4
	s_cbranch_execnz .LBB276_85
.LBB276_76:                             ;   in Loop: Header=BB276_41 Depth=1
	s_or_b32 exec_lo, exec_lo, s0
	s_and_saveexec_b32 s0, s1
	s_cbranch_execnz .LBB276_86
.LBB276_77:                             ;   in Loop: Header=BB276_41 Depth=1
	s_or_b32 exec_lo, exec_lo, s0
	s_and_saveexec_b32 s0, s2
	s_cbranch_execnz .LBB276_87
.LBB276_78:                             ;   in Loop: Header=BB276_41 Depth=1
	s_or_b32 exec_lo, exec_lo, s0
	s_and_saveexec_b32 s0, s3
	s_cbranch_execz .LBB276_40
	s_branch .LBB276_88
.LBB276_79:                             ;   in Loop: Header=BB276_41 Depth=1
	v_cmp_neq_f64_e32 vcc_lo, 0, v[2:3]
	v_cmp_neq_f64_e64 s4, 0, v[4:5]
                                        ; implicit-def: $vgpr12_vgpr13
	s_delay_alu instid0(VALU_DEP_1) | instskip(NEXT) | instid1(SALU_CYCLE_1)
	s_or_b32 s4, s4, vcc_lo
	s_and_saveexec_b32 s23, s4
	s_delay_alu instid0(SALU_CYCLE_1)
	s_xor_b32 s4, exec_lo, s23
	s_cbranch_execz .LBB276_81
; %bb.80:                               ;   in Loop: Header=BB276_41 Depth=1
	v_div_scale_f64 v[10:11], null, v[2:3], v[2:3], v[4:5]
	v_div_scale_f64 v[24:25], vcc_lo, v[4:5], v[2:3], v[4:5]
	s_delay_alu instid0(VALU_DEP_2) | instskip(SKIP_2) | instid1(VALU_DEP_1)
	v_rcp_f64_e32 v[12:13], v[10:11]
	s_waitcnt_depctr 0xfff
	v_fma_f64 v[22:23], -v[10:11], v[12:13], 1.0
	v_fma_f64 v[12:13], v[12:13], v[22:23], v[12:13]
	s_delay_alu instid0(VALU_DEP_1) | instskip(NEXT) | instid1(VALU_DEP_1)
	v_fma_f64 v[22:23], -v[10:11], v[12:13], 1.0
	v_fma_f64 v[12:13], v[12:13], v[22:23], v[12:13]
	s_delay_alu instid0(VALU_DEP_1) | instskip(NEXT) | instid1(VALU_DEP_1)
	v_mul_f64 v[22:23], v[24:25], v[12:13]
	v_fma_f64 v[10:11], -v[10:11], v[22:23], v[24:25]
	s_delay_alu instid0(VALU_DEP_1) | instskip(NEXT) | instid1(VALU_DEP_1)
	v_div_fmas_f64 v[10:11], v[10:11], v[12:13], v[22:23]
	v_div_fixup_f64 v[10:11], v[10:11], v[2:3], v[4:5]
	s_delay_alu instid0(VALU_DEP_1) | instskip(NEXT) | instid1(VALU_DEP_1)
	v_fma_f64 v[2:3], v[4:5], v[10:11], v[2:3]
	v_div_scale_f64 v[4:5], null, v[2:3], v[2:3], 1.0
	v_div_scale_f64 v[24:25], vcc_lo, 1.0, v[2:3], 1.0
	s_delay_alu instid0(VALU_DEP_2) | instskip(SKIP_2) | instid1(VALU_DEP_1)
	v_rcp_f64_e32 v[12:13], v[4:5]
	s_waitcnt_depctr 0xfff
	v_fma_f64 v[22:23], -v[4:5], v[12:13], 1.0
	v_fma_f64 v[12:13], v[12:13], v[22:23], v[12:13]
	s_delay_alu instid0(VALU_DEP_1) | instskip(NEXT) | instid1(VALU_DEP_1)
	v_fma_f64 v[22:23], -v[4:5], v[12:13], 1.0
	v_fma_f64 v[12:13], v[12:13], v[22:23], v[12:13]
	s_delay_alu instid0(VALU_DEP_1) | instskip(NEXT) | instid1(VALU_DEP_1)
	v_mul_f64 v[22:23], v[24:25], v[12:13]
	v_fma_f64 v[4:5], -v[4:5], v[22:23], v[24:25]
                                        ; implicit-def: $vgpr24_vgpr25
	s_delay_alu instid0(VALU_DEP_1) | instskip(SKIP_1) | instid1(VALU_DEP_2)
	v_div_fmas_f64 v[4:5], v[4:5], v[12:13], v[22:23]
	v_fma_f64 v[12:13], s[10:11], v[10:11], s[8:9]
                                        ; implicit-def: $vgpr22_vgpr23
	v_div_fixup_f64 v[2:3], v[4:5], v[2:3], 1.0
	v_fma_f64 v[4:5], -s[8:9], v[10:11], s[10:11]
	s_delay_alu instid0(VALU_DEP_2) | instskip(NEXT) | instid1(VALU_DEP_2)
	v_mul_f64 v[10:11], v[12:13], v[2:3]
	v_mul_f64 v[12:13], v[4:5], v[2:3]
.LBB276_81:                             ;   in Loop: Header=BB276_41 Depth=1
	s_and_not1_saveexec_b32 s23, s4
	s_cbranch_execz .LBB276_83
; %bb.82:                               ;   in Loop: Header=BB276_41 Depth=1
	v_div_scale_f64 v[2:3], null, v[22:23], v[22:23], s[8:9]
	v_div_scale_f64 v[4:5], null, v[24:25], v[24:25], s[10:11]
	v_div_scale_f64 v[46:47], vcc_lo, s[8:9], v[22:23], s[8:9]
	s_delay_alu instid0(VALU_DEP_3) | instskip(NEXT) | instid1(VALU_DEP_2)
	v_rcp_f64_e32 v[10:11], v[2:3]
	v_rcp_f64_e32 v[12:13], v[4:5]
	s_waitcnt_depctr 0xfff
	v_fma_f64 v[42:43], -v[2:3], v[10:11], 1.0
	v_fma_f64 v[44:45], -v[4:5], v[12:13], 1.0
	s_delay_alu instid0(VALU_DEP_2) | instskip(NEXT) | instid1(VALU_DEP_2)
	v_fma_f64 v[10:11], v[10:11], v[42:43], v[10:11]
	v_fma_f64 v[12:13], v[12:13], v[44:45], v[12:13]
	s_delay_alu instid0(VALU_DEP_2) | instskip(NEXT) | instid1(VALU_DEP_2)
	v_fma_f64 v[42:43], -v[2:3], v[10:11], 1.0
	v_fma_f64 v[44:45], -v[4:5], v[12:13], 1.0
	s_delay_alu instid0(VALU_DEP_2) | instskip(SKIP_1) | instid1(VALU_DEP_3)
	v_fma_f64 v[10:11], v[10:11], v[42:43], v[10:11]
	v_div_scale_f64 v[42:43], s4, s[10:11], v[24:25], s[10:11]
	v_fma_f64 v[12:13], v[12:13], v[44:45], v[12:13]
	s_delay_alu instid0(VALU_DEP_3) | instskip(NEXT) | instid1(VALU_DEP_2)
	v_mul_f64 v[44:45], v[46:47], v[10:11]
	v_mul_f64 v[48:49], v[42:43], v[12:13]
	s_delay_alu instid0(VALU_DEP_2) | instskip(NEXT) | instid1(VALU_DEP_2)
	v_fma_f64 v[2:3], -v[2:3], v[44:45], v[46:47]
	v_fma_f64 v[4:5], -v[4:5], v[48:49], v[42:43]
	s_delay_alu instid0(VALU_DEP_2) | instskip(SKIP_1) | instid1(VALU_DEP_2)
	v_div_fmas_f64 v[2:3], v[2:3], v[10:11], v[44:45]
	s_mov_b32 vcc_lo, s4
	v_div_fmas_f64 v[4:5], v[4:5], v[12:13], v[48:49]
	s_delay_alu instid0(VALU_DEP_2) | instskip(NEXT) | instid1(VALU_DEP_2)
	v_div_fixup_f64 v[10:11], v[2:3], v[22:23], s[8:9]
	v_div_fixup_f64 v[12:13], v[4:5], v[24:25], s[10:11]
.LBB276_83:                             ;   in Loop: Header=BB276_41 Depth=1
	s_or_b32 exec_lo, exec_lo, s23
                                        ; implicit-def: $vgpr4_vgpr5
	s_and_not1_saveexec_b32 s4, s15
	s_cbranch_execz .LBB276_75
.LBB276_84:                             ;   in Loop: Header=BB276_41 Depth=1
	v_div_scale_f64 v[10:11], null, v[4:5], v[4:5], v[2:3]
	v_div_scale_f64 v[24:25], vcc_lo, v[2:3], v[4:5], v[2:3]
	s_delay_alu instid0(VALU_DEP_2) | instskip(SKIP_2) | instid1(VALU_DEP_1)
	v_rcp_f64_e32 v[12:13], v[10:11]
	s_waitcnt_depctr 0xfff
	v_fma_f64 v[22:23], -v[10:11], v[12:13], 1.0
	v_fma_f64 v[12:13], v[12:13], v[22:23], v[12:13]
	s_delay_alu instid0(VALU_DEP_1) | instskip(NEXT) | instid1(VALU_DEP_1)
	v_fma_f64 v[22:23], -v[10:11], v[12:13], 1.0
	v_fma_f64 v[12:13], v[12:13], v[22:23], v[12:13]
	s_delay_alu instid0(VALU_DEP_1) | instskip(NEXT) | instid1(VALU_DEP_1)
	v_mul_f64 v[22:23], v[24:25], v[12:13]
	v_fma_f64 v[10:11], -v[10:11], v[22:23], v[24:25]
	s_delay_alu instid0(VALU_DEP_1) | instskip(NEXT) | instid1(VALU_DEP_1)
	v_div_fmas_f64 v[10:11], v[10:11], v[12:13], v[22:23]
	v_div_fixup_f64 v[10:11], v[10:11], v[4:5], v[2:3]
	s_delay_alu instid0(VALU_DEP_1) | instskip(NEXT) | instid1(VALU_DEP_1)
	v_fma_f64 v[2:3], v[2:3], v[10:11], v[4:5]
	v_div_scale_f64 v[4:5], null, v[2:3], v[2:3], 1.0
	v_div_scale_f64 v[24:25], vcc_lo, 1.0, v[2:3], 1.0
	s_delay_alu instid0(VALU_DEP_2) | instskip(SKIP_2) | instid1(VALU_DEP_1)
	v_rcp_f64_e32 v[12:13], v[4:5]
	s_waitcnt_depctr 0xfff
	v_fma_f64 v[22:23], -v[4:5], v[12:13], 1.0
	v_fma_f64 v[12:13], v[12:13], v[22:23], v[12:13]
	s_delay_alu instid0(VALU_DEP_1) | instskip(NEXT) | instid1(VALU_DEP_1)
	v_fma_f64 v[22:23], -v[4:5], v[12:13], 1.0
	v_fma_f64 v[12:13], v[12:13], v[22:23], v[12:13]
	s_delay_alu instid0(VALU_DEP_1) | instskip(NEXT) | instid1(VALU_DEP_1)
	v_mul_f64 v[22:23], v[24:25], v[12:13]
	v_fma_f64 v[4:5], -v[4:5], v[22:23], v[24:25]
	s_delay_alu instid0(VALU_DEP_1) | instskip(SKIP_1) | instid1(VALU_DEP_2)
	v_div_fmas_f64 v[4:5], v[4:5], v[12:13], v[22:23]
	v_fma_f64 v[12:13], s[8:9], v[10:11], s[10:11]
	v_div_fixup_f64 v[2:3], v[4:5], v[2:3], 1.0
	v_fma_f64 v[4:5], s[10:11], v[10:11], -s[8:9]
	s_delay_alu instid0(VALU_DEP_2) | instskip(NEXT) | instid1(VALU_DEP_2)
	v_mul_f64 v[10:11], v[12:13], v[2:3]
	v_mul_f64 v[12:13], v[4:5], v[2:3]
	s_or_b32 exec_lo, exec_lo, s4
	s_and_saveexec_b32 s4, s0
	s_delay_alu instid0(SALU_CYCLE_1)
	s_xor_b32 s0, exec_lo, s4
	s_cbranch_execz .LBB276_76
.LBB276_85:                             ;   in Loop: Header=BB276_41 Depth=1
	v_add_co_u32 v2, vcc_lo, v28, s6
	v_add_co_ci_u32_e32 v3, vcc_lo, s7, v29, vcc_lo
	global_store_b128 v[2:3], v[6:9], off offset:-8
	s_or_b32 exec_lo, exec_lo, s0
	s_and_saveexec_b32 s0, s1
	s_cbranch_execz .LBB276_77
.LBB276_86:                             ;   in Loop: Header=BB276_41 Depth=1
	v_add_co_u32 v2, vcc_lo, v30, s6
	v_add_co_ci_u32_e32 v3, vcc_lo, s7, v31, vcc_lo
	global_store_b128 v[2:3], v[14:17], off
	s_or_b32 exec_lo, exec_lo, s0
	s_and_saveexec_b32 s0, s2
	s_cbranch_execz .LBB276_78
.LBB276_87:                             ;   in Loop: Header=BB276_41 Depth=1
	v_add_co_u32 v2, vcc_lo, v40, s6
	v_add_co_ci_u32_e32 v3, vcc_lo, s7, v41, vcc_lo
	global_store_b128 v[2:3], v[18:21], off offset:-8
	s_or_b32 exec_lo, exec_lo, s0
	s_and_saveexec_b32 s0, s3
	s_cbranch_execz .LBB276_40
.LBB276_88:                             ;   in Loop: Header=BB276_41 Depth=1
	v_add_co_u32 v2, vcc_lo, v36, s6
	v_add_co_ci_u32_e32 v3, vcc_lo, s7, v37, vcc_lo
	global_store_b128 v[2:3], v[10:13], off offset:-8
	s_branch .LBB276_40
.LBB276_89:
	s_nop 0
	s_sendmsg sendmsg(MSG_DEALLOC_VGPRS)
	s_endpgm
	.section	.rodata,"a",@progbits
	.p2align	6, 0x0
	.amdhsa_kernel _ZN2at6native12_GLOBAL__N_125multi_tensor_apply_kernelINS1_18TensorListMetadataILi2EEENS1_14UnaryOpFunctorIN3c107complexIdEELi2ELi1ELi1EEEJNS0_10ReciprocalIS8_EEEEEvT_T0_DpT1_
		.amdhsa_group_segment_fixed_size 0
		.amdhsa_private_segment_fixed_size 0
		.amdhsa_kernarg_size 3424
		.amdhsa_user_sgpr_count 15
		.amdhsa_user_sgpr_dispatch_ptr 0
		.amdhsa_user_sgpr_queue_ptr 0
		.amdhsa_user_sgpr_kernarg_segment_ptr 1
		.amdhsa_user_sgpr_dispatch_id 0
		.amdhsa_user_sgpr_private_segment_size 0
		.amdhsa_wavefront_size32 1
		.amdhsa_uses_dynamic_stack 0
		.amdhsa_enable_private_segment 0
		.amdhsa_system_sgpr_workgroup_id_x 1
		.amdhsa_system_sgpr_workgroup_id_y 0
		.amdhsa_system_sgpr_workgroup_id_z 0
		.amdhsa_system_sgpr_workgroup_info 0
		.amdhsa_system_vgpr_workitem_id 0
		.amdhsa_next_free_vgpr 50
		.amdhsa_next_free_sgpr 28
		.amdhsa_reserve_vcc 1
		.amdhsa_float_round_mode_32 0
		.amdhsa_float_round_mode_16_64 0
		.amdhsa_float_denorm_mode_32 3
		.amdhsa_float_denorm_mode_16_64 3
		.amdhsa_dx10_clamp 1
		.amdhsa_ieee_mode 1
		.amdhsa_fp16_overflow 0
		.amdhsa_workgroup_processor_mode 1
		.amdhsa_memory_ordered 1
		.amdhsa_forward_progress 0
		.amdhsa_shared_vgpr_count 0
		.amdhsa_exception_fp_ieee_invalid_op 0
		.amdhsa_exception_fp_denorm_src 0
		.amdhsa_exception_fp_ieee_div_zero 0
		.amdhsa_exception_fp_ieee_overflow 0
		.amdhsa_exception_fp_ieee_underflow 0
		.amdhsa_exception_fp_ieee_inexact 0
		.amdhsa_exception_int_div_zero 0
	.end_amdhsa_kernel
	.section	.text._ZN2at6native12_GLOBAL__N_125multi_tensor_apply_kernelINS1_18TensorListMetadataILi2EEENS1_14UnaryOpFunctorIN3c107complexIdEELi2ELi1ELi1EEEJNS0_10ReciprocalIS8_EEEEEvT_T0_DpT1_,"axG",@progbits,_ZN2at6native12_GLOBAL__N_125multi_tensor_apply_kernelINS1_18TensorListMetadataILi2EEENS1_14UnaryOpFunctorIN3c107complexIdEELi2ELi1ELi1EEEJNS0_10ReciprocalIS8_EEEEEvT_T0_DpT1_,comdat
.Lfunc_end276:
	.size	_ZN2at6native12_GLOBAL__N_125multi_tensor_apply_kernelINS1_18TensorListMetadataILi2EEENS1_14UnaryOpFunctorIN3c107complexIdEELi2ELi1ELi1EEEJNS0_10ReciprocalIS8_EEEEEvT_T0_DpT1_, .Lfunc_end276-_ZN2at6native12_GLOBAL__N_125multi_tensor_apply_kernelINS1_18TensorListMetadataILi2EEENS1_14UnaryOpFunctorIN3c107complexIdEELi2ELi1ELi1EEEJNS0_10ReciprocalIS8_EEEEEvT_T0_DpT1_
                                        ; -- End function
	.section	.AMDGPU.csdata,"",@progbits
; Kernel info:
; codeLenInByte = 8220
; NumSgprs: 30
; NumVgprs: 50
; ScratchSize: 0
; MemoryBound: 1
; FloatMode: 240
; IeeeMode: 1
; LDSByteSize: 0 bytes/workgroup (compile time only)
; SGPRBlocks: 3
; VGPRBlocks: 6
; NumSGPRsForWavesPerEU: 30
; NumVGPRsForWavesPerEU: 50
; Occupancy: 16
; WaveLimiterHint : 0
; COMPUTE_PGM_RSRC2:SCRATCH_EN: 0
; COMPUTE_PGM_RSRC2:USER_SGPR: 15
; COMPUTE_PGM_RSRC2:TRAP_HANDLER: 0
; COMPUTE_PGM_RSRC2:TGID_X_EN: 1
; COMPUTE_PGM_RSRC2:TGID_Y_EN: 0
; COMPUTE_PGM_RSRC2:TGID_Z_EN: 0
; COMPUTE_PGM_RSRC2:TIDIG_COMP_CNT: 0
	.section	.text._ZN2at6native12_GLOBAL__N_125multi_tensor_apply_kernelINS1_18TensorListMetadataILi2EEENS1_14UnaryOpFunctorIN3c107complexIfEELi2ELi1ELi1EEEJNS0_10ReciprocalIS8_EEEEEvT_T0_DpT1_,"axG",@progbits,_ZN2at6native12_GLOBAL__N_125multi_tensor_apply_kernelINS1_18TensorListMetadataILi2EEENS1_14UnaryOpFunctorIN3c107complexIfEELi2ELi1ELi1EEEJNS0_10ReciprocalIS8_EEEEEvT_T0_DpT1_,comdat
	.globl	_ZN2at6native12_GLOBAL__N_125multi_tensor_apply_kernelINS1_18TensorListMetadataILi2EEENS1_14UnaryOpFunctorIN3c107complexIfEELi2ELi1ELi1EEEJNS0_10ReciprocalIS8_EEEEEvT_T0_DpT1_ ; -- Begin function _ZN2at6native12_GLOBAL__N_125multi_tensor_apply_kernelINS1_18TensorListMetadataILi2EEENS1_14UnaryOpFunctorIN3c107complexIfEELi2ELi1ELi1EEEJNS0_10ReciprocalIS8_EEEEEvT_T0_DpT1_
	.p2align	8
	.type	_ZN2at6native12_GLOBAL__N_125multi_tensor_apply_kernelINS1_18TensorListMetadataILi2EEENS1_14UnaryOpFunctorIN3c107complexIfEELi2ELi1ELi1EEEJNS0_10ReciprocalIS8_EEEEEvT_T0_DpT1_,@function
_ZN2at6native12_GLOBAL__N_125multi_tensor_apply_kernelINS1_18TensorListMetadataILi2EEENS1_14UnaryOpFunctorIN3c107complexIfEELi2ELi1ELi1EEEJNS0_10ReciprocalIS8_EEEEEvT_T0_DpT1_: ; @_ZN2at6native12_GLOBAL__N_125multi_tensor_apply_kernelINS1_18TensorListMetadataILi2EEENS1_14UnaryOpFunctorIN3c107complexIfEELi2ELi1ELi1EEEJNS0_10ReciprocalIS8_EEEEEvT_T0_DpT1_
; %bb.0:
	v_mov_b32_e32 v1, s15
	s_add_u32 s2, s0, s15
	s_mul_hi_u32 s3, s15, 3
	s_mul_i32 s15, s15, 3
	s_addc_u32 s4, s1, 0
	global_load_u8 v1, v1, s[0:1] offset:1536
	s_add_u32 s2, s2, s15
	s_addc_u32 s3, s4, s3
	s_mov_b32 s21, 0
	s_load_b32 s10, s[2:3], 0x740
	s_mov_b32 s23, s21
	s_mov_b32 s25, s21
	s_waitcnt lgkmcnt(0)
	s_ashr_i32 s11, s10, 31
	s_delay_alu instid0(SALU_CYCLE_1) | instskip(SKIP_2) | instid1(VALU_DEP_1)
	s_lshl_b64 s[8:9], s[10:11], 19
	s_waitcnt vmcnt(0)
	v_readfirstlane_b32 s2, v1
	s_lshl_b32 s2, s2, 3
	s_clause 0x3
	s_load_b64 s[4:5], s[0:1], s2 offset:0x0
	s_load_b64 s[16:17], s[0:1], s2 offset:0x200
	;; [unrolled: 1-line block ×3, first 2 shown]
	s_load_b64 s[6:7], s[0:1], 0xc50
	s_mov_b32 s2, -1
	s_waitcnt lgkmcnt(0)
	s_add_u32 s3, s4, s8
	s_addc_u32 s12, s5, s9
	s_add_u32 s13, s16, s8
	s_addc_u32 s14, s17, s9
	s_and_b32 s22, s3, 31
	s_and_b32 s24, s18, 3
	;; [unrolled: 1-line block ×3, first 2 shown]
	s_or_b64 s[22:23], s[22:23], s[24:25]
	s_lshl_b64 s[10:11], s[10:11], 16
	s_or_b64 s[20:21], s[20:21], s[22:23]
	s_sub_u32 s10, s18, s10
	s_subb_u32 s11, s19, s11
	s_cmp_eq_u64 s[20:21], 0
	s_cbranch_scc0 .LBB277_37
; %bb.1:
	v_dual_mov_b32 v14, 0 :: v_dual_lshlrev_b32 v13, 2, v0
	s_mov_b32 s15, exec_lo
	s_delay_alu instid0(VALU_DEP_1)
	v_cmpx_gt_i64_e64 s[10:11], v[13:14]
	s_cbranch_execz .LBB277_36
; %bb.2:
	s_load_b32 s2, s[0:1], 0xc64
	v_lshlrev_b32_e32 v15, 5, v0
	s_mov_b32 s18, 0
	s_waitcnt lgkmcnt(0)
	s_and_b32 s2, s2, 0xffff
	s_delay_alu instid0(SALU_CYCLE_1)
	v_add_lshl_u32 v13, v0, s2, 2
	s_lshl_b32 s19, s2, 2
	s_lshl_b32 s20, s2, 5
	s_branch .LBB277_4
.LBB277_3:                              ;   in Loop: Header=BB277_4 Depth=1
	s_or_b32 exec_lo, exec_lo, s2
	v_cmp_le_i64_e32 vcc_lo, s[10:11], v[13:14]
	v_cmp_lt_u64_e64 s2, 0xffff, v[13:14]
	v_add_co_u32 v1, s21, s13, v15
	s_delay_alu instid0(VALU_DEP_1)
	v_add_co_ci_u32_e64 v2, null, s14, 0, s21
	s_clause 0x1
	global_store_b128 v[1:2], v[5:8], off
	global_store_b128 v[1:2], v[9:12], off offset:16
	s_or_b32 s2, vcc_lo, s2
	s_add_u32 s3, s3, s20
	v_add_co_u32 v13, vcc_lo, v13, s19
	s_addc_u32 s12, s12, 0
	s_add_u32 s13, s13, s20
	v_add_co_ci_u32_e32 v14, vcc_lo, 0, v14, vcc_lo
	s_addc_u32 s14, s14, 0
	s_and_b32 s2, exec_lo, s2
	s_delay_alu instid0(SALU_CYCLE_1) | instskip(NEXT) | instid1(SALU_CYCLE_1)
	s_or_b32 s18, s2, s18
	s_and_not1_b32 exec_lo, exec_lo, s18
	s_cbranch_execz .LBB277_36
.LBB277_4:                              ; =>This Inner Loop Header: Depth=1
	v_add_co_u32 v1, s2, s3, v15
	s_delay_alu instid0(VALU_DEP_1)
	v_add_co_ci_u32_e64 v2, null, s12, 0, s2
                                        ; implicit-def: $vgpr6
	s_mov_b32 s2, exec_lo
	s_clause 0x1
	global_load_b128 v[9:12], v[1:2], off
	global_load_b128 v[1:4], v[1:2], off offset:16
	s_waitcnt vmcnt(1)
	v_cmp_gt_f32_e32 vcc_lo, 0, v9
	v_cndmask_b32_e64 v7, v9, -v9, vcc_lo
	v_cmp_gt_f32_e32 vcc_lo, 0, v10
	v_cndmask_b32_e64 v8, v10, -v10, vcc_lo
	s_delay_alu instid0(VALU_DEP_1)
	v_cmpx_ge_f32_e32 v7, v8
	s_xor_b32 s21, exec_lo, s2
	s_cbranch_execz .LBB277_10
; %bb.5:                                ;   in Loop: Header=BB277_4 Depth=1
	v_cmp_neq_f32_e32 vcc_lo, 0, v9
	v_cmp_neq_f32_e64 s2, 0, v10
                                        ; implicit-def: $vgpr6
	s_delay_alu instid0(VALU_DEP_1) | instskip(NEXT) | instid1(SALU_CYCLE_1)
	s_or_b32 s2, vcc_lo, s2
	s_and_saveexec_b32 s22, s2
	s_delay_alu instid0(SALU_CYCLE_1)
	s_xor_b32 s2, exec_lo, s22
	s_cbranch_execz .LBB277_7
; %bb.6:                                ;   in Loop: Header=BB277_4 Depth=1
	v_div_scale_f32 v5, null, v9, v9, v10
	v_div_scale_f32 v8, vcc_lo, v10, v9, v10
	s_delay_alu instid0(VALU_DEP_2) | instskip(SKIP_2) | instid1(VALU_DEP_1)
	v_rcp_f32_e32 v6, v5
	s_waitcnt_depctr 0xfff
	v_fma_f32 v7, -v5, v6, 1.0
	v_fmac_f32_e32 v6, v7, v6
	s_delay_alu instid0(VALU_DEP_1) | instskip(NEXT) | instid1(VALU_DEP_1)
	v_mul_f32_e32 v7, v8, v6
	v_fma_f32 v16, -v5, v7, v8
	s_delay_alu instid0(VALU_DEP_1) | instskip(NEXT) | instid1(VALU_DEP_1)
	v_fmac_f32_e32 v7, v16, v6
	v_fma_f32 v5, -v5, v7, v8
	s_delay_alu instid0(VALU_DEP_1) | instskip(NEXT) | instid1(VALU_DEP_1)
	v_div_fmas_f32 v5, v5, v6, v7
	v_div_fixup_f32 v5, v5, v9, v10
	s_delay_alu instid0(VALU_DEP_1) | instskip(NEXT) | instid1(VALU_DEP_1)
	v_fma_f32 v6, v10, v5, v9
	v_div_scale_f32 v7, null, v6, v6, 1.0
	v_div_scale_f32 v17, vcc_lo, 1.0, v6, 1.0
	s_delay_alu instid0(VALU_DEP_2) | instskip(SKIP_2) | instid1(VALU_DEP_1)
	v_rcp_f32_e32 v8, v7
	s_waitcnt_depctr 0xfff
	v_fma_f32 v16, -v7, v8, 1.0
	v_fmac_f32_e32 v8, v16, v8
	s_delay_alu instid0(VALU_DEP_1) | instskip(NEXT) | instid1(VALU_DEP_1)
	v_mul_f32_e32 v16, v17, v8
	v_fma_f32 v18, -v7, v16, v17
	s_delay_alu instid0(VALU_DEP_1) | instskip(NEXT) | instid1(VALU_DEP_1)
	v_fmac_f32_e32 v16, v18, v8
	v_fma_f32 v7, -v7, v16, v17
	s_delay_alu instid0(VALU_DEP_1) | instskip(SKIP_1) | instid1(VALU_DEP_2)
	v_div_fmas_f32 v7, v7, v8, v16
	v_fma_f32 v8, v5, s7, s6
	v_div_fixup_f32 v6, v7, v6, 1.0
	v_fma_f32 v7, -v5, s6, s7
	s_delay_alu instid0(VALU_DEP_2) | instskip(NEXT) | instid1(VALU_DEP_2)
	v_mul_f32_e32 v5, v8, v6
	v_mul_f32_e32 v6, v7, v6
                                        ; implicit-def: $vgpr7
                                        ; implicit-def: $vgpr8
.LBB277_7:                              ;   in Loop: Header=BB277_4 Depth=1
	s_and_not1_saveexec_b32 s22, s2
	s_cbranch_execz .LBB277_9
; %bb.8:                                ;   in Loop: Header=BB277_4 Depth=1
	v_div_scale_f32 v5, null, v7, v7, s6
	v_div_scale_f32 v6, null, v8, v8, s7
	v_div_scale_f32 v20, vcc_lo, s6, v7, s6
	s_delay_alu instid0(VALU_DEP_3) | instskip(NEXT) | instid1(VALU_DEP_2)
	v_rcp_f32_e32 v16, v5
	v_rcp_f32_e32 v17, v6
	s_waitcnt_depctr 0xfff
	v_fma_f32 v18, -v5, v16, 1.0
	v_fma_f32 v19, -v6, v17, 1.0
	s_delay_alu instid0(VALU_DEP_1) | instskip(SKIP_1) | instid1(VALU_DEP_2)
	v_dual_fmac_f32 v16, v18, v16 :: v_dual_fmac_f32 v17, v19, v17
	v_div_scale_f32 v18, s2, s7, v8, s7
	v_mul_f32_e32 v19, v20, v16
	s_delay_alu instid0(VALU_DEP_2) | instskip(NEXT) | instid1(VALU_DEP_2)
	v_mul_f32_e32 v21, v18, v17
	v_fma_f32 v22, -v5, v19, v20
	s_delay_alu instid0(VALU_DEP_2) | instskip(NEXT) | instid1(VALU_DEP_2)
	v_fma_f32 v23, -v6, v21, v18
	v_fmac_f32_e32 v19, v22, v16
	s_delay_alu instid0(VALU_DEP_2) | instskip(NEXT) | instid1(VALU_DEP_2)
	v_fmac_f32_e32 v21, v23, v17
	v_fma_f32 v5, -v5, v19, v20
	s_delay_alu instid0(VALU_DEP_2) | instskip(NEXT) | instid1(VALU_DEP_2)
	v_fma_f32 v6, -v6, v21, v18
	v_div_fmas_f32 v5, v5, v16, v19
	s_mov_b32 vcc_lo, s2
	s_delay_alu instid0(VALU_DEP_2) | instskip(NEXT) | instid1(VALU_DEP_2)
	v_div_fmas_f32 v6, v6, v17, v21
	v_div_fixup_f32 v5, v5, v7, s6
	s_delay_alu instid0(VALU_DEP_2)
	v_div_fixup_f32 v6, v6, v8, s7
.LBB277_9:                              ;   in Loop: Header=BB277_4 Depth=1
	s_or_b32 exec_lo, exec_lo, s22
.LBB277_10:                             ;   in Loop: Header=BB277_4 Depth=1
	s_and_not1_saveexec_b32 s2, s21
	s_cbranch_execz .LBB277_12
; %bb.11:                               ;   in Loop: Header=BB277_4 Depth=1
	v_div_scale_f32 v5, null, v10, v10, v9
	v_div_scale_f32 v8, vcc_lo, v9, v10, v9
	s_delay_alu instid0(VALU_DEP_2) | instskip(SKIP_2) | instid1(VALU_DEP_1)
	v_rcp_f32_e32 v6, v5
	s_waitcnt_depctr 0xfff
	v_fma_f32 v7, -v5, v6, 1.0
	v_fmac_f32_e32 v6, v7, v6
	s_delay_alu instid0(VALU_DEP_1) | instskip(NEXT) | instid1(VALU_DEP_1)
	v_mul_f32_e32 v7, v8, v6
	v_fma_f32 v16, -v5, v7, v8
	s_delay_alu instid0(VALU_DEP_1) | instskip(NEXT) | instid1(VALU_DEP_1)
	v_fmac_f32_e32 v7, v16, v6
	v_fma_f32 v5, -v5, v7, v8
	s_delay_alu instid0(VALU_DEP_1) | instskip(NEXT) | instid1(VALU_DEP_1)
	v_div_fmas_f32 v5, v5, v6, v7
	v_div_fixup_f32 v5, v5, v10, v9
	s_delay_alu instid0(VALU_DEP_1) | instskip(NEXT) | instid1(VALU_DEP_1)
	v_fma_f32 v6, v9, v5, v10
	v_div_scale_f32 v7, null, v6, v6, 1.0
	v_div_scale_f32 v10, vcc_lo, 1.0, v6, 1.0
	s_delay_alu instid0(VALU_DEP_2) | instskip(SKIP_2) | instid1(VALU_DEP_1)
	v_rcp_f32_e32 v8, v7
	s_waitcnt_depctr 0xfff
	v_fma_f32 v9, -v7, v8, 1.0
	v_fmac_f32_e32 v8, v9, v8
	s_delay_alu instid0(VALU_DEP_1) | instskip(NEXT) | instid1(VALU_DEP_1)
	v_mul_f32_e32 v9, v10, v8
	v_fma_f32 v16, -v7, v9, v10
	s_delay_alu instid0(VALU_DEP_1) | instskip(NEXT) | instid1(VALU_DEP_1)
	v_fmac_f32_e32 v9, v16, v8
	v_fma_f32 v7, -v7, v9, v10
	s_delay_alu instid0(VALU_DEP_1) | instskip(SKIP_1) | instid1(VALU_DEP_2)
	v_div_fmas_f32 v7, v7, v8, v9
	v_fma_f32 v8, v5, s6, s7
	v_div_fixup_f32 v6, v7, v6, 1.0
	v_fma_f32 v7, v5, s7, -s6
	s_delay_alu instid0(VALU_DEP_2) | instskip(NEXT) | instid1(VALU_DEP_2)
	v_mul_f32_e32 v5, v8, v6
	v_mul_f32_e32 v6, v7, v6
.LBB277_12:                             ;   in Loop: Header=BB277_4 Depth=1
	s_or_b32 exec_lo, exec_lo, s2
	v_cmp_gt_f32_e32 vcc_lo, 0, v11
	s_mov_b32 s2, exec_lo
	v_cndmask_b32_e64 v9, v11, -v11, vcc_lo
	v_cmp_gt_f32_e32 vcc_lo, 0, v12
	v_cndmask_b32_e64 v10, v12, -v12, vcc_lo
	s_delay_alu instid0(VALU_DEP_1)
	v_cmpx_ge_f32_e32 v9, v10
	s_xor_b32 s21, exec_lo, s2
	s_cbranch_execz .LBB277_18
; %bb.13:                               ;   in Loop: Header=BB277_4 Depth=1
	v_cmp_neq_f32_e32 vcc_lo, 0, v11
	v_cmp_neq_f32_e64 s2, 0, v12
	s_delay_alu instid0(VALU_DEP_1) | instskip(NEXT) | instid1(SALU_CYCLE_1)
	s_or_b32 s2, vcc_lo, s2
	s_and_saveexec_b32 s22, s2
	s_delay_alu instid0(SALU_CYCLE_1)
	s_xor_b32 s2, exec_lo, s22
	s_cbranch_execz .LBB277_15
; %bb.14:                               ;   in Loop: Header=BB277_4 Depth=1
	v_div_scale_f32 v7, null, v11, v11, v12
	v_div_scale_f32 v10, vcc_lo, v12, v11, v12
	s_delay_alu instid0(VALU_DEP_2) | instskip(SKIP_2) | instid1(VALU_DEP_1)
	v_rcp_f32_e32 v8, v7
	s_waitcnt_depctr 0xfff
	v_fma_f32 v9, -v7, v8, 1.0
	v_fmac_f32_e32 v8, v9, v8
	s_delay_alu instid0(VALU_DEP_1) | instskip(NEXT) | instid1(VALU_DEP_1)
	v_mul_f32_e32 v9, v10, v8
	v_fma_f32 v16, -v7, v9, v10
	s_delay_alu instid0(VALU_DEP_1) | instskip(NEXT) | instid1(VALU_DEP_1)
	v_fmac_f32_e32 v9, v16, v8
	v_fma_f32 v7, -v7, v9, v10
	s_delay_alu instid0(VALU_DEP_1) | instskip(NEXT) | instid1(VALU_DEP_1)
	v_div_fmas_f32 v7, v7, v8, v9
	v_div_fixup_f32 v7, v7, v11, v12
	s_delay_alu instid0(VALU_DEP_1) | instskip(NEXT) | instid1(VALU_DEP_1)
	v_fmac_f32_e32 v11, v12, v7
	v_div_scale_f32 v8, null, v11, v11, 1.0
	v_div_scale_f32 v12, vcc_lo, 1.0, v11, 1.0
	s_delay_alu instid0(VALU_DEP_2) | instskip(SKIP_2) | instid1(VALU_DEP_1)
	v_rcp_f32_e32 v9, v8
	s_waitcnt_depctr 0xfff
	v_fma_f32 v10, -v8, v9, 1.0
	v_fmac_f32_e32 v9, v10, v9
	s_delay_alu instid0(VALU_DEP_1) | instskip(NEXT) | instid1(VALU_DEP_1)
	v_mul_f32_e32 v10, v12, v9
	v_fma_f32 v16, -v8, v10, v12
	s_delay_alu instid0(VALU_DEP_1) | instskip(NEXT) | instid1(VALU_DEP_1)
	v_fmac_f32_e32 v10, v16, v9
	v_fma_f32 v8, -v8, v10, v12
	s_delay_alu instid0(VALU_DEP_1) | instskip(SKIP_2) | instid1(VALU_DEP_3)
	v_div_fmas_f32 v8, v8, v9, v10
	v_fma_f32 v9, v7, s7, s6
	v_fma_f32 v10, -v7, s6, s7
	v_div_fixup_f32 v8, v8, v11, 1.0
	s_delay_alu instid0(VALU_DEP_1) | instskip(NEXT) | instid1(VALU_DEP_3)
	v_mul_f32_e32 v7, v9, v8
	v_mul_f32_e32 v8, v10, v8
                                        ; implicit-def: $vgpr9
                                        ; implicit-def: $vgpr10
.LBB277_15:                             ;   in Loop: Header=BB277_4 Depth=1
	s_and_not1_saveexec_b32 s22, s2
	s_cbranch_execz .LBB277_17
; %bb.16:                               ;   in Loop: Header=BB277_4 Depth=1
	v_div_scale_f32 v7, null, v9, v9, s6
	v_div_scale_f32 v8, null, v10, v10, s7
	v_div_scale_f32 v18, vcc_lo, s6, v9, s6
	s_delay_alu instid0(VALU_DEP_3) | instskip(NEXT) | instid1(VALU_DEP_2)
	v_rcp_f32_e32 v11, v7
	v_rcp_f32_e32 v12, v8
	s_waitcnt_depctr 0xfff
	v_fma_f32 v16, -v7, v11, 1.0
	v_fma_f32 v17, -v8, v12, 1.0
	s_delay_alu instid0(VALU_DEP_1) | instskip(SKIP_1) | instid1(VALU_DEP_2)
	v_dual_fmac_f32 v11, v16, v11 :: v_dual_fmac_f32 v12, v17, v12
	v_div_scale_f32 v16, s2, s7, v10, s7
	v_mul_f32_e32 v17, v18, v11
	s_delay_alu instid0(VALU_DEP_2) | instskip(NEXT) | instid1(VALU_DEP_2)
	v_mul_f32_e32 v19, v16, v12
	v_fma_f32 v20, -v7, v17, v18
	s_delay_alu instid0(VALU_DEP_2) | instskip(NEXT) | instid1(VALU_DEP_2)
	v_fma_f32 v21, -v8, v19, v16
	v_fmac_f32_e32 v17, v20, v11
	s_delay_alu instid0(VALU_DEP_2) | instskip(NEXT) | instid1(VALU_DEP_2)
	v_fmac_f32_e32 v19, v21, v12
	v_fma_f32 v7, -v7, v17, v18
	s_delay_alu instid0(VALU_DEP_2) | instskip(NEXT) | instid1(VALU_DEP_2)
	v_fma_f32 v8, -v8, v19, v16
	v_div_fmas_f32 v7, v7, v11, v17
	s_mov_b32 vcc_lo, s2
	s_delay_alu instid0(VALU_DEP_2) | instskip(NEXT) | instid1(VALU_DEP_2)
	v_div_fmas_f32 v8, v8, v12, v19
	v_div_fixup_f32 v7, v7, v9, s6
	s_delay_alu instid0(VALU_DEP_2)
	v_div_fixup_f32 v8, v8, v10, s7
.LBB277_17:                             ;   in Loop: Header=BB277_4 Depth=1
	s_or_b32 exec_lo, exec_lo, s22
                                        ; implicit-def: $vgpr9_vgpr10_vgpr11_vgpr12
.LBB277_18:                             ;   in Loop: Header=BB277_4 Depth=1
	s_and_not1_saveexec_b32 s2, s21
	s_cbranch_execz .LBB277_20
; %bb.19:                               ;   in Loop: Header=BB277_4 Depth=1
	v_div_scale_f32 v7, null, v12, v12, v11
	v_div_scale_f32 v10, vcc_lo, v11, v12, v11
	s_delay_alu instid0(VALU_DEP_2) | instskip(SKIP_2) | instid1(VALU_DEP_1)
	v_rcp_f32_e32 v8, v7
	s_waitcnt_depctr 0xfff
	v_fma_f32 v9, -v7, v8, 1.0
	v_fmac_f32_e32 v8, v9, v8
	s_delay_alu instid0(VALU_DEP_1) | instskip(NEXT) | instid1(VALU_DEP_1)
	v_mul_f32_e32 v9, v10, v8
	v_fma_f32 v16, -v7, v9, v10
	s_delay_alu instid0(VALU_DEP_1) | instskip(NEXT) | instid1(VALU_DEP_1)
	v_fmac_f32_e32 v9, v16, v8
	v_fma_f32 v7, -v7, v9, v10
	s_delay_alu instid0(VALU_DEP_1) | instskip(NEXT) | instid1(VALU_DEP_1)
	v_div_fmas_f32 v7, v7, v8, v9
	v_div_fixup_f32 v7, v7, v12, v11
	s_delay_alu instid0(VALU_DEP_1) | instskip(NEXT) | instid1(VALU_DEP_1)
	v_fmac_f32_e32 v12, v11, v7
	v_div_scale_f32 v8, null, v12, v12, 1.0
	v_div_scale_f32 v11, vcc_lo, 1.0, v12, 1.0
	s_delay_alu instid0(VALU_DEP_2) | instskip(SKIP_2) | instid1(VALU_DEP_1)
	v_rcp_f32_e32 v9, v8
	s_waitcnt_depctr 0xfff
	v_fma_f32 v10, -v8, v9, 1.0
	v_fmac_f32_e32 v9, v10, v9
	s_delay_alu instid0(VALU_DEP_1) | instskip(NEXT) | instid1(VALU_DEP_1)
	v_mul_f32_e32 v10, v11, v9
	v_fma_f32 v16, -v8, v10, v11
	s_delay_alu instid0(VALU_DEP_1) | instskip(NEXT) | instid1(VALU_DEP_1)
	v_fmac_f32_e32 v10, v16, v9
	v_fma_f32 v8, -v8, v10, v11
	s_delay_alu instid0(VALU_DEP_1) | instskip(SKIP_2) | instid1(VALU_DEP_3)
	v_div_fmas_f32 v8, v8, v9, v10
	v_fma_f32 v9, v7, s6, s7
	v_fma_f32 v10, v7, s7, -s6
	v_div_fixup_f32 v8, v8, v12, 1.0
	s_delay_alu instid0(VALU_DEP_1) | instskip(NEXT) | instid1(VALU_DEP_3)
	v_mul_f32_e32 v7, v9, v8
	v_mul_f32_e32 v8, v10, v8
.LBB277_20:                             ;   in Loop: Header=BB277_4 Depth=1
	s_or_b32 exec_lo, exec_lo, s2
	s_waitcnt vmcnt(0)
	v_cmp_gt_f32_e32 vcc_lo, 0, v1
                                        ; implicit-def: $vgpr10
	s_mov_b32 s2, exec_lo
	v_cndmask_b32_e64 v11, v1, -v1, vcc_lo
	v_cmp_gt_f32_e32 vcc_lo, 0, v2
	v_cndmask_b32_e64 v12, v2, -v2, vcc_lo
	s_delay_alu instid0(VALU_DEP_1)
	v_cmpx_ge_f32_e32 v11, v12
	s_xor_b32 s21, exec_lo, s2
	s_cbranch_execz .LBB277_26
; %bb.21:                               ;   in Loop: Header=BB277_4 Depth=1
	v_cmp_neq_f32_e32 vcc_lo, 0, v1
	v_cmp_neq_f32_e64 s2, 0, v2
                                        ; implicit-def: $vgpr10
	s_delay_alu instid0(VALU_DEP_1) | instskip(NEXT) | instid1(SALU_CYCLE_1)
	s_or_b32 s2, vcc_lo, s2
	s_and_saveexec_b32 s22, s2
	s_delay_alu instid0(SALU_CYCLE_1)
	s_xor_b32 s2, exec_lo, s22
	s_cbranch_execz .LBB277_23
; %bb.22:                               ;   in Loop: Header=BB277_4 Depth=1
	v_div_scale_f32 v9, null, v1, v1, v2
	v_div_scale_f32 v12, vcc_lo, v2, v1, v2
	s_delay_alu instid0(VALU_DEP_2) | instskip(SKIP_2) | instid1(VALU_DEP_1)
	v_rcp_f32_e32 v10, v9
	s_waitcnt_depctr 0xfff
	v_fma_f32 v11, -v9, v10, 1.0
	v_fmac_f32_e32 v10, v11, v10
	s_delay_alu instid0(VALU_DEP_1) | instskip(NEXT) | instid1(VALU_DEP_1)
	v_mul_f32_e32 v11, v12, v10
	v_fma_f32 v16, -v9, v11, v12
	s_delay_alu instid0(VALU_DEP_1) | instskip(NEXT) | instid1(VALU_DEP_1)
	v_fmac_f32_e32 v11, v16, v10
	v_fma_f32 v9, -v9, v11, v12
	s_delay_alu instid0(VALU_DEP_1) | instskip(NEXT) | instid1(VALU_DEP_1)
	v_div_fmas_f32 v9, v9, v10, v11
	v_div_fixup_f32 v9, v9, v1, v2
	s_delay_alu instid0(VALU_DEP_1) | instskip(NEXT) | instid1(VALU_DEP_1)
	v_fma_f32 v10, v2, v9, v1
	v_div_scale_f32 v11, null, v10, v10, 1.0
	v_div_scale_f32 v17, vcc_lo, 1.0, v10, 1.0
	s_delay_alu instid0(VALU_DEP_2) | instskip(SKIP_2) | instid1(VALU_DEP_1)
	v_rcp_f32_e32 v12, v11
	s_waitcnt_depctr 0xfff
	v_fma_f32 v16, -v11, v12, 1.0
	v_fmac_f32_e32 v12, v16, v12
	s_delay_alu instid0(VALU_DEP_1) | instskip(NEXT) | instid1(VALU_DEP_1)
	v_mul_f32_e32 v16, v17, v12
	v_fma_f32 v18, -v11, v16, v17
	s_delay_alu instid0(VALU_DEP_1) | instskip(NEXT) | instid1(VALU_DEP_1)
	v_fmac_f32_e32 v16, v18, v12
	v_fma_f32 v11, -v11, v16, v17
	s_delay_alu instid0(VALU_DEP_1) | instskip(SKIP_1) | instid1(VALU_DEP_2)
	v_div_fmas_f32 v11, v11, v12, v16
	v_fma_f32 v12, v9, s7, s6
	v_div_fixup_f32 v10, v11, v10, 1.0
	v_fma_f32 v11, -v9, s6, s7
	s_delay_alu instid0(VALU_DEP_2) | instskip(NEXT) | instid1(VALU_DEP_2)
	v_mul_f32_e32 v9, v12, v10
	v_mul_f32_e32 v10, v11, v10
                                        ; implicit-def: $vgpr11
                                        ; implicit-def: $vgpr12
.LBB277_23:                             ;   in Loop: Header=BB277_4 Depth=1
	s_and_not1_saveexec_b32 s22, s2
	s_cbranch_execz .LBB277_25
; %bb.24:                               ;   in Loop: Header=BB277_4 Depth=1
	v_div_scale_f32 v9, null, v11, v11, s6
	v_div_scale_f32 v10, null, v12, v12, s7
	v_div_scale_f32 v20, vcc_lo, s6, v11, s6
	s_delay_alu instid0(VALU_DEP_3) | instskip(NEXT) | instid1(VALU_DEP_2)
	v_rcp_f32_e32 v16, v9
	v_rcp_f32_e32 v17, v10
	s_waitcnt_depctr 0xfff
	v_fma_f32 v18, -v9, v16, 1.0
	v_fma_f32 v19, -v10, v17, 1.0
	s_delay_alu instid0(VALU_DEP_1) | instskip(SKIP_1) | instid1(VALU_DEP_2)
	v_dual_fmac_f32 v16, v18, v16 :: v_dual_fmac_f32 v17, v19, v17
	v_div_scale_f32 v18, s2, s7, v12, s7
	v_mul_f32_e32 v19, v20, v16
	s_delay_alu instid0(VALU_DEP_2) | instskip(NEXT) | instid1(VALU_DEP_2)
	v_mul_f32_e32 v21, v18, v17
	v_fma_f32 v22, -v9, v19, v20
	s_delay_alu instid0(VALU_DEP_2) | instskip(NEXT) | instid1(VALU_DEP_2)
	v_fma_f32 v23, -v10, v21, v18
	v_fmac_f32_e32 v19, v22, v16
	s_delay_alu instid0(VALU_DEP_2) | instskip(NEXT) | instid1(VALU_DEP_2)
	v_fmac_f32_e32 v21, v23, v17
	v_fma_f32 v9, -v9, v19, v20
	s_delay_alu instid0(VALU_DEP_2) | instskip(NEXT) | instid1(VALU_DEP_2)
	v_fma_f32 v10, -v10, v21, v18
	v_div_fmas_f32 v9, v9, v16, v19
	s_mov_b32 vcc_lo, s2
	s_delay_alu instid0(VALU_DEP_2) | instskip(NEXT) | instid1(VALU_DEP_2)
	v_div_fmas_f32 v10, v10, v17, v21
	v_div_fixup_f32 v9, v9, v11, s6
	s_delay_alu instid0(VALU_DEP_2)
	v_div_fixup_f32 v10, v10, v12, s7
.LBB277_25:                             ;   in Loop: Header=BB277_4 Depth=1
	s_or_b32 exec_lo, exec_lo, s22
.LBB277_26:                             ;   in Loop: Header=BB277_4 Depth=1
	s_and_not1_saveexec_b32 s2, s21
	s_cbranch_execz .LBB277_28
; %bb.27:                               ;   in Loop: Header=BB277_4 Depth=1
	v_div_scale_f32 v9, null, v2, v2, v1
	v_div_scale_f32 v12, vcc_lo, v1, v2, v1
	s_delay_alu instid0(VALU_DEP_2) | instskip(SKIP_2) | instid1(VALU_DEP_1)
	v_rcp_f32_e32 v10, v9
	s_waitcnt_depctr 0xfff
	v_fma_f32 v11, -v9, v10, 1.0
	v_fmac_f32_e32 v10, v11, v10
	s_delay_alu instid0(VALU_DEP_1) | instskip(NEXT) | instid1(VALU_DEP_1)
	v_mul_f32_e32 v11, v12, v10
	v_fma_f32 v16, -v9, v11, v12
	s_delay_alu instid0(VALU_DEP_1) | instskip(NEXT) | instid1(VALU_DEP_1)
	v_fmac_f32_e32 v11, v16, v10
	v_fma_f32 v9, -v9, v11, v12
	s_delay_alu instid0(VALU_DEP_1) | instskip(NEXT) | instid1(VALU_DEP_1)
	v_div_fmas_f32 v9, v9, v10, v11
	v_div_fixup_f32 v9, v9, v2, v1
	s_delay_alu instid0(VALU_DEP_1) | instskip(NEXT) | instid1(VALU_DEP_1)
	v_fma_f32 v1, v1, v9, v2
	v_div_scale_f32 v2, null, v1, v1, 1.0
	v_div_scale_f32 v12, vcc_lo, 1.0, v1, 1.0
	s_delay_alu instid0(VALU_DEP_2) | instskip(SKIP_2) | instid1(VALU_DEP_1)
	v_rcp_f32_e32 v10, v2
	s_waitcnt_depctr 0xfff
	v_fma_f32 v11, -v2, v10, 1.0
	v_fmac_f32_e32 v10, v11, v10
	s_delay_alu instid0(VALU_DEP_1) | instskip(NEXT) | instid1(VALU_DEP_1)
	v_mul_f32_e32 v11, v12, v10
	v_fma_f32 v16, -v2, v11, v12
	s_delay_alu instid0(VALU_DEP_1) | instskip(NEXT) | instid1(VALU_DEP_1)
	v_fmac_f32_e32 v11, v16, v10
	v_fma_f32 v2, -v2, v11, v12
	s_delay_alu instid0(VALU_DEP_1) | instskip(SKIP_1) | instid1(VALU_DEP_2)
	v_div_fmas_f32 v2, v2, v10, v11
	v_fma_f32 v10, v9, s6, s7
	v_div_fixup_f32 v1, v2, v1, 1.0
	v_fma_f32 v2, v9, s7, -s6
	s_delay_alu instid0(VALU_DEP_2) | instskip(NEXT) | instid1(VALU_DEP_2)
	v_mul_f32_e32 v9, v10, v1
	v_mul_f32_e32 v10, v2, v1
.LBB277_28:                             ;   in Loop: Header=BB277_4 Depth=1
	s_or_b32 exec_lo, exec_lo, s2
	v_cmp_gt_f32_e32 vcc_lo, 0, v3
	s_mov_b32 s2, exec_lo
	v_cndmask_b32_e64 v1, v3, -v3, vcc_lo
	v_cmp_gt_f32_e32 vcc_lo, 0, v4
	v_cndmask_b32_e64 v2, v4, -v4, vcc_lo
	s_delay_alu instid0(VALU_DEP_1)
	v_cmpx_ge_f32_e32 v1, v2
	s_xor_b32 s21, exec_lo, s2
	s_cbranch_execz .LBB277_34
; %bb.29:                               ;   in Loop: Header=BB277_4 Depth=1
	v_cmp_neq_f32_e32 vcc_lo, 0, v3
	v_cmp_neq_f32_e64 s2, 0, v4
	s_delay_alu instid0(VALU_DEP_1) | instskip(NEXT) | instid1(SALU_CYCLE_1)
	s_or_b32 s2, vcc_lo, s2
	s_and_saveexec_b32 s22, s2
	s_delay_alu instid0(SALU_CYCLE_1)
	s_xor_b32 s2, exec_lo, s22
	s_cbranch_execz .LBB277_31
; %bb.30:                               ;   in Loop: Header=BB277_4 Depth=1
	v_div_scale_f32 v1, null, v3, v3, v4
	v_div_scale_f32 v12, vcc_lo, v4, v3, v4
	s_delay_alu instid0(VALU_DEP_2) | instskip(SKIP_2) | instid1(VALU_DEP_1)
	v_rcp_f32_e32 v2, v1
	s_waitcnt_depctr 0xfff
	v_fma_f32 v11, -v1, v2, 1.0
	v_fmac_f32_e32 v2, v11, v2
	s_delay_alu instid0(VALU_DEP_1) | instskip(NEXT) | instid1(VALU_DEP_1)
	v_mul_f32_e32 v11, v12, v2
	v_fma_f32 v16, -v1, v11, v12
	s_delay_alu instid0(VALU_DEP_1) | instskip(NEXT) | instid1(VALU_DEP_1)
	v_fmac_f32_e32 v11, v16, v2
	v_fma_f32 v1, -v1, v11, v12
	s_delay_alu instid0(VALU_DEP_1) | instskip(NEXT) | instid1(VALU_DEP_1)
	v_div_fmas_f32 v1, v1, v2, v11
	v_div_fixup_f32 v1, v1, v3, v4
	s_delay_alu instid0(VALU_DEP_1) | instskip(NEXT) | instid1(VALU_DEP_1)
	v_fmac_f32_e32 v3, v4, v1
	v_div_scale_f32 v2, null, v3, v3, 1.0
	v_div_scale_f32 v12, vcc_lo, 1.0, v3, 1.0
	s_delay_alu instid0(VALU_DEP_2) | instskip(SKIP_2) | instid1(VALU_DEP_1)
	v_rcp_f32_e32 v4, v2
	s_waitcnt_depctr 0xfff
	v_fma_f32 v11, -v2, v4, 1.0
	v_fmac_f32_e32 v4, v11, v4
	s_delay_alu instid0(VALU_DEP_1) | instskip(NEXT) | instid1(VALU_DEP_1)
	v_mul_f32_e32 v11, v12, v4
	v_fma_f32 v16, -v2, v11, v12
	s_delay_alu instid0(VALU_DEP_1) | instskip(NEXT) | instid1(VALU_DEP_1)
	v_fmac_f32_e32 v11, v16, v4
	v_fma_f32 v2, -v2, v11, v12
	s_delay_alu instid0(VALU_DEP_1) | instskip(SKIP_2) | instid1(VALU_DEP_3)
	v_div_fmas_f32 v2, v2, v4, v11
	v_fma_f32 v4, v1, s7, s6
	v_fma_f32 v1, -v1, s6, s7
	v_div_fixup_f32 v2, v2, v3, 1.0
	s_delay_alu instid0(VALU_DEP_1) | instskip(NEXT) | instid1(VALU_DEP_4)
	v_mul_f32_e32 v12, v1, v2
	v_mul_f32_e32 v11, v4, v2
                                        ; implicit-def: $vgpr1
                                        ; implicit-def: $vgpr2
.LBB277_31:                             ;   in Loop: Header=BB277_4 Depth=1
	s_and_not1_saveexec_b32 s22, s2
	s_cbranch_execz .LBB277_33
; %bb.32:                               ;   in Loop: Header=BB277_4 Depth=1
	v_div_scale_f32 v3, null, v1, v1, s6
	v_div_scale_f32 v4, null, v2, v2, s7
	v_div_scale_f32 v18, vcc_lo, s6, v1, s6
	s_delay_alu instid0(VALU_DEP_3) | instskip(NEXT) | instid1(VALU_DEP_2)
	v_rcp_f32_e32 v11, v3
	v_rcp_f32_e32 v12, v4
	s_waitcnt_depctr 0xfff
	v_fma_f32 v16, -v3, v11, 1.0
	v_fma_f32 v17, -v4, v12, 1.0
	s_delay_alu instid0(VALU_DEP_1) | instskip(SKIP_1) | instid1(VALU_DEP_2)
	v_dual_fmac_f32 v11, v16, v11 :: v_dual_fmac_f32 v12, v17, v12
	v_div_scale_f32 v16, s2, s7, v2, s7
	v_mul_f32_e32 v17, v18, v11
	s_delay_alu instid0(VALU_DEP_2) | instskip(NEXT) | instid1(VALU_DEP_2)
	v_mul_f32_e32 v19, v16, v12
	v_fma_f32 v20, -v3, v17, v18
	s_delay_alu instid0(VALU_DEP_2) | instskip(NEXT) | instid1(VALU_DEP_2)
	v_fma_f32 v21, -v4, v19, v16
	v_fmac_f32_e32 v17, v20, v11
	s_delay_alu instid0(VALU_DEP_2) | instskip(NEXT) | instid1(VALU_DEP_2)
	v_fmac_f32_e32 v19, v21, v12
	v_fma_f32 v3, -v3, v17, v18
	s_delay_alu instid0(VALU_DEP_2) | instskip(NEXT) | instid1(VALU_DEP_2)
	v_fma_f32 v4, -v4, v19, v16
	v_div_fmas_f32 v3, v3, v11, v17
	s_mov_b32 vcc_lo, s2
	s_delay_alu instid0(VALU_DEP_2) | instskip(NEXT) | instid1(VALU_DEP_2)
	v_div_fmas_f32 v4, v4, v12, v19
	v_div_fixup_f32 v11, v3, v1, s6
	s_delay_alu instid0(VALU_DEP_2)
	v_div_fixup_f32 v12, v4, v2, s7
.LBB277_33:                             ;   in Loop: Header=BB277_4 Depth=1
	s_or_b32 exec_lo, exec_lo, s22
                                        ; implicit-def: $vgpr1_vgpr2_vgpr3_vgpr4
.LBB277_34:                             ;   in Loop: Header=BB277_4 Depth=1
	s_and_not1_saveexec_b32 s2, s21
	s_cbranch_execz .LBB277_3
; %bb.35:                               ;   in Loop: Header=BB277_4 Depth=1
	v_div_scale_f32 v1, null, v4, v4, v3
	v_div_scale_f32 v12, vcc_lo, v3, v4, v3
	s_delay_alu instid0(VALU_DEP_2) | instskip(SKIP_2) | instid1(VALU_DEP_1)
	v_rcp_f32_e32 v2, v1
	s_waitcnt_depctr 0xfff
	v_fma_f32 v11, -v1, v2, 1.0
	v_fmac_f32_e32 v2, v11, v2
	s_delay_alu instid0(VALU_DEP_1) | instskip(NEXT) | instid1(VALU_DEP_1)
	v_mul_f32_e32 v11, v12, v2
	v_fma_f32 v16, -v1, v11, v12
	s_delay_alu instid0(VALU_DEP_1) | instskip(NEXT) | instid1(VALU_DEP_1)
	v_fmac_f32_e32 v11, v16, v2
	v_fma_f32 v1, -v1, v11, v12
	s_delay_alu instid0(VALU_DEP_1) | instskip(NEXT) | instid1(VALU_DEP_1)
	v_div_fmas_f32 v1, v1, v2, v11
	v_div_fixup_f32 v1, v1, v4, v3
	s_delay_alu instid0(VALU_DEP_1) | instskip(NEXT) | instid1(VALU_DEP_1)
	v_fmac_f32_e32 v4, v3, v1
	v_div_scale_f32 v2, null, v4, v4, 1.0
	v_div_scale_f32 v12, vcc_lo, 1.0, v4, 1.0
	s_delay_alu instid0(VALU_DEP_2) | instskip(SKIP_2) | instid1(VALU_DEP_1)
	v_rcp_f32_e32 v3, v2
	s_waitcnt_depctr 0xfff
	v_fma_f32 v11, -v2, v3, 1.0
	v_fmac_f32_e32 v3, v11, v3
	s_delay_alu instid0(VALU_DEP_1) | instskip(NEXT) | instid1(VALU_DEP_1)
	v_mul_f32_e32 v11, v12, v3
	v_fma_f32 v16, -v2, v11, v12
	s_delay_alu instid0(VALU_DEP_1) | instskip(NEXT) | instid1(VALU_DEP_1)
	v_fmac_f32_e32 v11, v16, v3
	v_fma_f32 v2, -v2, v11, v12
	s_delay_alu instid0(VALU_DEP_1) | instskip(SKIP_2) | instid1(VALU_DEP_3)
	v_div_fmas_f32 v2, v2, v3, v11
	v_fma_f32 v3, v1, s6, s7
	v_fma_f32 v1, v1, s7, -s6
	v_div_fixup_f32 v2, v2, v4, 1.0
	s_delay_alu instid0(VALU_DEP_1) | instskip(NEXT) | instid1(VALU_DEP_4)
	v_mul_f32_e32 v12, v1, v2
	v_mul_f32_e32 v11, v3, v2
	s_branch .LBB277_3
.LBB277_36:
	s_or_b32 exec_lo, exec_lo, s15
	s_mov_b32 s2, 0
.LBB277_37:
	s_delay_alu instid0(SALU_CYCLE_1)
	s_and_not1_b32 vcc_lo, exec_lo, s2
	s_cbranch_vccnz .LBB277_89
; %bb.38:
	v_cmp_lt_i64_e64 s2, s[10:11], 1
	s_delay_alu instid0(VALU_DEP_1)
	s_and_b32 vcc_lo, exec_lo, s2
	s_cbranch_vccnz .LBB277_89
; %bb.39:
	s_load_b32 s0, s[0:1], 0xc64
	v_mov_b32_e32 v1, 0
	v_lshl_or_b32 v2, v0, 3, 4
	v_cmp_gt_u64_e64 s1, 0x10000, s[10:11]
	s_mov_b32 s13, 0
	s_delay_alu instid0(VALU_DEP_3) | instskip(NEXT) | instid1(VALU_DEP_3)
	v_mov_b32_e32 v3, v1
	v_add_co_u32 v12, s2, s4, v2
	s_delay_alu instid0(VALU_DEP_1) | instskip(SKIP_1) | instid1(VALU_DEP_1)
	v_add_co_ci_u32_e64 v13, null, s5, 0, s2
	v_add_co_u32 v14, s2, s16, v2
	v_add_co_ci_u32_e64 v15, null, s17, 0, s2
	s_waitcnt lgkmcnt(0)
	s_and_b32 s18, s0, 0xffff
	s_and_b32 s0, s1, exec_lo
	v_add_lshl_u32 v6, v0, s18, 3
	v_mad_u64_u32 v[4:5], null, s18, 24, v[2:3]
	s_cselect_b32 s15, s11, 0
	s_cselect_b32 s14, s10, 0x10000
	s_delay_alu instid0(VALU_DEP_2) | instskip(NEXT) | instid1(VALU_DEP_1)
	v_add_co_u32 v16, s0, s16, v6
	v_add_co_ci_u32_e64 v17, null, s17, 0, s0
	v_add_co_u32 v20, s0, s4, v6
	s_delay_alu instid0(VALU_DEP_1)
	v_add_co_ci_u32_e64 v21, null, s5, 0, s0
	s_lshl_b32 s0, s18, 4
	v_add_co_u32 v18, vcc_lo, s4, v4
	v_add_co_u32 v2, s0, v2, s0
	v_add_co_ci_u32_e32 v19, vcc_lo, s5, v5, vcc_lo
	v_add_co_ci_u32_e64 v3, null, 0, 0, s0
	v_add_co_u32 v22, vcc_lo, s16, v4
	v_add_co_ci_u32_e32 v23, vcc_lo, s17, v5, vcc_lo
	v_add_co_u32 v24, vcc_lo, s4, v2
	s_delay_alu instid0(VALU_DEP_4)
	v_add_co_ci_u32_e32 v25, vcc_lo, s5, v3, vcc_lo
	v_add_co_u32 v26, vcc_lo, s16, v2
	v_add_co_ci_u32_e32 v27, vcc_lo, s17, v3, vcc_lo
	s_lshl_b32 s12, s18, 2
	s_lshl_b32 s19, s18, 1
	s_mul_i32 s20, s18, 3
	s_lshl_b32 s5, s18, 5
	s_mov_b64 s[16:17], s[12:13]
	s_branch .LBB277_41
.LBB277_40:                             ;   in Loop: Header=BB277_41 Depth=1
	s_or_b32 exec_lo, exec_lo, s0
	v_add_co_u32 v0, vcc_lo, v0, s12
	v_add_co_ci_u32_e32 v1, vcc_lo, 0, v1, vcc_lo
	v_add_co_u32 v12, vcc_lo, v12, s5
	v_add_co_ci_u32_e32 v13, vcc_lo, 0, v13, vcc_lo
	;; [unrolled: 2-line block ×7, first 2 shown]
	v_cmp_ge_i64_e64 s0, s[16:17], s[10:11]
	v_cmp_lt_u64_e64 s1, 0xffff, s[16:17]
	v_add_co_u32 v24, vcc_lo, v24, s5
	v_add_co_ci_u32_e32 v25, vcc_lo, 0, v25, vcc_lo
	v_add_co_u32 v26, vcc_lo, v26, s5
	v_add_co_ci_u32_e32 v27, vcc_lo, 0, v27, vcc_lo
	s_or_b32 s0, s0, s1
	s_add_u32 s16, s16, s12
	s_addc_u32 s17, s17, 0
	s_and_b32 vcc_lo, exec_lo, s0
	s_cbranch_vccnz .LBB277_89
.LBB277_41:                             ; =>This Inner Loop Header: Depth=1
	v_cmp_gt_u64_e64 s0, s[14:15], v[0:1]
	v_dual_mov_b32 v9, 0 :: v_dual_mov_b32 v8, 0
	s_delay_alu instid0(VALU_DEP_2)
	s_and_saveexec_b32 s1, s0
	s_cbranch_execz .LBB277_43
; %bb.42:                               ;   in Loop: Header=BB277_41 Depth=1
	v_add_co_u32 v2, vcc_lo, v12, s8
	v_add_co_ci_u32_e32 v3, vcc_lo, s9, v13, vcc_lo
	global_load_b64 v[8:9], v[2:3], off offset:-4
.LBB277_43:                             ;   in Loop: Header=BB277_41 Depth=1
	s_or_b32 exec_lo, exec_lo, s1
	v_add_co_u32 v2, vcc_lo, s18, v0
	v_add_co_ci_u32_e32 v3, vcc_lo, 0, v1, vcc_lo
	v_dual_mov_b32 v7, 0 :: v_dual_mov_b32 v10, 0
	v_mov_b32_e32 v11, 0
	s_delay_alu instid0(VALU_DEP_3) | instskip(NEXT) | instid1(VALU_DEP_1)
	v_cmp_gt_u64_e64 s1, s[14:15], v[2:3]
	s_and_saveexec_b32 s2, s1
	s_cbranch_execz .LBB277_45
; %bb.44:                               ;   in Loop: Header=BB277_41 Depth=1
	v_add_co_u32 v2, vcc_lo, v20, s8
	v_add_co_ci_u32_e32 v3, vcc_lo, s9, v21, vcc_lo
	global_load_b64 v[10:11], v[2:3], off
.LBB277_45:                             ;   in Loop: Header=BB277_41 Depth=1
	s_or_b32 exec_lo, exec_lo, s2
	v_add_co_u32 v2, vcc_lo, s19, v0
	v_add_co_ci_u32_e32 v3, vcc_lo, 0, v1, vcc_lo
	v_mov_b32_e32 v6, 0
	s_delay_alu instid0(VALU_DEP_2) | instskip(NEXT) | instid1(VALU_DEP_1)
	v_cmp_gt_u64_e64 s2, s[14:15], v[2:3]
	s_and_saveexec_b32 s3, s2
	s_cbranch_execz .LBB277_47
; %bb.46:                               ;   in Loop: Header=BB277_41 Depth=1
	v_add_co_u32 v2, vcc_lo, v24, s8
	v_add_co_ci_u32_e32 v3, vcc_lo, s9, v25, vcc_lo
	global_load_b64 v[6:7], v[2:3], off offset:-4
.LBB277_47:                             ;   in Loop: Header=BB277_41 Depth=1
	s_or_b32 exec_lo, exec_lo, s3
	v_add_co_u32 v2, vcc_lo, s20, v0
	v_add_co_ci_u32_e32 v3, vcc_lo, 0, v1, vcc_lo
	s_delay_alu instid0(VALU_DEP_1) | instskip(SKIP_1) | instid1(VALU_DEP_2)
	v_cmp_gt_u64_e64 s3, s[14:15], v[2:3]
	v_dual_mov_b32 v3, 0 :: v_dual_mov_b32 v2, 0
	s_and_saveexec_b32 s4, s3
	s_cbranch_execz .LBB277_49
; %bb.48:                               ;   in Loop: Header=BB277_41 Depth=1
	v_add_co_u32 v2, vcc_lo, v18, s8
	v_add_co_ci_u32_e32 v3, vcc_lo, s9, v19, vcc_lo
	global_load_b64 v[2:3], v[2:3], off offset:-4
.LBB277_49:                             ;   in Loop: Header=BB277_41 Depth=1
	s_or_b32 exec_lo, exec_lo, s4
	s_waitcnt vmcnt(0)
	v_cmp_gt_f32_e32 vcc_lo, 0, v8
                                        ; implicit-def: $vgpr5
	s_mov_b32 s4, exec_lo
	v_cndmask_b32_e64 v28, v8, -v8, vcc_lo
	v_cmp_gt_f32_e32 vcc_lo, 0, v9
	v_cndmask_b32_e64 v29, v9, -v9, vcc_lo
	s_delay_alu instid0(VALU_DEP_1)
	v_cmpx_ge_f32_e32 v28, v29
	s_xor_b32 s13, exec_lo, s4
	s_cbranch_execz .LBB277_55
; %bb.50:                               ;   in Loop: Header=BB277_41 Depth=1
	v_cmp_neq_f32_e32 vcc_lo, 0, v8
	v_cmp_neq_f32_e64 s4, 0, v9
                                        ; implicit-def: $vgpr5
	s_delay_alu instid0(VALU_DEP_1) | instskip(NEXT) | instid1(SALU_CYCLE_1)
	s_or_b32 s4, s4, vcc_lo
	s_and_saveexec_b32 s21, s4
	s_delay_alu instid0(SALU_CYCLE_1)
	s_xor_b32 s4, exec_lo, s21
	s_cbranch_execz .LBB277_52
; %bb.51:                               ;   in Loop: Header=BB277_41 Depth=1
	v_div_scale_f32 v4, null, v8, v8, v9
	v_div_scale_f32 v29, vcc_lo, v9, v8, v9
	s_delay_alu instid0(VALU_DEP_2) | instskip(SKIP_2) | instid1(VALU_DEP_1)
	v_rcp_f32_e32 v5, v4
	s_waitcnt_depctr 0xfff
	v_fma_f32 v28, -v4, v5, 1.0
	v_fmac_f32_e32 v5, v28, v5
	s_delay_alu instid0(VALU_DEP_1) | instskip(NEXT) | instid1(VALU_DEP_1)
	v_mul_f32_e32 v28, v29, v5
	v_fma_f32 v30, -v4, v28, v29
	s_delay_alu instid0(VALU_DEP_1) | instskip(NEXT) | instid1(VALU_DEP_1)
	v_fmac_f32_e32 v28, v30, v5
	v_fma_f32 v4, -v4, v28, v29
	s_delay_alu instid0(VALU_DEP_1) | instskip(NEXT) | instid1(VALU_DEP_1)
	v_div_fmas_f32 v4, v4, v5, v28
	v_div_fixup_f32 v4, v4, v8, v9
	s_delay_alu instid0(VALU_DEP_1) | instskip(NEXT) | instid1(VALU_DEP_1)
	v_fmac_f32_e32 v8, v9, v4
	v_div_scale_f32 v5, null, v8, v8, 1.0
	v_div_scale_f32 v29, vcc_lo, 1.0, v8, 1.0
	s_delay_alu instid0(VALU_DEP_2) | instskip(SKIP_2) | instid1(VALU_DEP_1)
	v_rcp_f32_e32 v9, v5
	s_waitcnt_depctr 0xfff
	v_fma_f32 v28, -v5, v9, 1.0
	v_fmac_f32_e32 v9, v28, v9
	s_delay_alu instid0(VALU_DEP_1) | instskip(NEXT) | instid1(VALU_DEP_1)
	v_mul_f32_e32 v28, v29, v9
	v_fma_f32 v30, -v5, v28, v29
	s_delay_alu instid0(VALU_DEP_1) | instskip(NEXT) | instid1(VALU_DEP_1)
	v_fmac_f32_e32 v28, v30, v9
	v_fma_f32 v5, -v5, v28, v29
                                        ; implicit-def: $vgpr29
	s_delay_alu instid0(VALU_DEP_1) | instskip(SKIP_1) | instid1(VALU_DEP_2)
	v_div_fmas_f32 v5, v5, v9, v28
	v_fma_f32 v9, v4, s7, s6
                                        ; implicit-def: $vgpr28
	v_div_fixup_f32 v5, v5, v8, 1.0
	v_fma_f32 v8, -v4, s6, s7
	s_delay_alu instid0(VALU_DEP_2) | instskip(NEXT) | instid1(VALU_DEP_2)
	v_mul_f32_e32 v4, v9, v5
	v_mul_f32_e32 v5, v8, v5
.LBB277_52:                             ;   in Loop: Header=BB277_41 Depth=1
	s_and_not1_saveexec_b32 s21, s4
	s_cbranch_execz .LBB277_54
; %bb.53:                               ;   in Loop: Header=BB277_41 Depth=1
	v_div_scale_f32 v4, null, v28, v28, s6
	v_div_scale_f32 v5, null, v29, v29, s7
	v_div_scale_f32 v32, vcc_lo, s6, v28, s6
	s_delay_alu instid0(VALU_DEP_3) | instskip(NEXT) | instid1(VALU_DEP_2)
	v_rcp_f32_e32 v8, v4
	v_rcp_f32_e32 v9, v5
	s_waitcnt_depctr 0xfff
	v_fma_f32 v30, -v4, v8, 1.0
	v_fma_f32 v31, -v5, v9, 1.0
	s_delay_alu instid0(VALU_DEP_1) | instskip(SKIP_1) | instid1(VALU_DEP_2)
	v_dual_fmac_f32 v8, v30, v8 :: v_dual_fmac_f32 v9, v31, v9
	v_div_scale_f32 v30, s4, s7, v29, s7
	v_mul_f32_e32 v31, v32, v8
	s_delay_alu instid0(VALU_DEP_2) | instskip(NEXT) | instid1(VALU_DEP_2)
	v_mul_f32_e32 v33, v30, v9
	v_fma_f32 v34, -v4, v31, v32
	s_delay_alu instid0(VALU_DEP_2) | instskip(NEXT) | instid1(VALU_DEP_2)
	v_fma_f32 v35, -v5, v33, v30
	v_fmac_f32_e32 v31, v34, v8
	s_delay_alu instid0(VALU_DEP_2) | instskip(NEXT) | instid1(VALU_DEP_2)
	v_fmac_f32_e32 v33, v35, v9
	v_fma_f32 v4, -v4, v31, v32
	s_delay_alu instid0(VALU_DEP_2) | instskip(NEXT) | instid1(VALU_DEP_2)
	v_fma_f32 v5, -v5, v33, v30
	v_div_fmas_f32 v4, v4, v8, v31
	s_mov_b32 vcc_lo, s4
	s_delay_alu instid0(VALU_DEP_2) | instskip(NEXT) | instid1(VALU_DEP_2)
	v_div_fmas_f32 v5, v5, v9, v33
	v_div_fixup_f32 v4, v4, v28, s6
	s_delay_alu instid0(VALU_DEP_2)
	v_div_fixup_f32 v5, v5, v29, s7
.LBB277_54:                             ;   in Loop: Header=BB277_41 Depth=1
	s_or_b32 exec_lo, exec_lo, s21
                                        ; implicit-def: $vgpr9
.LBB277_55:                             ;   in Loop: Header=BB277_41 Depth=1
	s_and_not1_saveexec_b32 s4, s13
	s_cbranch_execz .LBB277_57
; %bb.56:                               ;   in Loop: Header=BB277_41 Depth=1
	v_div_scale_f32 v4, null, v9, v9, v8
	v_div_scale_f32 v29, vcc_lo, v8, v9, v8
	s_delay_alu instid0(VALU_DEP_2) | instskip(SKIP_2) | instid1(VALU_DEP_1)
	v_rcp_f32_e32 v5, v4
	s_waitcnt_depctr 0xfff
	v_fma_f32 v28, -v4, v5, 1.0
	v_fmac_f32_e32 v5, v28, v5
	s_delay_alu instid0(VALU_DEP_1) | instskip(NEXT) | instid1(VALU_DEP_1)
	v_mul_f32_e32 v28, v29, v5
	v_fma_f32 v30, -v4, v28, v29
	s_delay_alu instid0(VALU_DEP_1) | instskip(NEXT) | instid1(VALU_DEP_1)
	v_fmac_f32_e32 v28, v30, v5
	v_fma_f32 v4, -v4, v28, v29
	s_delay_alu instid0(VALU_DEP_1) | instskip(NEXT) | instid1(VALU_DEP_1)
	v_div_fmas_f32 v4, v4, v5, v28
	v_div_fixup_f32 v4, v4, v9, v8
	s_delay_alu instid0(VALU_DEP_1) | instskip(NEXT) | instid1(VALU_DEP_1)
	v_fmac_f32_e32 v9, v8, v4
	v_div_scale_f32 v5, null, v9, v9, 1.0
	v_div_scale_f32 v29, vcc_lo, 1.0, v9, 1.0
	s_delay_alu instid0(VALU_DEP_2) | instskip(SKIP_2) | instid1(VALU_DEP_1)
	v_rcp_f32_e32 v8, v5
	s_waitcnt_depctr 0xfff
	v_fma_f32 v28, -v5, v8, 1.0
	v_fmac_f32_e32 v8, v28, v8
	s_delay_alu instid0(VALU_DEP_1) | instskip(NEXT) | instid1(VALU_DEP_1)
	v_mul_f32_e32 v28, v29, v8
	v_fma_f32 v30, -v5, v28, v29
	s_delay_alu instid0(VALU_DEP_1) | instskip(NEXT) | instid1(VALU_DEP_1)
	v_fmac_f32_e32 v28, v30, v8
	v_fma_f32 v5, -v5, v28, v29
	s_delay_alu instid0(VALU_DEP_1) | instskip(SKIP_1) | instid1(VALU_DEP_2)
	v_div_fmas_f32 v5, v5, v8, v28
	v_fma_f32 v8, v4, s6, s7
	v_div_fixup_f32 v5, v5, v9, 1.0
	v_fma_f32 v9, v4, s7, -s6
	s_delay_alu instid0(VALU_DEP_2) | instskip(NEXT) | instid1(VALU_DEP_2)
	v_mul_f32_e32 v4, v8, v5
	v_mul_f32_e32 v5, v9, v5
.LBB277_57:                             ;   in Loop: Header=BB277_41 Depth=1
	s_or_b32 exec_lo, exec_lo, s4
	v_cmp_gt_f32_e32 vcc_lo, 0, v10
                                        ; implicit-def: $vgpr9
	s_mov_b32 s4, exec_lo
	v_cndmask_b32_e64 v28, v10, -v10, vcc_lo
	v_cmp_gt_f32_e32 vcc_lo, 0, v11
	v_cndmask_b32_e64 v29, v11, -v11, vcc_lo
	s_delay_alu instid0(VALU_DEP_1)
	v_cmpx_ge_f32_e32 v28, v29
	s_xor_b32 s13, exec_lo, s4
	s_cbranch_execz .LBB277_63
; %bb.58:                               ;   in Loop: Header=BB277_41 Depth=1
	v_cmp_neq_f32_e32 vcc_lo, 0, v10
	v_cmp_neq_f32_e64 s4, 0, v11
                                        ; implicit-def: $vgpr9
	s_delay_alu instid0(VALU_DEP_1) | instskip(NEXT) | instid1(SALU_CYCLE_1)
	s_or_b32 s4, s4, vcc_lo
	s_and_saveexec_b32 s21, s4
	s_delay_alu instid0(SALU_CYCLE_1)
	s_xor_b32 s4, exec_lo, s21
	s_cbranch_execz .LBB277_60
; %bb.59:                               ;   in Loop: Header=BB277_41 Depth=1
	v_div_scale_f32 v8, null, v10, v10, v11
	v_div_scale_f32 v29, vcc_lo, v11, v10, v11
	s_delay_alu instid0(VALU_DEP_2) | instskip(SKIP_2) | instid1(VALU_DEP_1)
	v_rcp_f32_e32 v9, v8
	s_waitcnt_depctr 0xfff
	v_fma_f32 v28, -v8, v9, 1.0
	v_fmac_f32_e32 v9, v28, v9
	s_delay_alu instid0(VALU_DEP_1) | instskip(NEXT) | instid1(VALU_DEP_1)
	v_mul_f32_e32 v28, v29, v9
	v_fma_f32 v30, -v8, v28, v29
	s_delay_alu instid0(VALU_DEP_1) | instskip(NEXT) | instid1(VALU_DEP_1)
	v_fmac_f32_e32 v28, v30, v9
	v_fma_f32 v8, -v8, v28, v29
	s_delay_alu instid0(VALU_DEP_1) | instskip(NEXT) | instid1(VALU_DEP_1)
	v_div_fmas_f32 v8, v8, v9, v28
	v_div_fixup_f32 v8, v8, v10, v11
	s_delay_alu instid0(VALU_DEP_1) | instskip(NEXT) | instid1(VALU_DEP_1)
	v_fmac_f32_e32 v10, v11, v8
	v_div_scale_f32 v9, null, v10, v10, 1.0
	v_div_scale_f32 v29, vcc_lo, 1.0, v10, 1.0
	s_delay_alu instid0(VALU_DEP_2) | instskip(SKIP_2) | instid1(VALU_DEP_1)
	v_rcp_f32_e32 v11, v9
	s_waitcnt_depctr 0xfff
	v_fma_f32 v28, -v9, v11, 1.0
	v_fmac_f32_e32 v11, v28, v11
	s_delay_alu instid0(VALU_DEP_1) | instskip(NEXT) | instid1(VALU_DEP_1)
	v_mul_f32_e32 v28, v29, v11
	v_fma_f32 v30, -v9, v28, v29
	s_delay_alu instid0(VALU_DEP_1) | instskip(NEXT) | instid1(VALU_DEP_1)
	v_fmac_f32_e32 v28, v30, v11
	v_fma_f32 v9, -v9, v28, v29
                                        ; implicit-def: $vgpr29
	s_delay_alu instid0(VALU_DEP_1) | instskip(SKIP_1) | instid1(VALU_DEP_2)
	v_div_fmas_f32 v9, v9, v11, v28
	v_fma_f32 v11, v8, s7, s6
                                        ; implicit-def: $vgpr28
	v_div_fixup_f32 v9, v9, v10, 1.0
	v_fma_f32 v10, -v8, s6, s7
	s_delay_alu instid0(VALU_DEP_2) | instskip(NEXT) | instid1(VALU_DEP_2)
	v_mul_f32_e32 v8, v11, v9
	v_mul_f32_e32 v9, v10, v9
.LBB277_60:                             ;   in Loop: Header=BB277_41 Depth=1
	s_and_not1_saveexec_b32 s21, s4
	s_cbranch_execz .LBB277_62
; %bb.61:                               ;   in Loop: Header=BB277_41 Depth=1
	v_div_scale_f32 v8, null, v28, v28, s6
	v_div_scale_f32 v9, null, v29, v29, s7
	v_div_scale_f32 v32, vcc_lo, s6, v28, s6
	s_delay_alu instid0(VALU_DEP_3) | instskip(NEXT) | instid1(VALU_DEP_2)
	v_rcp_f32_e32 v10, v8
	v_rcp_f32_e32 v11, v9
	s_waitcnt_depctr 0xfff
	v_fma_f32 v30, -v8, v10, 1.0
	v_fma_f32 v31, -v9, v11, 1.0
	s_delay_alu instid0(VALU_DEP_1) | instskip(SKIP_1) | instid1(VALU_DEP_2)
	v_dual_fmac_f32 v10, v30, v10 :: v_dual_fmac_f32 v11, v31, v11
	v_div_scale_f32 v30, s4, s7, v29, s7
	v_mul_f32_e32 v31, v32, v10
	s_delay_alu instid0(VALU_DEP_2) | instskip(NEXT) | instid1(VALU_DEP_2)
	v_mul_f32_e32 v33, v30, v11
	v_fma_f32 v34, -v8, v31, v32
	s_delay_alu instid0(VALU_DEP_2) | instskip(NEXT) | instid1(VALU_DEP_2)
	v_fma_f32 v35, -v9, v33, v30
	v_fmac_f32_e32 v31, v34, v10
	s_delay_alu instid0(VALU_DEP_2) | instskip(NEXT) | instid1(VALU_DEP_2)
	v_fmac_f32_e32 v33, v35, v11
	v_fma_f32 v8, -v8, v31, v32
	s_delay_alu instid0(VALU_DEP_2) | instskip(NEXT) | instid1(VALU_DEP_2)
	v_fma_f32 v9, -v9, v33, v30
	v_div_fmas_f32 v8, v8, v10, v31
	s_mov_b32 vcc_lo, s4
	s_delay_alu instid0(VALU_DEP_2) | instskip(NEXT) | instid1(VALU_DEP_2)
	v_div_fmas_f32 v9, v9, v11, v33
	v_div_fixup_f32 v8, v8, v28, s6
	s_delay_alu instid0(VALU_DEP_2)
	v_div_fixup_f32 v9, v9, v29, s7
.LBB277_62:                             ;   in Loop: Header=BB277_41 Depth=1
	s_or_b32 exec_lo, exec_lo, s21
                                        ; implicit-def: $vgpr11
.LBB277_63:                             ;   in Loop: Header=BB277_41 Depth=1
	s_and_not1_saveexec_b32 s4, s13
	s_cbranch_execz .LBB277_65
; %bb.64:                               ;   in Loop: Header=BB277_41 Depth=1
	v_div_scale_f32 v8, null, v11, v11, v10
	v_div_scale_f32 v29, vcc_lo, v10, v11, v10
	s_delay_alu instid0(VALU_DEP_2) | instskip(SKIP_2) | instid1(VALU_DEP_1)
	v_rcp_f32_e32 v9, v8
	s_waitcnt_depctr 0xfff
	v_fma_f32 v28, -v8, v9, 1.0
	v_fmac_f32_e32 v9, v28, v9
	s_delay_alu instid0(VALU_DEP_1) | instskip(NEXT) | instid1(VALU_DEP_1)
	v_mul_f32_e32 v28, v29, v9
	v_fma_f32 v30, -v8, v28, v29
	s_delay_alu instid0(VALU_DEP_1) | instskip(NEXT) | instid1(VALU_DEP_1)
	v_fmac_f32_e32 v28, v30, v9
	v_fma_f32 v8, -v8, v28, v29
	s_delay_alu instid0(VALU_DEP_1) | instskip(NEXT) | instid1(VALU_DEP_1)
	v_div_fmas_f32 v8, v8, v9, v28
	v_div_fixup_f32 v8, v8, v11, v10
	s_delay_alu instid0(VALU_DEP_1) | instskip(NEXT) | instid1(VALU_DEP_1)
	v_fmac_f32_e32 v11, v10, v8
	v_div_scale_f32 v9, null, v11, v11, 1.0
	v_div_scale_f32 v29, vcc_lo, 1.0, v11, 1.0
	s_delay_alu instid0(VALU_DEP_2) | instskip(SKIP_2) | instid1(VALU_DEP_1)
	v_rcp_f32_e32 v10, v9
	s_waitcnt_depctr 0xfff
	v_fma_f32 v28, -v9, v10, 1.0
	v_fmac_f32_e32 v10, v28, v10
	s_delay_alu instid0(VALU_DEP_1) | instskip(NEXT) | instid1(VALU_DEP_1)
	v_mul_f32_e32 v28, v29, v10
	v_fma_f32 v30, -v9, v28, v29
	s_delay_alu instid0(VALU_DEP_1) | instskip(NEXT) | instid1(VALU_DEP_1)
	v_fmac_f32_e32 v28, v30, v10
	v_fma_f32 v9, -v9, v28, v29
	s_delay_alu instid0(VALU_DEP_1) | instskip(SKIP_1) | instid1(VALU_DEP_2)
	v_div_fmas_f32 v9, v9, v10, v28
	v_fma_f32 v10, v8, s6, s7
	v_div_fixup_f32 v9, v9, v11, 1.0
	v_fma_f32 v11, v8, s7, -s6
	s_delay_alu instid0(VALU_DEP_2) | instskip(NEXT) | instid1(VALU_DEP_2)
	v_mul_f32_e32 v8, v10, v9
	v_mul_f32_e32 v9, v11, v9
.LBB277_65:                             ;   in Loop: Header=BB277_41 Depth=1
	s_or_b32 exec_lo, exec_lo, s4
	v_cmp_gt_f32_e32 vcc_lo, 0, v6
                                        ; implicit-def: $vgpr11
	s_mov_b32 s4, exec_lo
	v_cndmask_b32_e64 v28, v6, -v6, vcc_lo
	v_cmp_gt_f32_e32 vcc_lo, 0, v7
	v_cndmask_b32_e64 v29, v7, -v7, vcc_lo
	s_delay_alu instid0(VALU_DEP_1)
	v_cmpx_ge_f32_e32 v28, v29
	s_xor_b32 s13, exec_lo, s4
	s_cbranch_execz .LBB277_71
; %bb.66:                               ;   in Loop: Header=BB277_41 Depth=1
	v_cmp_neq_f32_e32 vcc_lo, 0, v6
	v_cmp_neq_f32_e64 s4, 0, v7
                                        ; implicit-def: $vgpr11
	s_delay_alu instid0(VALU_DEP_1) | instskip(NEXT) | instid1(SALU_CYCLE_1)
	s_or_b32 s4, s4, vcc_lo
	s_and_saveexec_b32 s21, s4
	s_delay_alu instid0(SALU_CYCLE_1)
	s_xor_b32 s4, exec_lo, s21
	s_cbranch_execz .LBB277_68
; %bb.67:                               ;   in Loop: Header=BB277_41 Depth=1
	v_div_scale_f32 v10, null, v6, v6, v7
	v_div_scale_f32 v29, vcc_lo, v7, v6, v7
	s_delay_alu instid0(VALU_DEP_2) | instskip(SKIP_2) | instid1(VALU_DEP_1)
	v_rcp_f32_e32 v11, v10
	s_waitcnt_depctr 0xfff
	v_fma_f32 v28, -v10, v11, 1.0
	v_fmac_f32_e32 v11, v28, v11
	s_delay_alu instid0(VALU_DEP_1) | instskip(NEXT) | instid1(VALU_DEP_1)
	v_mul_f32_e32 v28, v29, v11
	v_fma_f32 v30, -v10, v28, v29
	s_delay_alu instid0(VALU_DEP_1) | instskip(NEXT) | instid1(VALU_DEP_1)
	v_fmac_f32_e32 v28, v30, v11
	v_fma_f32 v10, -v10, v28, v29
	s_delay_alu instid0(VALU_DEP_1) | instskip(NEXT) | instid1(VALU_DEP_1)
	v_div_fmas_f32 v10, v10, v11, v28
	v_div_fixup_f32 v10, v10, v6, v7
	s_delay_alu instid0(VALU_DEP_1) | instskip(NEXT) | instid1(VALU_DEP_1)
	v_fmac_f32_e32 v6, v7, v10
	v_div_scale_f32 v7, null, v6, v6, 1.0
	v_div_scale_f32 v29, vcc_lo, 1.0, v6, 1.0
	s_delay_alu instid0(VALU_DEP_2) | instskip(SKIP_2) | instid1(VALU_DEP_1)
	v_rcp_f32_e32 v11, v7
	s_waitcnt_depctr 0xfff
	v_fma_f32 v28, -v7, v11, 1.0
	v_fmac_f32_e32 v11, v28, v11
	s_delay_alu instid0(VALU_DEP_1) | instskip(NEXT) | instid1(VALU_DEP_1)
	v_mul_f32_e32 v28, v29, v11
	v_fma_f32 v30, -v7, v28, v29
	s_delay_alu instid0(VALU_DEP_1) | instskip(NEXT) | instid1(VALU_DEP_1)
	v_fmac_f32_e32 v28, v30, v11
	v_fma_f32 v7, -v7, v28, v29
                                        ; implicit-def: $vgpr29
	s_delay_alu instid0(VALU_DEP_1) | instskip(SKIP_1) | instid1(VALU_DEP_2)
	v_div_fmas_f32 v7, v7, v11, v28
	v_fma_f32 v11, v10, s7, s6
                                        ; implicit-def: $vgpr28
	v_div_fixup_f32 v6, v7, v6, 1.0
	v_fma_f32 v7, -v10, s6, s7
	s_delay_alu instid0(VALU_DEP_2) | instskip(NEXT) | instid1(VALU_DEP_2)
	v_mul_f32_e32 v10, v11, v6
	v_mul_f32_e32 v11, v7, v6
.LBB277_68:                             ;   in Loop: Header=BB277_41 Depth=1
	s_and_not1_saveexec_b32 s21, s4
	s_cbranch_execz .LBB277_70
; %bb.69:                               ;   in Loop: Header=BB277_41 Depth=1
	v_div_scale_f32 v6, null, v28, v28, s6
	v_div_scale_f32 v7, null, v29, v29, s7
	v_div_scale_f32 v32, vcc_lo, s6, v28, s6
	s_delay_alu instid0(VALU_DEP_3) | instskip(NEXT) | instid1(VALU_DEP_2)
	v_rcp_f32_e32 v10, v6
	v_rcp_f32_e32 v11, v7
	s_waitcnt_depctr 0xfff
	v_fma_f32 v30, -v6, v10, 1.0
	v_fma_f32 v31, -v7, v11, 1.0
	s_delay_alu instid0(VALU_DEP_1) | instskip(SKIP_1) | instid1(VALU_DEP_2)
	v_dual_fmac_f32 v10, v30, v10 :: v_dual_fmac_f32 v11, v31, v11
	v_div_scale_f32 v30, s4, s7, v29, s7
	v_mul_f32_e32 v31, v32, v10
	s_delay_alu instid0(VALU_DEP_2) | instskip(NEXT) | instid1(VALU_DEP_2)
	v_mul_f32_e32 v33, v30, v11
	v_fma_f32 v34, -v6, v31, v32
	s_delay_alu instid0(VALU_DEP_2) | instskip(NEXT) | instid1(VALU_DEP_2)
	v_fma_f32 v35, -v7, v33, v30
	v_fmac_f32_e32 v31, v34, v10
	s_delay_alu instid0(VALU_DEP_2) | instskip(NEXT) | instid1(VALU_DEP_2)
	v_fmac_f32_e32 v33, v35, v11
	v_fma_f32 v6, -v6, v31, v32
	s_delay_alu instid0(VALU_DEP_2) | instskip(NEXT) | instid1(VALU_DEP_2)
	v_fma_f32 v7, -v7, v33, v30
	v_div_fmas_f32 v6, v6, v10, v31
	s_mov_b32 vcc_lo, s4
	s_delay_alu instid0(VALU_DEP_2) | instskip(NEXT) | instid1(VALU_DEP_2)
	v_div_fmas_f32 v7, v7, v11, v33
	v_div_fixup_f32 v10, v6, v28, s6
	s_delay_alu instid0(VALU_DEP_2)
	v_div_fixup_f32 v11, v7, v29, s7
.LBB277_70:                             ;   in Loop: Header=BB277_41 Depth=1
	s_or_b32 exec_lo, exec_lo, s21
                                        ; implicit-def: $vgpr7
.LBB277_71:                             ;   in Loop: Header=BB277_41 Depth=1
	s_and_not1_saveexec_b32 s4, s13
	s_cbranch_execz .LBB277_73
; %bb.72:                               ;   in Loop: Header=BB277_41 Depth=1
	v_div_scale_f32 v10, null, v7, v7, v6
	v_div_scale_f32 v29, vcc_lo, v6, v7, v6
	s_delay_alu instid0(VALU_DEP_2) | instskip(SKIP_2) | instid1(VALU_DEP_1)
	v_rcp_f32_e32 v11, v10
	s_waitcnt_depctr 0xfff
	v_fma_f32 v28, -v10, v11, 1.0
	v_fmac_f32_e32 v11, v28, v11
	s_delay_alu instid0(VALU_DEP_1) | instskip(NEXT) | instid1(VALU_DEP_1)
	v_mul_f32_e32 v28, v29, v11
	v_fma_f32 v30, -v10, v28, v29
	s_delay_alu instid0(VALU_DEP_1) | instskip(NEXT) | instid1(VALU_DEP_1)
	v_fmac_f32_e32 v28, v30, v11
	v_fma_f32 v10, -v10, v28, v29
	s_delay_alu instid0(VALU_DEP_1) | instskip(NEXT) | instid1(VALU_DEP_1)
	v_div_fmas_f32 v10, v10, v11, v28
	v_div_fixup_f32 v10, v10, v7, v6
	s_delay_alu instid0(VALU_DEP_1) | instskip(NEXT) | instid1(VALU_DEP_1)
	v_fmac_f32_e32 v7, v6, v10
	v_div_scale_f32 v6, null, v7, v7, 1.0
	v_div_scale_f32 v29, vcc_lo, 1.0, v7, 1.0
	s_delay_alu instid0(VALU_DEP_2) | instskip(SKIP_2) | instid1(VALU_DEP_1)
	v_rcp_f32_e32 v11, v6
	s_waitcnt_depctr 0xfff
	v_fma_f32 v28, -v6, v11, 1.0
	v_fmac_f32_e32 v11, v28, v11
	s_delay_alu instid0(VALU_DEP_1) | instskip(NEXT) | instid1(VALU_DEP_1)
	v_mul_f32_e32 v28, v29, v11
	v_fma_f32 v30, -v6, v28, v29
	s_delay_alu instid0(VALU_DEP_1) | instskip(NEXT) | instid1(VALU_DEP_1)
	v_fmac_f32_e32 v28, v30, v11
	v_fma_f32 v6, -v6, v28, v29
	s_delay_alu instid0(VALU_DEP_1) | instskip(SKIP_1) | instid1(VALU_DEP_2)
	v_div_fmas_f32 v6, v6, v11, v28
	v_fma_f32 v11, v10, s6, s7
	v_div_fixup_f32 v6, v6, v7, 1.0
	v_fma_f32 v7, v10, s7, -s6
	s_delay_alu instid0(VALU_DEP_2) | instskip(NEXT) | instid1(VALU_DEP_2)
	v_mul_f32_e32 v10, v11, v6
	v_mul_f32_e32 v11, v7, v6
.LBB277_73:                             ;   in Loop: Header=BB277_41 Depth=1
	s_or_b32 exec_lo, exec_lo, s4
	v_cmp_gt_f32_e32 vcc_lo, 0, v2
                                        ; implicit-def: $vgpr7
	s_mov_b32 s4, exec_lo
	v_cndmask_b32_e64 v28, v2, -v2, vcc_lo
	v_cmp_gt_f32_e32 vcc_lo, 0, v3
	v_cndmask_b32_e64 v29, v3, -v3, vcc_lo
	s_delay_alu instid0(VALU_DEP_1)
	v_cmpx_ge_f32_e32 v28, v29
	s_xor_b32 s13, exec_lo, s4
	s_cbranch_execnz .LBB277_79
; %bb.74:                               ;   in Loop: Header=BB277_41 Depth=1
	s_and_not1_saveexec_b32 s4, s13
	s_cbranch_execnz .LBB277_84
.LBB277_75:                             ;   in Loop: Header=BB277_41 Depth=1
	s_or_b32 exec_lo, exec_lo, s4
	s_and_saveexec_b32 s4, s0
	s_delay_alu instid0(SALU_CYCLE_1)
	s_xor_b32 s0, exec_lo, s4
	s_cbranch_execnz .LBB277_85
.LBB277_76:                             ;   in Loop: Header=BB277_41 Depth=1
	s_or_b32 exec_lo, exec_lo, s0
	s_and_saveexec_b32 s0, s1
	s_cbranch_execnz .LBB277_86
.LBB277_77:                             ;   in Loop: Header=BB277_41 Depth=1
	s_or_b32 exec_lo, exec_lo, s0
	s_and_saveexec_b32 s0, s2
	s_cbranch_execnz .LBB277_87
.LBB277_78:                             ;   in Loop: Header=BB277_41 Depth=1
	s_or_b32 exec_lo, exec_lo, s0
	s_and_saveexec_b32 s0, s3
	s_cbranch_execz .LBB277_40
	s_branch .LBB277_88
.LBB277_79:                             ;   in Loop: Header=BB277_41 Depth=1
	v_cmp_neq_f32_e32 vcc_lo, 0, v2
	v_cmp_neq_f32_e64 s4, 0, v3
                                        ; implicit-def: $vgpr7
	s_delay_alu instid0(VALU_DEP_1) | instskip(NEXT) | instid1(SALU_CYCLE_1)
	s_or_b32 s4, s4, vcc_lo
	s_and_saveexec_b32 s21, s4
	s_delay_alu instid0(SALU_CYCLE_1)
	s_xor_b32 s4, exec_lo, s21
	s_cbranch_execz .LBB277_81
; %bb.80:                               ;   in Loop: Header=BB277_41 Depth=1
	v_div_scale_f32 v6, null, v2, v2, v3
	v_div_scale_f32 v29, vcc_lo, v3, v2, v3
	s_delay_alu instid0(VALU_DEP_2) | instskip(SKIP_2) | instid1(VALU_DEP_1)
	v_rcp_f32_e32 v7, v6
	s_waitcnt_depctr 0xfff
	v_fma_f32 v28, -v6, v7, 1.0
	v_fmac_f32_e32 v7, v28, v7
	s_delay_alu instid0(VALU_DEP_1) | instskip(NEXT) | instid1(VALU_DEP_1)
	v_mul_f32_e32 v28, v29, v7
	v_fma_f32 v30, -v6, v28, v29
	s_delay_alu instid0(VALU_DEP_1) | instskip(NEXT) | instid1(VALU_DEP_1)
	v_fmac_f32_e32 v28, v30, v7
	v_fma_f32 v6, -v6, v28, v29
	s_delay_alu instid0(VALU_DEP_1) | instskip(NEXT) | instid1(VALU_DEP_1)
	v_div_fmas_f32 v6, v6, v7, v28
	v_div_fixup_f32 v6, v6, v2, v3
	s_delay_alu instid0(VALU_DEP_1) | instskip(NEXT) | instid1(VALU_DEP_1)
	v_fmac_f32_e32 v2, v3, v6
	v_div_scale_f32 v3, null, v2, v2, 1.0
	v_div_scale_f32 v29, vcc_lo, 1.0, v2, 1.0
	s_delay_alu instid0(VALU_DEP_2) | instskip(SKIP_2) | instid1(VALU_DEP_1)
	v_rcp_f32_e32 v7, v3
	s_waitcnt_depctr 0xfff
	v_fma_f32 v28, -v3, v7, 1.0
	v_fmac_f32_e32 v7, v28, v7
	s_delay_alu instid0(VALU_DEP_1) | instskip(NEXT) | instid1(VALU_DEP_1)
	v_mul_f32_e32 v28, v29, v7
	v_fma_f32 v30, -v3, v28, v29
	s_delay_alu instid0(VALU_DEP_1) | instskip(NEXT) | instid1(VALU_DEP_1)
	v_fmac_f32_e32 v28, v30, v7
	v_fma_f32 v3, -v3, v28, v29
                                        ; implicit-def: $vgpr29
	s_delay_alu instid0(VALU_DEP_1) | instskip(SKIP_1) | instid1(VALU_DEP_2)
	v_div_fmas_f32 v3, v3, v7, v28
	v_fma_f32 v7, v6, s7, s6
                                        ; implicit-def: $vgpr28
	v_div_fixup_f32 v2, v3, v2, 1.0
	v_fma_f32 v3, -v6, s6, s7
	s_delay_alu instid0(VALU_DEP_2) | instskip(NEXT) | instid1(VALU_DEP_2)
	v_mul_f32_e32 v6, v7, v2
	v_mul_f32_e32 v7, v3, v2
.LBB277_81:                             ;   in Loop: Header=BB277_41 Depth=1
	s_and_not1_saveexec_b32 s21, s4
	s_cbranch_execz .LBB277_83
; %bb.82:                               ;   in Loop: Header=BB277_41 Depth=1
	v_div_scale_f32 v2, null, v28, v28, s6
	v_div_scale_f32 v3, null, v29, v29, s7
	v_div_scale_f32 v32, vcc_lo, s6, v28, s6
	s_delay_alu instid0(VALU_DEP_3) | instskip(NEXT) | instid1(VALU_DEP_2)
	v_rcp_f32_e32 v6, v2
	v_rcp_f32_e32 v7, v3
	s_waitcnt_depctr 0xfff
	v_fma_f32 v30, -v2, v6, 1.0
	v_fma_f32 v31, -v3, v7, 1.0
	s_delay_alu instid0(VALU_DEP_1) | instskip(SKIP_1) | instid1(VALU_DEP_2)
	v_dual_fmac_f32 v6, v30, v6 :: v_dual_fmac_f32 v7, v31, v7
	v_div_scale_f32 v30, s4, s7, v29, s7
	v_mul_f32_e32 v31, v32, v6
	s_delay_alu instid0(VALU_DEP_2) | instskip(NEXT) | instid1(VALU_DEP_2)
	v_mul_f32_e32 v33, v30, v7
	v_fma_f32 v34, -v2, v31, v32
	s_delay_alu instid0(VALU_DEP_2) | instskip(NEXT) | instid1(VALU_DEP_2)
	v_fma_f32 v35, -v3, v33, v30
	v_fmac_f32_e32 v31, v34, v6
	s_delay_alu instid0(VALU_DEP_2) | instskip(NEXT) | instid1(VALU_DEP_2)
	v_fmac_f32_e32 v33, v35, v7
	v_fma_f32 v2, -v2, v31, v32
	s_delay_alu instid0(VALU_DEP_2) | instskip(NEXT) | instid1(VALU_DEP_2)
	v_fma_f32 v3, -v3, v33, v30
	v_div_fmas_f32 v2, v2, v6, v31
	s_mov_b32 vcc_lo, s4
	s_delay_alu instid0(VALU_DEP_2) | instskip(NEXT) | instid1(VALU_DEP_2)
	v_div_fmas_f32 v3, v3, v7, v33
	v_div_fixup_f32 v6, v2, v28, s6
	s_delay_alu instid0(VALU_DEP_2)
	v_div_fixup_f32 v7, v3, v29, s7
.LBB277_83:                             ;   in Loop: Header=BB277_41 Depth=1
	s_or_b32 exec_lo, exec_lo, s21
                                        ; implicit-def: $vgpr3
	s_and_not1_saveexec_b32 s4, s13
	s_cbranch_execz .LBB277_75
.LBB277_84:                             ;   in Loop: Header=BB277_41 Depth=1
	v_div_scale_f32 v6, null, v3, v3, v2
	v_div_scale_f32 v29, vcc_lo, v2, v3, v2
	s_delay_alu instid0(VALU_DEP_2) | instskip(SKIP_2) | instid1(VALU_DEP_1)
	v_rcp_f32_e32 v7, v6
	s_waitcnt_depctr 0xfff
	v_fma_f32 v28, -v6, v7, 1.0
	v_fmac_f32_e32 v7, v28, v7
	s_delay_alu instid0(VALU_DEP_1) | instskip(NEXT) | instid1(VALU_DEP_1)
	v_mul_f32_e32 v28, v29, v7
	v_fma_f32 v30, -v6, v28, v29
	s_delay_alu instid0(VALU_DEP_1) | instskip(NEXT) | instid1(VALU_DEP_1)
	v_fmac_f32_e32 v28, v30, v7
	v_fma_f32 v6, -v6, v28, v29
	s_delay_alu instid0(VALU_DEP_1) | instskip(NEXT) | instid1(VALU_DEP_1)
	v_div_fmas_f32 v6, v6, v7, v28
	v_div_fixup_f32 v6, v6, v3, v2
	s_delay_alu instid0(VALU_DEP_1) | instskip(NEXT) | instid1(VALU_DEP_1)
	v_fmac_f32_e32 v3, v2, v6
	v_div_scale_f32 v2, null, v3, v3, 1.0
	v_div_scale_f32 v29, vcc_lo, 1.0, v3, 1.0
	s_delay_alu instid0(VALU_DEP_2) | instskip(SKIP_2) | instid1(VALU_DEP_1)
	v_rcp_f32_e32 v7, v2
	s_waitcnt_depctr 0xfff
	v_fma_f32 v28, -v2, v7, 1.0
	v_fmac_f32_e32 v7, v28, v7
	s_delay_alu instid0(VALU_DEP_1) | instskip(NEXT) | instid1(VALU_DEP_1)
	v_mul_f32_e32 v28, v29, v7
	v_fma_f32 v30, -v2, v28, v29
	s_delay_alu instid0(VALU_DEP_1) | instskip(NEXT) | instid1(VALU_DEP_1)
	v_fmac_f32_e32 v28, v30, v7
	v_fma_f32 v2, -v2, v28, v29
	s_delay_alu instid0(VALU_DEP_1) | instskip(SKIP_1) | instid1(VALU_DEP_2)
	v_div_fmas_f32 v2, v2, v7, v28
	v_fma_f32 v7, v6, s6, s7
	v_div_fixup_f32 v2, v2, v3, 1.0
	v_fma_f32 v3, v6, s7, -s6
	s_delay_alu instid0(VALU_DEP_2) | instskip(NEXT) | instid1(VALU_DEP_2)
	v_mul_f32_e32 v6, v7, v2
	v_mul_f32_e32 v7, v3, v2
	s_or_b32 exec_lo, exec_lo, s4
	s_and_saveexec_b32 s4, s0
	s_delay_alu instid0(SALU_CYCLE_1)
	s_xor_b32 s0, exec_lo, s4
	s_cbranch_execz .LBB277_76
.LBB277_85:                             ;   in Loop: Header=BB277_41 Depth=1
	v_add_co_u32 v2, vcc_lo, v14, s8
	v_add_co_ci_u32_e32 v3, vcc_lo, s9, v15, vcc_lo
	global_store_b64 v[2:3], v[4:5], off offset:-4
	s_or_b32 exec_lo, exec_lo, s0
	s_and_saveexec_b32 s0, s1
	s_cbranch_execz .LBB277_77
.LBB277_86:                             ;   in Loop: Header=BB277_41 Depth=1
	v_add_co_u32 v2, vcc_lo, v16, s8
	v_add_co_ci_u32_e32 v3, vcc_lo, s9, v17, vcc_lo
	global_store_b64 v[2:3], v[8:9], off
	s_or_b32 exec_lo, exec_lo, s0
	s_and_saveexec_b32 s0, s2
	s_cbranch_execz .LBB277_78
.LBB277_87:                             ;   in Loop: Header=BB277_41 Depth=1
	v_add_co_u32 v2, vcc_lo, v26, s8
	v_add_co_ci_u32_e32 v3, vcc_lo, s9, v27, vcc_lo
	global_store_b64 v[2:3], v[10:11], off offset:-4
	s_or_b32 exec_lo, exec_lo, s0
	s_and_saveexec_b32 s0, s3
	s_cbranch_execz .LBB277_40
.LBB277_88:                             ;   in Loop: Header=BB277_41 Depth=1
	v_add_co_u32 v2, vcc_lo, v22, s8
	v_add_co_ci_u32_e32 v3, vcc_lo, s9, v23, vcc_lo
	global_store_b64 v[2:3], v[6:7], off offset:-4
	s_branch .LBB277_40
.LBB277_89:
	s_nop 0
	s_sendmsg sendmsg(MSG_DEALLOC_VGPRS)
	s_endpgm
	.section	.rodata,"a",@progbits
	.p2align	6, 0x0
	.amdhsa_kernel _ZN2at6native12_GLOBAL__N_125multi_tensor_apply_kernelINS1_18TensorListMetadataILi2EEENS1_14UnaryOpFunctorIN3c107complexIfEELi2ELi1ELi1EEEJNS0_10ReciprocalIS8_EEEEEvT_T0_DpT1_
		.amdhsa_group_segment_fixed_size 0
		.amdhsa_private_segment_fixed_size 0
		.amdhsa_kernarg_size 3416
		.amdhsa_user_sgpr_count 15
		.amdhsa_user_sgpr_dispatch_ptr 0
		.amdhsa_user_sgpr_queue_ptr 0
		.amdhsa_user_sgpr_kernarg_segment_ptr 1
		.amdhsa_user_sgpr_dispatch_id 0
		.amdhsa_user_sgpr_private_segment_size 0
		.amdhsa_wavefront_size32 1
		.amdhsa_uses_dynamic_stack 0
		.amdhsa_enable_private_segment 0
		.amdhsa_system_sgpr_workgroup_id_x 1
		.amdhsa_system_sgpr_workgroup_id_y 0
		.amdhsa_system_sgpr_workgroup_id_z 0
		.amdhsa_system_sgpr_workgroup_info 0
		.amdhsa_system_vgpr_workitem_id 0
		.amdhsa_next_free_vgpr 36
		.amdhsa_next_free_sgpr 26
		.amdhsa_reserve_vcc 1
		.amdhsa_float_round_mode_32 0
		.amdhsa_float_round_mode_16_64 0
		.amdhsa_float_denorm_mode_32 3
		.amdhsa_float_denorm_mode_16_64 3
		.amdhsa_dx10_clamp 1
		.amdhsa_ieee_mode 1
		.amdhsa_fp16_overflow 0
		.amdhsa_workgroup_processor_mode 1
		.amdhsa_memory_ordered 1
		.amdhsa_forward_progress 0
		.amdhsa_shared_vgpr_count 0
		.amdhsa_exception_fp_ieee_invalid_op 0
		.amdhsa_exception_fp_denorm_src 0
		.amdhsa_exception_fp_ieee_div_zero 0
		.amdhsa_exception_fp_ieee_overflow 0
		.amdhsa_exception_fp_ieee_underflow 0
		.amdhsa_exception_fp_ieee_inexact 0
		.amdhsa_exception_int_div_zero 0
	.end_amdhsa_kernel
	.section	.text._ZN2at6native12_GLOBAL__N_125multi_tensor_apply_kernelINS1_18TensorListMetadataILi2EEENS1_14UnaryOpFunctorIN3c107complexIfEELi2ELi1ELi1EEEJNS0_10ReciprocalIS8_EEEEEvT_T0_DpT1_,"axG",@progbits,_ZN2at6native12_GLOBAL__N_125multi_tensor_apply_kernelINS1_18TensorListMetadataILi2EEENS1_14UnaryOpFunctorIN3c107complexIfEELi2ELi1ELi1EEEJNS0_10ReciprocalIS8_EEEEEvT_T0_DpT1_,comdat
.Lfunc_end277:
	.size	_ZN2at6native12_GLOBAL__N_125multi_tensor_apply_kernelINS1_18TensorListMetadataILi2EEENS1_14UnaryOpFunctorIN3c107complexIfEELi2ELi1ELi1EEEJNS0_10ReciprocalIS8_EEEEEvT_T0_DpT1_, .Lfunc_end277-_ZN2at6native12_GLOBAL__N_125multi_tensor_apply_kernelINS1_18TensorListMetadataILi2EEENS1_14UnaryOpFunctorIN3c107complexIfEELi2ELi1ELi1EEEJNS0_10ReciprocalIS8_EEEEEvT_T0_DpT1_
                                        ; -- End function
	.section	.AMDGPU.csdata,"",@progbits
; Kernel info:
; codeLenInByte = 7180
; NumSgprs: 28
; NumVgprs: 36
; ScratchSize: 0
; MemoryBound: 0
; FloatMode: 240
; IeeeMode: 1
; LDSByteSize: 0 bytes/workgroup (compile time only)
; SGPRBlocks: 3
; VGPRBlocks: 4
; NumSGPRsForWavesPerEU: 28
; NumVGPRsForWavesPerEU: 36
; Occupancy: 16
; WaveLimiterHint : 0
; COMPUTE_PGM_RSRC2:SCRATCH_EN: 0
; COMPUTE_PGM_RSRC2:USER_SGPR: 15
; COMPUTE_PGM_RSRC2:TRAP_HANDLER: 0
; COMPUTE_PGM_RSRC2:TGID_X_EN: 1
; COMPUTE_PGM_RSRC2:TGID_Y_EN: 0
; COMPUTE_PGM_RSRC2:TGID_Z_EN: 0
; COMPUTE_PGM_RSRC2:TIDIG_COMP_CNT: 0
	.section	.text._ZN2at6native12_GLOBAL__N_125multi_tensor_apply_kernelINS1_18TensorListMetadataILi2EEENS1_14UnaryOpFunctorIN3c104HalfELi2ELi1ELi1EEEJNS0_10ReciprocalIfEEEEEvT_T0_DpT1_,"axG",@progbits,_ZN2at6native12_GLOBAL__N_125multi_tensor_apply_kernelINS1_18TensorListMetadataILi2EEENS1_14UnaryOpFunctorIN3c104HalfELi2ELi1ELi1EEEJNS0_10ReciprocalIfEEEEEvT_T0_DpT1_,comdat
	.globl	_ZN2at6native12_GLOBAL__N_125multi_tensor_apply_kernelINS1_18TensorListMetadataILi2EEENS1_14UnaryOpFunctorIN3c104HalfELi2ELi1ELi1EEEJNS0_10ReciprocalIfEEEEEvT_T0_DpT1_ ; -- Begin function _ZN2at6native12_GLOBAL__N_125multi_tensor_apply_kernelINS1_18TensorListMetadataILi2EEENS1_14UnaryOpFunctorIN3c104HalfELi2ELi1ELi1EEEJNS0_10ReciprocalIfEEEEEvT_T0_DpT1_
	.p2align	8
	.type	_ZN2at6native12_GLOBAL__N_125multi_tensor_apply_kernelINS1_18TensorListMetadataILi2EEENS1_14UnaryOpFunctorIN3c104HalfELi2ELi1ELi1EEEJNS0_10ReciprocalIfEEEEEvT_T0_DpT1_,@function
_ZN2at6native12_GLOBAL__N_125multi_tensor_apply_kernelINS1_18TensorListMetadataILi2EEENS1_14UnaryOpFunctorIN3c104HalfELi2ELi1ELi1EEEJNS0_10ReciprocalIfEEEEEvT_T0_DpT1_: ; @_ZN2at6native12_GLOBAL__N_125multi_tensor_apply_kernelINS1_18TensorListMetadataILi2EEENS1_14UnaryOpFunctorIN3c104HalfELi2ELi1ELi1EEEJNS0_10ReciprocalIfEEEEEvT_T0_DpT1_
; %bb.0:
	v_mov_b32_e32 v1, s15
	s_add_u32 s2, s0, s15
	s_mul_hi_u32 s3, s15, 3
	s_mul_i32 s15, s15, 3
	s_addc_u32 s4, s1, 0
	global_load_u8 v1, v1, s[0:1] offset:1536
	s_add_u32 s2, s2, s15
	s_addc_u32 s3, s4, s3
	s_mov_b32 s11, 0
	s_load_b32 s2, s[2:3], 0x740
	s_mov_b32 s21, s11
	s_mov_b32 s23, s11
	s_waitcnt vmcnt(0)
	v_readfirstlane_b32 s3, v1
	s_delay_alu instid0(VALU_DEP_1)
	s_lshl_b32 s3, s3, 3
	s_clause 0x3
	s_load_b64 s[12:13], s[0:1], s3 offset:0x0
	s_load_b64 s[14:15], s[0:1], s3 offset:0x200
	;; [unrolled: 1-line block ×3, first 2 shown]
	s_load_b32 s16, s[0:1], 0xc4c
	s_waitcnt lgkmcnt(0)
	s_ashr_i32 s3, s2, 31
	s_delay_alu instid0(SALU_CYCLE_1) | instskip(NEXT) | instid1(SALU_CYCLE_1)
	s_lshl_b64 s[8:9], s[2:3], 17
	s_add_u32 s7, s12, s8
	s_addc_u32 s17, s13, s9
	s_and_b32 s10, s7, 7
	s_add_u32 s18, s14, s8
	s_addc_u32 s19, s15, s9
	s_and_b32 s20, s4, 3
	s_and_b32 s22, s18, 7
	s_or_b64 s[10:11], s[10:11], s[20:21]
	s_lshl_b64 s[2:3], s[2:3], 16
	s_or_b64 s[20:21], s[22:23], s[10:11]
	s_sub_u32 s10, s4, s2
	s_subb_u32 s11, s5, s3
	s_cmp_eq_u64 s[20:21], 0
	s_mov_b32 s2, -1
	s_cbranch_scc0 .LBB278_5
; %bb.1:
	v_dual_mov_b32 v2, 0 :: v_dual_lshlrev_b32 v1, 2, v0
	s_mov_b32 s20, exec_lo
	s_delay_alu instid0(VALU_DEP_1)
	v_cmpx_gt_i64_e64 s[10:11], v[1:2]
	s_cbranch_execz .LBB278_4
; %bb.2:
	s_load_b32 s2, s[0:1], 0xc5c
	v_lshlrev_b32_e32 v3, 3, v0
	s_mov_b32 s21, 0
	s_waitcnt lgkmcnt(0)
	s_and_b32 s2, s2, 0xffff
	s_delay_alu instid0(SALU_CYCLE_1)
	v_add_lshl_u32 v1, v0, s2, 2
	s_lshl_b32 s22, s2, 2
	s_lshl_b32 s23, s2, 3
.LBB278_3:                              ; =>This Inner Loop Header: Depth=1
	v_add_co_u32 v4, s2, s7, v3
	s_delay_alu instid0(VALU_DEP_1) | instskip(SKIP_1) | instid1(VALU_DEP_1)
	v_add_co_ci_u32_e64 v5, null, s17, 0, s2
	v_add_co_u32 v6, s2, s18, v3
	v_add_co_ci_u32_e64 v7, null, s19, 0, s2
	global_load_b64 v[4:5], v[4:5], off
	v_cmp_le_i64_e64 s2, s[10:11], v[1:2]
	v_cmp_lt_u64_e64 s3, 0xffff, v[1:2]
	v_add_co_u32 v1, vcc_lo, v1, s22
	v_add_co_ci_u32_e32 v2, vcc_lo, 0, v2, vcc_lo
	s_delay_alu instid0(VALU_DEP_3)
	s_or_b32 s2, s2, s3
	s_add_u32 s7, s7, s23
	s_addc_u32 s17, s17, 0
	s_add_u32 s18, s18, s23
	s_addc_u32 s19, s19, 0
	s_and_b32 s2, exec_lo, s2
	s_delay_alu instid0(SALU_CYCLE_1)
	s_or_b32 s21, s2, s21
	s_waitcnt vmcnt(0)
	v_cvt_f32_f16_e32 v8, v4
	v_lshrrev_b32_e32 v4, 16, v4
	v_lshrrev_b32_e32 v9, 16, v5
	v_cvt_f32_f16_e32 v5, v5
	s_delay_alu instid0(VALU_DEP_4) | instskip(NEXT) | instid1(VALU_DEP_4)
	v_div_scale_f32 v10, null, v8, v8, s16
	v_cvt_f32_f16_e32 v4, v4
	s_delay_alu instid0(VALU_DEP_4) | instskip(NEXT) | instid1(VALU_DEP_4)
	v_cvt_f32_f16_e32 v9, v9
	v_div_scale_f32 v12, null, v5, v5, s16
	s_delay_alu instid0(VALU_DEP_4) | instskip(NEXT) | instid1(VALU_DEP_3)
	v_rcp_f32_e32 v14, v10
	v_div_scale_f32 v15, null, v4, v4, s16
	s_delay_alu instid0(VALU_DEP_3) | instskip(NEXT) | instid1(VALU_DEP_3)
	v_div_scale_f32 v18, null, v9, v9, s16
	v_rcp_f32_e32 v17, v12
	s_delay_alu instid0(VALU_DEP_2) | instskip(SKIP_1) | instid1(VALU_DEP_2)
	v_rcp_f32_e32 v20, v15
	v_div_scale_f32 v11, vcc_lo, s16, v8, s16
	v_rcp_f32_e32 v21, v18
	v_fma_f32 v22, -v10, v14, 1.0
	v_div_scale_f32 v16, s5, s16, v4, s16
	v_div_scale_f32 v13, s4, s16, v5, s16
	s_delay_alu instid0(TRANS32_DEP_3) | instskip(NEXT) | instid1(TRANS32_DEP_2)
	v_fma_f32 v23, -v12, v17, 1.0
	v_fma_f32 v24, -v15, v20, 1.0
	v_fmac_f32_e32 v14, v22, v14
	v_div_scale_f32 v19, s6, s16, v9, s16
	s_delay_alu instid0(VALU_DEP_4) | instskip(NEXT) | instid1(TRANS32_DEP_1)
	v_fmac_f32_e32 v17, v23, v17
	v_fma_f32 v22, -v18, v21, 1.0
	s_delay_alu instid0(VALU_DEP_4) | instskip(NEXT) | instid1(VALU_DEP_3)
	v_dual_fmac_f32 v20, v24, v20 :: v_dual_mul_f32 v23, v11, v14
	v_mul_f32_e32 v24, v13, v17
	s_delay_alu instid0(VALU_DEP_2) | instskip(NEXT) | instid1(VALU_DEP_3)
	v_dual_fmac_f32 v21, v22, v21 :: v_dual_mul_f32 v22, v16, v20
	v_fma_f32 v25, -v10, v23, v11
	s_delay_alu instid0(VALU_DEP_3) | instskip(NEXT) | instid1(VALU_DEP_3)
	v_fma_f32 v26, -v12, v24, v13
	v_fma_f32 v28, -v15, v22, v16
	s_delay_alu instid0(VALU_DEP_4) | instskip(NEXT) | instid1(VALU_DEP_3)
	v_mul_f32_e32 v27, v19, v21
	v_dual_fmac_f32 v23, v25, v14 :: v_dual_fmac_f32 v24, v26, v17
	s_delay_alu instid0(VALU_DEP_3) | instskip(NEXT) | instid1(VALU_DEP_3)
	v_fmac_f32_e32 v22, v28, v20
	v_fma_f32 v25, -v18, v27, v19
	s_delay_alu instid0(VALU_DEP_3) | instskip(NEXT) | instid1(VALU_DEP_4)
	v_fma_f32 v10, -v10, v23, v11
	v_fma_f32 v11, -v12, v24, v13
	s_delay_alu instid0(VALU_DEP_4) | instskip(NEXT) | instid1(VALU_DEP_4)
	v_fma_f32 v12, -v15, v22, v16
	v_fmac_f32_e32 v27, v25, v21
	s_delay_alu instid0(VALU_DEP_4) | instskip(SKIP_1) | instid1(VALU_DEP_3)
	v_div_fmas_f32 v10, v10, v14, v23
	s_mov_b32 vcc_lo, s5
	v_div_fmas_f32 v12, v12, v20, v22
	s_delay_alu instid0(VALU_DEP_3)
	v_fma_f32 v13, -v18, v27, v19
	s_mov_b32 vcc_lo, s4
	v_div_fixup_f32 v8, v10, v8, s16
	v_div_fmas_f32 v11, v11, v17, v24
	s_mov_b32 vcc_lo, s6
	v_div_fixup_f32 v4, v12, v4, s16
	v_div_fmas_f32 v13, v13, v21, v27
	v_cvt_f16_f32_e32 v8, v8
	v_div_fixup_f32 v5, v11, v5, s16
	s_delay_alu instid0(VALU_DEP_4) | instskip(NEXT) | instid1(VALU_DEP_4)
	v_cvt_f16_f32_e32 v4, v4
	v_div_fixup_f32 v9, v13, v9, s16
	s_delay_alu instid0(VALU_DEP_3) | instskip(NEXT) | instid1(VALU_DEP_3)
	v_cvt_f16_f32_e32 v5, v5
	v_pack_b32_f16 v4, v8, v4
	s_delay_alu instid0(VALU_DEP_3) | instskip(NEXT) | instid1(VALU_DEP_1)
	v_cvt_f16_f32_e32 v9, v9
	v_pack_b32_f16 v5, v5, v9
	global_store_b64 v[6:7], v[4:5], off
	s_and_not1_b32 exec_lo, exec_lo, s21
	s_cbranch_execnz .LBB278_3
.LBB278_4:
	s_or_b32 exec_lo, exec_lo, s20
	s_mov_b32 s2, 0
.LBB278_5:
	s_delay_alu instid0(SALU_CYCLE_1)
	s_and_not1_b32 vcc_lo, exec_lo, s2
	s_cbranch_vccnz .LBB278_25
; %bb.6:
	v_cmp_lt_i64_e64 s2, s[10:11], 1
	s_delay_alu instid0(VALU_DEP_1)
	s_and_b32 vcc_lo, exec_lo, s2
	s_cbranch_vccnz .LBB278_25
; %bb.7:
	s_load_b32 s0, s[0:1], 0xc5c
	v_dual_mov_b32 v10, 0 :: v_dual_lshlrev_b32 v9, 1, v0
	v_cmp_gt_u64_e64 s1, 0x10000, s[10:11]
	s_mov_b64 s[6:7], 0
	s_delay_alu instid0(VALU_DEP_2) | instskip(NEXT) | instid1(VALU_DEP_1)
	v_add_co_u32 v1, s2, s12, v9
	v_add_co_ci_u32_e64 v2, null, s13, 0, s2
	v_add_co_u32 v3, s2, s14, v9
	s_delay_alu instid0(VALU_DEP_1)
	v_add_co_ci_u32_e64 v4, null, s15, 0, s2
	s_waitcnt lgkmcnt(0)
	s_and_b32 s0, s0, 0xffff
	s_and_b32 s1, s1, exec_lo
	v_mad_u64_u32 v[7:8], null, s0, 6, v[9:10]
	s_cselect_b32 s5, s11, 0
	s_cselect_b32 s4, s10, 0x10000
	s_mul_i32 s2, s0, 3
	s_lshl_b32 s17, s0, 2
	s_lshl_b32 s1, s0, 1
	v_add_co_u32 v14, s3, s17, v9
	v_add_co_u32 v9, s2, s2, v0
	s_delay_alu instid0(VALU_DEP_1) | instskip(SKIP_3) | instid1(VALU_DEP_3)
	v_add_co_ci_u32_e64 v10, null, 0, 0, s2
	v_add_co_u32 v13, s2, v0, s0
	v_add_co_u32 v5, vcc_lo, s12, v7
	v_add_co_ci_u32_e32 v6, vcc_lo, s13, v8, vcc_lo
	v_lshlrev_b32_e32 v21, 1, v13
	v_add_co_u32 v7, vcc_lo, s14, v7
	v_add_co_ci_u32_e64 v15, null, 0, 0, s3
	v_add_co_ci_u32_e32 v8, vcc_lo, s15, v8, vcc_lo
	v_add_co_u32 v17, s1, s1, v0
	v_add_co_u32 v11, vcc_lo, s12, v14
	v_add_co_ci_u32_e64 v18, null, 0, 0, s1
	v_add_co_u32 v19, s1, s12, v21
	v_add_co_ci_u32_e32 v12, vcc_lo, s13, v15, vcc_lo
	v_add_co_u32 v14, vcc_lo, s14, v14
	v_add_co_ci_u32_e64 v20, null, s13, 0, s1
	v_add_co_u32 v21, s1, s14, v21
	v_add_co_ci_u32_e32 v15, vcc_lo, s15, v15, vcc_lo
	v_add_co_ci_u32_e64 v16, null, 0, 0, s2
	v_add_co_ci_u32_e64 v22, null, s15, 0, s1
	s_lshl_b32 s12, s0, 3
	s_branch .LBB278_9
.LBB278_8:                              ;   in Loop: Header=BB278_9 Depth=1
	s_or_b32 exec_lo, exec_lo, s1
	v_add_co_u32 v1, vcc_lo, v1, s12
	v_add_co_ci_u32_e32 v2, vcc_lo, 0, v2, vcc_lo
	v_add_co_u32 v3, vcc_lo, v3, s12
	v_add_co_ci_u32_e32 v4, vcc_lo, 0, v4, vcc_lo
	;; [unrolled: 2-line block ×5, first 2 shown]
	s_add_u32 s6, s6, s17
	v_add_co_u32 v14, vcc_lo, v14, s12
	s_addc_u32 s7, s7, 0
	v_add_co_ci_u32_e32 v15, vcc_lo, 0, v15, vcc_lo
	v_cmp_ge_i64_e64 s0, s[6:7], s[10:11]
	v_cmp_lt_u64_e64 s1, 0xffff, s[6:7]
	v_add_co_u32 v19, vcc_lo, v19, s12
	v_add_co_ci_u32_e32 v20, vcc_lo, 0, v20, vcc_lo
	v_add_co_u32 v21, vcc_lo, v21, s12
	v_add_co_ci_u32_e32 v22, vcc_lo, 0, v22, vcc_lo
	s_or_b32 s0, s0, s1
	s_delay_alu instid0(SALU_CYCLE_1)
	s_and_b32 vcc_lo, exec_lo, s0
	s_cbranch_vccnz .LBB278_25
.LBB278_9:                              ; =>This Inner Loop Header: Depth=1
	s_waitcnt vmcnt(0)
	v_add_co_u32 v23, s0, v0, s6
	s_delay_alu instid0(VALU_DEP_1) | instskip(SKIP_1) | instid1(VALU_DEP_2)
	v_add_co_ci_u32_e64 v24, null, 0, s7, s0
	v_mov_b32_e32 v26, 0
	v_cmp_gt_u64_e32 vcc_lo, s[4:5], v[23:24]
	s_and_saveexec_b32 s1, vcc_lo
	s_cbranch_execz .LBB278_11
; %bb.10:                               ;   in Loop: Header=BB278_9 Depth=1
	v_add_co_u32 v23, s0, v1, s8
	s_delay_alu instid0(VALU_DEP_1)
	v_add_co_ci_u32_e64 v24, s0, s9, v2, s0
	global_load_u16 v26, v[23:24], off
.LBB278_11:                             ;   in Loop: Header=BB278_9 Depth=1
	s_or_b32 exec_lo, exec_lo, s1
	v_add_co_u32 v23, s0, v13, s6
	s_delay_alu instid0(VALU_DEP_1) | instskip(SKIP_1) | instid1(VALU_DEP_2)
	v_add_co_ci_u32_e64 v24, s0, s7, v16, s0
	v_mov_b32_e32 v25, 0
	v_cmp_gt_u64_e64 s2, s[4:5], v[23:24]
	s_delay_alu instid0(VALU_DEP_1)
	s_and_saveexec_b32 s1, s2
	s_cbranch_execz .LBB278_13
; %bb.12:                               ;   in Loop: Header=BB278_9 Depth=1
	v_add_co_u32 v23, s0, v19, s8
	s_delay_alu instid0(VALU_DEP_1)
	v_add_co_ci_u32_e64 v24, s0, s9, v20, s0
	global_load_u16 v25, v[23:24], off
.LBB278_13:                             ;   in Loop: Header=BB278_9 Depth=1
	s_or_b32 exec_lo, exec_lo, s1
	v_add_co_u32 v23, s0, v17, s6
	s_delay_alu instid0(VALU_DEP_1) | instskip(NEXT) | instid1(VALU_DEP_1)
	v_add_co_ci_u32_e64 v24, s0, s7, v18, s0
	v_cmp_gt_u64_e64 s1, s[4:5], v[23:24]
	v_dual_mov_b32 v23, 0 :: v_dual_mov_b32 v24, 0
	s_delay_alu instid0(VALU_DEP_2)
	s_and_saveexec_b32 s3, s1
	s_cbranch_execz .LBB278_15
; %bb.14:                               ;   in Loop: Header=BB278_9 Depth=1
	v_add_co_u32 v27, s0, v11, s8
	s_delay_alu instid0(VALU_DEP_1)
	v_add_co_ci_u32_e64 v28, s0, s9, v12, s0
	global_load_u16 v24, v[27:28], off
.LBB278_15:                             ;   in Loop: Header=BB278_9 Depth=1
	s_or_b32 exec_lo, exec_lo, s3
	v_add_co_u32 v27, s0, v9, s6
	s_delay_alu instid0(VALU_DEP_1) | instskip(NEXT) | instid1(VALU_DEP_1)
	v_add_co_ci_u32_e64 v28, s0, s7, v10, s0
	v_cmp_gt_u64_e64 s0, s[4:5], v[27:28]
	s_delay_alu instid0(VALU_DEP_1)
	s_and_saveexec_b32 s13, s0
	s_cbranch_execnz .LBB278_20
; %bb.16:                               ;   in Loop: Header=BB278_9 Depth=1
	s_or_b32 exec_lo, exec_lo, s13
	s_and_saveexec_b32 s3, vcc_lo
	s_cbranch_execnz .LBB278_21
.LBB278_17:                             ;   in Loop: Header=BB278_9 Depth=1
	s_or_b32 exec_lo, exec_lo, s3
	s_and_saveexec_b32 s3, s2
	s_cbranch_execnz .LBB278_22
.LBB278_18:                             ;   in Loop: Header=BB278_9 Depth=1
	s_or_b32 exec_lo, exec_lo, s3
	s_and_saveexec_b32 s2, s1
	s_cbranch_execnz .LBB278_23
.LBB278_19:                             ;   in Loop: Header=BB278_9 Depth=1
	s_or_b32 exec_lo, exec_lo, s2
	s_and_saveexec_b32 s1, s0
	s_cbranch_execz .LBB278_8
	s_branch .LBB278_24
.LBB278_20:                             ;   in Loop: Header=BB278_9 Depth=1
	v_add_co_u32 v27, s3, v5, s8
	s_delay_alu instid0(VALU_DEP_1)
	v_add_co_ci_u32_e64 v28, s3, s9, v6, s3
	global_load_u16 v23, v[27:28], off
	s_or_b32 exec_lo, exec_lo, s13
	s_and_saveexec_b32 s3, vcc_lo
	s_cbranch_execz .LBB278_17
.LBB278_21:                             ;   in Loop: Header=BB278_9 Depth=1
	s_waitcnt vmcnt(0)
	v_cvt_f32_f16_e32 v26, v26
	s_delay_alu instid0(VALU_DEP_1) | instskip(SKIP_1) | instid1(VALU_DEP_2)
	v_div_scale_f32 v27, null, v26, v26, s16
	v_div_scale_f32 v30, vcc_lo, s16, v26, s16
	v_rcp_f32_e32 v28, v27
	s_waitcnt_depctr 0xfff
	v_fma_f32 v29, -v27, v28, 1.0
	s_delay_alu instid0(VALU_DEP_1) | instskip(NEXT) | instid1(VALU_DEP_1)
	v_fmac_f32_e32 v28, v29, v28
	v_mul_f32_e32 v29, v30, v28
	s_delay_alu instid0(VALU_DEP_1) | instskip(NEXT) | instid1(VALU_DEP_1)
	v_fma_f32 v31, -v27, v29, v30
	v_fmac_f32_e32 v29, v31, v28
	s_delay_alu instid0(VALU_DEP_1) | instskip(NEXT) | instid1(VALU_DEP_1)
	v_fma_f32 v27, -v27, v29, v30
	v_div_fmas_f32 v27, v27, v28, v29
	s_delay_alu instid0(VALU_DEP_1) | instskip(NEXT) | instid1(VALU_DEP_1)
	v_div_fixup_f32 v26, v27, v26, s16
	v_cvt_f16_f32_e32 v28, v26
	v_add_co_u32 v26, vcc_lo, v3, s8
	v_add_co_ci_u32_e32 v27, vcc_lo, s9, v4, vcc_lo
	global_store_b16 v[26:27], v28, off
	s_or_b32 exec_lo, exec_lo, s3
	s_and_saveexec_b32 s3, s2
	s_cbranch_execz .LBB278_18
.LBB278_22:                             ;   in Loop: Header=BB278_9 Depth=1
	s_waitcnt vmcnt(0)
	v_cvt_f32_f16_e32 v25, v25
	s_delay_alu instid0(VALU_DEP_1) | instskip(SKIP_1) | instid1(VALU_DEP_2)
	v_div_scale_f32 v26, null, v25, v25, s16
	v_div_scale_f32 v29, vcc_lo, s16, v25, s16
	v_rcp_f32_e32 v27, v26
	s_waitcnt_depctr 0xfff
	v_fma_f32 v28, -v26, v27, 1.0
	s_delay_alu instid0(VALU_DEP_1) | instskip(NEXT) | instid1(VALU_DEP_1)
	v_fmac_f32_e32 v27, v28, v27
	v_mul_f32_e32 v28, v29, v27
	s_delay_alu instid0(VALU_DEP_1) | instskip(NEXT) | instid1(VALU_DEP_1)
	v_fma_f32 v30, -v26, v28, v29
	v_fmac_f32_e32 v28, v30, v27
	s_delay_alu instid0(VALU_DEP_1) | instskip(NEXT) | instid1(VALU_DEP_1)
	v_fma_f32 v26, -v26, v28, v29
	v_div_fmas_f32 v26, v26, v27, v28
	s_delay_alu instid0(VALU_DEP_1) | instskip(NEXT) | instid1(VALU_DEP_1)
	v_div_fixup_f32 v25, v26, v25, s16
	v_cvt_f16_f32_e32 v27, v25
	v_add_co_u32 v25, vcc_lo, v21, s8
	v_add_co_ci_u32_e32 v26, vcc_lo, s9, v22, vcc_lo
	global_store_b16 v[25:26], v27, off
	s_or_b32 exec_lo, exec_lo, s3
	s_and_saveexec_b32 s2, s1
	s_cbranch_execz .LBB278_19
.LBB278_23:                             ;   in Loop: Header=BB278_9 Depth=1
	s_waitcnt vmcnt(0)
	v_cvt_f32_f16_e32 v24, v24
	s_delay_alu instid0(VALU_DEP_1) | instskip(SKIP_1) | instid1(VALU_DEP_2)
	v_div_scale_f32 v25, null, v24, v24, s16
	v_div_scale_f32 v28, vcc_lo, s16, v24, s16
	v_rcp_f32_e32 v26, v25
	s_waitcnt_depctr 0xfff
	v_fma_f32 v27, -v25, v26, 1.0
	s_delay_alu instid0(VALU_DEP_1) | instskip(NEXT) | instid1(VALU_DEP_1)
	v_fmac_f32_e32 v26, v27, v26
	v_mul_f32_e32 v27, v28, v26
	s_delay_alu instid0(VALU_DEP_1) | instskip(NEXT) | instid1(VALU_DEP_1)
	v_fma_f32 v29, -v25, v27, v28
	v_fmac_f32_e32 v27, v29, v26
	s_delay_alu instid0(VALU_DEP_1) | instskip(NEXT) | instid1(VALU_DEP_1)
	v_fma_f32 v25, -v25, v27, v28
	v_div_fmas_f32 v25, v25, v26, v27
	s_delay_alu instid0(VALU_DEP_1) | instskip(NEXT) | instid1(VALU_DEP_1)
	v_div_fixup_f32 v24, v25, v24, s16
	v_cvt_f16_f32_e32 v26, v24
	v_add_co_u32 v24, vcc_lo, v14, s8
	v_add_co_ci_u32_e32 v25, vcc_lo, s9, v15, vcc_lo
	global_store_b16 v[24:25], v26, off
	s_or_b32 exec_lo, exec_lo, s2
	s_and_saveexec_b32 s1, s0
	s_cbranch_execz .LBB278_8
.LBB278_24:                             ;   in Loop: Header=BB278_9 Depth=1
	s_waitcnt vmcnt(0)
	v_cvt_f32_f16_e32 v23, v23
	s_delay_alu instid0(VALU_DEP_1) | instskip(SKIP_1) | instid1(VALU_DEP_2)
	v_div_scale_f32 v24, null, v23, v23, s16
	v_div_scale_f32 v27, vcc_lo, s16, v23, s16
	v_rcp_f32_e32 v25, v24
	s_waitcnt_depctr 0xfff
	v_fma_f32 v26, -v24, v25, 1.0
	s_delay_alu instid0(VALU_DEP_1) | instskip(NEXT) | instid1(VALU_DEP_1)
	v_fmac_f32_e32 v25, v26, v25
	v_mul_f32_e32 v26, v27, v25
	s_delay_alu instid0(VALU_DEP_1) | instskip(NEXT) | instid1(VALU_DEP_1)
	v_fma_f32 v28, -v24, v26, v27
	v_fmac_f32_e32 v26, v28, v25
	s_delay_alu instid0(VALU_DEP_1) | instskip(NEXT) | instid1(VALU_DEP_1)
	v_fma_f32 v24, -v24, v26, v27
	v_div_fmas_f32 v24, v24, v25, v26
	s_delay_alu instid0(VALU_DEP_1) | instskip(NEXT) | instid1(VALU_DEP_1)
	v_div_fixup_f32 v23, v24, v23, s16
	v_cvt_f16_f32_e32 v25, v23
	v_add_co_u32 v23, vcc_lo, v7, s8
	v_add_co_ci_u32_e32 v24, vcc_lo, s9, v8, vcc_lo
	global_store_b16 v[23:24], v25, off
	s_branch .LBB278_8
.LBB278_25:
	s_nop 0
	s_sendmsg sendmsg(MSG_DEALLOC_VGPRS)
	s_endpgm
	.section	.rodata,"a",@progbits
	.p2align	6, 0x0
	.amdhsa_kernel _ZN2at6native12_GLOBAL__N_125multi_tensor_apply_kernelINS1_18TensorListMetadataILi2EEENS1_14UnaryOpFunctorIN3c104HalfELi2ELi1ELi1EEEJNS0_10ReciprocalIfEEEEEvT_T0_DpT1_
		.amdhsa_group_segment_fixed_size 0
		.amdhsa_private_segment_fixed_size 0
		.amdhsa_kernarg_size 3408
		.amdhsa_user_sgpr_count 15
		.amdhsa_user_sgpr_dispatch_ptr 0
		.amdhsa_user_sgpr_queue_ptr 0
		.amdhsa_user_sgpr_kernarg_segment_ptr 1
		.amdhsa_user_sgpr_dispatch_id 0
		.amdhsa_user_sgpr_private_segment_size 0
		.amdhsa_wavefront_size32 1
		.amdhsa_uses_dynamic_stack 0
		.amdhsa_enable_private_segment 0
		.amdhsa_system_sgpr_workgroup_id_x 1
		.amdhsa_system_sgpr_workgroup_id_y 0
		.amdhsa_system_sgpr_workgroup_id_z 0
		.amdhsa_system_sgpr_workgroup_info 0
		.amdhsa_system_vgpr_workitem_id 0
		.amdhsa_next_free_vgpr 32
		.amdhsa_next_free_sgpr 24
		.amdhsa_reserve_vcc 1
		.amdhsa_float_round_mode_32 0
		.amdhsa_float_round_mode_16_64 0
		.amdhsa_float_denorm_mode_32 3
		.amdhsa_float_denorm_mode_16_64 3
		.amdhsa_dx10_clamp 1
		.amdhsa_ieee_mode 1
		.amdhsa_fp16_overflow 0
		.amdhsa_workgroup_processor_mode 1
		.amdhsa_memory_ordered 1
		.amdhsa_forward_progress 0
		.amdhsa_shared_vgpr_count 0
		.amdhsa_exception_fp_ieee_invalid_op 0
		.amdhsa_exception_fp_denorm_src 0
		.amdhsa_exception_fp_ieee_div_zero 0
		.amdhsa_exception_fp_ieee_overflow 0
		.amdhsa_exception_fp_ieee_underflow 0
		.amdhsa_exception_fp_ieee_inexact 0
		.amdhsa_exception_int_div_zero 0
	.end_amdhsa_kernel
	.section	.text._ZN2at6native12_GLOBAL__N_125multi_tensor_apply_kernelINS1_18TensorListMetadataILi2EEENS1_14UnaryOpFunctorIN3c104HalfELi2ELi1ELi1EEEJNS0_10ReciprocalIfEEEEEvT_T0_DpT1_,"axG",@progbits,_ZN2at6native12_GLOBAL__N_125multi_tensor_apply_kernelINS1_18TensorListMetadataILi2EEENS1_14UnaryOpFunctorIN3c104HalfELi2ELi1ELi1EEEJNS0_10ReciprocalIfEEEEEvT_T0_DpT1_,comdat
.Lfunc_end278:
	.size	_ZN2at6native12_GLOBAL__N_125multi_tensor_apply_kernelINS1_18TensorListMetadataILi2EEENS1_14UnaryOpFunctorIN3c104HalfELi2ELi1ELi1EEEJNS0_10ReciprocalIfEEEEEvT_T0_DpT1_, .Lfunc_end278-_ZN2at6native12_GLOBAL__N_125multi_tensor_apply_kernelINS1_18TensorListMetadataILi2EEENS1_14UnaryOpFunctorIN3c104HalfELi2ELi1ELi1EEEJNS0_10ReciprocalIfEEEEEvT_T0_DpT1_
                                        ; -- End function
	.section	.AMDGPU.csdata,"",@progbits
; Kernel info:
; codeLenInByte = 2212
; NumSgprs: 26
; NumVgprs: 32
; ScratchSize: 0
; MemoryBound: 0
; FloatMode: 240
; IeeeMode: 1
; LDSByteSize: 0 bytes/workgroup (compile time only)
; SGPRBlocks: 3
; VGPRBlocks: 3
; NumSGPRsForWavesPerEU: 26
; NumVGPRsForWavesPerEU: 32
; Occupancy: 16
; WaveLimiterHint : 0
; COMPUTE_PGM_RSRC2:SCRATCH_EN: 0
; COMPUTE_PGM_RSRC2:USER_SGPR: 15
; COMPUTE_PGM_RSRC2:TRAP_HANDLER: 0
; COMPUTE_PGM_RSRC2:TGID_X_EN: 1
; COMPUTE_PGM_RSRC2:TGID_Y_EN: 0
; COMPUTE_PGM_RSRC2:TGID_Z_EN: 0
; COMPUTE_PGM_RSRC2:TIDIG_COMP_CNT: 0
	.section	.text._ZN2at6native12_GLOBAL__N_125multi_tensor_apply_kernelINS1_18TensorListMetadataILi2EEENS1_14UnaryOpFunctorIN3c108BFloat16ELi2ELi1ELi1EEEJNS0_10ReciprocalIfEEEEEvT_T0_DpT1_,"axG",@progbits,_ZN2at6native12_GLOBAL__N_125multi_tensor_apply_kernelINS1_18TensorListMetadataILi2EEENS1_14UnaryOpFunctorIN3c108BFloat16ELi2ELi1ELi1EEEJNS0_10ReciprocalIfEEEEEvT_T0_DpT1_,comdat
	.globl	_ZN2at6native12_GLOBAL__N_125multi_tensor_apply_kernelINS1_18TensorListMetadataILi2EEENS1_14UnaryOpFunctorIN3c108BFloat16ELi2ELi1ELi1EEEJNS0_10ReciprocalIfEEEEEvT_T0_DpT1_ ; -- Begin function _ZN2at6native12_GLOBAL__N_125multi_tensor_apply_kernelINS1_18TensorListMetadataILi2EEENS1_14UnaryOpFunctorIN3c108BFloat16ELi2ELi1ELi1EEEJNS0_10ReciprocalIfEEEEEvT_T0_DpT1_
	.p2align	8
	.type	_ZN2at6native12_GLOBAL__N_125multi_tensor_apply_kernelINS1_18TensorListMetadataILi2EEENS1_14UnaryOpFunctorIN3c108BFloat16ELi2ELi1ELi1EEEJNS0_10ReciprocalIfEEEEEvT_T0_DpT1_,@function
_ZN2at6native12_GLOBAL__N_125multi_tensor_apply_kernelINS1_18TensorListMetadataILi2EEENS1_14UnaryOpFunctorIN3c108BFloat16ELi2ELi1ELi1EEEJNS0_10ReciprocalIfEEEEEvT_T0_DpT1_: ; @_ZN2at6native12_GLOBAL__N_125multi_tensor_apply_kernelINS1_18TensorListMetadataILi2EEENS1_14UnaryOpFunctorIN3c108BFloat16ELi2ELi1ELi1EEEJNS0_10ReciprocalIfEEEEEvT_T0_DpT1_
; %bb.0:
	v_mov_b32_e32 v1, s15
	s_add_u32 s2, s0, s15
	s_mul_hi_u32 s3, s15, 3
	s_mul_i32 s15, s15, 3
	s_addc_u32 s4, s1, 0
	global_load_u8 v1, v1, s[0:1] offset:1536
	s_add_u32 s2, s2, s15
	s_addc_u32 s3, s4, s3
	s_mov_b32 s7, 0
	s_load_b32 s2, s[2:3], 0x740
	s_mov_b32 s19, s7
	s_mov_b32 s11, s7
	s_waitcnt vmcnt(0)
	v_readfirstlane_b32 s3, v1
	s_delay_alu instid0(VALU_DEP_1)
	s_lshl_b32 s3, s3, 3
	s_clause 0x3
	s_load_b64 s[12:13], s[0:1], s3 offset:0x0
	s_load_b64 s[14:15], s[0:1], s3 offset:0x200
	;; [unrolled: 1-line block ×3, first 2 shown]
	s_load_b32 s16, s[0:1], 0xc4c
	s_waitcnt lgkmcnt(0)
	s_ashr_i32 s3, s2, 31
	s_delay_alu instid0(SALU_CYCLE_1) | instskip(SKIP_4) | instid1(SALU_CYCLE_1)
	s_lshl_b64 s[8:9], s[2:3], 17
	s_lshl_b64 s[2:3], s[2:3], 16
	s_and_b32 s6, s12, 7
	s_and_b32 s10, s14, 7
	;; [unrolled: 1-line block ×3, first 2 shown]
	s_or_b64 s[6:7], s[6:7], s[18:19]
	s_delay_alu instid0(SALU_CYCLE_1)
	s_or_b64 s[6:7], s[10:11], s[6:7]
	s_sub_u32 s10, s4, s2
	s_subb_u32 s11, s5, s3
	s_cmp_eq_u64 s[6:7], 0
	s_mov_b32 s2, -1
	s_cbranch_scc0 .LBB279_5
; %bb.1:
	v_dual_mov_b32 v2, 0 :: v_dual_lshlrev_b32 v1, 2, v0
	s_mov_b32 s17, exec_lo
	s_delay_alu instid0(VALU_DEP_1)
	v_cmpx_gt_i64_e64 s[10:11], v[1:2]
	s_cbranch_execz .LBB279_4
; %bb.2:
	s_load_b32 s2, s[0:1], 0xc5c
	v_lshlrev_b32_e32 v1, 3, v0
	s_mov_b32 s18, 0
	s_delay_alu instid0(VALU_DEP_1) | instskip(NEXT) | instid1(VALU_DEP_1)
	v_add_co_u32 v3, s3, s8, v1
	v_add_co_ci_u32_e64 v4, null, s9, 0, s3
	s_waitcnt lgkmcnt(0)
	s_and_b32 s2, s2, 0xffff
	s_delay_alu instid0(SALU_CYCLE_1)
	v_add_lshl_u32 v1, v0, s2, 2
	s_lshl_b32 s19, s2, 3
	s_lshl_b32 s20, s2, 2
.LBB279_3:                              ; =>This Inner Loop Header: Depth=1
	v_add_co_u32 v5, vcc_lo, s12, v3
	v_add_co_ci_u32_e32 v6, vcc_lo, s13, v4, vcc_lo
	v_add_co_u32 v7, vcc_lo, s14, v3
	v_add_co_ci_u32_e32 v8, vcc_lo, s15, v4, vcc_lo
	global_load_b64 v[5:6], v[5:6], off
	v_add_co_u32 v3, vcc_lo, v3, s19
	v_add_co_ci_u32_e32 v4, vcc_lo, 0, v4, vcc_lo
	v_cmp_le_i64_e64 s2, s[10:11], v[1:2]
	v_cmp_lt_u64_e64 s3, 0xffff, v[1:2]
	v_add_co_u32 v1, s4, v1, s20
	s_delay_alu instid0(VALU_DEP_2) | instskip(NEXT) | instid1(SALU_CYCLE_1)
	s_or_b32 s2, s2, s3
	s_and_b32 s2, exec_lo, s2
	s_delay_alu instid0(SALU_CYCLE_1) | instskip(SKIP_2) | instid1(VALU_DEP_1)
	s_or_b32 s18, s2, s18
	s_waitcnt vmcnt(0)
	v_and_b32_e32 v10, 0xffff0000, v5
	v_div_scale_f32 v13, null, v10, v10, s16
	v_div_scale_f32 v14, s5, s16, v10, s16
	s_delay_alu instid0(VALU_DEP_2) | instskip(SKIP_4) | instid1(VALU_DEP_3)
	v_rcp_f32_e32 v18, v13
	s_waitcnt_depctr 0xfff
	v_fma_f32 v24, -v13, v18, 1.0
	v_lshlrev_b32_e32 v9, 16, v5
	v_alignbit_b32 v5, v6, v5, 16
	v_fmac_f32_e32 v18, v24, v18
	s_delay_alu instid0(VALU_DEP_3) | instskip(SKIP_1) | instid1(VALU_DEP_2)
	v_div_scale_f32 v11, null, v9, v9, s16
	v_div_scale_f32 v12, vcc_lo, s16, v9, s16
	v_rcp_f32_e32 v17, v11
	s_waitcnt_depctr 0xfff
	v_fma_f32 v23, -v11, v17, 1.0
	s_delay_alu instid0(VALU_DEP_1) | instskip(NEXT) | instid1(VALU_DEP_1)
	v_dual_fmac_f32 v17, v23, v17 :: v_dual_and_b32 v6, 0xffff0000, v6
	v_div_scale_f32 v15, null, v6, v6, s16
	v_div_scale_f32 v16, s6, s16, v6, s16
	s_delay_alu instid0(VALU_DEP_2) | instskip(SKIP_2) | instid1(VALU_DEP_1)
	v_rcp_f32_e32 v20, v15
	s_waitcnt_depctr 0xfff
	v_fma_f32 v25, -v15, v20, 1.0
	v_dual_fmac_f32 v20, v25, v20 :: v_dual_and_b32 v5, 0xffff0000, v5
	s_delay_alu instid0(VALU_DEP_1) | instskip(SKIP_2) | instid1(VALU_DEP_3)
	v_div_scale_f32 v19, null, v5, v5, s16
	v_mul_f32_e32 v25, v14, v18
	v_div_scale_f32 v21, s7, s16, v5, s16
	v_rcp_f32_e32 v22, v19
	s_delay_alu instid0(VALU_DEP_2) | instskip(NEXT) | instid1(VALU_DEP_1)
	v_fma_f32 v27, -v13, v25, v14
	v_dual_mul_f32 v24, v12, v17 :: v_dual_fmac_f32 v25, v27, v18
	s_delay_alu instid0(VALU_DEP_1) | instskip(SKIP_2) | instid1(VALU_DEP_1)
	v_fma_f32 v26, -v11, v24, v12
	s_waitcnt_depctr 0xfff
	v_fma_f32 v23, -v19, v22, 1.0
	v_dual_fmac_f32 v22, v23, v22 :: v_dual_mul_f32 v23, v16, v20
	s_delay_alu instid0(VALU_DEP_1) | instskip(NEXT) | instid1(VALU_DEP_2)
	v_mul_f32_e32 v28, v21, v22
	v_fma_f32 v29, -v15, v23, v16
	v_fmac_f32_e32 v24, v26, v17
	s_delay_alu instid0(VALU_DEP_3) | instskip(NEXT) | instid1(VALU_DEP_3)
	v_fma_f32 v26, -v19, v28, v21
	v_fmac_f32_e32 v23, v29, v20
	s_delay_alu instid0(VALU_DEP_3) | instskip(SKIP_1) | instid1(VALU_DEP_4)
	v_fma_f32 v11, -v11, v24, v12
	v_fma_f32 v12, -v13, v25, v14
	v_fmac_f32_e32 v28, v26, v22
	s_delay_alu instid0(VALU_DEP_4) | instskip(NEXT) | instid1(VALU_DEP_4)
	v_fma_f32 v13, -v15, v23, v16
	v_div_fmas_f32 v11, v11, v17, v24
	s_mov_b32 vcc_lo, s5
	s_delay_alu instid0(VALU_DEP_3) | instskip(SKIP_3) | instid1(VALU_DEP_3)
	v_fma_f32 v14, -v19, v28, v21
	v_div_fmas_f32 v12, v12, v18, v25
	s_mov_b32 vcc_lo, s7
	v_div_fixup_f32 v9, v11, v9, s16
	v_div_fmas_f32 v11, v14, v22, v28
	s_mov_b32 vcc_lo, s6
	v_div_fixup_f32 v10, v12, v10, s16
	v_div_fmas_f32 v13, v13, v20, v23
	v_bfe_u32 v12, v9, 16, 1
	v_div_fixup_f32 v5, v11, v5, s16
	v_cmp_o_f32_e32 vcc_lo, v9, v9
	v_bfe_u32 v11, v10, 16, 1
	v_div_fixup_f32 v6, v13, v6, s16
	v_add3_u32 v12, v9, v12, 0x7fff
	v_bfe_u32 v13, v5, 16, 1
	v_cmp_o_f32_e64 s5, v10, v10
	v_add3_u32 v11, v10, v11, 0x7fff
	v_bfe_u32 v14, v6, 16, 1
	v_lshrrev_b32_e32 v12, 16, v12
	v_add3_u32 v13, v5, v13, 0x7fff
	s_delay_alu instid0(VALU_DEP_4) | instskip(NEXT) | instid1(VALU_DEP_4)
	v_and_b32_e32 v11, 0xffff0000, v11
	v_add3_u32 v9, v6, v14, 0x7fff
	s_delay_alu instid0(VALU_DEP_4) | instskip(NEXT) | instid1(VALU_DEP_4)
	v_cndmask_b32_e32 v12, 0x7fc0, v12, vcc_lo
	v_lshrrev_b32_e32 v10, 16, v13
	v_cmp_o_f32_e32 vcc_lo, v5, v5
	v_cndmask_b32_e64 v11, 0x7fc00000, v11, s5
	v_and_b32_e32 v9, 0xffff0000, v9
	v_cmp_o_f32_e64 s5, v6, v6
	v_cndmask_b32_e32 v5, 0x7fc0, v10, vcc_lo
	v_add_co_ci_u32_e64 v2, vcc_lo, 0, v2, s4
	s_delay_alu instid0(VALU_DEP_3) | instskip(SKIP_1) | instid1(VALU_DEP_2)
	v_cndmask_b32_e64 v6, 0x7fc00000, v9, s5
	v_or_b32_e32 v9, v12, v11
	v_or3_b32 v6, 0, v5, v6
	s_delay_alu instid0(VALU_DEP_2)
	v_or3_b32 v5, v9, 0, 0
	global_store_b64 v[7:8], v[5:6], off
	s_and_not1_b32 exec_lo, exec_lo, s18
	s_cbranch_execnz .LBB279_3
.LBB279_4:
	s_or_b32 exec_lo, exec_lo, s17
	s_mov_b32 s2, 0
.LBB279_5:
	s_delay_alu instid0(SALU_CYCLE_1)
	s_and_not1_b32 vcc_lo, exec_lo, s2
	s_cbranch_vccnz .LBB279_25
; %bb.6:
	v_cmp_lt_i64_e64 s2, s[10:11], 1
	s_delay_alu instid0(VALU_DEP_1)
	s_and_b32 vcc_lo, exec_lo, s2
	s_cbranch_vccnz .LBB279_25
; %bb.7:
	s_load_b32 s0, s[0:1], 0xc5c
	v_dual_mov_b32 v10, 0 :: v_dual_lshlrev_b32 v9, 1, v0
	v_cmp_gt_u64_e64 s1, 0x10000, s[10:11]
	s_mov_b64 s[6:7], 0
	s_delay_alu instid0(VALU_DEP_2) | instskip(NEXT) | instid1(VALU_DEP_1)
	v_add_co_u32 v1, s2, s12, v9
	v_add_co_ci_u32_e64 v2, null, s13, 0, s2
	v_add_co_u32 v3, s2, s14, v9
	s_delay_alu instid0(VALU_DEP_1)
	v_add_co_ci_u32_e64 v4, null, s15, 0, s2
	s_waitcnt lgkmcnt(0)
	s_and_b32 s0, s0, 0xffff
	s_and_b32 s1, s1, exec_lo
	v_mad_u64_u32 v[7:8], null, s0, 6, v[9:10]
	s_cselect_b32 s5, s11, 0
	s_cselect_b32 s4, s10, 0x10000
	s_mul_i32 s2, s0, 3
	s_lshl_b32 s17, s0, 2
	s_lshl_b32 s1, s0, 1
	v_add_co_u32 v14, s3, s17, v9
	v_add_co_u32 v9, s2, s2, v0
	s_delay_alu instid0(VALU_DEP_1) | instskip(SKIP_3) | instid1(VALU_DEP_3)
	v_add_co_ci_u32_e64 v10, null, 0, 0, s2
	v_add_co_u32 v13, s2, v0, s0
	v_add_co_u32 v5, vcc_lo, s12, v7
	v_add_co_ci_u32_e32 v6, vcc_lo, s13, v8, vcc_lo
	v_lshlrev_b32_e32 v21, 1, v13
	v_add_co_u32 v7, vcc_lo, s14, v7
	v_add_co_ci_u32_e64 v15, null, 0, 0, s3
	v_add_co_ci_u32_e32 v8, vcc_lo, s15, v8, vcc_lo
	v_add_co_u32 v17, s1, s1, v0
	v_add_co_u32 v11, vcc_lo, s12, v14
	v_add_co_ci_u32_e64 v18, null, 0, 0, s1
	v_add_co_u32 v19, s1, s12, v21
	v_add_co_ci_u32_e32 v12, vcc_lo, s13, v15, vcc_lo
	v_add_co_u32 v14, vcc_lo, s14, v14
	v_add_co_ci_u32_e64 v20, null, s13, 0, s1
	v_add_co_u32 v21, s1, s14, v21
	v_add_co_ci_u32_e32 v15, vcc_lo, s15, v15, vcc_lo
	v_add_co_ci_u32_e64 v16, null, 0, 0, s2
	v_add_co_ci_u32_e64 v22, null, s15, 0, s1
	s_lshl_b32 s12, s0, 3
	s_branch .LBB279_9
.LBB279_8:                              ;   in Loop: Header=BB279_9 Depth=1
	s_or_b32 exec_lo, exec_lo, s1
	v_add_co_u32 v1, vcc_lo, v1, s12
	v_add_co_ci_u32_e32 v2, vcc_lo, 0, v2, vcc_lo
	v_add_co_u32 v3, vcc_lo, v3, s12
	v_add_co_ci_u32_e32 v4, vcc_lo, 0, v4, vcc_lo
	;; [unrolled: 2-line block ×5, first 2 shown]
	s_add_u32 s6, s6, s17
	v_add_co_u32 v14, vcc_lo, v14, s12
	s_addc_u32 s7, s7, 0
	v_add_co_ci_u32_e32 v15, vcc_lo, 0, v15, vcc_lo
	v_cmp_ge_i64_e64 s0, s[6:7], s[10:11]
	v_cmp_lt_u64_e64 s1, 0xffff, s[6:7]
	v_add_co_u32 v19, vcc_lo, v19, s12
	v_add_co_ci_u32_e32 v20, vcc_lo, 0, v20, vcc_lo
	v_add_co_u32 v21, vcc_lo, v21, s12
	v_add_co_ci_u32_e32 v22, vcc_lo, 0, v22, vcc_lo
	s_or_b32 s0, s0, s1
	s_delay_alu instid0(SALU_CYCLE_1)
	s_and_b32 vcc_lo, exec_lo, s0
	s_cbranch_vccnz .LBB279_25
.LBB279_9:                              ; =>This Inner Loop Header: Depth=1
	s_waitcnt vmcnt(0)
	v_add_co_u32 v23, s0, v0, s6
	s_delay_alu instid0(VALU_DEP_1) | instskip(SKIP_1) | instid1(VALU_DEP_2)
	v_add_co_ci_u32_e64 v24, null, 0, s7, s0
	v_mov_b32_e32 v26, 0
	v_cmp_gt_u64_e32 vcc_lo, s[4:5], v[23:24]
	s_and_saveexec_b32 s1, vcc_lo
	s_cbranch_execz .LBB279_11
; %bb.10:                               ;   in Loop: Header=BB279_9 Depth=1
	v_add_co_u32 v23, s0, v1, s8
	s_delay_alu instid0(VALU_DEP_1)
	v_add_co_ci_u32_e64 v24, s0, s9, v2, s0
	global_load_u16 v26, v[23:24], off
.LBB279_11:                             ;   in Loop: Header=BB279_9 Depth=1
	s_or_b32 exec_lo, exec_lo, s1
	v_add_co_u32 v23, s0, v13, s6
	s_delay_alu instid0(VALU_DEP_1) | instskip(SKIP_1) | instid1(VALU_DEP_2)
	v_add_co_ci_u32_e64 v24, s0, s7, v16, s0
	v_mov_b32_e32 v25, 0
	v_cmp_gt_u64_e64 s2, s[4:5], v[23:24]
	s_delay_alu instid0(VALU_DEP_1)
	s_and_saveexec_b32 s1, s2
	s_cbranch_execz .LBB279_13
; %bb.12:                               ;   in Loop: Header=BB279_9 Depth=1
	v_add_co_u32 v23, s0, v19, s8
	s_delay_alu instid0(VALU_DEP_1)
	v_add_co_ci_u32_e64 v24, s0, s9, v20, s0
	global_load_u16 v25, v[23:24], off
.LBB279_13:                             ;   in Loop: Header=BB279_9 Depth=1
	s_or_b32 exec_lo, exec_lo, s1
	v_add_co_u32 v23, s0, v17, s6
	s_delay_alu instid0(VALU_DEP_1) | instskip(NEXT) | instid1(VALU_DEP_1)
	v_add_co_ci_u32_e64 v24, s0, s7, v18, s0
	v_cmp_gt_u64_e64 s1, s[4:5], v[23:24]
	v_dual_mov_b32 v23, 0 :: v_dual_mov_b32 v24, 0
	s_delay_alu instid0(VALU_DEP_2)
	s_and_saveexec_b32 s3, s1
	s_cbranch_execz .LBB279_15
; %bb.14:                               ;   in Loop: Header=BB279_9 Depth=1
	v_add_co_u32 v27, s0, v11, s8
	s_delay_alu instid0(VALU_DEP_1)
	v_add_co_ci_u32_e64 v28, s0, s9, v12, s0
	global_load_u16 v24, v[27:28], off
.LBB279_15:                             ;   in Loop: Header=BB279_9 Depth=1
	s_or_b32 exec_lo, exec_lo, s3
	v_add_co_u32 v27, s0, v9, s6
	s_delay_alu instid0(VALU_DEP_1) | instskip(NEXT) | instid1(VALU_DEP_1)
	v_add_co_ci_u32_e64 v28, s0, s7, v10, s0
	v_cmp_gt_u64_e64 s0, s[4:5], v[27:28]
	s_delay_alu instid0(VALU_DEP_1)
	s_and_saveexec_b32 s13, s0
	s_cbranch_execnz .LBB279_20
; %bb.16:                               ;   in Loop: Header=BB279_9 Depth=1
	s_or_b32 exec_lo, exec_lo, s13
	s_and_saveexec_b32 s3, vcc_lo
	s_cbranch_execnz .LBB279_21
.LBB279_17:                             ;   in Loop: Header=BB279_9 Depth=1
	s_or_b32 exec_lo, exec_lo, s3
	s_and_saveexec_b32 s3, s2
	s_cbranch_execnz .LBB279_22
.LBB279_18:                             ;   in Loop: Header=BB279_9 Depth=1
	s_or_b32 exec_lo, exec_lo, s3
	s_and_saveexec_b32 s2, s1
	s_cbranch_execnz .LBB279_23
.LBB279_19:                             ;   in Loop: Header=BB279_9 Depth=1
	s_or_b32 exec_lo, exec_lo, s2
	s_and_saveexec_b32 s1, s0
	s_cbranch_execz .LBB279_8
	s_branch .LBB279_24
.LBB279_20:                             ;   in Loop: Header=BB279_9 Depth=1
	v_add_co_u32 v27, s3, v5, s8
	s_delay_alu instid0(VALU_DEP_1)
	v_add_co_ci_u32_e64 v28, s3, s9, v6, s3
	global_load_u16 v23, v[27:28], off
	s_or_b32 exec_lo, exec_lo, s13
	s_and_saveexec_b32 s3, vcc_lo
	s_cbranch_execz .LBB279_17
.LBB279_21:                             ;   in Loop: Header=BB279_9 Depth=1
	s_waitcnt vmcnt(0)
	v_lshlrev_b32_e32 v26, 16, v26
	s_delay_alu instid0(VALU_DEP_1) | instskip(SKIP_1) | instid1(VALU_DEP_2)
	v_div_scale_f32 v27, null, v26, v26, s16
	v_div_scale_f32 v30, vcc_lo, s16, v26, s16
	v_rcp_f32_e32 v28, v27
	s_waitcnt_depctr 0xfff
	v_fma_f32 v29, -v27, v28, 1.0
	s_delay_alu instid0(VALU_DEP_1) | instskip(NEXT) | instid1(VALU_DEP_1)
	v_fmac_f32_e32 v28, v29, v28
	v_mul_f32_e32 v29, v30, v28
	s_delay_alu instid0(VALU_DEP_1) | instskip(NEXT) | instid1(VALU_DEP_1)
	v_fma_f32 v31, -v27, v29, v30
	v_fmac_f32_e32 v29, v31, v28
	s_delay_alu instid0(VALU_DEP_1) | instskip(NEXT) | instid1(VALU_DEP_1)
	v_fma_f32 v27, -v27, v29, v30
	v_div_fmas_f32 v27, v27, v28, v29
	s_delay_alu instid0(VALU_DEP_1) | instskip(NEXT) | instid1(VALU_DEP_1)
	v_div_fixup_f32 v26, v27, v26, s16
	v_bfe_u32 v27, v26, 16, 1
	v_cmp_o_f32_e32 vcc_lo, v26, v26
	s_delay_alu instid0(VALU_DEP_2) | instskip(NEXT) | instid1(VALU_DEP_1)
	v_add3_u32 v27, v26, v27, 0x7fff
	v_lshrrev_b32_e32 v27, 16, v27
	s_delay_alu instid0(VALU_DEP_1)
	v_cndmask_b32_e32 v28, 0x7fc0, v27, vcc_lo
	v_add_co_u32 v26, vcc_lo, v3, s8
	v_add_co_ci_u32_e32 v27, vcc_lo, s9, v4, vcc_lo
	global_store_b16 v[26:27], v28, off
	s_or_b32 exec_lo, exec_lo, s3
	s_and_saveexec_b32 s3, s2
	s_cbranch_execz .LBB279_18
.LBB279_22:                             ;   in Loop: Header=BB279_9 Depth=1
	s_waitcnt vmcnt(0)
	v_lshlrev_b32_e32 v25, 16, v25
	s_delay_alu instid0(VALU_DEP_1) | instskip(SKIP_1) | instid1(VALU_DEP_2)
	v_div_scale_f32 v26, null, v25, v25, s16
	v_div_scale_f32 v29, vcc_lo, s16, v25, s16
	v_rcp_f32_e32 v27, v26
	s_waitcnt_depctr 0xfff
	v_fma_f32 v28, -v26, v27, 1.0
	s_delay_alu instid0(VALU_DEP_1) | instskip(NEXT) | instid1(VALU_DEP_1)
	v_fmac_f32_e32 v27, v28, v27
	v_mul_f32_e32 v28, v29, v27
	s_delay_alu instid0(VALU_DEP_1) | instskip(NEXT) | instid1(VALU_DEP_1)
	v_fma_f32 v30, -v26, v28, v29
	v_fmac_f32_e32 v28, v30, v27
	s_delay_alu instid0(VALU_DEP_1) | instskip(NEXT) | instid1(VALU_DEP_1)
	v_fma_f32 v26, -v26, v28, v29
	v_div_fmas_f32 v26, v26, v27, v28
	s_delay_alu instid0(VALU_DEP_1) | instskip(NEXT) | instid1(VALU_DEP_1)
	v_div_fixup_f32 v25, v26, v25, s16
	v_bfe_u32 v26, v25, 16, 1
	v_cmp_o_f32_e32 vcc_lo, v25, v25
	s_delay_alu instid0(VALU_DEP_2) | instskip(NEXT) | instid1(VALU_DEP_1)
	v_add3_u32 v26, v25, v26, 0x7fff
	v_lshrrev_b32_e32 v26, 16, v26
	s_delay_alu instid0(VALU_DEP_1)
	v_cndmask_b32_e32 v27, 0x7fc0, v26, vcc_lo
	v_add_co_u32 v25, vcc_lo, v21, s8
	v_add_co_ci_u32_e32 v26, vcc_lo, s9, v22, vcc_lo
	global_store_b16 v[25:26], v27, off
	s_or_b32 exec_lo, exec_lo, s3
	s_and_saveexec_b32 s2, s1
	s_cbranch_execz .LBB279_19
.LBB279_23:                             ;   in Loop: Header=BB279_9 Depth=1
	s_waitcnt vmcnt(0)
	v_lshlrev_b32_e32 v24, 16, v24
	s_delay_alu instid0(VALU_DEP_1) | instskip(SKIP_1) | instid1(VALU_DEP_2)
	v_div_scale_f32 v25, null, v24, v24, s16
	v_div_scale_f32 v28, vcc_lo, s16, v24, s16
	v_rcp_f32_e32 v26, v25
	s_waitcnt_depctr 0xfff
	v_fma_f32 v27, -v25, v26, 1.0
	s_delay_alu instid0(VALU_DEP_1) | instskip(NEXT) | instid1(VALU_DEP_1)
	v_fmac_f32_e32 v26, v27, v26
	v_mul_f32_e32 v27, v28, v26
	s_delay_alu instid0(VALU_DEP_1) | instskip(NEXT) | instid1(VALU_DEP_1)
	v_fma_f32 v29, -v25, v27, v28
	v_fmac_f32_e32 v27, v29, v26
	s_delay_alu instid0(VALU_DEP_1) | instskip(NEXT) | instid1(VALU_DEP_1)
	v_fma_f32 v25, -v25, v27, v28
	v_div_fmas_f32 v25, v25, v26, v27
	s_delay_alu instid0(VALU_DEP_1) | instskip(NEXT) | instid1(VALU_DEP_1)
	v_div_fixup_f32 v24, v25, v24, s16
	v_bfe_u32 v25, v24, 16, 1
	v_cmp_o_f32_e32 vcc_lo, v24, v24
	s_delay_alu instid0(VALU_DEP_2) | instskip(NEXT) | instid1(VALU_DEP_1)
	v_add3_u32 v25, v24, v25, 0x7fff
	v_lshrrev_b32_e32 v25, 16, v25
	s_delay_alu instid0(VALU_DEP_1)
	v_cndmask_b32_e32 v26, 0x7fc0, v25, vcc_lo
	v_add_co_u32 v24, vcc_lo, v14, s8
	v_add_co_ci_u32_e32 v25, vcc_lo, s9, v15, vcc_lo
	global_store_b16 v[24:25], v26, off
	s_or_b32 exec_lo, exec_lo, s2
	s_and_saveexec_b32 s1, s0
	s_cbranch_execz .LBB279_8
.LBB279_24:                             ;   in Loop: Header=BB279_9 Depth=1
	s_waitcnt vmcnt(0)
	v_lshlrev_b32_e32 v23, 16, v23
	s_delay_alu instid0(VALU_DEP_1) | instskip(SKIP_1) | instid1(VALU_DEP_2)
	v_div_scale_f32 v24, null, v23, v23, s16
	v_div_scale_f32 v27, vcc_lo, s16, v23, s16
	v_rcp_f32_e32 v25, v24
	s_waitcnt_depctr 0xfff
	v_fma_f32 v26, -v24, v25, 1.0
	s_delay_alu instid0(VALU_DEP_1) | instskip(NEXT) | instid1(VALU_DEP_1)
	v_fmac_f32_e32 v25, v26, v25
	v_mul_f32_e32 v26, v27, v25
	s_delay_alu instid0(VALU_DEP_1) | instskip(NEXT) | instid1(VALU_DEP_1)
	v_fma_f32 v28, -v24, v26, v27
	v_fmac_f32_e32 v26, v28, v25
	s_delay_alu instid0(VALU_DEP_1) | instskip(NEXT) | instid1(VALU_DEP_1)
	v_fma_f32 v24, -v24, v26, v27
	v_div_fmas_f32 v24, v24, v25, v26
	s_delay_alu instid0(VALU_DEP_1) | instskip(NEXT) | instid1(VALU_DEP_1)
	v_div_fixup_f32 v23, v24, v23, s16
	v_bfe_u32 v24, v23, 16, 1
	v_cmp_o_f32_e32 vcc_lo, v23, v23
	s_delay_alu instid0(VALU_DEP_2) | instskip(NEXT) | instid1(VALU_DEP_1)
	v_add3_u32 v24, v23, v24, 0x7fff
	v_lshrrev_b32_e32 v24, 16, v24
	s_delay_alu instid0(VALU_DEP_1)
	v_cndmask_b32_e32 v25, 0x7fc0, v24, vcc_lo
	v_add_co_u32 v23, vcc_lo, v7, s8
	v_add_co_ci_u32_e32 v24, vcc_lo, s9, v8, vcc_lo
	global_store_b16 v[23:24], v25, off
	s_branch .LBB279_8
.LBB279_25:
	s_nop 0
	s_sendmsg sendmsg(MSG_DEALLOC_VGPRS)
	s_endpgm
	.section	.rodata,"a",@progbits
	.p2align	6, 0x0
	.amdhsa_kernel _ZN2at6native12_GLOBAL__N_125multi_tensor_apply_kernelINS1_18TensorListMetadataILi2EEENS1_14UnaryOpFunctorIN3c108BFloat16ELi2ELi1ELi1EEEJNS0_10ReciprocalIfEEEEEvT_T0_DpT1_
		.amdhsa_group_segment_fixed_size 0
		.amdhsa_private_segment_fixed_size 0
		.amdhsa_kernarg_size 3408
		.amdhsa_user_sgpr_count 15
		.amdhsa_user_sgpr_dispatch_ptr 0
		.amdhsa_user_sgpr_queue_ptr 0
		.amdhsa_user_sgpr_kernarg_segment_ptr 1
		.amdhsa_user_sgpr_dispatch_id 0
		.amdhsa_user_sgpr_private_segment_size 0
		.amdhsa_wavefront_size32 1
		.amdhsa_uses_dynamic_stack 0
		.amdhsa_enable_private_segment 0
		.amdhsa_system_sgpr_workgroup_id_x 1
		.amdhsa_system_sgpr_workgroup_id_y 0
		.amdhsa_system_sgpr_workgroup_id_z 0
		.amdhsa_system_sgpr_workgroup_info 0
		.amdhsa_system_vgpr_workitem_id 0
		.amdhsa_next_free_vgpr 32
		.amdhsa_next_free_sgpr 21
		.amdhsa_reserve_vcc 1
		.amdhsa_float_round_mode_32 0
		.amdhsa_float_round_mode_16_64 0
		.amdhsa_float_denorm_mode_32 3
		.amdhsa_float_denorm_mode_16_64 3
		.amdhsa_dx10_clamp 1
		.amdhsa_ieee_mode 1
		.amdhsa_fp16_overflow 0
		.amdhsa_workgroup_processor_mode 1
		.amdhsa_memory_ordered 1
		.amdhsa_forward_progress 0
		.amdhsa_shared_vgpr_count 0
		.amdhsa_exception_fp_ieee_invalid_op 0
		.amdhsa_exception_fp_denorm_src 0
		.amdhsa_exception_fp_ieee_div_zero 0
		.amdhsa_exception_fp_ieee_overflow 0
		.amdhsa_exception_fp_ieee_underflow 0
		.amdhsa_exception_fp_ieee_inexact 0
		.amdhsa_exception_int_div_zero 0
	.end_amdhsa_kernel
	.section	.text._ZN2at6native12_GLOBAL__N_125multi_tensor_apply_kernelINS1_18TensorListMetadataILi2EEENS1_14UnaryOpFunctorIN3c108BFloat16ELi2ELi1ELi1EEEJNS0_10ReciprocalIfEEEEEvT_T0_DpT1_,"axG",@progbits,_ZN2at6native12_GLOBAL__N_125multi_tensor_apply_kernelINS1_18TensorListMetadataILi2EEENS1_14UnaryOpFunctorIN3c108BFloat16ELi2ELi1ELi1EEEJNS0_10ReciprocalIfEEEEEvT_T0_DpT1_,comdat
.Lfunc_end279:
	.size	_ZN2at6native12_GLOBAL__N_125multi_tensor_apply_kernelINS1_18TensorListMetadataILi2EEENS1_14UnaryOpFunctorIN3c108BFloat16ELi2ELi1ELi1EEEJNS0_10ReciprocalIfEEEEEvT_T0_DpT1_, .Lfunc_end279-_ZN2at6native12_GLOBAL__N_125multi_tensor_apply_kernelINS1_18TensorListMetadataILi2EEENS1_14UnaryOpFunctorIN3c108BFloat16ELi2ELi1ELi1EEEJNS0_10ReciprocalIfEEEEEvT_T0_DpT1_
                                        ; -- End function
	.section	.AMDGPU.csdata,"",@progbits
; Kernel info:
; codeLenInByte = 2540
; NumSgprs: 23
; NumVgprs: 32
; ScratchSize: 0
; MemoryBound: 0
; FloatMode: 240
; IeeeMode: 1
; LDSByteSize: 0 bytes/workgroup (compile time only)
; SGPRBlocks: 2
; VGPRBlocks: 3
; NumSGPRsForWavesPerEU: 23
; NumVGPRsForWavesPerEU: 32
; Occupancy: 16
; WaveLimiterHint : 0
; COMPUTE_PGM_RSRC2:SCRATCH_EN: 0
; COMPUTE_PGM_RSRC2:USER_SGPR: 15
; COMPUTE_PGM_RSRC2:TRAP_HANDLER: 0
; COMPUTE_PGM_RSRC2:TGID_X_EN: 1
; COMPUTE_PGM_RSRC2:TGID_Y_EN: 0
; COMPUTE_PGM_RSRC2:TGID_Z_EN: 0
; COMPUTE_PGM_RSRC2:TIDIG_COMP_CNT: 0
	.section	.text._ZN2at6native12_GLOBAL__N_125multi_tensor_apply_kernelINS1_18TensorListMetadataILi1EEENS1_14UnaryOpFunctorIdLi1ELi1ELi0EEEJNS0_10ReciprocalIdEEEEEvT_T0_DpT1_,"axG",@progbits,_ZN2at6native12_GLOBAL__N_125multi_tensor_apply_kernelINS1_18TensorListMetadataILi1EEENS1_14UnaryOpFunctorIdLi1ELi1ELi0EEEJNS0_10ReciprocalIdEEEEEvT_T0_DpT1_,comdat
	.globl	_ZN2at6native12_GLOBAL__N_125multi_tensor_apply_kernelINS1_18TensorListMetadataILi1EEENS1_14UnaryOpFunctorIdLi1ELi1ELi0EEEJNS0_10ReciprocalIdEEEEEvT_T0_DpT1_ ; -- Begin function _ZN2at6native12_GLOBAL__N_125multi_tensor_apply_kernelINS1_18TensorListMetadataILi1EEENS1_14UnaryOpFunctorIdLi1ELi1ELi0EEEJNS0_10ReciprocalIdEEEEEvT_T0_DpT1_
	.p2align	8
	.type	_ZN2at6native12_GLOBAL__N_125multi_tensor_apply_kernelINS1_18TensorListMetadataILi1EEENS1_14UnaryOpFunctorIdLi1ELi1ELi0EEEJNS0_10ReciprocalIdEEEEEvT_T0_DpT1_,@function
_ZN2at6native12_GLOBAL__N_125multi_tensor_apply_kernelINS1_18TensorListMetadataILi1EEENS1_14UnaryOpFunctorIdLi1ELi1ELi0EEEJNS0_10ReciprocalIdEEEEEvT_T0_DpT1_: ; @_ZN2at6native12_GLOBAL__N_125multi_tensor_apply_kernelINS1_18TensorListMetadataILi1EEENS1_14UnaryOpFunctorIdLi1ELi1ELi0EEEJNS0_10ReciprocalIdEEEEEvT_T0_DpT1_
; %bb.0:
	v_mov_b32_e32 v1, s15
	s_add_u32 s2, s0, s15
	s_mul_hi_u32 s3, s15, 3
	s_mul_i32 s15, s15, 3
	s_addc_u32 s4, s1, 0
	global_load_u8 v1, v1, s[0:1] offset:1760
	s_add_u32 s2, s2, s15
	s_addc_u32 s3, s4, s3
	s_mov_b32 s15, 0
	s_load_b32 s2, s[2:3], 0x820
	s_waitcnt vmcnt(0)
	v_readfirstlane_b32 s5, v1
	s_delay_alu instid0(VALU_DEP_1)
	s_lshl_b32 s3, s5, 3
	s_clause 0x2
	s_load_b64 s[10:11], s[0:1], s3 offset:0x0
	s_load_b64 s[4:5], s[0:1], s3 offset:0x370
	s_load_b64 s[6:7], s[0:1], 0xd30
	s_waitcnt lgkmcnt(0)
	s_ashr_i32 s3, s2, 31
	s_delay_alu instid0(SALU_CYCLE_1)
	s_lshl_b64 s[12:13], s[2:3], 19
	s_lshl_b64 s[2:3], s[2:3], 16
	s_and_b32 s14, s10, 31
	s_sub_u32 s8, s4, s2
	s_subb_u32 s9, s5, s3
	s_and_b32 s2, s4, 3
	s_mov_b32 s3, s15
	s_delay_alu instid0(SALU_CYCLE_1) | instskip(NEXT) | instid1(SALU_CYCLE_1)
	s_or_b64 s[2:3], s[14:15], s[2:3]
	s_cmp_eq_u64 s[2:3], 0
	s_cbranch_scc1 .LBB280_21
; %bb.1:
	v_cmp_lt_i64_e64 s2, s[8:9], 1
	s_delay_alu instid0(VALU_DEP_1)
	s_and_b32 vcc_lo, exec_lo, s2
	s_cbranch_vccnz .LBB280_20
; %bb.2:
	s_load_b32 s2, s[0:1], 0xd44
	v_cmp_gt_u64_e64 s3, 0x10000, s[8:9]
	v_lshlrev_b32_e32 v1, 3, v0
	s_waitcnt lgkmcnt(0)
	s_and_b32 s2, s2, 0xffff
	s_delay_alu instid0(VALU_DEP_2)
	s_and_b32 s3, s3, exec_lo
	v_add_co_u32 v13, s5, v0, s2
	s_cselect_b32 s15, s9, 0
	s_cselect_b32 s14, s8, 0x10000
	s_lshl_b32 s3, s2, 1
	s_lshl_b32 s18, s2, 2
	v_lshlrev_b32_e32 v3, 3, v13
	v_add_co_ci_u32_e64 v14, null, 0, 0, s5
	s_add_u32 s5, s10, s12
	v_add_co_u32 v17, s3, s3, v0
	s_mul_i32 s4, s2, 3
	s_addc_u32 s16, s11, s13
	v_add_co_ci_u32_e64 v18, null, 0, 0, s3
	v_add_co_u32 v1, s3, s5, v1
	v_add_co_u32 v15, s4, s4, v0
	v_add_co_ci_u32_e64 v2, null, s16, 0, s3
	v_add_co_u32 v3, s3, s5, v3
	v_add_co_ci_u32_e64 v16, null, 0, 0, s4
	v_add_co_ci_u32_e64 v4, null, s16, 0, s3
	s_lshl_b32 s19, s2, 5
	s_mul_i32 s20, s2, 24
	s_lshl_b32 s21, s2, 4
	s_mov_b64 s[16:17], 0
	s_branch .LBB280_4
.LBB280_3:                              ;   in Loop: Header=BB280_4 Depth=1
	s_or_b32 exec_lo, exec_lo, s3
	s_add_u32 s16, s16, s18
	s_addc_u32 s17, s17, 0
	v_add_co_u32 v1, vcc_lo, v1, s19
	v_cmp_lt_i64_e64 s2, s[16:17], s[8:9]
	v_cmp_gt_u64_e64 s3, 0x10000, s[16:17]
	v_add_co_ci_u32_e32 v2, vcc_lo, 0, v2, vcc_lo
	v_add_co_u32 v3, vcc_lo, v3, s19
	v_add_co_ci_u32_e32 v4, vcc_lo, 0, v4, vcc_lo
	s_delay_alu instid0(VALU_DEP_4) | instskip(NEXT) | instid1(SALU_CYCLE_1)
	s_and_b32 s2, s2, s3
	s_and_b32 vcc_lo, exec_lo, s2
	s_cbranch_vccz .LBB280_20
.LBB280_4:                              ; =>This Inner Loop Header: Depth=1
	s_waitcnt vmcnt(0)
	v_add_co_u32 v5, s2, v0, s16
	s_delay_alu instid0(VALU_DEP_1) | instskip(SKIP_2) | instid1(VALU_DEP_3)
	v_add_co_ci_u32_e64 v6, null, 0, s17, s2
	v_mov_b32_e32 v7, 0
	v_mov_b32_e32 v8, 0
	v_cmp_gt_u64_e32 vcc_lo, s[14:15], v[5:6]
	s_delay_alu instid0(VALU_DEP_2)
	v_dual_mov_b32 v12, v8 :: v_dual_mov_b32 v11, v7
	s_and_saveexec_b32 s2, vcc_lo
	s_cbranch_execz .LBB280_6
; %bb.5:                                ;   in Loop: Header=BB280_4 Depth=1
	global_load_b64 v[11:12], v[1:2], off
.LBB280_6:                              ;   in Loop: Header=BB280_4 Depth=1
	s_or_b32 exec_lo, exec_lo, s2
	v_add_co_u32 v5, s2, v13, s16
	s_delay_alu instid0(VALU_DEP_1) | instskip(NEXT) | instid1(VALU_DEP_1)
	v_add_co_ci_u32_e64 v6, s2, s17, v14, s2
	v_cmp_gt_u64_e64 s4, s[14:15], v[5:6]
	s_delay_alu instid0(VALU_DEP_1)
	s_and_saveexec_b32 s2, s4
	s_cbranch_execz .LBB280_8
; %bb.7:                                ;   in Loop: Header=BB280_4 Depth=1
	global_load_b64 v[7:8], v[3:4], off
.LBB280_8:                              ;   in Loop: Header=BB280_4 Depth=1
	s_or_b32 exec_lo, exec_lo, s2
	v_add_co_u32 v9, s2, v17, s16
	s_delay_alu instid0(VALU_DEP_1) | instskip(SKIP_2) | instid1(VALU_DEP_3)
	v_add_co_ci_u32_e64 v10, s2, s17, v18, s2
	v_mov_b32_e32 v5, 0
	v_mov_b32_e32 v6, 0
	v_cmp_gt_u64_e64 s3, s[14:15], v[9:10]
	s_delay_alu instid0(VALU_DEP_2) | instskip(NEXT) | instid1(VALU_DEP_2)
	v_dual_mov_b32 v10, v6 :: v_dual_mov_b32 v9, v5
	s_and_saveexec_b32 s5, s3
	s_cbranch_execz .LBB280_10
; %bb.9:                                ;   in Loop: Header=BB280_4 Depth=1
	v_add_co_u32 v9, s2, v1, s21
	s_delay_alu instid0(VALU_DEP_1)
	v_add_co_ci_u32_e64 v10, s2, 0, v2, s2
	global_load_b64 v[9:10], v[9:10], off
.LBB280_10:                             ;   in Loop: Header=BB280_4 Depth=1
	s_or_b32 exec_lo, exec_lo, s5
	v_add_co_u32 v19, s2, v15, s16
	s_delay_alu instid0(VALU_DEP_1) | instskip(NEXT) | instid1(VALU_DEP_1)
	v_add_co_ci_u32_e64 v20, s2, s17, v16, s2
	v_cmp_gt_u64_e64 s2, s[14:15], v[19:20]
	s_delay_alu instid0(VALU_DEP_1)
	s_and_saveexec_b32 s22, s2
	s_cbranch_execnz .LBB280_15
; %bb.11:                               ;   in Loop: Header=BB280_4 Depth=1
	s_or_b32 exec_lo, exec_lo, s22
	s_and_saveexec_b32 s5, vcc_lo
	s_cbranch_execnz .LBB280_16
.LBB280_12:                             ;   in Loop: Header=BB280_4 Depth=1
	s_or_b32 exec_lo, exec_lo, s5
	s_and_saveexec_b32 s5, s4
	s_cbranch_execnz .LBB280_17
.LBB280_13:                             ;   in Loop: Header=BB280_4 Depth=1
	s_or_b32 exec_lo, exec_lo, s5
	s_and_saveexec_b32 s4, s3
	s_cbranch_execnz .LBB280_18
.LBB280_14:                             ;   in Loop: Header=BB280_4 Depth=1
	s_or_b32 exec_lo, exec_lo, s4
	s_and_saveexec_b32 s3, s2
	s_cbranch_execz .LBB280_3
	s_branch .LBB280_19
.LBB280_15:                             ;   in Loop: Header=BB280_4 Depth=1
	v_add_co_u32 v5, s5, v1, s20
	s_delay_alu instid0(VALU_DEP_1)
	v_add_co_ci_u32_e64 v6, s5, 0, v2, s5
	global_load_b64 v[5:6], v[5:6], off
	s_or_b32 exec_lo, exec_lo, s22
	s_and_saveexec_b32 s5, vcc_lo
	s_cbranch_execz .LBB280_12
.LBB280_16:                             ;   in Loop: Header=BB280_4 Depth=1
	s_waitcnt vmcnt(0)
	v_div_scale_f64 v[19:20], null, v[11:12], v[11:12], s[6:7]
	s_delay_alu instid0(VALU_DEP_1) | instskip(SKIP_2) | instid1(VALU_DEP_1)
	v_rcp_f64_e32 v[21:22], v[19:20]
	s_waitcnt_depctr 0xfff
	v_fma_f64 v[23:24], -v[19:20], v[21:22], 1.0
	v_fma_f64 v[21:22], v[21:22], v[23:24], v[21:22]
	s_delay_alu instid0(VALU_DEP_1) | instskip(NEXT) | instid1(VALU_DEP_1)
	v_fma_f64 v[23:24], -v[19:20], v[21:22], 1.0
	v_fma_f64 v[21:22], v[21:22], v[23:24], v[21:22]
	v_div_scale_f64 v[23:24], vcc_lo, s[6:7], v[11:12], s[6:7]
	s_delay_alu instid0(VALU_DEP_1) | instskip(NEXT) | instid1(VALU_DEP_1)
	v_mul_f64 v[25:26], v[23:24], v[21:22]
	v_fma_f64 v[19:20], -v[19:20], v[25:26], v[23:24]
	s_delay_alu instid0(VALU_DEP_1) | instskip(NEXT) | instid1(VALU_DEP_1)
	v_div_fmas_f64 v[19:20], v[19:20], v[21:22], v[25:26]
	v_div_fixup_f64 v[11:12], v[19:20], v[11:12], s[6:7]
	global_store_b64 v[1:2], v[11:12], off
	s_or_b32 exec_lo, exec_lo, s5
	s_and_saveexec_b32 s5, s4
	s_cbranch_execz .LBB280_13
.LBB280_17:                             ;   in Loop: Header=BB280_4 Depth=1
	s_waitcnt vmcnt(0)
	v_div_scale_f64 v[11:12], null, v[7:8], v[7:8], s[6:7]
	s_delay_alu instid0(VALU_DEP_1) | instskip(SKIP_2) | instid1(VALU_DEP_1)
	v_rcp_f64_e32 v[19:20], v[11:12]
	s_waitcnt_depctr 0xfff
	v_fma_f64 v[21:22], -v[11:12], v[19:20], 1.0
	v_fma_f64 v[19:20], v[19:20], v[21:22], v[19:20]
	s_delay_alu instid0(VALU_DEP_1) | instskip(NEXT) | instid1(VALU_DEP_1)
	v_fma_f64 v[21:22], -v[11:12], v[19:20], 1.0
	v_fma_f64 v[19:20], v[19:20], v[21:22], v[19:20]
	v_div_scale_f64 v[21:22], vcc_lo, s[6:7], v[7:8], s[6:7]
	s_delay_alu instid0(VALU_DEP_1) | instskip(NEXT) | instid1(VALU_DEP_1)
	v_mul_f64 v[23:24], v[21:22], v[19:20]
	v_fma_f64 v[11:12], -v[11:12], v[23:24], v[21:22]
	s_delay_alu instid0(VALU_DEP_1) | instskip(NEXT) | instid1(VALU_DEP_1)
	v_div_fmas_f64 v[11:12], v[11:12], v[19:20], v[23:24]
	v_div_fixup_f64 v[7:8], v[11:12], v[7:8], s[6:7]
	global_store_b64 v[3:4], v[7:8], off
	s_or_b32 exec_lo, exec_lo, s5
	s_and_saveexec_b32 s4, s3
	s_cbranch_execz .LBB280_14
.LBB280_18:                             ;   in Loop: Header=BB280_4 Depth=1
	s_waitcnt vmcnt(0)
	v_div_scale_f64 v[7:8], null, v[9:10], v[9:10], s[6:7]
	s_delay_alu instid0(VALU_DEP_1) | instskip(SKIP_2) | instid1(VALU_DEP_1)
	v_rcp_f64_e32 v[11:12], v[7:8]
	s_waitcnt_depctr 0xfff
	v_fma_f64 v[19:20], -v[7:8], v[11:12], 1.0
	v_fma_f64 v[11:12], v[11:12], v[19:20], v[11:12]
	s_delay_alu instid0(VALU_DEP_1) | instskip(NEXT) | instid1(VALU_DEP_1)
	v_fma_f64 v[19:20], -v[7:8], v[11:12], 1.0
	v_fma_f64 v[11:12], v[11:12], v[19:20], v[11:12]
	v_div_scale_f64 v[19:20], vcc_lo, s[6:7], v[9:10], s[6:7]
	s_delay_alu instid0(VALU_DEP_1) | instskip(NEXT) | instid1(VALU_DEP_1)
	v_mul_f64 v[21:22], v[19:20], v[11:12]
	v_fma_f64 v[7:8], -v[7:8], v[21:22], v[19:20]
	s_delay_alu instid0(VALU_DEP_1) | instskip(NEXT) | instid1(VALU_DEP_1)
	v_div_fmas_f64 v[7:8], v[7:8], v[11:12], v[21:22]
	v_div_fixup_f64 v[7:8], v[7:8], v[9:10], s[6:7]
	v_add_co_u32 v9, vcc_lo, v1, s21
	v_add_co_ci_u32_e32 v10, vcc_lo, 0, v2, vcc_lo
	global_store_b64 v[9:10], v[7:8], off
	s_or_b32 exec_lo, exec_lo, s4
	s_and_saveexec_b32 s3, s2
	s_cbranch_execz .LBB280_3
.LBB280_19:                             ;   in Loop: Header=BB280_4 Depth=1
	s_waitcnt vmcnt(0)
	v_div_scale_f64 v[7:8], null, v[5:6], v[5:6], s[6:7]
	s_delay_alu instid0(VALU_DEP_1) | instskip(SKIP_2) | instid1(VALU_DEP_1)
	v_rcp_f64_e32 v[9:10], v[7:8]
	s_waitcnt_depctr 0xfff
	v_fma_f64 v[11:12], -v[7:8], v[9:10], 1.0
	v_fma_f64 v[9:10], v[9:10], v[11:12], v[9:10]
	s_delay_alu instid0(VALU_DEP_1) | instskip(NEXT) | instid1(VALU_DEP_1)
	v_fma_f64 v[11:12], -v[7:8], v[9:10], 1.0
	v_fma_f64 v[9:10], v[9:10], v[11:12], v[9:10]
	v_div_scale_f64 v[11:12], vcc_lo, s[6:7], v[5:6], s[6:7]
	s_delay_alu instid0(VALU_DEP_1) | instskip(NEXT) | instid1(VALU_DEP_1)
	v_mul_f64 v[19:20], v[11:12], v[9:10]
	v_fma_f64 v[7:8], -v[7:8], v[19:20], v[11:12]
	s_delay_alu instid0(VALU_DEP_1) | instskip(NEXT) | instid1(VALU_DEP_1)
	v_div_fmas_f64 v[7:8], v[7:8], v[9:10], v[19:20]
	v_div_fixup_f64 v[5:6], v[7:8], v[5:6], s[6:7]
	v_add_co_u32 v7, vcc_lo, v1, s20
	v_add_co_ci_u32_e32 v8, vcc_lo, 0, v2, vcc_lo
	global_store_b64 v[7:8], v[5:6], off
	s_branch .LBB280_3
.LBB280_20:
	s_cbranch_execz .LBB280_22
	s_branch .LBB280_25
.LBB280_21:
.LBB280_22:
	v_dual_mov_b32 v2, 0 :: v_dual_lshlrev_b32 v1, 2, v0
	s_mov_b32 s3, 0
	s_mov_b32 s2, exec_lo
	s_delay_alu instid0(VALU_DEP_1)
	v_cmpx_gt_i64_e64 s[8:9], v[1:2]
	s_cbranch_execz .LBB280_25
; %bb.23:
	s_load_b32 s0, s[0:1], 0xd44
	v_lshlrev_b32_e32 v1, 5, v0
	s_waitcnt lgkmcnt(0)
	s_and_b32 s0, s0, 0xffff
	s_delay_alu instid0(SALU_CYCLE_1) | instskip(SKIP_3) | instid1(VALU_DEP_1)
	s_lshl_b32 s4, s0, 2
	s_add_u32 s1, s10, s12
	s_addc_u32 s2, s11, s13
	v_add_co_u32 v3, s1, s1, v1
	v_add_co_ci_u32_e64 v4, null, s2, 0, s1
	v_add_lshl_u32 v1, v0, s0, 2
	s_delay_alu instid0(VALU_DEP_3) | instskip(NEXT) | instid1(VALU_DEP_3)
	v_add_co_u32 v3, vcc_lo, v3, 16
	v_add_co_ci_u32_e32 v4, vcc_lo, 0, v4, vcc_lo
	s_lshl_b32 s5, s0, 5
.LBB280_24:                             ; =>This Inner Loop Header: Depth=1
	s_clause 0x1
	global_load_b128 v[5:8], v[3:4], off offset:-16
	global_load_b128 v[9:12], v[3:4], off
	s_waitcnt vmcnt(1)
	v_div_scale_f64 v[13:14], null, v[5:6], v[5:6], s[6:7]
	v_div_scale_f64 v[15:16], null, v[7:8], v[7:8], s[6:7]
	s_waitcnt vmcnt(0)
	v_div_scale_f64 v[17:18], null, v[9:10], v[9:10], s[6:7]
	v_div_scale_f64 v[19:20], null, v[11:12], v[11:12], s[6:7]
	v_div_scale_f64 v[37:38], vcc_lo, s[6:7], v[5:6], s[6:7]
	v_rcp_f64_e32 v[21:22], v[13:14]
	s_delay_alu instid0(VALU_DEP_4) | instskip(NEXT) | instid1(VALU_DEP_3)
	v_rcp_f64_e32 v[23:24], v[15:16]
	v_rcp_f64_e32 v[25:26], v[17:18]
	s_delay_alu instid0(VALU_DEP_2) | instskip(SKIP_1) | instid1(TRANS32_DEP_3)
	v_rcp_f64_e32 v[27:28], v[19:20]
	v_fma_f64 v[29:30], -v[13:14], v[21:22], 1.0
	v_fma_f64 v[31:32], -v[15:16], v[23:24], 1.0
	s_waitcnt_depctr 0xfff
	v_fma_f64 v[33:34], -v[17:18], v[25:26], 1.0
	v_fma_f64 v[35:36], -v[19:20], v[27:28], 1.0
	v_fma_f64 v[21:22], v[21:22], v[29:30], v[21:22]
	v_fma_f64 v[23:24], v[23:24], v[31:32], v[23:24]
	s_delay_alu instid0(VALU_DEP_4) | instskip(NEXT) | instid1(VALU_DEP_4)
	v_fma_f64 v[25:26], v[25:26], v[33:34], v[25:26]
	v_fma_f64 v[27:28], v[27:28], v[35:36], v[27:28]
	s_delay_alu instid0(VALU_DEP_4) | instskip(NEXT) | instid1(VALU_DEP_4)
	v_fma_f64 v[29:30], -v[13:14], v[21:22], 1.0
	v_fma_f64 v[31:32], -v[15:16], v[23:24], 1.0
	s_delay_alu instid0(VALU_DEP_4) | instskip(NEXT) | instid1(VALU_DEP_4)
	v_fma_f64 v[33:34], -v[17:18], v[25:26], 1.0
	v_fma_f64 v[35:36], -v[19:20], v[27:28], 1.0
	s_delay_alu instid0(VALU_DEP_4)
	v_fma_f64 v[21:22], v[21:22], v[29:30], v[21:22]
	v_div_scale_f64 v[29:30], s0, s[6:7], v[7:8], s[6:7]
	v_fma_f64 v[23:24], v[23:24], v[31:32], v[23:24]
	v_div_scale_f64 v[31:32], s1, s[6:7], v[9:10], s[6:7]
	;; [unrolled: 2-line block ×3, first 2 shown]
	v_fma_f64 v[27:28], v[27:28], v[35:36], v[27:28]
	v_mul_f64 v[35:36], v[37:38], v[21:22]
	v_mul_f64 v[39:40], v[29:30], v[23:24]
	;; [unrolled: 1-line block ×3, first 2 shown]
	s_delay_alu instid0(VALU_DEP_4) | instskip(NEXT) | instid1(VALU_DEP_4)
	v_mul_f64 v[43:44], v[33:34], v[27:28]
	v_fma_f64 v[13:14], -v[13:14], v[35:36], v[37:38]
	s_delay_alu instid0(VALU_DEP_4) | instskip(NEXT) | instid1(VALU_DEP_4)
	v_fma_f64 v[15:16], -v[15:16], v[39:40], v[29:30]
	v_fma_f64 v[17:18], -v[17:18], v[41:42], v[31:32]
	s_delay_alu instid0(VALU_DEP_4) | instskip(NEXT) | instid1(VALU_DEP_4)
	v_fma_f64 v[19:20], -v[19:20], v[43:44], v[33:34]
	v_div_fmas_f64 v[13:14], v[13:14], v[21:22], v[35:36]
	s_mov_b32 vcc_lo, s0
	v_cmp_lt_u64_e64 s0, 0xffff, v[1:2]
	v_div_fmas_f64 v[15:16], v[15:16], v[23:24], v[39:40]
	s_mov_b32 vcc_lo, s1
	v_div_fmas_f64 v[17:18], v[17:18], v[25:26], v[41:42]
	s_mov_b32 vcc_lo, s2
	v_div_fmas_f64 v[19:20], v[19:20], v[27:28], v[43:44]
	v_cmp_le_i64_e32 vcc_lo, s[8:9], v[1:2]
	v_add_co_u32 v1, s1, v1, s4
	s_delay_alu instid0(VALU_DEP_1) | instskip(SKIP_1) | instid1(SALU_CYCLE_1)
	v_add_co_ci_u32_e64 v2, s1, 0, v2, s1
	s_or_b32 s0, vcc_lo, s0
	s_and_b32 s0, exec_lo, s0
	s_delay_alu instid0(SALU_CYCLE_1)
	s_or_b32 s3, s0, s3
	v_div_fixup_f64 v[5:6], v[13:14], v[5:6], s[6:7]
	v_div_fixup_f64 v[7:8], v[15:16], v[7:8], s[6:7]
	v_div_fixup_f64 v[9:10], v[17:18], v[9:10], s[6:7]
	v_div_fixup_f64 v[11:12], v[19:20], v[11:12], s[6:7]
	s_clause 0x1
	global_store_b128 v[3:4], v[5:8], off offset:-16
	global_store_b128 v[3:4], v[9:12], off
	v_add_co_u32 v3, vcc_lo, v3, s5
	v_add_co_ci_u32_e32 v4, vcc_lo, 0, v4, vcc_lo
	s_and_not1_b32 exec_lo, exec_lo, s3
	s_cbranch_execnz .LBB280_24
.LBB280_25:
	s_nop 0
	s_sendmsg sendmsg(MSG_DEALLOC_VGPRS)
	s_endpgm
	.section	.rodata,"a",@progbits
	.p2align	6, 0x0
	.amdhsa_kernel _ZN2at6native12_GLOBAL__N_125multi_tensor_apply_kernelINS1_18TensorListMetadataILi1EEENS1_14UnaryOpFunctorIdLi1ELi1ELi0EEEJNS0_10ReciprocalIdEEEEEvT_T0_DpT1_
		.amdhsa_group_segment_fixed_size 0
		.amdhsa_private_segment_fixed_size 0
		.amdhsa_kernarg_size 3640
		.amdhsa_user_sgpr_count 15
		.amdhsa_user_sgpr_dispatch_ptr 0
		.amdhsa_user_sgpr_queue_ptr 0
		.amdhsa_user_sgpr_kernarg_segment_ptr 1
		.amdhsa_user_sgpr_dispatch_id 0
		.amdhsa_user_sgpr_private_segment_size 0
		.amdhsa_wavefront_size32 1
		.amdhsa_uses_dynamic_stack 0
		.amdhsa_enable_private_segment 0
		.amdhsa_system_sgpr_workgroup_id_x 1
		.amdhsa_system_sgpr_workgroup_id_y 0
		.amdhsa_system_sgpr_workgroup_id_z 0
		.amdhsa_system_sgpr_workgroup_info 0
		.amdhsa_system_vgpr_workitem_id 0
		.amdhsa_next_free_vgpr 45
		.amdhsa_next_free_sgpr 23
		.amdhsa_reserve_vcc 1
		.amdhsa_float_round_mode_32 0
		.amdhsa_float_round_mode_16_64 0
		.amdhsa_float_denorm_mode_32 3
		.amdhsa_float_denorm_mode_16_64 3
		.amdhsa_dx10_clamp 1
		.amdhsa_ieee_mode 1
		.amdhsa_fp16_overflow 0
		.amdhsa_workgroup_processor_mode 1
		.amdhsa_memory_ordered 1
		.amdhsa_forward_progress 0
		.amdhsa_shared_vgpr_count 0
		.amdhsa_exception_fp_ieee_invalid_op 0
		.amdhsa_exception_fp_denorm_src 0
		.amdhsa_exception_fp_ieee_div_zero 0
		.amdhsa_exception_fp_ieee_overflow 0
		.amdhsa_exception_fp_ieee_underflow 0
		.amdhsa_exception_fp_ieee_inexact 0
		.amdhsa_exception_int_div_zero 0
	.end_amdhsa_kernel
	.section	.text._ZN2at6native12_GLOBAL__N_125multi_tensor_apply_kernelINS1_18TensorListMetadataILi1EEENS1_14UnaryOpFunctorIdLi1ELi1ELi0EEEJNS0_10ReciprocalIdEEEEEvT_T0_DpT1_,"axG",@progbits,_ZN2at6native12_GLOBAL__N_125multi_tensor_apply_kernelINS1_18TensorListMetadataILi1EEENS1_14UnaryOpFunctorIdLi1ELi1ELi0EEEJNS0_10ReciprocalIdEEEEEvT_T0_DpT1_,comdat
.Lfunc_end280:
	.size	_ZN2at6native12_GLOBAL__N_125multi_tensor_apply_kernelINS1_18TensorListMetadataILi1EEENS1_14UnaryOpFunctorIdLi1ELi1ELi0EEEJNS0_10ReciprocalIdEEEEEvT_T0_DpT1_, .Lfunc_end280-_ZN2at6native12_GLOBAL__N_125multi_tensor_apply_kernelINS1_18TensorListMetadataILi1EEENS1_14UnaryOpFunctorIdLi1ELi1ELi0EEEJNS0_10ReciprocalIdEEEEEvT_T0_DpT1_
                                        ; -- End function
	.section	.AMDGPU.csdata,"",@progbits
; Kernel info:
; codeLenInByte = 1932
; NumSgprs: 25
; NumVgprs: 45
; ScratchSize: 0
; MemoryBound: 0
; FloatMode: 240
; IeeeMode: 1
; LDSByteSize: 0 bytes/workgroup (compile time only)
; SGPRBlocks: 3
; VGPRBlocks: 5
; NumSGPRsForWavesPerEU: 25
; NumVGPRsForWavesPerEU: 45
; Occupancy: 16
; WaveLimiterHint : 0
; COMPUTE_PGM_RSRC2:SCRATCH_EN: 0
; COMPUTE_PGM_RSRC2:USER_SGPR: 15
; COMPUTE_PGM_RSRC2:TRAP_HANDLER: 0
; COMPUTE_PGM_RSRC2:TGID_X_EN: 1
; COMPUTE_PGM_RSRC2:TGID_Y_EN: 0
; COMPUTE_PGM_RSRC2:TGID_Z_EN: 0
; COMPUTE_PGM_RSRC2:TIDIG_COMP_CNT: 0
	.section	.text._ZN2at6native12_GLOBAL__N_125multi_tensor_apply_kernelINS1_18TensorListMetadataILi1EEENS1_14UnaryOpFunctorIfLi1ELi1ELi0EEEJNS0_10ReciprocalIfEEEEEvT_T0_DpT1_,"axG",@progbits,_ZN2at6native12_GLOBAL__N_125multi_tensor_apply_kernelINS1_18TensorListMetadataILi1EEENS1_14UnaryOpFunctorIfLi1ELi1ELi0EEEJNS0_10ReciprocalIfEEEEEvT_T0_DpT1_,comdat
	.globl	_ZN2at6native12_GLOBAL__N_125multi_tensor_apply_kernelINS1_18TensorListMetadataILi1EEENS1_14UnaryOpFunctorIfLi1ELi1ELi0EEEJNS0_10ReciprocalIfEEEEEvT_T0_DpT1_ ; -- Begin function _ZN2at6native12_GLOBAL__N_125multi_tensor_apply_kernelINS1_18TensorListMetadataILi1EEENS1_14UnaryOpFunctorIfLi1ELi1ELi0EEEJNS0_10ReciprocalIfEEEEEvT_T0_DpT1_
	.p2align	8
	.type	_ZN2at6native12_GLOBAL__N_125multi_tensor_apply_kernelINS1_18TensorListMetadataILi1EEENS1_14UnaryOpFunctorIfLi1ELi1ELi0EEEJNS0_10ReciprocalIfEEEEEvT_T0_DpT1_,@function
_ZN2at6native12_GLOBAL__N_125multi_tensor_apply_kernelINS1_18TensorListMetadataILi1EEENS1_14UnaryOpFunctorIfLi1ELi1ELi0EEEJNS0_10ReciprocalIfEEEEEvT_T0_DpT1_: ; @_ZN2at6native12_GLOBAL__N_125multi_tensor_apply_kernelINS1_18TensorListMetadataILi1EEENS1_14UnaryOpFunctorIfLi1ELi1ELi0EEEJNS0_10ReciprocalIfEEEEEvT_T0_DpT1_
; %bb.0:
	v_mov_b32_e32 v1, s15
	s_add_u32 s2, s0, s15
	s_mul_hi_u32 s3, s15, 3
	s_mul_i32 s15, s15, 3
	s_addc_u32 s4, s1, 0
	global_load_u8 v1, v1, s[0:1] offset:1760
	s_add_u32 s2, s2, s15
	s_addc_u32 s3, s4, s3
	s_mov_b32 s13, 0
	s_load_b32 s2, s[2:3], 0x820
	s_waitcnt vmcnt(0)
	v_readfirstlane_b32 s5, v1
	s_delay_alu instid0(VALU_DEP_1)
	s_lshl_b32 s3, s5, 3
	s_clause 0x2
	s_load_b64 s[8:9], s[0:1], s3 offset:0x0
	s_load_b64 s[4:5], s[0:1], s3 offset:0x370
	s_load_b32 s16, s[0:1], 0xd2c
	s_waitcnt lgkmcnt(0)
	s_ashr_i32 s3, s2, 31
	s_delay_alu instid0(SALU_CYCLE_1)
	s_lshl_b64 s[10:11], s[2:3], 18
	s_lshl_b64 s[2:3], s[2:3], 16
	s_and_b32 s12, s8, 15
	s_sub_u32 s6, s4, s2
	s_subb_u32 s7, s5, s3
	s_and_b32 s2, s4, 3
	s_mov_b32 s3, s13
	s_delay_alu instid0(SALU_CYCLE_1) | instskip(NEXT) | instid1(SALU_CYCLE_1)
	s_or_b64 s[2:3], s[12:13], s[2:3]
	s_cmp_eq_u64 s[2:3], 0
	s_cbranch_scc1 .LBB281_21
; %bb.1:
	v_cmp_lt_i64_e64 s2, s[6:7], 1
	s_delay_alu instid0(VALU_DEP_1)
	s_and_b32 vcc_lo, exec_lo, s2
	s_cbranch_vccnz .LBB281_20
; %bb.2:
	s_load_b32 s2, s[0:1], 0xd3c
	v_cmp_gt_u64_e64 s3, 0x10000, s[6:7]
	v_lshlrev_b32_e32 v1, 2, v0
	s_waitcnt lgkmcnt(0)
	s_and_b32 s2, s2, 0xffff
	s_delay_alu instid0(VALU_DEP_2)
	s_and_b32 s3, s3, exec_lo
	v_add_co_u32 v5, s5, v0, s2
	s_cselect_b32 s13, s7, 0
	s_cselect_b32 s12, s6, 0x10000
	s_lshl_b32 s3, s2, 1
	s_lshl_b32 s17, s2, 2
	v_lshlrev_b32_e32 v3, 2, v5
	v_add_co_ci_u32_e64 v6, null, 0, 0, s5
	s_add_u32 s5, s8, s10
	v_add_co_u32 v9, s3, s3, v0
	s_mul_i32 s4, s2, 3
	s_addc_u32 s14, s9, s11
	v_add_co_ci_u32_e64 v10, null, 0, 0, s3
	v_add_co_u32 v1, s3, s5, v1
	v_add_co_u32 v7, s4, s4, v0
	v_add_co_ci_u32_e64 v2, null, s14, 0, s3
	v_add_co_u32 v3, s3, s5, v3
	v_add_co_ci_u32_e64 v8, null, 0, 0, s4
	v_add_co_ci_u32_e64 v4, null, s14, 0, s3
	s_lshl_b32 s18, s2, 4
	s_mul_i32 s19, s2, 12
	s_lshl_b32 s20, s2, 3
	s_mov_b64 s[14:15], 0
	s_branch .LBB281_4
.LBB281_3:                              ;   in Loop: Header=BB281_4 Depth=1
	s_or_b32 exec_lo, exec_lo, s3
	s_add_u32 s14, s14, s17
	s_addc_u32 s15, s15, 0
	v_add_co_u32 v1, vcc_lo, v1, s18
	v_cmp_lt_i64_e64 s2, s[14:15], s[6:7]
	v_cmp_gt_u64_e64 s3, 0x10000, s[14:15]
	v_add_co_ci_u32_e32 v2, vcc_lo, 0, v2, vcc_lo
	v_add_co_u32 v3, vcc_lo, v3, s18
	v_add_co_ci_u32_e32 v4, vcc_lo, 0, v4, vcc_lo
	s_delay_alu instid0(VALU_DEP_4) | instskip(NEXT) | instid1(SALU_CYCLE_1)
	s_and_b32 s2, s2, s3
	s_and_b32 vcc_lo, exec_lo, s2
	s_cbranch_vccz .LBB281_20
.LBB281_4:                              ; =>This Inner Loop Header: Depth=1
	s_waitcnt vmcnt(0)
	v_add_co_u32 v11, s2, v0, s14
	s_delay_alu instid0(VALU_DEP_1) | instskip(SKIP_1) | instid1(VALU_DEP_2)
	v_add_co_ci_u32_e64 v12, null, 0, s15, s2
	v_mov_b32_e32 v14, 0
	v_cmp_gt_u64_e32 vcc_lo, s[12:13], v[11:12]
	s_and_saveexec_b32 s2, vcc_lo
	s_cbranch_execz .LBB281_6
; %bb.5:                                ;   in Loop: Header=BB281_4 Depth=1
	global_load_b32 v14, v[1:2], off
.LBB281_6:                              ;   in Loop: Header=BB281_4 Depth=1
	s_or_b32 exec_lo, exec_lo, s2
	v_add_co_u32 v11, s2, v5, s14
	s_delay_alu instid0(VALU_DEP_1) | instskip(SKIP_1) | instid1(VALU_DEP_2)
	v_add_co_ci_u32_e64 v12, s2, s15, v6, s2
	v_mov_b32_e32 v13, 0
	v_cmp_gt_u64_e64 s4, s[12:13], v[11:12]
	s_delay_alu instid0(VALU_DEP_1)
	s_and_saveexec_b32 s2, s4
	s_cbranch_execz .LBB281_8
; %bb.7:                                ;   in Loop: Header=BB281_4 Depth=1
	global_load_b32 v13, v[3:4], off
.LBB281_8:                              ;   in Loop: Header=BB281_4 Depth=1
	s_or_b32 exec_lo, exec_lo, s2
	v_add_co_u32 v11, s2, v9, s14
	s_delay_alu instid0(VALU_DEP_1) | instskip(NEXT) | instid1(VALU_DEP_1)
	v_add_co_ci_u32_e64 v12, s2, s15, v10, s2
	v_cmp_gt_u64_e64 s3, s[12:13], v[11:12]
	v_dual_mov_b32 v11, 0 :: v_dual_mov_b32 v12, 0
	s_delay_alu instid0(VALU_DEP_2)
	s_and_saveexec_b32 s5, s3
	s_cbranch_execz .LBB281_10
; %bb.9:                                ;   in Loop: Header=BB281_4 Depth=1
	v_add_co_u32 v15, s2, v1, s20
	s_delay_alu instid0(VALU_DEP_1)
	v_add_co_ci_u32_e64 v16, s2, 0, v2, s2
	global_load_b32 v12, v[15:16], off
.LBB281_10:                             ;   in Loop: Header=BB281_4 Depth=1
	s_or_b32 exec_lo, exec_lo, s5
	v_add_co_u32 v15, s2, v7, s14
	s_delay_alu instid0(VALU_DEP_1) | instskip(NEXT) | instid1(VALU_DEP_1)
	v_add_co_ci_u32_e64 v16, s2, s15, v8, s2
	v_cmp_gt_u64_e64 s2, s[12:13], v[15:16]
	s_delay_alu instid0(VALU_DEP_1)
	s_and_saveexec_b32 s21, s2
	s_cbranch_execnz .LBB281_15
; %bb.11:                               ;   in Loop: Header=BB281_4 Depth=1
	s_or_b32 exec_lo, exec_lo, s21
	s_and_saveexec_b32 s5, vcc_lo
	s_cbranch_execnz .LBB281_16
.LBB281_12:                             ;   in Loop: Header=BB281_4 Depth=1
	s_or_b32 exec_lo, exec_lo, s5
	s_and_saveexec_b32 s5, s4
	s_cbranch_execnz .LBB281_17
.LBB281_13:                             ;   in Loop: Header=BB281_4 Depth=1
	s_or_b32 exec_lo, exec_lo, s5
	s_and_saveexec_b32 s4, s3
	s_cbranch_execnz .LBB281_18
.LBB281_14:                             ;   in Loop: Header=BB281_4 Depth=1
	s_or_b32 exec_lo, exec_lo, s4
	s_and_saveexec_b32 s3, s2
	s_cbranch_execz .LBB281_3
	s_branch .LBB281_19
.LBB281_15:                             ;   in Loop: Header=BB281_4 Depth=1
	v_add_co_u32 v15, s5, v1, s19
	s_delay_alu instid0(VALU_DEP_1)
	v_add_co_ci_u32_e64 v16, s5, 0, v2, s5
	global_load_b32 v11, v[15:16], off
	s_or_b32 exec_lo, exec_lo, s21
	s_and_saveexec_b32 s5, vcc_lo
	s_cbranch_execz .LBB281_12
.LBB281_16:                             ;   in Loop: Header=BB281_4 Depth=1
	s_waitcnt vmcnt(0)
	v_div_scale_f32 v15, null, v14, v14, s16
	s_delay_alu instid0(VALU_DEP_1) | instskip(SKIP_2) | instid1(VALU_DEP_1)
	v_rcp_f32_e32 v16, v15
	s_waitcnt_depctr 0xfff
	v_fma_f32 v17, -v15, v16, 1.0
	v_fmac_f32_e32 v16, v17, v16
	v_div_scale_f32 v17, vcc_lo, s16, v14, s16
	s_delay_alu instid0(VALU_DEP_1) | instskip(NEXT) | instid1(VALU_DEP_1)
	v_mul_f32_e32 v18, v17, v16
	v_fma_f32 v19, -v15, v18, v17
	s_delay_alu instid0(VALU_DEP_1) | instskip(NEXT) | instid1(VALU_DEP_1)
	v_fmac_f32_e32 v18, v19, v16
	v_fma_f32 v15, -v15, v18, v17
	s_delay_alu instid0(VALU_DEP_1) | instskip(NEXT) | instid1(VALU_DEP_1)
	v_div_fmas_f32 v15, v15, v16, v18
	v_div_fixup_f32 v14, v15, v14, s16
	global_store_b32 v[1:2], v14, off
	s_or_b32 exec_lo, exec_lo, s5
	s_and_saveexec_b32 s5, s4
	s_cbranch_execz .LBB281_13
.LBB281_17:                             ;   in Loop: Header=BB281_4 Depth=1
	s_waitcnt vmcnt(0)
	v_div_scale_f32 v14, null, v13, v13, s16
	s_delay_alu instid0(VALU_DEP_1) | instskip(SKIP_2) | instid1(VALU_DEP_1)
	v_rcp_f32_e32 v15, v14
	s_waitcnt_depctr 0xfff
	v_fma_f32 v16, -v14, v15, 1.0
	v_fmac_f32_e32 v15, v16, v15
	v_div_scale_f32 v16, vcc_lo, s16, v13, s16
	s_delay_alu instid0(VALU_DEP_1) | instskip(NEXT) | instid1(VALU_DEP_1)
	v_mul_f32_e32 v17, v16, v15
	v_fma_f32 v18, -v14, v17, v16
	s_delay_alu instid0(VALU_DEP_1) | instskip(NEXT) | instid1(VALU_DEP_1)
	v_fmac_f32_e32 v17, v18, v15
	v_fma_f32 v14, -v14, v17, v16
	s_delay_alu instid0(VALU_DEP_1) | instskip(NEXT) | instid1(VALU_DEP_1)
	v_div_fmas_f32 v14, v14, v15, v17
	v_div_fixup_f32 v13, v14, v13, s16
	global_store_b32 v[3:4], v13, off
	s_or_b32 exec_lo, exec_lo, s5
	s_and_saveexec_b32 s4, s3
	s_cbranch_execz .LBB281_14
.LBB281_18:                             ;   in Loop: Header=BB281_4 Depth=1
	s_waitcnt vmcnt(0)
	v_div_scale_f32 v13, null, v12, v12, s16
	v_div_scale_f32 v16, vcc_lo, s16, v12, s16
	s_delay_alu instid0(VALU_DEP_2) | instskip(SKIP_2) | instid1(VALU_DEP_1)
	v_rcp_f32_e32 v14, v13
	s_waitcnt_depctr 0xfff
	v_fma_f32 v15, -v13, v14, 1.0
	v_fmac_f32_e32 v14, v15, v14
	s_delay_alu instid0(VALU_DEP_1) | instskip(NEXT) | instid1(VALU_DEP_1)
	v_mul_f32_e32 v15, v16, v14
	v_fma_f32 v17, -v13, v15, v16
	s_delay_alu instid0(VALU_DEP_1) | instskip(NEXT) | instid1(VALU_DEP_1)
	v_fmac_f32_e32 v15, v17, v14
	v_fma_f32 v13, -v13, v15, v16
	s_delay_alu instid0(VALU_DEP_1) | instskip(NEXT) | instid1(VALU_DEP_1)
	v_div_fmas_f32 v13, v13, v14, v15
	v_div_fixup_f32 v14, v13, v12, s16
	v_add_co_u32 v12, vcc_lo, v1, s20
	v_add_co_ci_u32_e32 v13, vcc_lo, 0, v2, vcc_lo
	global_store_b32 v[12:13], v14, off
	s_or_b32 exec_lo, exec_lo, s4
	s_and_saveexec_b32 s3, s2
	s_cbranch_execz .LBB281_3
.LBB281_19:                             ;   in Loop: Header=BB281_4 Depth=1
	s_waitcnt vmcnt(0)
	v_div_scale_f32 v12, null, v11, v11, s16
	v_div_scale_f32 v15, vcc_lo, s16, v11, s16
	s_delay_alu instid0(VALU_DEP_2) | instskip(SKIP_2) | instid1(VALU_DEP_1)
	v_rcp_f32_e32 v13, v12
	s_waitcnt_depctr 0xfff
	v_fma_f32 v14, -v12, v13, 1.0
	v_fmac_f32_e32 v13, v14, v13
	s_delay_alu instid0(VALU_DEP_1) | instskip(NEXT) | instid1(VALU_DEP_1)
	v_mul_f32_e32 v14, v15, v13
	v_fma_f32 v16, -v12, v14, v15
	s_delay_alu instid0(VALU_DEP_1) | instskip(NEXT) | instid1(VALU_DEP_1)
	v_fmac_f32_e32 v14, v16, v13
	v_fma_f32 v12, -v12, v14, v15
	s_delay_alu instid0(VALU_DEP_1) | instskip(NEXT) | instid1(VALU_DEP_1)
	v_div_fmas_f32 v12, v12, v13, v14
	v_div_fixup_f32 v13, v12, v11, s16
	v_add_co_u32 v11, vcc_lo, v1, s19
	v_add_co_ci_u32_e32 v12, vcc_lo, 0, v2, vcc_lo
	global_store_b32 v[11:12], v13, off
	s_branch .LBB281_3
.LBB281_20:
	s_cbranch_execz .LBB281_22
	s_branch .LBB281_25
.LBB281_21:
.LBB281_22:
	v_dual_mov_b32 v2, 0 :: v_dual_lshlrev_b32 v1, 2, v0
	s_mov_b32 s4, 0
	s_mov_b32 s2, exec_lo
	s_delay_alu instid0(VALU_DEP_1)
	v_cmpx_gt_i64_e64 s[6:7], v[1:2]
	s_cbranch_execz .LBB281_25
; %bb.23:
	s_load_b32 s0, s[0:1], 0xd3c
	v_lshlrev_b32_e32 v1, 4, v0
	s_waitcnt lgkmcnt(0)
	s_and_b32 s0, s0, 0xffff
	s_delay_alu instid0(SALU_CYCLE_1) | instskip(SKIP_3) | instid1(VALU_DEP_1)
	s_lshl_b32 s5, s0, 2
	s_add_u32 s1, s8, s10
	s_addc_u32 s2, s9, s11
	v_add_co_u32 v3, s1, s1, v1
	v_add_co_ci_u32_e64 v4, null, s2, 0, s1
	v_add_lshl_u32 v1, v0, s0, 2
	s_delay_alu instid0(VALU_DEP_3) | instskip(NEXT) | instid1(VALU_DEP_3)
	v_add_co_u32 v3, vcc_lo, v3, 8
	v_add_co_ci_u32_e32 v4, vcc_lo, 0, v4, vcc_lo
	s_lshl_b32 s8, s0, 4
.LBB281_24:                             ; =>This Inner Loop Header: Depth=1
	global_load_b128 v[5:8], v[3:4], off offset:-8
	v_cmp_le_i64_e64 s3, s[6:7], v[1:2]
	s_waitcnt vmcnt(0)
	v_div_scale_f32 v0, null, v5, v5, s16
	v_div_scale_f32 v9, null, v6, v6, s16
	;; [unrolled: 1-line block ×3, first 2 shown]
	s_delay_alu instid0(VALU_DEP_3) | instskip(SKIP_1) | instid1(VALU_DEP_3)
	v_rcp_f32_e32 v12, v0
	v_div_scale_f32 v11, null, v8, v8, s16
	v_rcp_f32_e32 v13, v9
	s_delay_alu instid0(VALU_DEP_2) | instskip(SKIP_1) | instid1(VALU_DEP_2)
	v_rcp_f32_e32 v14, v10
	v_div_scale_f32 v16, vcc_lo, s16, v5, s16
	v_rcp_f32_e32 v15, v11
	v_div_scale_f32 v17, s0, s16, v6, s16
	v_fma_f32 v19, -v0, v12, 1.0
	v_div_scale_f32 v18, s1, s16, v7, s16
	s_delay_alu instid0(TRANS32_DEP_3) | instskip(NEXT) | instid1(TRANS32_DEP_2)
	v_fma_f32 v20, -v9, v13, 1.0
	v_fma_f32 v21, -v10, v14, 1.0
	s_delay_alu instid0(VALU_DEP_4) | instskip(SKIP_1) | instid1(VALU_DEP_4)
	v_fmac_f32_e32 v12, v19, v12
	v_div_scale_f32 v23, s2, s16, v8, s16
	v_fmac_f32_e32 v13, v20, v13
	s_delay_alu instid0(TRANS32_DEP_1) | instskip(NEXT) | instid1(VALU_DEP_4)
	v_fma_f32 v22, -v11, v15, 1.0
	v_dual_fmac_f32 v14, v21, v14 :: v_dual_mul_f32 v19, v16, v12
	s_delay_alu instid0(VALU_DEP_2) | instskip(NEXT) | instid1(VALU_DEP_2)
	v_dual_mul_f32 v20, v17, v13 :: v_dual_fmac_f32 v15, v22, v15
	v_mul_f32_e32 v21, v18, v14
	s_delay_alu instid0(VALU_DEP_3) | instskip(NEXT) | instid1(VALU_DEP_3)
	v_fma_f32 v24, -v0, v19, v16
	v_fma_f32 v25, -v9, v20, v17
	s_delay_alu instid0(VALU_DEP_4) | instskip(NEXT) | instid1(VALU_DEP_4)
	v_mul_f32_e32 v22, v23, v15
	v_fma_f32 v26, -v10, v21, v18
	s_delay_alu instid0(VALU_DEP_3) | instskip(NEXT) | instid1(VALU_DEP_3)
	v_dual_fmac_f32 v19, v24, v12 :: v_dual_fmac_f32 v20, v25, v13
	v_fma_f32 v27, -v11, v22, v23
	s_delay_alu instid0(VALU_DEP_3) | instskip(NEXT) | instid1(VALU_DEP_3)
	v_fmac_f32_e32 v21, v26, v14
	v_fma_f32 v0, -v0, v19, v16
	s_delay_alu instid0(VALU_DEP_4) | instskip(NEXT) | instid1(VALU_DEP_4)
	v_fma_f32 v9, -v9, v20, v17
	v_fmac_f32_e32 v22, v27, v15
	s_delay_alu instid0(VALU_DEP_4) | instskip(NEXT) | instid1(VALU_DEP_4)
	v_fma_f32 v10, -v10, v21, v18
	v_div_fmas_f32 v0, v0, v12, v19
	s_mov_b32 vcc_lo, s0
	s_delay_alu instid0(VALU_DEP_3)
	v_fma_f32 v11, -v11, v22, v23
	v_div_fmas_f32 v9, v9, v13, v20
	s_mov_b32 vcc_lo, s1
	v_div_fixup_f32 v5, v0, v5, s16
	v_div_fmas_f32 v10, v10, v14, v21
	s_mov_b32 vcc_lo, s2
	v_div_fixup_f32 v6, v9, v6, s16
	v_div_fmas_f32 v11, v11, v15, v22
	v_cmp_lt_u64_e32 vcc_lo, 0xffff, v[1:2]
	v_div_fixup_f32 v7, v10, v7, s16
	v_add_co_u32 v1, s0, v1, s5
	s_delay_alu instid0(VALU_DEP_4)
	v_div_fixup_f32 v8, v11, v8, s16
	v_add_co_ci_u32_e64 v2, s0, 0, v2, s0
	s_or_b32 s0, s3, vcc_lo
	global_store_b128 v[3:4], v[5:8], off offset:-8
	v_add_co_u32 v3, vcc_lo, v3, s8
	v_add_co_ci_u32_e32 v4, vcc_lo, 0, v4, vcc_lo
	s_and_b32 s0, exec_lo, s0
	s_delay_alu instid0(SALU_CYCLE_1) | instskip(NEXT) | instid1(SALU_CYCLE_1)
	s_or_b32 s4, s0, s4
	s_and_not1_b32 exec_lo, exec_lo, s4
	s_cbranch_execnz .LBB281_24
.LBB281_25:
	s_nop 0
	s_sendmsg sendmsg(MSG_DEALLOC_VGPRS)
	s_endpgm
	.section	.rodata,"a",@progbits
	.p2align	6, 0x0
	.amdhsa_kernel _ZN2at6native12_GLOBAL__N_125multi_tensor_apply_kernelINS1_18TensorListMetadataILi1EEENS1_14UnaryOpFunctorIfLi1ELi1ELi0EEEJNS0_10ReciprocalIfEEEEEvT_T0_DpT1_
		.amdhsa_group_segment_fixed_size 0
		.amdhsa_private_segment_fixed_size 0
		.amdhsa_kernarg_size 3632
		.amdhsa_user_sgpr_count 15
		.amdhsa_user_sgpr_dispatch_ptr 0
		.amdhsa_user_sgpr_queue_ptr 0
		.amdhsa_user_sgpr_kernarg_segment_ptr 1
		.amdhsa_user_sgpr_dispatch_id 0
		.amdhsa_user_sgpr_private_segment_size 0
		.amdhsa_wavefront_size32 1
		.amdhsa_uses_dynamic_stack 0
		.amdhsa_enable_private_segment 0
		.amdhsa_system_sgpr_workgroup_id_x 1
		.amdhsa_system_sgpr_workgroup_id_y 0
		.amdhsa_system_sgpr_workgroup_id_z 0
		.amdhsa_system_sgpr_workgroup_info 0
		.amdhsa_system_vgpr_workitem_id 0
		.amdhsa_next_free_vgpr 28
		.amdhsa_next_free_sgpr 22
		.amdhsa_reserve_vcc 1
		.amdhsa_float_round_mode_32 0
		.amdhsa_float_round_mode_16_64 0
		.amdhsa_float_denorm_mode_32 3
		.amdhsa_float_denorm_mode_16_64 3
		.amdhsa_dx10_clamp 1
		.amdhsa_ieee_mode 1
		.amdhsa_fp16_overflow 0
		.amdhsa_workgroup_processor_mode 1
		.amdhsa_memory_ordered 1
		.amdhsa_forward_progress 0
		.amdhsa_shared_vgpr_count 0
		.amdhsa_exception_fp_ieee_invalid_op 0
		.amdhsa_exception_fp_denorm_src 0
		.amdhsa_exception_fp_ieee_div_zero 0
		.amdhsa_exception_fp_ieee_overflow 0
		.amdhsa_exception_fp_ieee_underflow 0
		.amdhsa_exception_fp_ieee_inexact 0
		.amdhsa_exception_int_div_zero 0
	.end_amdhsa_kernel
	.section	.text._ZN2at6native12_GLOBAL__N_125multi_tensor_apply_kernelINS1_18TensorListMetadataILi1EEENS1_14UnaryOpFunctorIfLi1ELi1ELi0EEEJNS0_10ReciprocalIfEEEEEvT_T0_DpT1_,"axG",@progbits,_ZN2at6native12_GLOBAL__N_125multi_tensor_apply_kernelINS1_18TensorListMetadataILi1EEENS1_14UnaryOpFunctorIfLi1ELi1ELi0EEEJNS0_10ReciprocalIfEEEEEvT_T0_DpT1_,comdat
.Lfunc_end281:
	.size	_ZN2at6native12_GLOBAL__N_125multi_tensor_apply_kernelINS1_18TensorListMetadataILi1EEENS1_14UnaryOpFunctorIfLi1ELi1ELi0EEEJNS0_10ReciprocalIfEEEEEvT_T0_DpT1_, .Lfunc_end281-_ZN2at6native12_GLOBAL__N_125multi_tensor_apply_kernelINS1_18TensorListMetadataILi1EEENS1_14UnaryOpFunctorIfLi1ELi1ELi0EEEJNS0_10ReciprocalIfEEEEEvT_T0_DpT1_
                                        ; -- End function
	.section	.AMDGPU.csdata,"",@progbits
; Kernel info:
; codeLenInByte = 1800
; NumSgprs: 24
; NumVgprs: 28
; ScratchSize: 0
; MemoryBound: 0
; FloatMode: 240
; IeeeMode: 1
; LDSByteSize: 0 bytes/workgroup (compile time only)
; SGPRBlocks: 2
; VGPRBlocks: 3
; NumSGPRsForWavesPerEU: 24
; NumVGPRsForWavesPerEU: 28
; Occupancy: 16
; WaveLimiterHint : 0
; COMPUTE_PGM_RSRC2:SCRATCH_EN: 0
; COMPUTE_PGM_RSRC2:USER_SGPR: 15
; COMPUTE_PGM_RSRC2:TRAP_HANDLER: 0
; COMPUTE_PGM_RSRC2:TGID_X_EN: 1
; COMPUTE_PGM_RSRC2:TGID_Y_EN: 0
; COMPUTE_PGM_RSRC2:TGID_Z_EN: 0
; COMPUTE_PGM_RSRC2:TIDIG_COMP_CNT: 0
	.section	.text._ZN2at6native12_GLOBAL__N_125multi_tensor_apply_kernelINS1_18TensorListMetadataILi1EEENS1_14UnaryOpFunctorIN3c107complexIdEELi1ELi1ELi0EEEJNS0_10ReciprocalIS8_EEEEEvT_T0_DpT1_,"axG",@progbits,_ZN2at6native12_GLOBAL__N_125multi_tensor_apply_kernelINS1_18TensorListMetadataILi1EEENS1_14UnaryOpFunctorIN3c107complexIdEELi1ELi1ELi0EEEJNS0_10ReciprocalIS8_EEEEEvT_T0_DpT1_,comdat
	.globl	_ZN2at6native12_GLOBAL__N_125multi_tensor_apply_kernelINS1_18TensorListMetadataILi1EEENS1_14UnaryOpFunctorIN3c107complexIdEELi1ELi1ELi0EEEJNS0_10ReciprocalIS8_EEEEEvT_T0_DpT1_ ; -- Begin function _ZN2at6native12_GLOBAL__N_125multi_tensor_apply_kernelINS1_18TensorListMetadataILi1EEENS1_14UnaryOpFunctorIN3c107complexIdEELi1ELi1ELi0EEEJNS0_10ReciprocalIS8_EEEEEvT_T0_DpT1_
	.p2align	8
	.type	_ZN2at6native12_GLOBAL__N_125multi_tensor_apply_kernelINS1_18TensorListMetadataILi1EEENS1_14UnaryOpFunctorIN3c107complexIdEELi1ELi1ELi0EEEJNS0_10ReciprocalIS8_EEEEEvT_T0_DpT1_,@function
_ZN2at6native12_GLOBAL__N_125multi_tensor_apply_kernelINS1_18TensorListMetadataILi1EEENS1_14UnaryOpFunctorIN3c107complexIdEELi1ELi1ELi0EEEJNS0_10ReciprocalIS8_EEEEEvT_T0_DpT1_: ; @_ZN2at6native12_GLOBAL__N_125multi_tensor_apply_kernelINS1_18TensorListMetadataILi1EEENS1_14UnaryOpFunctorIN3c107complexIdEELi1ELi1ELi0EEEJNS0_10ReciprocalIS8_EEEEEvT_T0_DpT1_
; %bb.0:
	v_mov_b32_e32 v1, s15
	s_add_u32 s2, s0, s15
	s_mul_hi_u32 s3, s15, 3
	s_mul_i32 s15, s15, 3
	s_addc_u32 s4, s1, 0
	global_load_u8 v1, v1, s[0:1] offset:1760
	s_add_u32 s2, s2, s15
	s_addc_u32 s3, s4, s3
	s_mov_b32 s19, 0
	s_load_b32 s2, s[2:3], 0x820
	s_waitcnt vmcnt(0)
	v_readfirstlane_b32 s3, v1
	s_delay_alu instid0(VALU_DEP_1)
	s_lshl_b32 s3, s3, 3
	s_clause 0x2
	s_load_b64 s[14:15], s[0:1], s3 offset:0x0
	s_load_b64 s[4:5], s[0:1], s3 offset:0x370
	s_load_b128 s[8:11], s[0:1], 0xd30
	s_waitcnt lgkmcnt(0)
	s_ashr_i32 s3, s2, 31
	s_delay_alu instid0(SALU_CYCLE_1) | instskip(NEXT) | instid1(SALU_CYCLE_1)
	s_lshl_b64 s[16:17], s[2:3], 20
	s_add_u32 s7, s14, s16
	s_addc_u32 s22, s15, s17
	s_lshl_b64 s[2:3], s[2:3], 16
	s_and_b32 s18, s7, 63
	s_sub_u32 s12, s4, s2
	s_subb_u32 s13, s5, s3
	s_and_b32 s2, s4, 3
	s_mov_b32 s3, s19
	s_delay_alu instid0(SALU_CYCLE_1) | instskip(NEXT) | instid1(SALU_CYCLE_1)
	s_or_b64 s[2:3], s[18:19], s[2:3]
	s_cmp_eq_u64 s[2:3], 0
	s_cbranch_scc1 .LBB282_53
; %bb.1:
	v_cmp_lt_i64_e64 s2, s[12:13], 1
	s_delay_alu instid0(VALU_DEP_1)
	s_and_b32 vcc_lo, exec_lo, s2
	s_cbranch_vccnz .LBB282_52
; %bb.2:
	s_load_b32 s2, s[0:1], 0xd4c
	v_cmp_gt_u64_e64 s3, 0x10000, s[12:13]
	v_dual_mov_b32 v22, 0 :: v_dual_lshlrev_b32 v21, 4, v0
	s_mov_b64 s[20:21], 0
	s_waitcnt lgkmcnt(0)
	s_and_b32 s2, s2, 0xffff
	s_delay_alu instid0(VALU_DEP_2)
	s_and_b32 s3, s3, exec_lo
	v_add_co_u32 v29, s5, v0, s2
	v_mad_u64_u32 v[23:24], null, s2, 48, v[21:22]
	s_cselect_b32 s19, s13, 0
	s_cselect_b32 s18, s12, 0x10000
	v_add_co_ci_u32_e64 v30, null, 0, 0, s5
	s_lshl_b32 s5, s2, 5
	s_lshl_b32 s3, s2, 1
	v_add_co_u32 v1, s5, s5, v21
	s_mul_i32 s4, s2, 3
	v_add_co_u32 v35, s3, s3, v0
	v_add_co_u32 v22, s4, s4, v0
	s_delay_alu instid0(VALU_DEP_1)
	v_add_co_ci_u32_e64 v31, null, 0, 0, s4
	v_add_co_ci_u32_e64 v32, null, 0, 0, s5
	v_lshlrev_b32_e32 v33, 4, v29
	v_or_b32_e32 v34, 8, v1
	v_or_b32_e32 v23, 8, v23
	v_add_co_ci_u32_e64 v36, null, 0, 0, s3
	s_lshl_b32 s23, s2, 2
	s_lshl_b32 s24, s2, 6
	s_branch .LBB282_4
.LBB282_3:                              ;   in Loop: Header=BB282_4 Depth=1
	s_or_b32 exec_lo, exec_lo, s2
	s_add_u32 s20, s20, s23
	s_addc_u32 s21, s21, 0
	s_delay_alu instid0(SALU_CYCLE_1) | instskip(SKIP_1) | instid1(VALU_DEP_1)
	v_cmp_ge_i64_e64 s2, s[20:21], s[12:13]
	v_cmp_lt_u64_e64 s3, 0xffff, s[20:21]
	s_or_b32 s2, s2, s3
	s_add_u32 s7, s7, s24
	s_addc_u32 s22, s22, 0
	s_and_b32 vcc_lo, exec_lo, s2
	s_cbranch_vccnz .LBB282_52
.LBB282_4:                              ; =>This Inner Loop Header: Depth=1
	v_add_co_u32 v1, s2, v0, s20
	s_delay_alu instid0(VALU_DEP_1) | instskip(SKIP_2) | instid1(VALU_DEP_2)
	v_add_co_ci_u32_e64 v2, null, 0, s21, s2
	v_mov_b32_e32 v19, 0
	v_mov_b32_e32 v20, 0
	;; [unrolled: 1-line block ×3, first 2 shown]
	s_delay_alu instid0(VALU_DEP_4) | instskip(NEXT) | instid1(VALU_DEP_3)
	v_cmp_gt_u64_e64 s2, s[18:19], v[1:2]
	v_dual_mov_b32 v13, v19 :: v_dual_mov_b32 v14, v20
	v_mov_b32_e32 v16, v20
	s_delay_alu instid0(VALU_DEP_3)
	s_and_saveexec_b32 s3, s2
	s_cbranch_execz .LBB282_6
; %bb.5:                                ;   in Loop: Header=BB282_4 Depth=1
	v_add_co_u32 v1, s4, s7, v21
	s_delay_alu instid0(VALU_DEP_1)
	v_add_co_ci_u32_e64 v2, null, s22, 0, s4
	global_load_b128 v[13:16], v[1:2], off
.LBB282_6:                              ;   in Loop: Header=BB282_4 Depth=1
	s_or_b32 exec_lo, exec_lo, s3
	v_add_co_u32 v1, vcc_lo, v29, s20
	v_add_co_ci_u32_e32 v2, vcc_lo, s21, v30, vcc_lo
	v_dual_mov_b32 v17, v19 :: v_dual_mov_b32 v18, v20
	s_delay_alu instid0(VALU_DEP_2) | instskip(NEXT) | instid1(VALU_DEP_1)
	v_cmp_gt_u64_e64 s3, s[18:19], v[1:2]
	s_and_saveexec_b32 s4, s3
	s_cbranch_execz .LBB282_8
; %bb.7:                                ;   in Loop: Header=BB282_4 Depth=1
	v_add_co_u32 v1, s5, s7, v33
	s_delay_alu instid0(VALU_DEP_1)
	v_add_co_ci_u32_e64 v2, null, s22, 0, s5
	global_load_b128 v[17:20], v[1:2], off
.LBB282_8:                              ;   in Loop: Header=BB282_4 Depth=1
	s_or_b32 exec_lo, exec_lo, s4
	v_add_co_u32 v1, vcc_lo, v35, s20
	v_add_co_ci_u32_e32 v2, vcc_lo, s21, v36, vcc_lo
	v_mov_b32_e32 v3, 0
	v_mov_b32_e32 v4, 0
	s_delay_alu instid0(VALU_DEP_3) | instskip(NEXT) | instid1(VALU_DEP_2)
	v_cmp_gt_u64_e64 s4, s[18:19], v[1:2]
	v_dual_mov_b32 v12, v4 :: v_dual_mov_b32 v11, v3
	v_dual_mov_b32 v10, v4 :: v_dual_mov_b32 v9, v3
	s_delay_alu instid0(VALU_DEP_3)
	s_and_saveexec_b32 s5, s4
	s_cbranch_execz .LBB282_10
; %bb.9:                                ;   in Loop: Header=BB282_4 Depth=1
	v_add_co_u32 v1, vcc_lo, s7, v34
	v_add_co_ci_u32_e32 v2, vcc_lo, s22, v32, vcc_lo
	global_load_b128 v[9:12], v[1:2], off offset:-8
.LBB282_10:                             ;   in Loop: Header=BB282_4 Depth=1
	s_or_b32 exec_lo, exec_lo, s5
	v_add_co_u32 v1, vcc_lo, v22, s20
	v_add_co_ci_u32_e32 v2, vcc_lo, s21, v31, vcc_lo
	s_delay_alu instid0(VALU_DEP_1) | instskip(SKIP_1) | instid1(VALU_DEP_2)
	v_cmp_gt_u64_e64 s5, s[18:19], v[1:2]
	v_dual_mov_b32 v1, v3 :: v_dual_mov_b32 v2, v4
	s_and_saveexec_b32 s6, s5
	s_cbranch_execz .LBB282_12
; %bb.11:                               ;   in Loop: Header=BB282_4 Depth=1
	v_add_co_u32 v1, vcc_lo, s7, v23
	v_add_co_ci_u32_e32 v2, vcc_lo, s22, v24, vcc_lo
	global_load_b128 v[1:4], v[1:2], off offset:-8
.LBB282_12:                             ;   in Loop: Header=BB282_4 Depth=1
	s_or_b32 exec_lo, exec_lo, s6
	s_waitcnt vmcnt(0)
	v_cmp_gt_f64_e32 vcc_lo, 0, v[13:14]
	v_cmp_gt_f64_e64 s6, 0, v[15:16]
	v_xor_b32_e32 v5, 0x80000000, v14
	v_xor_b32_e32 v6, 0x80000000, v16
                                        ; implicit-def: $vgpr7_vgpr8
	s_delay_alu instid0(VALU_DEP_2) | instskip(NEXT) | instid1(VALU_DEP_2)
	v_cndmask_b32_e32 v26, v14, v5, vcc_lo
	v_cndmask_b32_e64 v28, v16, v6, s6
	v_cndmask_b32_e32 v25, v13, v13, vcc_lo
	v_cndmask_b32_e64 v27, v15, v15, s6
	s_mov_b32 s6, exec_lo
	s_delay_alu instid0(VALU_DEP_1)
	v_cmpx_ge_f64_e32 v[25:26], v[27:28]
	s_xor_b32 s25, exec_lo, s6
	s_cbranch_execz .LBB282_18
; %bb.13:                               ;   in Loop: Header=BB282_4 Depth=1
	v_cmp_neq_f64_e32 vcc_lo, 0, v[13:14]
	v_cmp_neq_f64_e64 s6, 0, v[15:16]
                                        ; implicit-def: $vgpr7_vgpr8
	s_delay_alu instid0(VALU_DEP_1) | instskip(NEXT) | instid1(SALU_CYCLE_1)
	s_or_b32 s6, s6, vcc_lo
	s_and_saveexec_b32 s26, s6
	s_delay_alu instid0(SALU_CYCLE_1)
	s_xor_b32 s6, exec_lo, s26
	s_cbranch_execz .LBB282_15
; %bb.14:                               ;   in Loop: Header=BB282_4 Depth=1
	v_div_scale_f64 v[5:6], null, v[13:14], v[13:14], v[15:16]
	v_div_scale_f64 v[27:28], vcc_lo, v[15:16], v[13:14], v[15:16]
	s_delay_alu instid0(VALU_DEP_2) | instskip(SKIP_2) | instid1(VALU_DEP_1)
	v_rcp_f64_e32 v[7:8], v[5:6]
	s_waitcnt_depctr 0xfff
	v_fma_f64 v[25:26], -v[5:6], v[7:8], 1.0
	v_fma_f64 v[7:8], v[7:8], v[25:26], v[7:8]
	s_delay_alu instid0(VALU_DEP_1) | instskip(NEXT) | instid1(VALU_DEP_1)
	v_fma_f64 v[25:26], -v[5:6], v[7:8], 1.0
	v_fma_f64 v[7:8], v[7:8], v[25:26], v[7:8]
	s_delay_alu instid0(VALU_DEP_1) | instskip(NEXT) | instid1(VALU_DEP_1)
	v_mul_f64 v[25:26], v[27:28], v[7:8]
	v_fma_f64 v[5:6], -v[5:6], v[25:26], v[27:28]
	s_delay_alu instid0(VALU_DEP_1) | instskip(NEXT) | instid1(VALU_DEP_1)
	v_div_fmas_f64 v[5:6], v[5:6], v[7:8], v[25:26]
	v_div_fixup_f64 v[5:6], v[5:6], v[13:14], v[15:16]
	s_delay_alu instid0(VALU_DEP_1) | instskip(NEXT) | instid1(VALU_DEP_1)
	v_fma_f64 v[7:8], v[15:16], v[5:6], v[13:14]
	v_div_scale_f64 v[13:14], null, v[7:8], v[7:8], 1.0
	v_div_scale_f64 v[27:28], vcc_lo, 1.0, v[7:8], 1.0
	s_delay_alu instid0(VALU_DEP_2) | instskip(SKIP_2) | instid1(VALU_DEP_1)
	v_rcp_f64_e32 v[15:16], v[13:14]
	s_waitcnt_depctr 0xfff
	v_fma_f64 v[25:26], -v[13:14], v[15:16], 1.0
	v_fma_f64 v[15:16], v[15:16], v[25:26], v[15:16]
	s_delay_alu instid0(VALU_DEP_1) | instskip(NEXT) | instid1(VALU_DEP_1)
	v_fma_f64 v[25:26], -v[13:14], v[15:16], 1.0
	v_fma_f64 v[15:16], v[15:16], v[25:26], v[15:16]
	s_delay_alu instid0(VALU_DEP_1) | instskip(NEXT) | instid1(VALU_DEP_1)
	v_mul_f64 v[25:26], v[27:28], v[15:16]
	v_fma_f64 v[13:14], -v[13:14], v[25:26], v[27:28]
                                        ; implicit-def: $vgpr27_vgpr28
	s_delay_alu instid0(VALU_DEP_1) | instskip(SKIP_1) | instid1(VALU_DEP_2)
	v_div_fmas_f64 v[13:14], v[13:14], v[15:16], v[25:26]
	v_fma_f64 v[15:16], s[10:11], v[5:6], s[8:9]
                                        ; implicit-def: $vgpr25_vgpr26
	v_div_fixup_f64 v[7:8], v[13:14], v[7:8], 1.0
	v_fma_f64 v[13:14], -s[8:9], v[5:6], s[10:11]
	s_delay_alu instid0(VALU_DEP_2) | instskip(NEXT) | instid1(VALU_DEP_2)
	v_mul_f64 v[5:6], v[15:16], v[7:8]
	v_mul_f64 v[7:8], v[13:14], v[7:8]
.LBB282_15:                             ;   in Loop: Header=BB282_4 Depth=1
	s_and_not1_saveexec_b32 s26, s6
	s_cbranch_execz .LBB282_17
; %bb.16:                               ;   in Loop: Header=BB282_4 Depth=1
	v_div_scale_f64 v[5:6], null, v[25:26], v[25:26], s[8:9]
	v_div_scale_f64 v[7:8], null, v[27:28], v[27:28], s[10:11]
	v_div_scale_f64 v[41:42], vcc_lo, s[8:9], v[25:26], s[8:9]
	s_delay_alu instid0(VALU_DEP_3) | instskip(NEXT) | instid1(VALU_DEP_2)
	v_rcp_f64_e32 v[13:14], v[5:6]
	v_rcp_f64_e32 v[15:16], v[7:8]
	s_waitcnt_depctr 0xfff
	v_fma_f64 v[37:38], -v[5:6], v[13:14], 1.0
	v_fma_f64 v[39:40], -v[7:8], v[15:16], 1.0
	s_delay_alu instid0(VALU_DEP_2) | instskip(NEXT) | instid1(VALU_DEP_2)
	v_fma_f64 v[13:14], v[13:14], v[37:38], v[13:14]
	v_fma_f64 v[15:16], v[15:16], v[39:40], v[15:16]
	s_delay_alu instid0(VALU_DEP_2) | instskip(NEXT) | instid1(VALU_DEP_2)
	v_fma_f64 v[37:38], -v[5:6], v[13:14], 1.0
	v_fma_f64 v[39:40], -v[7:8], v[15:16], 1.0
	s_delay_alu instid0(VALU_DEP_2) | instskip(SKIP_1) | instid1(VALU_DEP_3)
	v_fma_f64 v[13:14], v[13:14], v[37:38], v[13:14]
	v_div_scale_f64 v[37:38], s6, s[10:11], v[27:28], s[10:11]
	v_fma_f64 v[15:16], v[15:16], v[39:40], v[15:16]
	s_delay_alu instid0(VALU_DEP_3) | instskip(NEXT) | instid1(VALU_DEP_2)
	v_mul_f64 v[39:40], v[41:42], v[13:14]
	v_mul_f64 v[43:44], v[37:38], v[15:16]
	s_delay_alu instid0(VALU_DEP_2) | instskip(NEXT) | instid1(VALU_DEP_2)
	v_fma_f64 v[5:6], -v[5:6], v[39:40], v[41:42]
	v_fma_f64 v[7:8], -v[7:8], v[43:44], v[37:38]
	s_delay_alu instid0(VALU_DEP_2) | instskip(SKIP_1) | instid1(VALU_DEP_2)
	v_div_fmas_f64 v[5:6], v[5:6], v[13:14], v[39:40]
	s_mov_b32 vcc_lo, s6
	v_div_fmas_f64 v[7:8], v[7:8], v[15:16], v[43:44]
	s_delay_alu instid0(VALU_DEP_2) | instskip(NEXT) | instid1(VALU_DEP_2)
	v_div_fixup_f64 v[5:6], v[5:6], v[25:26], s[8:9]
	v_div_fixup_f64 v[7:8], v[7:8], v[27:28], s[10:11]
.LBB282_17:                             ;   in Loop: Header=BB282_4 Depth=1
	s_or_b32 exec_lo, exec_lo, s26
                                        ; implicit-def: $vgpr15_vgpr16
.LBB282_18:                             ;   in Loop: Header=BB282_4 Depth=1
	s_and_not1_saveexec_b32 s6, s25
	s_cbranch_execz .LBB282_20
; %bb.19:                               ;   in Loop: Header=BB282_4 Depth=1
	v_div_scale_f64 v[5:6], null, v[15:16], v[15:16], v[13:14]
	v_div_scale_f64 v[27:28], vcc_lo, v[13:14], v[15:16], v[13:14]
	s_delay_alu instid0(VALU_DEP_2) | instskip(SKIP_2) | instid1(VALU_DEP_1)
	v_rcp_f64_e32 v[7:8], v[5:6]
	s_waitcnt_depctr 0xfff
	v_fma_f64 v[25:26], -v[5:6], v[7:8], 1.0
	v_fma_f64 v[7:8], v[7:8], v[25:26], v[7:8]
	s_delay_alu instid0(VALU_DEP_1) | instskip(NEXT) | instid1(VALU_DEP_1)
	v_fma_f64 v[25:26], -v[5:6], v[7:8], 1.0
	v_fma_f64 v[7:8], v[7:8], v[25:26], v[7:8]
	s_delay_alu instid0(VALU_DEP_1) | instskip(NEXT) | instid1(VALU_DEP_1)
	v_mul_f64 v[25:26], v[27:28], v[7:8]
	v_fma_f64 v[5:6], -v[5:6], v[25:26], v[27:28]
	s_delay_alu instid0(VALU_DEP_1) | instskip(NEXT) | instid1(VALU_DEP_1)
	v_div_fmas_f64 v[5:6], v[5:6], v[7:8], v[25:26]
	v_div_fixup_f64 v[5:6], v[5:6], v[15:16], v[13:14]
	s_delay_alu instid0(VALU_DEP_1) | instskip(NEXT) | instid1(VALU_DEP_1)
	v_fma_f64 v[7:8], v[13:14], v[5:6], v[15:16]
	v_div_scale_f64 v[13:14], null, v[7:8], v[7:8], 1.0
	v_div_scale_f64 v[27:28], vcc_lo, 1.0, v[7:8], 1.0
	s_delay_alu instid0(VALU_DEP_2) | instskip(SKIP_2) | instid1(VALU_DEP_1)
	v_rcp_f64_e32 v[15:16], v[13:14]
	s_waitcnt_depctr 0xfff
	v_fma_f64 v[25:26], -v[13:14], v[15:16], 1.0
	v_fma_f64 v[15:16], v[15:16], v[25:26], v[15:16]
	s_delay_alu instid0(VALU_DEP_1) | instskip(NEXT) | instid1(VALU_DEP_1)
	v_fma_f64 v[25:26], -v[13:14], v[15:16], 1.0
	v_fma_f64 v[15:16], v[15:16], v[25:26], v[15:16]
	s_delay_alu instid0(VALU_DEP_1) | instskip(NEXT) | instid1(VALU_DEP_1)
	v_mul_f64 v[25:26], v[27:28], v[15:16]
	v_fma_f64 v[13:14], -v[13:14], v[25:26], v[27:28]
	s_delay_alu instid0(VALU_DEP_1) | instskip(SKIP_1) | instid1(VALU_DEP_2)
	v_div_fmas_f64 v[13:14], v[13:14], v[15:16], v[25:26]
	v_fma_f64 v[15:16], s[8:9], v[5:6], s[10:11]
	v_div_fixup_f64 v[7:8], v[13:14], v[7:8], 1.0
	v_fma_f64 v[13:14], s[10:11], v[5:6], -s[8:9]
	s_delay_alu instid0(VALU_DEP_2) | instskip(NEXT) | instid1(VALU_DEP_2)
	v_mul_f64 v[5:6], v[15:16], v[7:8]
	v_mul_f64 v[7:8], v[13:14], v[7:8]
.LBB282_20:                             ;   in Loop: Header=BB282_4 Depth=1
	s_or_b32 exec_lo, exec_lo, s6
	v_cmp_gt_f64_e32 vcc_lo, 0, v[17:18]
	v_cmp_gt_f64_e64 s6, 0, v[19:20]
	v_xor_b32_e32 v13, 0x80000000, v18
	v_xor_b32_e32 v14, 0x80000000, v20
                                        ; implicit-def: $vgpr15_vgpr16
	s_delay_alu instid0(VALU_DEP_2) | instskip(NEXT) | instid1(VALU_DEP_2)
	v_cndmask_b32_e32 v26, v18, v13, vcc_lo
	v_cndmask_b32_e64 v28, v20, v14, s6
	v_cndmask_b32_e32 v25, v17, v17, vcc_lo
	v_cndmask_b32_e64 v27, v19, v19, s6
	s_mov_b32 s6, exec_lo
	s_delay_alu instid0(VALU_DEP_1)
	v_cmpx_ge_f64_e32 v[25:26], v[27:28]
	s_xor_b32 s25, exec_lo, s6
	s_cbranch_execz .LBB282_26
; %bb.21:                               ;   in Loop: Header=BB282_4 Depth=1
	v_cmp_neq_f64_e32 vcc_lo, 0, v[17:18]
	v_cmp_neq_f64_e64 s6, 0, v[19:20]
                                        ; implicit-def: $vgpr15_vgpr16
	s_delay_alu instid0(VALU_DEP_1) | instskip(NEXT) | instid1(SALU_CYCLE_1)
	s_or_b32 s6, s6, vcc_lo
	s_and_saveexec_b32 s26, s6
	s_delay_alu instid0(SALU_CYCLE_1)
	s_xor_b32 s6, exec_lo, s26
	s_cbranch_execz .LBB282_23
; %bb.22:                               ;   in Loop: Header=BB282_4 Depth=1
	v_div_scale_f64 v[13:14], null, v[17:18], v[17:18], v[19:20]
	v_div_scale_f64 v[27:28], vcc_lo, v[19:20], v[17:18], v[19:20]
	s_delay_alu instid0(VALU_DEP_2) | instskip(SKIP_2) | instid1(VALU_DEP_1)
	v_rcp_f64_e32 v[15:16], v[13:14]
	s_waitcnt_depctr 0xfff
	v_fma_f64 v[25:26], -v[13:14], v[15:16], 1.0
	v_fma_f64 v[15:16], v[15:16], v[25:26], v[15:16]
	s_delay_alu instid0(VALU_DEP_1) | instskip(NEXT) | instid1(VALU_DEP_1)
	v_fma_f64 v[25:26], -v[13:14], v[15:16], 1.0
	v_fma_f64 v[15:16], v[15:16], v[25:26], v[15:16]
	s_delay_alu instid0(VALU_DEP_1) | instskip(NEXT) | instid1(VALU_DEP_1)
	v_mul_f64 v[25:26], v[27:28], v[15:16]
	v_fma_f64 v[13:14], -v[13:14], v[25:26], v[27:28]
	s_delay_alu instid0(VALU_DEP_1) | instskip(NEXT) | instid1(VALU_DEP_1)
	v_div_fmas_f64 v[13:14], v[13:14], v[15:16], v[25:26]
	v_div_fixup_f64 v[13:14], v[13:14], v[17:18], v[19:20]
	s_delay_alu instid0(VALU_DEP_1) | instskip(NEXT) | instid1(VALU_DEP_1)
	v_fma_f64 v[15:16], v[19:20], v[13:14], v[17:18]
	v_div_scale_f64 v[17:18], null, v[15:16], v[15:16], 1.0
	v_div_scale_f64 v[27:28], vcc_lo, 1.0, v[15:16], 1.0
	s_delay_alu instid0(VALU_DEP_2) | instskip(SKIP_2) | instid1(VALU_DEP_1)
	v_rcp_f64_e32 v[19:20], v[17:18]
	s_waitcnt_depctr 0xfff
	v_fma_f64 v[25:26], -v[17:18], v[19:20], 1.0
	v_fma_f64 v[19:20], v[19:20], v[25:26], v[19:20]
	s_delay_alu instid0(VALU_DEP_1) | instskip(NEXT) | instid1(VALU_DEP_1)
	v_fma_f64 v[25:26], -v[17:18], v[19:20], 1.0
	v_fma_f64 v[19:20], v[19:20], v[25:26], v[19:20]
	s_delay_alu instid0(VALU_DEP_1) | instskip(NEXT) | instid1(VALU_DEP_1)
	v_mul_f64 v[25:26], v[27:28], v[19:20]
	v_fma_f64 v[17:18], -v[17:18], v[25:26], v[27:28]
                                        ; implicit-def: $vgpr27_vgpr28
	s_delay_alu instid0(VALU_DEP_1) | instskip(SKIP_1) | instid1(VALU_DEP_2)
	v_div_fmas_f64 v[17:18], v[17:18], v[19:20], v[25:26]
	v_fma_f64 v[19:20], s[10:11], v[13:14], s[8:9]
                                        ; implicit-def: $vgpr25_vgpr26
	v_div_fixup_f64 v[15:16], v[17:18], v[15:16], 1.0
	v_fma_f64 v[17:18], -s[8:9], v[13:14], s[10:11]
	s_delay_alu instid0(VALU_DEP_2) | instskip(NEXT) | instid1(VALU_DEP_2)
	v_mul_f64 v[13:14], v[19:20], v[15:16]
	v_mul_f64 v[15:16], v[17:18], v[15:16]
.LBB282_23:                             ;   in Loop: Header=BB282_4 Depth=1
	s_and_not1_saveexec_b32 s26, s6
	s_cbranch_execz .LBB282_25
; %bb.24:                               ;   in Loop: Header=BB282_4 Depth=1
	v_div_scale_f64 v[13:14], null, v[25:26], v[25:26], s[8:9]
	v_div_scale_f64 v[15:16], null, v[27:28], v[27:28], s[10:11]
	v_div_scale_f64 v[41:42], vcc_lo, s[8:9], v[25:26], s[8:9]
	s_delay_alu instid0(VALU_DEP_3) | instskip(NEXT) | instid1(VALU_DEP_2)
	v_rcp_f64_e32 v[17:18], v[13:14]
	v_rcp_f64_e32 v[19:20], v[15:16]
	s_waitcnt_depctr 0xfff
	v_fma_f64 v[37:38], -v[13:14], v[17:18], 1.0
	v_fma_f64 v[39:40], -v[15:16], v[19:20], 1.0
	s_delay_alu instid0(VALU_DEP_2) | instskip(NEXT) | instid1(VALU_DEP_2)
	v_fma_f64 v[17:18], v[17:18], v[37:38], v[17:18]
	v_fma_f64 v[19:20], v[19:20], v[39:40], v[19:20]
	s_delay_alu instid0(VALU_DEP_2) | instskip(NEXT) | instid1(VALU_DEP_2)
	v_fma_f64 v[37:38], -v[13:14], v[17:18], 1.0
	v_fma_f64 v[39:40], -v[15:16], v[19:20], 1.0
	s_delay_alu instid0(VALU_DEP_2) | instskip(SKIP_1) | instid1(VALU_DEP_3)
	v_fma_f64 v[17:18], v[17:18], v[37:38], v[17:18]
	v_div_scale_f64 v[37:38], s6, s[10:11], v[27:28], s[10:11]
	v_fma_f64 v[19:20], v[19:20], v[39:40], v[19:20]
	s_delay_alu instid0(VALU_DEP_3) | instskip(NEXT) | instid1(VALU_DEP_2)
	v_mul_f64 v[39:40], v[41:42], v[17:18]
	v_mul_f64 v[43:44], v[37:38], v[19:20]
	s_delay_alu instid0(VALU_DEP_2) | instskip(NEXT) | instid1(VALU_DEP_2)
	v_fma_f64 v[13:14], -v[13:14], v[39:40], v[41:42]
	v_fma_f64 v[15:16], -v[15:16], v[43:44], v[37:38]
	s_delay_alu instid0(VALU_DEP_2) | instskip(SKIP_1) | instid1(VALU_DEP_2)
	v_div_fmas_f64 v[13:14], v[13:14], v[17:18], v[39:40]
	s_mov_b32 vcc_lo, s6
	v_div_fmas_f64 v[15:16], v[15:16], v[19:20], v[43:44]
	s_delay_alu instid0(VALU_DEP_2) | instskip(NEXT) | instid1(VALU_DEP_2)
	v_div_fixup_f64 v[13:14], v[13:14], v[25:26], s[8:9]
	v_div_fixup_f64 v[15:16], v[15:16], v[27:28], s[10:11]
.LBB282_25:                             ;   in Loop: Header=BB282_4 Depth=1
	s_or_b32 exec_lo, exec_lo, s26
                                        ; implicit-def: $vgpr19_vgpr20
.LBB282_26:                             ;   in Loop: Header=BB282_4 Depth=1
	s_and_not1_saveexec_b32 s6, s25
	s_cbranch_execz .LBB282_28
; %bb.27:                               ;   in Loop: Header=BB282_4 Depth=1
	v_div_scale_f64 v[13:14], null, v[19:20], v[19:20], v[17:18]
	v_div_scale_f64 v[27:28], vcc_lo, v[17:18], v[19:20], v[17:18]
	s_delay_alu instid0(VALU_DEP_2) | instskip(SKIP_2) | instid1(VALU_DEP_1)
	v_rcp_f64_e32 v[15:16], v[13:14]
	s_waitcnt_depctr 0xfff
	v_fma_f64 v[25:26], -v[13:14], v[15:16], 1.0
	v_fma_f64 v[15:16], v[15:16], v[25:26], v[15:16]
	s_delay_alu instid0(VALU_DEP_1) | instskip(NEXT) | instid1(VALU_DEP_1)
	v_fma_f64 v[25:26], -v[13:14], v[15:16], 1.0
	v_fma_f64 v[15:16], v[15:16], v[25:26], v[15:16]
	s_delay_alu instid0(VALU_DEP_1) | instskip(NEXT) | instid1(VALU_DEP_1)
	v_mul_f64 v[25:26], v[27:28], v[15:16]
	v_fma_f64 v[13:14], -v[13:14], v[25:26], v[27:28]
	s_delay_alu instid0(VALU_DEP_1) | instskip(NEXT) | instid1(VALU_DEP_1)
	v_div_fmas_f64 v[13:14], v[13:14], v[15:16], v[25:26]
	v_div_fixup_f64 v[13:14], v[13:14], v[19:20], v[17:18]
	s_delay_alu instid0(VALU_DEP_1) | instskip(NEXT) | instid1(VALU_DEP_1)
	v_fma_f64 v[15:16], v[17:18], v[13:14], v[19:20]
	v_div_scale_f64 v[17:18], null, v[15:16], v[15:16], 1.0
	v_div_scale_f64 v[27:28], vcc_lo, 1.0, v[15:16], 1.0
	s_delay_alu instid0(VALU_DEP_2) | instskip(SKIP_2) | instid1(VALU_DEP_1)
	v_rcp_f64_e32 v[19:20], v[17:18]
	s_waitcnt_depctr 0xfff
	v_fma_f64 v[25:26], -v[17:18], v[19:20], 1.0
	v_fma_f64 v[19:20], v[19:20], v[25:26], v[19:20]
	s_delay_alu instid0(VALU_DEP_1) | instskip(NEXT) | instid1(VALU_DEP_1)
	v_fma_f64 v[25:26], -v[17:18], v[19:20], 1.0
	v_fma_f64 v[19:20], v[19:20], v[25:26], v[19:20]
	s_delay_alu instid0(VALU_DEP_1) | instskip(NEXT) | instid1(VALU_DEP_1)
	v_mul_f64 v[25:26], v[27:28], v[19:20]
	v_fma_f64 v[17:18], -v[17:18], v[25:26], v[27:28]
	s_delay_alu instid0(VALU_DEP_1) | instskip(SKIP_1) | instid1(VALU_DEP_2)
	v_div_fmas_f64 v[17:18], v[17:18], v[19:20], v[25:26]
	v_fma_f64 v[19:20], s[8:9], v[13:14], s[10:11]
	v_div_fixup_f64 v[15:16], v[17:18], v[15:16], 1.0
	v_fma_f64 v[17:18], s[10:11], v[13:14], -s[8:9]
	s_delay_alu instid0(VALU_DEP_2) | instskip(NEXT) | instid1(VALU_DEP_2)
	v_mul_f64 v[13:14], v[19:20], v[15:16]
	v_mul_f64 v[15:16], v[17:18], v[15:16]
.LBB282_28:                             ;   in Loop: Header=BB282_4 Depth=1
	s_or_b32 exec_lo, exec_lo, s6
	v_cmp_gt_f64_e32 vcc_lo, 0, v[9:10]
	v_cmp_gt_f64_e64 s6, 0, v[11:12]
	v_xor_b32_e32 v17, 0x80000000, v10
	v_xor_b32_e32 v18, 0x80000000, v12
                                        ; implicit-def: $vgpr19_vgpr20
	s_delay_alu instid0(VALU_DEP_2) | instskip(NEXT) | instid1(VALU_DEP_2)
	v_cndmask_b32_e32 v26, v10, v17, vcc_lo
	v_cndmask_b32_e64 v28, v12, v18, s6
	v_cndmask_b32_e32 v25, v9, v9, vcc_lo
	v_cndmask_b32_e64 v27, v11, v11, s6
	s_mov_b32 s6, exec_lo
	s_delay_alu instid0(VALU_DEP_1)
	v_cmpx_ge_f64_e32 v[25:26], v[27:28]
	s_xor_b32 s25, exec_lo, s6
	s_cbranch_execz .LBB282_34
; %bb.29:                               ;   in Loop: Header=BB282_4 Depth=1
	v_cmp_neq_f64_e32 vcc_lo, 0, v[9:10]
	v_cmp_neq_f64_e64 s6, 0, v[11:12]
                                        ; implicit-def: $vgpr19_vgpr20
	s_delay_alu instid0(VALU_DEP_1) | instskip(NEXT) | instid1(SALU_CYCLE_1)
	s_or_b32 s6, s6, vcc_lo
	s_and_saveexec_b32 s26, s6
	s_delay_alu instid0(SALU_CYCLE_1)
	s_xor_b32 s6, exec_lo, s26
	s_cbranch_execz .LBB282_31
; %bb.30:                               ;   in Loop: Header=BB282_4 Depth=1
	v_div_scale_f64 v[17:18], null, v[9:10], v[9:10], v[11:12]
	v_div_scale_f64 v[27:28], vcc_lo, v[11:12], v[9:10], v[11:12]
	s_delay_alu instid0(VALU_DEP_2) | instskip(SKIP_2) | instid1(VALU_DEP_1)
	v_rcp_f64_e32 v[19:20], v[17:18]
	s_waitcnt_depctr 0xfff
	v_fma_f64 v[25:26], -v[17:18], v[19:20], 1.0
	v_fma_f64 v[19:20], v[19:20], v[25:26], v[19:20]
	s_delay_alu instid0(VALU_DEP_1) | instskip(NEXT) | instid1(VALU_DEP_1)
	v_fma_f64 v[25:26], -v[17:18], v[19:20], 1.0
	v_fma_f64 v[19:20], v[19:20], v[25:26], v[19:20]
	s_delay_alu instid0(VALU_DEP_1) | instskip(NEXT) | instid1(VALU_DEP_1)
	v_mul_f64 v[25:26], v[27:28], v[19:20]
	v_fma_f64 v[17:18], -v[17:18], v[25:26], v[27:28]
	s_delay_alu instid0(VALU_DEP_1) | instskip(NEXT) | instid1(VALU_DEP_1)
	v_div_fmas_f64 v[17:18], v[17:18], v[19:20], v[25:26]
	v_div_fixup_f64 v[17:18], v[17:18], v[9:10], v[11:12]
	s_delay_alu instid0(VALU_DEP_1) | instskip(NEXT) | instid1(VALU_DEP_1)
	v_fma_f64 v[9:10], v[11:12], v[17:18], v[9:10]
	v_div_scale_f64 v[11:12], null, v[9:10], v[9:10], 1.0
	v_div_scale_f64 v[27:28], vcc_lo, 1.0, v[9:10], 1.0
	s_delay_alu instid0(VALU_DEP_2) | instskip(SKIP_2) | instid1(VALU_DEP_1)
	v_rcp_f64_e32 v[19:20], v[11:12]
	s_waitcnt_depctr 0xfff
	v_fma_f64 v[25:26], -v[11:12], v[19:20], 1.0
	v_fma_f64 v[19:20], v[19:20], v[25:26], v[19:20]
	s_delay_alu instid0(VALU_DEP_1) | instskip(NEXT) | instid1(VALU_DEP_1)
	v_fma_f64 v[25:26], -v[11:12], v[19:20], 1.0
	v_fma_f64 v[19:20], v[19:20], v[25:26], v[19:20]
	s_delay_alu instid0(VALU_DEP_1) | instskip(NEXT) | instid1(VALU_DEP_1)
	v_mul_f64 v[25:26], v[27:28], v[19:20]
	v_fma_f64 v[11:12], -v[11:12], v[25:26], v[27:28]
                                        ; implicit-def: $vgpr27_vgpr28
	s_delay_alu instid0(VALU_DEP_1) | instskip(SKIP_1) | instid1(VALU_DEP_2)
	v_div_fmas_f64 v[11:12], v[11:12], v[19:20], v[25:26]
	v_fma_f64 v[19:20], s[10:11], v[17:18], s[8:9]
                                        ; implicit-def: $vgpr25_vgpr26
	v_div_fixup_f64 v[9:10], v[11:12], v[9:10], 1.0
	v_fma_f64 v[11:12], -s[8:9], v[17:18], s[10:11]
	s_delay_alu instid0(VALU_DEP_2) | instskip(NEXT) | instid1(VALU_DEP_2)
	v_mul_f64 v[17:18], v[19:20], v[9:10]
	v_mul_f64 v[19:20], v[11:12], v[9:10]
.LBB282_31:                             ;   in Loop: Header=BB282_4 Depth=1
	s_and_not1_saveexec_b32 s26, s6
	s_cbranch_execz .LBB282_33
; %bb.32:                               ;   in Loop: Header=BB282_4 Depth=1
	v_div_scale_f64 v[9:10], null, v[25:26], v[25:26], s[8:9]
	v_div_scale_f64 v[11:12], null, v[27:28], v[27:28], s[10:11]
	v_div_scale_f64 v[41:42], vcc_lo, s[8:9], v[25:26], s[8:9]
	s_delay_alu instid0(VALU_DEP_3) | instskip(NEXT) | instid1(VALU_DEP_2)
	v_rcp_f64_e32 v[17:18], v[9:10]
	v_rcp_f64_e32 v[19:20], v[11:12]
	s_waitcnt_depctr 0xfff
	v_fma_f64 v[37:38], -v[9:10], v[17:18], 1.0
	v_fma_f64 v[39:40], -v[11:12], v[19:20], 1.0
	s_delay_alu instid0(VALU_DEP_2) | instskip(NEXT) | instid1(VALU_DEP_2)
	v_fma_f64 v[17:18], v[17:18], v[37:38], v[17:18]
	v_fma_f64 v[19:20], v[19:20], v[39:40], v[19:20]
	s_delay_alu instid0(VALU_DEP_2) | instskip(NEXT) | instid1(VALU_DEP_2)
	v_fma_f64 v[37:38], -v[9:10], v[17:18], 1.0
	v_fma_f64 v[39:40], -v[11:12], v[19:20], 1.0
	s_delay_alu instid0(VALU_DEP_2) | instskip(SKIP_1) | instid1(VALU_DEP_3)
	v_fma_f64 v[17:18], v[17:18], v[37:38], v[17:18]
	v_div_scale_f64 v[37:38], s6, s[10:11], v[27:28], s[10:11]
	v_fma_f64 v[19:20], v[19:20], v[39:40], v[19:20]
	s_delay_alu instid0(VALU_DEP_3) | instskip(NEXT) | instid1(VALU_DEP_2)
	v_mul_f64 v[39:40], v[41:42], v[17:18]
	v_mul_f64 v[43:44], v[37:38], v[19:20]
	s_delay_alu instid0(VALU_DEP_2) | instskip(NEXT) | instid1(VALU_DEP_2)
	v_fma_f64 v[9:10], -v[9:10], v[39:40], v[41:42]
	v_fma_f64 v[11:12], -v[11:12], v[43:44], v[37:38]
	s_delay_alu instid0(VALU_DEP_2) | instskip(SKIP_1) | instid1(VALU_DEP_2)
	v_div_fmas_f64 v[9:10], v[9:10], v[17:18], v[39:40]
	s_mov_b32 vcc_lo, s6
	v_div_fmas_f64 v[11:12], v[11:12], v[19:20], v[43:44]
	s_delay_alu instid0(VALU_DEP_2) | instskip(NEXT) | instid1(VALU_DEP_2)
	v_div_fixup_f64 v[17:18], v[9:10], v[25:26], s[8:9]
	v_div_fixup_f64 v[19:20], v[11:12], v[27:28], s[10:11]
.LBB282_33:                             ;   in Loop: Header=BB282_4 Depth=1
	s_or_b32 exec_lo, exec_lo, s26
                                        ; implicit-def: $vgpr11_vgpr12
.LBB282_34:                             ;   in Loop: Header=BB282_4 Depth=1
	s_and_not1_saveexec_b32 s6, s25
	s_cbranch_execz .LBB282_36
; %bb.35:                               ;   in Loop: Header=BB282_4 Depth=1
	v_div_scale_f64 v[17:18], null, v[11:12], v[11:12], v[9:10]
	v_div_scale_f64 v[27:28], vcc_lo, v[9:10], v[11:12], v[9:10]
	s_delay_alu instid0(VALU_DEP_2) | instskip(SKIP_2) | instid1(VALU_DEP_1)
	v_rcp_f64_e32 v[19:20], v[17:18]
	s_waitcnt_depctr 0xfff
	v_fma_f64 v[25:26], -v[17:18], v[19:20], 1.0
	v_fma_f64 v[19:20], v[19:20], v[25:26], v[19:20]
	s_delay_alu instid0(VALU_DEP_1) | instskip(NEXT) | instid1(VALU_DEP_1)
	v_fma_f64 v[25:26], -v[17:18], v[19:20], 1.0
	v_fma_f64 v[19:20], v[19:20], v[25:26], v[19:20]
	s_delay_alu instid0(VALU_DEP_1) | instskip(NEXT) | instid1(VALU_DEP_1)
	v_mul_f64 v[25:26], v[27:28], v[19:20]
	v_fma_f64 v[17:18], -v[17:18], v[25:26], v[27:28]
	s_delay_alu instid0(VALU_DEP_1) | instskip(NEXT) | instid1(VALU_DEP_1)
	v_div_fmas_f64 v[17:18], v[17:18], v[19:20], v[25:26]
	v_div_fixup_f64 v[17:18], v[17:18], v[11:12], v[9:10]
	s_delay_alu instid0(VALU_DEP_1) | instskip(NEXT) | instid1(VALU_DEP_1)
	v_fma_f64 v[9:10], v[9:10], v[17:18], v[11:12]
	v_div_scale_f64 v[11:12], null, v[9:10], v[9:10], 1.0
	v_div_scale_f64 v[27:28], vcc_lo, 1.0, v[9:10], 1.0
	s_delay_alu instid0(VALU_DEP_2) | instskip(SKIP_2) | instid1(VALU_DEP_1)
	v_rcp_f64_e32 v[19:20], v[11:12]
	s_waitcnt_depctr 0xfff
	v_fma_f64 v[25:26], -v[11:12], v[19:20], 1.0
	v_fma_f64 v[19:20], v[19:20], v[25:26], v[19:20]
	s_delay_alu instid0(VALU_DEP_1) | instskip(NEXT) | instid1(VALU_DEP_1)
	v_fma_f64 v[25:26], -v[11:12], v[19:20], 1.0
	v_fma_f64 v[19:20], v[19:20], v[25:26], v[19:20]
	s_delay_alu instid0(VALU_DEP_1) | instskip(NEXT) | instid1(VALU_DEP_1)
	v_mul_f64 v[25:26], v[27:28], v[19:20]
	v_fma_f64 v[11:12], -v[11:12], v[25:26], v[27:28]
	s_delay_alu instid0(VALU_DEP_1) | instskip(SKIP_1) | instid1(VALU_DEP_2)
	v_div_fmas_f64 v[11:12], v[11:12], v[19:20], v[25:26]
	v_fma_f64 v[19:20], s[8:9], v[17:18], s[10:11]
	v_div_fixup_f64 v[9:10], v[11:12], v[9:10], 1.0
	v_fma_f64 v[11:12], s[10:11], v[17:18], -s[8:9]
	s_delay_alu instid0(VALU_DEP_2) | instskip(NEXT) | instid1(VALU_DEP_2)
	v_mul_f64 v[17:18], v[19:20], v[9:10]
	v_mul_f64 v[19:20], v[11:12], v[9:10]
.LBB282_36:                             ;   in Loop: Header=BB282_4 Depth=1
	s_or_b32 exec_lo, exec_lo, s6
	v_cmp_gt_f64_e32 vcc_lo, 0, v[1:2]
	v_cmp_gt_f64_e64 s6, 0, v[3:4]
	v_xor_b32_e32 v9, 0x80000000, v2
	v_xor_b32_e32 v10, 0x80000000, v4
                                        ; implicit-def: $vgpr11_vgpr12
	s_delay_alu instid0(VALU_DEP_2) | instskip(NEXT) | instid1(VALU_DEP_2)
	v_cndmask_b32_e32 v26, v2, v9, vcc_lo
	v_cndmask_b32_e64 v28, v4, v10, s6
	v_cndmask_b32_e32 v25, v1, v1, vcc_lo
	v_cndmask_b32_e64 v27, v3, v3, s6
	s_mov_b32 s6, exec_lo
	s_delay_alu instid0(VALU_DEP_1)
	v_cmpx_ge_f64_e32 v[25:26], v[27:28]
	s_xor_b32 s25, exec_lo, s6
	s_cbranch_execnz .LBB282_42
; %bb.37:                               ;   in Loop: Header=BB282_4 Depth=1
	s_and_not1_saveexec_b32 s6, s25
	s_cbranch_execnz .LBB282_47
.LBB282_38:                             ;   in Loop: Header=BB282_4 Depth=1
	s_or_b32 exec_lo, exec_lo, s6
	s_and_saveexec_b32 s6, s2
	s_delay_alu instid0(SALU_CYCLE_1)
	s_xor_b32 s2, exec_lo, s6
	s_cbranch_execnz .LBB282_48
.LBB282_39:                             ;   in Loop: Header=BB282_4 Depth=1
	s_or_b32 exec_lo, exec_lo, s2
	s_and_saveexec_b32 s2, s3
	s_cbranch_execnz .LBB282_49
.LBB282_40:                             ;   in Loop: Header=BB282_4 Depth=1
	s_or_b32 exec_lo, exec_lo, s2
	s_and_saveexec_b32 s2, s4
	s_cbranch_execnz .LBB282_50
.LBB282_41:                             ;   in Loop: Header=BB282_4 Depth=1
	s_or_b32 exec_lo, exec_lo, s2
	s_and_saveexec_b32 s2, s5
	s_cbranch_execz .LBB282_3
	s_branch .LBB282_51
.LBB282_42:                             ;   in Loop: Header=BB282_4 Depth=1
	v_cmp_neq_f64_e32 vcc_lo, 0, v[1:2]
	v_cmp_neq_f64_e64 s6, 0, v[3:4]
                                        ; implicit-def: $vgpr11_vgpr12
	s_delay_alu instid0(VALU_DEP_1) | instskip(NEXT) | instid1(SALU_CYCLE_1)
	s_or_b32 s6, s6, vcc_lo
	s_and_saveexec_b32 s26, s6
	s_delay_alu instid0(SALU_CYCLE_1)
	s_xor_b32 s6, exec_lo, s26
	s_cbranch_execz .LBB282_44
; %bb.43:                               ;   in Loop: Header=BB282_4 Depth=1
	v_div_scale_f64 v[9:10], null, v[1:2], v[1:2], v[3:4]
	v_div_scale_f64 v[27:28], vcc_lo, v[3:4], v[1:2], v[3:4]
	s_delay_alu instid0(VALU_DEP_2) | instskip(SKIP_2) | instid1(VALU_DEP_1)
	v_rcp_f64_e32 v[11:12], v[9:10]
	s_waitcnt_depctr 0xfff
	v_fma_f64 v[25:26], -v[9:10], v[11:12], 1.0
	v_fma_f64 v[11:12], v[11:12], v[25:26], v[11:12]
	s_delay_alu instid0(VALU_DEP_1) | instskip(NEXT) | instid1(VALU_DEP_1)
	v_fma_f64 v[25:26], -v[9:10], v[11:12], 1.0
	v_fma_f64 v[11:12], v[11:12], v[25:26], v[11:12]
	s_delay_alu instid0(VALU_DEP_1) | instskip(NEXT) | instid1(VALU_DEP_1)
	v_mul_f64 v[25:26], v[27:28], v[11:12]
	v_fma_f64 v[9:10], -v[9:10], v[25:26], v[27:28]
	s_delay_alu instid0(VALU_DEP_1) | instskip(NEXT) | instid1(VALU_DEP_1)
	v_div_fmas_f64 v[9:10], v[9:10], v[11:12], v[25:26]
	v_div_fixup_f64 v[9:10], v[9:10], v[1:2], v[3:4]
	s_delay_alu instid0(VALU_DEP_1) | instskip(NEXT) | instid1(VALU_DEP_1)
	v_fma_f64 v[1:2], v[3:4], v[9:10], v[1:2]
	v_div_scale_f64 v[3:4], null, v[1:2], v[1:2], 1.0
	v_div_scale_f64 v[27:28], vcc_lo, 1.0, v[1:2], 1.0
	s_delay_alu instid0(VALU_DEP_2) | instskip(SKIP_2) | instid1(VALU_DEP_1)
	v_rcp_f64_e32 v[11:12], v[3:4]
	s_waitcnt_depctr 0xfff
	v_fma_f64 v[25:26], -v[3:4], v[11:12], 1.0
	v_fma_f64 v[11:12], v[11:12], v[25:26], v[11:12]
	s_delay_alu instid0(VALU_DEP_1) | instskip(NEXT) | instid1(VALU_DEP_1)
	v_fma_f64 v[25:26], -v[3:4], v[11:12], 1.0
	v_fma_f64 v[11:12], v[11:12], v[25:26], v[11:12]
	s_delay_alu instid0(VALU_DEP_1) | instskip(NEXT) | instid1(VALU_DEP_1)
	v_mul_f64 v[25:26], v[27:28], v[11:12]
	v_fma_f64 v[3:4], -v[3:4], v[25:26], v[27:28]
                                        ; implicit-def: $vgpr27_vgpr28
	s_delay_alu instid0(VALU_DEP_1) | instskip(SKIP_1) | instid1(VALU_DEP_2)
	v_div_fmas_f64 v[3:4], v[3:4], v[11:12], v[25:26]
	v_fma_f64 v[11:12], s[10:11], v[9:10], s[8:9]
                                        ; implicit-def: $vgpr25_vgpr26
	v_div_fixup_f64 v[1:2], v[3:4], v[1:2], 1.0
	v_fma_f64 v[3:4], -s[8:9], v[9:10], s[10:11]
	s_delay_alu instid0(VALU_DEP_2) | instskip(NEXT) | instid1(VALU_DEP_2)
	v_mul_f64 v[9:10], v[11:12], v[1:2]
	v_mul_f64 v[11:12], v[3:4], v[1:2]
.LBB282_44:                             ;   in Loop: Header=BB282_4 Depth=1
	s_and_not1_saveexec_b32 s26, s6
	s_cbranch_execz .LBB282_46
; %bb.45:                               ;   in Loop: Header=BB282_4 Depth=1
	v_div_scale_f64 v[1:2], null, v[25:26], v[25:26], s[8:9]
	v_div_scale_f64 v[3:4], null, v[27:28], v[27:28], s[10:11]
	v_div_scale_f64 v[41:42], vcc_lo, s[8:9], v[25:26], s[8:9]
	s_delay_alu instid0(VALU_DEP_3) | instskip(NEXT) | instid1(VALU_DEP_2)
	v_rcp_f64_e32 v[9:10], v[1:2]
	v_rcp_f64_e32 v[11:12], v[3:4]
	s_waitcnt_depctr 0xfff
	v_fma_f64 v[37:38], -v[1:2], v[9:10], 1.0
	v_fma_f64 v[39:40], -v[3:4], v[11:12], 1.0
	s_delay_alu instid0(VALU_DEP_2) | instskip(NEXT) | instid1(VALU_DEP_2)
	v_fma_f64 v[9:10], v[9:10], v[37:38], v[9:10]
	v_fma_f64 v[11:12], v[11:12], v[39:40], v[11:12]
	s_delay_alu instid0(VALU_DEP_2) | instskip(NEXT) | instid1(VALU_DEP_2)
	v_fma_f64 v[37:38], -v[1:2], v[9:10], 1.0
	v_fma_f64 v[39:40], -v[3:4], v[11:12], 1.0
	s_delay_alu instid0(VALU_DEP_2) | instskip(SKIP_1) | instid1(VALU_DEP_3)
	v_fma_f64 v[9:10], v[9:10], v[37:38], v[9:10]
	v_div_scale_f64 v[37:38], s6, s[10:11], v[27:28], s[10:11]
	v_fma_f64 v[11:12], v[11:12], v[39:40], v[11:12]
	s_delay_alu instid0(VALU_DEP_3) | instskip(NEXT) | instid1(VALU_DEP_2)
	v_mul_f64 v[39:40], v[41:42], v[9:10]
	v_mul_f64 v[43:44], v[37:38], v[11:12]
	s_delay_alu instid0(VALU_DEP_2) | instskip(NEXT) | instid1(VALU_DEP_2)
	v_fma_f64 v[1:2], -v[1:2], v[39:40], v[41:42]
	v_fma_f64 v[3:4], -v[3:4], v[43:44], v[37:38]
	s_delay_alu instid0(VALU_DEP_2) | instskip(SKIP_1) | instid1(VALU_DEP_2)
	v_div_fmas_f64 v[1:2], v[1:2], v[9:10], v[39:40]
	s_mov_b32 vcc_lo, s6
	v_div_fmas_f64 v[3:4], v[3:4], v[11:12], v[43:44]
	s_delay_alu instid0(VALU_DEP_2) | instskip(NEXT) | instid1(VALU_DEP_2)
	v_div_fixup_f64 v[9:10], v[1:2], v[25:26], s[8:9]
	v_div_fixup_f64 v[11:12], v[3:4], v[27:28], s[10:11]
.LBB282_46:                             ;   in Loop: Header=BB282_4 Depth=1
	s_or_b32 exec_lo, exec_lo, s26
                                        ; implicit-def: $vgpr3_vgpr4
	s_and_not1_saveexec_b32 s6, s25
	s_cbranch_execz .LBB282_38
.LBB282_47:                             ;   in Loop: Header=BB282_4 Depth=1
	v_div_scale_f64 v[9:10], null, v[3:4], v[3:4], v[1:2]
	v_div_scale_f64 v[27:28], vcc_lo, v[1:2], v[3:4], v[1:2]
	s_delay_alu instid0(VALU_DEP_2) | instskip(SKIP_2) | instid1(VALU_DEP_1)
	v_rcp_f64_e32 v[11:12], v[9:10]
	s_waitcnt_depctr 0xfff
	v_fma_f64 v[25:26], -v[9:10], v[11:12], 1.0
	v_fma_f64 v[11:12], v[11:12], v[25:26], v[11:12]
	s_delay_alu instid0(VALU_DEP_1) | instskip(NEXT) | instid1(VALU_DEP_1)
	v_fma_f64 v[25:26], -v[9:10], v[11:12], 1.0
	v_fma_f64 v[11:12], v[11:12], v[25:26], v[11:12]
	s_delay_alu instid0(VALU_DEP_1) | instskip(NEXT) | instid1(VALU_DEP_1)
	v_mul_f64 v[25:26], v[27:28], v[11:12]
	v_fma_f64 v[9:10], -v[9:10], v[25:26], v[27:28]
	s_delay_alu instid0(VALU_DEP_1) | instskip(NEXT) | instid1(VALU_DEP_1)
	v_div_fmas_f64 v[9:10], v[9:10], v[11:12], v[25:26]
	v_div_fixup_f64 v[9:10], v[9:10], v[3:4], v[1:2]
	s_delay_alu instid0(VALU_DEP_1) | instskip(NEXT) | instid1(VALU_DEP_1)
	v_fma_f64 v[1:2], v[1:2], v[9:10], v[3:4]
	v_div_scale_f64 v[3:4], null, v[1:2], v[1:2], 1.0
	v_div_scale_f64 v[27:28], vcc_lo, 1.0, v[1:2], 1.0
	s_delay_alu instid0(VALU_DEP_2) | instskip(SKIP_2) | instid1(VALU_DEP_1)
	v_rcp_f64_e32 v[11:12], v[3:4]
	s_waitcnt_depctr 0xfff
	v_fma_f64 v[25:26], -v[3:4], v[11:12], 1.0
	v_fma_f64 v[11:12], v[11:12], v[25:26], v[11:12]
	s_delay_alu instid0(VALU_DEP_1) | instskip(NEXT) | instid1(VALU_DEP_1)
	v_fma_f64 v[25:26], -v[3:4], v[11:12], 1.0
	v_fma_f64 v[11:12], v[11:12], v[25:26], v[11:12]
	s_delay_alu instid0(VALU_DEP_1) | instskip(NEXT) | instid1(VALU_DEP_1)
	v_mul_f64 v[25:26], v[27:28], v[11:12]
	v_fma_f64 v[3:4], -v[3:4], v[25:26], v[27:28]
	s_delay_alu instid0(VALU_DEP_1) | instskip(SKIP_1) | instid1(VALU_DEP_2)
	v_div_fmas_f64 v[3:4], v[3:4], v[11:12], v[25:26]
	v_fma_f64 v[11:12], s[8:9], v[9:10], s[10:11]
	v_div_fixup_f64 v[1:2], v[3:4], v[1:2], 1.0
	v_fma_f64 v[3:4], s[10:11], v[9:10], -s[8:9]
	s_delay_alu instid0(VALU_DEP_2) | instskip(NEXT) | instid1(VALU_DEP_2)
	v_mul_f64 v[9:10], v[11:12], v[1:2]
	v_mul_f64 v[11:12], v[3:4], v[1:2]
	s_or_b32 exec_lo, exec_lo, s6
	s_and_saveexec_b32 s6, s2
	s_delay_alu instid0(SALU_CYCLE_1)
	s_xor_b32 s2, exec_lo, s6
	s_cbranch_execz .LBB282_39
.LBB282_48:                             ;   in Loop: Header=BB282_4 Depth=1
	v_add_co_u32 v1, s6, s7, v21
	s_delay_alu instid0(VALU_DEP_1)
	v_add_co_ci_u32_e64 v2, null, s22, 0, s6
	global_store_b128 v[1:2], v[5:8], off
	s_or_b32 exec_lo, exec_lo, s2
	s_and_saveexec_b32 s2, s3
	s_cbranch_execz .LBB282_40
.LBB282_49:                             ;   in Loop: Header=BB282_4 Depth=1
	v_add_co_u32 v1, s3, s7, v33
	s_delay_alu instid0(VALU_DEP_1)
	v_add_co_ci_u32_e64 v2, null, s22, 0, s3
	global_store_b128 v[1:2], v[13:16], off
	s_or_b32 exec_lo, exec_lo, s2
	s_and_saveexec_b32 s2, s4
	s_cbranch_execz .LBB282_41
.LBB282_50:                             ;   in Loop: Header=BB282_4 Depth=1
	v_add_co_u32 v1, vcc_lo, s7, v34
	v_add_co_ci_u32_e32 v2, vcc_lo, s22, v32, vcc_lo
	global_store_b128 v[1:2], v[17:20], off offset:-8
	s_or_b32 exec_lo, exec_lo, s2
	s_and_saveexec_b32 s2, s5
	s_cbranch_execz .LBB282_3
.LBB282_51:                             ;   in Loop: Header=BB282_4 Depth=1
	v_add_co_u32 v1, vcc_lo, s7, v23
	v_add_co_ci_u32_e32 v2, vcc_lo, s22, v24, vcc_lo
	global_store_b128 v[1:2], v[9:12], off offset:-8
	s_branch .LBB282_3
.LBB282_52:
	s_cbranch_execz .LBB282_54
	s_branch .LBB282_89
.LBB282_53:
.LBB282_54:
	v_dual_mov_b32 v21, 0 :: v_dual_lshlrev_b32 v20, 2, v0
	s_mov_b32 s2, 0
	s_mov_b32 s3, exec_lo
	s_delay_alu instid0(VALU_DEP_1)
	v_cmpx_gt_i64_e64 s[12:13], v[20:21]
	s_cbranch_execz .LBB282_89
; %bb.55:
	s_load_b32 s0, s[0:1], 0xd4c
	v_lshlrev_b32_e32 v1, 6, v0
	s_waitcnt lgkmcnt(0)
	s_and_b32 s0, s0, 0xffff
	s_delay_alu instid0(SALU_CYCLE_1)
	s_lshl_b32 s1, s0, 2
	s_add_u32 s3, s14, s16
	s_addc_u32 s4, s15, s17
	v_add_co_u32 v22, s3, s3, v1
	v_add_lshl_u32 v20, v0, s0, 2
	v_add_co_ci_u32_e64 v23, null, s4, 0, s3
	s_lshl_b32 s3, s0, 6
	s_branch .LBB282_57
.LBB282_56:                             ;   in Loop: Header=BB282_57 Depth=1
	s_or_b32 exec_lo, exec_lo, s0
	v_cmp_le_i64_e32 vcc_lo, s[12:13], v[20:21]
	v_cmp_lt_u64_e64 s0, 0xffff, v[20:21]
	s_clause 0x3
	global_store_b128 v[22:23], v[0:3], off
	global_store_b128 v[22:23], v[8:11], off offset:16
	global_store_b128 v[22:23], v[16:19], off offset:32
	;; [unrolled: 1-line block ×3, first 2 shown]
	s_or_b32 s0, vcc_lo, s0
	v_add_co_u32 v20, vcc_lo, v20, s1
	v_add_co_ci_u32_e32 v21, vcc_lo, 0, v21, vcc_lo
	v_add_co_u32 v22, vcc_lo, v22, s3
	v_add_co_ci_u32_e32 v23, vcc_lo, 0, v23, vcc_lo
	s_and_b32 s0, exec_lo, s0
	s_delay_alu instid0(SALU_CYCLE_1) | instskip(NEXT) | instid1(SALU_CYCLE_1)
	s_or_b32 s2, s0, s2
	s_and_not1_b32 exec_lo, exec_lo, s2
	s_cbranch_execz .LBB282_89
.LBB282_57:                             ; =>This Inner Loop Header: Depth=1
	s_clause 0x3
	global_load_b128 v[8:11], v[22:23], off
	global_load_b128 v[16:19], v[22:23], off offset:16
	global_load_b128 v[4:7], v[22:23], off offset:48
	;; [unrolled: 1-line block ×3, first 2 shown]
                                        ; implicit-def: $vgpr2_vgpr3
	s_mov_b32 s0, exec_lo
	s_waitcnt vmcnt(3)
	v_cmp_gt_f64_e32 vcc_lo, 0, v[8:9]
	v_xor_b32_e32 v0, 0x80000000, v9
	v_mov_b32_e32 v24, v8
	v_xor_b32_e32 v1, 0x80000000, v11
	s_delay_alu instid0(VALU_DEP_3) | instskip(SKIP_1) | instid1(VALU_DEP_3)
	v_dual_mov_b32 v26, v10 :: v_dual_cndmask_b32 v25, v9, v0
	v_cmp_gt_f64_e32 vcc_lo, 0, v[10:11]
	v_cndmask_b32_e32 v27, v11, v1, vcc_lo
	s_delay_alu instid0(VALU_DEP_1)
	v_cmpx_ge_f64_e32 v[24:25], v[26:27]
	s_xor_b32 s4, exec_lo, s0
	s_cbranch_execz .LBB282_63
; %bb.58:                               ;   in Loop: Header=BB282_57 Depth=1
	v_cmp_neq_f64_e32 vcc_lo, 0, v[8:9]
	v_cmp_neq_f64_e64 s0, 0, v[10:11]
                                        ; implicit-def: $vgpr2_vgpr3
	s_delay_alu instid0(VALU_DEP_1) | instskip(NEXT) | instid1(SALU_CYCLE_1)
	s_or_b32 s0, vcc_lo, s0
	s_and_saveexec_b32 s5, s0
	s_delay_alu instid0(SALU_CYCLE_1)
	s_xor_b32 s0, exec_lo, s5
	s_cbranch_execz .LBB282_60
; %bb.59:                               ;   in Loop: Header=BB282_57 Depth=1
	v_div_scale_f64 v[0:1], null, v[8:9], v[8:9], v[10:11]
	v_div_scale_f64 v[26:27], vcc_lo, v[10:11], v[8:9], v[10:11]
	s_delay_alu instid0(VALU_DEP_2) | instskip(SKIP_2) | instid1(VALU_DEP_1)
	v_rcp_f64_e32 v[2:3], v[0:1]
	s_waitcnt_depctr 0xfff
	v_fma_f64 v[24:25], -v[0:1], v[2:3], 1.0
	v_fma_f64 v[2:3], v[2:3], v[24:25], v[2:3]
	s_delay_alu instid0(VALU_DEP_1) | instskip(NEXT) | instid1(VALU_DEP_1)
	v_fma_f64 v[24:25], -v[0:1], v[2:3], 1.0
	v_fma_f64 v[2:3], v[2:3], v[24:25], v[2:3]
	s_delay_alu instid0(VALU_DEP_1) | instskip(NEXT) | instid1(VALU_DEP_1)
	v_mul_f64 v[24:25], v[26:27], v[2:3]
	v_fma_f64 v[0:1], -v[0:1], v[24:25], v[26:27]
	s_delay_alu instid0(VALU_DEP_1) | instskip(NEXT) | instid1(VALU_DEP_1)
	v_div_fmas_f64 v[0:1], v[0:1], v[2:3], v[24:25]
	v_div_fixup_f64 v[0:1], v[0:1], v[8:9], v[10:11]
	s_delay_alu instid0(VALU_DEP_1) | instskip(NEXT) | instid1(VALU_DEP_1)
	v_fma_f64 v[2:3], v[10:11], v[0:1], v[8:9]
	v_div_scale_f64 v[8:9], null, v[2:3], v[2:3], 1.0
	v_div_scale_f64 v[26:27], vcc_lo, 1.0, v[2:3], 1.0
	s_delay_alu instid0(VALU_DEP_2) | instskip(SKIP_2) | instid1(VALU_DEP_1)
	v_rcp_f64_e32 v[10:11], v[8:9]
	s_waitcnt_depctr 0xfff
	v_fma_f64 v[24:25], -v[8:9], v[10:11], 1.0
	v_fma_f64 v[10:11], v[10:11], v[24:25], v[10:11]
	s_delay_alu instid0(VALU_DEP_1) | instskip(NEXT) | instid1(VALU_DEP_1)
	v_fma_f64 v[24:25], -v[8:9], v[10:11], 1.0
	v_fma_f64 v[10:11], v[10:11], v[24:25], v[10:11]
	s_delay_alu instid0(VALU_DEP_1) | instskip(NEXT) | instid1(VALU_DEP_1)
	v_mul_f64 v[24:25], v[26:27], v[10:11]
	v_fma_f64 v[8:9], -v[8:9], v[24:25], v[26:27]
                                        ; implicit-def: $vgpr26_vgpr27
	s_delay_alu instid0(VALU_DEP_1) | instskip(SKIP_1) | instid1(VALU_DEP_2)
	v_div_fmas_f64 v[8:9], v[8:9], v[10:11], v[24:25]
	v_fma_f64 v[10:11], s[10:11], v[0:1], s[8:9]
                                        ; implicit-def: $vgpr24_vgpr25
	v_div_fixup_f64 v[2:3], v[8:9], v[2:3], 1.0
	v_fma_f64 v[8:9], -s[8:9], v[0:1], s[10:11]
	s_delay_alu instid0(VALU_DEP_2) | instskip(NEXT) | instid1(VALU_DEP_2)
	v_mul_f64 v[0:1], v[10:11], v[2:3]
	v_mul_f64 v[2:3], v[8:9], v[2:3]
.LBB282_60:                             ;   in Loop: Header=BB282_57 Depth=1
	s_and_not1_saveexec_b32 s5, s0
	s_cbranch_execz .LBB282_62
; %bb.61:                               ;   in Loop: Header=BB282_57 Depth=1
	v_div_scale_f64 v[0:1], null, v[24:25], v[24:25], s[8:9]
	v_div_scale_f64 v[2:3], null, v[26:27], v[26:27], s[10:11]
	v_div_scale_f64 v[32:33], vcc_lo, s[8:9], v[24:25], s[8:9]
	s_delay_alu instid0(VALU_DEP_3) | instskip(NEXT) | instid1(VALU_DEP_2)
	v_rcp_f64_e32 v[8:9], v[0:1]
	v_rcp_f64_e32 v[10:11], v[2:3]
	s_waitcnt_depctr 0xfff
	v_fma_f64 v[28:29], -v[0:1], v[8:9], 1.0
	v_fma_f64 v[30:31], -v[2:3], v[10:11], 1.0
	s_delay_alu instid0(VALU_DEP_2) | instskip(NEXT) | instid1(VALU_DEP_2)
	v_fma_f64 v[8:9], v[8:9], v[28:29], v[8:9]
	v_fma_f64 v[10:11], v[10:11], v[30:31], v[10:11]
	s_delay_alu instid0(VALU_DEP_2) | instskip(NEXT) | instid1(VALU_DEP_2)
	v_fma_f64 v[28:29], -v[0:1], v[8:9], 1.0
	v_fma_f64 v[30:31], -v[2:3], v[10:11], 1.0
	s_delay_alu instid0(VALU_DEP_2) | instskip(SKIP_1) | instid1(VALU_DEP_3)
	v_fma_f64 v[8:9], v[8:9], v[28:29], v[8:9]
	v_div_scale_f64 v[28:29], s0, s[10:11], v[26:27], s[10:11]
	v_fma_f64 v[10:11], v[10:11], v[30:31], v[10:11]
	s_delay_alu instid0(VALU_DEP_3) | instskip(NEXT) | instid1(VALU_DEP_2)
	v_mul_f64 v[30:31], v[32:33], v[8:9]
	v_mul_f64 v[34:35], v[28:29], v[10:11]
	s_delay_alu instid0(VALU_DEP_2) | instskip(NEXT) | instid1(VALU_DEP_2)
	v_fma_f64 v[0:1], -v[0:1], v[30:31], v[32:33]
	v_fma_f64 v[2:3], -v[2:3], v[34:35], v[28:29]
	s_delay_alu instid0(VALU_DEP_2) | instskip(SKIP_1) | instid1(VALU_DEP_2)
	v_div_fmas_f64 v[0:1], v[0:1], v[8:9], v[30:31]
	s_mov_b32 vcc_lo, s0
	v_div_fmas_f64 v[2:3], v[2:3], v[10:11], v[34:35]
	s_delay_alu instid0(VALU_DEP_2) | instskip(NEXT) | instid1(VALU_DEP_2)
	v_div_fixup_f64 v[0:1], v[0:1], v[24:25], s[8:9]
	v_div_fixup_f64 v[2:3], v[2:3], v[26:27], s[10:11]
.LBB282_62:                             ;   in Loop: Header=BB282_57 Depth=1
	s_or_b32 exec_lo, exec_lo, s5
                                        ; implicit-def: $vgpr10_vgpr11
.LBB282_63:                             ;   in Loop: Header=BB282_57 Depth=1
	s_and_not1_saveexec_b32 s0, s4
	s_cbranch_execz .LBB282_65
; %bb.64:                               ;   in Loop: Header=BB282_57 Depth=1
	v_div_scale_f64 v[0:1], null, v[10:11], v[10:11], v[8:9]
	v_div_scale_f64 v[26:27], vcc_lo, v[8:9], v[10:11], v[8:9]
	s_delay_alu instid0(VALU_DEP_2) | instskip(SKIP_2) | instid1(VALU_DEP_1)
	v_rcp_f64_e32 v[2:3], v[0:1]
	s_waitcnt_depctr 0xfff
	v_fma_f64 v[24:25], -v[0:1], v[2:3], 1.0
	v_fma_f64 v[2:3], v[2:3], v[24:25], v[2:3]
	s_delay_alu instid0(VALU_DEP_1) | instskip(NEXT) | instid1(VALU_DEP_1)
	v_fma_f64 v[24:25], -v[0:1], v[2:3], 1.0
	v_fma_f64 v[2:3], v[2:3], v[24:25], v[2:3]
	s_delay_alu instid0(VALU_DEP_1) | instskip(NEXT) | instid1(VALU_DEP_1)
	v_mul_f64 v[24:25], v[26:27], v[2:3]
	v_fma_f64 v[0:1], -v[0:1], v[24:25], v[26:27]
	s_delay_alu instid0(VALU_DEP_1) | instskip(NEXT) | instid1(VALU_DEP_1)
	v_div_fmas_f64 v[0:1], v[0:1], v[2:3], v[24:25]
	v_div_fixup_f64 v[0:1], v[0:1], v[10:11], v[8:9]
	s_delay_alu instid0(VALU_DEP_1) | instskip(NEXT) | instid1(VALU_DEP_1)
	v_fma_f64 v[2:3], v[8:9], v[0:1], v[10:11]
	v_div_scale_f64 v[8:9], null, v[2:3], v[2:3], 1.0
	v_div_scale_f64 v[26:27], vcc_lo, 1.0, v[2:3], 1.0
	s_delay_alu instid0(VALU_DEP_2) | instskip(SKIP_2) | instid1(VALU_DEP_1)
	v_rcp_f64_e32 v[10:11], v[8:9]
	s_waitcnt_depctr 0xfff
	v_fma_f64 v[24:25], -v[8:9], v[10:11], 1.0
	v_fma_f64 v[10:11], v[10:11], v[24:25], v[10:11]
	s_delay_alu instid0(VALU_DEP_1) | instskip(NEXT) | instid1(VALU_DEP_1)
	v_fma_f64 v[24:25], -v[8:9], v[10:11], 1.0
	v_fma_f64 v[10:11], v[10:11], v[24:25], v[10:11]
	s_delay_alu instid0(VALU_DEP_1) | instskip(NEXT) | instid1(VALU_DEP_1)
	v_mul_f64 v[24:25], v[26:27], v[10:11]
	v_fma_f64 v[8:9], -v[8:9], v[24:25], v[26:27]
	s_delay_alu instid0(VALU_DEP_1) | instskip(SKIP_1) | instid1(VALU_DEP_2)
	v_div_fmas_f64 v[8:9], v[8:9], v[10:11], v[24:25]
	v_fma_f64 v[10:11], s[8:9], v[0:1], s[10:11]
	v_div_fixup_f64 v[2:3], v[8:9], v[2:3], 1.0
	v_fma_f64 v[8:9], s[10:11], v[0:1], -s[8:9]
	s_delay_alu instid0(VALU_DEP_2) | instskip(NEXT) | instid1(VALU_DEP_2)
	v_mul_f64 v[0:1], v[10:11], v[2:3]
	v_mul_f64 v[2:3], v[8:9], v[2:3]
.LBB282_65:                             ;   in Loop: Header=BB282_57 Depth=1
	s_or_b32 exec_lo, exec_lo, s0
	s_waitcnt vmcnt(2)
	v_cmp_gt_f64_e32 vcc_lo, 0, v[16:17]
	v_xor_b32_e32 v8, 0x80000000, v17
	v_mov_b32_e32 v24, v16
	v_xor_b32_e32 v9, 0x80000000, v19
                                        ; implicit-def: $vgpr10_vgpr11
	s_mov_b32 s0, exec_lo
	s_delay_alu instid0(VALU_DEP_3) | instskip(SKIP_1) | instid1(VALU_DEP_3)
	v_dual_mov_b32 v26, v18 :: v_dual_cndmask_b32 v25, v17, v8
	v_cmp_gt_f64_e32 vcc_lo, 0, v[18:19]
	v_cndmask_b32_e32 v27, v19, v9, vcc_lo
	s_delay_alu instid0(VALU_DEP_1)
	v_cmpx_ge_f64_e32 v[24:25], v[26:27]
	s_xor_b32 s4, exec_lo, s0
	s_cbranch_execz .LBB282_71
; %bb.66:                               ;   in Loop: Header=BB282_57 Depth=1
	v_cmp_neq_f64_e32 vcc_lo, 0, v[16:17]
	v_cmp_neq_f64_e64 s0, 0, v[18:19]
                                        ; implicit-def: $vgpr10_vgpr11
	s_delay_alu instid0(VALU_DEP_1) | instskip(NEXT) | instid1(SALU_CYCLE_1)
	s_or_b32 s0, vcc_lo, s0
	s_and_saveexec_b32 s5, s0
	s_delay_alu instid0(SALU_CYCLE_1)
	s_xor_b32 s0, exec_lo, s5
	s_cbranch_execz .LBB282_68
; %bb.67:                               ;   in Loop: Header=BB282_57 Depth=1
	v_div_scale_f64 v[8:9], null, v[16:17], v[16:17], v[18:19]
	v_div_scale_f64 v[26:27], vcc_lo, v[18:19], v[16:17], v[18:19]
	s_delay_alu instid0(VALU_DEP_2) | instskip(SKIP_2) | instid1(VALU_DEP_1)
	v_rcp_f64_e32 v[10:11], v[8:9]
	s_waitcnt_depctr 0xfff
	v_fma_f64 v[24:25], -v[8:9], v[10:11], 1.0
	v_fma_f64 v[10:11], v[10:11], v[24:25], v[10:11]
	s_delay_alu instid0(VALU_DEP_1) | instskip(NEXT) | instid1(VALU_DEP_1)
	v_fma_f64 v[24:25], -v[8:9], v[10:11], 1.0
	v_fma_f64 v[10:11], v[10:11], v[24:25], v[10:11]
	s_delay_alu instid0(VALU_DEP_1) | instskip(NEXT) | instid1(VALU_DEP_1)
	v_mul_f64 v[24:25], v[26:27], v[10:11]
	v_fma_f64 v[8:9], -v[8:9], v[24:25], v[26:27]
	s_delay_alu instid0(VALU_DEP_1) | instskip(NEXT) | instid1(VALU_DEP_1)
	v_div_fmas_f64 v[8:9], v[8:9], v[10:11], v[24:25]
	v_div_fixup_f64 v[8:9], v[8:9], v[16:17], v[18:19]
	s_delay_alu instid0(VALU_DEP_1) | instskip(NEXT) | instid1(VALU_DEP_1)
	v_fma_f64 v[10:11], v[18:19], v[8:9], v[16:17]
	v_div_scale_f64 v[16:17], null, v[10:11], v[10:11], 1.0
	v_div_scale_f64 v[26:27], vcc_lo, 1.0, v[10:11], 1.0
	s_delay_alu instid0(VALU_DEP_2) | instskip(SKIP_2) | instid1(VALU_DEP_1)
	v_rcp_f64_e32 v[18:19], v[16:17]
	s_waitcnt_depctr 0xfff
	v_fma_f64 v[24:25], -v[16:17], v[18:19], 1.0
	v_fma_f64 v[18:19], v[18:19], v[24:25], v[18:19]
	s_delay_alu instid0(VALU_DEP_1) | instskip(NEXT) | instid1(VALU_DEP_1)
	v_fma_f64 v[24:25], -v[16:17], v[18:19], 1.0
	v_fma_f64 v[18:19], v[18:19], v[24:25], v[18:19]
	s_delay_alu instid0(VALU_DEP_1) | instskip(NEXT) | instid1(VALU_DEP_1)
	v_mul_f64 v[24:25], v[26:27], v[18:19]
	v_fma_f64 v[16:17], -v[16:17], v[24:25], v[26:27]
                                        ; implicit-def: $vgpr26_vgpr27
	s_delay_alu instid0(VALU_DEP_1) | instskip(SKIP_1) | instid1(VALU_DEP_2)
	v_div_fmas_f64 v[16:17], v[16:17], v[18:19], v[24:25]
	v_fma_f64 v[18:19], s[10:11], v[8:9], s[8:9]
                                        ; implicit-def: $vgpr24_vgpr25
	v_div_fixup_f64 v[10:11], v[16:17], v[10:11], 1.0
	v_fma_f64 v[16:17], -s[8:9], v[8:9], s[10:11]
	s_delay_alu instid0(VALU_DEP_2) | instskip(NEXT) | instid1(VALU_DEP_2)
	v_mul_f64 v[8:9], v[18:19], v[10:11]
	v_mul_f64 v[10:11], v[16:17], v[10:11]
.LBB282_68:                             ;   in Loop: Header=BB282_57 Depth=1
	s_and_not1_saveexec_b32 s5, s0
	s_cbranch_execz .LBB282_70
; %bb.69:                               ;   in Loop: Header=BB282_57 Depth=1
	v_div_scale_f64 v[8:9], null, v[24:25], v[24:25], s[8:9]
	v_div_scale_f64 v[10:11], null, v[26:27], v[26:27], s[10:11]
	v_div_scale_f64 v[32:33], vcc_lo, s[8:9], v[24:25], s[8:9]
	s_delay_alu instid0(VALU_DEP_3) | instskip(NEXT) | instid1(VALU_DEP_2)
	v_rcp_f64_e32 v[16:17], v[8:9]
	v_rcp_f64_e32 v[18:19], v[10:11]
	s_waitcnt_depctr 0xfff
	v_fma_f64 v[28:29], -v[8:9], v[16:17], 1.0
	v_fma_f64 v[30:31], -v[10:11], v[18:19], 1.0
	s_delay_alu instid0(VALU_DEP_2) | instskip(NEXT) | instid1(VALU_DEP_2)
	v_fma_f64 v[16:17], v[16:17], v[28:29], v[16:17]
	v_fma_f64 v[18:19], v[18:19], v[30:31], v[18:19]
	s_delay_alu instid0(VALU_DEP_2) | instskip(NEXT) | instid1(VALU_DEP_2)
	v_fma_f64 v[28:29], -v[8:9], v[16:17], 1.0
	v_fma_f64 v[30:31], -v[10:11], v[18:19], 1.0
	s_delay_alu instid0(VALU_DEP_2) | instskip(SKIP_1) | instid1(VALU_DEP_3)
	v_fma_f64 v[16:17], v[16:17], v[28:29], v[16:17]
	v_div_scale_f64 v[28:29], s0, s[10:11], v[26:27], s[10:11]
	v_fma_f64 v[18:19], v[18:19], v[30:31], v[18:19]
	s_delay_alu instid0(VALU_DEP_3) | instskip(NEXT) | instid1(VALU_DEP_2)
	v_mul_f64 v[30:31], v[32:33], v[16:17]
	v_mul_f64 v[34:35], v[28:29], v[18:19]
	s_delay_alu instid0(VALU_DEP_2) | instskip(NEXT) | instid1(VALU_DEP_2)
	v_fma_f64 v[8:9], -v[8:9], v[30:31], v[32:33]
	v_fma_f64 v[10:11], -v[10:11], v[34:35], v[28:29]
	s_delay_alu instid0(VALU_DEP_2) | instskip(SKIP_1) | instid1(VALU_DEP_2)
	v_div_fmas_f64 v[8:9], v[8:9], v[16:17], v[30:31]
	s_mov_b32 vcc_lo, s0
	v_div_fmas_f64 v[10:11], v[10:11], v[18:19], v[34:35]
	s_delay_alu instid0(VALU_DEP_2) | instskip(NEXT) | instid1(VALU_DEP_2)
	v_div_fixup_f64 v[8:9], v[8:9], v[24:25], s[8:9]
	v_div_fixup_f64 v[10:11], v[10:11], v[26:27], s[10:11]
.LBB282_70:                             ;   in Loop: Header=BB282_57 Depth=1
	s_or_b32 exec_lo, exec_lo, s5
                                        ; implicit-def: $vgpr18_vgpr19
.LBB282_71:                             ;   in Loop: Header=BB282_57 Depth=1
	s_and_not1_saveexec_b32 s0, s4
	s_cbranch_execz .LBB282_73
; %bb.72:                               ;   in Loop: Header=BB282_57 Depth=1
	v_div_scale_f64 v[8:9], null, v[18:19], v[18:19], v[16:17]
	v_div_scale_f64 v[26:27], vcc_lo, v[16:17], v[18:19], v[16:17]
	s_delay_alu instid0(VALU_DEP_2) | instskip(SKIP_2) | instid1(VALU_DEP_1)
	v_rcp_f64_e32 v[10:11], v[8:9]
	s_waitcnt_depctr 0xfff
	v_fma_f64 v[24:25], -v[8:9], v[10:11], 1.0
	v_fma_f64 v[10:11], v[10:11], v[24:25], v[10:11]
	s_delay_alu instid0(VALU_DEP_1) | instskip(NEXT) | instid1(VALU_DEP_1)
	v_fma_f64 v[24:25], -v[8:9], v[10:11], 1.0
	v_fma_f64 v[10:11], v[10:11], v[24:25], v[10:11]
	s_delay_alu instid0(VALU_DEP_1) | instskip(NEXT) | instid1(VALU_DEP_1)
	v_mul_f64 v[24:25], v[26:27], v[10:11]
	v_fma_f64 v[8:9], -v[8:9], v[24:25], v[26:27]
	s_delay_alu instid0(VALU_DEP_1) | instskip(NEXT) | instid1(VALU_DEP_1)
	v_div_fmas_f64 v[8:9], v[8:9], v[10:11], v[24:25]
	v_div_fixup_f64 v[8:9], v[8:9], v[18:19], v[16:17]
	s_delay_alu instid0(VALU_DEP_1) | instskip(NEXT) | instid1(VALU_DEP_1)
	v_fma_f64 v[10:11], v[16:17], v[8:9], v[18:19]
	v_div_scale_f64 v[16:17], null, v[10:11], v[10:11], 1.0
	v_div_scale_f64 v[26:27], vcc_lo, 1.0, v[10:11], 1.0
	s_delay_alu instid0(VALU_DEP_2) | instskip(SKIP_2) | instid1(VALU_DEP_1)
	v_rcp_f64_e32 v[18:19], v[16:17]
	s_waitcnt_depctr 0xfff
	v_fma_f64 v[24:25], -v[16:17], v[18:19], 1.0
	v_fma_f64 v[18:19], v[18:19], v[24:25], v[18:19]
	s_delay_alu instid0(VALU_DEP_1) | instskip(NEXT) | instid1(VALU_DEP_1)
	v_fma_f64 v[24:25], -v[16:17], v[18:19], 1.0
	v_fma_f64 v[18:19], v[18:19], v[24:25], v[18:19]
	s_delay_alu instid0(VALU_DEP_1) | instskip(NEXT) | instid1(VALU_DEP_1)
	v_mul_f64 v[24:25], v[26:27], v[18:19]
	v_fma_f64 v[16:17], -v[16:17], v[24:25], v[26:27]
	s_delay_alu instid0(VALU_DEP_1) | instskip(SKIP_1) | instid1(VALU_DEP_2)
	v_div_fmas_f64 v[16:17], v[16:17], v[18:19], v[24:25]
	v_fma_f64 v[18:19], s[8:9], v[8:9], s[10:11]
	v_div_fixup_f64 v[10:11], v[16:17], v[10:11], 1.0
	v_fma_f64 v[16:17], s[10:11], v[8:9], -s[8:9]
	s_delay_alu instid0(VALU_DEP_2) | instskip(NEXT) | instid1(VALU_DEP_2)
	v_mul_f64 v[8:9], v[18:19], v[10:11]
	v_mul_f64 v[10:11], v[16:17], v[10:11]
.LBB282_73:                             ;   in Loop: Header=BB282_57 Depth=1
	s_or_b32 exec_lo, exec_lo, s0
	s_waitcnt vmcnt(0)
	v_cmp_gt_f64_e32 vcc_lo, 0, v[12:13]
	v_xor_b32_e32 v16, 0x80000000, v13
	v_mov_b32_e32 v24, v12
	v_xor_b32_e32 v17, 0x80000000, v15
                                        ; implicit-def: $vgpr18_vgpr19
	s_mov_b32 s0, exec_lo
	s_delay_alu instid0(VALU_DEP_3) | instskip(SKIP_1) | instid1(VALU_DEP_3)
	v_dual_mov_b32 v26, v14 :: v_dual_cndmask_b32 v25, v13, v16
	v_cmp_gt_f64_e32 vcc_lo, 0, v[14:15]
	v_cndmask_b32_e32 v27, v15, v17, vcc_lo
	s_delay_alu instid0(VALU_DEP_1)
	v_cmpx_ge_f64_e32 v[24:25], v[26:27]
	s_xor_b32 s4, exec_lo, s0
	s_cbranch_execz .LBB282_79
; %bb.74:                               ;   in Loop: Header=BB282_57 Depth=1
	v_cmp_neq_f64_e32 vcc_lo, 0, v[12:13]
	v_cmp_neq_f64_e64 s0, 0, v[14:15]
                                        ; implicit-def: $vgpr18_vgpr19
	s_delay_alu instid0(VALU_DEP_1) | instskip(NEXT) | instid1(SALU_CYCLE_1)
	s_or_b32 s0, vcc_lo, s0
	s_and_saveexec_b32 s5, s0
	s_delay_alu instid0(SALU_CYCLE_1)
	s_xor_b32 s0, exec_lo, s5
	s_cbranch_execz .LBB282_76
; %bb.75:                               ;   in Loop: Header=BB282_57 Depth=1
	v_div_scale_f64 v[16:17], null, v[12:13], v[12:13], v[14:15]
	v_div_scale_f64 v[26:27], vcc_lo, v[14:15], v[12:13], v[14:15]
	s_delay_alu instid0(VALU_DEP_2) | instskip(SKIP_2) | instid1(VALU_DEP_1)
	v_rcp_f64_e32 v[18:19], v[16:17]
	s_waitcnt_depctr 0xfff
	v_fma_f64 v[24:25], -v[16:17], v[18:19], 1.0
	v_fma_f64 v[18:19], v[18:19], v[24:25], v[18:19]
	s_delay_alu instid0(VALU_DEP_1) | instskip(NEXT) | instid1(VALU_DEP_1)
	v_fma_f64 v[24:25], -v[16:17], v[18:19], 1.0
	v_fma_f64 v[18:19], v[18:19], v[24:25], v[18:19]
	s_delay_alu instid0(VALU_DEP_1) | instskip(NEXT) | instid1(VALU_DEP_1)
	v_mul_f64 v[24:25], v[26:27], v[18:19]
	v_fma_f64 v[16:17], -v[16:17], v[24:25], v[26:27]
	s_delay_alu instid0(VALU_DEP_1) | instskip(NEXT) | instid1(VALU_DEP_1)
	v_div_fmas_f64 v[16:17], v[16:17], v[18:19], v[24:25]
	v_div_fixup_f64 v[16:17], v[16:17], v[12:13], v[14:15]
	s_delay_alu instid0(VALU_DEP_1) | instskip(NEXT) | instid1(VALU_DEP_1)
	v_fma_f64 v[12:13], v[14:15], v[16:17], v[12:13]
	v_div_scale_f64 v[14:15], null, v[12:13], v[12:13], 1.0
	v_div_scale_f64 v[26:27], vcc_lo, 1.0, v[12:13], 1.0
	s_delay_alu instid0(VALU_DEP_2) | instskip(SKIP_2) | instid1(VALU_DEP_1)
	v_rcp_f64_e32 v[18:19], v[14:15]
	s_waitcnt_depctr 0xfff
	v_fma_f64 v[24:25], -v[14:15], v[18:19], 1.0
	v_fma_f64 v[18:19], v[18:19], v[24:25], v[18:19]
	s_delay_alu instid0(VALU_DEP_1) | instskip(NEXT) | instid1(VALU_DEP_1)
	v_fma_f64 v[24:25], -v[14:15], v[18:19], 1.0
	v_fma_f64 v[18:19], v[18:19], v[24:25], v[18:19]
	s_delay_alu instid0(VALU_DEP_1) | instskip(NEXT) | instid1(VALU_DEP_1)
	v_mul_f64 v[24:25], v[26:27], v[18:19]
	v_fma_f64 v[14:15], -v[14:15], v[24:25], v[26:27]
                                        ; implicit-def: $vgpr26_vgpr27
	s_delay_alu instid0(VALU_DEP_1) | instskip(SKIP_1) | instid1(VALU_DEP_2)
	v_div_fmas_f64 v[14:15], v[14:15], v[18:19], v[24:25]
	v_fma_f64 v[18:19], s[10:11], v[16:17], s[8:9]
                                        ; implicit-def: $vgpr24_vgpr25
	v_div_fixup_f64 v[12:13], v[14:15], v[12:13], 1.0
	v_fma_f64 v[14:15], -s[8:9], v[16:17], s[10:11]
	s_delay_alu instid0(VALU_DEP_2) | instskip(NEXT) | instid1(VALU_DEP_2)
	v_mul_f64 v[16:17], v[18:19], v[12:13]
	v_mul_f64 v[18:19], v[14:15], v[12:13]
.LBB282_76:                             ;   in Loop: Header=BB282_57 Depth=1
	s_and_not1_saveexec_b32 s5, s0
	s_cbranch_execz .LBB282_78
; %bb.77:                               ;   in Loop: Header=BB282_57 Depth=1
	v_div_scale_f64 v[12:13], null, v[24:25], v[24:25], s[8:9]
	v_div_scale_f64 v[14:15], null, v[26:27], v[26:27], s[10:11]
	v_div_scale_f64 v[32:33], vcc_lo, s[8:9], v[24:25], s[8:9]
	s_delay_alu instid0(VALU_DEP_3) | instskip(NEXT) | instid1(VALU_DEP_2)
	v_rcp_f64_e32 v[16:17], v[12:13]
	v_rcp_f64_e32 v[18:19], v[14:15]
	s_waitcnt_depctr 0xfff
	v_fma_f64 v[28:29], -v[12:13], v[16:17], 1.0
	v_fma_f64 v[30:31], -v[14:15], v[18:19], 1.0
	s_delay_alu instid0(VALU_DEP_2) | instskip(NEXT) | instid1(VALU_DEP_2)
	v_fma_f64 v[16:17], v[16:17], v[28:29], v[16:17]
	v_fma_f64 v[18:19], v[18:19], v[30:31], v[18:19]
	s_delay_alu instid0(VALU_DEP_2) | instskip(NEXT) | instid1(VALU_DEP_2)
	v_fma_f64 v[28:29], -v[12:13], v[16:17], 1.0
	v_fma_f64 v[30:31], -v[14:15], v[18:19], 1.0
	s_delay_alu instid0(VALU_DEP_2) | instskip(SKIP_1) | instid1(VALU_DEP_3)
	v_fma_f64 v[16:17], v[16:17], v[28:29], v[16:17]
	v_div_scale_f64 v[28:29], s0, s[10:11], v[26:27], s[10:11]
	v_fma_f64 v[18:19], v[18:19], v[30:31], v[18:19]
	s_delay_alu instid0(VALU_DEP_3) | instskip(NEXT) | instid1(VALU_DEP_2)
	v_mul_f64 v[30:31], v[32:33], v[16:17]
	v_mul_f64 v[34:35], v[28:29], v[18:19]
	s_delay_alu instid0(VALU_DEP_2) | instskip(NEXT) | instid1(VALU_DEP_2)
	v_fma_f64 v[12:13], -v[12:13], v[30:31], v[32:33]
	v_fma_f64 v[14:15], -v[14:15], v[34:35], v[28:29]
	s_delay_alu instid0(VALU_DEP_2) | instskip(SKIP_1) | instid1(VALU_DEP_2)
	v_div_fmas_f64 v[12:13], v[12:13], v[16:17], v[30:31]
	s_mov_b32 vcc_lo, s0
	v_div_fmas_f64 v[14:15], v[14:15], v[18:19], v[34:35]
	s_delay_alu instid0(VALU_DEP_2) | instskip(NEXT) | instid1(VALU_DEP_2)
	v_div_fixup_f64 v[16:17], v[12:13], v[24:25], s[8:9]
	v_div_fixup_f64 v[18:19], v[14:15], v[26:27], s[10:11]
.LBB282_78:                             ;   in Loop: Header=BB282_57 Depth=1
	s_or_b32 exec_lo, exec_lo, s5
                                        ; implicit-def: $vgpr14_vgpr15
.LBB282_79:                             ;   in Loop: Header=BB282_57 Depth=1
	s_and_not1_saveexec_b32 s0, s4
	s_cbranch_execz .LBB282_81
; %bb.80:                               ;   in Loop: Header=BB282_57 Depth=1
	v_div_scale_f64 v[16:17], null, v[14:15], v[14:15], v[12:13]
	v_div_scale_f64 v[26:27], vcc_lo, v[12:13], v[14:15], v[12:13]
	s_delay_alu instid0(VALU_DEP_2) | instskip(SKIP_2) | instid1(VALU_DEP_1)
	v_rcp_f64_e32 v[18:19], v[16:17]
	s_waitcnt_depctr 0xfff
	v_fma_f64 v[24:25], -v[16:17], v[18:19], 1.0
	v_fma_f64 v[18:19], v[18:19], v[24:25], v[18:19]
	s_delay_alu instid0(VALU_DEP_1) | instskip(NEXT) | instid1(VALU_DEP_1)
	v_fma_f64 v[24:25], -v[16:17], v[18:19], 1.0
	v_fma_f64 v[18:19], v[18:19], v[24:25], v[18:19]
	s_delay_alu instid0(VALU_DEP_1) | instskip(NEXT) | instid1(VALU_DEP_1)
	v_mul_f64 v[24:25], v[26:27], v[18:19]
	v_fma_f64 v[16:17], -v[16:17], v[24:25], v[26:27]
	s_delay_alu instid0(VALU_DEP_1) | instskip(NEXT) | instid1(VALU_DEP_1)
	v_div_fmas_f64 v[16:17], v[16:17], v[18:19], v[24:25]
	v_div_fixup_f64 v[16:17], v[16:17], v[14:15], v[12:13]
	s_delay_alu instid0(VALU_DEP_1) | instskip(NEXT) | instid1(VALU_DEP_1)
	v_fma_f64 v[12:13], v[12:13], v[16:17], v[14:15]
	v_div_scale_f64 v[14:15], null, v[12:13], v[12:13], 1.0
	v_div_scale_f64 v[26:27], vcc_lo, 1.0, v[12:13], 1.0
	s_delay_alu instid0(VALU_DEP_2) | instskip(SKIP_2) | instid1(VALU_DEP_1)
	v_rcp_f64_e32 v[18:19], v[14:15]
	s_waitcnt_depctr 0xfff
	v_fma_f64 v[24:25], -v[14:15], v[18:19], 1.0
	v_fma_f64 v[18:19], v[18:19], v[24:25], v[18:19]
	s_delay_alu instid0(VALU_DEP_1) | instskip(NEXT) | instid1(VALU_DEP_1)
	v_fma_f64 v[24:25], -v[14:15], v[18:19], 1.0
	v_fma_f64 v[18:19], v[18:19], v[24:25], v[18:19]
	s_delay_alu instid0(VALU_DEP_1) | instskip(NEXT) | instid1(VALU_DEP_1)
	v_mul_f64 v[24:25], v[26:27], v[18:19]
	v_fma_f64 v[14:15], -v[14:15], v[24:25], v[26:27]
	s_delay_alu instid0(VALU_DEP_1) | instskip(SKIP_1) | instid1(VALU_DEP_2)
	v_div_fmas_f64 v[14:15], v[14:15], v[18:19], v[24:25]
	v_fma_f64 v[18:19], s[8:9], v[16:17], s[10:11]
	v_div_fixup_f64 v[12:13], v[14:15], v[12:13], 1.0
	v_fma_f64 v[14:15], s[10:11], v[16:17], -s[8:9]
	s_delay_alu instid0(VALU_DEP_2) | instskip(NEXT) | instid1(VALU_DEP_2)
	v_mul_f64 v[16:17], v[18:19], v[12:13]
	v_mul_f64 v[18:19], v[14:15], v[12:13]
.LBB282_81:                             ;   in Loop: Header=BB282_57 Depth=1
	s_or_b32 exec_lo, exec_lo, s0
	v_cmp_gt_f64_e32 vcc_lo, 0, v[4:5]
	v_xor_b32_e32 v12, 0x80000000, v5
	v_mov_b32_e32 v24, v4
	v_xor_b32_e32 v13, 0x80000000, v7
                                        ; implicit-def: $vgpr14_vgpr15
	s_mov_b32 s0, exec_lo
	s_delay_alu instid0(VALU_DEP_3) | instskip(SKIP_1) | instid1(VALU_DEP_3)
	v_dual_mov_b32 v26, v6 :: v_dual_cndmask_b32 v25, v5, v12
	v_cmp_gt_f64_e32 vcc_lo, 0, v[6:7]
	v_cndmask_b32_e32 v27, v7, v13, vcc_lo
	s_delay_alu instid0(VALU_DEP_1)
	v_cmpx_ge_f64_e32 v[24:25], v[26:27]
	s_xor_b32 s4, exec_lo, s0
	s_cbranch_execz .LBB282_87
; %bb.82:                               ;   in Loop: Header=BB282_57 Depth=1
	v_cmp_neq_f64_e32 vcc_lo, 0, v[4:5]
	v_cmp_neq_f64_e64 s0, 0, v[6:7]
                                        ; implicit-def: $vgpr14_vgpr15
	s_delay_alu instid0(VALU_DEP_1) | instskip(NEXT) | instid1(SALU_CYCLE_1)
	s_or_b32 s0, vcc_lo, s0
	s_and_saveexec_b32 s5, s0
	s_delay_alu instid0(SALU_CYCLE_1)
	s_xor_b32 s0, exec_lo, s5
	s_cbranch_execz .LBB282_84
; %bb.83:                               ;   in Loop: Header=BB282_57 Depth=1
	v_div_scale_f64 v[12:13], null, v[4:5], v[4:5], v[6:7]
	v_div_scale_f64 v[26:27], vcc_lo, v[6:7], v[4:5], v[6:7]
	s_delay_alu instid0(VALU_DEP_2) | instskip(SKIP_2) | instid1(VALU_DEP_1)
	v_rcp_f64_e32 v[14:15], v[12:13]
	s_waitcnt_depctr 0xfff
	v_fma_f64 v[24:25], -v[12:13], v[14:15], 1.0
	v_fma_f64 v[14:15], v[14:15], v[24:25], v[14:15]
	s_delay_alu instid0(VALU_DEP_1) | instskip(NEXT) | instid1(VALU_DEP_1)
	v_fma_f64 v[24:25], -v[12:13], v[14:15], 1.0
	v_fma_f64 v[14:15], v[14:15], v[24:25], v[14:15]
	s_delay_alu instid0(VALU_DEP_1) | instskip(NEXT) | instid1(VALU_DEP_1)
	v_mul_f64 v[24:25], v[26:27], v[14:15]
	v_fma_f64 v[12:13], -v[12:13], v[24:25], v[26:27]
	s_delay_alu instid0(VALU_DEP_1) | instskip(NEXT) | instid1(VALU_DEP_1)
	v_div_fmas_f64 v[12:13], v[12:13], v[14:15], v[24:25]
	v_div_fixup_f64 v[12:13], v[12:13], v[4:5], v[6:7]
	s_delay_alu instid0(VALU_DEP_1) | instskip(NEXT) | instid1(VALU_DEP_1)
	v_fma_f64 v[4:5], v[6:7], v[12:13], v[4:5]
	v_div_scale_f64 v[6:7], null, v[4:5], v[4:5], 1.0
	v_div_scale_f64 v[26:27], vcc_lo, 1.0, v[4:5], 1.0
	s_delay_alu instid0(VALU_DEP_2) | instskip(SKIP_2) | instid1(VALU_DEP_1)
	v_rcp_f64_e32 v[14:15], v[6:7]
	s_waitcnt_depctr 0xfff
	v_fma_f64 v[24:25], -v[6:7], v[14:15], 1.0
	v_fma_f64 v[14:15], v[14:15], v[24:25], v[14:15]
	s_delay_alu instid0(VALU_DEP_1) | instskip(NEXT) | instid1(VALU_DEP_1)
	v_fma_f64 v[24:25], -v[6:7], v[14:15], 1.0
	v_fma_f64 v[14:15], v[14:15], v[24:25], v[14:15]
	s_delay_alu instid0(VALU_DEP_1) | instskip(NEXT) | instid1(VALU_DEP_1)
	v_mul_f64 v[24:25], v[26:27], v[14:15]
	v_fma_f64 v[6:7], -v[6:7], v[24:25], v[26:27]
                                        ; implicit-def: $vgpr26_vgpr27
	s_delay_alu instid0(VALU_DEP_1) | instskip(SKIP_1) | instid1(VALU_DEP_2)
	v_div_fmas_f64 v[6:7], v[6:7], v[14:15], v[24:25]
	v_fma_f64 v[14:15], s[10:11], v[12:13], s[8:9]
                                        ; implicit-def: $vgpr24_vgpr25
	v_div_fixup_f64 v[4:5], v[6:7], v[4:5], 1.0
	v_fma_f64 v[6:7], -s[8:9], v[12:13], s[10:11]
	s_delay_alu instid0(VALU_DEP_2) | instskip(NEXT) | instid1(VALU_DEP_2)
	v_mul_f64 v[12:13], v[14:15], v[4:5]
	v_mul_f64 v[14:15], v[6:7], v[4:5]
.LBB282_84:                             ;   in Loop: Header=BB282_57 Depth=1
	s_and_not1_saveexec_b32 s5, s0
	s_cbranch_execz .LBB282_86
; %bb.85:                               ;   in Loop: Header=BB282_57 Depth=1
	v_div_scale_f64 v[4:5], null, v[24:25], v[24:25], s[8:9]
	v_div_scale_f64 v[6:7], null, v[26:27], v[26:27], s[10:11]
	v_div_scale_f64 v[32:33], vcc_lo, s[8:9], v[24:25], s[8:9]
	s_delay_alu instid0(VALU_DEP_3) | instskip(NEXT) | instid1(VALU_DEP_2)
	v_rcp_f64_e32 v[12:13], v[4:5]
	v_rcp_f64_e32 v[14:15], v[6:7]
	s_waitcnt_depctr 0xfff
	v_fma_f64 v[28:29], -v[4:5], v[12:13], 1.0
	v_fma_f64 v[30:31], -v[6:7], v[14:15], 1.0
	s_delay_alu instid0(VALU_DEP_2) | instskip(NEXT) | instid1(VALU_DEP_2)
	v_fma_f64 v[12:13], v[12:13], v[28:29], v[12:13]
	v_fma_f64 v[14:15], v[14:15], v[30:31], v[14:15]
	s_delay_alu instid0(VALU_DEP_2) | instskip(NEXT) | instid1(VALU_DEP_2)
	v_fma_f64 v[28:29], -v[4:5], v[12:13], 1.0
	v_fma_f64 v[30:31], -v[6:7], v[14:15], 1.0
	s_delay_alu instid0(VALU_DEP_2) | instskip(SKIP_1) | instid1(VALU_DEP_3)
	v_fma_f64 v[12:13], v[12:13], v[28:29], v[12:13]
	v_div_scale_f64 v[28:29], s0, s[10:11], v[26:27], s[10:11]
	v_fma_f64 v[14:15], v[14:15], v[30:31], v[14:15]
	s_delay_alu instid0(VALU_DEP_3) | instskip(NEXT) | instid1(VALU_DEP_2)
	v_mul_f64 v[30:31], v[32:33], v[12:13]
	v_mul_f64 v[34:35], v[28:29], v[14:15]
	s_delay_alu instid0(VALU_DEP_2) | instskip(NEXT) | instid1(VALU_DEP_2)
	v_fma_f64 v[4:5], -v[4:5], v[30:31], v[32:33]
	v_fma_f64 v[6:7], -v[6:7], v[34:35], v[28:29]
	s_delay_alu instid0(VALU_DEP_2) | instskip(SKIP_1) | instid1(VALU_DEP_2)
	v_div_fmas_f64 v[4:5], v[4:5], v[12:13], v[30:31]
	s_mov_b32 vcc_lo, s0
	v_div_fmas_f64 v[6:7], v[6:7], v[14:15], v[34:35]
	s_delay_alu instid0(VALU_DEP_2) | instskip(NEXT) | instid1(VALU_DEP_2)
	v_div_fixup_f64 v[12:13], v[4:5], v[24:25], s[8:9]
	v_div_fixup_f64 v[14:15], v[6:7], v[26:27], s[10:11]
.LBB282_86:                             ;   in Loop: Header=BB282_57 Depth=1
	s_or_b32 exec_lo, exec_lo, s5
                                        ; implicit-def: $vgpr6_vgpr7
.LBB282_87:                             ;   in Loop: Header=BB282_57 Depth=1
	s_and_not1_saveexec_b32 s0, s4
	s_cbranch_execz .LBB282_56
; %bb.88:                               ;   in Loop: Header=BB282_57 Depth=1
	v_div_scale_f64 v[12:13], null, v[6:7], v[6:7], v[4:5]
	v_div_scale_f64 v[26:27], vcc_lo, v[4:5], v[6:7], v[4:5]
	s_delay_alu instid0(VALU_DEP_2) | instskip(SKIP_2) | instid1(VALU_DEP_1)
	v_rcp_f64_e32 v[14:15], v[12:13]
	s_waitcnt_depctr 0xfff
	v_fma_f64 v[24:25], -v[12:13], v[14:15], 1.0
	v_fma_f64 v[14:15], v[14:15], v[24:25], v[14:15]
	s_delay_alu instid0(VALU_DEP_1) | instskip(NEXT) | instid1(VALU_DEP_1)
	v_fma_f64 v[24:25], -v[12:13], v[14:15], 1.0
	v_fma_f64 v[14:15], v[14:15], v[24:25], v[14:15]
	s_delay_alu instid0(VALU_DEP_1) | instskip(NEXT) | instid1(VALU_DEP_1)
	v_mul_f64 v[24:25], v[26:27], v[14:15]
	v_fma_f64 v[12:13], -v[12:13], v[24:25], v[26:27]
	s_delay_alu instid0(VALU_DEP_1) | instskip(NEXT) | instid1(VALU_DEP_1)
	v_div_fmas_f64 v[12:13], v[12:13], v[14:15], v[24:25]
	v_div_fixup_f64 v[12:13], v[12:13], v[6:7], v[4:5]
	s_delay_alu instid0(VALU_DEP_1) | instskip(NEXT) | instid1(VALU_DEP_1)
	v_fma_f64 v[4:5], v[4:5], v[12:13], v[6:7]
	v_div_scale_f64 v[6:7], null, v[4:5], v[4:5], 1.0
	v_div_scale_f64 v[26:27], vcc_lo, 1.0, v[4:5], 1.0
	s_delay_alu instid0(VALU_DEP_2) | instskip(SKIP_2) | instid1(VALU_DEP_1)
	v_rcp_f64_e32 v[14:15], v[6:7]
	s_waitcnt_depctr 0xfff
	v_fma_f64 v[24:25], -v[6:7], v[14:15], 1.0
	v_fma_f64 v[14:15], v[14:15], v[24:25], v[14:15]
	s_delay_alu instid0(VALU_DEP_1) | instskip(NEXT) | instid1(VALU_DEP_1)
	v_fma_f64 v[24:25], -v[6:7], v[14:15], 1.0
	v_fma_f64 v[14:15], v[14:15], v[24:25], v[14:15]
	s_delay_alu instid0(VALU_DEP_1) | instskip(NEXT) | instid1(VALU_DEP_1)
	v_mul_f64 v[24:25], v[26:27], v[14:15]
	v_fma_f64 v[6:7], -v[6:7], v[24:25], v[26:27]
	s_delay_alu instid0(VALU_DEP_1) | instskip(SKIP_1) | instid1(VALU_DEP_2)
	v_div_fmas_f64 v[6:7], v[6:7], v[14:15], v[24:25]
	v_fma_f64 v[14:15], s[8:9], v[12:13], s[10:11]
	v_div_fixup_f64 v[4:5], v[6:7], v[4:5], 1.0
	v_fma_f64 v[6:7], s[10:11], v[12:13], -s[8:9]
	s_delay_alu instid0(VALU_DEP_2) | instskip(NEXT) | instid1(VALU_DEP_2)
	v_mul_f64 v[12:13], v[14:15], v[4:5]
	v_mul_f64 v[14:15], v[6:7], v[4:5]
	s_branch .LBB282_56
.LBB282_89:
	s_nop 0
	s_sendmsg sendmsg(MSG_DEALLOC_VGPRS)
	s_endpgm
	.section	.rodata,"a",@progbits
	.p2align	6, 0x0
	.amdhsa_kernel _ZN2at6native12_GLOBAL__N_125multi_tensor_apply_kernelINS1_18TensorListMetadataILi1EEENS1_14UnaryOpFunctorIN3c107complexIdEELi1ELi1ELi0EEEJNS0_10ReciprocalIS8_EEEEEvT_T0_DpT1_
		.amdhsa_group_segment_fixed_size 0
		.amdhsa_private_segment_fixed_size 0
		.amdhsa_kernarg_size 3648
		.amdhsa_user_sgpr_count 15
		.amdhsa_user_sgpr_dispatch_ptr 0
		.amdhsa_user_sgpr_queue_ptr 0
		.amdhsa_user_sgpr_kernarg_segment_ptr 1
		.amdhsa_user_sgpr_dispatch_id 0
		.amdhsa_user_sgpr_private_segment_size 0
		.amdhsa_wavefront_size32 1
		.amdhsa_uses_dynamic_stack 0
		.amdhsa_enable_private_segment 0
		.amdhsa_system_sgpr_workgroup_id_x 1
		.amdhsa_system_sgpr_workgroup_id_y 0
		.amdhsa_system_sgpr_workgroup_id_z 0
		.amdhsa_system_sgpr_workgroup_info 0
		.amdhsa_system_vgpr_workitem_id 0
		.amdhsa_next_free_vgpr 45
		.amdhsa_next_free_sgpr 27
		.amdhsa_reserve_vcc 1
		.amdhsa_float_round_mode_32 0
		.amdhsa_float_round_mode_16_64 0
		.amdhsa_float_denorm_mode_32 3
		.amdhsa_float_denorm_mode_16_64 3
		.amdhsa_dx10_clamp 1
		.amdhsa_ieee_mode 1
		.amdhsa_fp16_overflow 0
		.amdhsa_workgroup_processor_mode 1
		.amdhsa_memory_ordered 1
		.amdhsa_forward_progress 0
		.amdhsa_shared_vgpr_count 0
		.amdhsa_exception_fp_ieee_invalid_op 0
		.amdhsa_exception_fp_denorm_src 0
		.amdhsa_exception_fp_ieee_div_zero 0
		.amdhsa_exception_fp_ieee_overflow 0
		.amdhsa_exception_fp_ieee_underflow 0
		.amdhsa_exception_fp_ieee_inexact 0
		.amdhsa_exception_int_div_zero 0
	.end_amdhsa_kernel
	.section	.text._ZN2at6native12_GLOBAL__N_125multi_tensor_apply_kernelINS1_18TensorListMetadataILi1EEENS1_14UnaryOpFunctorIN3c107complexIdEELi1ELi1ELi0EEEJNS0_10ReciprocalIS8_EEEEEvT_T0_DpT1_,"axG",@progbits,_ZN2at6native12_GLOBAL__N_125multi_tensor_apply_kernelINS1_18TensorListMetadataILi1EEENS1_14UnaryOpFunctorIN3c107complexIdEELi1ELi1ELi0EEEJNS0_10ReciprocalIS8_EEEEEvT_T0_DpT1_,comdat
.Lfunc_end282:
	.size	_ZN2at6native12_GLOBAL__N_125multi_tensor_apply_kernelINS1_18TensorListMetadataILi1EEENS1_14UnaryOpFunctorIN3c107complexIdEELi1ELi1ELi0EEEJNS0_10ReciprocalIS8_EEEEEvT_T0_DpT1_, .Lfunc_end282-_ZN2at6native12_GLOBAL__N_125multi_tensor_apply_kernelINS1_18TensorListMetadataILi1EEENS1_14UnaryOpFunctorIN3c107complexIdEELi1ELi1ELi0EEEJNS0_10ReciprocalIS8_EEEEEvT_T0_DpT1_
                                        ; -- End function
	.section	.AMDGPU.csdata,"",@progbits
; Kernel info:
; codeLenInByte = 8028
; NumSgprs: 29
; NumVgprs: 45
; ScratchSize: 0
; MemoryBound: 1
; FloatMode: 240
; IeeeMode: 1
; LDSByteSize: 0 bytes/workgroup (compile time only)
; SGPRBlocks: 3
; VGPRBlocks: 5
; NumSGPRsForWavesPerEU: 29
; NumVGPRsForWavesPerEU: 45
; Occupancy: 16
; WaveLimiterHint : 0
; COMPUTE_PGM_RSRC2:SCRATCH_EN: 0
; COMPUTE_PGM_RSRC2:USER_SGPR: 15
; COMPUTE_PGM_RSRC2:TRAP_HANDLER: 0
; COMPUTE_PGM_RSRC2:TGID_X_EN: 1
; COMPUTE_PGM_RSRC2:TGID_Y_EN: 0
; COMPUTE_PGM_RSRC2:TGID_Z_EN: 0
; COMPUTE_PGM_RSRC2:TIDIG_COMP_CNT: 0
	.section	.text._ZN2at6native12_GLOBAL__N_125multi_tensor_apply_kernelINS1_18TensorListMetadataILi1EEENS1_14UnaryOpFunctorIN3c107complexIfEELi1ELi1ELi0EEEJNS0_10ReciprocalIS8_EEEEEvT_T0_DpT1_,"axG",@progbits,_ZN2at6native12_GLOBAL__N_125multi_tensor_apply_kernelINS1_18TensorListMetadataILi1EEENS1_14UnaryOpFunctorIN3c107complexIfEELi1ELi1ELi0EEEJNS0_10ReciprocalIS8_EEEEEvT_T0_DpT1_,comdat
	.globl	_ZN2at6native12_GLOBAL__N_125multi_tensor_apply_kernelINS1_18TensorListMetadataILi1EEENS1_14UnaryOpFunctorIN3c107complexIfEELi1ELi1ELi0EEEJNS0_10ReciprocalIS8_EEEEEvT_T0_DpT1_ ; -- Begin function _ZN2at6native12_GLOBAL__N_125multi_tensor_apply_kernelINS1_18TensorListMetadataILi1EEENS1_14UnaryOpFunctorIN3c107complexIfEELi1ELi1ELi0EEEJNS0_10ReciprocalIS8_EEEEEvT_T0_DpT1_
	.p2align	8
	.type	_ZN2at6native12_GLOBAL__N_125multi_tensor_apply_kernelINS1_18TensorListMetadataILi1EEENS1_14UnaryOpFunctorIN3c107complexIfEELi1ELi1ELi0EEEJNS0_10ReciprocalIS8_EEEEEvT_T0_DpT1_,@function
_ZN2at6native12_GLOBAL__N_125multi_tensor_apply_kernelINS1_18TensorListMetadataILi1EEENS1_14UnaryOpFunctorIN3c107complexIfEELi1ELi1ELi0EEEJNS0_10ReciprocalIS8_EEEEEvT_T0_DpT1_: ; @_ZN2at6native12_GLOBAL__N_125multi_tensor_apply_kernelINS1_18TensorListMetadataILi1EEENS1_14UnaryOpFunctorIN3c107complexIfEELi1ELi1ELi0EEEJNS0_10ReciprocalIS8_EEEEEvT_T0_DpT1_
; %bb.0:
	v_mov_b32_e32 v1, s15
	s_add_u32 s2, s0, s15
	s_mul_hi_u32 s3, s15, 3
	s_mul_i32 s15, s15, 3
	s_addc_u32 s4, s1, 0
	global_load_u8 v1, v1, s[0:1] offset:1760
	s_add_u32 s2, s2, s15
	s_addc_u32 s3, s4, s3
	s_mov_b32 s17, 0
	s_load_b32 s2, s[2:3], 0x820
	s_waitcnt vmcnt(0)
	v_readfirstlane_b32 s5, v1
	s_delay_alu instid0(VALU_DEP_1)
	s_lshl_b32 s3, s5, 3
	s_clause 0x2
	s_load_b64 s[12:13], s[0:1], s3 offset:0x0
	s_load_b64 s[4:5], s[0:1], s3 offset:0x370
	s_load_b64 s[8:9], s[0:1], 0xd30
	s_waitcnt lgkmcnt(0)
	s_ashr_i32 s3, s2, 31
	s_delay_alu instid0(SALU_CYCLE_1) | instskip(NEXT) | instid1(SALU_CYCLE_1)
	s_lshl_b64 s[14:15], s[2:3], 19
	s_add_u32 s7, s12, s14
	s_addc_u32 s20, s13, s15
	s_lshl_b64 s[2:3], s[2:3], 16
	s_and_b32 s16, s7, 31
	s_sub_u32 s10, s4, s2
	s_subb_u32 s11, s5, s3
	s_and_b32 s2, s4, 3
	s_mov_b32 s3, s17
	s_delay_alu instid0(SALU_CYCLE_1) | instskip(NEXT) | instid1(SALU_CYCLE_1)
	s_or_b64 s[2:3], s[16:17], s[2:3]
	s_cmp_eq_u64 s[2:3], 0
	s_cbranch_scc1 .LBB283_53
; %bb.1:
	v_cmp_lt_i64_e64 s2, s[10:11], 1
	s_delay_alu instid0(VALU_DEP_1)
	s_and_b32 vcc_lo, exec_lo, s2
	s_cbranch_vccnz .LBB283_52
; %bb.2:
	s_load_b32 s2, s[0:1], 0xd44
	v_cmp_gt_u64_e64 s3, 0x10000, s[10:11]
	v_dual_mov_b32 v2, 0 :: v_dual_lshlrev_b32 v1, 3, v0
	s_mov_b64 s[18:19], 0
	s_waitcnt lgkmcnt(0)
	s_and_b32 s2, s2, 0xffff
	s_delay_alu instid0(VALU_DEP_2)
	s_and_b32 s3, s3, exec_lo
	v_add_co_u32 v15, s5, v0, s2
	v_mad_u64_u32 v[3:4], null, s2, 24, v[1:2]
	s_cselect_b32 s17, s11, 0
	s_cselect_b32 s16, s10, 0x10000
	v_add_co_ci_u32_e64 v16, null, 0, 0, s5
	s_lshl_b32 s5, s2, 4
	s_lshl_b32 s3, s2, 1
	v_add_co_u32 v5, s5, s5, v1
	s_mul_i32 s4, s2, 3
	v_add_co_u32 v21, s3, s3, v0
	v_add_co_u32 v2, s4, s4, v0
	s_delay_alu instid0(VALU_DEP_1)
	v_add_co_ci_u32_e64 v17, null, 0, 0, s4
	v_add_co_ci_u32_e64 v18, null, 0, 0, s5
	v_lshlrev_b32_e32 v19, 3, v15
	v_or_b32_e32 v20, 4, v5
	v_or_b32_e32 v3, 4, v3
	v_add_co_ci_u32_e64 v22, null, 0, 0, s3
	s_lshl_b32 s21, s2, 2
	s_lshl_b32 s22, s2, 5
	s_branch .LBB283_4
.LBB283_3:                              ;   in Loop: Header=BB283_4 Depth=1
	s_or_b32 exec_lo, exec_lo, s2
	s_add_u32 s18, s18, s21
	s_addc_u32 s19, s19, 0
	s_delay_alu instid0(SALU_CYCLE_1) | instskip(SKIP_1) | instid1(VALU_DEP_1)
	v_cmp_ge_i64_e64 s2, s[18:19], s[10:11]
	v_cmp_lt_u64_e64 s3, 0xffff, s[18:19]
	s_or_b32 s2, s2, s3
	s_add_u32 s7, s7, s22
	s_addc_u32 s20, s20, 0
	s_and_b32 vcc_lo, exec_lo, s2
	s_cbranch_vccnz .LBB283_52
.LBB283_4:                              ; =>This Inner Loop Header: Depth=1
	v_add_co_u32 v5, s2, v0, s18
	s_delay_alu instid0(VALU_DEP_1) | instskip(SKIP_1) | instid1(VALU_DEP_2)
	v_add_co_ci_u32_e64 v6, null, 0, s19, s2
	v_dual_mov_b32 v12, 0 :: v_dual_mov_b32 v11, 0
	v_cmp_gt_u64_e64 s2, s[16:17], v[5:6]
	s_delay_alu instid0(VALU_DEP_1)
	s_and_saveexec_b32 s3, s2
	s_cbranch_execz .LBB283_6
; %bb.5:                                ;   in Loop: Header=BB283_4 Depth=1
	v_add_co_u32 v5, s4, s7, v1
	s_delay_alu instid0(VALU_DEP_1)
	v_add_co_ci_u32_e64 v6, null, s20, 0, s4
	global_load_b64 v[11:12], v[5:6], off
.LBB283_6:                              ;   in Loop: Header=BB283_4 Depth=1
	s_or_b32 exec_lo, exec_lo, s3
	v_add_co_u32 v5, vcc_lo, v15, s18
	v_add_co_ci_u32_e32 v6, vcc_lo, s19, v16, vcc_lo
	v_dual_mov_b32 v10, 0 :: v_dual_mov_b32 v13, 0
	v_mov_b32_e32 v14, 0
	s_delay_alu instid0(VALU_DEP_3) | instskip(NEXT) | instid1(VALU_DEP_1)
	v_cmp_gt_u64_e64 s3, s[16:17], v[5:6]
	s_and_saveexec_b32 s4, s3
	s_cbranch_execz .LBB283_8
; %bb.7:                                ;   in Loop: Header=BB283_4 Depth=1
	v_add_co_u32 v5, s5, s7, v19
	s_delay_alu instid0(VALU_DEP_1)
	v_add_co_ci_u32_e64 v6, null, s20, 0, s5
	global_load_b64 v[13:14], v[5:6], off
.LBB283_8:                              ;   in Loop: Header=BB283_4 Depth=1
	s_or_b32 exec_lo, exec_lo, s4
	v_add_co_u32 v5, vcc_lo, v21, s18
	v_add_co_ci_u32_e32 v6, vcc_lo, s19, v22, vcc_lo
	v_mov_b32_e32 v9, 0
	s_delay_alu instid0(VALU_DEP_2) | instskip(NEXT) | instid1(VALU_DEP_1)
	v_cmp_gt_u64_e64 s4, s[16:17], v[5:6]
	s_and_saveexec_b32 s5, s4
	s_cbranch_execz .LBB283_10
; %bb.9:                                ;   in Loop: Header=BB283_4 Depth=1
	v_add_co_u32 v5, vcc_lo, s7, v20
	v_add_co_ci_u32_e32 v6, vcc_lo, s20, v18, vcc_lo
	global_load_b64 v[9:10], v[5:6], off offset:-4
.LBB283_10:                             ;   in Loop: Header=BB283_4 Depth=1
	s_or_b32 exec_lo, exec_lo, s5
	v_add_co_u32 v5, vcc_lo, v2, s18
	v_add_co_ci_u32_e32 v6, vcc_lo, s19, v17, vcc_lo
	s_delay_alu instid0(VALU_DEP_1) | instskip(SKIP_1) | instid1(VALU_DEP_2)
	v_cmp_gt_u64_e64 s5, s[16:17], v[5:6]
	v_dual_mov_b32 v6, 0 :: v_dual_mov_b32 v5, 0
	s_and_saveexec_b32 s6, s5
	s_cbranch_execz .LBB283_12
; %bb.11:                               ;   in Loop: Header=BB283_4 Depth=1
	v_add_co_u32 v5, vcc_lo, s7, v3
	v_add_co_ci_u32_e32 v6, vcc_lo, s20, v4, vcc_lo
	global_load_b64 v[5:6], v[5:6], off offset:-4
.LBB283_12:                             ;   in Loop: Header=BB283_4 Depth=1
	s_or_b32 exec_lo, exec_lo, s6
	s_waitcnt vmcnt(0)
	v_cmp_gt_f32_e32 vcc_lo, 0, v11
                                        ; implicit-def: $vgpr8
	s_mov_b32 s6, exec_lo
	v_cndmask_b32_e64 v23, v11, -v11, vcc_lo
	v_cmp_gt_f32_e32 vcc_lo, 0, v12
	v_cndmask_b32_e64 v24, v12, -v12, vcc_lo
	s_delay_alu instid0(VALU_DEP_1)
	v_cmpx_ge_f32_e32 v23, v24
	s_xor_b32 s23, exec_lo, s6
	s_cbranch_execz .LBB283_18
; %bb.13:                               ;   in Loop: Header=BB283_4 Depth=1
	v_cmp_neq_f32_e32 vcc_lo, 0, v11
	v_cmp_neq_f32_e64 s6, 0, v12
                                        ; implicit-def: $vgpr8
	s_delay_alu instid0(VALU_DEP_1) | instskip(NEXT) | instid1(SALU_CYCLE_1)
	s_or_b32 s6, s6, vcc_lo
	s_and_saveexec_b32 s24, s6
	s_delay_alu instid0(SALU_CYCLE_1)
	s_xor_b32 s6, exec_lo, s24
	s_cbranch_execz .LBB283_15
; %bb.14:                               ;   in Loop: Header=BB283_4 Depth=1
	v_div_scale_f32 v7, null, v11, v11, v12
	v_div_scale_f32 v24, vcc_lo, v12, v11, v12
	s_delay_alu instid0(VALU_DEP_2) | instskip(SKIP_2) | instid1(VALU_DEP_1)
	v_rcp_f32_e32 v8, v7
	s_waitcnt_depctr 0xfff
	v_fma_f32 v23, -v7, v8, 1.0
	v_fmac_f32_e32 v8, v23, v8
	s_delay_alu instid0(VALU_DEP_1) | instskip(NEXT) | instid1(VALU_DEP_1)
	v_mul_f32_e32 v23, v24, v8
	v_fma_f32 v25, -v7, v23, v24
	s_delay_alu instid0(VALU_DEP_1) | instskip(NEXT) | instid1(VALU_DEP_1)
	v_fmac_f32_e32 v23, v25, v8
	v_fma_f32 v7, -v7, v23, v24
	s_delay_alu instid0(VALU_DEP_1) | instskip(NEXT) | instid1(VALU_DEP_1)
	v_div_fmas_f32 v7, v7, v8, v23
	v_div_fixup_f32 v7, v7, v11, v12
	s_delay_alu instid0(VALU_DEP_1) | instskip(NEXT) | instid1(VALU_DEP_1)
	v_fmac_f32_e32 v11, v12, v7
	v_div_scale_f32 v8, null, v11, v11, 1.0
	v_div_scale_f32 v24, vcc_lo, 1.0, v11, 1.0
	s_delay_alu instid0(VALU_DEP_2) | instskip(SKIP_2) | instid1(VALU_DEP_1)
	v_rcp_f32_e32 v12, v8
	s_waitcnt_depctr 0xfff
	v_fma_f32 v23, -v8, v12, 1.0
	v_fmac_f32_e32 v12, v23, v12
	s_delay_alu instid0(VALU_DEP_1) | instskip(NEXT) | instid1(VALU_DEP_1)
	v_mul_f32_e32 v23, v24, v12
	v_fma_f32 v25, -v8, v23, v24
	s_delay_alu instid0(VALU_DEP_1) | instskip(NEXT) | instid1(VALU_DEP_1)
	v_fmac_f32_e32 v23, v25, v12
	v_fma_f32 v8, -v8, v23, v24
                                        ; implicit-def: $vgpr24
	s_delay_alu instid0(VALU_DEP_1) | instskip(SKIP_1) | instid1(VALU_DEP_2)
	v_div_fmas_f32 v8, v8, v12, v23
	v_fma_f32 v12, v7, s9, s8
                                        ; implicit-def: $vgpr23
	v_div_fixup_f32 v8, v8, v11, 1.0
	v_fma_f32 v11, -v7, s8, s9
	s_delay_alu instid0(VALU_DEP_2) | instskip(NEXT) | instid1(VALU_DEP_2)
	v_mul_f32_e32 v7, v12, v8
	v_mul_f32_e32 v8, v11, v8
.LBB283_15:                             ;   in Loop: Header=BB283_4 Depth=1
	s_and_not1_saveexec_b32 s24, s6
	s_cbranch_execz .LBB283_17
; %bb.16:                               ;   in Loop: Header=BB283_4 Depth=1
	v_div_scale_f32 v7, null, v23, v23, s8
	v_div_scale_f32 v8, null, v24, v24, s9
	v_div_scale_f32 v27, vcc_lo, s8, v23, s8
	s_delay_alu instid0(VALU_DEP_3) | instskip(NEXT) | instid1(VALU_DEP_2)
	v_rcp_f32_e32 v11, v7
	v_rcp_f32_e32 v12, v8
	s_waitcnt_depctr 0xfff
	v_fma_f32 v25, -v7, v11, 1.0
	v_fma_f32 v26, -v8, v12, 1.0
	s_delay_alu instid0(VALU_DEP_1) | instskip(SKIP_1) | instid1(VALU_DEP_2)
	v_dual_fmac_f32 v11, v25, v11 :: v_dual_fmac_f32 v12, v26, v12
	v_div_scale_f32 v25, s6, s9, v24, s9
	v_mul_f32_e32 v26, v27, v11
	s_delay_alu instid0(VALU_DEP_2) | instskip(NEXT) | instid1(VALU_DEP_2)
	v_mul_f32_e32 v28, v25, v12
	v_fma_f32 v29, -v7, v26, v27
	s_delay_alu instid0(VALU_DEP_2) | instskip(NEXT) | instid1(VALU_DEP_2)
	v_fma_f32 v30, -v8, v28, v25
	v_fmac_f32_e32 v26, v29, v11
	s_delay_alu instid0(VALU_DEP_2) | instskip(NEXT) | instid1(VALU_DEP_2)
	v_fmac_f32_e32 v28, v30, v12
	v_fma_f32 v7, -v7, v26, v27
	s_delay_alu instid0(VALU_DEP_2) | instskip(NEXT) | instid1(VALU_DEP_2)
	v_fma_f32 v8, -v8, v28, v25
	v_div_fmas_f32 v7, v7, v11, v26
	s_mov_b32 vcc_lo, s6
	s_delay_alu instid0(VALU_DEP_2) | instskip(NEXT) | instid1(VALU_DEP_2)
	v_div_fmas_f32 v8, v8, v12, v28
	v_div_fixup_f32 v7, v7, v23, s8
	s_delay_alu instid0(VALU_DEP_2)
	v_div_fixup_f32 v8, v8, v24, s9
.LBB283_17:                             ;   in Loop: Header=BB283_4 Depth=1
	s_or_b32 exec_lo, exec_lo, s24
                                        ; implicit-def: $vgpr12
.LBB283_18:                             ;   in Loop: Header=BB283_4 Depth=1
	s_and_not1_saveexec_b32 s6, s23
	s_cbranch_execz .LBB283_20
; %bb.19:                               ;   in Loop: Header=BB283_4 Depth=1
	v_div_scale_f32 v7, null, v12, v12, v11
	v_div_scale_f32 v24, vcc_lo, v11, v12, v11
	s_delay_alu instid0(VALU_DEP_2) | instskip(SKIP_2) | instid1(VALU_DEP_1)
	v_rcp_f32_e32 v8, v7
	s_waitcnt_depctr 0xfff
	v_fma_f32 v23, -v7, v8, 1.0
	v_fmac_f32_e32 v8, v23, v8
	s_delay_alu instid0(VALU_DEP_1) | instskip(NEXT) | instid1(VALU_DEP_1)
	v_mul_f32_e32 v23, v24, v8
	v_fma_f32 v25, -v7, v23, v24
	s_delay_alu instid0(VALU_DEP_1) | instskip(NEXT) | instid1(VALU_DEP_1)
	v_fmac_f32_e32 v23, v25, v8
	v_fma_f32 v7, -v7, v23, v24
	s_delay_alu instid0(VALU_DEP_1) | instskip(NEXT) | instid1(VALU_DEP_1)
	v_div_fmas_f32 v7, v7, v8, v23
	v_div_fixup_f32 v7, v7, v12, v11
	s_delay_alu instid0(VALU_DEP_1) | instskip(NEXT) | instid1(VALU_DEP_1)
	v_fmac_f32_e32 v12, v11, v7
	v_div_scale_f32 v8, null, v12, v12, 1.0
	v_div_scale_f32 v24, vcc_lo, 1.0, v12, 1.0
	s_delay_alu instid0(VALU_DEP_2) | instskip(SKIP_2) | instid1(VALU_DEP_1)
	v_rcp_f32_e32 v11, v8
	s_waitcnt_depctr 0xfff
	v_fma_f32 v23, -v8, v11, 1.0
	v_fmac_f32_e32 v11, v23, v11
	s_delay_alu instid0(VALU_DEP_1) | instskip(NEXT) | instid1(VALU_DEP_1)
	v_mul_f32_e32 v23, v24, v11
	v_fma_f32 v25, -v8, v23, v24
	s_delay_alu instid0(VALU_DEP_1) | instskip(NEXT) | instid1(VALU_DEP_1)
	v_fmac_f32_e32 v23, v25, v11
	v_fma_f32 v8, -v8, v23, v24
	s_delay_alu instid0(VALU_DEP_1) | instskip(SKIP_1) | instid1(VALU_DEP_2)
	v_div_fmas_f32 v8, v8, v11, v23
	v_fma_f32 v11, v7, s8, s9
	v_div_fixup_f32 v8, v8, v12, 1.0
	v_fma_f32 v12, v7, s9, -s8
	s_delay_alu instid0(VALU_DEP_2) | instskip(NEXT) | instid1(VALU_DEP_2)
	v_mul_f32_e32 v7, v11, v8
	v_mul_f32_e32 v8, v12, v8
.LBB283_20:                             ;   in Loop: Header=BB283_4 Depth=1
	s_or_b32 exec_lo, exec_lo, s6
	v_cmp_gt_f32_e32 vcc_lo, 0, v13
                                        ; implicit-def: $vgpr12
	s_mov_b32 s6, exec_lo
	v_cndmask_b32_e64 v23, v13, -v13, vcc_lo
	v_cmp_gt_f32_e32 vcc_lo, 0, v14
	v_cndmask_b32_e64 v24, v14, -v14, vcc_lo
	s_delay_alu instid0(VALU_DEP_1)
	v_cmpx_ge_f32_e32 v23, v24
	s_xor_b32 s23, exec_lo, s6
	s_cbranch_execz .LBB283_26
; %bb.21:                               ;   in Loop: Header=BB283_4 Depth=1
	v_cmp_neq_f32_e32 vcc_lo, 0, v13
	v_cmp_neq_f32_e64 s6, 0, v14
                                        ; implicit-def: $vgpr12
	s_delay_alu instid0(VALU_DEP_1) | instskip(NEXT) | instid1(SALU_CYCLE_1)
	s_or_b32 s6, s6, vcc_lo
	s_and_saveexec_b32 s24, s6
	s_delay_alu instid0(SALU_CYCLE_1)
	s_xor_b32 s6, exec_lo, s24
	s_cbranch_execz .LBB283_23
; %bb.22:                               ;   in Loop: Header=BB283_4 Depth=1
	v_div_scale_f32 v11, null, v13, v13, v14
	v_div_scale_f32 v24, vcc_lo, v14, v13, v14
	s_delay_alu instid0(VALU_DEP_2) | instskip(SKIP_2) | instid1(VALU_DEP_1)
	v_rcp_f32_e32 v12, v11
	s_waitcnt_depctr 0xfff
	v_fma_f32 v23, -v11, v12, 1.0
	v_fmac_f32_e32 v12, v23, v12
	s_delay_alu instid0(VALU_DEP_1) | instskip(NEXT) | instid1(VALU_DEP_1)
	v_mul_f32_e32 v23, v24, v12
	v_fma_f32 v25, -v11, v23, v24
	s_delay_alu instid0(VALU_DEP_1) | instskip(NEXT) | instid1(VALU_DEP_1)
	v_fmac_f32_e32 v23, v25, v12
	v_fma_f32 v11, -v11, v23, v24
	s_delay_alu instid0(VALU_DEP_1) | instskip(NEXT) | instid1(VALU_DEP_1)
	v_div_fmas_f32 v11, v11, v12, v23
	v_div_fixup_f32 v11, v11, v13, v14
	s_delay_alu instid0(VALU_DEP_1) | instskip(NEXT) | instid1(VALU_DEP_1)
	v_fmac_f32_e32 v13, v14, v11
	v_div_scale_f32 v12, null, v13, v13, 1.0
	v_div_scale_f32 v24, vcc_lo, 1.0, v13, 1.0
	s_delay_alu instid0(VALU_DEP_2) | instskip(SKIP_2) | instid1(VALU_DEP_1)
	v_rcp_f32_e32 v14, v12
	s_waitcnt_depctr 0xfff
	v_fma_f32 v23, -v12, v14, 1.0
	v_fmac_f32_e32 v14, v23, v14
	s_delay_alu instid0(VALU_DEP_1) | instskip(NEXT) | instid1(VALU_DEP_1)
	v_mul_f32_e32 v23, v24, v14
	v_fma_f32 v25, -v12, v23, v24
	s_delay_alu instid0(VALU_DEP_1) | instskip(NEXT) | instid1(VALU_DEP_1)
	v_fmac_f32_e32 v23, v25, v14
	v_fma_f32 v12, -v12, v23, v24
                                        ; implicit-def: $vgpr24
	s_delay_alu instid0(VALU_DEP_1) | instskip(SKIP_1) | instid1(VALU_DEP_2)
	v_div_fmas_f32 v12, v12, v14, v23
	v_fma_f32 v14, v11, s9, s8
                                        ; implicit-def: $vgpr23
	v_div_fixup_f32 v12, v12, v13, 1.0
	v_fma_f32 v13, -v11, s8, s9
	s_delay_alu instid0(VALU_DEP_2) | instskip(NEXT) | instid1(VALU_DEP_2)
	v_mul_f32_e32 v11, v14, v12
	v_mul_f32_e32 v12, v13, v12
.LBB283_23:                             ;   in Loop: Header=BB283_4 Depth=1
	s_and_not1_saveexec_b32 s24, s6
	s_cbranch_execz .LBB283_25
; %bb.24:                               ;   in Loop: Header=BB283_4 Depth=1
	v_div_scale_f32 v11, null, v23, v23, s8
	v_div_scale_f32 v12, null, v24, v24, s9
	v_div_scale_f32 v27, vcc_lo, s8, v23, s8
	s_delay_alu instid0(VALU_DEP_3) | instskip(NEXT) | instid1(VALU_DEP_2)
	v_rcp_f32_e32 v13, v11
	v_rcp_f32_e32 v14, v12
	s_waitcnt_depctr 0xfff
	v_fma_f32 v25, -v11, v13, 1.0
	v_fma_f32 v26, -v12, v14, 1.0
	s_delay_alu instid0(VALU_DEP_1) | instskip(SKIP_1) | instid1(VALU_DEP_2)
	v_dual_fmac_f32 v13, v25, v13 :: v_dual_fmac_f32 v14, v26, v14
	v_div_scale_f32 v25, s6, s9, v24, s9
	v_mul_f32_e32 v26, v27, v13
	s_delay_alu instid0(VALU_DEP_2) | instskip(NEXT) | instid1(VALU_DEP_2)
	v_mul_f32_e32 v28, v25, v14
	v_fma_f32 v29, -v11, v26, v27
	s_delay_alu instid0(VALU_DEP_2) | instskip(NEXT) | instid1(VALU_DEP_2)
	v_fma_f32 v30, -v12, v28, v25
	v_fmac_f32_e32 v26, v29, v13
	s_delay_alu instid0(VALU_DEP_2) | instskip(NEXT) | instid1(VALU_DEP_2)
	v_fmac_f32_e32 v28, v30, v14
	v_fma_f32 v11, -v11, v26, v27
	s_delay_alu instid0(VALU_DEP_2) | instskip(NEXT) | instid1(VALU_DEP_2)
	v_fma_f32 v12, -v12, v28, v25
	v_div_fmas_f32 v11, v11, v13, v26
	s_mov_b32 vcc_lo, s6
	s_delay_alu instid0(VALU_DEP_2) | instskip(NEXT) | instid1(VALU_DEP_2)
	v_div_fmas_f32 v12, v12, v14, v28
	v_div_fixup_f32 v11, v11, v23, s8
	s_delay_alu instid0(VALU_DEP_2)
	v_div_fixup_f32 v12, v12, v24, s9
.LBB283_25:                             ;   in Loop: Header=BB283_4 Depth=1
	s_or_b32 exec_lo, exec_lo, s24
                                        ; implicit-def: $vgpr14
.LBB283_26:                             ;   in Loop: Header=BB283_4 Depth=1
	s_and_not1_saveexec_b32 s6, s23
	s_cbranch_execz .LBB283_28
; %bb.27:                               ;   in Loop: Header=BB283_4 Depth=1
	v_div_scale_f32 v11, null, v14, v14, v13
	v_div_scale_f32 v24, vcc_lo, v13, v14, v13
	s_delay_alu instid0(VALU_DEP_2) | instskip(SKIP_2) | instid1(VALU_DEP_1)
	v_rcp_f32_e32 v12, v11
	s_waitcnt_depctr 0xfff
	v_fma_f32 v23, -v11, v12, 1.0
	v_fmac_f32_e32 v12, v23, v12
	s_delay_alu instid0(VALU_DEP_1) | instskip(NEXT) | instid1(VALU_DEP_1)
	v_mul_f32_e32 v23, v24, v12
	v_fma_f32 v25, -v11, v23, v24
	s_delay_alu instid0(VALU_DEP_1) | instskip(NEXT) | instid1(VALU_DEP_1)
	v_fmac_f32_e32 v23, v25, v12
	v_fma_f32 v11, -v11, v23, v24
	s_delay_alu instid0(VALU_DEP_1) | instskip(NEXT) | instid1(VALU_DEP_1)
	v_div_fmas_f32 v11, v11, v12, v23
	v_div_fixup_f32 v11, v11, v14, v13
	s_delay_alu instid0(VALU_DEP_1) | instskip(NEXT) | instid1(VALU_DEP_1)
	v_fmac_f32_e32 v14, v13, v11
	v_div_scale_f32 v12, null, v14, v14, 1.0
	v_div_scale_f32 v24, vcc_lo, 1.0, v14, 1.0
	s_delay_alu instid0(VALU_DEP_2) | instskip(SKIP_2) | instid1(VALU_DEP_1)
	v_rcp_f32_e32 v13, v12
	s_waitcnt_depctr 0xfff
	v_fma_f32 v23, -v12, v13, 1.0
	v_fmac_f32_e32 v13, v23, v13
	s_delay_alu instid0(VALU_DEP_1) | instskip(NEXT) | instid1(VALU_DEP_1)
	v_mul_f32_e32 v23, v24, v13
	v_fma_f32 v25, -v12, v23, v24
	s_delay_alu instid0(VALU_DEP_1) | instskip(NEXT) | instid1(VALU_DEP_1)
	v_fmac_f32_e32 v23, v25, v13
	v_fma_f32 v12, -v12, v23, v24
	s_delay_alu instid0(VALU_DEP_1) | instskip(SKIP_1) | instid1(VALU_DEP_2)
	v_div_fmas_f32 v12, v12, v13, v23
	v_fma_f32 v13, v11, s8, s9
	v_div_fixup_f32 v12, v12, v14, 1.0
	v_fma_f32 v14, v11, s9, -s8
	s_delay_alu instid0(VALU_DEP_2) | instskip(NEXT) | instid1(VALU_DEP_2)
	v_mul_f32_e32 v11, v13, v12
	v_mul_f32_e32 v12, v14, v12
.LBB283_28:                             ;   in Loop: Header=BB283_4 Depth=1
	s_or_b32 exec_lo, exec_lo, s6
	v_cmp_gt_f32_e32 vcc_lo, 0, v9
                                        ; implicit-def: $vgpr14
	s_mov_b32 s6, exec_lo
	v_cndmask_b32_e64 v23, v9, -v9, vcc_lo
	v_cmp_gt_f32_e32 vcc_lo, 0, v10
	v_cndmask_b32_e64 v24, v10, -v10, vcc_lo
	s_delay_alu instid0(VALU_DEP_1)
	v_cmpx_ge_f32_e32 v23, v24
	s_xor_b32 s23, exec_lo, s6
	s_cbranch_execz .LBB283_34
; %bb.29:                               ;   in Loop: Header=BB283_4 Depth=1
	v_cmp_neq_f32_e32 vcc_lo, 0, v9
	v_cmp_neq_f32_e64 s6, 0, v10
                                        ; implicit-def: $vgpr14
	s_delay_alu instid0(VALU_DEP_1) | instskip(NEXT) | instid1(SALU_CYCLE_1)
	s_or_b32 s6, s6, vcc_lo
	s_and_saveexec_b32 s24, s6
	s_delay_alu instid0(SALU_CYCLE_1)
	s_xor_b32 s6, exec_lo, s24
	s_cbranch_execz .LBB283_31
; %bb.30:                               ;   in Loop: Header=BB283_4 Depth=1
	v_div_scale_f32 v13, null, v9, v9, v10
	v_div_scale_f32 v24, vcc_lo, v10, v9, v10
	s_delay_alu instid0(VALU_DEP_2) | instskip(SKIP_2) | instid1(VALU_DEP_1)
	v_rcp_f32_e32 v14, v13
	s_waitcnt_depctr 0xfff
	v_fma_f32 v23, -v13, v14, 1.0
	v_fmac_f32_e32 v14, v23, v14
	s_delay_alu instid0(VALU_DEP_1) | instskip(NEXT) | instid1(VALU_DEP_1)
	v_mul_f32_e32 v23, v24, v14
	v_fma_f32 v25, -v13, v23, v24
	s_delay_alu instid0(VALU_DEP_1) | instskip(NEXT) | instid1(VALU_DEP_1)
	v_fmac_f32_e32 v23, v25, v14
	v_fma_f32 v13, -v13, v23, v24
	s_delay_alu instid0(VALU_DEP_1) | instskip(NEXT) | instid1(VALU_DEP_1)
	v_div_fmas_f32 v13, v13, v14, v23
	v_div_fixup_f32 v13, v13, v9, v10
	s_delay_alu instid0(VALU_DEP_1) | instskip(NEXT) | instid1(VALU_DEP_1)
	v_fmac_f32_e32 v9, v10, v13
	v_div_scale_f32 v10, null, v9, v9, 1.0
	v_div_scale_f32 v24, vcc_lo, 1.0, v9, 1.0
	s_delay_alu instid0(VALU_DEP_2) | instskip(SKIP_2) | instid1(VALU_DEP_1)
	v_rcp_f32_e32 v14, v10
	s_waitcnt_depctr 0xfff
	v_fma_f32 v23, -v10, v14, 1.0
	v_fmac_f32_e32 v14, v23, v14
	s_delay_alu instid0(VALU_DEP_1) | instskip(NEXT) | instid1(VALU_DEP_1)
	v_mul_f32_e32 v23, v24, v14
	v_fma_f32 v25, -v10, v23, v24
	s_delay_alu instid0(VALU_DEP_1) | instskip(NEXT) | instid1(VALU_DEP_1)
	v_fmac_f32_e32 v23, v25, v14
	v_fma_f32 v10, -v10, v23, v24
                                        ; implicit-def: $vgpr24
	s_delay_alu instid0(VALU_DEP_1) | instskip(SKIP_1) | instid1(VALU_DEP_2)
	v_div_fmas_f32 v10, v10, v14, v23
	v_fma_f32 v14, v13, s9, s8
                                        ; implicit-def: $vgpr23
	v_div_fixup_f32 v9, v10, v9, 1.0
	v_fma_f32 v10, -v13, s8, s9
	s_delay_alu instid0(VALU_DEP_2) | instskip(NEXT) | instid1(VALU_DEP_2)
	v_mul_f32_e32 v13, v14, v9
	v_mul_f32_e32 v14, v10, v9
.LBB283_31:                             ;   in Loop: Header=BB283_4 Depth=1
	s_and_not1_saveexec_b32 s24, s6
	s_cbranch_execz .LBB283_33
; %bb.32:                               ;   in Loop: Header=BB283_4 Depth=1
	v_div_scale_f32 v9, null, v23, v23, s8
	v_div_scale_f32 v10, null, v24, v24, s9
	v_div_scale_f32 v27, vcc_lo, s8, v23, s8
	s_delay_alu instid0(VALU_DEP_3) | instskip(NEXT) | instid1(VALU_DEP_2)
	v_rcp_f32_e32 v13, v9
	v_rcp_f32_e32 v14, v10
	s_waitcnt_depctr 0xfff
	v_fma_f32 v25, -v9, v13, 1.0
	v_fma_f32 v26, -v10, v14, 1.0
	s_delay_alu instid0(VALU_DEP_1) | instskip(SKIP_1) | instid1(VALU_DEP_2)
	v_dual_fmac_f32 v13, v25, v13 :: v_dual_fmac_f32 v14, v26, v14
	v_div_scale_f32 v25, s6, s9, v24, s9
	v_mul_f32_e32 v26, v27, v13
	s_delay_alu instid0(VALU_DEP_2) | instskip(NEXT) | instid1(VALU_DEP_2)
	v_mul_f32_e32 v28, v25, v14
	v_fma_f32 v29, -v9, v26, v27
	s_delay_alu instid0(VALU_DEP_2) | instskip(NEXT) | instid1(VALU_DEP_2)
	v_fma_f32 v30, -v10, v28, v25
	v_fmac_f32_e32 v26, v29, v13
	s_delay_alu instid0(VALU_DEP_2) | instskip(NEXT) | instid1(VALU_DEP_2)
	v_fmac_f32_e32 v28, v30, v14
	v_fma_f32 v9, -v9, v26, v27
	s_delay_alu instid0(VALU_DEP_2) | instskip(NEXT) | instid1(VALU_DEP_2)
	v_fma_f32 v10, -v10, v28, v25
	v_div_fmas_f32 v9, v9, v13, v26
	s_mov_b32 vcc_lo, s6
	s_delay_alu instid0(VALU_DEP_2) | instskip(NEXT) | instid1(VALU_DEP_2)
	v_div_fmas_f32 v10, v10, v14, v28
	v_div_fixup_f32 v13, v9, v23, s8
	s_delay_alu instid0(VALU_DEP_2)
	v_div_fixup_f32 v14, v10, v24, s9
.LBB283_33:                             ;   in Loop: Header=BB283_4 Depth=1
	s_or_b32 exec_lo, exec_lo, s24
                                        ; implicit-def: $vgpr10
.LBB283_34:                             ;   in Loop: Header=BB283_4 Depth=1
	s_and_not1_saveexec_b32 s6, s23
	s_cbranch_execz .LBB283_36
; %bb.35:                               ;   in Loop: Header=BB283_4 Depth=1
	v_div_scale_f32 v13, null, v10, v10, v9
	v_div_scale_f32 v24, vcc_lo, v9, v10, v9
	s_delay_alu instid0(VALU_DEP_2) | instskip(SKIP_2) | instid1(VALU_DEP_1)
	v_rcp_f32_e32 v14, v13
	s_waitcnt_depctr 0xfff
	v_fma_f32 v23, -v13, v14, 1.0
	v_fmac_f32_e32 v14, v23, v14
	s_delay_alu instid0(VALU_DEP_1) | instskip(NEXT) | instid1(VALU_DEP_1)
	v_mul_f32_e32 v23, v24, v14
	v_fma_f32 v25, -v13, v23, v24
	s_delay_alu instid0(VALU_DEP_1) | instskip(NEXT) | instid1(VALU_DEP_1)
	v_fmac_f32_e32 v23, v25, v14
	v_fma_f32 v13, -v13, v23, v24
	s_delay_alu instid0(VALU_DEP_1) | instskip(NEXT) | instid1(VALU_DEP_1)
	v_div_fmas_f32 v13, v13, v14, v23
	v_div_fixup_f32 v13, v13, v10, v9
	s_delay_alu instid0(VALU_DEP_1) | instskip(NEXT) | instid1(VALU_DEP_1)
	v_fmac_f32_e32 v10, v9, v13
	v_div_scale_f32 v9, null, v10, v10, 1.0
	v_div_scale_f32 v24, vcc_lo, 1.0, v10, 1.0
	s_delay_alu instid0(VALU_DEP_2) | instskip(SKIP_2) | instid1(VALU_DEP_1)
	v_rcp_f32_e32 v14, v9
	s_waitcnt_depctr 0xfff
	v_fma_f32 v23, -v9, v14, 1.0
	v_fmac_f32_e32 v14, v23, v14
	s_delay_alu instid0(VALU_DEP_1) | instskip(NEXT) | instid1(VALU_DEP_1)
	v_mul_f32_e32 v23, v24, v14
	v_fma_f32 v25, -v9, v23, v24
	s_delay_alu instid0(VALU_DEP_1) | instskip(NEXT) | instid1(VALU_DEP_1)
	v_fmac_f32_e32 v23, v25, v14
	v_fma_f32 v9, -v9, v23, v24
	s_delay_alu instid0(VALU_DEP_1) | instskip(SKIP_1) | instid1(VALU_DEP_2)
	v_div_fmas_f32 v9, v9, v14, v23
	v_fma_f32 v14, v13, s8, s9
	v_div_fixup_f32 v9, v9, v10, 1.0
	v_fma_f32 v10, v13, s9, -s8
	s_delay_alu instid0(VALU_DEP_2) | instskip(NEXT) | instid1(VALU_DEP_2)
	v_mul_f32_e32 v13, v14, v9
	v_mul_f32_e32 v14, v10, v9
.LBB283_36:                             ;   in Loop: Header=BB283_4 Depth=1
	s_or_b32 exec_lo, exec_lo, s6
	v_cmp_gt_f32_e32 vcc_lo, 0, v5
                                        ; implicit-def: $vgpr10
	s_mov_b32 s6, exec_lo
	v_cndmask_b32_e64 v23, v5, -v5, vcc_lo
	v_cmp_gt_f32_e32 vcc_lo, 0, v6
	v_cndmask_b32_e64 v24, v6, -v6, vcc_lo
	s_delay_alu instid0(VALU_DEP_1)
	v_cmpx_ge_f32_e32 v23, v24
	s_xor_b32 s23, exec_lo, s6
	s_cbranch_execnz .LBB283_42
; %bb.37:                               ;   in Loop: Header=BB283_4 Depth=1
	s_and_not1_saveexec_b32 s6, s23
	s_cbranch_execnz .LBB283_47
.LBB283_38:                             ;   in Loop: Header=BB283_4 Depth=1
	s_or_b32 exec_lo, exec_lo, s6
	s_and_saveexec_b32 s6, s2
	s_delay_alu instid0(SALU_CYCLE_1)
	s_xor_b32 s2, exec_lo, s6
	s_cbranch_execnz .LBB283_48
.LBB283_39:                             ;   in Loop: Header=BB283_4 Depth=1
	s_or_b32 exec_lo, exec_lo, s2
	s_and_saveexec_b32 s2, s3
	s_cbranch_execnz .LBB283_49
.LBB283_40:                             ;   in Loop: Header=BB283_4 Depth=1
	s_or_b32 exec_lo, exec_lo, s2
	s_and_saveexec_b32 s2, s4
	s_cbranch_execnz .LBB283_50
.LBB283_41:                             ;   in Loop: Header=BB283_4 Depth=1
	s_or_b32 exec_lo, exec_lo, s2
	s_and_saveexec_b32 s2, s5
	s_cbranch_execz .LBB283_3
	s_branch .LBB283_51
.LBB283_42:                             ;   in Loop: Header=BB283_4 Depth=1
	v_cmp_neq_f32_e32 vcc_lo, 0, v5
	v_cmp_neq_f32_e64 s6, 0, v6
                                        ; implicit-def: $vgpr10
	s_delay_alu instid0(VALU_DEP_1) | instskip(NEXT) | instid1(SALU_CYCLE_1)
	s_or_b32 s6, s6, vcc_lo
	s_and_saveexec_b32 s24, s6
	s_delay_alu instid0(SALU_CYCLE_1)
	s_xor_b32 s6, exec_lo, s24
	s_cbranch_execz .LBB283_44
; %bb.43:                               ;   in Loop: Header=BB283_4 Depth=1
	v_div_scale_f32 v9, null, v5, v5, v6
	v_div_scale_f32 v24, vcc_lo, v6, v5, v6
	s_delay_alu instid0(VALU_DEP_2) | instskip(SKIP_2) | instid1(VALU_DEP_1)
	v_rcp_f32_e32 v10, v9
	s_waitcnt_depctr 0xfff
	v_fma_f32 v23, -v9, v10, 1.0
	v_fmac_f32_e32 v10, v23, v10
	s_delay_alu instid0(VALU_DEP_1) | instskip(NEXT) | instid1(VALU_DEP_1)
	v_mul_f32_e32 v23, v24, v10
	v_fma_f32 v25, -v9, v23, v24
	s_delay_alu instid0(VALU_DEP_1) | instskip(NEXT) | instid1(VALU_DEP_1)
	v_fmac_f32_e32 v23, v25, v10
	v_fma_f32 v9, -v9, v23, v24
	s_delay_alu instid0(VALU_DEP_1) | instskip(NEXT) | instid1(VALU_DEP_1)
	v_div_fmas_f32 v9, v9, v10, v23
	v_div_fixup_f32 v9, v9, v5, v6
	s_delay_alu instid0(VALU_DEP_1) | instskip(NEXT) | instid1(VALU_DEP_1)
	v_fmac_f32_e32 v5, v6, v9
	v_div_scale_f32 v6, null, v5, v5, 1.0
	v_div_scale_f32 v24, vcc_lo, 1.0, v5, 1.0
	s_delay_alu instid0(VALU_DEP_2) | instskip(SKIP_2) | instid1(VALU_DEP_1)
	v_rcp_f32_e32 v10, v6
	s_waitcnt_depctr 0xfff
	v_fma_f32 v23, -v6, v10, 1.0
	v_fmac_f32_e32 v10, v23, v10
	s_delay_alu instid0(VALU_DEP_1) | instskip(NEXT) | instid1(VALU_DEP_1)
	v_mul_f32_e32 v23, v24, v10
	v_fma_f32 v25, -v6, v23, v24
	s_delay_alu instid0(VALU_DEP_1) | instskip(NEXT) | instid1(VALU_DEP_1)
	v_fmac_f32_e32 v23, v25, v10
	v_fma_f32 v6, -v6, v23, v24
                                        ; implicit-def: $vgpr24
	s_delay_alu instid0(VALU_DEP_1) | instskip(SKIP_1) | instid1(VALU_DEP_2)
	v_div_fmas_f32 v6, v6, v10, v23
	v_fma_f32 v10, v9, s9, s8
                                        ; implicit-def: $vgpr23
	v_div_fixup_f32 v5, v6, v5, 1.0
	v_fma_f32 v6, -v9, s8, s9
	s_delay_alu instid0(VALU_DEP_2) | instskip(NEXT) | instid1(VALU_DEP_2)
	v_mul_f32_e32 v9, v10, v5
	v_mul_f32_e32 v10, v6, v5
.LBB283_44:                             ;   in Loop: Header=BB283_4 Depth=1
	s_and_not1_saveexec_b32 s24, s6
	s_cbranch_execz .LBB283_46
; %bb.45:                               ;   in Loop: Header=BB283_4 Depth=1
	v_div_scale_f32 v5, null, v23, v23, s8
	v_div_scale_f32 v6, null, v24, v24, s9
	v_div_scale_f32 v27, vcc_lo, s8, v23, s8
	s_delay_alu instid0(VALU_DEP_3) | instskip(NEXT) | instid1(VALU_DEP_2)
	v_rcp_f32_e32 v9, v5
	v_rcp_f32_e32 v10, v6
	s_waitcnt_depctr 0xfff
	v_fma_f32 v25, -v5, v9, 1.0
	v_fma_f32 v26, -v6, v10, 1.0
	s_delay_alu instid0(VALU_DEP_1) | instskip(SKIP_1) | instid1(VALU_DEP_2)
	v_dual_fmac_f32 v9, v25, v9 :: v_dual_fmac_f32 v10, v26, v10
	v_div_scale_f32 v25, s6, s9, v24, s9
	v_mul_f32_e32 v26, v27, v9
	s_delay_alu instid0(VALU_DEP_2) | instskip(NEXT) | instid1(VALU_DEP_2)
	v_mul_f32_e32 v28, v25, v10
	v_fma_f32 v29, -v5, v26, v27
	s_delay_alu instid0(VALU_DEP_2) | instskip(NEXT) | instid1(VALU_DEP_2)
	v_fma_f32 v30, -v6, v28, v25
	v_fmac_f32_e32 v26, v29, v9
	s_delay_alu instid0(VALU_DEP_2) | instskip(NEXT) | instid1(VALU_DEP_2)
	v_fmac_f32_e32 v28, v30, v10
	v_fma_f32 v5, -v5, v26, v27
	s_delay_alu instid0(VALU_DEP_2) | instskip(NEXT) | instid1(VALU_DEP_2)
	v_fma_f32 v6, -v6, v28, v25
	v_div_fmas_f32 v5, v5, v9, v26
	s_mov_b32 vcc_lo, s6
	s_delay_alu instid0(VALU_DEP_2) | instskip(NEXT) | instid1(VALU_DEP_2)
	v_div_fmas_f32 v6, v6, v10, v28
	v_div_fixup_f32 v9, v5, v23, s8
	s_delay_alu instid0(VALU_DEP_2)
	v_div_fixup_f32 v10, v6, v24, s9
.LBB283_46:                             ;   in Loop: Header=BB283_4 Depth=1
	s_or_b32 exec_lo, exec_lo, s24
                                        ; implicit-def: $vgpr6
	s_and_not1_saveexec_b32 s6, s23
	s_cbranch_execz .LBB283_38
.LBB283_47:                             ;   in Loop: Header=BB283_4 Depth=1
	v_div_scale_f32 v9, null, v6, v6, v5
	v_div_scale_f32 v24, vcc_lo, v5, v6, v5
	s_delay_alu instid0(VALU_DEP_2) | instskip(SKIP_2) | instid1(VALU_DEP_1)
	v_rcp_f32_e32 v10, v9
	s_waitcnt_depctr 0xfff
	v_fma_f32 v23, -v9, v10, 1.0
	v_fmac_f32_e32 v10, v23, v10
	s_delay_alu instid0(VALU_DEP_1) | instskip(NEXT) | instid1(VALU_DEP_1)
	v_mul_f32_e32 v23, v24, v10
	v_fma_f32 v25, -v9, v23, v24
	s_delay_alu instid0(VALU_DEP_1) | instskip(NEXT) | instid1(VALU_DEP_1)
	v_fmac_f32_e32 v23, v25, v10
	v_fma_f32 v9, -v9, v23, v24
	s_delay_alu instid0(VALU_DEP_1) | instskip(NEXT) | instid1(VALU_DEP_1)
	v_div_fmas_f32 v9, v9, v10, v23
	v_div_fixup_f32 v9, v9, v6, v5
	s_delay_alu instid0(VALU_DEP_1) | instskip(NEXT) | instid1(VALU_DEP_1)
	v_fmac_f32_e32 v6, v5, v9
	v_div_scale_f32 v5, null, v6, v6, 1.0
	v_div_scale_f32 v24, vcc_lo, 1.0, v6, 1.0
	s_delay_alu instid0(VALU_DEP_2) | instskip(SKIP_2) | instid1(VALU_DEP_1)
	v_rcp_f32_e32 v10, v5
	s_waitcnt_depctr 0xfff
	v_fma_f32 v23, -v5, v10, 1.0
	v_fmac_f32_e32 v10, v23, v10
	s_delay_alu instid0(VALU_DEP_1) | instskip(NEXT) | instid1(VALU_DEP_1)
	v_mul_f32_e32 v23, v24, v10
	v_fma_f32 v25, -v5, v23, v24
	s_delay_alu instid0(VALU_DEP_1) | instskip(NEXT) | instid1(VALU_DEP_1)
	v_fmac_f32_e32 v23, v25, v10
	v_fma_f32 v5, -v5, v23, v24
	s_delay_alu instid0(VALU_DEP_1) | instskip(SKIP_1) | instid1(VALU_DEP_2)
	v_div_fmas_f32 v5, v5, v10, v23
	v_fma_f32 v10, v9, s8, s9
	v_div_fixup_f32 v5, v5, v6, 1.0
	v_fma_f32 v6, v9, s9, -s8
	s_delay_alu instid0(VALU_DEP_2) | instskip(NEXT) | instid1(VALU_DEP_2)
	v_mul_f32_e32 v9, v10, v5
	v_mul_f32_e32 v10, v6, v5
	s_or_b32 exec_lo, exec_lo, s6
	s_and_saveexec_b32 s6, s2
	s_delay_alu instid0(SALU_CYCLE_1)
	s_xor_b32 s2, exec_lo, s6
	s_cbranch_execz .LBB283_39
.LBB283_48:                             ;   in Loop: Header=BB283_4 Depth=1
	v_add_co_u32 v5, s6, s7, v1
	s_delay_alu instid0(VALU_DEP_1)
	v_add_co_ci_u32_e64 v6, null, s20, 0, s6
	global_store_b64 v[5:6], v[7:8], off
	s_or_b32 exec_lo, exec_lo, s2
	s_and_saveexec_b32 s2, s3
	s_cbranch_execz .LBB283_40
.LBB283_49:                             ;   in Loop: Header=BB283_4 Depth=1
	v_add_co_u32 v5, s3, s7, v19
	s_delay_alu instid0(VALU_DEP_1)
	v_add_co_ci_u32_e64 v6, null, s20, 0, s3
	global_store_b64 v[5:6], v[11:12], off
	s_or_b32 exec_lo, exec_lo, s2
	s_and_saveexec_b32 s2, s4
	s_cbranch_execz .LBB283_41
.LBB283_50:                             ;   in Loop: Header=BB283_4 Depth=1
	v_add_co_u32 v5, vcc_lo, s7, v20
	v_add_co_ci_u32_e32 v6, vcc_lo, s20, v18, vcc_lo
	global_store_b64 v[5:6], v[13:14], off offset:-4
	s_or_b32 exec_lo, exec_lo, s2
	s_and_saveexec_b32 s2, s5
	s_cbranch_execz .LBB283_3
.LBB283_51:                             ;   in Loop: Header=BB283_4 Depth=1
	v_add_co_u32 v5, vcc_lo, s7, v3
	v_add_co_ci_u32_e32 v6, vcc_lo, s20, v4, vcc_lo
	global_store_b64 v[5:6], v[9:10], off offset:-4
	s_branch .LBB283_3
.LBB283_52:
	s_cbranch_execz .LBB283_54
	s_branch .LBB283_89
.LBB283_53:
.LBB283_54:
	v_dual_mov_b32 v13, 0 :: v_dual_lshlrev_b32 v12, 2, v0
	s_mov_b32 s2, 0
	s_mov_b32 s3, exec_lo
	s_delay_alu instid0(VALU_DEP_1)
	v_cmpx_gt_i64_e64 s[10:11], v[12:13]
	s_cbranch_execz .LBB283_89
; %bb.55:
	s_load_b32 s0, s[0:1], 0xd44
	v_lshlrev_b32_e32 v1, 5, v0
	s_waitcnt lgkmcnt(0)
	s_and_b32 s0, s0, 0xffff
	s_delay_alu instid0(SALU_CYCLE_1)
	s_lshl_b32 s1, s0, 2
	s_add_u32 s3, s12, s14
	s_addc_u32 s4, s13, s15
	v_add_co_u32 v14, s3, s3, v1
	v_add_lshl_u32 v12, v0, s0, 2
	v_add_co_ci_u32_e64 v15, null, s4, 0, s3
	s_lshl_b32 s3, s0, 5
	s_branch .LBB283_57
.LBB283_56:                             ;   in Loop: Header=BB283_57 Depth=1
	s_or_b32 exec_lo, exec_lo, s0
	v_cmp_le_i64_e32 vcc_lo, s[10:11], v[12:13]
	v_cmp_lt_u64_e64 s0, 0xffff, v[12:13]
	s_clause 0x1
	global_store_b128 v[14:15], v[4:7], off
	global_store_b128 v[14:15], v[8:11], off offset:16
	s_or_b32 s0, vcc_lo, s0
	v_add_co_u32 v12, vcc_lo, v12, s1
	v_add_co_ci_u32_e32 v13, vcc_lo, 0, v13, vcc_lo
	v_add_co_u32 v14, vcc_lo, v14, s3
	v_add_co_ci_u32_e32 v15, vcc_lo, 0, v15, vcc_lo
	s_and_b32 s0, exec_lo, s0
	s_delay_alu instid0(SALU_CYCLE_1) | instskip(NEXT) | instid1(SALU_CYCLE_1)
	s_or_b32 s2, s0, s2
	s_and_not1_b32 exec_lo, exec_lo, s2
	s_cbranch_execz .LBB283_89
.LBB283_57:                             ; =>This Inner Loop Header: Depth=1
	s_clause 0x1
	global_load_b128 v[8:11], v[14:15], off
	global_load_b128 v[0:3], v[14:15], off offset:16
                                        ; implicit-def: $vgpr5
	s_mov_b32 s0, exec_lo
	s_waitcnt vmcnt(1)
	v_cmp_gt_f32_e32 vcc_lo, 0, v8
	v_cndmask_b32_e64 v6, v8, -v8, vcc_lo
	v_cmp_gt_f32_e32 vcc_lo, 0, v9
	v_cndmask_b32_e64 v7, v9, -v9, vcc_lo
	s_delay_alu instid0(VALU_DEP_1)
	v_cmpx_ge_f32_e32 v6, v7
	s_xor_b32 s4, exec_lo, s0
	s_cbranch_execz .LBB283_63
; %bb.58:                               ;   in Loop: Header=BB283_57 Depth=1
	v_cmp_neq_f32_e32 vcc_lo, 0, v8
	v_cmp_neq_f32_e64 s0, 0, v9
                                        ; implicit-def: $vgpr5
	s_delay_alu instid0(VALU_DEP_1) | instskip(NEXT) | instid1(SALU_CYCLE_1)
	s_or_b32 s0, vcc_lo, s0
	s_and_saveexec_b32 s5, s0
	s_delay_alu instid0(SALU_CYCLE_1)
	s_xor_b32 s0, exec_lo, s5
	s_cbranch_execz .LBB283_60
; %bb.59:                               ;   in Loop: Header=BB283_57 Depth=1
	v_div_scale_f32 v4, null, v8, v8, v9
	v_div_scale_f32 v7, vcc_lo, v9, v8, v9
	s_delay_alu instid0(VALU_DEP_2) | instskip(SKIP_2) | instid1(VALU_DEP_1)
	v_rcp_f32_e32 v5, v4
	s_waitcnt_depctr 0xfff
	v_fma_f32 v6, -v4, v5, 1.0
	v_fmac_f32_e32 v5, v6, v5
	s_delay_alu instid0(VALU_DEP_1) | instskip(NEXT) | instid1(VALU_DEP_1)
	v_mul_f32_e32 v6, v7, v5
	v_fma_f32 v16, -v4, v6, v7
	s_delay_alu instid0(VALU_DEP_1) | instskip(NEXT) | instid1(VALU_DEP_1)
	v_fmac_f32_e32 v6, v16, v5
	v_fma_f32 v4, -v4, v6, v7
	s_delay_alu instid0(VALU_DEP_1) | instskip(NEXT) | instid1(VALU_DEP_1)
	v_div_fmas_f32 v4, v4, v5, v6
	v_div_fixup_f32 v4, v4, v8, v9
	s_delay_alu instid0(VALU_DEP_1) | instskip(NEXT) | instid1(VALU_DEP_1)
	v_fma_f32 v5, v9, v4, v8
	v_div_scale_f32 v6, null, v5, v5, 1.0
	v_div_scale_f32 v17, vcc_lo, 1.0, v5, 1.0
	s_delay_alu instid0(VALU_DEP_2) | instskip(SKIP_2) | instid1(VALU_DEP_1)
	v_rcp_f32_e32 v7, v6
	s_waitcnt_depctr 0xfff
	v_fma_f32 v16, -v6, v7, 1.0
	v_fmac_f32_e32 v7, v16, v7
	s_delay_alu instid0(VALU_DEP_1) | instskip(NEXT) | instid1(VALU_DEP_1)
	v_mul_f32_e32 v16, v17, v7
	v_fma_f32 v18, -v6, v16, v17
	s_delay_alu instid0(VALU_DEP_1) | instskip(NEXT) | instid1(VALU_DEP_1)
	v_fmac_f32_e32 v16, v18, v7
	v_fma_f32 v6, -v6, v16, v17
	s_delay_alu instid0(VALU_DEP_1) | instskip(SKIP_1) | instid1(VALU_DEP_2)
	v_div_fmas_f32 v6, v6, v7, v16
	v_fma_f32 v7, v4, s9, s8
	v_div_fixup_f32 v5, v6, v5, 1.0
	v_fma_f32 v6, -v4, s8, s9
	s_delay_alu instid0(VALU_DEP_2) | instskip(NEXT) | instid1(VALU_DEP_2)
	v_mul_f32_e32 v4, v7, v5
	v_mul_f32_e32 v5, v6, v5
                                        ; implicit-def: $vgpr6
                                        ; implicit-def: $vgpr7
.LBB283_60:                             ;   in Loop: Header=BB283_57 Depth=1
	s_and_not1_saveexec_b32 s5, s0
	s_cbranch_execz .LBB283_62
; %bb.61:                               ;   in Loop: Header=BB283_57 Depth=1
	v_div_scale_f32 v4, null, v6, v6, s8
	v_div_scale_f32 v5, null, v7, v7, s9
	v_div_scale_f32 v20, vcc_lo, s8, v6, s8
	s_delay_alu instid0(VALU_DEP_3) | instskip(NEXT) | instid1(VALU_DEP_2)
	v_rcp_f32_e32 v16, v4
	v_rcp_f32_e32 v17, v5
	s_waitcnt_depctr 0xfff
	v_fma_f32 v18, -v4, v16, 1.0
	v_fma_f32 v19, -v5, v17, 1.0
	s_delay_alu instid0(VALU_DEP_1) | instskip(SKIP_1) | instid1(VALU_DEP_2)
	v_dual_fmac_f32 v16, v18, v16 :: v_dual_fmac_f32 v17, v19, v17
	v_div_scale_f32 v18, s0, s9, v7, s9
	v_mul_f32_e32 v19, v20, v16
	s_delay_alu instid0(VALU_DEP_2) | instskip(NEXT) | instid1(VALU_DEP_2)
	v_mul_f32_e32 v21, v18, v17
	v_fma_f32 v22, -v4, v19, v20
	s_delay_alu instid0(VALU_DEP_2) | instskip(NEXT) | instid1(VALU_DEP_2)
	v_fma_f32 v23, -v5, v21, v18
	v_fmac_f32_e32 v19, v22, v16
	s_delay_alu instid0(VALU_DEP_2) | instskip(NEXT) | instid1(VALU_DEP_2)
	v_fmac_f32_e32 v21, v23, v17
	v_fma_f32 v4, -v4, v19, v20
	s_delay_alu instid0(VALU_DEP_2) | instskip(NEXT) | instid1(VALU_DEP_2)
	v_fma_f32 v5, -v5, v21, v18
	v_div_fmas_f32 v4, v4, v16, v19
	s_mov_b32 vcc_lo, s0
	s_delay_alu instid0(VALU_DEP_2) | instskip(NEXT) | instid1(VALU_DEP_2)
	v_div_fmas_f32 v5, v5, v17, v21
	v_div_fixup_f32 v4, v4, v6, s8
	s_delay_alu instid0(VALU_DEP_2)
	v_div_fixup_f32 v5, v5, v7, s9
.LBB283_62:                             ;   in Loop: Header=BB283_57 Depth=1
	s_or_b32 exec_lo, exec_lo, s5
.LBB283_63:                             ;   in Loop: Header=BB283_57 Depth=1
	s_and_not1_saveexec_b32 s0, s4
	s_cbranch_execz .LBB283_65
; %bb.64:                               ;   in Loop: Header=BB283_57 Depth=1
	v_div_scale_f32 v4, null, v9, v9, v8
	v_div_scale_f32 v7, vcc_lo, v8, v9, v8
	s_delay_alu instid0(VALU_DEP_2) | instskip(SKIP_2) | instid1(VALU_DEP_1)
	v_rcp_f32_e32 v5, v4
	s_waitcnt_depctr 0xfff
	v_fma_f32 v6, -v4, v5, 1.0
	v_fmac_f32_e32 v5, v6, v5
	s_delay_alu instid0(VALU_DEP_1) | instskip(NEXT) | instid1(VALU_DEP_1)
	v_mul_f32_e32 v6, v7, v5
	v_fma_f32 v16, -v4, v6, v7
	s_delay_alu instid0(VALU_DEP_1) | instskip(NEXT) | instid1(VALU_DEP_1)
	v_fmac_f32_e32 v6, v16, v5
	v_fma_f32 v4, -v4, v6, v7
	s_delay_alu instid0(VALU_DEP_1) | instskip(NEXT) | instid1(VALU_DEP_1)
	v_div_fmas_f32 v4, v4, v5, v6
	v_div_fixup_f32 v4, v4, v9, v8
	s_delay_alu instid0(VALU_DEP_1) | instskip(NEXT) | instid1(VALU_DEP_1)
	v_fma_f32 v5, v8, v4, v9
	v_div_scale_f32 v6, null, v5, v5, 1.0
	v_div_scale_f32 v9, vcc_lo, 1.0, v5, 1.0
	s_delay_alu instid0(VALU_DEP_2) | instskip(SKIP_2) | instid1(VALU_DEP_1)
	v_rcp_f32_e32 v7, v6
	s_waitcnt_depctr 0xfff
	v_fma_f32 v8, -v6, v7, 1.0
	v_fmac_f32_e32 v7, v8, v7
	s_delay_alu instid0(VALU_DEP_1) | instskip(NEXT) | instid1(VALU_DEP_1)
	v_mul_f32_e32 v8, v9, v7
	v_fma_f32 v16, -v6, v8, v9
	s_delay_alu instid0(VALU_DEP_1) | instskip(NEXT) | instid1(VALU_DEP_1)
	v_fmac_f32_e32 v8, v16, v7
	v_fma_f32 v6, -v6, v8, v9
	s_delay_alu instid0(VALU_DEP_1) | instskip(SKIP_1) | instid1(VALU_DEP_2)
	v_div_fmas_f32 v6, v6, v7, v8
	v_fma_f32 v7, v4, s8, s9
	v_div_fixup_f32 v5, v6, v5, 1.0
	v_fma_f32 v6, v4, s9, -s8
	s_delay_alu instid0(VALU_DEP_2) | instskip(NEXT) | instid1(VALU_DEP_2)
	v_mul_f32_e32 v4, v7, v5
	v_mul_f32_e32 v5, v6, v5
.LBB283_65:                             ;   in Loop: Header=BB283_57 Depth=1
	s_or_b32 exec_lo, exec_lo, s0
	v_cmp_gt_f32_e32 vcc_lo, 0, v10
	s_mov_b32 s0, exec_lo
	v_cndmask_b32_e64 v8, v10, -v10, vcc_lo
	v_cmp_gt_f32_e32 vcc_lo, 0, v11
	v_cndmask_b32_e64 v9, v11, -v11, vcc_lo
	s_delay_alu instid0(VALU_DEP_1)
	v_cmpx_ge_f32_e32 v8, v9
	s_xor_b32 s4, exec_lo, s0
	s_cbranch_execz .LBB283_71
; %bb.66:                               ;   in Loop: Header=BB283_57 Depth=1
	v_cmp_neq_f32_e32 vcc_lo, 0, v10
	v_cmp_neq_f32_e64 s0, 0, v11
	s_delay_alu instid0(VALU_DEP_1) | instskip(NEXT) | instid1(SALU_CYCLE_1)
	s_or_b32 s0, vcc_lo, s0
	s_and_saveexec_b32 s5, s0
	s_delay_alu instid0(SALU_CYCLE_1)
	s_xor_b32 s0, exec_lo, s5
	s_cbranch_execz .LBB283_68
; %bb.67:                               ;   in Loop: Header=BB283_57 Depth=1
	v_div_scale_f32 v6, null, v10, v10, v11
	v_div_scale_f32 v9, vcc_lo, v11, v10, v11
	s_delay_alu instid0(VALU_DEP_2) | instskip(SKIP_2) | instid1(VALU_DEP_1)
	v_rcp_f32_e32 v7, v6
	s_waitcnt_depctr 0xfff
	v_fma_f32 v8, -v6, v7, 1.0
	v_fmac_f32_e32 v7, v8, v7
	s_delay_alu instid0(VALU_DEP_1) | instskip(NEXT) | instid1(VALU_DEP_1)
	v_mul_f32_e32 v8, v9, v7
	v_fma_f32 v16, -v6, v8, v9
	s_delay_alu instid0(VALU_DEP_1) | instskip(NEXT) | instid1(VALU_DEP_1)
	v_fmac_f32_e32 v8, v16, v7
	v_fma_f32 v6, -v6, v8, v9
	s_delay_alu instid0(VALU_DEP_1) | instskip(NEXT) | instid1(VALU_DEP_1)
	v_div_fmas_f32 v6, v6, v7, v8
	v_div_fixup_f32 v6, v6, v10, v11
	s_delay_alu instid0(VALU_DEP_1) | instskip(NEXT) | instid1(VALU_DEP_1)
	v_fmac_f32_e32 v10, v11, v6
	v_div_scale_f32 v7, null, v10, v10, 1.0
	v_div_scale_f32 v11, vcc_lo, 1.0, v10, 1.0
	s_delay_alu instid0(VALU_DEP_2) | instskip(SKIP_2) | instid1(VALU_DEP_1)
	v_rcp_f32_e32 v8, v7
	s_waitcnt_depctr 0xfff
	v_fma_f32 v9, -v7, v8, 1.0
	v_fmac_f32_e32 v8, v9, v8
	s_delay_alu instid0(VALU_DEP_1) | instskip(NEXT) | instid1(VALU_DEP_1)
	v_mul_f32_e32 v9, v11, v8
	v_fma_f32 v16, -v7, v9, v11
	s_delay_alu instid0(VALU_DEP_1) | instskip(NEXT) | instid1(VALU_DEP_1)
	v_fmac_f32_e32 v9, v16, v8
	v_fma_f32 v7, -v7, v9, v11
	s_delay_alu instid0(VALU_DEP_1) | instskip(SKIP_2) | instid1(VALU_DEP_3)
	v_div_fmas_f32 v7, v7, v8, v9
	v_fma_f32 v8, v6, s9, s8
	v_fma_f32 v9, -v6, s8, s9
	v_div_fixup_f32 v7, v7, v10, 1.0
	s_delay_alu instid0(VALU_DEP_1) | instskip(NEXT) | instid1(VALU_DEP_3)
	v_mul_f32_e32 v6, v8, v7
	v_mul_f32_e32 v7, v9, v7
                                        ; implicit-def: $vgpr8
                                        ; implicit-def: $vgpr9
.LBB283_68:                             ;   in Loop: Header=BB283_57 Depth=1
	s_and_not1_saveexec_b32 s5, s0
	s_cbranch_execz .LBB283_70
; %bb.69:                               ;   in Loop: Header=BB283_57 Depth=1
	v_div_scale_f32 v6, null, v8, v8, s8
	v_div_scale_f32 v7, null, v9, v9, s9
	v_div_scale_f32 v18, vcc_lo, s8, v8, s8
	s_delay_alu instid0(VALU_DEP_3) | instskip(NEXT) | instid1(VALU_DEP_2)
	v_rcp_f32_e32 v10, v6
	v_rcp_f32_e32 v11, v7
	s_waitcnt_depctr 0xfff
	v_fma_f32 v16, -v6, v10, 1.0
	v_fma_f32 v17, -v7, v11, 1.0
	s_delay_alu instid0(VALU_DEP_1) | instskip(SKIP_1) | instid1(VALU_DEP_2)
	v_dual_fmac_f32 v10, v16, v10 :: v_dual_fmac_f32 v11, v17, v11
	v_div_scale_f32 v16, s0, s9, v9, s9
	v_mul_f32_e32 v17, v18, v10
	s_delay_alu instid0(VALU_DEP_2) | instskip(NEXT) | instid1(VALU_DEP_2)
	v_mul_f32_e32 v19, v16, v11
	v_fma_f32 v20, -v6, v17, v18
	s_delay_alu instid0(VALU_DEP_2) | instskip(NEXT) | instid1(VALU_DEP_2)
	v_fma_f32 v21, -v7, v19, v16
	v_fmac_f32_e32 v17, v20, v10
	s_delay_alu instid0(VALU_DEP_2) | instskip(NEXT) | instid1(VALU_DEP_2)
	v_fmac_f32_e32 v19, v21, v11
	v_fma_f32 v6, -v6, v17, v18
	s_delay_alu instid0(VALU_DEP_2) | instskip(NEXT) | instid1(VALU_DEP_2)
	v_fma_f32 v7, -v7, v19, v16
	v_div_fmas_f32 v6, v6, v10, v17
	s_mov_b32 vcc_lo, s0
	s_delay_alu instid0(VALU_DEP_2) | instskip(NEXT) | instid1(VALU_DEP_2)
	v_div_fmas_f32 v7, v7, v11, v19
	v_div_fixup_f32 v6, v6, v8, s8
	s_delay_alu instid0(VALU_DEP_2)
	v_div_fixup_f32 v7, v7, v9, s9
.LBB283_70:                             ;   in Loop: Header=BB283_57 Depth=1
	s_or_b32 exec_lo, exec_lo, s5
                                        ; implicit-def: $vgpr8_vgpr9_vgpr10_vgpr11
.LBB283_71:                             ;   in Loop: Header=BB283_57 Depth=1
	s_and_not1_saveexec_b32 s0, s4
	s_cbranch_execz .LBB283_73
; %bb.72:                               ;   in Loop: Header=BB283_57 Depth=1
	v_div_scale_f32 v6, null, v11, v11, v10
	v_div_scale_f32 v9, vcc_lo, v10, v11, v10
	s_delay_alu instid0(VALU_DEP_2) | instskip(SKIP_2) | instid1(VALU_DEP_1)
	v_rcp_f32_e32 v7, v6
	s_waitcnt_depctr 0xfff
	v_fma_f32 v8, -v6, v7, 1.0
	v_fmac_f32_e32 v7, v8, v7
	s_delay_alu instid0(VALU_DEP_1) | instskip(NEXT) | instid1(VALU_DEP_1)
	v_mul_f32_e32 v8, v9, v7
	v_fma_f32 v16, -v6, v8, v9
	s_delay_alu instid0(VALU_DEP_1) | instskip(NEXT) | instid1(VALU_DEP_1)
	v_fmac_f32_e32 v8, v16, v7
	v_fma_f32 v6, -v6, v8, v9
	s_delay_alu instid0(VALU_DEP_1) | instskip(NEXT) | instid1(VALU_DEP_1)
	v_div_fmas_f32 v6, v6, v7, v8
	v_div_fixup_f32 v6, v6, v11, v10
	s_delay_alu instid0(VALU_DEP_1) | instskip(NEXT) | instid1(VALU_DEP_1)
	v_fmac_f32_e32 v11, v10, v6
	v_div_scale_f32 v7, null, v11, v11, 1.0
	v_div_scale_f32 v10, vcc_lo, 1.0, v11, 1.0
	s_delay_alu instid0(VALU_DEP_2) | instskip(SKIP_2) | instid1(VALU_DEP_1)
	v_rcp_f32_e32 v8, v7
	s_waitcnt_depctr 0xfff
	v_fma_f32 v9, -v7, v8, 1.0
	v_fmac_f32_e32 v8, v9, v8
	s_delay_alu instid0(VALU_DEP_1) | instskip(NEXT) | instid1(VALU_DEP_1)
	v_mul_f32_e32 v9, v10, v8
	v_fma_f32 v16, -v7, v9, v10
	s_delay_alu instid0(VALU_DEP_1) | instskip(NEXT) | instid1(VALU_DEP_1)
	v_fmac_f32_e32 v9, v16, v8
	v_fma_f32 v7, -v7, v9, v10
	s_delay_alu instid0(VALU_DEP_1) | instskip(SKIP_2) | instid1(VALU_DEP_3)
	v_div_fmas_f32 v7, v7, v8, v9
	v_fma_f32 v8, v6, s8, s9
	v_fma_f32 v9, v6, s9, -s8
	v_div_fixup_f32 v7, v7, v11, 1.0
	s_delay_alu instid0(VALU_DEP_1) | instskip(NEXT) | instid1(VALU_DEP_3)
	v_mul_f32_e32 v6, v8, v7
	v_mul_f32_e32 v7, v9, v7
.LBB283_73:                             ;   in Loop: Header=BB283_57 Depth=1
	s_or_b32 exec_lo, exec_lo, s0
	s_waitcnt vmcnt(0)
	v_cmp_gt_f32_e32 vcc_lo, 0, v0
                                        ; implicit-def: $vgpr9
	s_mov_b32 s0, exec_lo
	v_cndmask_b32_e64 v10, v0, -v0, vcc_lo
	v_cmp_gt_f32_e32 vcc_lo, 0, v1
	v_cndmask_b32_e64 v11, v1, -v1, vcc_lo
	s_delay_alu instid0(VALU_DEP_1)
	v_cmpx_ge_f32_e32 v10, v11
	s_xor_b32 s4, exec_lo, s0
	s_cbranch_execz .LBB283_79
; %bb.74:                               ;   in Loop: Header=BB283_57 Depth=1
	v_cmp_neq_f32_e32 vcc_lo, 0, v0
	v_cmp_neq_f32_e64 s0, 0, v1
                                        ; implicit-def: $vgpr9
	s_delay_alu instid0(VALU_DEP_1) | instskip(NEXT) | instid1(SALU_CYCLE_1)
	s_or_b32 s0, vcc_lo, s0
	s_and_saveexec_b32 s5, s0
	s_delay_alu instid0(SALU_CYCLE_1)
	s_xor_b32 s0, exec_lo, s5
	s_cbranch_execz .LBB283_76
; %bb.75:                               ;   in Loop: Header=BB283_57 Depth=1
	v_div_scale_f32 v8, null, v0, v0, v1
	v_div_scale_f32 v11, vcc_lo, v1, v0, v1
	s_delay_alu instid0(VALU_DEP_2) | instskip(SKIP_2) | instid1(VALU_DEP_1)
	v_rcp_f32_e32 v9, v8
	s_waitcnt_depctr 0xfff
	v_fma_f32 v10, -v8, v9, 1.0
	v_fmac_f32_e32 v9, v10, v9
	s_delay_alu instid0(VALU_DEP_1) | instskip(NEXT) | instid1(VALU_DEP_1)
	v_mul_f32_e32 v10, v11, v9
	v_fma_f32 v16, -v8, v10, v11
	s_delay_alu instid0(VALU_DEP_1) | instskip(NEXT) | instid1(VALU_DEP_1)
	v_fmac_f32_e32 v10, v16, v9
	v_fma_f32 v8, -v8, v10, v11
	s_delay_alu instid0(VALU_DEP_1) | instskip(NEXT) | instid1(VALU_DEP_1)
	v_div_fmas_f32 v8, v8, v9, v10
	v_div_fixup_f32 v8, v8, v0, v1
	s_delay_alu instid0(VALU_DEP_1) | instskip(NEXT) | instid1(VALU_DEP_1)
	v_fma_f32 v9, v1, v8, v0
	v_div_scale_f32 v10, null, v9, v9, 1.0
	v_div_scale_f32 v17, vcc_lo, 1.0, v9, 1.0
	s_delay_alu instid0(VALU_DEP_2) | instskip(SKIP_2) | instid1(VALU_DEP_1)
	v_rcp_f32_e32 v11, v10
	s_waitcnt_depctr 0xfff
	v_fma_f32 v16, -v10, v11, 1.0
	v_fmac_f32_e32 v11, v16, v11
	s_delay_alu instid0(VALU_DEP_1) | instskip(NEXT) | instid1(VALU_DEP_1)
	v_mul_f32_e32 v16, v17, v11
	v_fma_f32 v18, -v10, v16, v17
	s_delay_alu instid0(VALU_DEP_1) | instskip(NEXT) | instid1(VALU_DEP_1)
	v_fmac_f32_e32 v16, v18, v11
	v_fma_f32 v10, -v10, v16, v17
	s_delay_alu instid0(VALU_DEP_1) | instskip(SKIP_1) | instid1(VALU_DEP_2)
	v_div_fmas_f32 v10, v10, v11, v16
	v_fma_f32 v11, v8, s9, s8
	v_div_fixup_f32 v9, v10, v9, 1.0
	v_fma_f32 v10, -v8, s8, s9
	s_delay_alu instid0(VALU_DEP_2) | instskip(NEXT) | instid1(VALU_DEP_2)
	v_mul_f32_e32 v8, v11, v9
	v_mul_f32_e32 v9, v10, v9
                                        ; implicit-def: $vgpr10
                                        ; implicit-def: $vgpr11
.LBB283_76:                             ;   in Loop: Header=BB283_57 Depth=1
	s_and_not1_saveexec_b32 s5, s0
	s_cbranch_execz .LBB283_78
; %bb.77:                               ;   in Loop: Header=BB283_57 Depth=1
	v_div_scale_f32 v8, null, v10, v10, s8
	v_div_scale_f32 v9, null, v11, v11, s9
	v_div_scale_f32 v20, vcc_lo, s8, v10, s8
	s_delay_alu instid0(VALU_DEP_3) | instskip(NEXT) | instid1(VALU_DEP_2)
	v_rcp_f32_e32 v16, v8
	v_rcp_f32_e32 v17, v9
	s_waitcnt_depctr 0xfff
	v_fma_f32 v18, -v8, v16, 1.0
	v_fma_f32 v19, -v9, v17, 1.0
	s_delay_alu instid0(VALU_DEP_1) | instskip(SKIP_1) | instid1(VALU_DEP_2)
	v_dual_fmac_f32 v16, v18, v16 :: v_dual_fmac_f32 v17, v19, v17
	v_div_scale_f32 v18, s0, s9, v11, s9
	v_mul_f32_e32 v19, v20, v16
	s_delay_alu instid0(VALU_DEP_2) | instskip(NEXT) | instid1(VALU_DEP_2)
	v_mul_f32_e32 v21, v18, v17
	v_fma_f32 v22, -v8, v19, v20
	s_delay_alu instid0(VALU_DEP_2) | instskip(NEXT) | instid1(VALU_DEP_2)
	v_fma_f32 v23, -v9, v21, v18
	v_fmac_f32_e32 v19, v22, v16
	s_delay_alu instid0(VALU_DEP_2) | instskip(NEXT) | instid1(VALU_DEP_2)
	v_fmac_f32_e32 v21, v23, v17
	v_fma_f32 v8, -v8, v19, v20
	s_delay_alu instid0(VALU_DEP_2) | instskip(NEXT) | instid1(VALU_DEP_2)
	v_fma_f32 v9, -v9, v21, v18
	v_div_fmas_f32 v8, v8, v16, v19
	s_mov_b32 vcc_lo, s0
	s_delay_alu instid0(VALU_DEP_2) | instskip(NEXT) | instid1(VALU_DEP_2)
	v_div_fmas_f32 v9, v9, v17, v21
	v_div_fixup_f32 v8, v8, v10, s8
	s_delay_alu instid0(VALU_DEP_2)
	v_div_fixup_f32 v9, v9, v11, s9
.LBB283_78:                             ;   in Loop: Header=BB283_57 Depth=1
	s_or_b32 exec_lo, exec_lo, s5
.LBB283_79:                             ;   in Loop: Header=BB283_57 Depth=1
	s_and_not1_saveexec_b32 s0, s4
	s_cbranch_execz .LBB283_81
; %bb.80:                               ;   in Loop: Header=BB283_57 Depth=1
	v_div_scale_f32 v8, null, v1, v1, v0
	v_div_scale_f32 v11, vcc_lo, v0, v1, v0
	s_delay_alu instid0(VALU_DEP_2) | instskip(SKIP_2) | instid1(VALU_DEP_1)
	v_rcp_f32_e32 v9, v8
	s_waitcnt_depctr 0xfff
	v_fma_f32 v10, -v8, v9, 1.0
	v_fmac_f32_e32 v9, v10, v9
	s_delay_alu instid0(VALU_DEP_1) | instskip(NEXT) | instid1(VALU_DEP_1)
	v_mul_f32_e32 v10, v11, v9
	v_fma_f32 v16, -v8, v10, v11
	s_delay_alu instid0(VALU_DEP_1) | instskip(NEXT) | instid1(VALU_DEP_1)
	v_fmac_f32_e32 v10, v16, v9
	v_fma_f32 v8, -v8, v10, v11
	s_delay_alu instid0(VALU_DEP_1) | instskip(NEXT) | instid1(VALU_DEP_1)
	v_div_fmas_f32 v8, v8, v9, v10
	v_div_fixup_f32 v8, v8, v1, v0
	s_delay_alu instid0(VALU_DEP_1) | instskip(NEXT) | instid1(VALU_DEP_1)
	v_fma_f32 v0, v0, v8, v1
	v_div_scale_f32 v1, null, v0, v0, 1.0
	v_div_scale_f32 v11, vcc_lo, 1.0, v0, 1.0
	s_delay_alu instid0(VALU_DEP_2) | instskip(SKIP_2) | instid1(VALU_DEP_1)
	v_rcp_f32_e32 v9, v1
	s_waitcnt_depctr 0xfff
	v_fma_f32 v10, -v1, v9, 1.0
	v_fmac_f32_e32 v9, v10, v9
	s_delay_alu instid0(VALU_DEP_1) | instskip(NEXT) | instid1(VALU_DEP_1)
	v_mul_f32_e32 v10, v11, v9
	v_fma_f32 v16, -v1, v10, v11
	s_delay_alu instid0(VALU_DEP_1) | instskip(NEXT) | instid1(VALU_DEP_1)
	v_fmac_f32_e32 v10, v16, v9
	v_fma_f32 v1, -v1, v10, v11
	s_delay_alu instid0(VALU_DEP_1) | instskip(SKIP_1) | instid1(VALU_DEP_2)
	v_div_fmas_f32 v1, v1, v9, v10
	v_fma_f32 v9, v8, s8, s9
	v_div_fixup_f32 v0, v1, v0, 1.0
	v_fma_f32 v1, v8, s9, -s8
	s_delay_alu instid0(VALU_DEP_2) | instskip(NEXT) | instid1(VALU_DEP_2)
	v_mul_f32_e32 v8, v9, v0
	v_mul_f32_e32 v9, v1, v0
.LBB283_81:                             ;   in Loop: Header=BB283_57 Depth=1
	s_or_b32 exec_lo, exec_lo, s0
	v_cmp_gt_f32_e32 vcc_lo, 0, v2
	s_mov_b32 s0, exec_lo
	v_cndmask_b32_e64 v0, v2, -v2, vcc_lo
	v_cmp_gt_f32_e32 vcc_lo, 0, v3
	v_cndmask_b32_e64 v1, v3, -v3, vcc_lo
	s_delay_alu instid0(VALU_DEP_1)
	v_cmpx_ge_f32_e32 v0, v1
	s_xor_b32 s4, exec_lo, s0
	s_cbranch_execz .LBB283_87
; %bb.82:                               ;   in Loop: Header=BB283_57 Depth=1
	v_cmp_neq_f32_e32 vcc_lo, 0, v2
	v_cmp_neq_f32_e64 s0, 0, v3
	s_delay_alu instid0(VALU_DEP_1) | instskip(NEXT) | instid1(SALU_CYCLE_1)
	s_or_b32 s0, vcc_lo, s0
	s_and_saveexec_b32 s5, s0
	s_delay_alu instid0(SALU_CYCLE_1)
	s_xor_b32 s0, exec_lo, s5
	s_cbranch_execz .LBB283_84
; %bb.83:                               ;   in Loop: Header=BB283_57 Depth=1
	v_div_scale_f32 v0, null, v2, v2, v3
	v_div_scale_f32 v11, vcc_lo, v3, v2, v3
	s_delay_alu instid0(VALU_DEP_2) | instskip(SKIP_2) | instid1(VALU_DEP_1)
	v_rcp_f32_e32 v1, v0
	s_waitcnt_depctr 0xfff
	v_fma_f32 v10, -v0, v1, 1.0
	v_fmac_f32_e32 v1, v10, v1
	s_delay_alu instid0(VALU_DEP_1) | instskip(NEXT) | instid1(VALU_DEP_1)
	v_mul_f32_e32 v10, v11, v1
	v_fma_f32 v16, -v0, v10, v11
	s_delay_alu instid0(VALU_DEP_1) | instskip(NEXT) | instid1(VALU_DEP_1)
	v_fmac_f32_e32 v10, v16, v1
	v_fma_f32 v0, -v0, v10, v11
	s_delay_alu instid0(VALU_DEP_1) | instskip(NEXT) | instid1(VALU_DEP_1)
	v_div_fmas_f32 v0, v0, v1, v10
	v_div_fixup_f32 v0, v0, v2, v3
	s_delay_alu instid0(VALU_DEP_1) | instskip(NEXT) | instid1(VALU_DEP_1)
	v_fmac_f32_e32 v2, v3, v0
	v_div_scale_f32 v1, null, v2, v2, 1.0
	v_div_scale_f32 v11, vcc_lo, 1.0, v2, 1.0
	s_delay_alu instid0(VALU_DEP_2) | instskip(SKIP_2) | instid1(VALU_DEP_1)
	v_rcp_f32_e32 v3, v1
	s_waitcnt_depctr 0xfff
	v_fma_f32 v10, -v1, v3, 1.0
	v_fmac_f32_e32 v3, v10, v3
	s_delay_alu instid0(VALU_DEP_1) | instskip(NEXT) | instid1(VALU_DEP_1)
	v_mul_f32_e32 v10, v11, v3
	v_fma_f32 v16, -v1, v10, v11
	s_delay_alu instid0(VALU_DEP_1) | instskip(NEXT) | instid1(VALU_DEP_1)
	v_fmac_f32_e32 v10, v16, v3
	v_fma_f32 v1, -v1, v10, v11
	s_delay_alu instid0(VALU_DEP_1) | instskip(SKIP_2) | instid1(VALU_DEP_3)
	v_div_fmas_f32 v1, v1, v3, v10
	v_fma_f32 v3, v0, s9, s8
	v_fma_f32 v0, -v0, s8, s9
	v_div_fixup_f32 v1, v1, v2, 1.0
	s_delay_alu instid0(VALU_DEP_1) | instskip(NEXT) | instid1(VALU_DEP_4)
	v_mul_f32_e32 v11, v0, v1
	v_mul_f32_e32 v10, v3, v1
                                        ; implicit-def: $vgpr0
                                        ; implicit-def: $vgpr1
.LBB283_84:                             ;   in Loop: Header=BB283_57 Depth=1
	s_and_not1_saveexec_b32 s5, s0
	s_cbranch_execz .LBB283_86
; %bb.85:                               ;   in Loop: Header=BB283_57 Depth=1
	v_div_scale_f32 v2, null, v0, v0, s8
	v_div_scale_f32 v3, null, v1, v1, s9
	v_div_scale_f32 v18, vcc_lo, s8, v0, s8
	s_delay_alu instid0(VALU_DEP_3) | instskip(NEXT) | instid1(VALU_DEP_2)
	v_rcp_f32_e32 v10, v2
	v_rcp_f32_e32 v11, v3
	s_waitcnt_depctr 0xfff
	v_fma_f32 v16, -v2, v10, 1.0
	v_fma_f32 v17, -v3, v11, 1.0
	s_delay_alu instid0(VALU_DEP_1) | instskip(SKIP_1) | instid1(VALU_DEP_2)
	v_dual_fmac_f32 v10, v16, v10 :: v_dual_fmac_f32 v11, v17, v11
	v_div_scale_f32 v16, s0, s9, v1, s9
	v_mul_f32_e32 v17, v18, v10
	s_delay_alu instid0(VALU_DEP_2) | instskip(NEXT) | instid1(VALU_DEP_2)
	v_mul_f32_e32 v19, v16, v11
	v_fma_f32 v20, -v2, v17, v18
	s_delay_alu instid0(VALU_DEP_2) | instskip(NEXT) | instid1(VALU_DEP_2)
	v_fma_f32 v21, -v3, v19, v16
	v_fmac_f32_e32 v17, v20, v10
	s_delay_alu instid0(VALU_DEP_2) | instskip(NEXT) | instid1(VALU_DEP_2)
	v_fmac_f32_e32 v19, v21, v11
	v_fma_f32 v2, -v2, v17, v18
	s_delay_alu instid0(VALU_DEP_2) | instskip(NEXT) | instid1(VALU_DEP_2)
	v_fma_f32 v3, -v3, v19, v16
	v_div_fmas_f32 v2, v2, v10, v17
	s_mov_b32 vcc_lo, s0
	s_delay_alu instid0(VALU_DEP_2) | instskip(NEXT) | instid1(VALU_DEP_2)
	v_div_fmas_f32 v3, v3, v11, v19
	v_div_fixup_f32 v10, v2, v0, s8
	s_delay_alu instid0(VALU_DEP_2)
	v_div_fixup_f32 v11, v3, v1, s9
.LBB283_86:                             ;   in Loop: Header=BB283_57 Depth=1
	s_or_b32 exec_lo, exec_lo, s5
                                        ; implicit-def: $vgpr0_vgpr1_vgpr2_vgpr3
.LBB283_87:                             ;   in Loop: Header=BB283_57 Depth=1
	s_and_not1_saveexec_b32 s0, s4
	s_cbranch_execz .LBB283_56
; %bb.88:                               ;   in Loop: Header=BB283_57 Depth=1
	v_div_scale_f32 v0, null, v3, v3, v2
	v_div_scale_f32 v11, vcc_lo, v2, v3, v2
	s_delay_alu instid0(VALU_DEP_2) | instskip(SKIP_2) | instid1(VALU_DEP_1)
	v_rcp_f32_e32 v1, v0
	s_waitcnt_depctr 0xfff
	v_fma_f32 v10, -v0, v1, 1.0
	v_fmac_f32_e32 v1, v10, v1
	s_delay_alu instid0(VALU_DEP_1) | instskip(NEXT) | instid1(VALU_DEP_1)
	v_mul_f32_e32 v10, v11, v1
	v_fma_f32 v16, -v0, v10, v11
	s_delay_alu instid0(VALU_DEP_1) | instskip(NEXT) | instid1(VALU_DEP_1)
	v_fmac_f32_e32 v10, v16, v1
	v_fma_f32 v0, -v0, v10, v11
	s_delay_alu instid0(VALU_DEP_1) | instskip(NEXT) | instid1(VALU_DEP_1)
	v_div_fmas_f32 v0, v0, v1, v10
	v_div_fixup_f32 v0, v0, v3, v2
	s_delay_alu instid0(VALU_DEP_1) | instskip(NEXT) | instid1(VALU_DEP_1)
	v_fmac_f32_e32 v3, v2, v0
	v_div_scale_f32 v1, null, v3, v3, 1.0
	v_div_scale_f32 v11, vcc_lo, 1.0, v3, 1.0
	s_delay_alu instid0(VALU_DEP_2) | instskip(SKIP_2) | instid1(VALU_DEP_1)
	v_rcp_f32_e32 v2, v1
	s_waitcnt_depctr 0xfff
	v_fma_f32 v10, -v1, v2, 1.0
	v_fmac_f32_e32 v2, v10, v2
	s_delay_alu instid0(VALU_DEP_1) | instskip(NEXT) | instid1(VALU_DEP_1)
	v_mul_f32_e32 v10, v11, v2
	v_fma_f32 v16, -v1, v10, v11
	s_delay_alu instid0(VALU_DEP_1) | instskip(NEXT) | instid1(VALU_DEP_1)
	v_fmac_f32_e32 v10, v16, v2
	v_fma_f32 v1, -v1, v10, v11
	s_delay_alu instid0(VALU_DEP_1) | instskip(SKIP_2) | instid1(VALU_DEP_3)
	v_div_fmas_f32 v1, v1, v2, v10
	v_fma_f32 v2, v0, s8, s9
	v_fma_f32 v0, v0, s9, -s8
	v_div_fixup_f32 v1, v1, v3, 1.0
	s_delay_alu instid0(VALU_DEP_1) | instskip(NEXT) | instid1(VALU_DEP_4)
	v_mul_f32_e32 v11, v0, v1
	v_mul_f32_e32 v10, v2, v1
	s_branch .LBB283_56
.LBB283_89:
	s_nop 0
	s_sendmsg sendmsg(MSG_DEALLOC_VGPRS)
	s_endpgm
	.section	.rodata,"a",@progbits
	.p2align	6, 0x0
	.amdhsa_kernel _ZN2at6native12_GLOBAL__N_125multi_tensor_apply_kernelINS1_18TensorListMetadataILi1EEENS1_14UnaryOpFunctorIN3c107complexIfEELi1ELi1ELi0EEEJNS0_10ReciprocalIS8_EEEEEvT_T0_DpT1_
		.amdhsa_group_segment_fixed_size 0
		.amdhsa_private_segment_fixed_size 0
		.amdhsa_kernarg_size 3640
		.amdhsa_user_sgpr_count 15
		.amdhsa_user_sgpr_dispatch_ptr 0
		.amdhsa_user_sgpr_queue_ptr 0
		.amdhsa_user_sgpr_kernarg_segment_ptr 1
		.amdhsa_user_sgpr_dispatch_id 0
		.amdhsa_user_sgpr_private_segment_size 0
		.amdhsa_wavefront_size32 1
		.amdhsa_uses_dynamic_stack 0
		.amdhsa_enable_private_segment 0
		.amdhsa_system_sgpr_workgroup_id_x 1
		.amdhsa_system_sgpr_workgroup_id_y 0
		.amdhsa_system_sgpr_workgroup_id_z 0
		.amdhsa_system_sgpr_workgroup_info 0
		.amdhsa_system_vgpr_workitem_id 0
		.amdhsa_next_free_vgpr 31
		.amdhsa_next_free_sgpr 25
		.amdhsa_reserve_vcc 1
		.amdhsa_float_round_mode_32 0
		.amdhsa_float_round_mode_16_64 0
		.amdhsa_float_denorm_mode_32 3
		.amdhsa_float_denorm_mode_16_64 3
		.amdhsa_dx10_clamp 1
		.amdhsa_ieee_mode 1
		.amdhsa_fp16_overflow 0
		.amdhsa_workgroup_processor_mode 1
		.amdhsa_memory_ordered 1
		.amdhsa_forward_progress 0
		.amdhsa_shared_vgpr_count 0
		.amdhsa_exception_fp_ieee_invalid_op 0
		.amdhsa_exception_fp_denorm_src 0
		.amdhsa_exception_fp_ieee_div_zero 0
		.amdhsa_exception_fp_ieee_overflow 0
		.amdhsa_exception_fp_ieee_underflow 0
		.amdhsa_exception_fp_ieee_inexact 0
		.amdhsa_exception_int_div_zero 0
	.end_amdhsa_kernel
	.section	.text._ZN2at6native12_GLOBAL__N_125multi_tensor_apply_kernelINS1_18TensorListMetadataILi1EEENS1_14UnaryOpFunctorIN3c107complexIfEELi1ELi1ELi0EEEJNS0_10ReciprocalIS8_EEEEEvT_T0_DpT1_,"axG",@progbits,_ZN2at6native12_GLOBAL__N_125multi_tensor_apply_kernelINS1_18TensorListMetadataILi1EEENS1_14UnaryOpFunctorIN3c107complexIfEELi1ELi1ELi0EEEJNS0_10ReciprocalIS8_EEEEEvT_T0_DpT1_,comdat
.Lfunc_end283:
	.size	_ZN2at6native12_GLOBAL__N_125multi_tensor_apply_kernelINS1_18TensorListMetadataILi1EEENS1_14UnaryOpFunctorIN3c107complexIfEELi1ELi1ELi0EEEJNS0_10ReciprocalIS8_EEEEEvT_T0_DpT1_, .Lfunc_end283-_ZN2at6native12_GLOBAL__N_125multi_tensor_apply_kernelINS1_18TensorListMetadataILi1EEENS1_14UnaryOpFunctorIN3c107complexIfEELi1ELi1ELi0EEEJNS0_10ReciprocalIS8_EEEEEvT_T0_DpT1_
                                        ; -- End function
	.section	.AMDGPU.csdata,"",@progbits
; Kernel info:
; codeLenInByte = 6992
; NumSgprs: 27
; NumVgprs: 31
; ScratchSize: 0
; MemoryBound: 0
; FloatMode: 240
; IeeeMode: 1
; LDSByteSize: 0 bytes/workgroup (compile time only)
; SGPRBlocks: 3
; VGPRBlocks: 3
; NumSGPRsForWavesPerEU: 27
; NumVGPRsForWavesPerEU: 31
; Occupancy: 16
; WaveLimiterHint : 0
; COMPUTE_PGM_RSRC2:SCRATCH_EN: 0
; COMPUTE_PGM_RSRC2:USER_SGPR: 15
; COMPUTE_PGM_RSRC2:TRAP_HANDLER: 0
; COMPUTE_PGM_RSRC2:TGID_X_EN: 1
; COMPUTE_PGM_RSRC2:TGID_Y_EN: 0
; COMPUTE_PGM_RSRC2:TGID_Z_EN: 0
; COMPUTE_PGM_RSRC2:TIDIG_COMP_CNT: 0
	.section	.text._ZN2at6native12_GLOBAL__N_125multi_tensor_apply_kernelINS1_18TensorListMetadataILi1EEENS1_14UnaryOpFunctorIN3c104HalfELi1ELi1ELi0EEEJNS0_10ReciprocalIfEEEEEvT_T0_DpT1_,"axG",@progbits,_ZN2at6native12_GLOBAL__N_125multi_tensor_apply_kernelINS1_18TensorListMetadataILi1EEENS1_14UnaryOpFunctorIN3c104HalfELi1ELi1ELi0EEEJNS0_10ReciprocalIfEEEEEvT_T0_DpT1_,comdat
	.globl	_ZN2at6native12_GLOBAL__N_125multi_tensor_apply_kernelINS1_18TensorListMetadataILi1EEENS1_14UnaryOpFunctorIN3c104HalfELi1ELi1ELi0EEEJNS0_10ReciprocalIfEEEEEvT_T0_DpT1_ ; -- Begin function _ZN2at6native12_GLOBAL__N_125multi_tensor_apply_kernelINS1_18TensorListMetadataILi1EEENS1_14UnaryOpFunctorIN3c104HalfELi1ELi1ELi0EEEJNS0_10ReciprocalIfEEEEEvT_T0_DpT1_
	.p2align	8
	.type	_ZN2at6native12_GLOBAL__N_125multi_tensor_apply_kernelINS1_18TensorListMetadataILi1EEENS1_14UnaryOpFunctorIN3c104HalfELi1ELi1ELi0EEEJNS0_10ReciprocalIfEEEEEvT_T0_DpT1_,@function
_ZN2at6native12_GLOBAL__N_125multi_tensor_apply_kernelINS1_18TensorListMetadataILi1EEENS1_14UnaryOpFunctorIN3c104HalfELi1ELi1ELi0EEEJNS0_10ReciprocalIfEEEEEvT_T0_DpT1_: ; @_ZN2at6native12_GLOBAL__N_125multi_tensor_apply_kernelINS1_18TensorListMetadataILi1EEENS1_14UnaryOpFunctorIN3c104HalfELi1ELi1ELi0EEEJNS0_10ReciprocalIfEEEEEvT_T0_DpT1_
; %bb.0:
	v_mov_b32_e32 v1, s15
	s_add_u32 s2, s0, s15
	s_mul_hi_u32 s3, s15, 3
	s_mul_i32 s15, s15, 3
	s_addc_u32 s4, s1, 0
	global_load_u8 v1, v1, s[0:1] offset:1760
	s_add_u32 s2, s2, s15
	s_addc_u32 s3, s4, s3
	s_mov_b32 s13, 0
	s_load_b32 s2, s[2:3], 0x820
	s_waitcnt vmcnt(0)
	v_readfirstlane_b32 s5, v1
	s_delay_alu instid0(VALU_DEP_1)
	s_lshl_b32 s3, s5, 3
	s_clause 0x2
	s_load_b64 s[8:9], s[0:1], s3 offset:0x0
	s_load_b64 s[4:5], s[0:1], s3 offset:0x370
	s_load_b32 s16, s[0:1], 0xd2c
	s_waitcnt lgkmcnt(0)
	s_ashr_i32 s3, s2, 31
	s_delay_alu instid0(SALU_CYCLE_1)
	s_lshl_b64 s[10:11], s[2:3], 17
	s_lshl_b64 s[2:3], s[2:3], 16
	s_and_b32 s12, s8, 7
	s_sub_u32 s6, s4, s2
	s_subb_u32 s7, s5, s3
	s_and_b32 s2, s4, 3
	s_mov_b32 s3, s13
	s_delay_alu instid0(SALU_CYCLE_1) | instskip(NEXT) | instid1(SALU_CYCLE_1)
	s_or_b64 s[2:3], s[12:13], s[2:3]
	s_cmp_eq_u64 s[2:3], 0
	s_cbranch_scc1 .LBB284_21
; %bb.1:
	v_cmp_lt_i64_e64 s2, s[6:7], 1
	s_delay_alu instid0(VALU_DEP_1)
	s_and_b32 vcc_lo, exec_lo, s2
	s_cbranch_vccnz .LBB284_20
; %bb.2:
	s_load_b32 s2, s[0:1], 0xd3c
	v_cmp_gt_u64_e64 s3, 0x10000, s[6:7]
	v_lshlrev_b32_e32 v1, 1, v0
	s_waitcnt lgkmcnt(0)
	s_and_b32 s2, s2, 0xffff
	s_delay_alu instid0(VALU_DEP_2)
	s_and_b32 s3, s3, exec_lo
	v_add_co_u32 v5, s5, v0, s2
	s_cselect_b32 s13, s7, 0
	s_cselect_b32 s12, s6, 0x10000
	s_lshl_b32 s3, s2, 1
	s_lshl_b32 s17, s2, 2
	v_lshlrev_b32_e32 v3, 1, v5
	v_add_co_ci_u32_e64 v6, null, 0, 0, s5
	s_add_u32 s5, s8, s10
	v_add_co_u32 v9, s3, s3, v0
	s_mul_i32 s4, s2, 3
	s_addc_u32 s14, s9, s11
	v_add_co_ci_u32_e64 v10, null, 0, 0, s3
	v_add_co_u32 v1, s3, s5, v1
	v_add_co_u32 v7, s4, s4, v0
	v_add_co_ci_u32_e64 v2, null, s14, 0, s3
	v_add_co_u32 v3, s3, s5, v3
	v_add_co_ci_u32_e64 v8, null, 0, 0, s4
	v_add_co_ci_u32_e64 v4, null, s14, 0, s3
	s_lshl_b32 s18, s2, 3
	s_mul_i32 s19, s2, 6
	s_mov_b64 s[14:15], 0
	s_branch .LBB284_4
.LBB284_3:                              ;   in Loop: Header=BB284_4 Depth=1
	s_or_b32 exec_lo, exec_lo, s3
	s_add_u32 s14, s14, s17
	s_addc_u32 s15, s15, 0
	v_add_co_u32 v1, vcc_lo, v1, s18
	v_cmp_lt_i64_e64 s2, s[14:15], s[6:7]
	v_cmp_gt_u64_e64 s3, 0x10000, s[14:15]
	v_add_co_ci_u32_e32 v2, vcc_lo, 0, v2, vcc_lo
	v_add_co_u32 v3, vcc_lo, v3, s18
	v_add_co_ci_u32_e32 v4, vcc_lo, 0, v4, vcc_lo
	s_delay_alu instid0(VALU_DEP_4) | instskip(NEXT) | instid1(SALU_CYCLE_1)
	s_and_b32 s2, s2, s3
	s_and_b32 vcc_lo, exec_lo, s2
	s_cbranch_vccz .LBB284_20
.LBB284_4:                              ; =>This Inner Loop Header: Depth=1
	s_waitcnt vmcnt(0)
	v_add_co_u32 v11, s2, v0, s14
	s_delay_alu instid0(VALU_DEP_1) | instskip(SKIP_1) | instid1(VALU_DEP_2)
	v_add_co_ci_u32_e64 v12, null, 0, s15, s2
	v_mov_b32_e32 v14, 0
	v_cmp_gt_u64_e32 vcc_lo, s[12:13], v[11:12]
	s_and_saveexec_b32 s2, vcc_lo
	s_cbranch_execz .LBB284_6
; %bb.5:                                ;   in Loop: Header=BB284_4 Depth=1
	global_load_u16 v14, v[1:2], off
.LBB284_6:                              ;   in Loop: Header=BB284_4 Depth=1
	s_or_b32 exec_lo, exec_lo, s2
	v_add_co_u32 v11, s2, v5, s14
	s_delay_alu instid0(VALU_DEP_1) | instskip(SKIP_1) | instid1(VALU_DEP_2)
	v_add_co_ci_u32_e64 v12, s2, s15, v6, s2
	v_mov_b32_e32 v13, 0
	v_cmp_gt_u64_e64 s4, s[12:13], v[11:12]
	s_delay_alu instid0(VALU_DEP_1)
	s_and_saveexec_b32 s2, s4
	s_cbranch_execz .LBB284_8
; %bb.7:                                ;   in Loop: Header=BB284_4 Depth=1
	global_load_u16 v13, v[3:4], off
.LBB284_8:                              ;   in Loop: Header=BB284_4 Depth=1
	s_or_b32 exec_lo, exec_lo, s2
	v_add_co_u32 v11, s2, v9, s14
	s_delay_alu instid0(VALU_DEP_1) | instskip(NEXT) | instid1(VALU_DEP_1)
	v_add_co_ci_u32_e64 v12, s2, s15, v10, s2
	v_cmp_gt_u64_e64 s3, s[12:13], v[11:12]
	v_dual_mov_b32 v11, 0 :: v_dual_mov_b32 v12, 0
	s_delay_alu instid0(VALU_DEP_2)
	s_and_saveexec_b32 s5, s3
	s_cbranch_execz .LBB284_10
; %bb.9:                                ;   in Loop: Header=BB284_4 Depth=1
	v_add_co_u32 v15, s2, v1, s17
	s_delay_alu instid0(VALU_DEP_1)
	v_add_co_ci_u32_e64 v16, s2, 0, v2, s2
	global_load_u16 v12, v[15:16], off
.LBB284_10:                             ;   in Loop: Header=BB284_4 Depth=1
	s_or_b32 exec_lo, exec_lo, s5
	v_add_co_u32 v15, s2, v7, s14
	s_delay_alu instid0(VALU_DEP_1) | instskip(NEXT) | instid1(VALU_DEP_1)
	v_add_co_ci_u32_e64 v16, s2, s15, v8, s2
	v_cmp_gt_u64_e64 s2, s[12:13], v[15:16]
	s_delay_alu instid0(VALU_DEP_1)
	s_and_saveexec_b32 s20, s2
	s_cbranch_execnz .LBB284_15
; %bb.11:                               ;   in Loop: Header=BB284_4 Depth=1
	s_or_b32 exec_lo, exec_lo, s20
	s_and_saveexec_b32 s5, vcc_lo
	s_cbranch_execnz .LBB284_16
.LBB284_12:                             ;   in Loop: Header=BB284_4 Depth=1
	s_or_b32 exec_lo, exec_lo, s5
	s_and_saveexec_b32 s5, s4
	s_cbranch_execnz .LBB284_17
.LBB284_13:                             ;   in Loop: Header=BB284_4 Depth=1
	s_or_b32 exec_lo, exec_lo, s5
	s_and_saveexec_b32 s4, s3
	s_cbranch_execnz .LBB284_18
.LBB284_14:                             ;   in Loop: Header=BB284_4 Depth=1
	s_or_b32 exec_lo, exec_lo, s4
	s_and_saveexec_b32 s3, s2
	s_cbranch_execz .LBB284_3
	s_branch .LBB284_19
.LBB284_15:                             ;   in Loop: Header=BB284_4 Depth=1
	v_add_co_u32 v15, s5, v1, s19
	s_delay_alu instid0(VALU_DEP_1)
	v_add_co_ci_u32_e64 v16, s5, 0, v2, s5
	global_load_u16 v11, v[15:16], off
	s_or_b32 exec_lo, exec_lo, s20
	s_and_saveexec_b32 s5, vcc_lo
	s_cbranch_execz .LBB284_12
.LBB284_16:                             ;   in Loop: Header=BB284_4 Depth=1
	s_waitcnt vmcnt(0)
	v_cvt_f32_f16_e32 v14, v14
	s_delay_alu instid0(VALU_DEP_1) | instskip(NEXT) | instid1(VALU_DEP_1)
	v_div_scale_f32 v15, null, v14, v14, s16
	v_rcp_f32_e32 v16, v15
	s_waitcnt_depctr 0xfff
	v_fma_f32 v17, -v15, v16, 1.0
	s_delay_alu instid0(VALU_DEP_1) | instskip(SKIP_1) | instid1(VALU_DEP_1)
	v_fmac_f32_e32 v16, v17, v16
	v_div_scale_f32 v17, vcc_lo, s16, v14, s16
	v_mul_f32_e32 v18, v17, v16
	s_delay_alu instid0(VALU_DEP_1) | instskip(NEXT) | instid1(VALU_DEP_1)
	v_fma_f32 v19, -v15, v18, v17
	v_fmac_f32_e32 v18, v19, v16
	s_delay_alu instid0(VALU_DEP_1) | instskip(NEXT) | instid1(VALU_DEP_1)
	v_fma_f32 v15, -v15, v18, v17
	v_div_fmas_f32 v15, v15, v16, v18
	s_delay_alu instid0(VALU_DEP_1) | instskip(NEXT) | instid1(VALU_DEP_1)
	v_div_fixup_f32 v14, v15, v14, s16
	v_cvt_f16_f32_e32 v14, v14
	global_store_b16 v[1:2], v14, off
	s_or_b32 exec_lo, exec_lo, s5
	s_and_saveexec_b32 s5, s4
	s_cbranch_execz .LBB284_13
.LBB284_17:                             ;   in Loop: Header=BB284_4 Depth=1
	s_waitcnt vmcnt(0)
	v_cvt_f32_f16_e32 v13, v13
	s_delay_alu instid0(VALU_DEP_1) | instskip(NEXT) | instid1(VALU_DEP_1)
	v_div_scale_f32 v14, null, v13, v13, s16
	v_rcp_f32_e32 v15, v14
	s_waitcnt_depctr 0xfff
	v_fma_f32 v16, -v14, v15, 1.0
	s_delay_alu instid0(VALU_DEP_1) | instskip(SKIP_1) | instid1(VALU_DEP_1)
	v_fmac_f32_e32 v15, v16, v15
	v_div_scale_f32 v16, vcc_lo, s16, v13, s16
	v_mul_f32_e32 v17, v16, v15
	s_delay_alu instid0(VALU_DEP_1) | instskip(NEXT) | instid1(VALU_DEP_1)
	v_fma_f32 v18, -v14, v17, v16
	v_fmac_f32_e32 v17, v18, v15
	s_delay_alu instid0(VALU_DEP_1) | instskip(NEXT) | instid1(VALU_DEP_1)
	v_fma_f32 v14, -v14, v17, v16
	v_div_fmas_f32 v14, v14, v15, v17
	s_delay_alu instid0(VALU_DEP_1) | instskip(NEXT) | instid1(VALU_DEP_1)
	v_div_fixup_f32 v13, v14, v13, s16
	v_cvt_f16_f32_e32 v13, v13
	global_store_b16 v[3:4], v13, off
	s_or_b32 exec_lo, exec_lo, s5
	s_and_saveexec_b32 s4, s3
	s_cbranch_execz .LBB284_14
.LBB284_18:                             ;   in Loop: Header=BB284_4 Depth=1
	s_waitcnt vmcnt(0)
	v_cvt_f32_f16_e32 v12, v12
	s_delay_alu instid0(VALU_DEP_1) | instskip(SKIP_1) | instid1(VALU_DEP_2)
	v_div_scale_f32 v13, null, v12, v12, s16
	v_div_scale_f32 v16, vcc_lo, s16, v12, s16
	v_rcp_f32_e32 v14, v13
	s_waitcnt_depctr 0xfff
	v_fma_f32 v15, -v13, v14, 1.0
	s_delay_alu instid0(VALU_DEP_1) | instskip(NEXT) | instid1(VALU_DEP_1)
	v_fmac_f32_e32 v14, v15, v14
	v_mul_f32_e32 v15, v16, v14
	s_delay_alu instid0(VALU_DEP_1) | instskip(NEXT) | instid1(VALU_DEP_1)
	v_fma_f32 v17, -v13, v15, v16
	v_fmac_f32_e32 v15, v17, v14
	s_delay_alu instid0(VALU_DEP_1) | instskip(NEXT) | instid1(VALU_DEP_1)
	v_fma_f32 v13, -v13, v15, v16
	v_div_fmas_f32 v13, v13, v14, v15
	s_delay_alu instid0(VALU_DEP_1) | instskip(NEXT) | instid1(VALU_DEP_1)
	v_div_fixup_f32 v12, v13, v12, s16
	v_cvt_f16_f32_e32 v14, v12
	v_add_co_u32 v12, vcc_lo, v1, s17
	v_add_co_ci_u32_e32 v13, vcc_lo, 0, v2, vcc_lo
	global_store_b16 v[12:13], v14, off
	s_or_b32 exec_lo, exec_lo, s4
	s_and_saveexec_b32 s3, s2
	s_cbranch_execz .LBB284_3
.LBB284_19:                             ;   in Loop: Header=BB284_4 Depth=1
	s_waitcnt vmcnt(0)
	v_cvt_f32_f16_e32 v11, v11
	s_delay_alu instid0(VALU_DEP_1) | instskip(SKIP_1) | instid1(VALU_DEP_2)
	v_div_scale_f32 v12, null, v11, v11, s16
	v_div_scale_f32 v15, vcc_lo, s16, v11, s16
	v_rcp_f32_e32 v13, v12
	s_waitcnt_depctr 0xfff
	v_fma_f32 v14, -v12, v13, 1.0
	s_delay_alu instid0(VALU_DEP_1) | instskip(NEXT) | instid1(VALU_DEP_1)
	v_fmac_f32_e32 v13, v14, v13
	v_mul_f32_e32 v14, v15, v13
	s_delay_alu instid0(VALU_DEP_1) | instskip(NEXT) | instid1(VALU_DEP_1)
	v_fma_f32 v16, -v12, v14, v15
	v_fmac_f32_e32 v14, v16, v13
	s_delay_alu instid0(VALU_DEP_1) | instskip(NEXT) | instid1(VALU_DEP_1)
	v_fma_f32 v12, -v12, v14, v15
	v_div_fmas_f32 v12, v12, v13, v14
	s_delay_alu instid0(VALU_DEP_1) | instskip(NEXT) | instid1(VALU_DEP_1)
	v_div_fixup_f32 v11, v12, v11, s16
	v_cvt_f16_f32_e32 v13, v11
	v_add_co_u32 v11, vcc_lo, v1, s19
	v_add_co_ci_u32_e32 v12, vcc_lo, 0, v2, vcc_lo
	global_store_b16 v[11:12], v13, off
	s_branch .LBB284_3
.LBB284_20:
	s_cbranch_execz .LBB284_22
	s_branch .LBB284_25
.LBB284_21:
.LBB284_22:
	v_dual_mov_b32 v2, 0 :: v_dual_lshlrev_b32 v1, 2, v0
	s_mov_b32 s3, 0
	s_mov_b32 s2, exec_lo
	s_delay_alu instid0(VALU_DEP_1)
	v_cmpx_gt_i64_e64 s[6:7], v[1:2]
	s_cbranch_execz .LBB284_25
; %bb.23:
	s_load_b32 s0, s[0:1], 0xd3c
	v_lshlrev_b32_e32 v1, 3, v0
	s_waitcnt lgkmcnt(0)
	s_and_b32 s0, s0, 0xffff
	s_delay_alu instid0(SALU_CYCLE_1) | instskip(SKIP_3) | instid1(VALU_DEP_1)
	s_lshl_b32 s4, s0, 2
	s_add_u32 s1, s8, s10
	s_addc_u32 s2, s9, s11
	v_add_co_u32 v3, s1, s1, v1
	v_add_co_ci_u32_e64 v4, null, s2, 0, s1
	v_add_lshl_u32 v1, v0, s0, 2
	s_delay_alu instid0(VALU_DEP_3) | instskip(NEXT) | instid1(VALU_DEP_3)
	v_add_co_u32 v3, vcc_lo, v3, 4
	v_add_co_ci_u32_e32 v4, vcc_lo, 0, v4, vcc_lo
	s_lshl_b32 s5, s0, 3
.LBB284_24:                             ; =>This Inner Loop Header: Depth=1
	global_load_b64 v[5:6], v[3:4], off offset:-4
	s_waitcnt vmcnt(0)
	v_cvt_f32_f16_e32 v0, v5
	v_lshrrev_b32_e32 v5, 16, v5
	v_lshrrev_b32_e32 v7, 16, v6
	v_cvt_f32_f16_e32 v6, v6
	s_delay_alu instid0(VALU_DEP_4) | instskip(NEXT) | instid1(VALU_DEP_4)
	v_div_scale_f32 v8, null, v0, v0, s16
	v_cvt_f32_f16_e32 v5, v5
	s_delay_alu instid0(VALU_DEP_4) | instskip(NEXT) | instid1(VALU_DEP_4)
	v_cvt_f32_f16_e32 v7, v7
	v_div_scale_f32 v9, null, v6, v6, s16
	s_delay_alu instid0(VALU_DEP_4) | instskip(NEXT) | instid1(VALU_DEP_3)
	v_rcp_f32_e32 v11, v8
	v_div_scale_f32 v10, null, v5, v5, s16
	s_delay_alu instid0(VALU_DEP_3) | instskip(NEXT) | instid1(VALU_DEP_3)
	v_div_scale_f32 v13, null, v7, v7, s16
	v_rcp_f32_e32 v12, v9
	s_delay_alu instid0(VALU_DEP_2) | instskip(SKIP_1) | instid1(VALU_DEP_2)
	v_rcp_f32_e32 v14, v10
	v_div_scale_f32 v15, vcc_lo, s16, v0, s16
	v_rcp_f32_e32 v16, v13
	v_fma_f32 v18, -v8, v11, 1.0
	v_div_scale_f32 v21, s1, s16, v5, s16
	v_div_scale_f32 v17, s0, s16, v6, s16
	s_delay_alu instid0(TRANS32_DEP_3) | instskip(NEXT) | instid1(TRANS32_DEP_2)
	v_fma_f32 v19, -v9, v12, 1.0
	v_fma_f32 v20, -v10, v14, 1.0
	v_fmac_f32_e32 v11, v18, v11
	s_delay_alu instid0(TRANS32_DEP_1) | instskip(NEXT) | instid1(VALU_DEP_4)
	v_fma_f32 v18, -v13, v16, 1.0
	v_fmac_f32_e32 v12, v19, v12
	v_div_scale_f32 v19, s2, s16, v7, s16
	s_delay_alu instid0(VALU_DEP_3) | instskip(SKIP_3) | instid1(VALU_DEP_4)
	v_fmac_f32_e32 v16, v18, v16
	v_fmac_f32_e32 v14, v20, v14
	v_mul_f32_e32 v20, v15, v11
	v_mul_f32_e32 v22, v17, v12
	;; [unrolled: 1-line block ×3, first 2 shown]
	s_delay_alu instid0(VALU_DEP_3) | instskip(NEXT) | instid1(VALU_DEP_3)
	v_fma_f32 v23, -v8, v20, v15
	v_fma_f32 v24, -v9, v22, v17
	s_delay_alu instid0(VALU_DEP_2) | instskip(NEXT) | instid1(VALU_DEP_4)
	v_fmac_f32_e32 v20, v23, v11
	v_fma_f32 v23, -v13, v25, v19
	v_mul_f32_e32 v18, v21, v14
	s_delay_alu instid0(VALU_DEP_4) | instskip(NEXT) | instid1(VALU_DEP_4)
	v_fmac_f32_e32 v22, v24, v12
	v_fma_f32 v8, -v8, v20, v15
	s_delay_alu instid0(VALU_DEP_4) | instskip(NEXT) | instid1(VALU_DEP_4)
	v_fmac_f32_e32 v25, v23, v16
	v_fma_f32 v26, -v10, v18, v21
	s_delay_alu instid0(VALU_DEP_4) | instskip(NEXT) | instid1(VALU_DEP_4)
	v_fma_f32 v9, -v9, v22, v17
	v_div_fmas_f32 v8, v8, v11, v20
	s_mov_b32 vcc_lo, s1
	s_delay_alu instid0(VALU_DEP_3) | instskip(SKIP_1) | instid1(VALU_DEP_3)
	v_fmac_f32_e32 v18, v26, v14
	v_fma_f32 v11, -v13, v25, v19
	v_div_fixup_f32 v0, v8, v0, s16
	s_delay_alu instid0(VALU_DEP_3) | instskip(NEXT) | instid1(VALU_DEP_2)
	v_fma_f32 v10, -v10, v18, v21
	v_cvt_f16_f32_e32 v0, v0
	s_delay_alu instid0(VALU_DEP_2)
	v_div_fmas_f32 v10, v10, v14, v18
	s_mov_b32 vcc_lo, s0
	v_cmp_lt_u64_e64 s0, 0xffff, v[1:2]
	v_div_fmas_f32 v9, v9, v12, v22
	s_mov_b32 vcc_lo, s2
	v_div_fixup_f32 v5, v10, v5, s16
	v_div_fmas_f32 v11, v11, v16, v25
	v_cmp_le_i64_e32 vcc_lo, s[6:7], v[1:2]
	v_div_fixup_f32 v6, v9, v6, s16
	v_add_co_u32 v1, s1, v1, s4
	s_delay_alu instid0(VALU_DEP_4) | instskip(SKIP_1) | instid1(VALU_DEP_4)
	v_div_fixup_f32 v7, v11, v7, s16
	v_cvt_f16_f32_e32 v5, v5
	v_cvt_f16_f32_e32 v6, v6
	s_or_b32 s0, vcc_lo, s0
	v_add_co_ci_u32_e64 v2, s1, 0, v2, s1
	v_cvt_f16_f32_e32 v7, v7
	v_pack_b32_f16 v5, v0, v5
	s_and_b32 s0, exec_lo, s0
	s_delay_alu instid0(SALU_CYCLE_1) | instskip(NEXT) | instid1(VALU_DEP_2)
	s_or_b32 s3, s0, s3
	v_pack_b32_f16 v6, v6, v7
	global_store_b64 v[3:4], v[5:6], off offset:-4
	v_add_co_u32 v3, vcc_lo, v3, s5
	v_add_co_ci_u32_e32 v4, vcc_lo, 0, v4, vcc_lo
	s_and_not1_b32 exec_lo, exec_lo, s3
	s_cbranch_execnz .LBB284_24
.LBB284_25:
	s_nop 0
	s_sendmsg sendmsg(MSG_DEALLOC_VGPRS)
	s_endpgm
	.section	.rodata,"a",@progbits
	.p2align	6, 0x0
	.amdhsa_kernel _ZN2at6native12_GLOBAL__N_125multi_tensor_apply_kernelINS1_18TensorListMetadataILi1EEENS1_14UnaryOpFunctorIN3c104HalfELi1ELi1ELi0EEEJNS0_10ReciprocalIfEEEEEvT_T0_DpT1_
		.amdhsa_group_segment_fixed_size 0
		.amdhsa_private_segment_fixed_size 0
		.amdhsa_kernarg_size 3632
		.amdhsa_user_sgpr_count 15
		.amdhsa_user_sgpr_dispatch_ptr 0
		.amdhsa_user_sgpr_queue_ptr 0
		.amdhsa_user_sgpr_kernarg_segment_ptr 1
		.amdhsa_user_sgpr_dispatch_id 0
		.amdhsa_user_sgpr_private_segment_size 0
		.amdhsa_wavefront_size32 1
		.amdhsa_uses_dynamic_stack 0
		.amdhsa_enable_private_segment 0
		.amdhsa_system_sgpr_workgroup_id_x 1
		.amdhsa_system_sgpr_workgroup_id_y 0
		.amdhsa_system_sgpr_workgroup_id_z 0
		.amdhsa_system_sgpr_workgroup_info 0
		.amdhsa_system_vgpr_workitem_id 0
		.amdhsa_next_free_vgpr 27
		.amdhsa_next_free_sgpr 21
		.amdhsa_reserve_vcc 1
		.amdhsa_float_round_mode_32 0
		.amdhsa_float_round_mode_16_64 0
		.amdhsa_float_denorm_mode_32 3
		.amdhsa_float_denorm_mode_16_64 3
		.amdhsa_dx10_clamp 1
		.amdhsa_ieee_mode 1
		.amdhsa_fp16_overflow 0
		.amdhsa_workgroup_processor_mode 1
		.amdhsa_memory_ordered 1
		.amdhsa_forward_progress 0
		.amdhsa_shared_vgpr_count 0
		.amdhsa_exception_fp_ieee_invalid_op 0
		.amdhsa_exception_fp_denorm_src 0
		.amdhsa_exception_fp_ieee_div_zero 0
		.amdhsa_exception_fp_ieee_overflow 0
		.amdhsa_exception_fp_ieee_underflow 0
		.amdhsa_exception_fp_ieee_inexact 0
		.amdhsa_exception_int_div_zero 0
	.end_amdhsa_kernel
	.section	.text._ZN2at6native12_GLOBAL__N_125multi_tensor_apply_kernelINS1_18TensorListMetadataILi1EEENS1_14UnaryOpFunctorIN3c104HalfELi1ELi1ELi0EEEJNS0_10ReciprocalIfEEEEEvT_T0_DpT1_,"axG",@progbits,_ZN2at6native12_GLOBAL__N_125multi_tensor_apply_kernelINS1_18TensorListMetadataILi1EEENS1_14UnaryOpFunctorIN3c104HalfELi1ELi1ELi0EEEJNS0_10ReciprocalIfEEEEEvT_T0_DpT1_,comdat
.Lfunc_end284:
	.size	_ZN2at6native12_GLOBAL__N_125multi_tensor_apply_kernelINS1_18TensorListMetadataILi1EEENS1_14UnaryOpFunctorIN3c104HalfELi1ELi1ELi0EEEJNS0_10ReciprocalIfEEEEEvT_T0_DpT1_, .Lfunc_end284-_ZN2at6native12_GLOBAL__N_125multi_tensor_apply_kernelINS1_18TensorListMetadataILi1EEENS1_14UnaryOpFunctorIN3c104HalfELi1ELi1ELi0EEEJNS0_10ReciprocalIfEEEEEvT_T0_DpT1_
                                        ; -- End function
	.section	.AMDGPU.csdata,"",@progbits
; Kernel info:
; codeLenInByte = 1912
; NumSgprs: 23
; NumVgprs: 27
; ScratchSize: 0
; MemoryBound: 0
; FloatMode: 240
; IeeeMode: 1
; LDSByteSize: 0 bytes/workgroup (compile time only)
; SGPRBlocks: 2
; VGPRBlocks: 3
; NumSGPRsForWavesPerEU: 23
; NumVGPRsForWavesPerEU: 27
; Occupancy: 16
; WaveLimiterHint : 0
; COMPUTE_PGM_RSRC2:SCRATCH_EN: 0
; COMPUTE_PGM_RSRC2:USER_SGPR: 15
; COMPUTE_PGM_RSRC2:TRAP_HANDLER: 0
; COMPUTE_PGM_RSRC2:TGID_X_EN: 1
; COMPUTE_PGM_RSRC2:TGID_Y_EN: 0
; COMPUTE_PGM_RSRC2:TGID_Z_EN: 0
; COMPUTE_PGM_RSRC2:TIDIG_COMP_CNT: 0
	.section	.text._ZN2at6native12_GLOBAL__N_125multi_tensor_apply_kernelINS1_18TensorListMetadataILi1EEENS1_14UnaryOpFunctorIN3c108BFloat16ELi1ELi1ELi0EEEJNS0_10ReciprocalIfEEEEEvT_T0_DpT1_,"axG",@progbits,_ZN2at6native12_GLOBAL__N_125multi_tensor_apply_kernelINS1_18TensorListMetadataILi1EEENS1_14UnaryOpFunctorIN3c108BFloat16ELi1ELi1ELi0EEEJNS0_10ReciprocalIfEEEEEvT_T0_DpT1_,comdat
	.globl	_ZN2at6native12_GLOBAL__N_125multi_tensor_apply_kernelINS1_18TensorListMetadataILi1EEENS1_14UnaryOpFunctorIN3c108BFloat16ELi1ELi1ELi0EEEJNS0_10ReciprocalIfEEEEEvT_T0_DpT1_ ; -- Begin function _ZN2at6native12_GLOBAL__N_125multi_tensor_apply_kernelINS1_18TensorListMetadataILi1EEENS1_14UnaryOpFunctorIN3c108BFloat16ELi1ELi1ELi0EEEJNS0_10ReciprocalIfEEEEEvT_T0_DpT1_
	.p2align	8
	.type	_ZN2at6native12_GLOBAL__N_125multi_tensor_apply_kernelINS1_18TensorListMetadataILi1EEENS1_14UnaryOpFunctorIN3c108BFloat16ELi1ELi1ELi0EEEJNS0_10ReciprocalIfEEEEEvT_T0_DpT1_,@function
_ZN2at6native12_GLOBAL__N_125multi_tensor_apply_kernelINS1_18TensorListMetadataILi1EEENS1_14UnaryOpFunctorIN3c108BFloat16ELi1ELi1ELi0EEEJNS0_10ReciprocalIfEEEEEvT_T0_DpT1_: ; @_ZN2at6native12_GLOBAL__N_125multi_tensor_apply_kernelINS1_18TensorListMetadataILi1EEENS1_14UnaryOpFunctorIN3c108BFloat16ELi1ELi1ELi0EEEJNS0_10ReciprocalIfEEEEEvT_T0_DpT1_
; %bb.0:
	v_mov_b32_e32 v1, s15
	s_add_u32 s2, s0, s15
	s_mul_hi_u32 s3, s15, 3
	s_mul_i32 s15, s15, 3
	s_addc_u32 s4, s1, 0
	global_load_u8 v1, v1, s[0:1] offset:1760
	s_add_u32 s2, s2, s15
	s_addc_u32 s3, s4, s3
	s_mov_b32 s13, 0
	s_load_b32 s2, s[2:3], 0x820
	s_waitcnt vmcnt(0)
	v_readfirstlane_b32 s5, v1
	s_delay_alu instid0(VALU_DEP_1)
	s_lshl_b32 s3, s5, 3
	s_clause 0x2
	s_load_b64 s[8:9], s[0:1], s3 offset:0x0
	s_load_b64 s[4:5], s[0:1], s3 offset:0x370
	s_load_b32 s16, s[0:1], 0xd2c
	s_waitcnt lgkmcnt(0)
	s_ashr_i32 s3, s2, 31
	s_delay_alu instid0(SALU_CYCLE_1)
	s_lshl_b64 s[10:11], s[2:3], 17
	s_lshl_b64 s[2:3], s[2:3], 16
	s_and_b32 s12, s8, 7
	s_sub_u32 s6, s4, s2
	s_subb_u32 s7, s5, s3
	s_and_b32 s2, s4, 3
	s_mov_b32 s3, s13
	s_delay_alu instid0(SALU_CYCLE_1) | instskip(NEXT) | instid1(SALU_CYCLE_1)
	s_or_b64 s[2:3], s[12:13], s[2:3]
	s_cmp_eq_u64 s[2:3], 0
	s_cbranch_scc1 .LBB285_21
; %bb.1:
	v_cmp_lt_i64_e64 s2, s[6:7], 1
	s_delay_alu instid0(VALU_DEP_1)
	s_and_b32 vcc_lo, exec_lo, s2
	s_cbranch_vccnz .LBB285_20
; %bb.2:
	s_load_b32 s2, s[0:1], 0xd3c
	v_cmp_gt_u64_e64 s3, 0x10000, s[6:7]
	v_lshlrev_b32_e32 v1, 1, v0
	s_waitcnt lgkmcnt(0)
	s_and_b32 s2, s2, 0xffff
	s_delay_alu instid0(VALU_DEP_2)
	s_and_b32 s3, s3, exec_lo
	v_add_co_u32 v5, s5, v0, s2
	s_cselect_b32 s13, s7, 0
	s_cselect_b32 s12, s6, 0x10000
	s_lshl_b32 s3, s2, 1
	s_lshl_b32 s17, s2, 2
	v_lshlrev_b32_e32 v3, 1, v5
	v_add_co_ci_u32_e64 v6, null, 0, 0, s5
	s_add_u32 s5, s8, s10
	v_add_co_u32 v9, s3, s3, v0
	s_mul_i32 s4, s2, 3
	s_addc_u32 s14, s9, s11
	v_add_co_ci_u32_e64 v10, null, 0, 0, s3
	v_add_co_u32 v1, s3, s5, v1
	v_add_co_u32 v7, s4, s4, v0
	v_add_co_ci_u32_e64 v2, null, s14, 0, s3
	v_add_co_u32 v3, s3, s5, v3
	v_add_co_ci_u32_e64 v8, null, 0, 0, s4
	v_add_co_ci_u32_e64 v4, null, s14, 0, s3
	s_lshl_b32 s18, s2, 3
	s_mul_i32 s19, s2, 6
	s_mov_b64 s[14:15], 0
	s_branch .LBB285_4
.LBB285_3:                              ;   in Loop: Header=BB285_4 Depth=1
	s_or_b32 exec_lo, exec_lo, s3
	s_add_u32 s14, s14, s17
	s_addc_u32 s15, s15, 0
	v_add_co_u32 v1, vcc_lo, v1, s18
	v_cmp_lt_i64_e64 s2, s[14:15], s[6:7]
	v_cmp_gt_u64_e64 s3, 0x10000, s[14:15]
	v_add_co_ci_u32_e32 v2, vcc_lo, 0, v2, vcc_lo
	v_add_co_u32 v3, vcc_lo, v3, s18
	v_add_co_ci_u32_e32 v4, vcc_lo, 0, v4, vcc_lo
	s_delay_alu instid0(VALU_DEP_4) | instskip(NEXT) | instid1(SALU_CYCLE_1)
	s_and_b32 s2, s2, s3
	s_and_b32 vcc_lo, exec_lo, s2
	s_cbranch_vccz .LBB285_20
.LBB285_4:                              ; =>This Inner Loop Header: Depth=1
	s_waitcnt vmcnt(0)
	v_add_co_u32 v11, s2, v0, s14
	s_delay_alu instid0(VALU_DEP_1) | instskip(SKIP_1) | instid1(VALU_DEP_2)
	v_add_co_ci_u32_e64 v12, null, 0, s15, s2
	v_mov_b32_e32 v14, 0
	v_cmp_gt_u64_e32 vcc_lo, s[12:13], v[11:12]
	s_and_saveexec_b32 s2, vcc_lo
	s_cbranch_execz .LBB285_6
; %bb.5:                                ;   in Loop: Header=BB285_4 Depth=1
	global_load_u16 v14, v[1:2], off
.LBB285_6:                              ;   in Loop: Header=BB285_4 Depth=1
	s_or_b32 exec_lo, exec_lo, s2
	v_add_co_u32 v11, s2, v5, s14
	s_delay_alu instid0(VALU_DEP_1) | instskip(SKIP_1) | instid1(VALU_DEP_2)
	v_add_co_ci_u32_e64 v12, s2, s15, v6, s2
	v_mov_b32_e32 v13, 0
	v_cmp_gt_u64_e64 s4, s[12:13], v[11:12]
	s_delay_alu instid0(VALU_DEP_1)
	s_and_saveexec_b32 s2, s4
	s_cbranch_execz .LBB285_8
; %bb.7:                                ;   in Loop: Header=BB285_4 Depth=1
	global_load_u16 v13, v[3:4], off
.LBB285_8:                              ;   in Loop: Header=BB285_4 Depth=1
	s_or_b32 exec_lo, exec_lo, s2
	v_add_co_u32 v11, s2, v9, s14
	s_delay_alu instid0(VALU_DEP_1) | instskip(NEXT) | instid1(VALU_DEP_1)
	v_add_co_ci_u32_e64 v12, s2, s15, v10, s2
	v_cmp_gt_u64_e64 s3, s[12:13], v[11:12]
	v_dual_mov_b32 v11, 0 :: v_dual_mov_b32 v12, 0
	s_delay_alu instid0(VALU_DEP_2)
	s_and_saveexec_b32 s5, s3
	s_cbranch_execz .LBB285_10
; %bb.9:                                ;   in Loop: Header=BB285_4 Depth=1
	v_add_co_u32 v15, s2, v1, s17
	s_delay_alu instid0(VALU_DEP_1)
	v_add_co_ci_u32_e64 v16, s2, 0, v2, s2
	global_load_u16 v12, v[15:16], off
.LBB285_10:                             ;   in Loop: Header=BB285_4 Depth=1
	s_or_b32 exec_lo, exec_lo, s5
	v_add_co_u32 v15, s2, v7, s14
	s_delay_alu instid0(VALU_DEP_1) | instskip(NEXT) | instid1(VALU_DEP_1)
	v_add_co_ci_u32_e64 v16, s2, s15, v8, s2
	v_cmp_gt_u64_e64 s2, s[12:13], v[15:16]
	s_delay_alu instid0(VALU_DEP_1)
	s_and_saveexec_b32 s20, s2
	s_cbranch_execnz .LBB285_15
; %bb.11:                               ;   in Loop: Header=BB285_4 Depth=1
	s_or_b32 exec_lo, exec_lo, s20
	s_and_saveexec_b32 s5, vcc_lo
	s_cbranch_execnz .LBB285_16
.LBB285_12:                             ;   in Loop: Header=BB285_4 Depth=1
	s_or_b32 exec_lo, exec_lo, s5
	s_and_saveexec_b32 s5, s4
	s_cbranch_execnz .LBB285_17
.LBB285_13:                             ;   in Loop: Header=BB285_4 Depth=1
	s_or_b32 exec_lo, exec_lo, s5
	s_and_saveexec_b32 s4, s3
	s_cbranch_execnz .LBB285_18
.LBB285_14:                             ;   in Loop: Header=BB285_4 Depth=1
	s_or_b32 exec_lo, exec_lo, s4
	s_and_saveexec_b32 s3, s2
	s_cbranch_execz .LBB285_3
	s_branch .LBB285_19
.LBB285_15:                             ;   in Loop: Header=BB285_4 Depth=1
	v_add_co_u32 v15, s5, v1, s19
	s_delay_alu instid0(VALU_DEP_1)
	v_add_co_ci_u32_e64 v16, s5, 0, v2, s5
	global_load_u16 v11, v[15:16], off
	s_or_b32 exec_lo, exec_lo, s20
	s_and_saveexec_b32 s5, vcc_lo
	s_cbranch_execz .LBB285_12
.LBB285_16:                             ;   in Loop: Header=BB285_4 Depth=1
	s_waitcnt vmcnt(0)
	v_lshlrev_b32_e32 v14, 16, v14
	s_delay_alu instid0(VALU_DEP_1) | instskip(NEXT) | instid1(VALU_DEP_1)
	v_div_scale_f32 v15, null, v14, v14, s16
	v_rcp_f32_e32 v16, v15
	s_waitcnt_depctr 0xfff
	v_fma_f32 v17, -v15, v16, 1.0
	s_delay_alu instid0(VALU_DEP_1) | instskip(SKIP_1) | instid1(VALU_DEP_1)
	v_fmac_f32_e32 v16, v17, v16
	v_div_scale_f32 v17, vcc_lo, s16, v14, s16
	v_mul_f32_e32 v18, v17, v16
	s_delay_alu instid0(VALU_DEP_1) | instskip(NEXT) | instid1(VALU_DEP_1)
	v_fma_f32 v19, -v15, v18, v17
	v_fmac_f32_e32 v18, v19, v16
	s_delay_alu instid0(VALU_DEP_1) | instskip(NEXT) | instid1(VALU_DEP_1)
	v_fma_f32 v15, -v15, v18, v17
	v_div_fmas_f32 v15, v15, v16, v18
	s_delay_alu instid0(VALU_DEP_1) | instskip(NEXT) | instid1(VALU_DEP_1)
	v_div_fixup_f32 v14, v15, v14, s16
	v_bfe_u32 v15, v14, 16, 1
	v_cmp_o_f32_e32 vcc_lo, v14, v14
	s_delay_alu instid0(VALU_DEP_2) | instskip(NEXT) | instid1(VALU_DEP_1)
	v_add3_u32 v15, v14, v15, 0x7fff
	v_lshrrev_b32_e32 v15, 16, v15
	s_delay_alu instid0(VALU_DEP_1)
	v_cndmask_b32_e32 v14, 0x7fc0, v15, vcc_lo
	global_store_b16 v[1:2], v14, off
	s_or_b32 exec_lo, exec_lo, s5
	s_and_saveexec_b32 s5, s4
	s_cbranch_execz .LBB285_13
.LBB285_17:                             ;   in Loop: Header=BB285_4 Depth=1
	s_waitcnt vmcnt(0)
	v_lshlrev_b32_e32 v13, 16, v13
	s_delay_alu instid0(VALU_DEP_1) | instskip(NEXT) | instid1(VALU_DEP_1)
	v_div_scale_f32 v14, null, v13, v13, s16
	v_rcp_f32_e32 v15, v14
	s_waitcnt_depctr 0xfff
	v_fma_f32 v16, -v14, v15, 1.0
	s_delay_alu instid0(VALU_DEP_1) | instskip(SKIP_1) | instid1(VALU_DEP_1)
	v_fmac_f32_e32 v15, v16, v15
	v_div_scale_f32 v16, vcc_lo, s16, v13, s16
	v_mul_f32_e32 v17, v16, v15
	s_delay_alu instid0(VALU_DEP_1) | instskip(NEXT) | instid1(VALU_DEP_1)
	v_fma_f32 v18, -v14, v17, v16
	v_fmac_f32_e32 v17, v18, v15
	s_delay_alu instid0(VALU_DEP_1) | instskip(NEXT) | instid1(VALU_DEP_1)
	v_fma_f32 v14, -v14, v17, v16
	v_div_fmas_f32 v14, v14, v15, v17
	s_delay_alu instid0(VALU_DEP_1) | instskip(NEXT) | instid1(VALU_DEP_1)
	v_div_fixup_f32 v13, v14, v13, s16
	v_bfe_u32 v14, v13, 16, 1
	v_cmp_o_f32_e32 vcc_lo, v13, v13
	s_delay_alu instid0(VALU_DEP_2) | instskip(NEXT) | instid1(VALU_DEP_1)
	v_add3_u32 v14, v13, v14, 0x7fff
	v_lshrrev_b32_e32 v14, 16, v14
	s_delay_alu instid0(VALU_DEP_1)
	v_cndmask_b32_e32 v13, 0x7fc0, v14, vcc_lo
	global_store_b16 v[3:4], v13, off
	s_or_b32 exec_lo, exec_lo, s5
	s_and_saveexec_b32 s4, s3
	s_cbranch_execz .LBB285_14
.LBB285_18:                             ;   in Loop: Header=BB285_4 Depth=1
	s_waitcnt vmcnt(0)
	v_lshlrev_b32_e32 v12, 16, v12
	s_delay_alu instid0(VALU_DEP_1) | instskip(SKIP_1) | instid1(VALU_DEP_2)
	v_div_scale_f32 v13, null, v12, v12, s16
	v_div_scale_f32 v16, vcc_lo, s16, v12, s16
	v_rcp_f32_e32 v14, v13
	s_waitcnt_depctr 0xfff
	v_fma_f32 v15, -v13, v14, 1.0
	s_delay_alu instid0(VALU_DEP_1) | instskip(NEXT) | instid1(VALU_DEP_1)
	v_fmac_f32_e32 v14, v15, v14
	v_mul_f32_e32 v15, v16, v14
	s_delay_alu instid0(VALU_DEP_1) | instskip(NEXT) | instid1(VALU_DEP_1)
	v_fma_f32 v17, -v13, v15, v16
	v_fmac_f32_e32 v15, v17, v14
	s_delay_alu instid0(VALU_DEP_1) | instskip(NEXT) | instid1(VALU_DEP_1)
	v_fma_f32 v13, -v13, v15, v16
	v_div_fmas_f32 v13, v13, v14, v15
	s_delay_alu instid0(VALU_DEP_1) | instskip(NEXT) | instid1(VALU_DEP_1)
	v_div_fixup_f32 v12, v13, v12, s16
	v_bfe_u32 v13, v12, 16, 1
	v_cmp_o_f32_e32 vcc_lo, v12, v12
	s_delay_alu instid0(VALU_DEP_2) | instskip(NEXT) | instid1(VALU_DEP_1)
	v_add3_u32 v13, v12, v13, 0x7fff
	v_lshrrev_b32_e32 v13, 16, v13
	s_delay_alu instid0(VALU_DEP_1)
	v_cndmask_b32_e32 v14, 0x7fc0, v13, vcc_lo
	v_add_co_u32 v12, vcc_lo, v1, s17
	v_add_co_ci_u32_e32 v13, vcc_lo, 0, v2, vcc_lo
	global_store_b16 v[12:13], v14, off
	s_or_b32 exec_lo, exec_lo, s4
	s_and_saveexec_b32 s3, s2
	s_cbranch_execz .LBB285_3
.LBB285_19:                             ;   in Loop: Header=BB285_4 Depth=1
	s_waitcnt vmcnt(0)
	v_lshlrev_b32_e32 v11, 16, v11
	s_delay_alu instid0(VALU_DEP_1) | instskip(SKIP_1) | instid1(VALU_DEP_2)
	v_div_scale_f32 v12, null, v11, v11, s16
	v_div_scale_f32 v15, vcc_lo, s16, v11, s16
	v_rcp_f32_e32 v13, v12
	s_waitcnt_depctr 0xfff
	v_fma_f32 v14, -v12, v13, 1.0
	s_delay_alu instid0(VALU_DEP_1) | instskip(NEXT) | instid1(VALU_DEP_1)
	v_fmac_f32_e32 v13, v14, v13
	v_mul_f32_e32 v14, v15, v13
	s_delay_alu instid0(VALU_DEP_1) | instskip(NEXT) | instid1(VALU_DEP_1)
	v_fma_f32 v16, -v12, v14, v15
	v_fmac_f32_e32 v14, v16, v13
	s_delay_alu instid0(VALU_DEP_1) | instskip(NEXT) | instid1(VALU_DEP_1)
	v_fma_f32 v12, -v12, v14, v15
	v_div_fmas_f32 v12, v12, v13, v14
	s_delay_alu instid0(VALU_DEP_1) | instskip(NEXT) | instid1(VALU_DEP_1)
	v_div_fixup_f32 v11, v12, v11, s16
	v_bfe_u32 v12, v11, 16, 1
	v_cmp_o_f32_e32 vcc_lo, v11, v11
	s_delay_alu instid0(VALU_DEP_2) | instskip(NEXT) | instid1(VALU_DEP_1)
	v_add3_u32 v12, v11, v12, 0x7fff
	v_lshrrev_b32_e32 v12, 16, v12
	s_delay_alu instid0(VALU_DEP_1)
	v_cndmask_b32_e32 v13, 0x7fc0, v12, vcc_lo
	v_add_co_u32 v11, vcc_lo, v1, s19
	v_add_co_ci_u32_e32 v12, vcc_lo, 0, v2, vcc_lo
	global_store_b16 v[11:12], v13, off
	s_branch .LBB285_3
.LBB285_20:
	s_cbranch_execz .LBB285_22
	s_branch .LBB285_25
.LBB285_21:
.LBB285_22:
	v_dual_mov_b32 v2, 0 :: v_dual_lshlrev_b32 v1, 2, v0
	s_mov_b32 s3, 0
	s_mov_b32 s2, exec_lo
	s_delay_alu instid0(VALU_DEP_1)
	v_cmpx_gt_i64_e64 s[6:7], v[1:2]
	s_cbranch_execz .LBB285_25
; %bb.23:
	s_load_b32 s0, s[0:1], 0xd3c
	v_lshlrev_b32_e32 v1, 3, v0
	s_waitcnt lgkmcnt(0)
	s_and_b32 s0, s0, 0xffff
	s_add_u32 s1, s8, s10
	s_addc_u32 s2, s9, s11
	v_add_co_u32 v3, s1, s1, v1
	s_delay_alu instid0(VALU_DEP_1)
	v_add_co_ci_u32_e64 v4, null, s2, 0, s1
	v_add_lshl_u32 v1, v0, s0, 2
	s_lshl_b32 s4, s0, 3
	s_lshl_b32 s5, s0, 2
.LBB285_24:                             ; =>This Inner Loop Header: Depth=1
	global_load_b64 v[5:6], v[3:4], off
	s_waitcnt vmcnt(0)
	v_lshlrev_b32_e32 v0, 16, v5
	v_and_b32_e32 v7, 0xffff0000, v5
	v_alignbit_b32 v5, v6, v5, 16
	s_delay_alu instid0(VALU_DEP_3) | instskip(NEXT) | instid1(VALU_DEP_2)
	v_div_scale_f32 v8, null, v0, v0, s16
	v_and_b32_e32 v5, 0xffff0000, v5
	s_delay_alu instid0(VALU_DEP_4) | instskip(NEXT) | instid1(VALU_DEP_3)
	v_div_scale_f32 v9, null, v7, v7, s16
	v_rcp_f32_e32 v11, v8
	s_delay_alu instid0(VALU_DEP_2) | instskip(NEXT) | instid1(VALU_DEP_2)
	v_div_scale_f32 v13, null, v5, v5, s16
	v_rcp_f32_e32 v12, v9
	s_delay_alu instid0(VALU_DEP_1) | instskip(NEXT) | instid1(TRANS32_DEP_3)
	v_rcp_f32_e32 v16, v13
	v_fma_f32 v18, -v8, v11, 1.0
	s_waitcnt_depctr 0xfff
	v_fma_f32 v19, -v9, v12, 1.0
	v_fmac_f32_e32 v11, v18, v11
	v_div_scale_f32 v15, vcc_lo, s16, v0, s16
	v_fma_f32 v18, -v13, v16, 1.0
	s_delay_alu instid0(VALU_DEP_4) | instskip(SKIP_2) | instid1(VALU_DEP_4)
	v_fmac_f32_e32 v12, v19, v12
	v_div_scale_f32 v19, s2, s16, v5, s16
	v_div_scale_f32 v17, s0, s16, v7, s16
	v_fmac_f32_e32 v16, v18, v16
	v_and_b32_e32 v6, 0xffff0000, v6
	s_delay_alu instid0(VALU_DEP_3) | instskip(NEXT) | instid1(VALU_DEP_3)
	v_mul_f32_e32 v22, v17, v12
	v_mul_f32_e32 v25, v19, v16
	s_delay_alu instid0(VALU_DEP_3) | instskip(NEXT) | instid1(VALU_DEP_3)
	v_div_scale_f32 v10, null, v6, v6, s16
	v_fma_f32 v24, -v9, v22, v17
	v_div_scale_f32 v21, s1, s16, v6, s16
	s_delay_alu instid0(VALU_DEP_3) | instskip(NEXT) | instid1(VALU_DEP_2)
	v_rcp_f32_e32 v14, v10
	v_fmac_f32_e32 v22, v24, v12
	s_delay_alu instid0(VALU_DEP_1) | instskip(SKIP_2) | instid1(VALU_DEP_1)
	v_fma_f32 v9, -v9, v22, v17
	s_waitcnt_depctr 0xfff
	v_fma_f32 v20, -v10, v14, 1.0
	v_fmac_f32_e32 v14, v20, v14
	v_mul_f32_e32 v20, v15, v11
	s_delay_alu instid0(VALU_DEP_1) | instskip(NEXT) | instid1(VALU_DEP_1)
	v_fma_f32 v23, -v8, v20, v15
	v_fmac_f32_e32 v20, v23, v11
	v_fma_f32 v23, -v13, v25, v19
	v_mul_f32_e32 v18, v21, v14
	s_delay_alu instid0(VALU_DEP_3) | instskip(NEXT) | instid1(VALU_DEP_3)
	v_fma_f32 v8, -v8, v20, v15
	v_fmac_f32_e32 v25, v23, v16
	s_delay_alu instid0(VALU_DEP_3) | instskip(NEXT) | instid1(VALU_DEP_3)
	v_fma_f32 v26, -v10, v18, v21
	v_div_fmas_f32 v8, v8, v11, v20
	s_delay_alu instid0(VALU_DEP_3) | instskip(SKIP_1) | instid1(VALU_DEP_3)
	v_fma_f32 v11, -v13, v25, v19
	s_mov_b32 vcc_lo, s0
	v_fmac_f32_e32 v18, v26, v14
	v_div_fmas_f32 v9, v9, v12, v22
	s_mov_b32 vcc_lo, s2
	v_div_fixup_f32 v0, v8, v0, s16
	v_div_fmas_f32 v8, v11, v16, v25
	v_fma_f32 v10, -v10, v18, v21
	v_div_fixup_f32 v7, v9, v7, s16
	s_mov_b32 vcc_lo, s1
	v_cmp_lt_u64_e64 s0, 0xffff, v[1:2]
	v_div_fixup_f32 v5, v8, v5, s16
	v_bfe_u32 v8, v0, 16, 1
	v_div_fmas_f32 v10, v10, v14, v18
	v_bfe_u32 v9, v7, 16, 1
	v_cmp_o_f32_e32 vcc_lo, v0, v0
	s_delay_alu instid0(VALU_DEP_4) | instskip(NEXT) | instid1(VALU_DEP_4)
	v_add3_u32 v8, v0, v8, 0x7fff
	v_div_fixup_f32 v6, v10, v6, s16
	v_bfe_u32 v10, v5, 16, 1
	v_add3_u32 v9, v7, v9, 0x7fff
	s_delay_alu instid0(VALU_DEP_4) | instskip(NEXT) | instid1(VALU_DEP_4)
	v_lshrrev_b32_e32 v8, 16, v8
	v_bfe_u32 v11, v6, 16, 1
	s_delay_alu instid0(VALU_DEP_4) | instskip(NEXT) | instid1(VALU_DEP_4)
	v_add3_u32 v10, v5, v10, 0x7fff
	v_and_b32_e32 v9, 0xffff0000, v9
	s_delay_alu instid0(VALU_DEP_4)
	v_cndmask_b32_e32 v0, 0x7fc0, v8, vcc_lo
	v_cmp_o_f32_e32 vcc_lo, v7, v7
	v_add3_u32 v11, v6, v11, 0x7fff
	v_lshrrev_b32_e32 v10, 16, v10
	v_cndmask_b32_e32 v7, 0x7fc00000, v9, vcc_lo
	v_cmp_o_f32_e32 vcc_lo, v5, v5
	s_delay_alu instid0(VALU_DEP_4) | instskip(NEXT) | instid1(VALU_DEP_3)
	v_and_b32_e32 v8, 0xffff0000, v11
	v_or_b32_e32 v0, v0, v7
	v_cndmask_b32_e32 v5, 0x7fc0, v10, vcc_lo
	v_cmp_o_f32_e32 vcc_lo, v6, v6
	s_delay_alu instid0(VALU_DEP_4) | instskip(SKIP_2) | instid1(VALU_DEP_1)
	v_cndmask_b32_e32 v6, 0x7fc00000, v8, vcc_lo
	v_cmp_le_i64_e32 vcc_lo, s[6:7], v[1:2]
	v_add_co_u32 v1, s1, v1, s5
	v_add_co_ci_u32_e64 v2, s1, 0, v2, s1
	s_delay_alu instid0(VALU_DEP_4) | instskip(SKIP_2) | instid1(SALU_CYCLE_1)
	v_or3_b32 v6, 0, v5, v6
	v_or3_b32 v5, v0, 0, 0
	s_or_b32 s0, vcc_lo, s0
	s_and_b32 s0, exec_lo, s0
	global_store_b64 v[3:4], v[5:6], off
	v_add_co_u32 v3, vcc_lo, v3, s4
	v_add_co_ci_u32_e32 v4, vcc_lo, 0, v4, vcc_lo
	s_or_b32 s3, s0, s3
	s_delay_alu instid0(SALU_CYCLE_1)
	s_and_not1_b32 exec_lo, exec_lo, s3
	s_cbranch_execnz .LBB285_24
.LBB285_25:
	s_nop 0
	s_sendmsg sendmsg(MSG_DEALLOC_VGPRS)
	s_endpgm
	.section	.rodata,"a",@progbits
	.p2align	6, 0x0
	.amdhsa_kernel _ZN2at6native12_GLOBAL__N_125multi_tensor_apply_kernelINS1_18TensorListMetadataILi1EEENS1_14UnaryOpFunctorIN3c108BFloat16ELi1ELi1ELi0EEEJNS0_10ReciprocalIfEEEEEvT_T0_DpT1_
		.amdhsa_group_segment_fixed_size 0
		.amdhsa_private_segment_fixed_size 0
		.amdhsa_kernarg_size 3632
		.amdhsa_user_sgpr_count 15
		.amdhsa_user_sgpr_dispatch_ptr 0
		.amdhsa_user_sgpr_queue_ptr 0
		.amdhsa_user_sgpr_kernarg_segment_ptr 1
		.amdhsa_user_sgpr_dispatch_id 0
		.amdhsa_user_sgpr_private_segment_size 0
		.amdhsa_wavefront_size32 1
		.amdhsa_uses_dynamic_stack 0
		.amdhsa_enable_private_segment 0
		.amdhsa_system_sgpr_workgroup_id_x 1
		.amdhsa_system_sgpr_workgroup_id_y 0
		.amdhsa_system_sgpr_workgroup_id_z 0
		.amdhsa_system_sgpr_workgroup_info 0
		.amdhsa_system_vgpr_workitem_id 0
		.amdhsa_next_free_vgpr 27
		.amdhsa_next_free_sgpr 21
		.amdhsa_reserve_vcc 1
		.amdhsa_float_round_mode_32 0
		.amdhsa_float_round_mode_16_64 0
		.amdhsa_float_denorm_mode_32 3
		.amdhsa_float_denorm_mode_16_64 3
		.amdhsa_dx10_clamp 1
		.amdhsa_ieee_mode 1
		.amdhsa_fp16_overflow 0
		.amdhsa_workgroup_processor_mode 1
		.amdhsa_memory_ordered 1
		.amdhsa_forward_progress 0
		.amdhsa_shared_vgpr_count 0
		.amdhsa_exception_fp_ieee_invalid_op 0
		.amdhsa_exception_fp_denorm_src 0
		.amdhsa_exception_fp_ieee_div_zero 0
		.amdhsa_exception_fp_ieee_overflow 0
		.amdhsa_exception_fp_ieee_underflow 0
		.amdhsa_exception_fp_ieee_inexact 0
		.amdhsa_exception_int_div_zero 0
	.end_amdhsa_kernel
	.section	.text._ZN2at6native12_GLOBAL__N_125multi_tensor_apply_kernelINS1_18TensorListMetadataILi1EEENS1_14UnaryOpFunctorIN3c108BFloat16ELi1ELi1ELi0EEEJNS0_10ReciprocalIfEEEEEvT_T0_DpT1_,"axG",@progbits,_ZN2at6native12_GLOBAL__N_125multi_tensor_apply_kernelINS1_18TensorListMetadataILi1EEENS1_14UnaryOpFunctorIN3c108BFloat16ELi1ELi1ELi0EEEJNS0_10ReciprocalIfEEEEEvT_T0_DpT1_,comdat
.Lfunc_end285:
	.size	_ZN2at6native12_GLOBAL__N_125multi_tensor_apply_kernelINS1_18TensorListMetadataILi1EEENS1_14UnaryOpFunctorIN3c108BFloat16ELi1ELi1ELi0EEEJNS0_10ReciprocalIfEEEEEvT_T0_DpT1_, .Lfunc_end285-_ZN2at6native12_GLOBAL__N_125multi_tensor_apply_kernelINS1_18TensorListMetadataILi1EEENS1_14UnaryOpFunctorIN3c108BFloat16ELi1ELi1ELi0EEEJNS0_10ReciprocalIfEEEEEvT_T0_DpT1_
                                        ; -- End function
	.section	.AMDGPU.csdata,"",@progbits
; Kernel info:
; codeLenInByte = 2228
; NumSgprs: 23
; NumVgprs: 27
; ScratchSize: 0
; MemoryBound: 0
; FloatMode: 240
; IeeeMode: 1
; LDSByteSize: 0 bytes/workgroup (compile time only)
; SGPRBlocks: 2
; VGPRBlocks: 3
; NumSGPRsForWavesPerEU: 23
; NumVGPRsForWavesPerEU: 27
; Occupancy: 16
; WaveLimiterHint : 0
; COMPUTE_PGM_RSRC2:SCRATCH_EN: 0
; COMPUTE_PGM_RSRC2:USER_SGPR: 15
; COMPUTE_PGM_RSRC2:TRAP_HANDLER: 0
; COMPUTE_PGM_RSRC2:TGID_X_EN: 1
; COMPUTE_PGM_RSRC2:TGID_Y_EN: 0
; COMPUTE_PGM_RSRC2:TGID_Z_EN: 0
; COMPUTE_PGM_RSRC2:TIDIG_COMP_CNT: 0
	.section	.text._ZN2at6native12_GLOBAL__N_125multi_tensor_apply_kernelINS1_18TensorListMetadataILi2EEENS1_14UnaryOpFunctorIdLi2ELi1ELi1EEEJNS0_4SignIdEEEEEvT_T0_DpT1_,"axG",@progbits,_ZN2at6native12_GLOBAL__N_125multi_tensor_apply_kernelINS1_18TensorListMetadataILi2EEENS1_14UnaryOpFunctorIdLi2ELi1ELi1EEEJNS0_4SignIdEEEEEvT_T0_DpT1_,comdat
	.globl	_ZN2at6native12_GLOBAL__N_125multi_tensor_apply_kernelINS1_18TensorListMetadataILi2EEENS1_14UnaryOpFunctorIdLi2ELi1ELi1EEEJNS0_4SignIdEEEEEvT_T0_DpT1_ ; -- Begin function _ZN2at6native12_GLOBAL__N_125multi_tensor_apply_kernelINS1_18TensorListMetadataILi2EEENS1_14UnaryOpFunctorIdLi2ELi1ELi1EEEJNS0_4SignIdEEEEEvT_T0_DpT1_
	.p2align	8
	.type	_ZN2at6native12_GLOBAL__N_125multi_tensor_apply_kernelINS1_18TensorListMetadataILi2EEENS1_14UnaryOpFunctorIdLi2ELi1ELi1EEEJNS0_4SignIdEEEEEvT_T0_DpT1_,@function
_ZN2at6native12_GLOBAL__N_125multi_tensor_apply_kernelINS1_18TensorListMetadataILi2EEENS1_14UnaryOpFunctorIdLi2ELi1ELi1EEEJNS0_4SignIdEEEEEvT_T0_DpT1_: ; @_ZN2at6native12_GLOBAL__N_125multi_tensor_apply_kernelINS1_18TensorListMetadataILi2EEENS1_14UnaryOpFunctorIdLi2ELi1ELi1EEEJNS0_4SignIdEEEEEvT_T0_DpT1_
; %bb.0:
	v_mov_b32_e32 v1, s15
	s_add_u32 s2, s0, s15
	s_mul_hi_u32 s3, s15, 3
	s_mul_i32 s15, s15, 3
	s_addc_u32 s4, s1, 0
	global_load_u8 v1, v1, s[0:1] offset:1536
	s_add_u32 s2, s2, s15
	s_addc_u32 s3, s4, s3
	s_mov_b32 s19, 0
	s_load_b32 s2, s[2:3], 0x740
	s_mov_b32 s21, s19
	s_mov_b32 s23, s19
	s_waitcnt vmcnt(0)
	v_readfirstlane_b32 s5, v1
	s_delay_alu instid0(VALU_DEP_1)
	s_lshl_b32 s3, s5, 3
	s_clause 0x2
	s_load_b64 s[10:11], s[0:1], s3 offset:0x0
	s_load_b64 s[12:13], s[0:1], s3 offset:0x200
	;; [unrolled: 1-line block ×3, first 2 shown]
	s_waitcnt lgkmcnt(0)
	s_ashr_i32 s3, s2, 31
	s_delay_alu instid0(SALU_CYCLE_1) | instskip(NEXT) | instid1(SALU_CYCLE_1)
	s_lshl_b64 s[6:7], s[2:3], 19
	s_add_u32 s5, s10, s6
	s_addc_u32 s14, s11, s7
	s_and_b32 s18, s5, 31
	s_add_u32 s15, s12, s6
	s_addc_u32 s16, s13, s7
	s_and_b32 s20, s8, 3
	s_and_b32 s22, s15, 31
	s_or_b64 s[18:19], s[18:19], s[20:21]
	s_lshl_b64 s[2:3], s[2:3], 16
	s_or_b64 s[18:19], s[22:23], s[18:19]
	s_sub_u32 s8, s8, s2
	s_subb_u32 s9, s9, s3
	s_cmp_eq_u64 s[18:19], 0
	s_mov_b32 s2, -1
	s_cbranch_scc0 .LBB286_5
; %bb.1:
	v_dual_mov_b32 v2, 0 :: v_dual_lshlrev_b32 v1, 2, v0
	s_mov_b32 s17, exec_lo
	s_delay_alu instid0(VALU_DEP_1)
	v_cmpx_gt_i64_e64 s[8:9], v[1:2]
	s_cbranch_execz .LBB286_4
; %bb.2:
	s_load_b32 s2, s[0:1], 0xc5c
	v_lshlrev_b32_e32 v3, 5, v0
	s_mov_b32 s18, 0
	s_waitcnt lgkmcnt(0)
	s_and_b32 s2, s2, 0xffff
	s_delay_alu instid0(SALU_CYCLE_1)
	v_add_lshl_u32 v1, v0, s2, 2
	s_lshl_b32 s19, s2, 2
	s_lshl_b32 s20, s2, 5
.LBB286_3:                              ; =>This Inner Loop Header: Depth=1
	v_add_co_u32 v8, s2, s5, v3
	s_delay_alu instid0(VALU_DEP_1)
	v_add_co_ci_u32_e64 v9, null, s14, 0, s2
	s_clause 0x1
	global_load_b128 v[4:7], v[8:9], off
	global_load_b128 v[8:11], v[8:9], off offset:16
	s_waitcnt vmcnt(1)
	v_cmp_lt_f64_e32 vcc_lo, 0, v[4:5]
	s_waitcnt vmcnt(0)
	v_cmp_lt_f64_e64 s2, 0, v[8:9]
	v_cmp_lt_f64_e64 s3, 0, v[10:11]
	v_cmp_gt_f64_e64 s4, 0, v[4:5]
	v_cndmask_b32_e64 v12, 0, 1, vcc_lo
	v_cmp_lt_f64_e32 vcc_lo, 0, v[6:7]
	s_delay_alu instid0(VALU_DEP_2) | instskip(NEXT) | instid1(VALU_DEP_1)
	v_subrev_co_ci_u32_e64 v4, s4, 0, v12, s4
	v_cvt_f64_i32_e32 v[4:5], v4
	v_cndmask_b32_e64 v13, 0, 1, vcc_lo
	v_cmp_gt_f64_e32 vcc_lo, 0, v[6:7]
	v_cndmask_b32_e64 v6, 0, 1, s2
	v_cmp_gt_f64_e64 s2, 0, v[8:9]
	v_cndmask_b32_e64 v7, 0, 1, s3
	v_cmp_gt_f64_e64 s3, 0, v[10:11]
	v_subrev_co_ci_u32_e32 v8, vcc_lo, 0, v13, vcc_lo
	s_delay_alu instid0(VALU_DEP_4) | instskip(NEXT) | instid1(VALU_DEP_3)
	v_subrev_co_ci_u32_e64 v9, vcc_lo, 0, v6, s2
	v_subrev_co_ci_u32_e64 v10, vcc_lo, 0, v7, s3
	s_delay_alu instid0(VALU_DEP_3) | instskip(NEXT) | instid1(VALU_DEP_3)
	v_cvt_f64_i32_e32 v[6:7], v8
	v_cvt_f64_i32_e32 v[8:9], v9
	v_cmp_le_i64_e32 vcc_lo, s[8:9], v[1:2]
	s_delay_alu instid0(VALU_DEP_4) | instskip(SKIP_2) | instid1(VALU_DEP_1)
	v_cvt_f64_i32_e32 v[10:11], v10
	v_cmp_lt_u64_e64 s2, 0xffff, v[1:2]
	v_add_co_u32 v12, s3, s15, v3
	v_add_co_ci_u32_e64 v13, null, s16, 0, s3
	v_add_co_u32 v1, s3, v1, s19
	s_delay_alu instid0(VALU_DEP_4)
	s_or_b32 s2, vcc_lo, s2
	s_add_u32 s5, s5, s20
	s_addc_u32 s14, s14, 0
	s_add_u32 s15, s15, s20
	v_add_co_ci_u32_e64 v2, s3, 0, v2, s3
	s_addc_u32 s16, s16, 0
	s_and_b32 s2, exec_lo, s2
	s_clause 0x1
	global_store_b128 v[12:13], v[4:7], off
	global_store_b128 v[12:13], v[8:11], off offset:16
	s_or_b32 s18, s2, s18
	s_delay_alu instid0(SALU_CYCLE_1)
	s_and_not1_b32 exec_lo, exec_lo, s18
	s_cbranch_execnz .LBB286_3
.LBB286_4:
	s_or_b32 exec_lo, exec_lo, s17
	s_mov_b32 s2, 0
.LBB286_5:
	s_delay_alu instid0(SALU_CYCLE_1)
	s_and_not1_b32 vcc_lo, exec_lo, s2
	s_cbranch_vccnz .LBB286_25
; %bb.6:
	v_cmp_lt_i64_e64 s2, s[8:9], 1
	s_delay_alu instid0(VALU_DEP_1)
	s_and_b32 vcc_lo, exec_lo, s2
	s_cbranch_vccnz .LBB286_25
; %bb.7:
	s_load_b32 s0, s[0:1], 0xc5c
	v_dual_mov_b32 v2, 0 :: v_dual_lshlrev_b32 v1, 3, v0
	v_cmp_gt_u64_e64 s1, 0x10000, s[8:9]
	s_delay_alu instid0(VALU_DEP_2) | instskip(NEXT) | instid1(VALU_DEP_1)
	v_add_co_u32 v9, s2, s10, v1
	v_add_co_ci_u32_e64 v10, null, s11, 0, s2
	v_add_co_u32 v11, s2, s12, v1
	s_delay_alu instid0(VALU_DEP_1)
	v_add_co_ci_u32_e64 v12, null, s13, 0, s2
	s_waitcnt lgkmcnt(0)
	s_and_b32 s0, s0, 0xffff
	s_and_b32 s1, s1, exec_lo
	v_mad_u64_u32 v[3:4], null, s0, 24, v[1:2]
	s_cselect_b32 s5, s9, 0
	s_cselect_b32 s4, s8, 0x10000
	s_lshl_b32 s3, s0, 4
	s_mul_i32 s2, s0, 3
	v_add_co_u32 v1, s3, s3, v1
	s_delay_alu instid0(VALU_DEP_2) | instskip(NEXT) | instid1(VALU_DEP_3)
	v_add_co_u32 v13, vcc_lo, s10, v3
	v_add_co_ci_u32_e32 v14, vcc_lo, s11, v4, vcc_lo
	v_add_co_u32 v17, s2, s2, v0
	v_add_co_u32 v15, vcc_lo, s12, v3
	v_add_co_ci_u32_e64 v2, null, 0, 0, s3
	v_add_co_ci_u32_e64 v18, null, 0, 0, s2
	v_add_co_u32 v21, s2, v0, s0
	v_add_co_ci_u32_e32 v16, vcc_lo, s13, v4, vcc_lo
	v_add_co_u32 v19, vcc_lo, s10, v1
	v_add_co_ci_u32_e32 v20, vcc_lo, s11, v2, vcc_lo
	v_add_co_u32 v22, vcc_lo, s12, v1
	v_lshlrev_b32_e32 v1, 3, v21
	s_lshl_b32 s1, s0, 1
	v_add_co_ci_u32_e32 v23, vcc_lo, s13, v2, vcc_lo
	v_add_co_u32 v25, s1, s1, v0
	s_delay_alu instid0(VALU_DEP_1) | instskip(SKIP_1) | instid1(VALU_DEP_1)
	v_add_co_ci_u32_e64 v26, null, 0, 0, s1
	v_add_co_u32 v27, s1, s10, v1
	v_add_co_ci_u32_e64 v28, null, s11, 0, s1
	v_add_co_u32 v29, s1, s12, v1
	v_add_co_ci_u32_e64 v24, null, 0, 0, s2
	v_add_co_ci_u32_e64 v30, null, s13, 0, s1
	s_lshl_b32 s12, s0, 2
	s_lshl_b32 s13, s0, 5
	s_mov_b64 s[10:11], 0
	s_branch .LBB286_9
.LBB286_8:                              ;   in Loop: Header=BB286_9 Depth=1
	s_or_b32 exec_lo, exec_lo, s0
	v_add_co_u32 v9, vcc_lo, v9, s13
	v_add_co_ci_u32_e32 v10, vcc_lo, 0, v10, vcc_lo
	v_add_co_u32 v11, vcc_lo, v11, s13
	v_add_co_ci_u32_e32 v12, vcc_lo, 0, v12, vcc_lo
	;; [unrolled: 2-line block ×5, first 2 shown]
	s_add_u32 s10, s10, s12
	v_add_co_u32 v22, vcc_lo, v22, s13
	s_addc_u32 s11, s11, 0
	v_add_co_ci_u32_e32 v23, vcc_lo, 0, v23, vcc_lo
	v_cmp_ge_i64_e64 s0, s[10:11], s[8:9]
	v_cmp_lt_u64_e64 s1, 0xffff, s[10:11]
	v_add_co_u32 v27, vcc_lo, v27, s13
	v_add_co_ci_u32_e32 v28, vcc_lo, 0, v28, vcc_lo
	v_add_co_u32 v29, vcc_lo, v29, s13
	v_add_co_ci_u32_e32 v30, vcc_lo, 0, v30, vcc_lo
	s_or_b32 s0, s0, s1
	s_delay_alu instid0(SALU_CYCLE_1)
	s_and_b32 vcc_lo, exec_lo, s0
	s_cbranch_vccnz .LBB286_25
.LBB286_9:                              ; =>This Inner Loop Header: Depth=1
	s_waitcnt vmcnt(0)
	v_add_co_u32 v3, s0, v0, s10
	s_delay_alu instid0(VALU_DEP_1) | instskip(SKIP_2) | instid1(VALU_DEP_3)
	v_add_co_ci_u32_e64 v4, null, 0, s11, s0
	v_mov_b32_e32 v1, 0
	v_mov_b32_e32 v2, 0
	v_cmp_gt_u64_e32 vcc_lo, s[4:5], v[3:4]
	s_delay_alu instid0(VALU_DEP_2)
	v_dual_mov_b32 v6, v2 :: v_dual_mov_b32 v5, v1
	s_and_saveexec_b32 s1, vcc_lo
	s_cbranch_execz .LBB286_11
; %bb.10:                               ;   in Loop: Header=BB286_9 Depth=1
	v_add_co_u32 v3, s0, v9, s6
	s_delay_alu instid0(VALU_DEP_1)
	v_add_co_ci_u32_e64 v4, s0, s7, v10, s0
	global_load_b64 v[5:6], v[3:4], off
.LBB286_11:                             ;   in Loop: Header=BB286_9 Depth=1
	s_or_b32 exec_lo, exec_lo, s1
	v_add_co_u32 v3, s0, v21, s10
	s_delay_alu instid0(VALU_DEP_1) | instskip(NEXT) | instid1(VALU_DEP_1)
	v_add_co_ci_u32_e64 v4, s0, s11, v24, s0
	v_cmp_gt_u64_e64 s0, s[4:5], v[3:4]
	s_delay_alu instid0(VALU_DEP_1)
	s_and_saveexec_b32 s2, s0
	s_cbranch_execz .LBB286_13
; %bb.12:                               ;   in Loop: Header=BB286_9 Depth=1
	v_add_co_u32 v1, s1, v27, s6
	s_delay_alu instid0(VALU_DEP_1)
	v_add_co_ci_u32_e64 v2, s1, s7, v28, s1
	global_load_b64 v[1:2], v[1:2], off
.LBB286_13:                             ;   in Loop: Header=BB286_9 Depth=1
	s_or_b32 exec_lo, exec_lo, s2
	v_add_co_u32 v7, s1, v25, s10
	s_delay_alu instid0(VALU_DEP_1) | instskip(SKIP_2) | instid1(VALU_DEP_3)
	v_add_co_ci_u32_e64 v8, s1, s11, v26, s1
	v_mov_b32_e32 v3, 0
	v_mov_b32_e32 v4, 0
	v_cmp_gt_u64_e64 s1, s[4:5], v[7:8]
	s_delay_alu instid0(VALU_DEP_2) | instskip(NEXT) | instid1(VALU_DEP_2)
	v_dual_mov_b32 v8, v4 :: v_dual_mov_b32 v7, v3
	s_and_saveexec_b32 s3, s1
	s_cbranch_execz .LBB286_15
; %bb.14:                               ;   in Loop: Header=BB286_9 Depth=1
	v_add_co_u32 v7, s2, v19, s6
	s_delay_alu instid0(VALU_DEP_1)
	v_add_co_ci_u32_e64 v8, s2, s7, v20, s2
	global_load_b64 v[7:8], v[7:8], off
.LBB286_15:                             ;   in Loop: Header=BB286_9 Depth=1
	s_or_b32 exec_lo, exec_lo, s3
	v_add_co_u32 v31, s2, v17, s10
	s_delay_alu instid0(VALU_DEP_1) | instskip(NEXT) | instid1(VALU_DEP_1)
	v_add_co_ci_u32_e64 v32, s2, s11, v18, s2
	v_cmp_gt_u64_e64 s2, s[4:5], v[31:32]
	s_delay_alu instid0(VALU_DEP_1)
	s_and_saveexec_b32 s14, s2
	s_cbranch_execnz .LBB286_20
; %bb.16:                               ;   in Loop: Header=BB286_9 Depth=1
	s_or_b32 exec_lo, exec_lo, s14
	s_and_saveexec_b32 s3, vcc_lo
	s_cbranch_execnz .LBB286_21
.LBB286_17:                             ;   in Loop: Header=BB286_9 Depth=1
	s_or_b32 exec_lo, exec_lo, s3
	s_and_saveexec_b32 s3, s0
	s_cbranch_execnz .LBB286_22
.LBB286_18:                             ;   in Loop: Header=BB286_9 Depth=1
	s_or_b32 exec_lo, exec_lo, s3
	s_and_saveexec_b32 s0, s1
	s_cbranch_execnz .LBB286_23
.LBB286_19:                             ;   in Loop: Header=BB286_9 Depth=1
	s_or_b32 exec_lo, exec_lo, s0
	s_and_saveexec_b32 s0, s2
	s_cbranch_execz .LBB286_8
	s_branch .LBB286_24
.LBB286_20:                             ;   in Loop: Header=BB286_9 Depth=1
	v_add_co_u32 v3, s3, v13, s6
	s_delay_alu instid0(VALU_DEP_1)
	v_add_co_ci_u32_e64 v4, s3, s7, v14, s3
	global_load_b64 v[3:4], v[3:4], off
	s_or_b32 exec_lo, exec_lo, s14
	s_and_saveexec_b32 s3, vcc_lo
	s_cbranch_execz .LBB286_17
.LBB286_21:                             ;   in Loop: Header=BB286_9 Depth=1
	s_waitcnt vmcnt(0)
	v_cmp_lt_f64_e32 vcc_lo, 0, v[5:6]
	v_cndmask_b32_e64 v31, 0, 1, vcc_lo
	v_cmp_gt_f64_e32 vcc_lo, 0, v[5:6]
	s_delay_alu instid0(VALU_DEP_2) | instskip(SKIP_2) | instid1(VALU_DEP_3)
	v_subrev_co_ci_u32_e32 v5, vcc_lo, 0, v31, vcc_lo
	v_add_co_u32 v31, vcc_lo, v11, s6
	v_add_co_ci_u32_e32 v32, vcc_lo, s7, v12, vcc_lo
	v_cvt_f64_i32_e32 v[5:6], v5
	global_store_b64 v[31:32], v[5:6], off
	s_or_b32 exec_lo, exec_lo, s3
	s_and_saveexec_b32 s3, s0
	s_cbranch_execz .LBB286_18
.LBB286_22:                             ;   in Loop: Header=BB286_9 Depth=1
	s_waitcnt vmcnt(0)
	v_cmp_lt_f64_e32 vcc_lo, 0, v[1:2]
	v_cndmask_b32_e64 v5, 0, 1, vcc_lo
	v_cmp_gt_f64_e32 vcc_lo, 0, v[1:2]
	s_delay_alu instid0(VALU_DEP_2) | instskip(SKIP_2) | instid1(VALU_DEP_3)
	v_subrev_co_ci_u32_e32 v1, vcc_lo, 0, v5, vcc_lo
	v_add_co_u32 v5, vcc_lo, v29, s6
	v_add_co_ci_u32_e32 v6, vcc_lo, s7, v30, vcc_lo
	v_cvt_f64_i32_e32 v[1:2], v1
	global_store_b64 v[5:6], v[1:2], off
	s_or_b32 exec_lo, exec_lo, s3
	s_and_saveexec_b32 s0, s1
	s_cbranch_execz .LBB286_19
.LBB286_23:                             ;   in Loop: Header=BB286_9 Depth=1
	s_waitcnt vmcnt(0)
	v_cmp_lt_f64_e32 vcc_lo, 0, v[7:8]
	v_cndmask_b32_e64 v1, 0, 1, vcc_lo
	v_cmp_gt_f64_e32 vcc_lo, 0, v[7:8]
	s_delay_alu instid0(VALU_DEP_2) | instskip(SKIP_2) | instid1(VALU_DEP_3)
	v_subrev_co_ci_u32_e32 v1, vcc_lo, 0, v1, vcc_lo
	v_add_co_u32 v5, vcc_lo, v22, s6
	v_add_co_ci_u32_e32 v6, vcc_lo, s7, v23, vcc_lo
	v_cvt_f64_i32_e32 v[1:2], v1
	global_store_b64 v[5:6], v[1:2], off
	s_or_b32 exec_lo, exec_lo, s0
	s_and_saveexec_b32 s0, s2
	s_cbranch_execz .LBB286_8
.LBB286_24:                             ;   in Loop: Header=BB286_9 Depth=1
	s_waitcnt vmcnt(0)
	v_cmp_lt_f64_e32 vcc_lo, 0, v[3:4]
	v_cndmask_b32_e64 v1, 0, 1, vcc_lo
	v_cmp_gt_f64_e32 vcc_lo, 0, v[3:4]
	s_delay_alu instid0(VALU_DEP_2) | instskip(SKIP_2) | instid1(VALU_DEP_3)
	v_subrev_co_ci_u32_e32 v1, vcc_lo, 0, v1, vcc_lo
	v_add_co_u32 v3, vcc_lo, v15, s6
	v_add_co_ci_u32_e32 v4, vcc_lo, s7, v16, vcc_lo
	v_cvt_f64_i32_e32 v[1:2], v1
	global_store_b64 v[3:4], v[1:2], off
	s_branch .LBB286_8
.LBB286_25:
	s_nop 0
	s_sendmsg sendmsg(MSG_DEALLOC_VGPRS)
	s_endpgm
	.section	.rodata,"a",@progbits
	.p2align	6, 0x0
	.amdhsa_kernel _ZN2at6native12_GLOBAL__N_125multi_tensor_apply_kernelINS1_18TensorListMetadataILi2EEENS1_14UnaryOpFunctorIdLi2ELi1ELi1EEEJNS0_4SignIdEEEEEvT_T0_DpT1_
		.amdhsa_group_segment_fixed_size 0
		.amdhsa_private_segment_fixed_size 0
		.amdhsa_kernarg_size 3408
		.amdhsa_user_sgpr_count 15
		.amdhsa_user_sgpr_dispatch_ptr 0
		.amdhsa_user_sgpr_queue_ptr 0
		.amdhsa_user_sgpr_kernarg_segment_ptr 1
		.amdhsa_user_sgpr_dispatch_id 0
		.amdhsa_user_sgpr_private_segment_size 0
		.amdhsa_wavefront_size32 1
		.amdhsa_uses_dynamic_stack 0
		.amdhsa_enable_private_segment 0
		.amdhsa_system_sgpr_workgroup_id_x 1
		.amdhsa_system_sgpr_workgroup_id_y 0
		.amdhsa_system_sgpr_workgroup_id_z 0
		.amdhsa_system_sgpr_workgroup_info 0
		.amdhsa_system_vgpr_workitem_id 0
		.amdhsa_next_free_vgpr 33
		.amdhsa_next_free_sgpr 24
		.amdhsa_reserve_vcc 1
		.amdhsa_float_round_mode_32 0
		.amdhsa_float_round_mode_16_64 0
		.amdhsa_float_denorm_mode_32 3
		.amdhsa_float_denorm_mode_16_64 3
		.amdhsa_dx10_clamp 1
		.amdhsa_ieee_mode 1
		.amdhsa_fp16_overflow 0
		.amdhsa_workgroup_processor_mode 1
		.amdhsa_memory_ordered 1
		.amdhsa_forward_progress 0
		.amdhsa_shared_vgpr_count 0
		.amdhsa_exception_fp_ieee_invalid_op 0
		.amdhsa_exception_fp_denorm_src 0
		.amdhsa_exception_fp_ieee_div_zero 0
		.amdhsa_exception_fp_ieee_overflow 0
		.amdhsa_exception_fp_ieee_underflow 0
		.amdhsa_exception_fp_ieee_inexact 0
		.amdhsa_exception_int_div_zero 0
	.end_amdhsa_kernel
	.section	.text._ZN2at6native12_GLOBAL__N_125multi_tensor_apply_kernelINS1_18TensorListMetadataILi2EEENS1_14UnaryOpFunctorIdLi2ELi1ELi1EEEJNS0_4SignIdEEEEEvT_T0_DpT1_,"axG",@progbits,_ZN2at6native12_GLOBAL__N_125multi_tensor_apply_kernelINS1_18TensorListMetadataILi2EEENS1_14UnaryOpFunctorIdLi2ELi1ELi1EEEJNS0_4SignIdEEEEEvT_T0_DpT1_,comdat
.Lfunc_end286:
	.size	_ZN2at6native12_GLOBAL__N_125multi_tensor_apply_kernelINS1_18TensorListMetadataILi2EEENS1_14UnaryOpFunctorIdLi2ELi1ELi1EEEJNS0_4SignIdEEEEEvT_T0_DpT1_, .Lfunc_end286-_ZN2at6native12_GLOBAL__N_125multi_tensor_apply_kernelINS1_18TensorListMetadataILi2EEENS1_14UnaryOpFunctorIdLi2ELi1ELi1EEEJNS0_4SignIdEEEEEvT_T0_DpT1_
                                        ; -- End function
	.section	.AMDGPU.csdata,"",@progbits
; Kernel info:
; codeLenInByte = 1668
; NumSgprs: 26
; NumVgprs: 33
; ScratchSize: 0
; MemoryBound: 0
; FloatMode: 240
; IeeeMode: 1
; LDSByteSize: 0 bytes/workgroup (compile time only)
; SGPRBlocks: 3
; VGPRBlocks: 4
; NumSGPRsForWavesPerEU: 26
; NumVGPRsForWavesPerEU: 33
; Occupancy: 16
; WaveLimiterHint : 0
; COMPUTE_PGM_RSRC2:SCRATCH_EN: 0
; COMPUTE_PGM_RSRC2:USER_SGPR: 15
; COMPUTE_PGM_RSRC2:TRAP_HANDLER: 0
; COMPUTE_PGM_RSRC2:TGID_X_EN: 1
; COMPUTE_PGM_RSRC2:TGID_Y_EN: 0
; COMPUTE_PGM_RSRC2:TGID_Z_EN: 0
; COMPUTE_PGM_RSRC2:TIDIG_COMP_CNT: 0
	.section	.text._ZN2at6native12_GLOBAL__N_125multi_tensor_apply_kernelINS1_18TensorListMetadataILi2EEENS1_14UnaryOpFunctorIfLi2ELi1ELi1EEEJNS0_4SignIfEEEEEvT_T0_DpT1_,"axG",@progbits,_ZN2at6native12_GLOBAL__N_125multi_tensor_apply_kernelINS1_18TensorListMetadataILi2EEENS1_14UnaryOpFunctorIfLi2ELi1ELi1EEEJNS0_4SignIfEEEEEvT_T0_DpT1_,comdat
	.globl	_ZN2at6native12_GLOBAL__N_125multi_tensor_apply_kernelINS1_18TensorListMetadataILi2EEENS1_14UnaryOpFunctorIfLi2ELi1ELi1EEEJNS0_4SignIfEEEEEvT_T0_DpT1_ ; -- Begin function _ZN2at6native12_GLOBAL__N_125multi_tensor_apply_kernelINS1_18TensorListMetadataILi2EEENS1_14UnaryOpFunctorIfLi2ELi1ELi1EEEJNS0_4SignIfEEEEEvT_T0_DpT1_
	.p2align	8
	.type	_ZN2at6native12_GLOBAL__N_125multi_tensor_apply_kernelINS1_18TensorListMetadataILi2EEENS1_14UnaryOpFunctorIfLi2ELi1ELi1EEEJNS0_4SignIfEEEEEvT_T0_DpT1_,@function
_ZN2at6native12_GLOBAL__N_125multi_tensor_apply_kernelINS1_18TensorListMetadataILi2EEENS1_14UnaryOpFunctorIfLi2ELi1ELi1EEEJNS0_4SignIfEEEEEvT_T0_DpT1_: ; @_ZN2at6native12_GLOBAL__N_125multi_tensor_apply_kernelINS1_18TensorListMetadataILi2EEENS1_14UnaryOpFunctorIfLi2ELi1ELi1EEEJNS0_4SignIfEEEEEvT_T0_DpT1_
; %bb.0:
	v_mov_b32_e32 v1, s15
	s_add_u32 s2, s0, s15
	s_mul_hi_u32 s3, s15, 3
	s_mul_i32 s15, s15, 3
	s_addc_u32 s4, s1, 0
	global_load_u8 v1, v1, s[0:1] offset:1536
	s_add_u32 s2, s2, s15
	s_addc_u32 s3, s4, s3
	s_mov_b32 s19, 0
	s_load_b32 s2, s[2:3], 0x740
	s_mov_b32 s21, s19
	s_mov_b32 s23, s19
	s_waitcnt vmcnt(0)
	v_readfirstlane_b32 s5, v1
	s_delay_alu instid0(VALU_DEP_1)
	s_lshl_b32 s3, s5, 3
	s_clause 0x2
	s_load_b64 s[10:11], s[0:1], s3 offset:0x0
	s_load_b64 s[12:13], s[0:1], s3 offset:0x200
	;; [unrolled: 1-line block ×3, first 2 shown]
	s_waitcnt lgkmcnt(0)
	s_ashr_i32 s3, s2, 31
	s_delay_alu instid0(SALU_CYCLE_1) | instskip(NEXT) | instid1(SALU_CYCLE_1)
	s_lshl_b64 s[6:7], s[2:3], 18
	s_add_u32 s5, s10, s6
	s_addc_u32 s14, s11, s7
	s_and_b32 s18, s5, 15
	s_add_u32 s15, s12, s6
	s_addc_u32 s16, s13, s7
	s_and_b32 s20, s8, 3
	s_and_b32 s22, s15, 15
	s_or_b64 s[18:19], s[18:19], s[20:21]
	s_lshl_b64 s[2:3], s[2:3], 16
	s_or_b64 s[18:19], s[22:23], s[18:19]
	s_sub_u32 s8, s8, s2
	s_subb_u32 s9, s9, s3
	s_cmp_eq_u64 s[18:19], 0
	s_mov_b32 s2, -1
	s_cbranch_scc0 .LBB287_5
; %bb.1:
	v_dual_mov_b32 v2, 0 :: v_dual_lshlrev_b32 v1, 2, v0
	s_mov_b32 s17, exec_lo
	s_delay_alu instid0(VALU_DEP_1)
	v_cmpx_gt_i64_e64 s[8:9], v[1:2]
	s_cbranch_execz .LBB287_4
; %bb.2:
	s_load_b32 s2, s[0:1], 0xc5c
	v_lshlrev_b32_e32 v3, 4, v0
	s_mov_b32 s18, 0
	s_waitcnt lgkmcnt(0)
	s_and_b32 s2, s2, 0xffff
	s_delay_alu instid0(SALU_CYCLE_1)
	v_add_lshl_u32 v1, v0, s2, 2
	s_lshl_b32 s19, s2, 2
	s_lshl_b32 s20, s2, 4
.LBB287_3:                              ; =>This Inner Loop Header: Depth=1
	v_add_co_u32 v4, s2, s5, v3
	s_delay_alu instid0(VALU_DEP_1)
	v_add_co_ci_u32_e64 v5, null, s14, 0, s2
	v_cmp_le_i64_e32 vcc_lo, s[8:9], v[1:2]
	v_cmp_lt_u64_e64 s2, 0xffff, v[1:2]
	v_add_co_u32 v8, s3, s15, v3
	global_load_b128 v[4:7], v[4:5], off
	v_add_co_ci_u32_e64 v9, null, s16, 0, s3
	s_or_b32 s21, vcc_lo, s2
	v_add_co_u32 v1, s3, v1, s19
	s_delay_alu instid0(VALU_DEP_1)
	v_add_co_ci_u32_e64 v2, s3, 0, v2, s3
	s_add_u32 s5, s5, s20
	s_addc_u32 s14, s14, 0
	s_add_u32 s15, s15, s20
	s_addc_u32 s16, s16, 0
	s_waitcnt vmcnt(0)
	v_cmp_lt_f32_e32 vcc_lo, 0, v4
	v_cmp_lt_f32_e64 s2, 0, v6
	v_cmp_lt_f32_e64 s3, 0, v7
	v_cmp_gt_f32_e64 s4, 0, v4
	v_cndmask_b32_e64 v10, 0, 1, vcc_lo
	v_cmp_lt_f32_e32 vcc_lo, 0, v5
	s_delay_alu instid0(VALU_DEP_2)
	v_subrev_co_ci_u32_e64 v4, s4, 0, v10, s4
	v_cndmask_b32_e64 v11, 0, 1, vcc_lo
	v_cmp_gt_f32_e32 vcc_lo, 0, v5
	v_cndmask_b32_e64 v5, 0, 1, s2
	v_cmp_gt_f32_e64 s2, 0, v6
	v_cndmask_b32_e64 v6, 0, 1, s3
	v_cmp_gt_f32_e64 s3, 0, v7
	v_subrev_co_ci_u32_e32 v7, vcc_lo, 0, v11, vcc_lo
	s_delay_alu instid0(VALU_DEP_4) | instskip(NEXT) | instid1(VALU_DEP_3)
	v_subrev_co_ci_u32_e64 v10, vcc_lo, 0, v5, s2
	v_subrev_co_ci_u32_e64 v11, vcc_lo, 0, v6, s3
	v_cvt_f32_i32_e32 v4, v4
	s_delay_alu instid0(VALU_DEP_4) | instskip(NEXT) | instid1(VALU_DEP_4)
	v_cvt_f32_i32_e32 v5, v7
	v_cvt_f32_i32_e32 v6, v10
	s_delay_alu instid0(VALU_DEP_4) | instskip(SKIP_1) | instid1(SALU_CYCLE_1)
	v_cvt_f32_i32_e32 v7, v11
	s_and_b32 s2, exec_lo, s21
	s_or_b32 s18, s2, s18
	global_store_b128 v[8:9], v[4:7], off
	s_and_not1_b32 exec_lo, exec_lo, s18
	s_cbranch_execnz .LBB287_3
.LBB287_4:
	s_or_b32 exec_lo, exec_lo, s17
	s_mov_b32 s2, 0
.LBB287_5:
	s_delay_alu instid0(SALU_CYCLE_1)
	s_and_not1_b32 vcc_lo, exec_lo, s2
	s_cbranch_vccnz .LBB287_25
; %bb.6:
	v_cmp_lt_i64_e64 s2, s[8:9], 1
	s_delay_alu instid0(VALU_DEP_1)
	s_and_b32 vcc_lo, exec_lo, s2
	s_cbranch_vccnz .LBB287_25
; %bb.7:
	s_load_b32 s0, s[0:1], 0xc5c
	v_dual_mov_b32 v10, 0 :: v_dual_lshlrev_b32 v9, 2, v0
	v_cmp_gt_u64_e64 s1, 0x10000, s[8:9]
	s_delay_alu instid0(VALU_DEP_2) | instskip(NEXT) | instid1(VALU_DEP_1)
	v_add_co_u32 v1, s2, s10, v9
	v_add_co_ci_u32_e64 v2, null, s11, 0, s2
	v_add_co_u32 v3, s2, s12, v9
	s_delay_alu instid0(VALU_DEP_1)
	v_add_co_ci_u32_e64 v4, null, s13, 0, s2
	s_waitcnt lgkmcnt(0)
	s_and_b32 s0, s0, 0xffff
	s_and_b32 s1, s1, exec_lo
	v_mad_u64_u32 v[7:8], null, s0, 12, v[9:10]
	s_cselect_b32 s5, s9, 0
	s_cselect_b32 s4, s8, 0x10000
	s_mul_i32 s2, s0, 3
	s_lshl_b32 s3, s0, 3
	s_lshl_b32 s1, s0, 1
	v_add_co_u32 v14, s3, s3, v9
	v_add_co_u32 v9, s2, s2, v0
	s_delay_alu instid0(VALU_DEP_1) | instskip(SKIP_3) | instid1(VALU_DEP_3)
	v_add_co_ci_u32_e64 v10, null, 0, 0, s2
	v_add_co_u32 v13, s2, v0, s0
	v_add_co_u32 v5, vcc_lo, s10, v7
	v_add_co_ci_u32_e32 v6, vcc_lo, s11, v8, vcc_lo
	v_lshlrev_b32_e32 v21, 2, v13
	v_add_co_u32 v7, vcc_lo, s12, v7
	v_add_co_ci_u32_e64 v15, null, 0, 0, s3
	v_add_co_ci_u32_e32 v8, vcc_lo, s13, v8, vcc_lo
	v_add_co_u32 v17, s1, s1, v0
	v_add_co_u32 v11, vcc_lo, s10, v14
	v_add_co_ci_u32_e64 v18, null, 0, 0, s1
	v_add_co_u32 v19, s1, s10, v21
	v_add_co_ci_u32_e32 v12, vcc_lo, s11, v15, vcc_lo
	v_add_co_u32 v14, vcc_lo, s12, v14
	v_add_co_ci_u32_e64 v20, null, s11, 0, s1
	v_add_co_u32 v21, s1, s12, v21
	v_add_co_ci_u32_e32 v15, vcc_lo, s13, v15, vcc_lo
	v_add_co_ci_u32_e64 v16, null, 0, 0, s2
	v_add_co_ci_u32_e64 v22, null, s13, 0, s1
	s_lshl_b32 s12, s0, 2
	s_lshl_b32 s13, s0, 4
	s_mov_b64 s[10:11], 0
	s_branch .LBB287_9
.LBB287_8:                              ;   in Loop: Header=BB287_9 Depth=1
	s_or_b32 exec_lo, exec_lo, s0
	v_add_co_u32 v1, vcc_lo, v1, s13
	v_add_co_ci_u32_e32 v2, vcc_lo, 0, v2, vcc_lo
	v_add_co_u32 v3, vcc_lo, v3, s13
	v_add_co_ci_u32_e32 v4, vcc_lo, 0, v4, vcc_lo
	;; [unrolled: 2-line block ×5, first 2 shown]
	s_add_u32 s10, s10, s12
	v_add_co_u32 v14, vcc_lo, v14, s13
	s_addc_u32 s11, s11, 0
	v_add_co_ci_u32_e32 v15, vcc_lo, 0, v15, vcc_lo
	v_cmp_ge_i64_e64 s0, s[10:11], s[8:9]
	v_cmp_lt_u64_e64 s1, 0xffff, s[10:11]
	v_add_co_u32 v19, vcc_lo, v19, s13
	v_add_co_ci_u32_e32 v20, vcc_lo, 0, v20, vcc_lo
	v_add_co_u32 v21, vcc_lo, v21, s13
	v_add_co_ci_u32_e32 v22, vcc_lo, 0, v22, vcc_lo
	s_or_b32 s0, s0, s1
	s_delay_alu instid0(SALU_CYCLE_1)
	s_and_b32 vcc_lo, exec_lo, s0
	s_cbranch_vccnz .LBB287_25
.LBB287_9:                              ; =>This Inner Loop Header: Depth=1
	s_waitcnt vmcnt(0)
	v_add_co_u32 v23, s0, v0, s10
	s_delay_alu instid0(VALU_DEP_1) | instskip(NEXT) | instid1(VALU_DEP_1)
	v_add_co_ci_u32_e64 v24, null, 0, s11, s0
	v_cmp_gt_u64_e32 vcc_lo, s[4:5], v[23:24]
	v_mov_b32_e32 v24, 0
	s_and_saveexec_b32 s1, vcc_lo
	s_cbranch_execz .LBB287_11
; %bb.10:                               ;   in Loop: Header=BB287_9 Depth=1
	v_add_co_u32 v23, s0, v1, s6
	s_delay_alu instid0(VALU_DEP_1)
	v_add_co_ci_u32_e64 v24, s0, s7, v2, s0
	global_load_b32 v24, v[23:24], off
.LBB287_11:                             ;   in Loop: Header=BB287_9 Depth=1
	s_or_b32 exec_lo, exec_lo, s1
	v_add_co_u32 v25, s0, v13, s10
	s_delay_alu instid0(VALU_DEP_1) | instskip(NEXT) | instid1(VALU_DEP_1)
	v_add_co_ci_u32_e64 v26, s0, s11, v16, s0
	v_cmp_gt_u64_e64 s0, s[4:5], v[25:26]
	v_mov_b32_e32 v25, 0
	s_delay_alu instid0(VALU_DEP_2)
	s_and_saveexec_b32 s2, s0
	s_cbranch_execz .LBB287_13
; %bb.12:                               ;   in Loop: Header=BB287_9 Depth=1
	v_add_co_u32 v25, s1, v19, s6
	s_delay_alu instid0(VALU_DEP_1)
	v_add_co_ci_u32_e64 v26, s1, s7, v20, s1
	global_load_b32 v25, v[25:26], off
.LBB287_13:                             ;   in Loop: Header=BB287_9 Depth=1
	s_or_b32 exec_lo, exec_lo, s2
	v_add_co_u32 v26, s1, v17, s10
	s_delay_alu instid0(VALU_DEP_1) | instskip(SKIP_1) | instid1(VALU_DEP_2)
	v_add_co_ci_u32_e64 v27, s1, s11, v18, s1
	v_mov_b32_e32 v23, 0
	v_cmp_gt_u64_e64 s1, s[4:5], v[26:27]
	v_mov_b32_e32 v26, 0
	s_delay_alu instid0(VALU_DEP_2)
	s_and_saveexec_b32 s3, s1
	s_cbranch_execz .LBB287_15
; %bb.14:                               ;   in Loop: Header=BB287_9 Depth=1
	v_add_co_u32 v26, s2, v11, s6
	s_delay_alu instid0(VALU_DEP_1)
	v_add_co_ci_u32_e64 v27, s2, s7, v12, s2
	global_load_b32 v26, v[26:27], off
.LBB287_15:                             ;   in Loop: Header=BB287_9 Depth=1
	s_or_b32 exec_lo, exec_lo, s3
	v_add_co_u32 v27, s2, v9, s10
	s_delay_alu instid0(VALU_DEP_1) | instskip(NEXT) | instid1(VALU_DEP_1)
	v_add_co_ci_u32_e64 v28, s2, s11, v10, s2
	v_cmp_gt_u64_e64 s2, s[4:5], v[27:28]
	s_delay_alu instid0(VALU_DEP_1)
	s_and_saveexec_b32 s14, s2
	s_cbranch_execnz .LBB287_20
; %bb.16:                               ;   in Loop: Header=BB287_9 Depth=1
	s_or_b32 exec_lo, exec_lo, s14
	s_and_saveexec_b32 s3, vcc_lo
	s_cbranch_execnz .LBB287_21
.LBB287_17:                             ;   in Loop: Header=BB287_9 Depth=1
	s_or_b32 exec_lo, exec_lo, s3
	s_and_saveexec_b32 s3, s0
	s_cbranch_execnz .LBB287_22
.LBB287_18:                             ;   in Loop: Header=BB287_9 Depth=1
	s_or_b32 exec_lo, exec_lo, s3
	s_and_saveexec_b32 s0, s1
	s_cbranch_execnz .LBB287_23
.LBB287_19:                             ;   in Loop: Header=BB287_9 Depth=1
	s_or_b32 exec_lo, exec_lo, s0
	s_and_saveexec_b32 s0, s2
	s_cbranch_execz .LBB287_8
	s_branch .LBB287_24
.LBB287_20:                             ;   in Loop: Header=BB287_9 Depth=1
	v_add_co_u32 v27, s3, v5, s6
	s_delay_alu instid0(VALU_DEP_1)
	v_add_co_ci_u32_e64 v28, s3, s7, v6, s3
	global_load_b32 v23, v[27:28], off
	s_or_b32 exec_lo, exec_lo, s14
	s_and_saveexec_b32 s3, vcc_lo
	s_cbranch_execz .LBB287_17
.LBB287_21:                             ;   in Loop: Header=BB287_9 Depth=1
	s_waitcnt vmcnt(0)
	v_cmp_lt_f32_e32 vcc_lo, 0, v24
	v_cndmask_b32_e64 v27, 0, 1, vcc_lo
	v_cmp_gt_f32_e32 vcc_lo, 0, v24
	s_delay_alu instid0(VALU_DEP_2) | instskip(SKIP_2) | instid1(VALU_DEP_3)
	v_subrev_co_ci_u32_e32 v24, vcc_lo, 0, v27, vcc_lo
	v_add_co_u32 v27, vcc_lo, v3, s6
	v_add_co_ci_u32_e32 v28, vcc_lo, s7, v4, vcc_lo
	v_cvt_f32_i32_e32 v24, v24
	global_store_b32 v[27:28], v24, off
	s_or_b32 exec_lo, exec_lo, s3
	s_and_saveexec_b32 s3, s0
	s_cbranch_execz .LBB287_18
.LBB287_22:                             ;   in Loop: Header=BB287_9 Depth=1
	s_waitcnt vmcnt(0)
	v_cmp_lt_f32_e32 vcc_lo, 0, v25
	v_cndmask_b32_e64 v24, 0, 1, vcc_lo
	v_cmp_gt_f32_e32 vcc_lo, 0, v25
	s_delay_alu instid0(VALU_DEP_2) | instskip(NEXT) | instid1(VALU_DEP_1)
	v_subrev_co_ci_u32_e32 v24, vcc_lo, 0, v24, vcc_lo
	v_cvt_f32_i32_e32 v27, v24
	v_add_co_u32 v24, vcc_lo, v21, s6
	v_add_co_ci_u32_e32 v25, vcc_lo, s7, v22, vcc_lo
	global_store_b32 v[24:25], v27, off
	s_or_b32 exec_lo, exec_lo, s3
	s_and_saveexec_b32 s0, s1
	s_cbranch_execz .LBB287_19
.LBB287_23:                             ;   in Loop: Header=BB287_9 Depth=1
	s_waitcnt vmcnt(0)
	v_cmp_lt_f32_e32 vcc_lo, 0, v26
	v_cndmask_b32_e64 v24, 0, 1, vcc_lo
	v_cmp_gt_f32_e32 vcc_lo, 0, v26
	s_delay_alu instid0(VALU_DEP_2) | instskip(NEXT) | instid1(VALU_DEP_1)
	v_subrev_co_ci_u32_e32 v24, vcc_lo, 0, v24, vcc_lo
	v_cvt_f32_i32_e32 v26, v24
	v_add_co_u32 v24, vcc_lo, v14, s6
	v_add_co_ci_u32_e32 v25, vcc_lo, s7, v15, vcc_lo
	global_store_b32 v[24:25], v26, off
	s_or_b32 exec_lo, exec_lo, s0
	s_and_saveexec_b32 s0, s2
	s_cbranch_execz .LBB287_8
.LBB287_24:                             ;   in Loop: Header=BB287_9 Depth=1
	s_waitcnt vmcnt(0)
	v_cmp_lt_f32_e32 vcc_lo, 0, v23
	v_cndmask_b32_e64 v24, 0, 1, vcc_lo
	v_cmp_gt_f32_e32 vcc_lo, 0, v23
	s_delay_alu instid0(VALU_DEP_2) | instskip(NEXT) | instid1(VALU_DEP_1)
	v_subrev_co_ci_u32_e32 v23, vcc_lo, 0, v24, vcc_lo
	v_cvt_f32_i32_e32 v25, v23
	v_add_co_u32 v23, vcc_lo, v7, s6
	v_add_co_ci_u32_e32 v24, vcc_lo, s7, v8, vcc_lo
	global_store_b32 v[23:24], v25, off
	s_branch .LBB287_8
.LBB287_25:
	s_nop 0
	s_sendmsg sendmsg(MSG_DEALLOC_VGPRS)
	s_endpgm
	.section	.rodata,"a",@progbits
	.p2align	6, 0x0
	.amdhsa_kernel _ZN2at6native12_GLOBAL__N_125multi_tensor_apply_kernelINS1_18TensorListMetadataILi2EEENS1_14UnaryOpFunctorIfLi2ELi1ELi1EEEJNS0_4SignIfEEEEEvT_T0_DpT1_
		.amdhsa_group_segment_fixed_size 0
		.amdhsa_private_segment_fixed_size 0
		.amdhsa_kernarg_size 3408
		.amdhsa_user_sgpr_count 15
		.amdhsa_user_sgpr_dispatch_ptr 0
		.amdhsa_user_sgpr_queue_ptr 0
		.amdhsa_user_sgpr_kernarg_segment_ptr 1
		.amdhsa_user_sgpr_dispatch_id 0
		.amdhsa_user_sgpr_private_segment_size 0
		.amdhsa_wavefront_size32 1
		.amdhsa_uses_dynamic_stack 0
		.amdhsa_enable_private_segment 0
		.amdhsa_system_sgpr_workgroup_id_x 1
		.amdhsa_system_sgpr_workgroup_id_y 0
		.amdhsa_system_sgpr_workgroup_id_z 0
		.amdhsa_system_sgpr_workgroup_info 0
		.amdhsa_system_vgpr_workitem_id 0
		.amdhsa_next_free_vgpr 29
		.amdhsa_next_free_sgpr 24
		.amdhsa_reserve_vcc 1
		.amdhsa_float_round_mode_32 0
		.amdhsa_float_round_mode_16_64 0
		.amdhsa_float_denorm_mode_32 3
		.amdhsa_float_denorm_mode_16_64 3
		.amdhsa_dx10_clamp 1
		.amdhsa_ieee_mode 1
		.amdhsa_fp16_overflow 0
		.amdhsa_workgroup_processor_mode 1
		.amdhsa_memory_ordered 1
		.amdhsa_forward_progress 0
		.amdhsa_shared_vgpr_count 0
		.amdhsa_exception_fp_ieee_invalid_op 0
		.amdhsa_exception_fp_denorm_src 0
		.amdhsa_exception_fp_ieee_div_zero 0
		.amdhsa_exception_fp_ieee_overflow 0
		.amdhsa_exception_fp_ieee_underflow 0
		.amdhsa_exception_fp_ieee_inexact 0
		.amdhsa_exception_int_div_zero 0
	.end_amdhsa_kernel
	.section	.text._ZN2at6native12_GLOBAL__N_125multi_tensor_apply_kernelINS1_18TensorListMetadataILi2EEENS1_14UnaryOpFunctorIfLi2ELi1ELi1EEEJNS0_4SignIfEEEEEvT_T0_DpT1_,"axG",@progbits,_ZN2at6native12_GLOBAL__N_125multi_tensor_apply_kernelINS1_18TensorListMetadataILi2EEENS1_14UnaryOpFunctorIfLi2ELi1ELi1EEEJNS0_4SignIfEEEEEvT_T0_DpT1_,comdat
.Lfunc_end287:
	.size	_ZN2at6native12_GLOBAL__N_125multi_tensor_apply_kernelINS1_18TensorListMetadataILi2EEENS1_14UnaryOpFunctorIfLi2ELi1ELi1EEEJNS0_4SignIfEEEEEvT_T0_DpT1_, .Lfunc_end287-_ZN2at6native12_GLOBAL__N_125multi_tensor_apply_kernelINS1_18TensorListMetadataILi2EEENS1_14UnaryOpFunctorIfLi2ELi1ELi1EEEJNS0_4SignIfEEEEEvT_T0_DpT1_
                                        ; -- End function
	.section	.AMDGPU.csdata,"",@progbits
; Kernel info:
; codeLenInByte = 1612
; NumSgprs: 26
; NumVgprs: 29
; ScratchSize: 0
; MemoryBound: 0
; FloatMode: 240
; IeeeMode: 1
; LDSByteSize: 0 bytes/workgroup (compile time only)
; SGPRBlocks: 3
; VGPRBlocks: 3
; NumSGPRsForWavesPerEU: 26
; NumVGPRsForWavesPerEU: 29
; Occupancy: 16
; WaveLimiterHint : 0
; COMPUTE_PGM_RSRC2:SCRATCH_EN: 0
; COMPUTE_PGM_RSRC2:USER_SGPR: 15
; COMPUTE_PGM_RSRC2:TRAP_HANDLER: 0
; COMPUTE_PGM_RSRC2:TGID_X_EN: 1
; COMPUTE_PGM_RSRC2:TGID_Y_EN: 0
; COMPUTE_PGM_RSRC2:TGID_Z_EN: 0
; COMPUTE_PGM_RSRC2:TIDIG_COMP_CNT: 0
	.section	.text._ZN2at6native12_GLOBAL__N_125multi_tensor_apply_kernelINS1_18TensorListMetadataILi2EEENS1_14UnaryOpFunctorIN3c104HalfELi2ELi1ELi1EEEJNS0_4SignIfEEEEEvT_T0_DpT1_,"axG",@progbits,_ZN2at6native12_GLOBAL__N_125multi_tensor_apply_kernelINS1_18TensorListMetadataILi2EEENS1_14UnaryOpFunctorIN3c104HalfELi2ELi1ELi1EEEJNS0_4SignIfEEEEEvT_T0_DpT1_,comdat
	.globl	_ZN2at6native12_GLOBAL__N_125multi_tensor_apply_kernelINS1_18TensorListMetadataILi2EEENS1_14UnaryOpFunctorIN3c104HalfELi2ELi1ELi1EEEJNS0_4SignIfEEEEEvT_T0_DpT1_ ; -- Begin function _ZN2at6native12_GLOBAL__N_125multi_tensor_apply_kernelINS1_18TensorListMetadataILi2EEENS1_14UnaryOpFunctorIN3c104HalfELi2ELi1ELi1EEEJNS0_4SignIfEEEEEvT_T0_DpT1_
	.p2align	8
	.type	_ZN2at6native12_GLOBAL__N_125multi_tensor_apply_kernelINS1_18TensorListMetadataILi2EEENS1_14UnaryOpFunctorIN3c104HalfELi2ELi1ELi1EEEJNS0_4SignIfEEEEEvT_T0_DpT1_,@function
_ZN2at6native12_GLOBAL__N_125multi_tensor_apply_kernelINS1_18TensorListMetadataILi2EEENS1_14UnaryOpFunctorIN3c104HalfELi2ELi1ELi1EEEJNS0_4SignIfEEEEEvT_T0_DpT1_: ; @_ZN2at6native12_GLOBAL__N_125multi_tensor_apply_kernelINS1_18TensorListMetadataILi2EEENS1_14UnaryOpFunctorIN3c104HalfELi2ELi1ELi1EEEJNS0_4SignIfEEEEEvT_T0_DpT1_
; %bb.0:
	v_mov_b32_e32 v1, s15
	s_add_u32 s2, s0, s15
	s_mul_hi_u32 s3, s15, 3
	s_mul_i32 s15, s15, 3
	s_addc_u32 s4, s1, 0
	global_load_u8 v1, v1, s[0:1] offset:1536
	s_add_u32 s2, s2, s15
	s_addc_u32 s3, s4, s3
	s_mov_b32 s9, 0
	s_load_b32 s2, s[2:3], 0x740
	s_mov_b32 s19, s9
	s_mov_b32 s21, s9
	s_waitcnt vmcnt(0)
	v_readfirstlane_b32 s5, v1
	s_delay_alu instid0(VALU_DEP_1)
	s_lshl_b32 s3, s5, 3
	s_clause 0x2
	s_load_b64 s[10:11], s[0:1], s3 offset:0x0
	s_load_b64 s[12:13], s[0:1], s3 offset:0x200
	;; [unrolled: 1-line block ×3, first 2 shown]
	s_waitcnt lgkmcnt(0)
	s_ashr_i32 s3, s2, 31
	s_delay_alu instid0(SALU_CYCLE_1) | instskip(NEXT) | instid1(SALU_CYCLE_1)
	s_lshl_b64 s[6:7], s[2:3], 17
	s_add_u32 s14, s10, s6
	s_addc_u32 s15, s11, s7
	s_and_b32 s8, s14, 7
	s_add_u32 s16, s12, s6
	s_addc_u32 s17, s13, s7
	s_and_b32 s18, s4, 3
	s_and_b32 s20, s16, 7
	s_or_b64 s[8:9], s[8:9], s[18:19]
	s_lshl_b64 s[2:3], s[2:3], 16
	s_or_b64 s[18:19], s[20:21], s[8:9]
	s_sub_u32 s8, s4, s2
	s_subb_u32 s9, s5, s3
	s_cmp_eq_u64 s[18:19], 0
	s_mov_b32 s2, -1
	s_cbranch_scc0 .LBB288_5
; %bb.1:
	v_dual_mov_b32 v2, 0 :: v_dual_lshlrev_b32 v1, 2, v0
	s_mov_b32 s18, exec_lo
	s_delay_alu instid0(VALU_DEP_1)
	v_cmpx_gt_i64_e64 s[8:9], v[1:2]
	s_cbranch_execz .LBB288_4
; %bb.2:
	s_load_b32 s2, s[0:1], 0xc5c
	v_lshlrev_b32_e32 v3, 3, v0
	s_mov_b32 s19, 0
	s_waitcnt lgkmcnt(0)
	s_and_b32 s2, s2, 0xffff
	s_delay_alu instid0(SALU_CYCLE_1)
	v_add_lshl_u32 v1, v0, s2, 2
	s_lshl_b32 s20, s2, 2
	s_lshl_b32 s21, s2, 3
.LBB288_3:                              ; =>This Inner Loop Header: Depth=1
	v_add_co_u32 v4, s2, s14, v3
	s_delay_alu instid0(VALU_DEP_1) | instskip(SKIP_1) | instid1(VALU_DEP_1)
	v_add_co_ci_u32_e64 v5, null, s15, 0, s2
	v_add_co_u32 v6, s2, s16, v3
	v_add_co_ci_u32_e64 v7, null, s17, 0, s2
	global_load_b64 v[4:5], v[4:5], off
	v_cmp_le_i64_e32 vcc_lo, s[8:9], v[1:2]
	v_cmp_lt_u64_e64 s2, 0xffff, v[1:2]
	v_add_co_u32 v1, s3, v1, s20
	s_delay_alu instid0(VALU_DEP_1) | instskip(NEXT) | instid1(VALU_DEP_3)
	v_add_co_ci_u32_e64 v2, s3, 0, v2, s3
	s_or_b32 s2, vcc_lo, s2
	s_add_u32 s14, s14, s21
	s_addc_u32 s15, s15, 0
	s_add_u32 s16, s16, s21
	s_addc_u32 s17, s17, 0
	s_and_b32 s2, exec_lo, s2
	s_delay_alu instid0(SALU_CYCLE_1)
	s_or_b32 s19, s2, s19
	s_waitcnt vmcnt(0)
	v_cmp_lt_f16_e64 s3, 0, v4
	v_cmp_gt_f16_e64 s4, 0, v4
	v_lshrrev_b32_e32 v8, 16, v4
	v_lshrrev_b32_e32 v9, 16, v5
	s_delay_alu instid0(VALU_DEP_4) | instskip(SKIP_1) | instid1(VALU_DEP_3)
	v_cndmask_b32_e64 v10, 0, 1, s3
	v_cmp_lt_f16_e64 s3, 0, v5
	v_cmp_lt_f16_e64 s5, 0, v9
	s_delay_alu instid0(VALU_DEP_3) | instskip(NEXT) | instid1(VALU_DEP_3)
	v_subrev_co_ci_u32_e64 v4, s4, 0, v10, s4
	v_cndmask_b32_e64 v11, 0, 1, s3
	v_cmp_gt_f16_e64 s3, 0, v5
	v_cmp_lt_f16_e64 s4, 0, v8
	s_delay_alu instid0(VALU_DEP_4) | instskip(NEXT) | instid1(VALU_DEP_3)
	v_cvt_f32_i32_e32 v4, v4
	v_subrev_co_ci_u32_e64 v10, s3, 0, v11, s3
	s_delay_alu instid0(VALU_DEP_3)
	v_cndmask_b32_e64 v5, 0, 1, s4
	v_cmp_gt_f16_e64 s4, 0, v8
	v_cndmask_b32_e64 v8, 0, 1, s5
	v_cmp_gt_f16_e64 s3, 0, v9
	v_cvt_f32_i32_e32 v9, v10
	v_cvt_f16_f32_e32 v4, v4
	s_delay_alu instid0(VALU_DEP_3) | instskip(SKIP_1) | instid1(VALU_DEP_4)
	v_subrev_co_ci_u32_e64 v8, s3, 0, v8, s3
	v_subrev_co_ci_u32_e64 v5, s3, 0, v5, s4
	v_cvt_f16_f32_e32 v9, v9
	s_delay_alu instid0(VALU_DEP_3) | instskip(NEXT) | instid1(VALU_DEP_3)
	v_cvt_f32_i32_e32 v8, v8
	v_cvt_f32_i32_e32 v5, v5
	s_delay_alu instid0(VALU_DEP_2) | instskip(NEXT) | instid1(VALU_DEP_2)
	v_cvt_f16_f32_e32 v8, v8
	v_cvt_f16_f32_e32 v10, v5
	s_delay_alu instid0(VALU_DEP_2) | instskip(NEXT) | instid1(VALU_DEP_2)
	v_pack_b32_f16 v5, v9, v8
	v_pack_b32_f16 v4, v4, v10
	global_store_b64 v[6:7], v[4:5], off
	s_and_not1_b32 exec_lo, exec_lo, s19
	s_cbranch_execnz .LBB288_3
.LBB288_4:
	s_or_b32 exec_lo, exec_lo, s18
	s_mov_b32 s2, 0
.LBB288_5:
	s_delay_alu instid0(SALU_CYCLE_1)
	s_and_not1_b32 vcc_lo, exec_lo, s2
	s_cbranch_vccnz .LBB288_25
; %bb.6:
	v_cmp_lt_i64_e64 s2, s[8:9], 1
	s_delay_alu instid0(VALU_DEP_1)
	s_and_b32 vcc_lo, exec_lo, s2
	s_cbranch_vccnz .LBB288_25
; %bb.7:
	s_load_b32 s0, s[0:1], 0xc5c
	v_dual_mov_b32 v10, 0 :: v_dual_lshlrev_b32 v9, 1, v0
	v_cmp_gt_u64_e64 s1, 0x10000, s[8:9]
	s_delay_alu instid0(VALU_DEP_2) | instskip(NEXT) | instid1(VALU_DEP_1)
	v_add_co_u32 v1, s2, s10, v9
	v_add_co_ci_u32_e64 v2, null, s11, 0, s2
	v_add_co_u32 v3, s2, s12, v9
	s_delay_alu instid0(VALU_DEP_1)
	v_add_co_ci_u32_e64 v4, null, s13, 0, s2
	s_waitcnt lgkmcnt(0)
	s_and_b32 s0, s0, 0xffff
	s_and_b32 s1, s1, exec_lo
	v_mad_u64_u32 v[7:8], null, s0, 6, v[9:10]
	s_cselect_b32 s5, s9, 0
	s_cselect_b32 s4, s8, 0x10000
	s_mul_i32 s2, s0, 3
	s_lshl_b32 s14, s0, 2
	s_lshl_b32 s1, s0, 1
	v_add_co_u32 v14, s3, s14, v9
	v_add_co_u32 v9, s2, s2, v0
	s_delay_alu instid0(VALU_DEP_1) | instskip(SKIP_3) | instid1(VALU_DEP_3)
	v_add_co_ci_u32_e64 v10, null, 0, 0, s2
	v_add_co_u32 v13, s2, v0, s0
	v_add_co_u32 v5, vcc_lo, s10, v7
	v_add_co_ci_u32_e32 v6, vcc_lo, s11, v8, vcc_lo
	v_lshlrev_b32_e32 v21, 1, v13
	v_add_co_u32 v7, vcc_lo, s12, v7
	v_add_co_ci_u32_e64 v15, null, 0, 0, s3
	v_add_co_ci_u32_e32 v8, vcc_lo, s13, v8, vcc_lo
	v_add_co_u32 v17, s1, s1, v0
	v_add_co_u32 v11, vcc_lo, s10, v14
	v_add_co_ci_u32_e64 v18, null, 0, 0, s1
	v_add_co_u32 v19, s1, s10, v21
	v_add_co_ci_u32_e32 v12, vcc_lo, s11, v15, vcc_lo
	v_add_co_u32 v14, vcc_lo, s12, v14
	v_add_co_ci_u32_e64 v20, null, s11, 0, s1
	v_add_co_u32 v21, s1, s12, v21
	v_add_co_ci_u32_e32 v15, vcc_lo, s13, v15, vcc_lo
	v_add_co_ci_u32_e64 v16, null, 0, 0, s2
	v_add_co_ci_u32_e64 v22, null, s13, 0, s1
	s_lshl_b32 s12, s0, 3
	s_mov_b64 s[10:11], 0
	s_branch .LBB288_9
.LBB288_8:                              ;   in Loop: Header=BB288_9 Depth=1
	s_or_b32 exec_lo, exec_lo, s0
	v_add_co_u32 v1, vcc_lo, v1, s12
	v_add_co_ci_u32_e32 v2, vcc_lo, 0, v2, vcc_lo
	v_add_co_u32 v3, vcc_lo, v3, s12
	v_add_co_ci_u32_e32 v4, vcc_lo, 0, v4, vcc_lo
	;; [unrolled: 2-line block ×5, first 2 shown]
	s_add_u32 s10, s10, s14
	v_add_co_u32 v14, vcc_lo, v14, s12
	s_addc_u32 s11, s11, 0
	v_add_co_ci_u32_e32 v15, vcc_lo, 0, v15, vcc_lo
	v_cmp_ge_i64_e64 s0, s[10:11], s[8:9]
	v_cmp_lt_u64_e64 s1, 0xffff, s[10:11]
	v_add_co_u32 v19, vcc_lo, v19, s12
	v_add_co_ci_u32_e32 v20, vcc_lo, 0, v20, vcc_lo
	v_add_co_u32 v21, vcc_lo, v21, s12
	v_add_co_ci_u32_e32 v22, vcc_lo, 0, v22, vcc_lo
	s_or_b32 s0, s0, s1
	s_delay_alu instid0(SALU_CYCLE_1)
	s_and_b32 vcc_lo, exec_lo, s0
	s_cbranch_vccnz .LBB288_25
.LBB288_9:                              ; =>This Inner Loop Header: Depth=1
	s_waitcnt vmcnt(0)
	v_add_co_u32 v23, s0, v0, s10
	s_delay_alu instid0(VALU_DEP_1) | instskip(NEXT) | instid1(VALU_DEP_1)
	v_add_co_ci_u32_e64 v24, null, 0, s11, s0
	v_cmp_gt_u64_e32 vcc_lo, s[4:5], v[23:24]
	v_mov_b32_e32 v24, 0
	s_and_saveexec_b32 s1, vcc_lo
	s_cbranch_execz .LBB288_11
; %bb.10:                               ;   in Loop: Header=BB288_9 Depth=1
	v_add_co_u32 v23, s0, v1, s6
	s_delay_alu instid0(VALU_DEP_1)
	v_add_co_ci_u32_e64 v24, s0, s7, v2, s0
	global_load_u16 v24, v[23:24], off
.LBB288_11:                             ;   in Loop: Header=BB288_9 Depth=1
	s_or_b32 exec_lo, exec_lo, s1
	v_add_co_u32 v25, s0, v13, s10
	s_delay_alu instid0(VALU_DEP_1) | instskip(NEXT) | instid1(VALU_DEP_1)
	v_add_co_ci_u32_e64 v26, s0, s11, v16, s0
	v_cmp_gt_u64_e64 s0, s[4:5], v[25:26]
	v_mov_b32_e32 v25, 0
	s_delay_alu instid0(VALU_DEP_2)
	s_and_saveexec_b32 s2, s0
	s_cbranch_execz .LBB288_13
; %bb.12:                               ;   in Loop: Header=BB288_9 Depth=1
	v_add_co_u32 v25, s1, v19, s6
	s_delay_alu instid0(VALU_DEP_1)
	v_add_co_ci_u32_e64 v26, s1, s7, v20, s1
	global_load_u16 v25, v[25:26], off
.LBB288_13:                             ;   in Loop: Header=BB288_9 Depth=1
	s_or_b32 exec_lo, exec_lo, s2
	v_add_co_u32 v26, s1, v17, s10
	s_delay_alu instid0(VALU_DEP_1) | instskip(SKIP_1) | instid1(VALU_DEP_2)
	v_add_co_ci_u32_e64 v27, s1, s11, v18, s1
	v_mov_b32_e32 v23, 0
	v_cmp_gt_u64_e64 s1, s[4:5], v[26:27]
	v_mov_b32_e32 v26, 0
	s_delay_alu instid0(VALU_DEP_2)
	s_and_saveexec_b32 s3, s1
	s_cbranch_execz .LBB288_15
; %bb.14:                               ;   in Loop: Header=BB288_9 Depth=1
	v_add_co_u32 v26, s2, v11, s6
	s_delay_alu instid0(VALU_DEP_1)
	v_add_co_ci_u32_e64 v27, s2, s7, v12, s2
	global_load_u16 v26, v[26:27], off
.LBB288_15:                             ;   in Loop: Header=BB288_9 Depth=1
	s_or_b32 exec_lo, exec_lo, s3
	v_add_co_u32 v27, s2, v9, s10
	s_delay_alu instid0(VALU_DEP_1) | instskip(NEXT) | instid1(VALU_DEP_1)
	v_add_co_ci_u32_e64 v28, s2, s11, v10, s2
	v_cmp_gt_u64_e64 s2, s[4:5], v[27:28]
	s_delay_alu instid0(VALU_DEP_1)
	s_and_saveexec_b32 s13, s2
	s_cbranch_execnz .LBB288_20
; %bb.16:                               ;   in Loop: Header=BB288_9 Depth=1
	s_or_b32 exec_lo, exec_lo, s13
	s_and_saveexec_b32 s3, vcc_lo
	s_cbranch_execnz .LBB288_21
.LBB288_17:                             ;   in Loop: Header=BB288_9 Depth=1
	s_or_b32 exec_lo, exec_lo, s3
	s_and_saveexec_b32 s3, s0
	s_cbranch_execnz .LBB288_22
.LBB288_18:                             ;   in Loop: Header=BB288_9 Depth=1
	s_or_b32 exec_lo, exec_lo, s3
	s_and_saveexec_b32 s0, s1
	s_cbranch_execnz .LBB288_23
.LBB288_19:                             ;   in Loop: Header=BB288_9 Depth=1
	s_or_b32 exec_lo, exec_lo, s0
	s_and_saveexec_b32 s0, s2
	s_cbranch_execz .LBB288_8
	s_branch .LBB288_24
.LBB288_20:                             ;   in Loop: Header=BB288_9 Depth=1
	v_add_co_u32 v27, s3, v5, s6
	s_delay_alu instid0(VALU_DEP_1)
	v_add_co_ci_u32_e64 v28, s3, s7, v6, s3
	global_load_u16 v23, v[27:28], off
	s_or_b32 exec_lo, exec_lo, s13
	s_and_saveexec_b32 s3, vcc_lo
	s_cbranch_execz .LBB288_17
.LBB288_21:                             ;   in Loop: Header=BB288_9 Depth=1
	s_waitcnt vmcnt(0)
	v_cmp_lt_f16_e32 vcc_lo, 0, v24
	v_cndmask_b32_e64 v27, 0, 1, vcc_lo
	v_cmp_gt_f16_e32 vcc_lo, 0, v24
	s_delay_alu instid0(VALU_DEP_2) | instskip(SKIP_2) | instid1(VALU_DEP_3)
	v_subrev_co_ci_u32_e32 v24, vcc_lo, 0, v27, vcc_lo
	v_add_co_u32 v27, vcc_lo, v3, s6
	v_add_co_ci_u32_e32 v28, vcc_lo, s7, v4, vcc_lo
	v_cvt_f32_i32_e32 v24, v24
	s_delay_alu instid0(VALU_DEP_1)
	v_cvt_f16_f32_e32 v24, v24
	global_store_b16 v[27:28], v24, off
	s_or_b32 exec_lo, exec_lo, s3
	s_and_saveexec_b32 s3, s0
	s_cbranch_execz .LBB288_18
.LBB288_22:                             ;   in Loop: Header=BB288_9 Depth=1
	s_waitcnt vmcnt(0)
	v_cmp_lt_f16_e32 vcc_lo, 0, v25
	v_cndmask_b32_e64 v24, 0, 1, vcc_lo
	v_cmp_gt_f16_e32 vcc_lo, 0, v25
	s_delay_alu instid0(VALU_DEP_2) | instskip(NEXT) | instid1(VALU_DEP_1)
	v_subrev_co_ci_u32_e32 v24, vcc_lo, 0, v24, vcc_lo
	v_cvt_f32_i32_e32 v24, v24
	s_delay_alu instid0(VALU_DEP_1)
	v_cvt_f16_f32_e32 v27, v24
	v_add_co_u32 v24, vcc_lo, v21, s6
	v_add_co_ci_u32_e32 v25, vcc_lo, s7, v22, vcc_lo
	global_store_b16 v[24:25], v27, off
	s_or_b32 exec_lo, exec_lo, s3
	s_and_saveexec_b32 s0, s1
	s_cbranch_execz .LBB288_19
.LBB288_23:                             ;   in Loop: Header=BB288_9 Depth=1
	s_waitcnt vmcnt(0)
	v_cmp_lt_f16_e32 vcc_lo, 0, v26
	v_cndmask_b32_e64 v24, 0, 1, vcc_lo
	v_cmp_gt_f16_e32 vcc_lo, 0, v26
	s_delay_alu instid0(VALU_DEP_2) | instskip(NEXT) | instid1(VALU_DEP_1)
	v_subrev_co_ci_u32_e32 v24, vcc_lo, 0, v24, vcc_lo
	v_cvt_f32_i32_e32 v24, v24
	s_delay_alu instid0(VALU_DEP_1)
	v_cvt_f16_f32_e32 v26, v24
	v_add_co_u32 v24, vcc_lo, v14, s6
	v_add_co_ci_u32_e32 v25, vcc_lo, s7, v15, vcc_lo
	global_store_b16 v[24:25], v26, off
	s_or_b32 exec_lo, exec_lo, s0
	s_and_saveexec_b32 s0, s2
	s_cbranch_execz .LBB288_8
.LBB288_24:                             ;   in Loop: Header=BB288_9 Depth=1
	s_waitcnt vmcnt(0)
	v_cmp_lt_f16_e32 vcc_lo, 0, v23
	v_cndmask_b32_e64 v24, 0, 1, vcc_lo
	v_cmp_gt_f16_e32 vcc_lo, 0, v23
	s_delay_alu instid0(VALU_DEP_2) | instskip(NEXT) | instid1(VALU_DEP_1)
	v_subrev_co_ci_u32_e32 v23, vcc_lo, 0, v24, vcc_lo
	v_cvt_f32_i32_e32 v23, v23
	s_delay_alu instid0(VALU_DEP_1)
	v_cvt_f16_f32_e32 v25, v23
	v_add_co_u32 v23, vcc_lo, v7, s6
	v_add_co_ci_u32_e32 v24, vcc_lo, s7, v8, vcc_lo
	global_store_b16 v[23:24], v25, off
	s_branch .LBB288_8
.LBB288_25:
	s_nop 0
	s_sendmsg sendmsg(MSG_DEALLOC_VGPRS)
	s_endpgm
	.section	.rodata,"a",@progbits
	.p2align	6, 0x0
	.amdhsa_kernel _ZN2at6native12_GLOBAL__N_125multi_tensor_apply_kernelINS1_18TensorListMetadataILi2EEENS1_14UnaryOpFunctorIN3c104HalfELi2ELi1ELi1EEEJNS0_4SignIfEEEEEvT_T0_DpT1_
		.amdhsa_group_segment_fixed_size 0
		.amdhsa_private_segment_fixed_size 0
		.amdhsa_kernarg_size 3408
		.amdhsa_user_sgpr_count 15
		.amdhsa_user_sgpr_dispatch_ptr 0
		.amdhsa_user_sgpr_queue_ptr 0
		.amdhsa_user_sgpr_kernarg_segment_ptr 1
		.amdhsa_user_sgpr_dispatch_id 0
		.amdhsa_user_sgpr_private_segment_size 0
		.amdhsa_wavefront_size32 1
		.amdhsa_uses_dynamic_stack 0
		.amdhsa_enable_private_segment 0
		.amdhsa_system_sgpr_workgroup_id_x 1
		.amdhsa_system_sgpr_workgroup_id_y 0
		.amdhsa_system_sgpr_workgroup_id_z 0
		.amdhsa_system_sgpr_workgroup_info 0
		.amdhsa_system_vgpr_workitem_id 0
		.amdhsa_next_free_vgpr 29
		.amdhsa_next_free_sgpr 22
		.amdhsa_reserve_vcc 1
		.amdhsa_float_round_mode_32 0
		.amdhsa_float_round_mode_16_64 0
		.amdhsa_float_denorm_mode_32 3
		.amdhsa_float_denorm_mode_16_64 3
		.amdhsa_dx10_clamp 1
		.amdhsa_ieee_mode 1
		.amdhsa_fp16_overflow 0
		.amdhsa_workgroup_processor_mode 1
		.amdhsa_memory_ordered 1
		.amdhsa_forward_progress 0
		.amdhsa_shared_vgpr_count 0
		.amdhsa_exception_fp_ieee_invalid_op 0
		.amdhsa_exception_fp_denorm_src 0
		.amdhsa_exception_fp_ieee_div_zero 0
		.amdhsa_exception_fp_ieee_overflow 0
		.amdhsa_exception_fp_ieee_underflow 0
		.amdhsa_exception_fp_ieee_inexact 0
		.amdhsa_exception_int_div_zero 0
	.end_amdhsa_kernel
	.section	.text._ZN2at6native12_GLOBAL__N_125multi_tensor_apply_kernelINS1_18TensorListMetadataILi2EEENS1_14UnaryOpFunctorIN3c104HalfELi2ELi1ELi1EEEJNS0_4SignIfEEEEEvT_T0_DpT1_,"axG",@progbits,_ZN2at6native12_GLOBAL__N_125multi_tensor_apply_kernelINS1_18TensorListMetadataILi2EEENS1_14UnaryOpFunctorIN3c104HalfELi2ELi1ELi1EEEJNS0_4SignIfEEEEEvT_T0_DpT1_,comdat
.Lfunc_end288:
	.size	_ZN2at6native12_GLOBAL__N_125multi_tensor_apply_kernelINS1_18TensorListMetadataILi2EEENS1_14UnaryOpFunctorIN3c104HalfELi2ELi1ELi1EEEJNS0_4SignIfEEEEEvT_T0_DpT1_, .Lfunc_end288-_ZN2at6native12_GLOBAL__N_125multi_tensor_apply_kernelINS1_18TensorListMetadataILi2EEENS1_14UnaryOpFunctorIN3c104HalfELi2ELi1ELi1EEEJNS0_4SignIfEEEEEvT_T0_DpT1_
                                        ; -- End function
	.section	.AMDGPU.csdata,"",@progbits
; Kernel info:
; codeLenInByte = 1716
; NumSgprs: 24
; NumVgprs: 29
; ScratchSize: 0
; MemoryBound: 0
; FloatMode: 240
; IeeeMode: 1
; LDSByteSize: 0 bytes/workgroup (compile time only)
; SGPRBlocks: 2
; VGPRBlocks: 3
; NumSGPRsForWavesPerEU: 24
; NumVGPRsForWavesPerEU: 29
; Occupancy: 16
; WaveLimiterHint : 0
; COMPUTE_PGM_RSRC2:SCRATCH_EN: 0
; COMPUTE_PGM_RSRC2:USER_SGPR: 15
; COMPUTE_PGM_RSRC2:TRAP_HANDLER: 0
; COMPUTE_PGM_RSRC2:TGID_X_EN: 1
; COMPUTE_PGM_RSRC2:TGID_Y_EN: 0
; COMPUTE_PGM_RSRC2:TGID_Z_EN: 0
; COMPUTE_PGM_RSRC2:TIDIG_COMP_CNT: 0
	.section	.text._ZN2at6native12_GLOBAL__N_125multi_tensor_apply_kernelINS1_18TensorListMetadataILi2EEENS1_14UnaryOpFunctorIN3c108BFloat16ELi2ELi1ELi1EEEJNS0_4SignIfEEEEEvT_T0_DpT1_,"axG",@progbits,_ZN2at6native12_GLOBAL__N_125multi_tensor_apply_kernelINS1_18TensorListMetadataILi2EEENS1_14UnaryOpFunctorIN3c108BFloat16ELi2ELi1ELi1EEEJNS0_4SignIfEEEEEvT_T0_DpT1_,comdat
	.globl	_ZN2at6native12_GLOBAL__N_125multi_tensor_apply_kernelINS1_18TensorListMetadataILi2EEENS1_14UnaryOpFunctorIN3c108BFloat16ELi2ELi1ELi1EEEJNS0_4SignIfEEEEEvT_T0_DpT1_ ; -- Begin function _ZN2at6native12_GLOBAL__N_125multi_tensor_apply_kernelINS1_18TensorListMetadataILi2EEENS1_14UnaryOpFunctorIN3c108BFloat16ELi2ELi1ELi1EEEJNS0_4SignIfEEEEEvT_T0_DpT1_
	.p2align	8
	.type	_ZN2at6native12_GLOBAL__N_125multi_tensor_apply_kernelINS1_18TensorListMetadataILi2EEENS1_14UnaryOpFunctorIN3c108BFloat16ELi2ELi1ELi1EEEJNS0_4SignIfEEEEEvT_T0_DpT1_,@function
_ZN2at6native12_GLOBAL__N_125multi_tensor_apply_kernelINS1_18TensorListMetadataILi2EEENS1_14UnaryOpFunctorIN3c108BFloat16ELi2ELi1ELi1EEEJNS0_4SignIfEEEEEvT_T0_DpT1_: ; @_ZN2at6native12_GLOBAL__N_125multi_tensor_apply_kernelINS1_18TensorListMetadataILi2EEENS1_14UnaryOpFunctorIN3c108BFloat16ELi2ELi1ELi1EEEJNS0_4SignIfEEEEEvT_T0_DpT1_
; %bb.0:
	v_mov_b32_e32 v1, s15
	s_add_u32 s2, s0, s15
	s_mul_hi_u32 s3, s15, 3
	s_mul_i32 s15, s15, 3
	s_addc_u32 s4, s1, 0
	global_load_u8 v1, v1, s[0:1] offset:1536
	s_add_u32 s2, s2, s15
	s_addc_u32 s3, s4, s3
	s_mov_b32 s9, 0
	s_load_b32 s2, s[2:3], 0x740
	s_mov_b32 s17, s9
	s_mov_b32 s15, s9
	s_waitcnt vmcnt(0)
	v_readfirstlane_b32 s5, v1
	s_delay_alu instid0(VALU_DEP_1)
	s_lshl_b32 s3, s5, 3
	s_clause 0x2
	s_load_b64 s[10:11], s[0:1], s3 offset:0x0
	s_load_b64 s[12:13], s[0:1], s3 offset:0x200
	s_load_b64 s[4:5], s[0:1], s3 offset:0x400
	s_waitcnt lgkmcnt(0)
	s_ashr_i32 s3, s2, 31
	s_delay_alu instid0(SALU_CYCLE_1) | instskip(SKIP_4) | instid1(SALU_CYCLE_1)
	s_lshl_b64 s[6:7], s[2:3], 17
	s_lshl_b64 s[2:3], s[2:3], 16
	s_and_b32 s8, s10, 7
	s_and_b32 s14, s12, 7
	;; [unrolled: 1-line block ×3, first 2 shown]
	s_or_b64 s[8:9], s[8:9], s[16:17]
	s_delay_alu instid0(SALU_CYCLE_1)
	s_or_b64 s[14:15], s[14:15], s[8:9]
	s_sub_u32 s8, s4, s2
	s_subb_u32 s9, s5, s3
	s_cmp_eq_u64 s[14:15], 0
	s_mov_b32 s2, -1
	s_cbranch_scc0 .LBB289_5
; %bb.1:
	v_dual_mov_b32 v2, 0 :: v_dual_lshlrev_b32 v1, 2, v0
	s_mov_b32 s14, exec_lo
	s_delay_alu instid0(VALU_DEP_1)
	v_cmpx_gt_i64_e64 s[8:9], v[1:2]
	s_cbranch_execz .LBB289_4
; %bb.2:
	s_load_b32 s2, s[0:1], 0xc5c
	v_lshlrev_b32_e32 v1, 3, v0
	s_mov_b32 s15, 0
	s_delay_alu instid0(VALU_DEP_1) | instskip(NEXT) | instid1(VALU_DEP_1)
	v_add_co_u32 v3, s3, s6, v1
	v_add_co_ci_u32_e64 v4, null, s7, 0, s3
	s_waitcnt lgkmcnt(0)
	s_and_b32 s2, s2, 0xffff
	s_delay_alu instid0(SALU_CYCLE_1)
	v_add_lshl_u32 v1, v0, s2, 2
	s_lshl_b32 s16, s2, 3
	s_lshl_b32 s17, s2, 2
.LBB289_3:                              ; =>This Inner Loop Header: Depth=1
	v_add_co_u32 v5, vcc_lo, s10, v3
	v_add_co_ci_u32_e32 v6, vcc_lo, s11, v4, vcc_lo
	v_add_co_u32 v7, vcc_lo, s12, v3
	v_add_co_u32 v3, s3, v3, s16
	global_load_b64 v[5:6], v[5:6], off
	v_add_co_ci_u32_e32 v8, vcc_lo, s13, v4, vcc_lo
	v_add_co_ci_u32_e64 v4, s3, 0, v4, s3
	v_cmp_le_i64_e32 vcc_lo, s[8:9], v[1:2]
	v_cmp_lt_u64_e64 s2, 0xffff, v[1:2]
	s_delay_alu instid0(VALU_DEP_1) | instskip(NEXT) | instid1(SALU_CYCLE_1)
	s_or_b32 s2, vcc_lo, s2
	s_and_b32 s2, exec_lo, s2
	s_delay_alu instid0(SALU_CYCLE_1)
	s_or_b32 s15, s2, s15
	s_waitcnt vmcnt(0)
	v_lshlrev_b32_e32 v9, 16, v5
	v_and_b32_e32 v10, 0xffff0000, v5
	v_alignbit_b32 v5, v6, v5, 16
	v_and_b32_e32 v6, 0xffff0000, v6
	s_delay_alu instid0(VALU_DEP_4) | instskip(SKIP_1) | instid1(VALU_DEP_4)
	v_cmp_lt_f32_e64 s3, 0, v9
	v_cmp_gt_f32_e64 s5, 0, v9
	v_and_b32_e32 v5, 0xffff0000, v5
	s_delay_alu instid0(VALU_DEP_4) | instskip(NEXT) | instid1(VALU_DEP_4)
	v_cmp_lt_f32_e64 s4, 0, v6
	v_cndmask_b32_e64 v11, 0, 1, s3
	v_cmp_lt_f32_e64 s3, 0, v10
	s_delay_alu instid0(VALU_DEP_1)
	v_cndmask_b32_e64 v12, 0, 1, s3
	v_cmp_gt_f32_e64 s3, 0, v10
	v_cndmask_b32_e64 v10, 0, 1, s4
	v_cmp_gt_f32_e64 s4, 0, v6
	v_subrev_co_ci_u32_e64 v6, s5, 0, v11, s5
	v_cmp_lt_f32_e64 s5, 0, v5
	s_delay_alu instid0(VALU_DEP_3) | instskip(SKIP_1) | instid1(VALU_DEP_3)
	v_subrev_co_ci_u32_e64 v10, s4, 0, v10, s4
	v_cmp_gt_f32_e64 s4, 0, v5
	v_cndmask_b32_e64 v9, 0, 1, s5
	v_cvt_f32_i32_e32 v6, v6
	s_delay_alu instid0(VALU_DEP_4) | instskip(NEXT) | instid1(VALU_DEP_3)
	v_cvt_f32_i32_e32 v10, v10
	v_subrev_co_ci_u32_e64 v5, s4, 0, v9, s4
	v_subrev_co_ci_u32_e64 v9, s3, 0, v12, s3
	s_delay_alu instid0(VALU_DEP_4) | instskip(NEXT) | instid1(VALU_DEP_3)
	v_bfe_u32 v11, v6, 16, 1
	v_cvt_f32_i32_e32 v5, v5
	v_bfe_u32 v12, v10, 16, 1
	s_delay_alu instid0(VALU_DEP_4) | instskip(SKIP_1) | instid1(VALU_DEP_4)
	v_cvt_f32_i32_e32 v9, v9
	v_add_co_u32 v1, s3, v1, s17
	v_bfe_u32 v13, v5, 16, 1
	v_add3_u32 v6, v6, v11, 0x7fff
	s_delay_alu instid0(VALU_DEP_4) | instskip(SKIP_3) | instid1(VALU_DEP_4)
	v_bfe_u32 v14, v9, 16, 1
	v_add3_u32 v10, v10, v12, 0x7fff
	v_add_co_ci_u32_e64 v2, s3, 0, v2, s3
	v_add3_u32 v5, v5, v13, 0x7fff
	v_add3_u32 v9, v9, v14, 0x7fff
	v_lshrrev_b32_e32 v6, 16, v6
	v_and_b32_e32 v10, 0xffff0000, v10
	s_delay_alu instid0(VALU_DEP_4) | instskip(NEXT) | instid1(VALU_DEP_3)
	v_lshrrev_b32_e32 v11, 16, v5
	v_and_or_b32 v5, 0xffff0000, v9, v6
	s_delay_alu instid0(VALU_DEP_2)
	v_or_b32_e32 v6, v10, v11
	global_store_b64 v[7:8], v[5:6], off
	s_and_not1_b32 exec_lo, exec_lo, s15
	s_cbranch_execnz .LBB289_3
.LBB289_4:
	s_or_b32 exec_lo, exec_lo, s14
	s_mov_b32 s2, 0
.LBB289_5:
	s_delay_alu instid0(SALU_CYCLE_1)
	s_and_not1_b32 vcc_lo, exec_lo, s2
	s_cbranch_vccnz .LBB289_25
; %bb.6:
	v_cmp_lt_i64_e64 s2, s[8:9], 1
	s_delay_alu instid0(VALU_DEP_1)
	s_and_b32 vcc_lo, exec_lo, s2
	s_cbranch_vccnz .LBB289_25
; %bb.7:
	s_load_b32 s0, s[0:1], 0xc5c
	v_dual_mov_b32 v10, 0 :: v_dual_lshlrev_b32 v9, 1, v0
	v_cmp_gt_u64_e64 s1, 0x10000, s[8:9]
	s_delay_alu instid0(VALU_DEP_2) | instskip(NEXT) | instid1(VALU_DEP_1)
	v_add_co_u32 v1, s2, s10, v9
	v_add_co_ci_u32_e64 v2, null, s11, 0, s2
	v_add_co_u32 v3, s2, s12, v9
	s_delay_alu instid0(VALU_DEP_1)
	v_add_co_ci_u32_e64 v4, null, s13, 0, s2
	s_waitcnt lgkmcnt(0)
	s_and_b32 s0, s0, 0xffff
	s_and_b32 s1, s1, exec_lo
	v_mad_u64_u32 v[7:8], null, s0, 6, v[9:10]
	s_cselect_b32 s5, s9, 0
	s_cselect_b32 s4, s8, 0x10000
	s_mul_i32 s2, s0, 3
	s_lshl_b32 s14, s0, 2
	s_lshl_b32 s1, s0, 1
	v_add_co_u32 v14, s3, s14, v9
	v_add_co_u32 v9, s2, s2, v0
	s_delay_alu instid0(VALU_DEP_1) | instskip(SKIP_3) | instid1(VALU_DEP_3)
	v_add_co_ci_u32_e64 v10, null, 0, 0, s2
	v_add_co_u32 v13, s2, v0, s0
	v_add_co_u32 v5, vcc_lo, s10, v7
	v_add_co_ci_u32_e32 v6, vcc_lo, s11, v8, vcc_lo
	v_lshlrev_b32_e32 v21, 1, v13
	v_add_co_u32 v7, vcc_lo, s12, v7
	v_add_co_ci_u32_e64 v15, null, 0, 0, s3
	v_add_co_ci_u32_e32 v8, vcc_lo, s13, v8, vcc_lo
	v_add_co_u32 v17, s1, s1, v0
	v_add_co_u32 v11, vcc_lo, s10, v14
	v_add_co_ci_u32_e64 v18, null, 0, 0, s1
	v_add_co_u32 v19, s1, s10, v21
	v_add_co_ci_u32_e32 v12, vcc_lo, s11, v15, vcc_lo
	v_add_co_u32 v14, vcc_lo, s12, v14
	v_add_co_ci_u32_e64 v20, null, s11, 0, s1
	v_add_co_u32 v21, s1, s12, v21
	v_add_co_ci_u32_e32 v15, vcc_lo, s13, v15, vcc_lo
	v_add_co_ci_u32_e64 v16, null, 0, 0, s2
	v_add_co_ci_u32_e64 v22, null, s13, 0, s1
	s_lshl_b32 s12, s0, 3
	s_mov_b64 s[10:11], 0
	s_branch .LBB289_9
.LBB289_8:                              ;   in Loop: Header=BB289_9 Depth=1
	s_or_b32 exec_lo, exec_lo, s0
	v_add_co_u32 v1, vcc_lo, v1, s12
	v_add_co_ci_u32_e32 v2, vcc_lo, 0, v2, vcc_lo
	v_add_co_u32 v3, vcc_lo, v3, s12
	v_add_co_ci_u32_e32 v4, vcc_lo, 0, v4, vcc_lo
	;; [unrolled: 2-line block ×5, first 2 shown]
	s_add_u32 s10, s10, s14
	v_add_co_u32 v14, vcc_lo, v14, s12
	s_addc_u32 s11, s11, 0
	v_add_co_ci_u32_e32 v15, vcc_lo, 0, v15, vcc_lo
	v_cmp_ge_i64_e64 s0, s[10:11], s[8:9]
	v_cmp_lt_u64_e64 s1, 0xffff, s[10:11]
	v_add_co_u32 v19, vcc_lo, v19, s12
	v_add_co_ci_u32_e32 v20, vcc_lo, 0, v20, vcc_lo
	v_add_co_u32 v21, vcc_lo, v21, s12
	v_add_co_ci_u32_e32 v22, vcc_lo, 0, v22, vcc_lo
	s_or_b32 s0, s0, s1
	s_delay_alu instid0(SALU_CYCLE_1)
	s_and_b32 vcc_lo, exec_lo, s0
	s_cbranch_vccnz .LBB289_25
.LBB289_9:                              ; =>This Inner Loop Header: Depth=1
	s_waitcnt vmcnt(0)
	v_add_co_u32 v23, s0, v0, s10
	s_delay_alu instid0(VALU_DEP_1) | instskip(SKIP_1) | instid1(VALU_DEP_2)
	v_add_co_ci_u32_e64 v24, null, 0, s11, s0
	v_mov_b32_e32 v25, 0
	v_cmp_gt_u64_e64 s1, s[4:5], v[23:24]
	s_delay_alu instid0(VALU_DEP_1)
	s_and_saveexec_b32 s0, s1
	s_cbranch_execz .LBB289_11
; %bb.10:                               ;   in Loop: Header=BB289_9 Depth=1
	v_add_co_u32 v23, vcc_lo, v1, s6
	v_add_co_ci_u32_e32 v24, vcc_lo, s7, v2, vcc_lo
	global_load_u16 v25, v[23:24], off
.LBB289_11:                             ;   in Loop: Header=BB289_9 Depth=1
	s_or_b32 exec_lo, exec_lo, s0
	v_add_co_u32 v23, vcc_lo, v13, s10
	v_add_co_ci_u32_e32 v24, vcc_lo, s11, v16, vcc_lo
	s_delay_alu instid0(VALU_DEP_1)
	v_cmp_gt_u64_e32 vcc_lo, s[4:5], v[23:24]
	v_mov_b32_e32 v24, 0
	s_and_saveexec_b32 s2, vcc_lo
	s_cbranch_execz .LBB289_13
; %bb.12:                               ;   in Loop: Header=BB289_9 Depth=1
	v_add_co_u32 v23, s0, v19, s6
	s_delay_alu instid0(VALU_DEP_1)
	v_add_co_ci_u32_e64 v24, s0, s7, v20, s0
	global_load_u16 v24, v[23:24], off
.LBB289_13:                             ;   in Loop: Header=BB289_9 Depth=1
	s_or_b32 exec_lo, exec_lo, s2
	v_add_co_u32 v26, s0, v17, s10
	s_delay_alu instid0(VALU_DEP_1) | instskip(SKIP_1) | instid1(VALU_DEP_2)
	v_add_co_ci_u32_e64 v27, s0, s11, v18, s0
	v_mov_b32_e32 v23, 0
	v_cmp_gt_u64_e64 s0, s[4:5], v[26:27]
	v_mov_b32_e32 v26, 0
	s_delay_alu instid0(VALU_DEP_2)
	s_and_saveexec_b32 s3, s0
	s_cbranch_execz .LBB289_15
; %bb.14:                               ;   in Loop: Header=BB289_9 Depth=1
	v_add_co_u32 v26, s2, v11, s6
	s_delay_alu instid0(VALU_DEP_1)
	v_add_co_ci_u32_e64 v27, s2, s7, v12, s2
	global_load_u16 v26, v[26:27], off
.LBB289_15:                             ;   in Loop: Header=BB289_9 Depth=1
	s_or_b32 exec_lo, exec_lo, s3
	v_add_co_u32 v27, s2, v9, s10
	s_delay_alu instid0(VALU_DEP_1) | instskip(NEXT) | instid1(VALU_DEP_1)
	v_add_co_ci_u32_e64 v28, s2, s11, v10, s2
	v_cmp_gt_u64_e64 s2, s[4:5], v[27:28]
	s_delay_alu instid0(VALU_DEP_1)
	s_and_saveexec_b32 s13, s2
	s_cbranch_execnz .LBB289_20
; %bb.16:                               ;   in Loop: Header=BB289_9 Depth=1
	s_or_b32 exec_lo, exec_lo, s13
	s_and_saveexec_b32 s3, s1
	s_cbranch_execnz .LBB289_21
.LBB289_17:                             ;   in Loop: Header=BB289_9 Depth=1
	s_or_b32 exec_lo, exec_lo, s3
	s_and_saveexec_b32 s1, vcc_lo
	s_cbranch_execnz .LBB289_22
.LBB289_18:                             ;   in Loop: Header=BB289_9 Depth=1
	s_or_b32 exec_lo, exec_lo, s1
	s_and_saveexec_b32 s1, s0
	s_cbranch_execnz .LBB289_23
.LBB289_19:                             ;   in Loop: Header=BB289_9 Depth=1
	s_or_b32 exec_lo, exec_lo, s1
	s_and_saveexec_b32 s0, s2
	s_cbranch_execz .LBB289_8
	s_branch .LBB289_24
.LBB289_20:                             ;   in Loop: Header=BB289_9 Depth=1
	v_add_co_u32 v27, s3, v5, s6
	s_delay_alu instid0(VALU_DEP_1)
	v_add_co_ci_u32_e64 v28, s3, s7, v6, s3
	global_load_u16 v23, v[27:28], off
	s_or_b32 exec_lo, exec_lo, s13
	s_and_saveexec_b32 s3, s1
	s_cbranch_execz .LBB289_17
.LBB289_21:                             ;   in Loop: Header=BB289_9 Depth=1
	s_waitcnt vmcnt(0)
	v_lshlrev_b32_e32 v25, 16, v25
	s_delay_alu instid0(VALU_DEP_1) | instskip(NEXT) | instid1(VALU_DEP_1)
	v_cmp_lt_f32_e64 s1, 0, v25
	v_cndmask_b32_e64 v27, 0, 1, s1
	v_cmp_gt_f32_e64 s1, 0, v25
	s_delay_alu instid0(VALU_DEP_1) | instskip(NEXT) | instid1(VALU_DEP_1)
	v_subrev_co_ci_u32_e64 v25, s1, 0, v27, s1
	v_cvt_f32_i32_e32 v25, v25
	s_delay_alu instid0(VALU_DEP_1) | instskip(NEXT) | instid1(VALU_DEP_1)
	v_bfe_u32 v27, v25, 16, 1
	v_add3_u32 v25, v25, v27, 0x7fff
	v_add_co_u32 v27, s1, v3, s6
	s_delay_alu instid0(VALU_DEP_1)
	v_add_co_ci_u32_e64 v28, s1, s7, v4, s1
	global_store_d16_hi_b16 v[27:28], v25, off
	s_or_b32 exec_lo, exec_lo, s3
	s_and_saveexec_b32 s1, vcc_lo
	s_cbranch_execz .LBB289_18
.LBB289_22:                             ;   in Loop: Header=BB289_9 Depth=1
	s_waitcnt vmcnt(0)
	v_lshlrev_b32_e32 v24, 16, v24
	s_delay_alu instid0(VALU_DEP_1) | instskip(SKIP_2) | instid1(VALU_DEP_2)
	v_cmp_lt_f32_e32 vcc_lo, 0, v24
	v_cndmask_b32_e64 v25, 0, 1, vcc_lo
	v_cmp_gt_f32_e32 vcc_lo, 0, v24
	v_subrev_co_ci_u32_e32 v24, vcc_lo, 0, v25, vcc_lo
	s_delay_alu instid0(VALU_DEP_1) | instskip(NEXT) | instid1(VALU_DEP_1)
	v_cvt_f32_i32_e32 v24, v24
	v_bfe_u32 v25, v24, 16, 1
	s_delay_alu instid0(VALU_DEP_1)
	v_add3_u32 v27, v24, v25, 0x7fff
	v_add_co_u32 v24, vcc_lo, v21, s6
	v_add_co_ci_u32_e32 v25, vcc_lo, s7, v22, vcc_lo
	global_store_d16_hi_b16 v[24:25], v27, off
	s_or_b32 exec_lo, exec_lo, s1
	s_and_saveexec_b32 s1, s0
	s_cbranch_execz .LBB289_19
.LBB289_23:                             ;   in Loop: Header=BB289_9 Depth=1
	s_waitcnt vmcnt(0)
	v_lshlrev_b32_e32 v24, 16, v26
	s_delay_alu instid0(VALU_DEP_1) | instskip(SKIP_2) | instid1(VALU_DEP_2)
	v_cmp_lt_f32_e32 vcc_lo, 0, v24
	v_cndmask_b32_e64 v25, 0, 1, vcc_lo
	v_cmp_gt_f32_e32 vcc_lo, 0, v24
	v_subrev_co_ci_u32_e32 v24, vcc_lo, 0, v25, vcc_lo
	s_delay_alu instid0(VALU_DEP_1) | instskip(NEXT) | instid1(VALU_DEP_1)
	v_cvt_f32_i32_e32 v24, v24
	v_bfe_u32 v25, v24, 16, 1
	s_delay_alu instid0(VALU_DEP_1)
	v_add3_u32 v26, v24, v25, 0x7fff
	v_add_co_u32 v24, vcc_lo, v14, s6
	v_add_co_ci_u32_e32 v25, vcc_lo, s7, v15, vcc_lo
	global_store_d16_hi_b16 v[24:25], v26, off
	s_or_b32 exec_lo, exec_lo, s1
	s_and_saveexec_b32 s0, s2
	s_cbranch_execz .LBB289_8
.LBB289_24:                             ;   in Loop: Header=BB289_9 Depth=1
	s_waitcnt vmcnt(0)
	v_lshlrev_b32_e32 v23, 16, v23
	s_delay_alu instid0(VALU_DEP_1) | instskip(SKIP_2) | instid1(VALU_DEP_2)
	v_cmp_lt_f32_e32 vcc_lo, 0, v23
	v_cndmask_b32_e64 v24, 0, 1, vcc_lo
	v_cmp_gt_f32_e32 vcc_lo, 0, v23
	v_subrev_co_ci_u32_e32 v23, vcc_lo, 0, v24, vcc_lo
	s_delay_alu instid0(VALU_DEP_1) | instskip(NEXT) | instid1(VALU_DEP_1)
	v_cvt_f32_i32_e32 v23, v23
	v_bfe_u32 v24, v23, 16, 1
	s_delay_alu instid0(VALU_DEP_1)
	v_add3_u32 v25, v23, v24, 0x7fff
	v_add_co_u32 v23, vcc_lo, v7, s6
	v_add_co_ci_u32_e32 v24, vcc_lo, s7, v8, vcc_lo
	global_store_d16_hi_b16 v[23:24], v25, off
	s_branch .LBB289_8
.LBB289_25:
	s_nop 0
	s_sendmsg sendmsg(MSG_DEALLOC_VGPRS)
	s_endpgm
	.section	.rodata,"a",@progbits
	.p2align	6, 0x0
	.amdhsa_kernel _ZN2at6native12_GLOBAL__N_125multi_tensor_apply_kernelINS1_18TensorListMetadataILi2EEENS1_14UnaryOpFunctorIN3c108BFloat16ELi2ELi1ELi1EEEJNS0_4SignIfEEEEEvT_T0_DpT1_
		.amdhsa_group_segment_fixed_size 0
		.amdhsa_private_segment_fixed_size 0
		.amdhsa_kernarg_size 3408
		.amdhsa_user_sgpr_count 15
		.amdhsa_user_sgpr_dispatch_ptr 0
		.amdhsa_user_sgpr_queue_ptr 0
		.amdhsa_user_sgpr_kernarg_segment_ptr 1
		.amdhsa_user_sgpr_dispatch_id 0
		.amdhsa_user_sgpr_private_segment_size 0
		.amdhsa_wavefront_size32 1
		.amdhsa_uses_dynamic_stack 0
		.amdhsa_enable_private_segment 0
		.amdhsa_system_sgpr_workgroup_id_x 1
		.amdhsa_system_sgpr_workgroup_id_y 0
		.amdhsa_system_sgpr_workgroup_id_z 0
		.amdhsa_system_sgpr_workgroup_info 0
		.amdhsa_system_vgpr_workitem_id 0
		.amdhsa_next_free_vgpr 29
		.amdhsa_next_free_sgpr 18
		.amdhsa_reserve_vcc 1
		.amdhsa_float_round_mode_32 0
		.amdhsa_float_round_mode_16_64 0
		.amdhsa_float_denorm_mode_32 3
		.amdhsa_float_denorm_mode_16_64 3
		.amdhsa_dx10_clamp 1
		.amdhsa_ieee_mode 1
		.amdhsa_fp16_overflow 0
		.amdhsa_workgroup_processor_mode 1
		.amdhsa_memory_ordered 1
		.amdhsa_forward_progress 0
		.amdhsa_shared_vgpr_count 0
		.amdhsa_exception_fp_ieee_invalid_op 0
		.amdhsa_exception_fp_denorm_src 0
		.amdhsa_exception_fp_ieee_div_zero 0
		.amdhsa_exception_fp_ieee_overflow 0
		.amdhsa_exception_fp_ieee_underflow 0
		.amdhsa_exception_fp_ieee_inexact 0
		.amdhsa_exception_int_div_zero 0
	.end_amdhsa_kernel
	.section	.text._ZN2at6native12_GLOBAL__N_125multi_tensor_apply_kernelINS1_18TensorListMetadataILi2EEENS1_14UnaryOpFunctorIN3c108BFloat16ELi2ELi1ELi1EEEJNS0_4SignIfEEEEEvT_T0_DpT1_,"axG",@progbits,_ZN2at6native12_GLOBAL__N_125multi_tensor_apply_kernelINS1_18TensorListMetadataILi2EEENS1_14UnaryOpFunctorIN3c108BFloat16ELi2ELi1ELi1EEEJNS0_4SignIfEEEEEvT_T0_DpT1_,comdat
.Lfunc_end289:
	.size	_ZN2at6native12_GLOBAL__N_125multi_tensor_apply_kernelINS1_18TensorListMetadataILi2EEENS1_14UnaryOpFunctorIN3c108BFloat16ELi2ELi1ELi1EEEJNS0_4SignIfEEEEEvT_T0_DpT1_, .Lfunc_end289-_ZN2at6native12_GLOBAL__N_125multi_tensor_apply_kernelINS1_18TensorListMetadataILi2EEENS1_14UnaryOpFunctorIN3c108BFloat16ELi2ELi1ELi1EEEJNS0_4SignIfEEEEEvT_T0_DpT1_
                                        ; -- End function
	.section	.AMDGPU.csdata,"",@progbits
; Kernel info:
; codeLenInByte = 1932
; NumSgprs: 20
; NumVgprs: 29
; ScratchSize: 0
; MemoryBound: 0
; FloatMode: 240
; IeeeMode: 1
; LDSByteSize: 0 bytes/workgroup (compile time only)
; SGPRBlocks: 2
; VGPRBlocks: 3
; NumSGPRsForWavesPerEU: 20
; NumVGPRsForWavesPerEU: 29
; Occupancy: 16
; WaveLimiterHint : 0
; COMPUTE_PGM_RSRC2:SCRATCH_EN: 0
; COMPUTE_PGM_RSRC2:USER_SGPR: 15
; COMPUTE_PGM_RSRC2:TRAP_HANDLER: 0
; COMPUTE_PGM_RSRC2:TGID_X_EN: 1
; COMPUTE_PGM_RSRC2:TGID_Y_EN: 0
; COMPUTE_PGM_RSRC2:TGID_Z_EN: 0
; COMPUTE_PGM_RSRC2:TIDIG_COMP_CNT: 0
	.section	.text._ZN2at6native12_GLOBAL__N_125multi_tensor_apply_kernelINS1_18TensorListMetadataILi1EEENS1_14UnaryOpFunctorIdLi1ELi1ELi0EEEJNS0_4SignIdEEEEEvT_T0_DpT1_,"axG",@progbits,_ZN2at6native12_GLOBAL__N_125multi_tensor_apply_kernelINS1_18TensorListMetadataILi1EEENS1_14UnaryOpFunctorIdLi1ELi1ELi0EEEJNS0_4SignIdEEEEEvT_T0_DpT1_,comdat
	.globl	_ZN2at6native12_GLOBAL__N_125multi_tensor_apply_kernelINS1_18TensorListMetadataILi1EEENS1_14UnaryOpFunctorIdLi1ELi1ELi0EEEJNS0_4SignIdEEEEEvT_T0_DpT1_ ; -- Begin function _ZN2at6native12_GLOBAL__N_125multi_tensor_apply_kernelINS1_18TensorListMetadataILi1EEENS1_14UnaryOpFunctorIdLi1ELi1ELi0EEEJNS0_4SignIdEEEEEvT_T0_DpT1_
	.p2align	8
	.type	_ZN2at6native12_GLOBAL__N_125multi_tensor_apply_kernelINS1_18TensorListMetadataILi1EEENS1_14UnaryOpFunctorIdLi1ELi1ELi0EEEJNS0_4SignIdEEEEEvT_T0_DpT1_,@function
_ZN2at6native12_GLOBAL__N_125multi_tensor_apply_kernelINS1_18TensorListMetadataILi1EEENS1_14UnaryOpFunctorIdLi1ELi1ELi0EEEJNS0_4SignIdEEEEEvT_T0_DpT1_: ; @_ZN2at6native12_GLOBAL__N_125multi_tensor_apply_kernelINS1_18TensorListMetadataILi1EEENS1_14UnaryOpFunctorIdLi1ELi1ELi0EEEJNS0_4SignIdEEEEEvT_T0_DpT1_
; %bb.0:
	v_mov_b32_e32 v1, s15
	s_add_u32 s2, s0, s15
	s_mul_hi_u32 s3, s15, 3
	s_mul_i32 s15, s15, 3
	s_addc_u32 s4, s1, 0
	global_load_u8 v1, v1, s[0:1] offset:1760
	s_add_u32 s2, s2, s15
	s_addc_u32 s3, s4, s3
	s_mov_b32 s13, 0
	s_load_b32 s2, s[2:3], 0x820
	s_waitcnt vmcnt(0)
	v_readfirstlane_b32 s5, v1
	s_delay_alu instid0(VALU_DEP_1)
	s_lshl_b32 s3, s5, 3
	s_clause 0x1
	s_load_b64 s[8:9], s[0:1], s3 offset:0x0
	s_load_b64 s[4:5], s[0:1], s3 offset:0x370
	s_waitcnt lgkmcnt(0)
	s_ashr_i32 s3, s2, 31
	s_delay_alu instid0(SALU_CYCLE_1)
	s_lshl_b64 s[10:11], s[2:3], 19
	s_lshl_b64 s[2:3], s[2:3], 16
	s_and_b32 s12, s8, 31
	s_sub_u32 s6, s4, s2
	s_subb_u32 s7, s5, s3
	s_and_b32 s2, s4, 3
	s_mov_b32 s3, s13
	s_delay_alu instid0(SALU_CYCLE_1) | instskip(NEXT) | instid1(SALU_CYCLE_1)
	s_or_b64 s[2:3], s[12:13], s[2:3]
	s_cmp_eq_u64 s[2:3], 0
	s_cbranch_scc1 .LBB290_21
; %bb.1:
	v_cmp_lt_i64_e64 s2, s[6:7], 1
	s_delay_alu instid0(VALU_DEP_1)
	s_and_b32 vcc_lo, exec_lo, s2
	s_cbranch_vccnz .LBB290_20
; %bb.2:
	s_load_b32 s2, s[0:1], 0xd3c
	v_cmp_gt_u64_e64 s3, 0x10000, s[6:7]
	v_lshlrev_b32_e32 v1, 3, v0
	s_waitcnt lgkmcnt(0)
	s_and_b32 s2, s2, 0xffff
	s_delay_alu instid0(VALU_DEP_2)
	s_and_b32 s3, s3, exec_lo
	v_add_co_u32 v13, s5, v0, s2
	s_cselect_b32 s13, s7, 0
	s_cselect_b32 s12, s6, 0x10000
	s_lshl_b32 s3, s2, 1
	s_lshl_b32 s16, s2, 2
	v_lshlrev_b32_e32 v3, 3, v13
	v_add_co_ci_u32_e64 v14, null, 0, 0, s5
	s_add_u32 s5, s8, s10
	v_add_co_u32 v17, s3, s3, v0
	s_mul_i32 s4, s2, 3
	s_addc_u32 s14, s9, s11
	v_add_co_ci_u32_e64 v18, null, 0, 0, s3
	v_add_co_u32 v1, s3, s5, v1
	v_add_co_u32 v15, s4, s4, v0
	v_add_co_ci_u32_e64 v2, null, s14, 0, s3
	v_add_co_u32 v3, s3, s5, v3
	v_add_co_ci_u32_e64 v16, null, 0, 0, s4
	v_add_co_ci_u32_e64 v4, null, s14, 0, s3
	s_lshl_b32 s17, s2, 5
	s_mul_i32 s18, s2, 24
	s_lshl_b32 s19, s2, 4
	s_mov_b64 s[14:15], 0
	s_branch .LBB290_4
.LBB290_3:                              ;   in Loop: Header=BB290_4 Depth=1
	s_or_b32 exec_lo, exec_lo, s2
	s_add_u32 s14, s14, s16
	s_addc_u32 s15, s15, 0
	v_add_co_u32 v1, vcc_lo, v1, s17
	v_cmp_lt_i64_e64 s2, s[14:15], s[6:7]
	v_cmp_gt_u64_e64 s3, 0x10000, s[14:15]
	v_add_co_ci_u32_e32 v2, vcc_lo, 0, v2, vcc_lo
	v_add_co_u32 v3, vcc_lo, v3, s17
	v_add_co_ci_u32_e32 v4, vcc_lo, 0, v4, vcc_lo
	s_delay_alu instid0(VALU_DEP_4) | instskip(NEXT) | instid1(SALU_CYCLE_1)
	s_and_b32 s2, s2, s3
	s_and_b32 vcc_lo, exec_lo, s2
	s_cbranch_vccz .LBB290_20
.LBB290_4:                              ; =>This Inner Loop Header: Depth=1
	s_waitcnt vmcnt(0)
	v_add_co_u32 v7, s2, v0, s14
	s_delay_alu instid0(VALU_DEP_1) | instskip(SKIP_2) | instid1(VALU_DEP_3)
	v_add_co_ci_u32_e64 v8, null, 0, s15, s2
	v_mov_b32_e32 v5, 0
	v_mov_b32_e32 v6, 0
	v_cmp_gt_u64_e32 vcc_lo, s[12:13], v[7:8]
	s_delay_alu instid0(VALU_DEP_2)
	v_dual_mov_b32 v10, v6 :: v_dual_mov_b32 v9, v5
	s_and_saveexec_b32 s2, vcc_lo
	s_cbranch_execz .LBB290_6
; %bb.5:                                ;   in Loop: Header=BB290_4 Depth=1
	global_load_b64 v[9:10], v[1:2], off
.LBB290_6:                              ;   in Loop: Header=BB290_4 Depth=1
	s_or_b32 exec_lo, exec_lo, s2
	v_add_co_u32 v7, s2, v13, s14
	s_delay_alu instid0(VALU_DEP_1) | instskip(NEXT) | instid1(VALU_DEP_1)
	v_add_co_ci_u32_e64 v8, s2, s15, v14, s2
	v_cmp_gt_u64_e64 s2, s[12:13], v[7:8]
	s_delay_alu instid0(VALU_DEP_1)
	s_and_saveexec_b32 s3, s2
	s_cbranch_execz .LBB290_8
; %bb.7:                                ;   in Loop: Header=BB290_4 Depth=1
	global_load_b64 v[5:6], v[3:4], off
.LBB290_8:                              ;   in Loop: Header=BB290_4 Depth=1
	s_or_b32 exec_lo, exec_lo, s3
	v_add_co_u32 v11, s3, v17, s14
	s_delay_alu instid0(VALU_DEP_1) | instskip(SKIP_2) | instid1(VALU_DEP_3)
	v_add_co_ci_u32_e64 v12, s3, s15, v18, s3
	v_mov_b32_e32 v7, 0
	v_mov_b32_e32 v8, 0
	v_cmp_gt_u64_e64 s3, s[12:13], v[11:12]
	s_delay_alu instid0(VALU_DEP_2) | instskip(NEXT) | instid1(VALU_DEP_2)
	v_dual_mov_b32 v12, v8 :: v_dual_mov_b32 v11, v7
	s_and_saveexec_b32 s5, s3
	s_cbranch_execz .LBB290_10
; %bb.9:                                ;   in Loop: Header=BB290_4 Depth=1
	v_add_co_u32 v11, s4, v1, s19
	s_delay_alu instid0(VALU_DEP_1)
	v_add_co_ci_u32_e64 v12, s4, 0, v2, s4
	global_load_b64 v[11:12], v[11:12], off
.LBB290_10:                             ;   in Loop: Header=BB290_4 Depth=1
	s_or_b32 exec_lo, exec_lo, s5
	v_add_co_u32 v19, s4, v15, s14
	s_delay_alu instid0(VALU_DEP_1) | instskip(NEXT) | instid1(VALU_DEP_1)
	v_add_co_ci_u32_e64 v20, s4, s15, v16, s4
	v_cmp_gt_u64_e64 s4, s[12:13], v[19:20]
	s_delay_alu instid0(VALU_DEP_1)
	s_and_saveexec_b32 s20, s4
	s_cbranch_execnz .LBB290_15
; %bb.11:                               ;   in Loop: Header=BB290_4 Depth=1
	s_or_b32 exec_lo, exec_lo, s20
	s_and_saveexec_b32 s5, vcc_lo
	s_cbranch_execnz .LBB290_16
.LBB290_12:                             ;   in Loop: Header=BB290_4 Depth=1
	s_or_b32 exec_lo, exec_lo, s5
	s_and_saveexec_b32 s5, s2
	s_cbranch_execnz .LBB290_17
.LBB290_13:                             ;   in Loop: Header=BB290_4 Depth=1
	s_or_b32 exec_lo, exec_lo, s5
	s_and_saveexec_b32 s2, s3
	s_cbranch_execnz .LBB290_18
.LBB290_14:                             ;   in Loop: Header=BB290_4 Depth=1
	s_or_b32 exec_lo, exec_lo, s2
	s_and_saveexec_b32 s2, s4
	s_cbranch_execz .LBB290_3
	s_branch .LBB290_19
.LBB290_15:                             ;   in Loop: Header=BB290_4 Depth=1
	v_add_co_u32 v7, s5, v1, s18
	s_delay_alu instid0(VALU_DEP_1)
	v_add_co_ci_u32_e64 v8, s5, 0, v2, s5
	global_load_b64 v[7:8], v[7:8], off
	s_or_b32 exec_lo, exec_lo, s20
	s_and_saveexec_b32 s5, vcc_lo
	s_cbranch_execz .LBB290_12
.LBB290_16:                             ;   in Loop: Header=BB290_4 Depth=1
	s_waitcnt vmcnt(0)
	v_cmp_lt_f64_e32 vcc_lo, 0, v[9:10]
	v_cndmask_b32_e64 v19, 0, 1, vcc_lo
	v_cmp_gt_f64_e32 vcc_lo, 0, v[9:10]
	s_delay_alu instid0(VALU_DEP_2) | instskip(NEXT) | instid1(VALU_DEP_1)
	v_subrev_co_ci_u32_e32 v9, vcc_lo, 0, v19, vcc_lo
	v_cvt_f64_i32_e32 v[9:10], v9
	global_store_b64 v[1:2], v[9:10], off
	s_or_b32 exec_lo, exec_lo, s5
	s_and_saveexec_b32 s5, s2
	s_cbranch_execz .LBB290_13
.LBB290_17:                             ;   in Loop: Header=BB290_4 Depth=1
	s_waitcnt vmcnt(0)
	v_cmp_lt_f64_e32 vcc_lo, 0, v[5:6]
	v_cndmask_b32_e64 v9, 0, 1, vcc_lo
	v_cmp_gt_f64_e32 vcc_lo, 0, v[5:6]
	s_delay_alu instid0(VALU_DEP_2) | instskip(NEXT) | instid1(VALU_DEP_1)
	v_subrev_co_ci_u32_e32 v5, vcc_lo, 0, v9, vcc_lo
	v_cvt_f64_i32_e32 v[5:6], v5
	global_store_b64 v[3:4], v[5:6], off
	s_or_b32 exec_lo, exec_lo, s5
	s_and_saveexec_b32 s2, s3
	s_cbranch_execz .LBB290_14
.LBB290_18:                             ;   in Loop: Header=BB290_4 Depth=1
	s_waitcnt vmcnt(0)
	v_cmp_lt_f64_e32 vcc_lo, 0, v[11:12]
	v_cndmask_b32_e64 v5, 0, 1, vcc_lo
	v_cmp_gt_f64_e32 vcc_lo, 0, v[11:12]
	s_delay_alu instid0(VALU_DEP_2) | instskip(SKIP_2) | instid1(VALU_DEP_3)
	v_subrev_co_ci_u32_e32 v5, vcc_lo, 0, v5, vcc_lo
	v_add_co_u32 v9, vcc_lo, v1, s19
	v_add_co_ci_u32_e32 v10, vcc_lo, 0, v2, vcc_lo
	v_cvt_f64_i32_e32 v[5:6], v5
	global_store_b64 v[9:10], v[5:6], off
	s_or_b32 exec_lo, exec_lo, s2
	s_and_saveexec_b32 s2, s4
	s_cbranch_execz .LBB290_3
.LBB290_19:                             ;   in Loop: Header=BB290_4 Depth=1
	s_waitcnt vmcnt(0)
	v_cmp_lt_f64_e32 vcc_lo, 0, v[7:8]
	v_cndmask_b32_e64 v5, 0, 1, vcc_lo
	v_cmp_gt_f64_e32 vcc_lo, 0, v[7:8]
	s_delay_alu instid0(VALU_DEP_2) | instskip(SKIP_2) | instid1(VALU_DEP_3)
	v_subrev_co_ci_u32_e32 v5, vcc_lo, 0, v5, vcc_lo
	v_add_co_u32 v7, vcc_lo, v1, s18
	v_add_co_ci_u32_e32 v8, vcc_lo, 0, v2, vcc_lo
	v_cvt_f64_i32_e32 v[5:6], v5
	global_store_b64 v[7:8], v[5:6], off
	s_branch .LBB290_3
.LBB290_20:
	s_cbranch_execz .LBB290_22
	s_branch .LBB290_25
.LBB290_21:
.LBB290_22:
	v_dual_mov_b32 v2, 0 :: v_dual_lshlrev_b32 v1, 2, v0
	s_mov_b32 s2, 0
	s_mov_b32 s3, exec_lo
	s_delay_alu instid0(VALU_DEP_1)
	v_cmpx_gt_i64_e64 s[6:7], v[1:2]
	s_cbranch_execz .LBB290_25
; %bb.23:
	s_load_b32 s0, s[0:1], 0xd3c
	v_lshlrev_b32_e32 v1, 5, v0
	s_waitcnt lgkmcnt(0)
	s_and_b32 s0, s0, 0xffff
	s_delay_alu instid0(SALU_CYCLE_1) | instskip(SKIP_3) | instid1(VALU_DEP_1)
	s_lshl_b32 s3, s0, 2
	s_add_u32 s1, s8, s10
	s_addc_u32 s4, s9, s11
	v_add_co_u32 v3, s1, s1, v1
	v_add_co_ci_u32_e64 v4, null, s4, 0, s1
	v_add_lshl_u32 v1, v0, s0, 2
	s_delay_alu instid0(VALU_DEP_3) | instskip(NEXT) | instid1(VALU_DEP_3)
	v_add_co_u32 v3, vcc_lo, v3, 16
	v_add_co_ci_u32_e32 v4, vcc_lo, 0, v4, vcc_lo
	s_lshl_b32 s4, s0, 5
	s_set_inst_prefetch_distance 0x1
	.p2align	6
.LBB290_24:                             ; =>This Inner Loop Header: Depth=1
	s_clause 0x1
	global_load_b128 v[5:8], v[3:4], off offset:-16
	global_load_b128 v[9:12], v[3:4], off
	v_cmp_lt_u64_e64 s0, 0xffff, v[1:2]
	s_waitcnt vmcnt(1)
	v_cmp_lt_f64_e32 vcc_lo, 0, v[5:6]
	v_cndmask_b32_e64 v0, 0, 1, vcc_lo
	v_cmp_lt_f64_e32 vcc_lo, 0, v[7:8]
	v_cndmask_b32_e64 v13, 0, 1, vcc_lo
	s_waitcnt vmcnt(0)
	v_cmp_lt_f64_e32 vcc_lo, 0, v[9:10]
	v_cndmask_b32_e64 v14, 0, 1, vcc_lo
	v_cmp_lt_f64_e32 vcc_lo, 0, v[11:12]
	v_cndmask_b32_e64 v15, 0, 1, vcc_lo
	v_cmp_gt_f64_e32 vcc_lo, 0, v[5:6]
	v_subrev_co_ci_u32_e32 v0, vcc_lo, 0, v0, vcc_lo
	v_cmp_gt_f64_e32 vcc_lo, 0, v[7:8]
	s_delay_alu instid0(VALU_DEP_2) | instskip(SKIP_2) | instid1(VALU_DEP_2)
	v_cvt_f64_i32_e32 v[5:6], v0
	v_subrev_co_ci_u32_e32 v7, vcc_lo, 0, v13, vcc_lo
	v_cmp_gt_f64_e32 vcc_lo, 0, v[9:10]
	v_cvt_f64_i32_e32 v[7:8], v7
	v_subrev_co_ci_u32_e32 v9, vcc_lo, 0, v14, vcc_lo
	v_cmp_gt_f64_e32 vcc_lo, 0, v[11:12]
	s_delay_alu instid0(VALU_DEP_2) | instskip(SKIP_3) | instid1(VALU_DEP_3)
	v_cvt_f64_i32_e32 v[9:10], v9
	v_subrev_co_ci_u32_e32 v11, vcc_lo, 0, v15, vcc_lo
	v_cmp_le_i64_e32 vcc_lo, s[6:7], v[1:2]
	v_add_co_u32 v1, s1, v1, s3
	v_cvt_f64_i32_e32 v[11:12], v11
	v_add_co_ci_u32_e64 v2, s1, 0, v2, s1
	s_or_b32 s0, vcc_lo, s0
	s_clause 0x1
	global_store_b128 v[3:4], v[5:8], off offset:-16
	global_store_b128 v[3:4], v[9:12], off
	v_add_co_u32 v3, vcc_lo, v3, s4
	v_add_co_ci_u32_e32 v4, vcc_lo, 0, v4, vcc_lo
	s_and_b32 s0, exec_lo, s0
	s_delay_alu instid0(SALU_CYCLE_1) | instskip(NEXT) | instid1(SALU_CYCLE_1)
	s_or_b32 s2, s0, s2
	s_and_not1_b32 exec_lo, exec_lo, s2
	s_cbranch_execnz .LBB290_24
.LBB290_25:
	s_set_inst_prefetch_distance 0x2
	s_nop 0
	s_sendmsg sendmsg(MSG_DEALLOC_VGPRS)
	s_endpgm
	.section	.rodata,"a",@progbits
	.p2align	6, 0x0
	.amdhsa_kernel _ZN2at6native12_GLOBAL__N_125multi_tensor_apply_kernelINS1_18TensorListMetadataILi1EEENS1_14UnaryOpFunctorIdLi1ELi1ELi0EEEJNS0_4SignIdEEEEEvT_T0_DpT1_
		.amdhsa_group_segment_fixed_size 0
		.amdhsa_private_segment_fixed_size 0
		.amdhsa_kernarg_size 3632
		.amdhsa_user_sgpr_count 15
		.amdhsa_user_sgpr_dispatch_ptr 0
		.amdhsa_user_sgpr_queue_ptr 0
		.amdhsa_user_sgpr_kernarg_segment_ptr 1
		.amdhsa_user_sgpr_dispatch_id 0
		.amdhsa_user_sgpr_private_segment_size 0
		.amdhsa_wavefront_size32 1
		.amdhsa_uses_dynamic_stack 0
		.amdhsa_enable_private_segment 0
		.amdhsa_system_sgpr_workgroup_id_x 1
		.amdhsa_system_sgpr_workgroup_id_y 0
		.amdhsa_system_sgpr_workgroup_id_z 0
		.amdhsa_system_sgpr_workgroup_info 0
		.amdhsa_system_vgpr_workitem_id 0
		.amdhsa_next_free_vgpr 21
		.amdhsa_next_free_sgpr 21
		.amdhsa_reserve_vcc 1
		.amdhsa_float_round_mode_32 0
		.amdhsa_float_round_mode_16_64 0
		.amdhsa_float_denorm_mode_32 3
		.amdhsa_float_denorm_mode_16_64 3
		.amdhsa_dx10_clamp 1
		.amdhsa_ieee_mode 1
		.amdhsa_fp16_overflow 0
		.amdhsa_workgroup_processor_mode 1
		.amdhsa_memory_ordered 1
		.amdhsa_forward_progress 0
		.amdhsa_shared_vgpr_count 0
		.amdhsa_exception_fp_ieee_invalid_op 0
		.amdhsa_exception_fp_denorm_src 0
		.amdhsa_exception_fp_ieee_div_zero 0
		.amdhsa_exception_fp_ieee_overflow 0
		.amdhsa_exception_fp_ieee_underflow 0
		.amdhsa_exception_fp_ieee_inexact 0
		.amdhsa_exception_int_div_zero 0
	.end_amdhsa_kernel
	.section	.text._ZN2at6native12_GLOBAL__N_125multi_tensor_apply_kernelINS1_18TensorListMetadataILi1EEENS1_14UnaryOpFunctorIdLi1ELi1ELi0EEEJNS0_4SignIdEEEEEvT_T0_DpT1_,"axG",@progbits,_ZN2at6native12_GLOBAL__N_125multi_tensor_apply_kernelINS1_18TensorListMetadataILi1EEENS1_14UnaryOpFunctorIdLi1ELi1ELi0EEEJNS0_4SignIdEEEEEvT_T0_DpT1_,comdat
.Lfunc_end290:
	.size	_ZN2at6native12_GLOBAL__N_125multi_tensor_apply_kernelINS1_18TensorListMetadataILi1EEENS1_14UnaryOpFunctorIdLi1ELi1ELi0EEEJNS0_4SignIdEEEEEvT_T0_DpT1_, .Lfunc_end290-_ZN2at6native12_GLOBAL__N_125multi_tensor_apply_kernelINS1_18TensorListMetadataILi1EEENS1_14UnaryOpFunctorIdLi1ELi1ELi0EEEJNS0_4SignIdEEEEEvT_T0_DpT1_
                                        ; -- End function
	.section	.AMDGPU.csdata,"",@progbits
; Kernel info:
; codeLenInByte = 1340
; NumSgprs: 23
; NumVgprs: 21
; ScratchSize: 0
; MemoryBound: 0
; FloatMode: 240
; IeeeMode: 1
; LDSByteSize: 0 bytes/workgroup (compile time only)
; SGPRBlocks: 2
; VGPRBlocks: 2
; NumSGPRsForWavesPerEU: 23
; NumVGPRsForWavesPerEU: 21
; Occupancy: 16
; WaveLimiterHint : 0
; COMPUTE_PGM_RSRC2:SCRATCH_EN: 0
; COMPUTE_PGM_RSRC2:USER_SGPR: 15
; COMPUTE_PGM_RSRC2:TRAP_HANDLER: 0
; COMPUTE_PGM_RSRC2:TGID_X_EN: 1
; COMPUTE_PGM_RSRC2:TGID_Y_EN: 0
; COMPUTE_PGM_RSRC2:TGID_Z_EN: 0
; COMPUTE_PGM_RSRC2:TIDIG_COMP_CNT: 0
	.section	.text._ZN2at6native12_GLOBAL__N_125multi_tensor_apply_kernelINS1_18TensorListMetadataILi1EEENS1_14UnaryOpFunctorIfLi1ELi1ELi0EEEJNS0_4SignIfEEEEEvT_T0_DpT1_,"axG",@progbits,_ZN2at6native12_GLOBAL__N_125multi_tensor_apply_kernelINS1_18TensorListMetadataILi1EEENS1_14UnaryOpFunctorIfLi1ELi1ELi0EEEJNS0_4SignIfEEEEEvT_T0_DpT1_,comdat
	.globl	_ZN2at6native12_GLOBAL__N_125multi_tensor_apply_kernelINS1_18TensorListMetadataILi1EEENS1_14UnaryOpFunctorIfLi1ELi1ELi0EEEJNS0_4SignIfEEEEEvT_T0_DpT1_ ; -- Begin function _ZN2at6native12_GLOBAL__N_125multi_tensor_apply_kernelINS1_18TensorListMetadataILi1EEENS1_14UnaryOpFunctorIfLi1ELi1ELi0EEEJNS0_4SignIfEEEEEvT_T0_DpT1_
	.p2align	8
	.type	_ZN2at6native12_GLOBAL__N_125multi_tensor_apply_kernelINS1_18TensorListMetadataILi1EEENS1_14UnaryOpFunctorIfLi1ELi1ELi0EEEJNS0_4SignIfEEEEEvT_T0_DpT1_,@function
_ZN2at6native12_GLOBAL__N_125multi_tensor_apply_kernelINS1_18TensorListMetadataILi1EEENS1_14UnaryOpFunctorIfLi1ELi1ELi0EEEJNS0_4SignIfEEEEEvT_T0_DpT1_: ; @_ZN2at6native12_GLOBAL__N_125multi_tensor_apply_kernelINS1_18TensorListMetadataILi1EEENS1_14UnaryOpFunctorIfLi1ELi1ELi0EEEJNS0_4SignIfEEEEEvT_T0_DpT1_
; %bb.0:
	v_mov_b32_e32 v1, s15
	s_add_u32 s2, s0, s15
	s_mul_hi_u32 s3, s15, 3
	s_mul_i32 s15, s15, 3
	s_addc_u32 s4, s1, 0
	global_load_u8 v1, v1, s[0:1] offset:1760
	s_add_u32 s2, s2, s15
	s_addc_u32 s3, s4, s3
	s_mov_b32 s13, 0
	s_load_b32 s2, s[2:3], 0x820
	s_waitcnt vmcnt(0)
	v_readfirstlane_b32 s5, v1
	s_delay_alu instid0(VALU_DEP_1)
	s_lshl_b32 s3, s5, 3
	s_clause 0x1
	s_load_b64 s[8:9], s[0:1], s3 offset:0x0
	s_load_b64 s[4:5], s[0:1], s3 offset:0x370
	s_waitcnt lgkmcnt(0)
	s_ashr_i32 s3, s2, 31
	s_delay_alu instid0(SALU_CYCLE_1)
	s_lshl_b64 s[10:11], s[2:3], 18
	s_lshl_b64 s[2:3], s[2:3], 16
	s_and_b32 s12, s8, 15
	s_sub_u32 s6, s4, s2
	s_subb_u32 s7, s5, s3
	s_and_b32 s2, s4, 3
	s_mov_b32 s3, s13
	s_delay_alu instid0(SALU_CYCLE_1) | instskip(NEXT) | instid1(SALU_CYCLE_1)
	s_or_b64 s[2:3], s[12:13], s[2:3]
	s_cmp_eq_u64 s[2:3], 0
	s_cbranch_scc1 .LBB291_21
; %bb.1:
	v_cmp_lt_i64_e64 s2, s[6:7], 1
	s_delay_alu instid0(VALU_DEP_1)
	s_and_b32 vcc_lo, exec_lo, s2
	s_cbranch_vccnz .LBB291_20
; %bb.2:
	s_load_b32 s2, s[0:1], 0xd3c
	v_cmp_gt_u64_e64 s3, 0x10000, s[6:7]
	v_lshlrev_b32_e32 v1, 2, v0
	s_waitcnt lgkmcnt(0)
	s_and_b32 s2, s2, 0xffff
	s_delay_alu instid0(VALU_DEP_2)
	s_and_b32 s3, s3, exec_lo
	v_add_co_u32 v5, s5, v0, s2
	s_cselect_b32 s13, s7, 0
	s_cselect_b32 s12, s6, 0x10000
	s_lshl_b32 s3, s2, 1
	s_lshl_b32 s16, s2, 2
	v_lshlrev_b32_e32 v3, 2, v5
	v_add_co_ci_u32_e64 v6, null, 0, 0, s5
	s_add_u32 s5, s8, s10
	v_add_co_u32 v9, s3, s3, v0
	s_mul_i32 s4, s2, 3
	s_addc_u32 s14, s9, s11
	v_add_co_ci_u32_e64 v10, null, 0, 0, s3
	v_add_co_u32 v1, s3, s5, v1
	v_add_co_u32 v7, s4, s4, v0
	v_add_co_ci_u32_e64 v2, null, s14, 0, s3
	v_add_co_u32 v3, s3, s5, v3
	v_add_co_ci_u32_e64 v8, null, 0, 0, s4
	v_add_co_ci_u32_e64 v4, null, s14, 0, s3
	s_lshl_b32 s17, s2, 4
	s_mul_i32 s18, s2, 12
	s_lshl_b32 s19, s2, 3
	s_mov_b64 s[14:15], 0
	s_branch .LBB291_4
.LBB291_3:                              ;   in Loop: Header=BB291_4 Depth=1
	s_or_b32 exec_lo, exec_lo, s2
	s_add_u32 s14, s14, s16
	s_addc_u32 s15, s15, 0
	v_add_co_u32 v1, vcc_lo, v1, s17
	v_cmp_lt_i64_e64 s2, s[14:15], s[6:7]
	v_cmp_gt_u64_e64 s3, 0x10000, s[14:15]
	v_add_co_ci_u32_e32 v2, vcc_lo, 0, v2, vcc_lo
	v_add_co_u32 v3, vcc_lo, v3, s17
	v_add_co_ci_u32_e32 v4, vcc_lo, 0, v4, vcc_lo
	s_delay_alu instid0(VALU_DEP_4) | instskip(NEXT) | instid1(SALU_CYCLE_1)
	s_and_b32 s2, s2, s3
	s_and_b32 vcc_lo, exec_lo, s2
	s_cbranch_vccz .LBB291_20
.LBB291_4:                              ; =>This Inner Loop Header: Depth=1
	s_waitcnt vmcnt(0)
	v_add_co_u32 v11, s2, v0, s14
	s_delay_alu instid0(VALU_DEP_1) | instskip(NEXT) | instid1(VALU_DEP_1)
	v_add_co_ci_u32_e64 v12, null, 0, s15, s2
	v_cmp_gt_u64_e32 vcc_lo, s[12:13], v[11:12]
	v_mov_b32_e32 v12, 0
	s_and_saveexec_b32 s2, vcc_lo
	s_cbranch_execz .LBB291_6
; %bb.5:                                ;   in Loop: Header=BB291_4 Depth=1
	global_load_b32 v12, v[1:2], off
.LBB291_6:                              ;   in Loop: Header=BB291_4 Depth=1
	s_or_b32 exec_lo, exec_lo, s2
	v_add_co_u32 v13, s2, v5, s14
	s_delay_alu instid0(VALU_DEP_1) | instskip(NEXT) | instid1(VALU_DEP_1)
	v_add_co_ci_u32_e64 v14, s2, s15, v6, s2
	v_cmp_gt_u64_e64 s2, s[12:13], v[13:14]
	v_mov_b32_e32 v13, 0
	s_delay_alu instid0(VALU_DEP_2)
	s_and_saveexec_b32 s3, s2
	s_cbranch_execz .LBB291_8
; %bb.7:                                ;   in Loop: Header=BB291_4 Depth=1
	global_load_b32 v13, v[3:4], off
.LBB291_8:                              ;   in Loop: Header=BB291_4 Depth=1
	s_or_b32 exec_lo, exec_lo, s3
	v_add_co_u32 v14, s3, v9, s14
	s_delay_alu instid0(VALU_DEP_1) | instskip(SKIP_1) | instid1(VALU_DEP_2)
	v_add_co_ci_u32_e64 v15, s3, s15, v10, s3
	v_mov_b32_e32 v11, 0
	v_cmp_gt_u64_e64 s3, s[12:13], v[14:15]
	v_mov_b32_e32 v14, 0
	s_delay_alu instid0(VALU_DEP_2)
	s_and_saveexec_b32 s5, s3
	s_cbranch_execz .LBB291_10
; %bb.9:                                ;   in Loop: Header=BB291_4 Depth=1
	v_add_co_u32 v14, s4, v1, s19
	s_delay_alu instid0(VALU_DEP_1)
	v_add_co_ci_u32_e64 v15, s4, 0, v2, s4
	global_load_b32 v14, v[14:15], off
.LBB291_10:                             ;   in Loop: Header=BB291_4 Depth=1
	s_or_b32 exec_lo, exec_lo, s5
	v_add_co_u32 v15, s4, v7, s14
	s_delay_alu instid0(VALU_DEP_1) | instskip(NEXT) | instid1(VALU_DEP_1)
	v_add_co_ci_u32_e64 v16, s4, s15, v8, s4
	v_cmp_gt_u64_e64 s4, s[12:13], v[15:16]
	s_delay_alu instid0(VALU_DEP_1)
	s_and_saveexec_b32 s20, s4
	s_cbranch_execnz .LBB291_15
; %bb.11:                               ;   in Loop: Header=BB291_4 Depth=1
	s_or_b32 exec_lo, exec_lo, s20
	s_and_saveexec_b32 s5, vcc_lo
	s_cbranch_execnz .LBB291_16
.LBB291_12:                             ;   in Loop: Header=BB291_4 Depth=1
	s_or_b32 exec_lo, exec_lo, s5
	s_and_saveexec_b32 s5, s2
	s_cbranch_execnz .LBB291_17
.LBB291_13:                             ;   in Loop: Header=BB291_4 Depth=1
	s_or_b32 exec_lo, exec_lo, s5
	s_and_saveexec_b32 s2, s3
	s_cbranch_execnz .LBB291_18
.LBB291_14:                             ;   in Loop: Header=BB291_4 Depth=1
	s_or_b32 exec_lo, exec_lo, s2
	s_and_saveexec_b32 s2, s4
	s_cbranch_execz .LBB291_3
	s_branch .LBB291_19
.LBB291_15:                             ;   in Loop: Header=BB291_4 Depth=1
	v_add_co_u32 v15, s5, v1, s18
	s_delay_alu instid0(VALU_DEP_1)
	v_add_co_ci_u32_e64 v16, s5, 0, v2, s5
	global_load_b32 v11, v[15:16], off
	s_or_b32 exec_lo, exec_lo, s20
	s_and_saveexec_b32 s5, vcc_lo
	s_cbranch_execz .LBB291_12
.LBB291_16:                             ;   in Loop: Header=BB291_4 Depth=1
	s_waitcnt vmcnt(0)
	v_cmp_lt_f32_e32 vcc_lo, 0, v12
	v_cndmask_b32_e64 v15, 0, 1, vcc_lo
	v_cmp_gt_f32_e32 vcc_lo, 0, v12
	s_delay_alu instid0(VALU_DEP_2) | instskip(NEXT) | instid1(VALU_DEP_1)
	v_subrev_co_ci_u32_e32 v12, vcc_lo, 0, v15, vcc_lo
	v_cvt_f32_i32_e32 v12, v12
	global_store_b32 v[1:2], v12, off
	s_or_b32 exec_lo, exec_lo, s5
	s_and_saveexec_b32 s5, s2
	s_cbranch_execz .LBB291_13
.LBB291_17:                             ;   in Loop: Header=BB291_4 Depth=1
	s_waitcnt vmcnt(0)
	v_cmp_lt_f32_e32 vcc_lo, 0, v13
	v_cndmask_b32_e64 v12, 0, 1, vcc_lo
	v_cmp_gt_f32_e32 vcc_lo, 0, v13
	s_delay_alu instid0(VALU_DEP_2) | instskip(NEXT) | instid1(VALU_DEP_1)
	v_subrev_co_ci_u32_e32 v12, vcc_lo, 0, v12, vcc_lo
	v_cvt_f32_i32_e32 v12, v12
	global_store_b32 v[3:4], v12, off
	s_or_b32 exec_lo, exec_lo, s5
	s_and_saveexec_b32 s2, s3
	s_cbranch_execz .LBB291_14
.LBB291_18:                             ;   in Loop: Header=BB291_4 Depth=1
	s_waitcnt vmcnt(0)
	v_cmp_lt_f32_e32 vcc_lo, 0, v14
	v_cndmask_b32_e64 v12, 0, 1, vcc_lo
	v_cmp_gt_f32_e32 vcc_lo, 0, v14
	s_delay_alu instid0(VALU_DEP_2) | instskip(NEXT) | instid1(VALU_DEP_1)
	v_subrev_co_ci_u32_e32 v12, vcc_lo, 0, v12, vcc_lo
	v_cvt_f32_i32_e32 v14, v12
	v_add_co_u32 v12, vcc_lo, v1, s19
	v_add_co_ci_u32_e32 v13, vcc_lo, 0, v2, vcc_lo
	global_store_b32 v[12:13], v14, off
	s_or_b32 exec_lo, exec_lo, s2
	s_and_saveexec_b32 s2, s4
	s_cbranch_execz .LBB291_3
.LBB291_19:                             ;   in Loop: Header=BB291_4 Depth=1
	s_waitcnt vmcnt(0)
	v_cmp_lt_f32_e32 vcc_lo, 0, v11
	v_cndmask_b32_e64 v12, 0, 1, vcc_lo
	v_cmp_gt_f32_e32 vcc_lo, 0, v11
	s_delay_alu instid0(VALU_DEP_2) | instskip(NEXT) | instid1(VALU_DEP_1)
	v_subrev_co_ci_u32_e32 v11, vcc_lo, 0, v12, vcc_lo
	v_cvt_f32_i32_e32 v13, v11
	v_add_co_u32 v11, vcc_lo, v1, s18
	v_add_co_ci_u32_e32 v12, vcc_lo, 0, v2, vcc_lo
	global_store_b32 v[11:12], v13, off
	s_branch .LBB291_3
.LBB291_20:
	s_cbranch_execz .LBB291_22
	s_branch .LBB291_25
.LBB291_21:
.LBB291_22:
	v_dual_mov_b32 v2, 0 :: v_dual_lshlrev_b32 v1, 2, v0
	s_mov_b32 s2, 0
	s_mov_b32 s3, exec_lo
	s_delay_alu instid0(VALU_DEP_1)
	v_cmpx_gt_i64_e64 s[6:7], v[1:2]
	s_cbranch_execz .LBB291_25
; %bb.23:
	s_load_b32 s0, s[0:1], 0xd3c
	v_lshlrev_b32_e32 v1, 4, v0
	s_waitcnt lgkmcnt(0)
	s_and_b32 s0, s0, 0xffff
	s_delay_alu instid0(SALU_CYCLE_1) | instskip(SKIP_3) | instid1(VALU_DEP_1)
	s_lshl_b32 s3, s0, 2
	s_add_u32 s1, s8, s10
	s_addc_u32 s4, s9, s11
	v_add_co_u32 v3, s1, s1, v1
	v_add_co_ci_u32_e64 v4, null, s4, 0, s1
	v_add_lshl_u32 v1, v0, s0, 2
	s_delay_alu instid0(VALU_DEP_3) | instskip(NEXT) | instid1(VALU_DEP_3)
	v_add_co_u32 v3, vcc_lo, v3, 8
	v_add_co_ci_u32_e32 v4, vcc_lo, 0, v4, vcc_lo
	s_lshl_b32 s4, s0, 4
.LBB291_24:                             ; =>This Inner Loop Header: Depth=1
	global_load_b128 v[5:8], v[3:4], off offset:-8
	v_cmp_le_i64_e32 vcc_lo, s[6:7], v[1:2]
	s_waitcnt vmcnt(0)
	v_cmp_lt_f32_e64 s0, 0, v5
	s_delay_alu instid0(VALU_DEP_1) | instskip(SKIP_1) | instid1(VALU_DEP_1)
	v_cndmask_b32_e64 v0, 0, 1, s0
	v_cmp_lt_f32_e64 s0, 0, v6
	v_cndmask_b32_e64 v9, 0, 1, s0
	v_cmp_lt_f32_e64 s0, 0, v7
	s_delay_alu instid0(VALU_DEP_1) | instskip(SKIP_1) | instid1(VALU_DEP_1)
	v_cndmask_b32_e64 v10, 0, 1, s0
	v_cmp_lt_f32_e64 s0, 0, v8
	v_cndmask_b32_e64 v11, 0, 1, s0
	v_cmp_gt_f32_e64 s0, 0, v5
	s_delay_alu instid0(VALU_DEP_1) | instskip(SKIP_1) | instid1(VALU_DEP_2)
	v_subrev_co_ci_u32_e64 v0, s0, 0, v0, s0
	v_cmp_gt_f32_e64 s0, 0, v6
	v_cvt_f32_i32_e32 v5, v0
	s_delay_alu instid0(VALU_DEP_2) | instskip(SKIP_1) | instid1(VALU_DEP_2)
	v_subrev_co_ci_u32_e64 v6, s0, 0, v9, s0
	v_cmp_gt_f32_e64 s0, 0, v7
	v_cvt_f32_i32_e32 v6, v6
	s_delay_alu instid0(VALU_DEP_2) | instskip(SKIP_1) | instid1(VALU_DEP_2)
	v_subrev_co_ci_u32_e64 v7, s0, 0, v10, s0
	v_cmp_gt_f32_e64 s0, 0, v8
	v_cvt_f32_i32_e32 v7, v7
	s_delay_alu instid0(VALU_DEP_2) | instskip(SKIP_2) | instid1(VALU_DEP_3)
	v_subrev_co_ci_u32_e64 v8, s0, 0, v11, s0
	v_cmp_lt_u64_e64 s0, 0xffff, v[1:2]
	v_add_co_u32 v1, s1, v1, s3
	v_cvt_f32_i32_e32 v8, v8
	v_add_co_ci_u32_e64 v2, s1, 0, v2, s1
	s_delay_alu instid0(VALU_DEP_4) | instskip(SKIP_4) | instid1(SALU_CYCLE_1)
	s_or_b32 s0, vcc_lo, s0
	global_store_b128 v[3:4], v[5:8], off offset:-8
	v_add_co_u32 v3, vcc_lo, v3, s4
	v_add_co_ci_u32_e32 v4, vcc_lo, 0, v4, vcc_lo
	s_and_b32 s0, exec_lo, s0
	s_or_b32 s2, s0, s2
	s_delay_alu instid0(SALU_CYCLE_1)
	s_and_not1_b32 exec_lo, exec_lo, s2
	s_cbranch_execnz .LBB291_24
.LBB291_25:
	s_nop 0
	s_sendmsg sendmsg(MSG_DEALLOC_VGPRS)
	s_endpgm
	.section	.rodata,"a",@progbits
	.p2align	6, 0x0
	.amdhsa_kernel _ZN2at6native12_GLOBAL__N_125multi_tensor_apply_kernelINS1_18TensorListMetadataILi1EEENS1_14UnaryOpFunctorIfLi1ELi1ELi0EEEJNS0_4SignIfEEEEEvT_T0_DpT1_
		.amdhsa_group_segment_fixed_size 0
		.amdhsa_private_segment_fixed_size 0
		.amdhsa_kernarg_size 3632
		.amdhsa_user_sgpr_count 15
		.amdhsa_user_sgpr_dispatch_ptr 0
		.amdhsa_user_sgpr_queue_ptr 0
		.amdhsa_user_sgpr_kernarg_segment_ptr 1
		.amdhsa_user_sgpr_dispatch_id 0
		.amdhsa_user_sgpr_private_segment_size 0
		.amdhsa_wavefront_size32 1
		.amdhsa_uses_dynamic_stack 0
		.amdhsa_enable_private_segment 0
		.amdhsa_system_sgpr_workgroup_id_x 1
		.amdhsa_system_sgpr_workgroup_id_y 0
		.amdhsa_system_sgpr_workgroup_id_z 0
		.amdhsa_system_sgpr_workgroup_info 0
		.amdhsa_system_vgpr_workitem_id 0
		.amdhsa_next_free_vgpr 17
		.amdhsa_next_free_sgpr 21
		.amdhsa_reserve_vcc 1
		.amdhsa_float_round_mode_32 0
		.amdhsa_float_round_mode_16_64 0
		.amdhsa_float_denorm_mode_32 3
		.amdhsa_float_denorm_mode_16_64 3
		.amdhsa_dx10_clamp 1
		.amdhsa_ieee_mode 1
		.amdhsa_fp16_overflow 0
		.amdhsa_workgroup_processor_mode 1
		.amdhsa_memory_ordered 1
		.amdhsa_forward_progress 0
		.amdhsa_shared_vgpr_count 0
		.amdhsa_exception_fp_ieee_invalid_op 0
		.amdhsa_exception_fp_denorm_src 0
		.amdhsa_exception_fp_ieee_div_zero 0
		.amdhsa_exception_fp_ieee_overflow 0
		.amdhsa_exception_fp_ieee_underflow 0
		.amdhsa_exception_fp_ieee_inexact 0
		.amdhsa_exception_int_div_zero 0
	.end_amdhsa_kernel
	.section	.text._ZN2at6native12_GLOBAL__N_125multi_tensor_apply_kernelINS1_18TensorListMetadataILi1EEENS1_14UnaryOpFunctorIfLi1ELi1ELi0EEEJNS0_4SignIfEEEEEvT_T0_DpT1_,"axG",@progbits,_ZN2at6native12_GLOBAL__N_125multi_tensor_apply_kernelINS1_18TensorListMetadataILi1EEENS1_14UnaryOpFunctorIfLi1ELi1ELi0EEEJNS0_4SignIfEEEEEvT_T0_DpT1_,comdat
.Lfunc_end291:
	.size	_ZN2at6native12_GLOBAL__N_125multi_tensor_apply_kernelINS1_18TensorListMetadataILi1EEENS1_14UnaryOpFunctorIfLi1ELi1ELi0EEEJNS0_4SignIfEEEEEvT_T0_DpT1_, .Lfunc_end291-_ZN2at6native12_GLOBAL__N_125multi_tensor_apply_kernelINS1_18TensorListMetadataILi1EEENS1_14UnaryOpFunctorIfLi1ELi1ELi0EEEJNS0_4SignIfEEEEEvT_T0_DpT1_
                                        ; -- End function
	.section	.AMDGPU.csdata,"",@progbits
; Kernel info:
; codeLenInByte = 1352
; NumSgprs: 23
; NumVgprs: 17
; ScratchSize: 0
; MemoryBound: 0
; FloatMode: 240
; IeeeMode: 1
; LDSByteSize: 0 bytes/workgroup (compile time only)
; SGPRBlocks: 2
; VGPRBlocks: 2
; NumSGPRsForWavesPerEU: 23
; NumVGPRsForWavesPerEU: 17
; Occupancy: 16
; WaveLimiterHint : 0
; COMPUTE_PGM_RSRC2:SCRATCH_EN: 0
; COMPUTE_PGM_RSRC2:USER_SGPR: 15
; COMPUTE_PGM_RSRC2:TRAP_HANDLER: 0
; COMPUTE_PGM_RSRC2:TGID_X_EN: 1
; COMPUTE_PGM_RSRC2:TGID_Y_EN: 0
; COMPUTE_PGM_RSRC2:TGID_Z_EN: 0
; COMPUTE_PGM_RSRC2:TIDIG_COMP_CNT: 0
	.section	.text._ZN2at6native12_GLOBAL__N_125multi_tensor_apply_kernelINS1_18TensorListMetadataILi1EEENS1_14UnaryOpFunctorIN3c104HalfELi1ELi1ELi0EEEJNS0_4SignIfEEEEEvT_T0_DpT1_,"axG",@progbits,_ZN2at6native12_GLOBAL__N_125multi_tensor_apply_kernelINS1_18TensorListMetadataILi1EEENS1_14UnaryOpFunctorIN3c104HalfELi1ELi1ELi0EEEJNS0_4SignIfEEEEEvT_T0_DpT1_,comdat
	.globl	_ZN2at6native12_GLOBAL__N_125multi_tensor_apply_kernelINS1_18TensorListMetadataILi1EEENS1_14UnaryOpFunctorIN3c104HalfELi1ELi1ELi0EEEJNS0_4SignIfEEEEEvT_T0_DpT1_ ; -- Begin function _ZN2at6native12_GLOBAL__N_125multi_tensor_apply_kernelINS1_18TensorListMetadataILi1EEENS1_14UnaryOpFunctorIN3c104HalfELi1ELi1ELi0EEEJNS0_4SignIfEEEEEvT_T0_DpT1_
	.p2align	8
	.type	_ZN2at6native12_GLOBAL__N_125multi_tensor_apply_kernelINS1_18TensorListMetadataILi1EEENS1_14UnaryOpFunctorIN3c104HalfELi1ELi1ELi0EEEJNS0_4SignIfEEEEEvT_T0_DpT1_,@function
_ZN2at6native12_GLOBAL__N_125multi_tensor_apply_kernelINS1_18TensorListMetadataILi1EEENS1_14UnaryOpFunctorIN3c104HalfELi1ELi1ELi0EEEJNS0_4SignIfEEEEEvT_T0_DpT1_: ; @_ZN2at6native12_GLOBAL__N_125multi_tensor_apply_kernelINS1_18TensorListMetadataILi1EEENS1_14UnaryOpFunctorIN3c104HalfELi1ELi1ELi0EEEJNS0_4SignIfEEEEEvT_T0_DpT1_
; %bb.0:
	v_mov_b32_e32 v1, s15
	s_add_u32 s2, s0, s15
	s_mul_hi_u32 s3, s15, 3
	s_mul_i32 s15, s15, 3
	s_addc_u32 s4, s1, 0
	global_load_u8 v1, v1, s[0:1] offset:1760
	s_add_u32 s2, s2, s15
	s_addc_u32 s3, s4, s3
	s_mov_b32 s13, 0
	s_load_b32 s2, s[2:3], 0x820
	s_waitcnt vmcnt(0)
	v_readfirstlane_b32 s5, v1
	s_delay_alu instid0(VALU_DEP_1)
	s_lshl_b32 s3, s5, 3
	s_clause 0x1
	s_load_b64 s[8:9], s[0:1], s3 offset:0x0
	s_load_b64 s[4:5], s[0:1], s3 offset:0x370
	s_waitcnt lgkmcnt(0)
	s_ashr_i32 s3, s2, 31
	s_delay_alu instid0(SALU_CYCLE_1)
	s_lshl_b64 s[10:11], s[2:3], 17
	s_lshl_b64 s[2:3], s[2:3], 16
	s_and_b32 s12, s8, 7
	s_sub_u32 s6, s4, s2
	s_subb_u32 s7, s5, s3
	s_and_b32 s2, s4, 3
	s_mov_b32 s3, s13
	s_delay_alu instid0(SALU_CYCLE_1) | instskip(NEXT) | instid1(SALU_CYCLE_1)
	s_or_b64 s[2:3], s[12:13], s[2:3]
	s_cmp_eq_u64 s[2:3], 0
	s_cbranch_scc1 .LBB292_21
; %bb.1:
	v_cmp_lt_i64_e64 s2, s[6:7], 1
	s_delay_alu instid0(VALU_DEP_1)
	s_and_b32 vcc_lo, exec_lo, s2
	s_cbranch_vccnz .LBB292_20
; %bb.2:
	s_load_b32 s2, s[0:1], 0xd3c
	v_cmp_gt_u64_e64 s3, 0x10000, s[6:7]
	v_lshlrev_b32_e32 v1, 1, v0
	s_waitcnt lgkmcnt(0)
	s_and_b32 s2, s2, 0xffff
	s_delay_alu instid0(VALU_DEP_2)
	s_and_b32 s3, s3, exec_lo
	v_add_co_u32 v5, s5, v0, s2
	s_cselect_b32 s13, s7, 0
	s_cselect_b32 s12, s6, 0x10000
	s_lshl_b32 s3, s2, 1
	s_lshl_b32 s16, s2, 2
	v_lshlrev_b32_e32 v3, 1, v5
	v_add_co_ci_u32_e64 v6, null, 0, 0, s5
	s_add_u32 s5, s8, s10
	v_add_co_u32 v9, s3, s3, v0
	s_mul_i32 s4, s2, 3
	s_addc_u32 s14, s9, s11
	v_add_co_ci_u32_e64 v10, null, 0, 0, s3
	v_add_co_u32 v1, s3, s5, v1
	v_add_co_u32 v7, s4, s4, v0
	v_add_co_ci_u32_e64 v2, null, s14, 0, s3
	v_add_co_u32 v3, s3, s5, v3
	v_add_co_ci_u32_e64 v8, null, 0, 0, s4
	v_add_co_ci_u32_e64 v4, null, s14, 0, s3
	s_lshl_b32 s17, s2, 3
	s_mul_i32 s18, s2, 6
	s_mov_b64 s[14:15], 0
	s_branch .LBB292_4
.LBB292_3:                              ;   in Loop: Header=BB292_4 Depth=1
	s_or_b32 exec_lo, exec_lo, s2
	s_add_u32 s14, s14, s16
	s_addc_u32 s15, s15, 0
	v_add_co_u32 v1, vcc_lo, v1, s17
	v_cmp_lt_i64_e64 s2, s[14:15], s[6:7]
	v_cmp_gt_u64_e64 s3, 0x10000, s[14:15]
	v_add_co_ci_u32_e32 v2, vcc_lo, 0, v2, vcc_lo
	v_add_co_u32 v3, vcc_lo, v3, s17
	v_add_co_ci_u32_e32 v4, vcc_lo, 0, v4, vcc_lo
	s_delay_alu instid0(VALU_DEP_4) | instskip(NEXT) | instid1(SALU_CYCLE_1)
	s_and_b32 s2, s2, s3
	s_and_b32 vcc_lo, exec_lo, s2
	s_cbranch_vccz .LBB292_20
.LBB292_4:                              ; =>This Inner Loop Header: Depth=1
	s_waitcnt vmcnt(0)
	v_add_co_u32 v11, s2, v0, s14
	s_delay_alu instid0(VALU_DEP_1) | instskip(NEXT) | instid1(VALU_DEP_1)
	v_add_co_ci_u32_e64 v12, null, 0, s15, s2
	v_cmp_gt_u64_e32 vcc_lo, s[12:13], v[11:12]
	v_mov_b32_e32 v12, 0
	s_and_saveexec_b32 s2, vcc_lo
	s_cbranch_execz .LBB292_6
; %bb.5:                                ;   in Loop: Header=BB292_4 Depth=1
	global_load_u16 v12, v[1:2], off
.LBB292_6:                              ;   in Loop: Header=BB292_4 Depth=1
	s_or_b32 exec_lo, exec_lo, s2
	v_add_co_u32 v13, s2, v5, s14
	s_delay_alu instid0(VALU_DEP_1) | instskip(NEXT) | instid1(VALU_DEP_1)
	v_add_co_ci_u32_e64 v14, s2, s15, v6, s2
	v_cmp_gt_u64_e64 s2, s[12:13], v[13:14]
	v_mov_b32_e32 v13, 0
	s_delay_alu instid0(VALU_DEP_2)
	s_and_saveexec_b32 s3, s2
	s_cbranch_execz .LBB292_8
; %bb.7:                                ;   in Loop: Header=BB292_4 Depth=1
	global_load_u16 v13, v[3:4], off
.LBB292_8:                              ;   in Loop: Header=BB292_4 Depth=1
	s_or_b32 exec_lo, exec_lo, s3
	v_add_co_u32 v14, s3, v9, s14
	s_delay_alu instid0(VALU_DEP_1) | instskip(SKIP_1) | instid1(VALU_DEP_2)
	v_add_co_ci_u32_e64 v15, s3, s15, v10, s3
	v_mov_b32_e32 v11, 0
	v_cmp_gt_u64_e64 s3, s[12:13], v[14:15]
	v_mov_b32_e32 v14, 0
	s_delay_alu instid0(VALU_DEP_2)
	s_and_saveexec_b32 s5, s3
	s_cbranch_execz .LBB292_10
; %bb.9:                                ;   in Loop: Header=BB292_4 Depth=1
	v_add_co_u32 v14, s4, v1, s16
	s_delay_alu instid0(VALU_DEP_1)
	v_add_co_ci_u32_e64 v15, s4, 0, v2, s4
	global_load_u16 v14, v[14:15], off
.LBB292_10:                             ;   in Loop: Header=BB292_4 Depth=1
	s_or_b32 exec_lo, exec_lo, s5
	v_add_co_u32 v15, s4, v7, s14
	s_delay_alu instid0(VALU_DEP_1) | instskip(NEXT) | instid1(VALU_DEP_1)
	v_add_co_ci_u32_e64 v16, s4, s15, v8, s4
	v_cmp_gt_u64_e64 s4, s[12:13], v[15:16]
	s_delay_alu instid0(VALU_DEP_1)
	s_and_saveexec_b32 s19, s4
	s_cbranch_execnz .LBB292_15
; %bb.11:                               ;   in Loop: Header=BB292_4 Depth=1
	s_or_b32 exec_lo, exec_lo, s19
	s_and_saveexec_b32 s5, vcc_lo
	s_cbranch_execnz .LBB292_16
.LBB292_12:                             ;   in Loop: Header=BB292_4 Depth=1
	s_or_b32 exec_lo, exec_lo, s5
	s_and_saveexec_b32 s5, s2
	s_cbranch_execnz .LBB292_17
.LBB292_13:                             ;   in Loop: Header=BB292_4 Depth=1
	s_or_b32 exec_lo, exec_lo, s5
	s_and_saveexec_b32 s2, s3
	s_cbranch_execnz .LBB292_18
.LBB292_14:                             ;   in Loop: Header=BB292_4 Depth=1
	s_or_b32 exec_lo, exec_lo, s2
	s_and_saveexec_b32 s2, s4
	s_cbranch_execz .LBB292_3
	s_branch .LBB292_19
.LBB292_15:                             ;   in Loop: Header=BB292_4 Depth=1
	v_add_co_u32 v15, s5, v1, s18
	s_delay_alu instid0(VALU_DEP_1)
	v_add_co_ci_u32_e64 v16, s5, 0, v2, s5
	global_load_u16 v11, v[15:16], off
	s_or_b32 exec_lo, exec_lo, s19
	s_and_saveexec_b32 s5, vcc_lo
	s_cbranch_execz .LBB292_12
.LBB292_16:                             ;   in Loop: Header=BB292_4 Depth=1
	s_waitcnt vmcnt(0)
	v_cmp_lt_f16_e32 vcc_lo, 0, v12
	v_cndmask_b32_e64 v15, 0, 1, vcc_lo
	v_cmp_gt_f16_e32 vcc_lo, 0, v12
	s_delay_alu instid0(VALU_DEP_2) | instskip(NEXT) | instid1(VALU_DEP_1)
	v_subrev_co_ci_u32_e32 v12, vcc_lo, 0, v15, vcc_lo
	v_cvt_f32_i32_e32 v12, v12
	s_delay_alu instid0(VALU_DEP_1)
	v_cvt_f16_f32_e32 v12, v12
	global_store_b16 v[1:2], v12, off
	s_or_b32 exec_lo, exec_lo, s5
	s_and_saveexec_b32 s5, s2
	s_cbranch_execz .LBB292_13
.LBB292_17:                             ;   in Loop: Header=BB292_4 Depth=1
	s_waitcnt vmcnt(0)
	v_cmp_lt_f16_e32 vcc_lo, 0, v13
	v_cndmask_b32_e64 v12, 0, 1, vcc_lo
	v_cmp_gt_f16_e32 vcc_lo, 0, v13
	s_delay_alu instid0(VALU_DEP_2) | instskip(NEXT) | instid1(VALU_DEP_1)
	v_subrev_co_ci_u32_e32 v12, vcc_lo, 0, v12, vcc_lo
	v_cvt_f32_i32_e32 v12, v12
	s_delay_alu instid0(VALU_DEP_1)
	v_cvt_f16_f32_e32 v12, v12
	global_store_b16 v[3:4], v12, off
	s_or_b32 exec_lo, exec_lo, s5
	s_and_saveexec_b32 s2, s3
	s_cbranch_execz .LBB292_14
.LBB292_18:                             ;   in Loop: Header=BB292_4 Depth=1
	s_waitcnt vmcnt(0)
	v_cmp_lt_f16_e32 vcc_lo, 0, v14
	v_cndmask_b32_e64 v12, 0, 1, vcc_lo
	v_cmp_gt_f16_e32 vcc_lo, 0, v14
	s_delay_alu instid0(VALU_DEP_2) | instskip(NEXT) | instid1(VALU_DEP_1)
	v_subrev_co_ci_u32_e32 v12, vcc_lo, 0, v12, vcc_lo
	v_cvt_f32_i32_e32 v12, v12
	s_delay_alu instid0(VALU_DEP_1)
	v_cvt_f16_f32_e32 v14, v12
	v_add_co_u32 v12, vcc_lo, v1, s16
	v_add_co_ci_u32_e32 v13, vcc_lo, 0, v2, vcc_lo
	global_store_b16 v[12:13], v14, off
	s_or_b32 exec_lo, exec_lo, s2
	s_and_saveexec_b32 s2, s4
	s_cbranch_execz .LBB292_3
.LBB292_19:                             ;   in Loop: Header=BB292_4 Depth=1
	s_waitcnt vmcnt(0)
	v_cmp_lt_f16_e32 vcc_lo, 0, v11
	v_cndmask_b32_e64 v12, 0, 1, vcc_lo
	v_cmp_gt_f16_e32 vcc_lo, 0, v11
	s_delay_alu instid0(VALU_DEP_2) | instskip(NEXT) | instid1(VALU_DEP_1)
	v_subrev_co_ci_u32_e32 v11, vcc_lo, 0, v12, vcc_lo
	v_cvt_f32_i32_e32 v11, v11
	s_delay_alu instid0(VALU_DEP_1)
	v_cvt_f16_f32_e32 v13, v11
	v_add_co_u32 v11, vcc_lo, v1, s18
	v_add_co_ci_u32_e32 v12, vcc_lo, 0, v2, vcc_lo
	global_store_b16 v[11:12], v13, off
	s_branch .LBB292_3
.LBB292_20:
	s_cbranch_execz .LBB292_22
	s_branch .LBB292_25
.LBB292_21:
.LBB292_22:
	v_dual_mov_b32 v2, 0 :: v_dual_lshlrev_b32 v1, 2, v0
	s_mov_b32 s2, 0
	s_mov_b32 s3, exec_lo
	s_delay_alu instid0(VALU_DEP_1)
	v_cmpx_gt_i64_e64 s[6:7], v[1:2]
	s_cbranch_execz .LBB292_25
; %bb.23:
	s_load_b32 s0, s[0:1], 0xd3c
	v_lshlrev_b32_e32 v1, 3, v0
	s_waitcnt lgkmcnt(0)
	s_and_b32 s0, s0, 0xffff
	s_delay_alu instid0(SALU_CYCLE_1) | instskip(SKIP_3) | instid1(VALU_DEP_1)
	s_lshl_b32 s3, s0, 2
	s_add_u32 s1, s8, s10
	s_addc_u32 s4, s9, s11
	v_add_co_u32 v3, s1, s1, v1
	v_add_co_ci_u32_e64 v4, null, s4, 0, s1
	v_add_lshl_u32 v1, v0, s0, 2
	s_delay_alu instid0(VALU_DEP_3) | instskip(NEXT) | instid1(VALU_DEP_3)
	v_add_co_u32 v3, vcc_lo, v3, 4
	v_add_co_ci_u32_e32 v4, vcc_lo, 0, v4, vcc_lo
	s_lshl_b32 s4, s0, 3
.LBB292_24:                             ; =>This Inner Loop Header: Depth=1
	global_load_b64 v[5:6], v[3:4], off offset:-4
	v_cmp_lt_u64_e64 s0, 0xffff, v[1:2]
	s_waitcnt vmcnt(0)
	v_cmp_lt_f16_e32 vcc_lo, 0, v5
	v_lshrrev_b32_e32 v0, 16, v5
	v_lshrrev_b32_e32 v7, 16, v6
	v_cndmask_b32_e64 v8, 0, 1, vcc_lo
	v_cmp_lt_f16_e32 vcc_lo, 0, v6
	v_cndmask_b32_e64 v9, 0, 1, vcc_lo
	v_cmp_gt_f16_e32 vcc_lo, 0, v5
	s_delay_alu instid0(VALU_DEP_4) | instskip(SKIP_1) | instid1(VALU_DEP_2)
	v_subrev_co_ci_u32_e32 v5, vcc_lo, 0, v8, vcc_lo
	v_cmp_lt_f16_e32 vcc_lo, 0, v0
	v_cvt_f32_i32_e32 v5, v5
	v_cndmask_b32_e64 v8, 0, 1, vcc_lo
	v_cmp_lt_f16_e32 vcc_lo, 0, v7
	s_delay_alu instid0(VALU_DEP_3) | instskip(SKIP_4) | instid1(VALU_DEP_2)
	v_cvt_f16_f32_e32 v5, v5
	v_cndmask_b32_e64 v10, 0, 1, vcc_lo
	v_cmp_gt_f16_e32 vcc_lo, 0, v6
	v_subrev_co_ci_u32_e32 v6, vcc_lo, 0, v9, vcc_lo
	v_cmp_gt_f16_e32 vcc_lo, 0, v7
	v_cvt_f32_i32_e32 v6, v6
	v_subrev_co_ci_u32_e32 v7, vcc_lo, 0, v10, vcc_lo
	v_cmp_gt_f16_e32 vcc_lo, 0, v0
	s_delay_alu instid0(VALU_DEP_3) | instskip(NEXT) | instid1(VALU_DEP_3)
	v_cvt_f16_f32_e32 v6, v6
	v_cvt_f32_i32_e32 v7, v7
	v_subrev_co_ci_u32_e32 v0, vcc_lo, 0, v8, vcc_lo
	v_cmp_le_i64_e32 vcc_lo, s[6:7], v[1:2]
	s_delay_alu instid0(VALU_DEP_3) | instskip(SKIP_1) | instid1(VALU_DEP_4)
	v_cvt_f16_f32_e32 v7, v7
	v_add_co_u32 v1, s1, v1, s3
	v_cvt_f32_i32_e32 v0, v0
	v_add_co_ci_u32_e64 v2, s1, 0, v2, s1
	s_delay_alu instid0(VALU_DEP_4) | instskip(SKIP_1) | instid1(VALU_DEP_3)
	v_pack_b32_f16 v6, v6, v7
	s_or_b32 s0, vcc_lo, s0
	v_cvt_f16_f32_e32 v0, v0
	s_and_b32 s0, exec_lo, s0
	s_delay_alu instid0(SALU_CYCLE_1) | instskip(NEXT) | instid1(VALU_DEP_1)
	s_or_b32 s2, s0, s2
	v_pack_b32_f16 v5, v5, v0
	global_store_b64 v[3:4], v[5:6], off offset:-4
	v_add_co_u32 v3, vcc_lo, v3, s4
	v_add_co_ci_u32_e32 v4, vcc_lo, 0, v4, vcc_lo
	s_and_not1_b32 exec_lo, exec_lo, s2
	s_cbranch_execnz .LBB292_24
.LBB292_25:
	s_nop 0
	s_sendmsg sendmsg(MSG_DEALLOC_VGPRS)
	s_endpgm
	.section	.rodata,"a",@progbits
	.p2align	6, 0x0
	.amdhsa_kernel _ZN2at6native12_GLOBAL__N_125multi_tensor_apply_kernelINS1_18TensorListMetadataILi1EEENS1_14UnaryOpFunctorIN3c104HalfELi1ELi1ELi0EEEJNS0_4SignIfEEEEEvT_T0_DpT1_
		.amdhsa_group_segment_fixed_size 0
		.amdhsa_private_segment_fixed_size 0
		.amdhsa_kernarg_size 3632
		.amdhsa_user_sgpr_count 15
		.amdhsa_user_sgpr_dispatch_ptr 0
		.amdhsa_user_sgpr_queue_ptr 0
		.amdhsa_user_sgpr_kernarg_segment_ptr 1
		.amdhsa_user_sgpr_dispatch_id 0
		.amdhsa_user_sgpr_private_segment_size 0
		.amdhsa_wavefront_size32 1
		.amdhsa_uses_dynamic_stack 0
		.amdhsa_enable_private_segment 0
		.amdhsa_system_sgpr_workgroup_id_x 1
		.amdhsa_system_sgpr_workgroup_id_y 0
		.amdhsa_system_sgpr_workgroup_id_z 0
		.amdhsa_system_sgpr_workgroup_info 0
		.amdhsa_system_vgpr_workitem_id 0
		.amdhsa_next_free_vgpr 17
		.amdhsa_next_free_sgpr 20
		.amdhsa_reserve_vcc 1
		.amdhsa_float_round_mode_32 0
		.amdhsa_float_round_mode_16_64 0
		.amdhsa_float_denorm_mode_32 3
		.amdhsa_float_denorm_mode_16_64 3
		.amdhsa_dx10_clamp 1
		.amdhsa_ieee_mode 1
		.amdhsa_fp16_overflow 0
		.amdhsa_workgroup_processor_mode 1
		.amdhsa_memory_ordered 1
		.amdhsa_forward_progress 0
		.amdhsa_shared_vgpr_count 0
		.amdhsa_exception_fp_ieee_invalid_op 0
		.amdhsa_exception_fp_denorm_src 0
		.amdhsa_exception_fp_ieee_div_zero 0
		.amdhsa_exception_fp_ieee_overflow 0
		.amdhsa_exception_fp_ieee_underflow 0
		.amdhsa_exception_fp_ieee_inexact 0
		.amdhsa_exception_int_div_zero 0
	.end_amdhsa_kernel
	.section	.text._ZN2at6native12_GLOBAL__N_125multi_tensor_apply_kernelINS1_18TensorListMetadataILi1EEENS1_14UnaryOpFunctorIN3c104HalfELi1ELi1ELi0EEEJNS0_4SignIfEEEEEvT_T0_DpT1_,"axG",@progbits,_ZN2at6native12_GLOBAL__N_125multi_tensor_apply_kernelINS1_18TensorListMetadataILi1EEENS1_14UnaryOpFunctorIN3c104HalfELi1ELi1ELi0EEEJNS0_4SignIfEEEEEvT_T0_DpT1_,comdat
.Lfunc_end292:
	.size	_ZN2at6native12_GLOBAL__N_125multi_tensor_apply_kernelINS1_18TensorListMetadataILi1EEENS1_14UnaryOpFunctorIN3c104HalfELi1ELi1ELi0EEEJNS0_4SignIfEEEEEvT_T0_DpT1_, .Lfunc_end292-_ZN2at6native12_GLOBAL__N_125multi_tensor_apply_kernelINS1_18TensorListMetadataILi1EEENS1_14UnaryOpFunctorIN3c104HalfELi1ELi1ELi0EEEJNS0_4SignIfEEEEEvT_T0_DpT1_
                                        ; -- End function
	.section	.AMDGPU.csdata,"",@progbits
; Kernel info:
; codeLenInByte = 1364
; NumSgprs: 22
; NumVgprs: 17
; ScratchSize: 0
; MemoryBound: 0
; FloatMode: 240
; IeeeMode: 1
; LDSByteSize: 0 bytes/workgroup (compile time only)
; SGPRBlocks: 2
; VGPRBlocks: 2
; NumSGPRsForWavesPerEU: 22
; NumVGPRsForWavesPerEU: 17
; Occupancy: 16
; WaveLimiterHint : 0
; COMPUTE_PGM_RSRC2:SCRATCH_EN: 0
; COMPUTE_PGM_RSRC2:USER_SGPR: 15
; COMPUTE_PGM_RSRC2:TRAP_HANDLER: 0
; COMPUTE_PGM_RSRC2:TGID_X_EN: 1
; COMPUTE_PGM_RSRC2:TGID_Y_EN: 0
; COMPUTE_PGM_RSRC2:TGID_Z_EN: 0
; COMPUTE_PGM_RSRC2:TIDIG_COMP_CNT: 0
	.section	.text._ZN2at6native12_GLOBAL__N_125multi_tensor_apply_kernelINS1_18TensorListMetadataILi1EEENS1_14UnaryOpFunctorIN3c108BFloat16ELi1ELi1ELi0EEEJNS0_4SignIfEEEEEvT_T0_DpT1_,"axG",@progbits,_ZN2at6native12_GLOBAL__N_125multi_tensor_apply_kernelINS1_18TensorListMetadataILi1EEENS1_14UnaryOpFunctorIN3c108BFloat16ELi1ELi1ELi0EEEJNS0_4SignIfEEEEEvT_T0_DpT1_,comdat
	.globl	_ZN2at6native12_GLOBAL__N_125multi_tensor_apply_kernelINS1_18TensorListMetadataILi1EEENS1_14UnaryOpFunctorIN3c108BFloat16ELi1ELi1ELi0EEEJNS0_4SignIfEEEEEvT_T0_DpT1_ ; -- Begin function _ZN2at6native12_GLOBAL__N_125multi_tensor_apply_kernelINS1_18TensorListMetadataILi1EEENS1_14UnaryOpFunctorIN3c108BFloat16ELi1ELi1ELi0EEEJNS0_4SignIfEEEEEvT_T0_DpT1_
	.p2align	8
	.type	_ZN2at6native12_GLOBAL__N_125multi_tensor_apply_kernelINS1_18TensorListMetadataILi1EEENS1_14UnaryOpFunctorIN3c108BFloat16ELi1ELi1ELi0EEEJNS0_4SignIfEEEEEvT_T0_DpT1_,@function
_ZN2at6native12_GLOBAL__N_125multi_tensor_apply_kernelINS1_18TensorListMetadataILi1EEENS1_14UnaryOpFunctorIN3c108BFloat16ELi1ELi1ELi0EEEJNS0_4SignIfEEEEEvT_T0_DpT1_: ; @_ZN2at6native12_GLOBAL__N_125multi_tensor_apply_kernelINS1_18TensorListMetadataILi1EEENS1_14UnaryOpFunctorIN3c108BFloat16ELi1ELi1ELi0EEEJNS0_4SignIfEEEEEvT_T0_DpT1_
; %bb.0:
	v_mov_b32_e32 v1, s15
	s_add_u32 s2, s0, s15
	s_mul_hi_u32 s3, s15, 3
	s_mul_i32 s15, s15, 3
	s_addc_u32 s4, s1, 0
	global_load_u8 v1, v1, s[0:1] offset:1760
	s_add_u32 s2, s2, s15
	s_addc_u32 s3, s4, s3
	s_mov_b32 s13, 0
	s_load_b32 s2, s[2:3], 0x820
	s_waitcnt vmcnt(0)
	v_readfirstlane_b32 s5, v1
	s_delay_alu instid0(VALU_DEP_1)
	s_lshl_b32 s3, s5, 3
	s_clause 0x1
	s_load_b64 s[8:9], s[0:1], s3 offset:0x0
	s_load_b64 s[4:5], s[0:1], s3 offset:0x370
	s_waitcnt lgkmcnt(0)
	s_ashr_i32 s3, s2, 31
	s_delay_alu instid0(SALU_CYCLE_1)
	s_lshl_b64 s[10:11], s[2:3], 17
	s_lshl_b64 s[2:3], s[2:3], 16
	s_and_b32 s12, s8, 7
	s_sub_u32 s6, s4, s2
	s_subb_u32 s7, s5, s3
	s_and_b32 s2, s4, 3
	s_mov_b32 s3, s13
	s_delay_alu instid0(SALU_CYCLE_1) | instskip(NEXT) | instid1(SALU_CYCLE_1)
	s_or_b64 s[2:3], s[12:13], s[2:3]
	s_cmp_eq_u64 s[2:3], 0
	s_cbranch_scc1 .LBB293_21
; %bb.1:
	v_cmp_lt_i64_e64 s2, s[6:7], 1
	s_delay_alu instid0(VALU_DEP_1)
	s_and_b32 vcc_lo, exec_lo, s2
	s_cbranch_vccnz .LBB293_20
; %bb.2:
	s_load_b32 s2, s[0:1], 0xd3c
	v_cmp_gt_u64_e64 s3, 0x10000, s[6:7]
	v_lshlrev_b32_e32 v1, 1, v0
	s_waitcnt lgkmcnt(0)
	s_and_b32 s2, s2, 0xffff
	s_delay_alu instid0(VALU_DEP_2)
	s_and_b32 s3, s3, exec_lo
	v_add_co_u32 v5, s5, v0, s2
	s_cselect_b32 s13, s7, 0
	s_cselect_b32 s12, s6, 0x10000
	s_lshl_b32 s3, s2, 1
	s_lshl_b32 s16, s2, 2
	v_lshlrev_b32_e32 v3, 1, v5
	v_add_co_ci_u32_e64 v6, null, 0, 0, s5
	s_add_u32 s5, s8, s10
	v_add_co_u32 v9, s3, s3, v0
	s_mul_i32 s4, s2, 3
	s_addc_u32 s14, s9, s11
	v_add_co_ci_u32_e64 v10, null, 0, 0, s3
	v_add_co_u32 v1, s3, s5, v1
	v_add_co_u32 v7, s4, s4, v0
	v_add_co_ci_u32_e64 v2, null, s14, 0, s3
	v_add_co_u32 v3, s3, s5, v3
	v_add_co_ci_u32_e64 v8, null, 0, 0, s4
	v_add_co_ci_u32_e64 v4, null, s14, 0, s3
	s_lshl_b32 s17, s2, 3
	s_mul_i32 s18, s2, 6
	s_mov_b64 s[14:15], 0
	s_branch .LBB293_4
.LBB293_3:                              ;   in Loop: Header=BB293_4 Depth=1
	s_or_b32 exec_lo, exec_lo, s2
	s_add_u32 s14, s14, s16
	s_addc_u32 s15, s15, 0
	v_add_co_u32 v1, vcc_lo, v1, s17
	v_cmp_lt_i64_e64 s2, s[14:15], s[6:7]
	v_cmp_gt_u64_e64 s3, 0x10000, s[14:15]
	v_add_co_ci_u32_e32 v2, vcc_lo, 0, v2, vcc_lo
	v_add_co_u32 v3, vcc_lo, v3, s17
	v_add_co_ci_u32_e32 v4, vcc_lo, 0, v4, vcc_lo
	s_delay_alu instid0(VALU_DEP_4) | instskip(NEXT) | instid1(SALU_CYCLE_1)
	s_and_b32 s2, s2, s3
	s_and_b32 vcc_lo, exec_lo, s2
	s_cbranch_vccz .LBB293_20
.LBB293_4:                              ; =>This Inner Loop Header: Depth=1
	s_waitcnt vmcnt(0)
	v_add_co_u32 v11, s2, v0, s14
	s_delay_alu instid0(VALU_DEP_1) | instskip(SKIP_1) | instid1(VALU_DEP_2)
	v_add_co_ci_u32_e64 v12, null, 0, s15, s2
	v_mov_b32_e32 v13, 0
	v_cmp_gt_u64_e64 s3, s[12:13], v[11:12]
	s_delay_alu instid0(VALU_DEP_1)
	s_and_saveexec_b32 s2, s3
	s_cbranch_execz .LBB293_6
; %bb.5:                                ;   in Loop: Header=BB293_4 Depth=1
	global_load_u16 v13, v[1:2], off
.LBB293_6:                              ;   in Loop: Header=BB293_4 Depth=1
	s_or_b32 exec_lo, exec_lo, s2
	v_add_co_u32 v11, vcc_lo, v5, s14
	v_add_co_ci_u32_e32 v12, vcc_lo, s15, v6, vcc_lo
	s_delay_alu instid0(VALU_DEP_1)
	v_cmp_gt_u64_e32 vcc_lo, s[12:13], v[11:12]
	v_mov_b32_e32 v12, 0
	s_and_saveexec_b32 s2, vcc_lo
	s_cbranch_execz .LBB293_8
; %bb.7:                                ;   in Loop: Header=BB293_4 Depth=1
	global_load_u16 v12, v[3:4], off
.LBB293_8:                              ;   in Loop: Header=BB293_4 Depth=1
	s_or_b32 exec_lo, exec_lo, s2
	v_add_co_u32 v14, s2, v9, s14
	s_delay_alu instid0(VALU_DEP_1) | instskip(SKIP_1) | instid1(VALU_DEP_2)
	v_add_co_ci_u32_e64 v15, s2, s15, v10, s2
	v_mov_b32_e32 v11, 0
	v_cmp_gt_u64_e64 s2, s[12:13], v[14:15]
	v_mov_b32_e32 v14, 0
	s_delay_alu instid0(VALU_DEP_2)
	s_and_saveexec_b32 s5, s2
	s_cbranch_execz .LBB293_10
; %bb.9:                                ;   in Loop: Header=BB293_4 Depth=1
	v_add_co_u32 v14, s4, v1, s16
	s_delay_alu instid0(VALU_DEP_1)
	v_add_co_ci_u32_e64 v15, s4, 0, v2, s4
	global_load_u16 v14, v[14:15], off
.LBB293_10:                             ;   in Loop: Header=BB293_4 Depth=1
	s_or_b32 exec_lo, exec_lo, s5
	v_add_co_u32 v15, s4, v7, s14
	s_delay_alu instid0(VALU_DEP_1) | instskip(NEXT) | instid1(VALU_DEP_1)
	v_add_co_ci_u32_e64 v16, s4, s15, v8, s4
	v_cmp_gt_u64_e64 s4, s[12:13], v[15:16]
	s_delay_alu instid0(VALU_DEP_1)
	s_and_saveexec_b32 s19, s4
	s_cbranch_execnz .LBB293_15
; %bb.11:                               ;   in Loop: Header=BB293_4 Depth=1
	s_or_b32 exec_lo, exec_lo, s19
	s_and_saveexec_b32 s5, s3
	s_cbranch_execnz .LBB293_16
.LBB293_12:                             ;   in Loop: Header=BB293_4 Depth=1
	s_or_b32 exec_lo, exec_lo, s5
	s_and_saveexec_b32 s3, vcc_lo
	s_cbranch_execnz .LBB293_17
.LBB293_13:                             ;   in Loop: Header=BB293_4 Depth=1
	s_or_b32 exec_lo, exec_lo, s3
	s_and_saveexec_b32 s3, s2
	s_cbranch_execnz .LBB293_18
.LBB293_14:                             ;   in Loop: Header=BB293_4 Depth=1
	s_or_b32 exec_lo, exec_lo, s3
	s_and_saveexec_b32 s2, s4
	s_cbranch_execz .LBB293_3
	s_branch .LBB293_19
.LBB293_15:                             ;   in Loop: Header=BB293_4 Depth=1
	v_add_co_u32 v15, s5, v1, s18
	s_delay_alu instid0(VALU_DEP_1)
	v_add_co_ci_u32_e64 v16, s5, 0, v2, s5
	global_load_u16 v11, v[15:16], off
	s_or_b32 exec_lo, exec_lo, s19
	s_and_saveexec_b32 s5, s3
	s_cbranch_execz .LBB293_12
.LBB293_16:                             ;   in Loop: Header=BB293_4 Depth=1
	s_waitcnt vmcnt(0)
	v_lshlrev_b32_e32 v13, 16, v13
	s_delay_alu instid0(VALU_DEP_1) | instskip(NEXT) | instid1(VALU_DEP_1)
	v_cmp_lt_f32_e64 s3, 0, v13
	v_cndmask_b32_e64 v15, 0, 1, s3
	v_cmp_gt_f32_e64 s3, 0, v13
	s_delay_alu instid0(VALU_DEP_1) | instskip(NEXT) | instid1(VALU_DEP_1)
	v_subrev_co_ci_u32_e64 v13, s3, 0, v15, s3
	v_cvt_f32_i32_e32 v13, v13
	s_delay_alu instid0(VALU_DEP_1) | instskip(NEXT) | instid1(VALU_DEP_1)
	v_bfe_u32 v15, v13, 16, 1
	v_add3_u32 v13, v13, v15, 0x7fff
	global_store_d16_hi_b16 v[1:2], v13, off
	s_or_b32 exec_lo, exec_lo, s5
	s_and_saveexec_b32 s3, vcc_lo
	s_cbranch_execz .LBB293_13
.LBB293_17:                             ;   in Loop: Header=BB293_4 Depth=1
	s_waitcnt vmcnt(0)
	v_lshlrev_b32_e32 v12, 16, v12
	s_delay_alu instid0(VALU_DEP_1) | instskip(SKIP_2) | instid1(VALU_DEP_2)
	v_cmp_lt_f32_e32 vcc_lo, 0, v12
	v_cndmask_b32_e64 v13, 0, 1, vcc_lo
	v_cmp_gt_f32_e32 vcc_lo, 0, v12
	v_subrev_co_ci_u32_e32 v12, vcc_lo, 0, v13, vcc_lo
	s_delay_alu instid0(VALU_DEP_1) | instskip(NEXT) | instid1(VALU_DEP_1)
	v_cvt_f32_i32_e32 v12, v12
	v_bfe_u32 v13, v12, 16, 1
	s_delay_alu instid0(VALU_DEP_1)
	v_add3_u32 v12, v12, v13, 0x7fff
	global_store_d16_hi_b16 v[3:4], v12, off
	s_or_b32 exec_lo, exec_lo, s3
	s_and_saveexec_b32 s3, s2
	s_cbranch_execz .LBB293_14
.LBB293_18:                             ;   in Loop: Header=BB293_4 Depth=1
	s_waitcnt vmcnt(0)
	v_lshlrev_b32_e32 v12, 16, v14
	s_delay_alu instid0(VALU_DEP_1) | instskip(SKIP_2) | instid1(VALU_DEP_2)
	v_cmp_lt_f32_e32 vcc_lo, 0, v12
	v_cndmask_b32_e64 v13, 0, 1, vcc_lo
	v_cmp_gt_f32_e32 vcc_lo, 0, v12
	v_subrev_co_ci_u32_e32 v12, vcc_lo, 0, v13, vcc_lo
	s_delay_alu instid0(VALU_DEP_1) | instskip(NEXT) | instid1(VALU_DEP_1)
	v_cvt_f32_i32_e32 v12, v12
	v_bfe_u32 v13, v12, 16, 1
	s_delay_alu instid0(VALU_DEP_1)
	v_add3_u32 v14, v12, v13, 0x7fff
	v_add_co_u32 v12, vcc_lo, v1, s16
	v_add_co_ci_u32_e32 v13, vcc_lo, 0, v2, vcc_lo
	global_store_d16_hi_b16 v[12:13], v14, off
	s_or_b32 exec_lo, exec_lo, s3
	s_and_saveexec_b32 s2, s4
	s_cbranch_execz .LBB293_3
.LBB293_19:                             ;   in Loop: Header=BB293_4 Depth=1
	s_waitcnt vmcnt(0)
	v_lshlrev_b32_e32 v11, 16, v11
	s_delay_alu instid0(VALU_DEP_1) | instskip(SKIP_2) | instid1(VALU_DEP_2)
	v_cmp_lt_f32_e32 vcc_lo, 0, v11
	v_cndmask_b32_e64 v12, 0, 1, vcc_lo
	v_cmp_gt_f32_e32 vcc_lo, 0, v11
	v_subrev_co_ci_u32_e32 v11, vcc_lo, 0, v12, vcc_lo
	s_delay_alu instid0(VALU_DEP_1) | instskip(NEXT) | instid1(VALU_DEP_1)
	v_cvt_f32_i32_e32 v11, v11
	v_bfe_u32 v12, v11, 16, 1
	s_delay_alu instid0(VALU_DEP_1)
	v_add3_u32 v13, v11, v12, 0x7fff
	v_add_co_u32 v11, vcc_lo, v1, s18
	v_add_co_ci_u32_e32 v12, vcc_lo, 0, v2, vcc_lo
	global_store_d16_hi_b16 v[11:12], v13, off
	s_branch .LBB293_3
.LBB293_20:
	s_cbranch_execz .LBB293_22
	s_branch .LBB293_25
.LBB293_21:
.LBB293_22:
	v_dual_mov_b32 v2, 0 :: v_dual_lshlrev_b32 v1, 2, v0
	s_mov_b32 s2, 0
	s_mov_b32 s3, exec_lo
	s_delay_alu instid0(VALU_DEP_1)
	v_cmpx_gt_i64_e64 s[6:7], v[1:2]
	s_cbranch_execz .LBB293_25
; %bb.23:
	s_load_b32 s0, s[0:1], 0xd3c
	v_lshlrev_b32_e32 v1, 3, v0
	s_waitcnt lgkmcnt(0)
	s_and_b32 s0, s0, 0xffff
	s_add_u32 s1, s8, s10
	s_addc_u32 s3, s9, s11
	v_add_co_u32 v3, s1, s1, v1
	s_delay_alu instid0(VALU_DEP_1)
	v_add_co_ci_u32_e64 v4, null, s3, 0, s1
	v_add_lshl_u32 v1, v0, s0, 2
	s_lshl_b32 s3, s0, 3
	s_lshl_b32 s4, s0, 2
.LBB293_24:                             ; =>This Inner Loop Header: Depth=1
	global_load_b64 v[5:6], v[3:4], off
	v_cmp_lt_u64_e64 s0, 0xffff, v[1:2]
	s_waitcnt vmcnt(0)
	v_lshlrev_b32_e32 v0, 16, v5
	v_and_b32_e32 v7, 0xffff0000, v5
	v_alignbit_b32 v5, v6, v5, 16
	v_and_b32_e32 v6, 0xffff0000, v6
	s_delay_alu instid0(VALU_DEP_4) | instskip(NEXT) | instid1(VALU_DEP_3)
	v_cmp_lt_f32_e32 vcc_lo, 0, v0
	v_and_b32_e32 v5, 0xffff0000, v5
	v_cndmask_b32_e64 v8, 0, 1, vcc_lo
	v_cmp_lt_f32_e32 vcc_lo, 0, v7
	v_cndmask_b32_e64 v9, 0, 1, vcc_lo
	v_cmp_lt_f32_e32 vcc_lo, 0, v6
	v_cndmask_b32_e64 v10, 0, 1, vcc_lo
	v_cmp_gt_f32_e32 vcc_lo, 0, v0
	v_subrev_co_ci_u32_e32 v0, vcc_lo, 0, v8, vcc_lo
	v_cmp_lt_f32_e32 vcc_lo, 0, v5
	s_delay_alu instid0(VALU_DEP_2) | instskip(SKIP_4) | instid1(VALU_DEP_2)
	v_cvt_f32_i32_e32 v0, v0
	v_cndmask_b32_e64 v8, 0, 1, vcc_lo
	v_cmp_gt_f32_e32 vcc_lo, 0, v6
	v_subrev_co_ci_u32_e32 v6, vcc_lo, 0, v10, vcc_lo
	v_cmp_gt_f32_e32 vcc_lo, 0, v5
	v_cvt_f32_i32_e32 v6, v6
	v_subrev_co_ci_u32_e32 v5, vcc_lo, 0, v8, vcc_lo
	v_cmp_gt_f32_e32 vcc_lo, 0, v7
	v_bfe_u32 v8, v0, 16, 1
	s_delay_alu instid0(VALU_DEP_3) | instskip(SKIP_2) | instid1(VALU_DEP_3)
	v_cvt_f32_i32_e32 v5, v5
	v_subrev_co_ci_u32_e32 v7, vcc_lo, 0, v9, vcc_lo
	v_bfe_u32 v9, v6, 16, 1
	v_bfe_u32 v10, v5, 16, 1
	v_add3_u32 v0, v0, v8, 0x7fff
	s_delay_alu instid0(VALU_DEP_4)
	v_cvt_f32_i32_e32 v7, v7
	v_cmp_le_i64_e32 vcc_lo, s[6:7], v[1:2]
	v_add3_u32 v6, v6, v9, 0x7fff
	v_add3_u32 v5, v5, v10, 0x7fff
	v_lshrrev_b32_e32 v0, 16, v0
	v_bfe_u32 v11, v7, 16, 1
	v_add_co_u32 v1, s1, v1, s4
	v_and_b32_e32 v6, 0xffff0000, v6
	v_lshrrev_b32_e32 v8, 16, v5
	s_delay_alu instid0(VALU_DEP_4) | instskip(SKIP_2) | instid1(VALU_DEP_3)
	v_add3_u32 v7, v7, v11, 0x7fff
	s_or_b32 s0, vcc_lo, s0
	v_add_co_ci_u32_e64 v2, s1, 0, v2, s1
	v_or_b32_e32 v6, v6, v8
	s_delay_alu instid0(VALU_DEP_3) | instskip(SKIP_1) | instid1(SALU_CYCLE_1)
	v_and_or_b32 v5, 0xffff0000, v7, v0
	s_and_b32 s0, exec_lo, s0
	s_or_b32 s2, s0, s2
	global_store_b64 v[3:4], v[5:6], off
	v_add_co_u32 v3, vcc_lo, v3, s3
	v_add_co_ci_u32_e32 v4, vcc_lo, 0, v4, vcc_lo
	s_and_not1_b32 exec_lo, exec_lo, s2
	s_cbranch_execnz .LBB293_24
.LBB293_25:
	s_nop 0
	s_sendmsg sendmsg(MSG_DEALLOC_VGPRS)
	s_endpgm
	.section	.rodata,"a",@progbits
	.p2align	6, 0x0
	.amdhsa_kernel _ZN2at6native12_GLOBAL__N_125multi_tensor_apply_kernelINS1_18TensorListMetadataILi1EEENS1_14UnaryOpFunctorIN3c108BFloat16ELi1ELi1ELi0EEEJNS0_4SignIfEEEEEvT_T0_DpT1_
		.amdhsa_group_segment_fixed_size 0
		.amdhsa_private_segment_fixed_size 0
		.amdhsa_kernarg_size 3632
		.amdhsa_user_sgpr_count 15
		.amdhsa_user_sgpr_dispatch_ptr 0
		.amdhsa_user_sgpr_queue_ptr 0
		.amdhsa_user_sgpr_kernarg_segment_ptr 1
		.amdhsa_user_sgpr_dispatch_id 0
		.amdhsa_user_sgpr_private_segment_size 0
		.amdhsa_wavefront_size32 1
		.amdhsa_uses_dynamic_stack 0
		.amdhsa_enable_private_segment 0
		.amdhsa_system_sgpr_workgroup_id_x 1
		.amdhsa_system_sgpr_workgroup_id_y 0
		.amdhsa_system_sgpr_workgroup_id_z 0
		.amdhsa_system_sgpr_workgroup_info 0
		.amdhsa_system_vgpr_workitem_id 0
		.amdhsa_next_free_vgpr 17
		.amdhsa_next_free_sgpr 20
		.amdhsa_reserve_vcc 1
		.amdhsa_float_round_mode_32 0
		.amdhsa_float_round_mode_16_64 0
		.amdhsa_float_denorm_mode_32 3
		.amdhsa_float_denorm_mode_16_64 3
		.amdhsa_dx10_clamp 1
		.amdhsa_ieee_mode 1
		.amdhsa_fp16_overflow 0
		.amdhsa_workgroup_processor_mode 1
		.amdhsa_memory_ordered 1
		.amdhsa_forward_progress 0
		.amdhsa_shared_vgpr_count 0
		.amdhsa_exception_fp_ieee_invalid_op 0
		.amdhsa_exception_fp_denorm_src 0
		.amdhsa_exception_fp_ieee_div_zero 0
		.amdhsa_exception_fp_ieee_overflow 0
		.amdhsa_exception_fp_ieee_underflow 0
		.amdhsa_exception_fp_ieee_inexact 0
		.amdhsa_exception_int_div_zero 0
	.end_amdhsa_kernel
	.section	.text._ZN2at6native12_GLOBAL__N_125multi_tensor_apply_kernelINS1_18TensorListMetadataILi1EEENS1_14UnaryOpFunctorIN3c108BFloat16ELi1ELi1ELi0EEEJNS0_4SignIfEEEEEvT_T0_DpT1_,"axG",@progbits,_ZN2at6native12_GLOBAL__N_125multi_tensor_apply_kernelINS1_18TensorListMetadataILi1EEENS1_14UnaryOpFunctorIN3c108BFloat16ELi1ELi1ELi0EEEJNS0_4SignIfEEEEEvT_T0_DpT1_,comdat
.Lfunc_end293:
	.size	_ZN2at6native12_GLOBAL__N_125multi_tensor_apply_kernelINS1_18TensorListMetadataILi1EEENS1_14UnaryOpFunctorIN3c108BFloat16ELi1ELi1ELi0EEEJNS0_4SignIfEEEEEvT_T0_DpT1_, .Lfunc_end293-_ZN2at6native12_GLOBAL__N_125multi_tensor_apply_kernelINS1_18TensorListMetadataILi1EEENS1_14UnaryOpFunctorIN3c108BFloat16ELi1ELi1ELi0EEEJNS0_4SignIfEEEEEvT_T0_DpT1_
                                        ; -- End function
	.section	.AMDGPU.csdata,"",@progbits
; Kernel info:
; codeLenInByte = 1560
; NumSgprs: 22
; NumVgprs: 17
; ScratchSize: 0
; MemoryBound: 0
; FloatMode: 240
; IeeeMode: 1
; LDSByteSize: 0 bytes/workgroup (compile time only)
; SGPRBlocks: 2
; VGPRBlocks: 2
; NumSGPRsForWavesPerEU: 22
; NumVGPRsForWavesPerEU: 17
; Occupancy: 16
; WaveLimiterHint : 0
; COMPUTE_PGM_RSRC2:SCRATCH_EN: 0
; COMPUTE_PGM_RSRC2:USER_SGPR: 15
; COMPUTE_PGM_RSRC2:TRAP_HANDLER: 0
; COMPUTE_PGM_RSRC2:TGID_X_EN: 1
; COMPUTE_PGM_RSRC2:TGID_Y_EN: 0
; COMPUTE_PGM_RSRC2:TGID_Z_EN: 0
; COMPUTE_PGM_RSRC2:TIDIG_COMP_CNT: 0
	.section	.text._ZN2at6native12_GLOBAL__N_125multi_tensor_apply_kernelINS1_18TensorListMetadataILi2EEENS1_14UnaryOpFunctorIdLi2ELi1ELi1EEEJNS0_5RsqrtIdEEEEEvT_T0_DpT1_,"axG",@progbits,_ZN2at6native12_GLOBAL__N_125multi_tensor_apply_kernelINS1_18TensorListMetadataILi2EEENS1_14UnaryOpFunctorIdLi2ELi1ELi1EEEJNS0_5RsqrtIdEEEEEvT_T0_DpT1_,comdat
	.globl	_ZN2at6native12_GLOBAL__N_125multi_tensor_apply_kernelINS1_18TensorListMetadataILi2EEENS1_14UnaryOpFunctorIdLi2ELi1ELi1EEEJNS0_5RsqrtIdEEEEEvT_T0_DpT1_ ; -- Begin function _ZN2at6native12_GLOBAL__N_125multi_tensor_apply_kernelINS1_18TensorListMetadataILi2EEENS1_14UnaryOpFunctorIdLi2ELi1ELi1EEEJNS0_5RsqrtIdEEEEEvT_T0_DpT1_
	.p2align	8
	.type	_ZN2at6native12_GLOBAL__N_125multi_tensor_apply_kernelINS1_18TensorListMetadataILi2EEENS1_14UnaryOpFunctorIdLi2ELi1ELi1EEEJNS0_5RsqrtIdEEEEEvT_T0_DpT1_,@function
_ZN2at6native12_GLOBAL__N_125multi_tensor_apply_kernelINS1_18TensorListMetadataILi2EEENS1_14UnaryOpFunctorIdLi2ELi1ELi1EEEJNS0_5RsqrtIdEEEEEvT_T0_DpT1_: ; @_ZN2at6native12_GLOBAL__N_125multi_tensor_apply_kernelINS1_18TensorListMetadataILi2EEENS1_14UnaryOpFunctorIdLi2ELi1ELi1EEEJNS0_5RsqrtIdEEEEEvT_T0_DpT1_
; %bb.0:
	v_mov_b32_e32 v1, s15
	s_add_u32 s2, s0, s15
	s_mul_hi_u32 s3, s15, 3
	s_mul_i32 s15, s15, 3
	s_addc_u32 s4, s1, 0
	global_load_u8 v1, v1, s[0:1] offset:1536
	s_add_u32 s2, s2, s15
	s_addc_u32 s3, s4, s3
	s_mov_b32 s7, 0
	s_load_b32 s2, s[2:3], 0x740
	s_mov_b32 s11, s7
	s_mov_b32 s21, s7
	s_waitcnt vmcnt(0)
	v_readfirstlane_b32 s5, v1
	s_delay_alu instid0(VALU_DEP_1)
	s_lshl_b32 s3, s5, 3
	s_clause 0x2
	s_load_b64 s[12:13], s[0:1], s3 offset:0x0
	s_load_b64 s[14:15], s[0:1], s3 offset:0x200
	;; [unrolled: 1-line block ×3, first 2 shown]
	s_waitcnt lgkmcnt(0)
	s_ashr_i32 s3, s2, 31
	s_delay_alu instid0(SALU_CYCLE_1) | instskip(NEXT) | instid1(SALU_CYCLE_1)
	s_lshl_b64 s[8:9], s[2:3], 19
	s_add_u32 s16, s12, s8
	s_addc_u32 s17, s13, s9
	s_and_b32 s6, s16, 31
	s_add_u32 s18, s14, s8
	s_addc_u32 s19, s15, s9
	s_and_b32 s10, s4, 3
	s_and_b32 s20, s18, 31
	s_or_b64 s[6:7], s[6:7], s[10:11]
	s_lshl_b64 s[2:3], s[2:3], 16
	s_or_b64 s[6:7], s[20:21], s[6:7]
	s_sub_u32 s10, s4, s2
	s_subb_u32 s11, s5, s3
	s_cmp_eq_u64 s[6:7], 0
	s_mov_b32 s2, -1
	s_cbranch_scc0 .LBB294_5
; %bb.1:
	v_dual_mov_b32 v2, 0 :: v_dual_lshlrev_b32 v1, 2, v0
	s_mov_b32 s20, exec_lo
	s_delay_alu instid0(VALU_DEP_1)
	v_cmpx_gt_i64_e64 s[10:11], v[1:2]
	s_cbranch_execz .LBB294_4
; %bb.2:
	s_load_b32 s2, s[0:1], 0xc5c
	v_lshlrev_b32_e32 v3, 5, v0
	s_mov_b32 s21, 0
	s_waitcnt lgkmcnt(0)
	s_and_b32 s2, s2, 0xffff
	s_delay_alu instid0(SALU_CYCLE_1)
	v_add_lshl_u32 v1, v0, s2, 2
	s_lshl_b32 s22, s2, 2
	s_lshl_b32 s23, s2, 5
.LBB294_3:                              ; =>This Inner Loop Header: Depth=1
	v_add_co_u32 v8, s2, s16, v3
	s_delay_alu instid0(VALU_DEP_1)
	v_add_co_ci_u32_e64 v9, null, s17, 0, s2
	v_cmp_le_i64_e64 s5, s[10:11], v[1:2]
	v_cmp_lt_u64_e64 s6, 0xffff, v[1:2]
	s_clause 0x1
	global_load_b128 v[4:7], v[8:9], off
	global_load_b128 v[8:11], v[8:9], off offset:16
	s_or_b32 s5, s5, s6
	s_add_u32 s16, s16, s23
	s_addc_u32 s17, s17, 0
	s_waitcnt vmcnt(1)
	v_rsq_f64_e32 v[12:13], v[4:5]
	v_rsq_f64_e32 v[14:15], v[6:7]
	s_waitcnt vmcnt(0)
	v_rsq_f64_e32 v[16:17], v[8:9]
	v_rsq_f64_e32 v[18:19], v[10:11]
	v_mul_f64 v[4:5], v[12:13], -v[4:5]
	s_delay_alu instid0(TRANS32_DEP_3)
	v_mul_f64 v[6:7], v[14:15], -v[6:7]
	s_waitcnt_depctr 0xfff
	v_mul_f64 v[8:9], v[16:17], -v[8:9]
	v_mul_f64 v[10:11], v[18:19], -v[10:11]
	v_cmp_class_f64_e64 vcc_lo, v[12:13], 0x180
	v_cmp_class_f64_e64 s2, v[14:15], 0x180
	v_cmp_class_f64_e64 s3, v[16:17], 0x180
	;; [unrolled: 1-line block ×3, first 2 shown]
	v_fma_f64 v[4:5], v[4:5], v[12:13], 1.0
	v_fma_f64 v[6:7], v[6:7], v[14:15], 1.0
	;; [unrolled: 1-line block ×4, first 2 shown]
	s_delay_alu instid0(VALU_DEP_4)
	v_mul_f64 v[20:21], v[12:13], v[4:5]
	v_fma_f64 v[4:5], 0x3fd80000, v[4:5], 0.5
	v_mul_f64 v[22:23], v[14:15], v[6:7]
	v_fma_f64 v[6:7], 0x3fd80000, v[6:7], 0.5
	;; [unrolled: 2-line block ×4, first 2 shown]
	v_fma_f64 v[4:5], v[20:21], v[4:5], v[12:13]
	v_add_co_u32 v20, s7, s18, v3
	v_fma_f64 v[6:7], v[22:23], v[6:7], v[14:15]
	v_fma_f64 v[8:9], v[24:25], v[8:9], v[16:17]
	v_add_co_ci_u32_e64 v21, null, s19, 0, s7
	v_fma_f64 v[10:11], v[26:27], v[10:11], v[18:19]
	v_add_co_u32 v1, s7, v1, s22
	s_add_u32 s18, s18, s23
	v_add_co_ci_u32_e64 v2, s7, 0, v2, s7
	s_addc_u32 s19, s19, 0
	v_dual_cndmask_b32 v5, v13, v5 :: v_dual_cndmask_b32 v4, v12, v4
	v_cndmask_b32_e64 v7, v15, v7, s2
	v_cndmask_b32_e64 v6, v14, v6, s2
	;; [unrolled: 1-line block ×6, first 2 shown]
	s_and_b32 s2, exec_lo, s5
	s_clause 0x1
	global_store_b128 v[20:21], v[4:7], off
	global_store_b128 v[20:21], v[8:11], off offset:16
	s_or_b32 s21, s2, s21
	s_delay_alu instid0(SALU_CYCLE_1)
	s_and_not1_b32 exec_lo, exec_lo, s21
	s_cbranch_execnz .LBB294_3
.LBB294_4:
	s_or_b32 exec_lo, exec_lo, s20
	s_mov_b32 s2, 0
.LBB294_5:
	s_delay_alu instid0(SALU_CYCLE_1)
	s_and_not1_b32 vcc_lo, exec_lo, s2
	s_cbranch_vccnz .LBB294_25
; %bb.6:
	v_cmp_lt_i64_e64 s2, s[10:11], 1
	s_delay_alu instid0(VALU_DEP_1)
	s_and_b32 vcc_lo, exec_lo, s2
	s_cbranch_vccnz .LBB294_25
; %bb.7:
	s_load_b32 s0, s[0:1], 0xc5c
	v_dual_mov_b32 v2, 0 :: v_dual_lshlrev_b32 v1, 3, v0
	v_cmp_gt_u64_e64 s1, 0x10000, s[10:11]
	s_mov_b64 s[6:7], 0
	s_delay_alu instid0(VALU_DEP_2) | instskip(NEXT) | instid1(VALU_DEP_1)
	v_add_co_u32 v9, s2, s12, v1
	v_add_co_ci_u32_e64 v10, null, s13, 0, s2
	v_add_co_u32 v11, s2, s14, v1
	s_delay_alu instid0(VALU_DEP_1)
	v_add_co_ci_u32_e64 v12, null, s15, 0, s2
	s_waitcnt lgkmcnt(0)
	s_and_b32 s0, s0, 0xffff
	s_and_b32 s1, s1, exec_lo
	v_mad_u64_u32 v[3:4], null, s0, 24, v[1:2]
	s_cselect_b32 s5, s11, 0
	s_cselect_b32 s4, s10, 0x10000
	s_lshl_b32 s3, s0, 4
	s_mul_i32 s2, s0, 3
	v_add_co_u32 v1, s3, s3, v1
	s_delay_alu instid0(VALU_DEP_2) | instskip(NEXT) | instid1(VALU_DEP_3)
	v_add_co_u32 v13, vcc_lo, s12, v3
	v_add_co_ci_u32_e32 v14, vcc_lo, s13, v4, vcc_lo
	v_add_co_u32 v17, s2, s2, v0
	v_add_co_u32 v15, vcc_lo, s14, v3
	v_add_co_ci_u32_e64 v2, null, 0, 0, s3
	v_add_co_ci_u32_e64 v18, null, 0, 0, s2
	v_add_co_u32 v21, s2, v0, s0
	v_add_co_ci_u32_e32 v16, vcc_lo, s15, v4, vcc_lo
	v_add_co_u32 v19, vcc_lo, s12, v1
	v_add_co_ci_u32_e32 v20, vcc_lo, s13, v2, vcc_lo
	v_add_co_u32 v22, vcc_lo, s14, v1
	v_lshlrev_b32_e32 v1, 3, v21
	s_lshl_b32 s1, s0, 1
	v_add_co_ci_u32_e32 v23, vcc_lo, s15, v2, vcc_lo
	v_add_co_u32 v25, s1, s1, v0
	s_delay_alu instid0(VALU_DEP_1) | instskip(SKIP_1) | instid1(VALU_DEP_1)
	v_add_co_ci_u32_e64 v26, null, 0, 0, s1
	v_add_co_u32 v27, s1, s12, v1
	v_add_co_ci_u32_e64 v28, null, s13, 0, s1
	v_add_co_u32 v29, s1, s14, v1
	v_add_co_ci_u32_e64 v24, null, 0, 0, s2
	v_add_co_ci_u32_e64 v30, null, s15, 0, s1
	s_lshl_b32 s12, s0, 2
	s_lshl_b32 s13, s0, 5
	s_branch .LBB294_9
.LBB294_8:                              ;   in Loop: Header=BB294_9 Depth=1
	s_or_b32 exec_lo, exec_lo, s0
	v_add_co_u32 v9, vcc_lo, v9, s13
	v_add_co_ci_u32_e32 v10, vcc_lo, 0, v10, vcc_lo
	v_add_co_u32 v11, vcc_lo, v11, s13
	v_add_co_ci_u32_e32 v12, vcc_lo, 0, v12, vcc_lo
	;; [unrolled: 2-line block ×5, first 2 shown]
	s_add_u32 s6, s6, s12
	v_add_co_u32 v22, vcc_lo, v22, s13
	s_addc_u32 s7, s7, 0
	v_add_co_ci_u32_e32 v23, vcc_lo, 0, v23, vcc_lo
	v_cmp_ge_i64_e64 s0, s[6:7], s[10:11]
	v_cmp_lt_u64_e64 s1, 0xffff, s[6:7]
	v_add_co_u32 v27, vcc_lo, v27, s13
	v_add_co_ci_u32_e32 v28, vcc_lo, 0, v28, vcc_lo
	v_add_co_u32 v29, vcc_lo, v29, s13
	v_add_co_ci_u32_e32 v30, vcc_lo, 0, v30, vcc_lo
	s_or_b32 s0, s0, s1
	s_delay_alu instid0(SALU_CYCLE_1)
	s_and_b32 vcc_lo, exec_lo, s0
	s_cbranch_vccnz .LBB294_25
.LBB294_9:                              ; =>This Inner Loop Header: Depth=1
	s_waitcnt vmcnt(0)
	v_add_co_u32 v1, s0, v0, s6
	s_delay_alu instid0(VALU_DEP_1) | instskip(SKIP_2) | instid1(VALU_DEP_3)
	v_add_co_ci_u32_e64 v2, null, 0, s7, s0
	v_mov_b32_e32 v3, 0
	v_mov_b32_e32 v4, 0
	v_cmp_gt_u64_e64 s2, s[4:5], v[1:2]
	s_delay_alu instid0(VALU_DEP_2) | instskip(NEXT) | instid1(VALU_DEP_2)
	v_dual_mov_b32 v8, v4 :: v_dual_mov_b32 v7, v3
	s_and_saveexec_b32 s0, s2
	s_cbranch_execz .LBB294_11
; %bb.10:                               ;   in Loop: Header=BB294_9 Depth=1
	v_add_co_u32 v1, vcc_lo, v9, s8
	v_add_co_ci_u32_e32 v2, vcc_lo, s9, v10, vcc_lo
	global_load_b64 v[7:8], v[1:2], off
.LBB294_11:                             ;   in Loop: Header=BB294_9 Depth=1
	s_or_b32 exec_lo, exec_lo, s0
	v_add_co_u32 v1, vcc_lo, v21, s6
	v_add_co_ci_u32_e32 v2, vcc_lo, s7, v24, vcc_lo
	s_delay_alu instid0(VALU_DEP_1) | instskip(NEXT) | instid1(VALU_DEP_1)
	v_cmp_gt_u64_e64 s1, s[4:5], v[1:2]
	s_and_saveexec_b32 s0, s1
	s_cbranch_execz .LBB294_13
; %bb.12:                               ;   in Loop: Header=BB294_9 Depth=1
	v_add_co_u32 v1, vcc_lo, v27, s8
	v_add_co_ci_u32_e32 v2, vcc_lo, s9, v28, vcc_lo
	global_load_b64 v[3:4], v[1:2], off
.LBB294_13:                             ;   in Loop: Header=BB294_9 Depth=1
	s_or_b32 exec_lo, exec_lo, s0
	v_add_co_u32 v5, vcc_lo, v25, s6
	v_add_co_ci_u32_e32 v6, vcc_lo, s7, v26, vcc_lo
	v_mov_b32_e32 v1, 0
	v_mov_b32_e32 v2, 0
	s_delay_alu instid0(VALU_DEP_3) | instskip(NEXT) | instid1(VALU_DEP_2)
	v_cmp_gt_u64_e64 s0, s[4:5], v[5:6]
	v_dual_mov_b32 v6, v2 :: v_dual_mov_b32 v5, v1
	s_delay_alu instid0(VALU_DEP_2)
	s_and_saveexec_b32 s3, s0
	s_cbranch_execz .LBB294_15
; %bb.14:                               ;   in Loop: Header=BB294_9 Depth=1
	v_add_co_u32 v5, vcc_lo, v19, s8
	v_add_co_ci_u32_e32 v6, vcc_lo, s9, v20, vcc_lo
	global_load_b64 v[5:6], v[5:6], off
.LBB294_15:                             ;   in Loop: Header=BB294_9 Depth=1
	s_or_b32 exec_lo, exec_lo, s3
	v_add_co_u32 v31, vcc_lo, v17, s6
	v_add_co_ci_u32_e32 v32, vcc_lo, s7, v18, vcc_lo
	s_delay_alu instid0(VALU_DEP_1)
	v_cmp_gt_u64_e32 vcc_lo, s[4:5], v[31:32]
	s_and_saveexec_b32 s14, vcc_lo
	s_cbranch_execnz .LBB294_20
; %bb.16:                               ;   in Loop: Header=BB294_9 Depth=1
	s_or_b32 exec_lo, exec_lo, s14
	s_and_saveexec_b32 s3, s2
	s_cbranch_execnz .LBB294_21
.LBB294_17:                             ;   in Loop: Header=BB294_9 Depth=1
	s_or_b32 exec_lo, exec_lo, s3
	s_and_saveexec_b32 s2, s1
	s_cbranch_execnz .LBB294_22
.LBB294_18:                             ;   in Loop: Header=BB294_9 Depth=1
	s_or_b32 exec_lo, exec_lo, s2
	s_and_saveexec_b32 s1, s0
	s_cbranch_execnz .LBB294_23
.LBB294_19:                             ;   in Loop: Header=BB294_9 Depth=1
	s_or_b32 exec_lo, exec_lo, s1
	s_and_saveexec_b32 s0, vcc_lo
	s_cbranch_execz .LBB294_8
	s_branch .LBB294_24
.LBB294_20:                             ;   in Loop: Header=BB294_9 Depth=1
	v_add_co_u32 v1, s3, v13, s8
	s_delay_alu instid0(VALU_DEP_1)
	v_add_co_ci_u32_e64 v2, s3, s9, v14, s3
	global_load_b64 v[1:2], v[1:2], off
	s_or_b32 exec_lo, exec_lo, s14
	s_and_saveexec_b32 s3, s2
	s_cbranch_execz .LBB294_17
.LBB294_21:                             ;   in Loop: Header=BB294_9 Depth=1
	s_waitcnt vmcnt(0)
	v_rsq_f64_e32 v[31:32], v[7:8]
	s_waitcnt_depctr 0xfff
	v_mul_f64 v[7:8], v[31:32], -v[7:8]
	v_cmp_class_f64_e64 s2, v[31:32], 0x180
	s_delay_alu instid0(VALU_DEP_2) | instskip(NEXT) | instid1(VALU_DEP_1)
	v_fma_f64 v[7:8], v[7:8], v[31:32], 1.0
	v_mul_f64 v[33:34], v[31:32], v[7:8]
	v_fma_f64 v[7:8], 0x3fd80000, v[7:8], 0.5
	s_delay_alu instid0(VALU_DEP_1) | instskip(NEXT) | instid1(VALU_DEP_1)
	v_fma_f64 v[7:8], v[33:34], v[7:8], v[31:32]
	v_cndmask_b32_e64 v8, v32, v8, s2
	s_delay_alu instid0(VALU_DEP_2) | instskip(SKIP_1) | instid1(VALU_DEP_1)
	v_cndmask_b32_e64 v7, v31, v7, s2
	v_add_co_u32 v31, s2, v11, s8
	v_add_co_ci_u32_e64 v32, s2, s9, v12, s2
	global_store_b64 v[31:32], v[7:8], off
	s_or_b32 exec_lo, exec_lo, s3
	s_and_saveexec_b32 s2, s1
	s_cbranch_execz .LBB294_18
.LBB294_22:                             ;   in Loop: Header=BB294_9 Depth=1
	s_waitcnt vmcnt(0)
	v_rsq_f64_e32 v[7:8], v[3:4]
	s_waitcnt_depctr 0xfff
	v_mul_f64 v[3:4], v[7:8], -v[3:4]
	v_cmp_class_f64_e64 s1, v[7:8], 0x180
	s_delay_alu instid0(VALU_DEP_2) | instskip(NEXT) | instid1(VALU_DEP_1)
	v_fma_f64 v[3:4], v[3:4], v[7:8], 1.0
	v_mul_f64 v[31:32], v[7:8], v[3:4]
	v_fma_f64 v[3:4], 0x3fd80000, v[3:4], 0.5
	s_delay_alu instid0(VALU_DEP_1) | instskip(NEXT) | instid1(VALU_DEP_1)
	v_fma_f64 v[3:4], v[31:32], v[3:4], v[7:8]
	v_cndmask_b32_e64 v4, v8, v4, s1
	s_delay_alu instid0(VALU_DEP_2) | instskip(SKIP_1) | instid1(VALU_DEP_1)
	v_cndmask_b32_e64 v3, v7, v3, s1
	v_add_co_u32 v7, s1, v29, s8
	v_add_co_ci_u32_e64 v8, s1, s9, v30, s1
	global_store_b64 v[7:8], v[3:4], off
	s_or_b32 exec_lo, exec_lo, s2
	s_and_saveexec_b32 s1, s0
	s_cbranch_execz .LBB294_19
.LBB294_23:                             ;   in Loop: Header=BB294_9 Depth=1
	s_waitcnt vmcnt(0)
	v_rsq_f64_e32 v[3:4], v[5:6]
	s_waitcnt_depctr 0xfff
	v_mul_f64 v[5:6], v[3:4], -v[5:6]
	v_cmp_class_f64_e64 s0, v[3:4], 0x180
	s_delay_alu instid0(VALU_DEP_2) | instskip(NEXT) | instid1(VALU_DEP_1)
	v_fma_f64 v[5:6], v[5:6], v[3:4], 1.0
	v_mul_f64 v[7:8], v[3:4], v[5:6]
	v_fma_f64 v[5:6], 0x3fd80000, v[5:6], 0.5
	s_delay_alu instid0(VALU_DEP_1) | instskip(NEXT) | instid1(VALU_DEP_1)
	v_fma_f64 v[5:6], v[7:8], v[5:6], v[3:4]
	v_cndmask_b32_e64 v4, v4, v6, s0
	s_delay_alu instid0(VALU_DEP_2) | instskip(SKIP_1) | instid1(VALU_DEP_1)
	v_cndmask_b32_e64 v3, v3, v5, s0
	v_add_co_u32 v5, s0, v22, s8
	v_add_co_ci_u32_e64 v6, s0, s9, v23, s0
	global_store_b64 v[5:6], v[3:4], off
	s_or_b32 exec_lo, exec_lo, s1
	s_and_saveexec_b32 s0, vcc_lo
	s_cbranch_execz .LBB294_8
.LBB294_24:                             ;   in Loop: Header=BB294_9 Depth=1
	s_waitcnt vmcnt(0)
	v_rsq_f64_e32 v[3:4], v[1:2]
	s_waitcnt_depctr 0xfff
	v_mul_f64 v[1:2], v[3:4], -v[1:2]
	v_cmp_class_f64_e64 vcc_lo, v[3:4], 0x180
	s_delay_alu instid0(VALU_DEP_2) | instskip(NEXT) | instid1(VALU_DEP_1)
	v_fma_f64 v[1:2], v[1:2], v[3:4], 1.0
	v_mul_f64 v[5:6], v[3:4], v[1:2]
	v_fma_f64 v[1:2], 0x3fd80000, v[1:2], 0.5
	s_delay_alu instid0(VALU_DEP_1) | instskip(NEXT) | instid1(VALU_DEP_1)
	v_fma_f64 v[1:2], v[5:6], v[1:2], v[3:4]
	v_dual_cndmask_b32 v2, v4, v2 :: v_dual_cndmask_b32 v1, v3, v1
	v_add_co_u32 v3, vcc_lo, v15, s8
	v_add_co_ci_u32_e32 v4, vcc_lo, s9, v16, vcc_lo
	global_store_b64 v[3:4], v[1:2], off
	s_branch .LBB294_8
.LBB294_25:
	s_nop 0
	s_sendmsg sendmsg(MSG_DEALLOC_VGPRS)
	s_endpgm
	.section	.rodata,"a",@progbits
	.p2align	6, 0x0
	.amdhsa_kernel _ZN2at6native12_GLOBAL__N_125multi_tensor_apply_kernelINS1_18TensorListMetadataILi2EEENS1_14UnaryOpFunctorIdLi2ELi1ELi1EEEJNS0_5RsqrtIdEEEEEvT_T0_DpT1_
		.amdhsa_group_segment_fixed_size 0
		.amdhsa_private_segment_fixed_size 0
		.amdhsa_kernarg_size 3408
		.amdhsa_user_sgpr_count 15
		.amdhsa_user_sgpr_dispatch_ptr 0
		.amdhsa_user_sgpr_queue_ptr 0
		.amdhsa_user_sgpr_kernarg_segment_ptr 1
		.amdhsa_user_sgpr_dispatch_id 0
		.amdhsa_user_sgpr_private_segment_size 0
		.amdhsa_wavefront_size32 1
		.amdhsa_uses_dynamic_stack 0
		.amdhsa_enable_private_segment 0
		.amdhsa_system_sgpr_workgroup_id_x 1
		.amdhsa_system_sgpr_workgroup_id_y 0
		.amdhsa_system_sgpr_workgroup_id_z 0
		.amdhsa_system_sgpr_workgroup_info 0
		.amdhsa_system_vgpr_workitem_id 0
		.amdhsa_next_free_vgpr 35
		.amdhsa_next_free_sgpr 24
		.amdhsa_reserve_vcc 1
		.amdhsa_float_round_mode_32 0
		.amdhsa_float_round_mode_16_64 0
		.amdhsa_float_denorm_mode_32 3
		.amdhsa_float_denorm_mode_16_64 3
		.amdhsa_dx10_clamp 1
		.amdhsa_ieee_mode 1
		.amdhsa_fp16_overflow 0
		.amdhsa_workgroup_processor_mode 1
		.amdhsa_memory_ordered 1
		.amdhsa_forward_progress 0
		.amdhsa_shared_vgpr_count 0
		.amdhsa_exception_fp_ieee_invalid_op 0
		.amdhsa_exception_fp_denorm_src 0
		.amdhsa_exception_fp_ieee_div_zero 0
		.amdhsa_exception_fp_ieee_overflow 0
		.amdhsa_exception_fp_ieee_underflow 0
		.amdhsa_exception_fp_ieee_inexact 0
		.amdhsa_exception_int_div_zero 0
	.end_amdhsa_kernel
	.section	.text._ZN2at6native12_GLOBAL__N_125multi_tensor_apply_kernelINS1_18TensorListMetadataILi2EEENS1_14UnaryOpFunctorIdLi2ELi1ELi1EEEJNS0_5RsqrtIdEEEEEvT_T0_DpT1_,"axG",@progbits,_ZN2at6native12_GLOBAL__N_125multi_tensor_apply_kernelINS1_18TensorListMetadataILi2EEENS1_14UnaryOpFunctorIdLi2ELi1ELi1EEEJNS0_5RsqrtIdEEEEEvT_T0_DpT1_,comdat
.Lfunc_end294:
	.size	_ZN2at6native12_GLOBAL__N_125multi_tensor_apply_kernelINS1_18TensorListMetadataILi2EEENS1_14UnaryOpFunctorIdLi2ELi1ELi1EEEJNS0_5RsqrtIdEEEEEvT_T0_DpT1_, .Lfunc_end294-_ZN2at6native12_GLOBAL__N_125multi_tensor_apply_kernelINS1_18TensorListMetadataILi2EEENS1_14UnaryOpFunctorIdLi2ELi1ELi1EEEJNS0_5RsqrtIdEEEEEvT_T0_DpT1_
                                        ; -- End function
	.section	.AMDGPU.csdata,"",@progbits
; Kernel info:
; codeLenInByte = 2044
; NumSgprs: 26
; NumVgprs: 35
; ScratchSize: 0
; MemoryBound: 0
; FloatMode: 240
; IeeeMode: 1
; LDSByteSize: 0 bytes/workgroup (compile time only)
; SGPRBlocks: 3
; VGPRBlocks: 4
; NumSGPRsForWavesPerEU: 26
; NumVGPRsForWavesPerEU: 35
; Occupancy: 16
; WaveLimiterHint : 0
; COMPUTE_PGM_RSRC2:SCRATCH_EN: 0
; COMPUTE_PGM_RSRC2:USER_SGPR: 15
; COMPUTE_PGM_RSRC2:TRAP_HANDLER: 0
; COMPUTE_PGM_RSRC2:TGID_X_EN: 1
; COMPUTE_PGM_RSRC2:TGID_Y_EN: 0
; COMPUTE_PGM_RSRC2:TGID_Z_EN: 0
; COMPUTE_PGM_RSRC2:TIDIG_COMP_CNT: 0
	.section	.text._ZN2at6native12_GLOBAL__N_125multi_tensor_apply_kernelINS1_18TensorListMetadataILi2EEENS1_14UnaryOpFunctorIfLi2ELi1ELi1EEEJNS0_5RsqrtIfEEEEEvT_T0_DpT1_,"axG",@progbits,_ZN2at6native12_GLOBAL__N_125multi_tensor_apply_kernelINS1_18TensorListMetadataILi2EEENS1_14UnaryOpFunctorIfLi2ELi1ELi1EEEJNS0_5RsqrtIfEEEEEvT_T0_DpT1_,comdat
	.globl	_ZN2at6native12_GLOBAL__N_125multi_tensor_apply_kernelINS1_18TensorListMetadataILi2EEENS1_14UnaryOpFunctorIfLi2ELi1ELi1EEEJNS0_5RsqrtIfEEEEEvT_T0_DpT1_ ; -- Begin function _ZN2at6native12_GLOBAL__N_125multi_tensor_apply_kernelINS1_18TensorListMetadataILi2EEENS1_14UnaryOpFunctorIfLi2ELi1ELi1EEEJNS0_5RsqrtIfEEEEEvT_T0_DpT1_
	.p2align	8
	.type	_ZN2at6native12_GLOBAL__N_125multi_tensor_apply_kernelINS1_18TensorListMetadataILi2EEENS1_14UnaryOpFunctorIfLi2ELi1ELi1EEEJNS0_5RsqrtIfEEEEEvT_T0_DpT1_,@function
_ZN2at6native12_GLOBAL__N_125multi_tensor_apply_kernelINS1_18TensorListMetadataILi2EEENS1_14UnaryOpFunctorIfLi2ELi1ELi1EEEJNS0_5RsqrtIfEEEEEvT_T0_DpT1_: ; @_ZN2at6native12_GLOBAL__N_125multi_tensor_apply_kernelINS1_18TensorListMetadataILi2EEENS1_14UnaryOpFunctorIfLi2ELi1ELi1EEEJNS0_5RsqrtIfEEEEEvT_T0_DpT1_
; %bb.0:
	v_mov_b32_e32 v1, s15
	s_add_u32 s2, s0, s15
	s_mul_hi_u32 s3, s15, 3
	s_mul_i32 s15, s15, 3
	s_addc_u32 s4, s1, 0
	global_load_u8 v1, v1, s[0:1] offset:1536
	s_add_u32 s2, s2, s15
	s_addc_u32 s3, s4, s3
	s_mov_b32 s7, 0
	s_load_b32 s2, s[2:3], 0x740
	s_mov_b32 s11, s7
	s_mov_b32 s21, s7
	s_waitcnt vmcnt(0)
	v_readfirstlane_b32 s5, v1
	s_delay_alu instid0(VALU_DEP_1)
	s_lshl_b32 s3, s5, 3
	s_clause 0x2
	s_load_b64 s[12:13], s[0:1], s3 offset:0x0
	s_load_b64 s[14:15], s[0:1], s3 offset:0x200
	;; [unrolled: 1-line block ×3, first 2 shown]
	s_waitcnt lgkmcnt(0)
	s_ashr_i32 s3, s2, 31
	s_delay_alu instid0(SALU_CYCLE_1) | instskip(NEXT) | instid1(SALU_CYCLE_1)
	s_lshl_b64 s[8:9], s[2:3], 18
	s_add_u32 s16, s12, s8
	s_addc_u32 s17, s13, s9
	s_and_b32 s6, s16, 15
	s_add_u32 s18, s14, s8
	s_addc_u32 s19, s15, s9
	s_and_b32 s10, s4, 3
	s_and_b32 s20, s18, 15
	s_or_b64 s[6:7], s[6:7], s[10:11]
	s_lshl_b64 s[2:3], s[2:3], 16
	s_or_b64 s[6:7], s[20:21], s[6:7]
	s_sub_u32 s10, s4, s2
	s_subb_u32 s11, s5, s3
	s_cmp_eq_u64 s[6:7], 0
	s_mov_b32 s2, -1
	s_cbranch_scc0 .LBB295_5
; %bb.1:
	v_dual_mov_b32 v2, 0 :: v_dual_lshlrev_b32 v1, 2, v0
	s_mov_b32 s20, exec_lo
	s_delay_alu instid0(VALU_DEP_1)
	v_cmpx_gt_i64_e64 s[10:11], v[1:2]
	s_cbranch_execz .LBB295_4
; %bb.2:
	s_load_b32 s2, s[0:1], 0xc5c
	v_lshlrev_b32_e32 v3, 4, v0
	s_mov_b32 s21, 0
	s_waitcnt lgkmcnt(0)
	s_and_b32 s2, s2, 0xffff
	s_delay_alu instid0(SALU_CYCLE_1)
	v_add_lshl_u32 v1, v0, s2, 2
	s_lshl_b32 s22, s2, 2
	s_lshl_b32 s23, s2, 4
.LBB295_3:                              ; =>This Inner Loop Header: Depth=1
	v_add_co_u32 v4, s2, s16, v3
	s_delay_alu instid0(VALU_DEP_1) | instskip(SKIP_1) | instid1(VALU_DEP_1)
	v_add_co_ci_u32_e64 v5, null, s17, 0, s2
	v_add_co_u32 v8, s2, s18, v3
	v_add_co_ci_u32_e64 v9, null, s19, 0, s2
	global_load_b128 v[4:7], v[4:5], off
	v_cmp_le_i64_e32 vcc_lo, s[10:11], v[1:2]
	v_cmp_lt_u64_e64 s2, 0xffff, v[1:2]
	v_add_co_u32 v1, s7, v1, s22
	s_delay_alu instid0(VALU_DEP_1) | instskip(NEXT) | instid1(VALU_DEP_3)
	v_add_co_ci_u32_e64 v2, s7, 0, v2, s7
	s_or_b32 s2, vcc_lo, s2
	s_add_u32 s16, s16, s23
	s_addc_u32 s17, s17, 0
	s_add_u32 s18, s18, s23
	s_addc_u32 s19, s19, 0
	s_and_b32 s2, exec_lo, s2
	s_delay_alu instid0(SALU_CYCLE_1)
	s_or_b32 s21, s2, s21
	s_waitcnt vmcnt(0)
	v_dual_mul_f32 v10, 0x4b800000, v4 :: v_dual_mul_f32 v11, 0x4b800000, v5
	v_cmp_gt_f32_e64 s3, 0x800000, v5
	v_dual_mul_f32 v12, 0x4b800000, v6 :: v_dual_mul_f32 v13, 0x4b800000, v7
	v_cmp_gt_f32_e64 s4, 0x800000, v6
	v_cmp_gt_f32_e64 s5, 0x800000, v7
	;; [unrolled: 1-line block ×3, first 2 shown]
	v_cndmask_b32_e64 v5, v5, v11, s3
	s_delay_alu instid0(VALU_DEP_4) | instskip(NEXT) | instid1(VALU_DEP_4)
	v_cndmask_b32_e64 v6, v6, v12, s4
	v_cndmask_b32_e64 v7, v7, v13, s5
	s_delay_alu instid0(VALU_DEP_4) | instskip(NEXT) | instid1(VALU_DEP_4)
	v_cndmask_b32_e64 v4, v4, v10, s6
	v_rsq_f32_e32 v5, v5
	s_delay_alu instid0(VALU_DEP_3) | instskip(NEXT) | instid1(VALU_DEP_2)
	v_rsq_f32_e32 v6, v6
	v_rsq_f32_e32 v7, v7
	s_delay_alu instid0(VALU_DEP_1) | instskip(NEXT) | instid1(TRANS32_DEP_3)
	v_rsq_f32_e32 v4, v4
	v_dual_mul_f32 v11, 0x45800000, v5 :: v_dual_mul_f32 v12, 0x45800000, v6
	s_waitcnt_depctr 0xfff
	v_dual_mul_f32 v13, 0x45800000, v7 :: v_dual_mul_f32 v10, 0x45800000, v4
	v_cndmask_b32_e64 v5, v5, v11, s3
	v_cndmask_b32_e64 v6, v6, v12, s4
	s_delay_alu instid0(VALU_DEP_3) | instskip(NEXT) | instid1(VALU_DEP_4)
	v_cndmask_b32_e64 v7, v7, v13, s5
	v_cndmask_b32_e64 v4, v4, v10, s6
	global_store_b128 v[8:9], v[4:7], off
	s_and_not1_b32 exec_lo, exec_lo, s21
	s_cbranch_execnz .LBB295_3
.LBB295_4:
	s_or_b32 exec_lo, exec_lo, s20
	s_mov_b32 s2, 0
.LBB295_5:
	s_delay_alu instid0(SALU_CYCLE_1)
	s_and_not1_b32 vcc_lo, exec_lo, s2
	s_cbranch_vccnz .LBB295_25
; %bb.6:
	v_cmp_lt_i64_e64 s2, s[10:11], 1
	s_delay_alu instid0(VALU_DEP_1)
	s_and_b32 vcc_lo, exec_lo, s2
	s_cbranch_vccnz .LBB295_25
; %bb.7:
	s_load_b32 s0, s[0:1], 0xc5c
	v_dual_mov_b32 v10, 0 :: v_dual_lshlrev_b32 v9, 2, v0
	v_cmp_gt_u64_e64 s1, 0x10000, s[10:11]
	s_mov_b64 s[6:7], 0
	s_delay_alu instid0(VALU_DEP_2) | instskip(NEXT) | instid1(VALU_DEP_1)
	v_add_co_u32 v1, s2, s12, v9
	v_add_co_ci_u32_e64 v2, null, s13, 0, s2
	v_add_co_u32 v3, s2, s14, v9
	s_delay_alu instid0(VALU_DEP_1)
	v_add_co_ci_u32_e64 v4, null, s15, 0, s2
	s_waitcnt lgkmcnt(0)
	s_and_b32 s0, s0, 0xffff
	s_and_b32 s1, s1, exec_lo
	v_mad_u64_u32 v[7:8], null, s0, 12, v[9:10]
	s_cselect_b32 s5, s11, 0
	s_cselect_b32 s4, s10, 0x10000
	s_mul_i32 s2, s0, 3
	s_lshl_b32 s3, s0, 3
	s_lshl_b32 s1, s0, 1
	v_add_co_u32 v14, s3, s3, v9
	v_add_co_u32 v9, s2, s2, v0
	s_delay_alu instid0(VALU_DEP_1) | instskip(SKIP_3) | instid1(VALU_DEP_3)
	v_add_co_ci_u32_e64 v10, null, 0, 0, s2
	v_add_co_u32 v13, s2, v0, s0
	v_add_co_u32 v5, vcc_lo, s12, v7
	v_add_co_ci_u32_e32 v6, vcc_lo, s13, v8, vcc_lo
	v_lshlrev_b32_e32 v21, 2, v13
	v_add_co_u32 v7, vcc_lo, s14, v7
	v_add_co_ci_u32_e64 v15, null, 0, 0, s3
	v_add_co_ci_u32_e32 v8, vcc_lo, s15, v8, vcc_lo
	v_add_co_u32 v17, s1, s1, v0
	v_add_co_u32 v11, vcc_lo, s12, v14
	v_add_co_ci_u32_e64 v18, null, 0, 0, s1
	v_add_co_u32 v19, s1, s12, v21
	v_add_co_ci_u32_e32 v12, vcc_lo, s13, v15, vcc_lo
	v_add_co_u32 v14, vcc_lo, s14, v14
	v_add_co_ci_u32_e64 v20, null, s13, 0, s1
	v_add_co_u32 v21, s1, s14, v21
	v_add_co_ci_u32_e32 v15, vcc_lo, s15, v15, vcc_lo
	v_add_co_ci_u32_e64 v16, null, 0, 0, s2
	v_add_co_ci_u32_e64 v22, null, s15, 0, s1
	s_lshl_b32 s12, s0, 2
	s_lshl_b32 s13, s0, 4
	s_branch .LBB295_9
.LBB295_8:                              ;   in Loop: Header=BB295_9 Depth=1
	s_or_b32 exec_lo, exec_lo, s0
	v_add_co_u32 v1, vcc_lo, v1, s13
	v_add_co_ci_u32_e32 v2, vcc_lo, 0, v2, vcc_lo
	v_add_co_u32 v3, vcc_lo, v3, s13
	v_add_co_ci_u32_e32 v4, vcc_lo, 0, v4, vcc_lo
	v_add_co_u32 v5, vcc_lo, v5, s13
	v_add_co_ci_u32_e32 v6, vcc_lo, 0, v6, vcc_lo
	v_add_co_u32 v7, vcc_lo, v7, s13
	v_add_co_ci_u32_e32 v8, vcc_lo, 0, v8, vcc_lo
	v_add_co_u32 v11, vcc_lo, v11, s13
	v_add_co_ci_u32_e32 v12, vcc_lo, 0, v12, vcc_lo
	s_add_u32 s6, s6, s12
	v_add_co_u32 v14, vcc_lo, v14, s13
	s_addc_u32 s7, s7, 0
	v_add_co_ci_u32_e32 v15, vcc_lo, 0, v15, vcc_lo
	v_cmp_ge_i64_e64 s0, s[6:7], s[10:11]
	v_cmp_lt_u64_e64 s1, 0xffff, s[6:7]
	v_add_co_u32 v19, vcc_lo, v19, s13
	v_add_co_ci_u32_e32 v20, vcc_lo, 0, v20, vcc_lo
	v_add_co_u32 v21, vcc_lo, v21, s13
	v_add_co_ci_u32_e32 v22, vcc_lo, 0, v22, vcc_lo
	s_or_b32 s0, s0, s1
	s_delay_alu instid0(SALU_CYCLE_1)
	s_and_b32 vcc_lo, exec_lo, s0
	s_cbranch_vccnz .LBB295_25
.LBB295_9:                              ; =>This Inner Loop Header: Depth=1
	s_waitcnt vmcnt(0)
	v_add_co_u32 v23, s0, v0, s6
	s_delay_alu instid0(VALU_DEP_1) | instskip(NEXT) | instid1(VALU_DEP_1)
	v_add_co_ci_u32_e64 v24, null, 0, s7, s0
	v_cmp_gt_u64_e64 s0, s[4:5], v[23:24]
	v_mov_b32_e32 v24, 0
	s_delay_alu instid0(VALU_DEP_2)
	s_and_saveexec_b32 s1, s0
	s_cbranch_execz .LBB295_11
; %bb.10:                               ;   in Loop: Header=BB295_9 Depth=1
	v_add_co_u32 v23, vcc_lo, v1, s8
	v_add_co_ci_u32_e32 v24, vcc_lo, s9, v2, vcc_lo
	global_load_b32 v24, v[23:24], off
.LBB295_11:                             ;   in Loop: Header=BB295_9 Depth=1
	s_or_b32 exec_lo, exec_lo, s1
	v_add_co_u32 v25, vcc_lo, v13, s6
	v_add_co_ci_u32_e32 v26, vcc_lo, s7, v16, vcc_lo
	s_delay_alu instid0(VALU_DEP_1)
	v_cmp_gt_u64_e32 vcc_lo, s[4:5], v[25:26]
	v_mov_b32_e32 v25, 0
	s_and_saveexec_b32 s2, vcc_lo
	s_cbranch_execz .LBB295_13
; %bb.12:                               ;   in Loop: Header=BB295_9 Depth=1
	v_add_co_u32 v25, s1, v19, s8
	s_delay_alu instid0(VALU_DEP_1)
	v_add_co_ci_u32_e64 v26, s1, s9, v20, s1
	global_load_b32 v25, v[25:26], off
.LBB295_13:                             ;   in Loop: Header=BB295_9 Depth=1
	s_or_b32 exec_lo, exec_lo, s2
	v_add_co_u32 v26, s1, v17, s6
	s_delay_alu instid0(VALU_DEP_1) | instskip(SKIP_1) | instid1(VALU_DEP_2)
	v_add_co_ci_u32_e64 v27, s1, s7, v18, s1
	v_mov_b32_e32 v23, 0
	v_cmp_gt_u64_e64 s1, s[4:5], v[26:27]
	v_mov_b32_e32 v26, 0
	s_delay_alu instid0(VALU_DEP_2)
	s_and_saveexec_b32 s3, s1
	s_cbranch_execz .LBB295_15
; %bb.14:                               ;   in Loop: Header=BB295_9 Depth=1
	v_add_co_u32 v26, s2, v11, s8
	s_delay_alu instid0(VALU_DEP_1)
	v_add_co_ci_u32_e64 v27, s2, s9, v12, s2
	global_load_b32 v26, v[26:27], off
.LBB295_15:                             ;   in Loop: Header=BB295_9 Depth=1
	s_or_b32 exec_lo, exec_lo, s3
	v_add_co_u32 v27, s2, v9, s6
	s_delay_alu instid0(VALU_DEP_1) | instskip(NEXT) | instid1(VALU_DEP_1)
	v_add_co_ci_u32_e64 v28, s2, s7, v10, s2
	v_cmp_gt_u64_e64 s2, s[4:5], v[27:28]
	s_delay_alu instid0(VALU_DEP_1)
	s_and_saveexec_b32 s14, s2
	s_cbranch_execnz .LBB295_20
; %bb.16:                               ;   in Loop: Header=BB295_9 Depth=1
	s_or_b32 exec_lo, exec_lo, s14
	s_and_saveexec_b32 s14, s0
	s_cbranch_execnz .LBB295_21
.LBB295_17:                             ;   in Loop: Header=BB295_9 Depth=1
	s_or_b32 exec_lo, exec_lo, s14
	s_and_saveexec_b32 s0, vcc_lo
	s_cbranch_execnz .LBB295_22
.LBB295_18:                             ;   in Loop: Header=BB295_9 Depth=1
	s_or_b32 exec_lo, exec_lo, s0
	s_and_saveexec_b32 s0, s1
	s_cbranch_execnz .LBB295_23
.LBB295_19:                             ;   in Loop: Header=BB295_9 Depth=1
	s_or_b32 exec_lo, exec_lo, s0
	s_and_saveexec_b32 s0, s2
	s_cbranch_execz .LBB295_8
	s_branch .LBB295_24
.LBB295_20:                             ;   in Loop: Header=BB295_9 Depth=1
	v_add_co_u32 v27, s3, v5, s8
	s_delay_alu instid0(VALU_DEP_1)
	v_add_co_ci_u32_e64 v28, s3, s9, v6, s3
	global_load_b32 v23, v[27:28], off
	s_or_b32 exec_lo, exec_lo, s14
	s_and_saveexec_b32 s14, s0
	s_cbranch_execz .LBB295_17
.LBB295_21:                             ;   in Loop: Header=BB295_9 Depth=1
	s_waitcnt vmcnt(0)
	v_mul_f32_e32 v27, 0x4b800000, v24
	v_cmp_gt_f32_e64 s0, 0x800000, v24
	s_delay_alu instid0(VALU_DEP_1) | instskip(SKIP_1) | instid1(VALU_DEP_1)
	v_cndmask_b32_e64 v24, v24, v27, s0
	v_add_co_u32 v27, s3, v3, s8
	v_add_co_ci_u32_e64 v28, s3, s9, v4, s3
	s_delay_alu instid0(VALU_DEP_3) | instskip(SKIP_2) | instid1(VALU_DEP_1)
	v_rsq_f32_e32 v24, v24
	s_waitcnt_depctr 0xfff
	v_mul_f32_e32 v29, 0x45800000, v24
	v_cndmask_b32_e64 v24, v24, v29, s0
	global_store_b32 v[27:28], v24, off
	s_or_b32 exec_lo, exec_lo, s14
	s_and_saveexec_b32 s0, vcc_lo
	s_cbranch_execz .LBB295_18
.LBB295_22:                             ;   in Loop: Header=BB295_9 Depth=1
	s_waitcnt vmcnt(0)
	v_mul_f32_e32 v24, 0x4b800000, v25
	v_cmp_gt_f32_e32 vcc_lo, 0x800000, v25
	s_delay_alu instid0(VALU_DEP_2) | instskip(NEXT) | instid1(VALU_DEP_1)
	v_cndmask_b32_e32 v24, v25, v24, vcc_lo
	v_rsq_f32_e32 v24, v24
	s_waitcnt_depctr 0xfff
	v_mul_f32_e32 v25, 0x45800000, v24
	s_delay_alu instid0(VALU_DEP_1)
	v_cndmask_b32_e32 v27, v24, v25, vcc_lo
	v_add_co_u32 v24, vcc_lo, v21, s8
	v_add_co_ci_u32_e32 v25, vcc_lo, s9, v22, vcc_lo
	global_store_b32 v[24:25], v27, off
	s_or_b32 exec_lo, exec_lo, s0
	s_and_saveexec_b32 s0, s1
	s_cbranch_execz .LBB295_19
.LBB295_23:                             ;   in Loop: Header=BB295_9 Depth=1
	s_waitcnt vmcnt(0)
	v_mul_f32_e32 v24, 0x4b800000, v26
	v_cmp_gt_f32_e32 vcc_lo, 0x800000, v26
	s_delay_alu instid0(VALU_DEP_2) | instskip(NEXT) | instid1(VALU_DEP_1)
	v_cndmask_b32_e32 v24, v26, v24, vcc_lo
	v_rsq_f32_e32 v24, v24
	s_waitcnt_depctr 0xfff
	v_mul_f32_e32 v25, 0x45800000, v24
	s_delay_alu instid0(VALU_DEP_1)
	v_cndmask_b32_e32 v26, v24, v25, vcc_lo
	v_add_co_u32 v24, vcc_lo, v14, s8
	v_add_co_ci_u32_e32 v25, vcc_lo, s9, v15, vcc_lo
	global_store_b32 v[24:25], v26, off
	s_or_b32 exec_lo, exec_lo, s0
	s_and_saveexec_b32 s0, s2
	s_cbranch_execz .LBB295_8
.LBB295_24:                             ;   in Loop: Header=BB295_9 Depth=1
	s_waitcnt vmcnt(0)
	v_mul_f32_e32 v24, 0x4b800000, v23
	v_cmp_gt_f32_e32 vcc_lo, 0x800000, v23
	s_delay_alu instid0(VALU_DEP_2) | instskip(NEXT) | instid1(VALU_DEP_1)
	v_cndmask_b32_e32 v23, v23, v24, vcc_lo
	v_rsq_f32_e32 v23, v23
	s_waitcnt_depctr 0xfff
	v_mul_f32_e32 v24, 0x45800000, v23
	s_delay_alu instid0(VALU_DEP_1)
	v_cndmask_b32_e32 v25, v23, v24, vcc_lo
	v_add_co_u32 v23, vcc_lo, v7, s8
	v_add_co_ci_u32_e32 v24, vcc_lo, s9, v8, vcc_lo
	global_store_b32 v[23:24], v25, off
	s_branch .LBB295_8
.LBB295_25:
	s_nop 0
	s_sendmsg sendmsg(MSG_DEALLOC_VGPRS)
	s_endpgm
	.section	.rodata,"a",@progbits
	.p2align	6, 0x0
	.amdhsa_kernel _ZN2at6native12_GLOBAL__N_125multi_tensor_apply_kernelINS1_18TensorListMetadataILi2EEENS1_14UnaryOpFunctorIfLi2ELi1ELi1EEEJNS0_5RsqrtIfEEEEEvT_T0_DpT1_
		.amdhsa_group_segment_fixed_size 0
		.amdhsa_private_segment_fixed_size 0
		.amdhsa_kernarg_size 3408
		.amdhsa_user_sgpr_count 15
		.amdhsa_user_sgpr_dispatch_ptr 0
		.amdhsa_user_sgpr_queue_ptr 0
		.amdhsa_user_sgpr_kernarg_segment_ptr 1
		.amdhsa_user_sgpr_dispatch_id 0
		.amdhsa_user_sgpr_private_segment_size 0
		.amdhsa_wavefront_size32 1
		.amdhsa_uses_dynamic_stack 0
		.amdhsa_enable_private_segment 0
		.amdhsa_system_sgpr_workgroup_id_x 1
		.amdhsa_system_sgpr_workgroup_id_y 0
		.amdhsa_system_sgpr_workgroup_id_z 0
		.amdhsa_system_sgpr_workgroup_info 0
		.amdhsa_system_vgpr_workitem_id 0
		.amdhsa_next_free_vgpr 30
		.amdhsa_next_free_sgpr 24
		.amdhsa_reserve_vcc 1
		.amdhsa_float_round_mode_32 0
		.amdhsa_float_round_mode_16_64 0
		.amdhsa_float_denorm_mode_32 3
		.amdhsa_float_denorm_mode_16_64 3
		.amdhsa_dx10_clamp 1
		.amdhsa_ieee_mode 1
		.amdhsa_fp16_overflow 0
		.amdhsa_workgroup_processor_mode 1
		.amdhsa_memory_ordered 1
		.amdhsa_forward_progress 0
		.amdhsa_shared_vgpr_count 0
		.amdhsa_exception_fp_ieee_invalid_op 0
		.amdhsa_exception_fp_denorm_src 0
		.amdhsa_exception_fp_ieee_div_zero 0
		.amdhsa_exception_fp_ieee_overflow 0
		.amdhsa_exception_fp_ieee_underflow 0
		.amdhsa_exception_fp_ieee_inexact 0
		.amdhsa_exception_int_div_zero 0
	.end_amdhsa_kernel
	.section	.text._ZN2at6native12_GLOBAL__N_125multi_tensor_apply_kernelINS1_18TensorListMetadataILi2EEENS1_14UnaryOpFunctorIfLi2ELi1ELi1EEEJNS0_5RsqrtIfEEEEEvT_T0_DpT1_,"axG",@progbits,_ZN2at6native12_GLOBAL__N_125multi_tensor_apply_kernelINS1_18TensorListMetadataILi2EEENS1_14UnaryOpFunctorIfLi2ELi1ELi1EEEJNS0_5RsqrtIfEEEEEvT_T0_DpT1_,comdat
.Lfunc_end295:
	.size	_ZN2at6native12_GLOBAL__N_125multi_tensor_apply_kernelINS1_18TensorListMetadataILi2EEENS1_14UnaryOpFunctorIfLi2ELi1ELi1EEEJNS0_5RsqrtIfEEEEEvT_T0_DpT1_, .Lfunc_end295-_ZN2at6native12_GLOBAL__N_125multi_tensor_apply_kernelINS1_18TensorListMetadataILi2EEENS1_14UnaryOpFunctorIfLi2ELi1ELi1EEEJNS0_5RsqrtIfEEEEEvT_T0_DpT1_
                                        ; -- End function
	.section	.AMDGPU.csdata,"",@progbits
; Kernel info:
; codeLenInByte = 1756
; NumSgprs: 26
; NumVgprs: 30
; ScratchSize: 0
; MemoryBound: 0
; FloatMode: 240
; IeeeMode: 1
; LDSByteSize: 0 bytes/workgroup (compile time only)
; SGPRBlocks: 3
; VGPRBlocks: 3
; NumSGPRsForWavesPerEU: 26
; NumVGPRsForWavesPerEU: 30
; Occupancy: 16
; WaveLimiterHint : 0
; COMPUTE_PGM_RSRC2:SCRATCH_EN: 0
; COMPUTE_PGM_RSRC2:USER_SGPR: 15
; COMPUTE_PGM_RSRC2:TRAP_HANDLER: 0
; COMPUTE_PGM_RSRC2:TGID_X_EN: 1
; COMPUTE_PGM_RSRC2:TGID_Y_EN: 0
; COMPUTE_PGM_RSRC2:TGID_Z_EN: 0
; COMPUTE_PGM_RSRC2:TIDIG_COMP_CNT: 0
	.section	.text._ZN2at6native12_GLOBAL__N_125multi_tensor_apply_kernelINS1_18TensorListMetadataILi2EEENS1_14UnaryOpFunctorIN3c107complexIdEELi2ELi1ELi1EEEJNS0_5RsqrtIS8_EEEEEvT_T0_DpT1_,"axG",@progbits,_ZN2at6native12_GLOBAL__N_125multi_tensor_apply_kernelINS1_18TensorListMetadataILi2EEENS1_14UnaryOpFunctorIN3c107complexIdEELi2ELi1ELi1EEEJNS0_5RsqrtIS8_EEEEEvT_T0_DpT1_,comdat
	.globl	_ZN2at6native12_GLOBAL__N_125multi_tensor_apply_kernelINS1_18TensorListMetadataILi2EEENS1_14UnaryOpFunctorIN3c107complexIdEELi2ELi1ELi1EEEJNS0_5RsqrtIS8_EEEEEvT_T0_DpT1_ ; -- Begin function _ZN2at6native12_GLOBAL__N_125multi_tensor_apply_kernelINS1_18TensorListMetadataILi2EEENS1_14UnaryOpFunctorIN3c107complexIdEELi2ELi1ELi1EEEJNS0_5RsqrtIS8_EEEEEvT_T0_DpT1_
	.p2align	8
	.type	_ZN2at6native12_GLOBAL__N_125multi_tensor_apply_kernelINS1_18TensorListMetadataILi2EEENS1_14UnaryOpFunctorIN3c107complexIdEELi2ELi1ELi1EEEJNS0_5RsqrtIS8_EEEEEvT_T0_DpT1_,@function
_ZN2at6native12_GLOBAL__N_125multi_tensor_apply_kernelINS1_18TensorListMetadataILi2EEENS1_14UnaryOpFunctorIN3c107complexIdEELi2ELi1ELi1EEEJNS0_5RsqrtIS8_EEEEEvT_T0_DpT1_: ; @_ZN2at6native12_GLOBAL__N_125multi_tensor_apply_kernelINS1_18TensorListMetadataILi2EEENS1_14UnaryOpFunctorIN3c107complexIdEELi2ELi1ELi1EEEJNS0_5RsqrtIS8_EEEEEvT_T0_DpT1_
; %bb.0:
	v_mov_b32_e32 v1, s15
	s_add_u32 s2, s0, s15
	s_mul_hi_u32 s3, s15, 3
	s_mul_i32 s15, s15, 3
	s_addc_u32 s4, s1, 0
	global_load_u8 v1, v1, s[0:1] offset:1536
	s_add_u32 s2, s2, s15
	s_addc_u32 s3, s4, s3
	s_mov_b32 s11, 0
	s_load_b32 s2, s[2:3], 0x740
	s_mov_b32 s13, s11
	s_mov_b32 s21, s11
	s_waitcnt vmcnt(0)
	v_readfirstlane_b32 s5, v1
	s_delay_alu instid0(VALU_DEP_1)
	s_lshl_b32 s3, s5, 3
	s_clause 0x2
	s_load_b64 s[14:15], s[0:1], s3 offset:0x0
	s_load_b64 s[4:5], s[0:1], s3 offset:0x200
	;; [unrolled: 1-line block ×3, first 2 shown]
	s_waitcnt lgkmcnt(0)
	s_ashr_i32 s3, s2, 31
	s_delay_alu instid0(SALU_CYCLE_1) | instskip(NEXT) | instid1(SALU_CYCLE_1)
	s_lshl_b64 s[6:7], s[2:3], 20
	s_add_u32 s16, s14, s6
	s_addc_u32 s17, s15, s7
	s_add_u32 s18, s4, s6
	s_addc_u32 s19, s5, s7
	s_and_b32 s12, s16, 63
	s_and_b32 s20, s8, 3
	;; [unrolled: 1-line block ×3, first 2 shown]
	s_or_b64 s[12:13], s[12:13], s[20:21]
	s_lshl_b64 s[2:3], s[2:3], 16
	s_or_b64 s[10:11], s[10:11], s[12:13]
	s_sub_u32 s8, s8, s2
	s_subb_u32 s9, s9, s3
	s_cmp_eq_u64 s[10:11], 0
	s_mov_b32 s2, -1
	s_cbranch_scc0 .LBB296_165
; %bb.1:
	v_dual_mov_b32 v24, 0 :: v_dual_lshlrev_b32 v23, 2, v0
	s_mov_b32 s20, exec_lo
	s_delay_alu instid0(VALU_DEP_1)
	v_cmpx_gt_i64_e64 s[8:9], v[23:24]
	s_cbranch_execz .LBB296_164
; %bb.2:
	s_load_b32 s2, s[0:1], 0xc5c
	v_lshlrev_b32_e32 v27, 6, v0
	s_mov_b32 s10, 0x99fcef32
	s_mov_b32 s12, 0
	s_mov_b32 s11, 0x7fda8279
	s_mov_b32 s13, 0x7ff00000
	s_mov_b32 s21, 0
	s_waitcnt lgkmcnt(0)
	s_and_b32 s2, s2, 0xffff
	s_delay_alu instid0(SALU_CYCLE_1)
	v_add_lshl_u32 v23, v0, s2, 2
	s_lshl_b32 s22, s2, 2
	s_lshl_b32 s23, s2, 6
	s_branch .LBB296_4
.LBB296_3:                              ;   in Loop: Header=BB296_4 Depth=1
	s_or_b32 exec_lo, exec_lo, s2
	v_cmp_le_i64_e32 vcc_lo, s[8:9], v[23:24]
	v_cmp_lt_u64_e64 s2, 0xffff, v[23:24]
	v_add_co_u32 v1, s3, s18, v27
	s_delay_alu instid0(VALU_DEP_1)
	v_add_co_ci_u32_e64 v2, null, s19, 0, s3
	s_clause 0x1
	global_store_b128 v[1:2], v[5:8], off
	global_store_b128 v[1:2], v[13:16], off offset:16
	s_or_b32 s2, vcc_lo, s2
	s_add_u32 s16, s16, s23
	v_add_co_u32 v23, vcc_lo, v23, s22
	s_addc_u32 s17, s17, 0
	s_add_u32 s18, s18, s23
	v_add_co_ci_u32_e32 v24, vcc_lo, 0, v24, vcc_lo
	s_addc_u32 s19, s19, 0
	s_and_b32 s2, exec_lo, s2
	s_clause 0x1
	global_store_b128 v[1:2], v[17:20], off offset:32
	global_store_b128 v[1:2], v[9:12], off offset:48
	s_or_b32 s21, s2, s21
	s_delay_alu instid0(SALU_CYCLE_1)
	s_and_not1_b32 exec_lo, exec_lo, s21
	s_cbranch_execz .LBB296_164
.LBB296_4:                              ; =>This Inner Loop Header: Depth=1
	v_add_co_u32 v5, s2, s16, v27
	s_delay_alu instid0(VALU_DEP_1)
	v_add_co_ci_u32_e64 v6, null, s17, 0, s2
	v_mov_b32_e32 v13, 0
	v_mov_b32_e32 v14, 0
	s_clause 0x3
	global_load_b128 v[19:22], v[5:6], off
	global_load_b128 v[15:18], v[5:6], off offset:16
	global_load_b128 v[1:4], v[5:6], off offset:48
	;; [unrolled: 1-line block ×3, first 2 shown]
	s_waitcnt vmcnt(3)
	v_cmp_neq_f64_e32 vcc_lo, 0, v[19:20]
	v_cmp_neq_f64_e64 s2, 0, v[21:22]
	s_delay_alu instid0(VALU_DEP_1) | instskip(NEXT) | instid1(SALU_CYCLE_1)
	s_or_b32 s2, vcc_lo, s2
	s_and_saveexec_b32 s24, s2
	s_cbranch_execz .LBB296_30
; %bb.5:                                ;   in Loop: Header=BB296_4 Depth=1
	v_mov_b32_e32 v13, s12
	v_mov_b32_e32 v14, s13
	s_mov_b32 s25, exec_lo
	v_cmpx_neq_f64_e64 0x7ff00000, |v[21:22]|
	s_cbranch_execz .LBB296_29
; %bb.6:                                ;   in Loop: Header=BB296_4 Depth=1
	s_mov_b32 s2, exec_lo
	v_cmpx_o_f64_e32 v[19:20], v[19:20]
	s_xor_b32 s26, exec_lo, s2
	s_cbranch_execz .LBB296_26
; %bb.7:                                ;   in Loop: Header=BB296_4 Depth=1
	s_mov_b32 s3, exec_lo
	v_cmpx_neq_f64_e64 0x7ff00000, |v[19:20]|
	s_xor_b32 s27, exec_lo, s3
	s_cbranch_execz .LBB296_20
; %bb.8:                                ;   in Loop: Header=BB296_4 Depth=1
	v_max_f64 v[5:6], |v[21:22]|, |v[21:22]|
	v_max_f64 v[7:8], |v[19:20]|, |v[19:20]|
                                        ; implicit-def: $sgpr28
	s_delay_alu instid0(VALU_DEP_1) | instskip(NEXT) | instid1(VALU_DEP_1)
	v_max_f64 v[5:6], v[7:8], v[5:6]
	v_cmp_nle_f64_e64 s2, s[10:11], v[5:6]
	s_delay_alu instid0(VALU_DEP_1) | instskip(NEXT) | instid1(SALU_CYCLE_1)
	s_and_saveexec_b32 s3, s2
	s_xor_b32 s3, exec_lo, s3
	s_cbranch_execz .LBB296_12
; %bb.9:                                ;   in Loop: Header=BB296_4 Depth=1
	v_cmp_ge_f64_e64 s28, 0x200000, |v[19:20]|
	v_cmp_ge_f64_e64 s29, 0x200000, |v[21:22]|
	s_delay_alu instid0(VALU_DEP_1)
	s_and_b32 s30, s28, s29
	s_mov_b32 s28, 0
	s_and_saveexec_b32 s29, s30
; %bb.10:                               ;   in Loop: Header=BB296_4 Depth=1
	v_mul_f64 v[19:20], v[19:20], 4.0
	v_mul_f64 v[21:22], v[21:22], 4.0
	s_mov_b32 s28, exec_lo
; %bb.11:                               ;   in Loop: Header=BB296_4 Depth=1
	s_or_b32 exec_lo, exec_lo, s29
	s_delay_alu instid0(SALU_CYCLE_1)
	s_and_b32 s28, s28, exec_lo
.LBB296_12:                             ;   in Loop: Header=BB296_4 Depth=1
	s_and_not1_saveexec_b32 s3, s3
; %bb.13:                               ;   in Loop: Header=BB296_4 Depth=1
	s_delay_alu instid0(VALU_DEP_2) | instskip(NEXT) | instid1(VALU_DEP_2)
	v_ldexp_f64 v[19:20], v[19:20], -2
	v_ldexp_f64 v[21:22], v[21:22], -2
	s_and_not1_b32 s28, s28, exec_lo
; %bb.14:                               ;   in Loop: Header=BB296_4 Depth=1
	s_or_b32 exec_lo, exec_lo, s3
	s_delay_alu instid0(VALU_DEP_1) | instskip(NEXT) | instid1(VALU_DEP_3)
	v_max_f64 v[5:6], |v[21:22]|, |v[21:22]|
	v_max_f64 v[7:8], |v[19:20]|, |v[19:20]|
	v_cmp_class_f64_e64 s29, v[19:20], 0x204
	v_cmp_class_f64_e64 s30, v[21:22], 0x204
	v_cmp_le_f64_e64 s3, 0, v[19:20]
	s_delay_alu instid0(VALU_DEP_4) | instskip(NEXT) | instid1(VALU_DEP_3)
	v_max_f64 v[5:6], v[7:8], v[5:6]
	s_or_b32 s29, s30, s29
	s_delay_alu instid0(VALU_DEP_1) | instskip(NEXT) | instid1(VALU_DEP_1)
	v_frexp_exp_i32_f64_e32 v28, v[5:6]
	v_sub_nc_u32_e32 v7, 0, v28
	s_delay_alu instid0(VALU_DEP_1) | instskip(SKIP_1) | instid1(VALU_DEP_2)
	v_ldexp_f64 v[5:6], |v[21:22]|, v7
	v_ldexp_f64 v[7:8], |v[19:20]|, v7
	v_mul_f64 v[5:6], v[5:6], v[5:6]
	s_delay_alu instid0(VALU_DEP_1) | instskip(NEXT) | instid1(VALU_DEP_1)
	v_fma_f64 v[5:6], v[7:8], v[7:8], v[5:6]
	v_rsq_f64_e32 v[7:8], v[5:6]
	v_cmp_eq_f64_e32 vcc_lo, 0, v[5:6]
	s_waitcnt_depctr 0xfff
	v_mul_f64 v[13:14], v[5:6], v[7:8]
	v_mul_f64 v[7:8], v[7:8], 0.5
	s_delay_alu instid0(VALU_DEP_1) | instskip(NEXT) | instid1(VALU_DEP_1)
	v_fma_f64 v[25:26], -v[7:8], v[13:14], 0.5
	v_fma_f64 v[13:14], v[13:14], v[25:26], v[13:14]
	v_fma_f64 v[7:8], v[7:8], v[25:26], v[7:8]
	s_delay_alu instid0(VALU_DEP_2) | instskip(NEXT) | instid1(VALU_DEP_1)
	v_fma_f64 v[25:26], -v[13:14], v[13:14], v[5:6]
	v_fma_f64 v[7:8], v[25:26], v[7:8], v[13:14]
	s_delay_alu instid0(VALU_DEP_1) | instskip(SKIP_1) | instid1(VALU_DEP_2)
	v_dual_cndmask_b32 v6, v8, v6 :: v_dual_cndmask_b32 v5, v7, v5
	v_cmp_o_f64_e32 vcc_lo, v[21:22], v[21:22]
	v_ldexp_f64 v[5:6], v[5:6], v28
	s_delay_alu instid0(VALU_DEP_1) | instskip(NEXT) | instid1(VALU_DEP_2)
	v_cndmask_b32_e32 v5, 0, v5, vcc_lo
	v_cndmask_b32_e32 v6, 0x7ff80000, v6, vcc_lo
	s_delay_alu instid0(VALU_DEP_2) | instskip(NEXT) | instid1(VALU_DEP_2)
	v_cndmask_b32_e64 v5, v5, 0, s29
	v_cndmask_b32_e64 v6, v6, 0x7ff00000, s29
	s_and_saveexec_b32 s29, s3
	s_delay_alu instid0(SALU_CYCLE_1)
	s_xor_b32 s3, exec_lo, s29
	s_cbranch_execnz .LBB296_144
; %bb.15:                               ;   in Loop: Header=BB296_4 Depth=1
	s_and_not1_saveexec_b32 s3, s3
	s_cbranch_execnz .LBB296_145
.LBB296_16:                             ;   in Loop: Header=BB296_4 Depth=1
	s_or_b32 exec_lo, exec_lo, s3
	s_and_saveexec_b32 s3, s2
	s_delay_alu instid0(SALU_CYCLE_1)
	s_xor_b32 s2, exec_lo, s3
	s_cbranch_execnz .LBB296_146
.LBB296_17:                             ;   in Loop: Header=BB296_4 Depth=1
	s_and_not1_saveexec_b32 s2, s2
.LBB296_18:                             ;   in Loop: Header=BB296_4 Depth=1
	s_delay_alu instid0(VALU_DEP_2) | instskip(NEXT) | instid1(VALU_DEP_2)
	v_add_f64 v[19:20], v[19:20], v[19:20]
	v_add_f64 v[21:22], v[21:22], v[21:22]
.LBB296_19:                             ;   in Loop: Header=BB296_4 Depth=1
	s_or_b32 exec_lo, exec_lo, s2
.LBB296_20:                             ;   in Loop: Header=BB296_4 Depth=1
	s_and_not1_saveexec_b32 s2, s27
	s_cbranch_execz .LBB296_143
; %bb.21:                               ;   in Loop: Header=BB296_4 Depth=1
	s_delay_alu instid0(VALU_DEP_1) | instskip(SKIP_1) | instid1(VALU_DEP_3)
	v_add_f64 v[5:6], v[21:22], -v[21:22]
	s_mov_b32 s3, exec_lo
	v_cmpx_lt_i64_e32 -1, v[19:20]
	s_xor_b32 s3, exec_lo, s3
; %bb.22:                               ;   in Loop: Header=BB296_4 Depth=1
	s_delay_alu instid0(VALU_DEP_2) | instskip(NEXT) | instid1(VALU_DEP_1)
	v_bfi_b32 v6, 0x7fffffff, v6, v22
	v_dual_mov_b32 v22, v6 :: v_dual_mov_b32 v21, v5
                                        ; implicit-def: $vgpr5_vgpr6
; %bb.23:                               ;   in Loop: Header=BB296_4 Depth=1
	s_and_not1_saveexec_b32 s3, s3
; %bb.24:                               ;   in Loop: Header=BB296_4 Depth=1
	s_delay_alu instid0(VALU_DEP_1) | instskip(SKIP_1) | instid1(VALU_DEP_2)
	v_bfi_b32 v20, 0x7fffffff, v20, v22
	v_and_b32_e32 v6, 0x7fffffff, v6
	v_dual_mov_b32 v22, v20 :: v_dual_mov_b32 v21, v19
	s_delay_alu instid0(VALU_DEP_2)
	v_dual_mov_b32 v20, v6 :: v_dual_mov_b32 v19, v5
; %bb.25:                               ;   in Loop: Header=BB296_4 Depth=1
	s_or_b32 exec_lo, exec_lo, s3
	s_delay_alu instid0(SALU_CYCLE_1)
	s_or_b32 exec_lo, exec_lo, s2
.LBB296_26:                             ;   in Loop: Header=BB296_4 Depth=1
	s_and_not1_saveexec_b32 s2, s26
.LBB296_27:                             ;   in Loop: Header=BB296_4 Depth=1
	s_delay_alu instid0(VALU_DEP_1) | instskip(NEXT) | instid1(VALU_DEP_1)
	v_add_f64 v[5:6], v[21:22], -v[21:22]
	v_div_scale_f64 v[7:8], vcc_lo, v[5:6], v[5:6], v[5:6]
	s_delay_alu instid0(VALU_DEP_1) | instskip(SKIP_2) | instid1(VALU_DEP_1)
	v_rcp_f64_e32 v[13:14], v[7:8]
	s_waitcnt_depctr 0xfff
	v_fma_f64 v[21:22], -v[7:8], v[13:14], 1.0
	v_fma_f64 v[13:14], v[13:14], v[21:22], v[13:14]
	s_delay_alu instid0(VALU_DEP_1) | instskip(NEXT) | instid1(VALU_DEP_1)
	v_fma_f64 v[21:22], -v[7:8], v[13:14], 1.0
	v_fma_f64 v[13:14], v[13:14], v[21:22], v[13:14]
	s_delay_alu instid0(VALU_DEP_1) | instskip(NEXT) | instid1(VALU_DEP_1)
	v_mul_f64 v[21:22], v[7:8], v[13:14]
	v_fma_f64 v[7:8], -v[7:8], v[21:22], v[7:8]
	s_delay_alu instid0(VALU_DEP_1) | instskip(NEXT) | instid1(VALU_DEP_1)
	v_div_fmas_f64 v[7:8], v[7:8], v[13:14], v[21:22]
	v_div_fixup_f64 v[21:22], v[7:8], v[5:6], v[5:6]
.LBB296_28:                             ;   in Loop: Header=BB296_4 Depth=1
	s_or_b32 exec_lo, exec_lo, s2
	s_delay_alu instid0(VALU_DEP_2)
	v_dual_mov_b32 v13, v19 :: v_dual_mov_b32 v14, v20
.LBB296_29:                             ;   in Loop: Header=BB296_4 Depth=1
	s_or_b32 exec_lo, exec_lo, s25
.LBB296_30:                             ;   in Loop: Header=BB296_4 Depth=1
	s_delay_alu instid0(SALU_CYCLE_1) | instskip(NEXT) | instid1(VALU_DEP_1)
	s_or_b32 exec_lo, exec_lo, s24
	v_cmp_gt_f64_e32 vcc_lo, 0, v[13:14]
	s_delay_alu instid0(VALU_DEP_3) | instskip(SKIP_2) | instid1(VALU_DEP_2)
	v_cmp_gt_f64_e64 s2, 0, v[21:22]
	v_xor_b32_e32 v5, 0x80000000, v14
	v_xor_b32_e32 v6, 0x80000000, v22
                                        ; implicit-def: $vgpr7_vgpr8
	v_cndmask_b32_e32 v20, v14, v5, vcc_lo
	s_delay_alu instid0(VALU_DEP_2) | instskip(SKIP_3) | instid1(VALU_DEP_1)
	v_cndmask_b32_e64 v26, v22, v6, s2
	v_cndmask_b32_e32 v19, v13, v13, vcc_lo
	v_cndmask_b32_e64 v25, v21, v21, s2
	s_mov_b32 s2, exec_lo
	v_cmpx_ge_f64_e32 v[19:20], v[25:26]
	s_xor_b32 s3, exec_lo, s2
	s_cbranch_execz .LBB296_36
; %bb.31:                               ;   in Loop: Header=BB296_4 Depth=1
	v_cmp_neq_f64_e32 vcc_lo, 0, v[13:14]
	v_cmp_neq_f64_e64 s2, 0, v[21:22]
                                        ; implicit-def: $vgpr7_vgpr8
	s_delay_alu instid0(VALU_DEP_1) | instskip(NEXT) | instid1(SALU_CYCLE_1)
	s_or_b32 s2, vcc_lo, s2
	s_and_saveexec_b32 s24, s2
	s_delay_alu instid0(SALU_CYCLE_1)
	s_xor_b32 s2, exec_lo, s24
	s_cbranch_execz .LBB296_33
; %bb.32:                               ;   in Loop: Header=BB296_4 Depth=1
	v_div_scale_f64 v[5:6], null, v[13:14], v[13:14], v[21:22]
	v_div_scale_f64 v[25:26], vcc_lo, v[21:22], v[13:14], v[21:22]
	s_delay_alu instid0(VALU_DEP_2) | instskip(SKIP_2) | instid1(VALU_DEP_1)
	v_rcp_f64_e32 v[7:8], v[5:6]
	s_waitcnt_depctr 0xfff
	v_fma_f64 v[19:20], -v[5:6], v[7:8], 1.0
	v_fma_f64 v[7:8], v[7:8], v[19:20], v[7:8]
	s_delay_alu instid0(VALU_DEP_1) | instskip(NEXT) | instid1(VALU_DEP_1)
	v_fma_f64 v[19:20], -v[5:6], v[7:8], 1.0
	v_fma_f64 v[7:8], v[7:8], v[19:20], v[7:8]
	s_delay_alu instid0(VALU_DEP_1) | instskip(NEXT) | instid1(VALU_DEP_1)
	v_mul_f64 v[19:20], v[25:26], v[7:8]
	v_fma_f64 v[5:6], -v[5:6], v[19:20], v[25:26]
	s_delay_alu instid0(VALU_DEP_1) | instskip(NEXT) | instid1(VALU_DEP_1)
	v_div_fmas_f64 v[5:6], v[5:6], v[7:8], v[19:20]
	v_div_fixup_f64 v[5:6], v[5:6], v[13:14], v[21:22]
	s_delay_alu instid0(VALU_DEP_1) | instskip(NEXT) | instid1(VALU_DEP_1)
	v_fma_f64 v[7:8], v[21:22], v[5:6], v[13:14]
	v_div_scale_f64 v[13:14], null, v[7:8], v[7:8], 1.0
	v_div_scale_f64 v[25:26], vcc_lo, 1.0, v[7:8], 1.0
	s_delay_alu instid0(VALU_DEP_2) | instskip(SKIP_2) | instid1(VALU_DEP_1)
	v_rcp_f64_e32 v[19:20], v[13:14]
	s_waitcnt_depctr 0xfff
	v_fma_f64 v[21:22], -v[13:14], v[19:20], 1.0
	v_fma_f64 v[19:20], v[19:20], v[21:22], v[19:20]
	s_delay_alu instid0(VALU_DEP_1) | instskip(NEXT) | instid1(VALU_DEP_1)
	v_fma_f64 v[21:22], -v[13:14], v[19:20], 1.0
	v_fma_f64 v[19:20], v[19:20], v[21:22], v[19:20]
	s_delay_alu instid0(VALU_DEP_1) | instskip(NEXT) | instid1(VALU_DEP_1)
	v_mul_f64 v[21:22], v[25:26], v[19:20]
	v_fma_f64 v[13:14], -v[13:14], v[21:22], v[25:26]
                                        ; implicit-def: $vgpr25_vgpr26
	s_delay_alu instid0(VALU_DEP_1) | instskip(SKIP_1) | instid1(VALU_DEP_2)
	v_div_fmas_f64 v[13:14], v[13:14], v[19:20], v[21:22]
	v_fma_f64 v[19:20], v[5:6], 0, 1.0
	v_div_fixup_f64 v[7:8], v[13:14], v[7:8], 1.0
	v_add_f64 v[13:14], -v[5:6], 0
	s_delay_alu instid0(VALU_DEP_2) | instskip(NEXT) | instid1(VALU_DEP_2)
	v_mul_f64 v[5:6], v[19:20], v[7:8]
	v_mul_f64 v[7:8], v[13:14], v[7:8]
                                        ; implicit-def: $vgpr19_vgpr20
.LBB296_33:                             ;   in Loop: Header=BB296_4 Depth=1
	s_and_not1_saveexec_b32 s24, s2
	s_cbranch_execz .LBB296_35
; %bb.34:                               ;   in Loop: Header=BB296_4 Depth=1
	v_div_scale_f64 v[5:6], null, v[19:20], v[19:20], 1.0
	v_div_scale_f64 v[7:8], null, v[25:26], v[25:26], 0
	v_div_scale_f64 v[32:33], vcc_lo, 1.0, v[19:20], 1.0
	s_delay_alu instid0(VALU_DEP_3) | instskip(NEXT) | instid1(VALU_DEP_2)
	v_rcp_f64_e32 v[13:14], v[5:6]
	v_rcp_f64_e32 v[21:22], v[7:8]
	s_waitcnt_depctr 0xfff
	v_fma_f64 v[28:29], -v[5:6], v[13:14], 1.0
	v_fma_f64 v[30:31], -v[7:8], v[21:22], 1.0
	s_delay_alu instid0(VALU_DEP_2) | instskip(NEXT) | instid1(VALU_DEP_2)
	v_fma_f64 v[13:14], v[13:14], v[28:29], v[13:14]
	v_fma_f64 v[21:22], v[21:22], v[30:31], v[21:22]
	s_delay_alu instid0(VALU_DEP_2) | instskip(NEXT) | instid1(VALU_DEP_2)
	v_fma_f64 v[28:29], -v[5:6], v[13:14], 1.0
	v_fma_f64 v[30:31], -v[7:8], v[21:22], 1.0
	s_delay_alu instid0(VALU_DEP_2) | instskip(SKIP_1) | instid1(VALU_DEP_3)
	v_fma_f64 v[13:14], v[13:14], v[28:29], v[13:14]
	v_div_scale_f64 v[28:29], s2, 0, v[25:26], 0
	v_fma_f64 v[21:22], v[21:22], v[30:31], v[21:22]
	s_delay_alu instid0(VALU_DEP_3) | instskip(NEXT) | instid1(VALU_DEP_2)
	v_mul_f64 v[30:31], v[32:33], v[13:14]
	v_mul_f64 v[34:35], v[28:29], v[21:22]
	s_delay_alu instid0(VALU_DEP_2) | instskip(NEXT) | instid1(VALU_DEP_2)
	v_fma_f64 v[5:6], -v[5:6], v[30:31], v[32:33]
	v_fma_f64 v[7:8], -v[7:8], v[34:35], v[28:29]
	s_delay_alu instid0(VALU_DEP_2) | instskip(SKIP_1) | instid1(VALU_DEP_2)
	v_div_fmas_f64 v[5:6], v[5:6], v[13:14], v[30:31]
	s_mov_b32 vcc_lo, s2
	v_div_fmas_f64 v[7:8], v[7:8], v[21:22], v[34:35]
	s_delay_alu instid0(VALU_DEP_2) | instskip(NEXT) | instid1(VALU_DEP_2)
	v_div_fixup_f64 v[5:6], v[5:6], v[19:20], 1.0
	v_div_fixup_f64 v[7:8], v[7:8], v[25:26], 0
.LBB296_35:                             ;   in Loop: Header=BB296_4 Depth=1
	s_or_b32 exec_lo, exec_lo, s24
                                        ; implicit-def: $vgpr21_vgpr22
                                        ; implicit-def: $vgpr13_vgpr14
.LBB296_36:                             ;   in Loop: Header=BB296_4 Depth=1
	s_and_not1_saveexec_b32 s2, s3
	s_cbranch_execz .LBB296_38
; %bb.37:                               ;   in Loop: Header=BB296_4 Depth=1
	v_div_scale_f64 v[5:6], null, v[21:22], v[21:22], v[13:14]
	v_div_scale_f64 v[25:26], vcc_lo, v[13:14], v[21:22], v[13:14]
	s_delay_alu instid0(VALU_DEP_2) | instskip(SKIP_2) | instid1(VALU_DEP_1)
	v_rcp_f64_e32 v[7:8], v[5:6]
	s_waitcnt_depctr 0xfff
	v_fma_f64 v[19:20], -v[5:6], v[7:8], 1.0
	v_fma_f64 v[7:8], v[7:8], v[19:20], v[7:8]
	s_delay_alu instid0(VALU_DEP_1) | instskip(NEXT) | instid1(VALU_DEP_1)
	v_fma_f64 v[19:20], -v[5:6], v[7:8], 1.0
	v_fma_f64 v[7:8], v[7:8], v[19:20], v[7:8]
	s_delay_alu instid0(VALU_DEP_1) | instskip(NEXT) | instid1(VALU_DEP_1)
	v_mul_f64 v[19:20], v[25:26], v[7:8]
	v_fma_f64 v[5:6], -v[5:6], v[19:20], v[25:26]
	s_delay_alu instid0(VALU_DEP_1) | instskip(NEXT) | instid1(VALU_DEP_1)
	v_div_fmas_f64 v[5:6], v[5:6], v[7:8], v[19:20]
	v_div_fixup_f64 v[5:6], v[5:6], v[21:22], v[13:14]
	s_delay_alu instid0(VALU_DEP_1) | instskip(NEXT) | instid1(VALU_DEP_1)
	v_fma_f64 v[7:8], v[13:14], v[5:6], v[21:22]
	v_div_scale_f64 v[13:14], null, v[7:8], v[7:8], 1.0
	v_div_scale_f64 v[25:26], vcc_lo, 1.0, v[7:8], 1.0
	s_delay_alu instid0(VALU_DEP_2) | instskip(SKIP_2) | instid1(VALU_DEP_1)
	v_rcp_f64_e32 v[19:20], v[13:14]
	s_waitcnt_depctr 0xfff
	v_fma_f64 v[21:22], -v[13:14], v[19:20], 1.0
	v_fma_f64 v[19:20], v[19:20], v[21:22], v[19:20]
	s_delay_alu instid0(VALU_DEP_1) | instskip(NEXT) | instid1(VALU_DEP_1)
	v_fma_f64 v[21:22], -v[13:14], v[19:20], 1.0
	v_fma_f64 v[19:20], v[19:20], v[21:22], v[19:20]
	s_delay_alu instid0(VALU_DEP_1) | instskip(NEXT) | instid1(VALU_DEP_1)
	v_mul_f64 v[21:22], v[25:26], v[19:20]
	v_fma_f64 v[13:14], -v[13:14], v[21:22], v[25:26]
	s_delay_alu instid0(VALU_DEP_1) | instskip(SKIP_1) | instid1(VALU_DEP_2)
	v_div_fmas_f64 v[13:14], v[13:14], v[19:20], v[21:22]
	v_add_f64 v[19:20], v[5:6], 0
	v_div_fixup_f64 v[7:8], v[13:14], v[7:8], 1.0
	v_fma_f64 v[13:14], v[5:6], 0, -1.0
	s_delay_alu instid0(VALU_DEP_2) | instskip(NEXT) | instid1(VALU_DEP_2)
	v_mul_f64 v[5:6], v[19:20], v[7:8]
	v_mul_f64 v[7:8], v[13:14], v[7:8]
.LBB296_38:                             ;   in Loop: Header=BB296_4 Depth=1
	s_or_b32 exec_lo, exec_lo, s2
	s_waitcnt vmcnt(2)
	v_cmp_neq_f64_e32 vcc_lo, 0, v[15:16]
	v_cmp_neq_f64_e64 s2, 0, v[17:18]
	v_mov_b32_e32 v19, 0
	v_mov_b32_e32 v20, 0
	s_delay_alu instid0(VALU_DEP_3) | instskip(NEXT) | instid1(SALU_CYCLE_1)
	s_or_b32 s2, vcc_lo, s2
	s_and_saveexec_b32 s24, s2
	s_cbranch_execz .LBB296_65
; %bb.39:                               ;   in Loop: Header=BB296_4 Depth=1
	v_mov_b32_e32 v19, s12
	v_mov_b32_e32 v20, s13
	s_mov_b32 s25, exec_lo
	v_cmpx_neq_f64_e64 0x7ff00000, |v[17:18]|
	s_cbranch_execz .LBB296_64
; %bb.40:                               ;   in Loop: Header=BB296_4 Depth=1
	s_mov_b32 s2, exec_lo
	v_cmpx_o_f64_e32 v[15:16], v[15:16]
	s_xor_b32 s26, exec_lo, s2
	s_cbranch_execz .LBB296_61
; %bb.41:                               ;   in Loop: Header=BB296_4 Depth=1
	s_mov_b32 s3, exec_lo
	v_cmpx_neq_f64_e64 0x7ff00000, |v[15:16]|
	s_xor_b32 s27, exec_lo, s3
	s_cbranch_execz .LBB296_54
; %bb.42:                               ;   in Loop: Header=BB296_4 Depth=1
	v_max_f64 v[13:14], |v[17:18]|, |v[17:18]|
	v_max_f64 v[19:20], |v[15:16]|, |v[15:16]|
                                        ; implicit-def: $sgpr28
	s_delay_alu instid0(VALU_DEP_1) | instskip(NEXT) | instid1(VALU_DEP_1)
	v_max_f64 v[13:14], v[19:20], v[13:14]
	v_cmp_nle_f64_e64 s2, s[10:11], v[13:14]
	s_delay_alu instid0(VALU_DEP_1) | instskip(NEXT) | instid1(SALU_CYCLE_1)
	s_and_saveexec_b32 s3, s2
	s_xor_b32 s3, exec_lo, s3
	s_cbranch_execz .LBB296_46
; %bb.43:                               ;   in Loop: Header=BB296_4 Depth=1
	v_cmp_ge_f64_e64 s28, 0x200000, |v[15:16]|
	v_cmp_ge_f64_e64 s29, 0x200000, |v[17:18]|
	s_delay_alu instid0(VALU_DEP_1)
	s_and_b32 s30, s28, s29
	s_mov_b32 s28, 0
	s_and_saveexec_b32 s29, s30
; %bb.44:                               ;   in Loop: Header=BB296_4 Depth=1
	v_mul_f64 v[15:16], v[15:16], 4.0
	v_mul_f64 v[17:18], v[17:18], 4.0
	s_mov_b32 s28, exec_lo
; %bb.45:                               ;   in Loop: Header=BB296_4 Depth=1
	s_or_b32 exec_lo, exec_lo, s29
	s_delay_alu instid0(SALU_CYCLE_1)
	s_and_b32 s28, s28, exec_lo
.LBB296_46:                             ;   in Loop: Header=BB296_4 Depth=1
	s_and_not1_saveexec_b32 s3, s3
; %bb.47:                               ;   in Loop: Header=BB296_4 Depth=1
	s_delay_alu instid0(VALU_DEP_2) | instskip(NEXT) | instid1(VALU_DEP_2)
	v_ldexp_f64 v[15:16], v[15:16], -2
	v_ldexp_f64 v[17:18], v[17:18], -2
	s_and_not1_b32 s28, s28, exec_lo
; %bb.48:                               ;   in Loop: Header=BB296_4 Depth=1
	s_or_b32 exec_lo, exec_lo, s3
	s_delay_alu instid0(VALU_DEP_1) | instskip(NEXT) | instid1(VALU_DEP_3)
	v_max_f64 v[13:14], |v[17:18]|, |v[17:18]|
	v_max_f64 v[19:20], |v[15:16]|, |v[15:16]|
	v_cmp_class_f64_e64 s29, v[15:16], 0x204
	v_cmp_class_f64_e64 s30, v[17:18], 0x204
	v_cmp_le_f64_e64 s3, 0, v[15:16]
	s_delay_alu instid0(VALU_DEP_4) | instskip(NEXT) | instid1(VALU_DEP_3)
	v_max_f64 v[13:14], v[19:20], v[13:14]
	s_or_b32 s29, s30, s29
	s_delay_alu instid0(VALU_DEP_1) | instskip(NEXT) | instid1(VALU_DEP_1)
	v_frexp_exp_i32_f64_e32 v28, v[13:14]
	v_sub_nc_u32_e32 v19, 0, v28
	s_delay_alu instid0(VALU_DEP_1) | instskip(SKIP_1) | instid1(VALU_DEP_2)
	v_ldexp_f64 v[13:14], |v[17:18]|, v19
	v_ldexp_f64 v[19:20], |v[15:16]|, v19
	v_mul_f64 v[13:14], v[13:14], v[13:14]
	s_delay_alu instid0(VALU_DEP_1) | instskip(NEXT) | instid1(VALU_DEP_1)
	v_fma_f64 v[13:14], v[19:20], v[19:20], v[13:14]
	v_rsq_f64_e32 v[19:20], v[13:14]
	v_cmp_eq_f64_e32 vcc_lo, 0, v[13:14]
	s_waitcnt_depctr 0xfff
	v_mul_f64 v[21:22], v[13:14], v[19:20]
	v_mul_f64 v[19:20], v[19:20], 0.5
	s_delay_alu instid0(VALU_DEP_1) | instskip(NEXT) | instid1(VALU_DEP_1)
	v_fma_f64 v[25:26], -v[19:20], v[21:22], 0.5
	v_fma_f64 v[21:22], v[21:22], v[25:26], v[21:22]
	v_fma_f64 v[19:20], v[19:20], v[25:26], v[19:20]
	s_delay_alu instid0(VALU_DEP_2) | instskip(NEXT) | instid1(VALU_DEP_1)
	v_fma_f64 v[25:26], -v[21:22], v[21:22], v[13:14]
	v_fma_f64 v[19:20], v[25:26], v[19:20], v[21:22]
	s_delay_alu instid0(VALU_DEP_1) | instskip(SKIP_1) | instid1(VALU_DEP_2)
	v_dual_cndmask_b32 v14, v20, v14 :: v_dual_cndmask_b32 v13, v19, v13
	v_cmp_o_f64_e32 vcc_lo, v[17:18], v[17:18]
	v_ldexp_f64 v[13:14], v[13:14], v28
	s_delay_alu instid0(VALU_DEP_1) | instskip(NEXT) | instid1(VALU_DEP_2)
	v_cndmask_b32_e32 v13, 0, v13, vcc_lo
	v_cndmask_b32_e32 v14, 0x7ff80000, v14, vcc_lo
	s_delay_alu instid0(VALU_DEP_2) | instskip(NEXT) | instid1(VALU_DEP_2)
	v_cndmask_b32_e64 v13, v13, 0, s29
	v_cndmask_b32_e64 v14, v14, 0x7ff00000, s29
	s_and_saveexec_b32 s29, s3
	s_delay_alu instid0(SALU_CYCLE_1)
	s_xor_b32 s3, exec_lo, s29
	s_cbranch_execnz .LBB296_149
; %bb.49:                               ;   in Loop: Header=BB296_4 Depth=1
	s_and_not1_saveexec_b32 s3, s3
	s_cbranch_execnz .LBB296_150
.LBB296_50:                             ;   in Loop: Header=BB296_4 Depth=1
	s_or_b32 exec_lo, exec_lo, s3
	s_and_saveexec_b32 s3, s2
	s_delay_alu instid0(SALU_CYCLE_1)
	s_xor_b32 s2, exec_lo, s3
	s_cbranch_execnz .LBB296_151
.LBB296_51:                             ;   in Loop: Header=BB296_4 Depth=1
	s_and_not1_saveexec_b32 s2, s2
.LBB296_52:                             ;   in Loop: Header=BB296_4 Depth=1
	s_delay_alu instid0(VALU_DEP_2) | instskip(NEXT) | instid1(VALU_DEP_2)
	v_add_f64 v[15:16], v[15:16], v[15:16]
	v_add_f64 v[17:18], v[17:18], v[17:18]
.LBB296_53:                             ;   in Loop: Header=BB296_4 Depth=1
	s_or_b32 exec_lo, exec_lo, s2
.LBB296_54:                             ;   in Loop: Header=BB296_4 Depth=1
	s_and_not1_saveexec_b32 s2, s27
	s_cbranch_execz .LBB296_60
; %bb.55:                               ;   in Loop: Header=BB296_4 Depth=1
	s_delay_alu instid0(VALU_DEP_1) | instskip(SKIP_1) | instid1(VALU_DEP_3)
	v_add_f64 v[13:14], v[17:18], -v[17:18]
	s_mov_b32 s3, exec_lo
	v_cmpx_lt_i64_e32 -1, v[15:16]
	s_xor_b32 s3, exec_lo, s3
; %bb.56:                               ;   in Loop: Header=BB296_4 Depth=1
	s_delay_alu instid0(VALU_DEP_2) | instskip(NEXT) | instid1(VALU_DEP_1)
	v_bfi_b32 v14, 0x7fffffff, v14, v18
	v_dual_mov_b32 v18, v14 :: v_dual_mov_b32 v17, v13
                                        ; implicit-def: $vgpr13_vgpr14
; %bb.57:                               ;   in Loop: Header=BB296_4 Depth=1
	s_and_not1_saveexec_b32 s3, s3
; %bb.58:                               ;   in Loop: Header=BB296_4 Depth=1
	s_delay_alu instid0(VALU_DEP_1) | instskip(SKIP_1) | instid1(VALU_DEP_2)
	v_bfi_b32 v16, 0x7fffffff, v16, v18
	v_and_b32_e32 v14, 0x7fffffff, v14
	v_dual_mov_b32 v18, v16 :: v_dual_mov_b32 v17, v15
	s_delay_alu instid0(VALU_DEP_2)
	v_dual_mov_b32 v16, v14 :: v_dual_mov_b32 v15, v13
; %bb.59:                               ;   in Loop: Header=BB296_4 Depth=1
	s_or_b32 exec_lo, exec_lo, s3
.LBB296_60:                             ;   in Loop: Header=BB296_4 Depth=1
	s_delay_alu instid0(SALU_CYCLE_1)
	s_or_b32 exec_lo, exec_lo, s2
.LBB296_61:                             ;   in Loop: Header=BB296_4 Depth=1
	s_and_not1_saveexec_b32 s2, s26
; %bb.62:                               ;   in Loop: Header=BB296_4 Depth=1
	s_delay_alu instid0(VALU_DEP_1) | instskip(NEXT) | instid1(VALU_DEP_1)
	v_add_f64 v[13:14], v[17:18], -v[17:18]
	v_div_scale_f64 v[17:18], vcc_lo, v[13:14], v[13:14], v[13:14]
	s_delay_alu instid0(VALU_DEP_1) | instskip(SKIP_2) | instid1(VALU_DEP_1)
	v_rcp_f64_e32 v[19:20], v[17:18]
	s_waitcnt_depctr 0xfff
	v_fma_f64 v[21:22], -v[17:18], v[19:20], 1.0
	v_fma_f64 v[19:20], v[19:20], v[21:22], v[19:20]
	s_delay_alu instid0(VALU_DEP_1) | instskip(NEXT) | instid1(VALU_DEP_1)
	v_fma_f64 v[21:22], -v[17:18], v[19:20], 1.0
	v_fma_f64 v[19:20], v[19:20], v[21:22], v[19:20]
	s_delay_alu instid0(VALU_DEP_1) | instskip(NEXT) | instid1(VALU_DEP_1)
	v_mul_f64 v[21:22], v[17:18], v[19:20]
	v_fma_f64 v[17:18], -v[17:18], v[21:22], v[17:18]
	s_delay_alu instid0(VALU_DEP_1) | instskip(NEXT) | instid1(VALU_DEP_1)
	v_div_fmas_f64 v[17:18], v[17:18], v[19:20], v[21:22]
	v_div_fixup_f64 v[17:18], v[17:18], v[13:14], v[13:14]
; %bb.63:                               ;   in Loop: Header=BB296_4 Depth=1
	s_or_b32 exec_lo, exec_lo, s2
	v_dual_mov_b32 v20, v16 :: v_dual_mov_b32 v19, v15
.LBB296_64:                             ;   in Loop: Header=BB296_4 Depth=1
	s_or_b32 exec_lo, exec_lo, s25
.LBB296_65:                             ;   in Loop: Header=BB296_4 Depth=1
	s_delay_alu instid0(SALU_CYCLE_1) | instskip(NEXT) | instid1(VALU_DEP_1)
	s_or_b32 exec_lo, exec_lo, s24
	v_cmp_gt_f64_e32 vcc_lo, 0, v[19:20]
	s_delay_alu instid0(VALU_DEP_3) | instskip(SKIP_2) | instid1(VALU_DEP_2)
	v_cmp_gt_f64_e64 s2, 0, v[17:18]
	v_xor_b32_e32 v13, 0x80000000, v20
	v_xor_b32_e32 v14, 0x80000000, v18
                                        ; implicit-def: $vgpr15_vgpr16
	v_dual_cndmask_b32 v22, v20, v13 :: v_dual_cndmask_b32 v21, v19, v19
	s_delay_alu instid0(VALU_DEP_2) | instskip(SKIP_2) | instid1(VALU_DEP_1)
	v_cndmask_b32_e64 v26, v18, v14, s2
	v_cndmask_b32_e64 v25, v17, v17, s2
	s_mov_b32 s2, exec_lo
	v_cmpx_ge_f64_e32 v[21:22], v[25:26]
	s_xor_b32 s3, exec_lo, s2
	s_cbranch_execz .LBB296_71
; %bb.66:                               ;   in Loop: Header=BB296_4 Depth=1
	v_cmp_neq_f64_e32 vcc_lo, 0, v[19:20]
	v_cmp_neq_f64_e64 s2, 0, v[17:18]
                                        ; implicit-def: $vgpr15_vgpr16
	s_delay_alu instid0(VALU_DEP_1) | instskip(NEXT) | instid1(SALU_CYCLE_1)
	s_or_b32 s2, vcc_lo, s2
	s_and_saveexec_b32 s24, s2
	s_delay_alu instid0(SALU_CYCLE_1)
	s_xor_b32 s2, exec_lo, s24
	s_cbranch_execz .LBB296_68
; %bb.67:                               ;   in Loop: Header=BB296_4 Depth=1
	v_div_scale_f64 v[13:14], null, v[19:20], v[19:20], v[17:18]
	v_div_scale_f64 v[25:26], vcc_lo, v[17:18], v[19:20], v[17:18]
	s_delay_alu instid0(VALU_DEP_2) | instskip(SKIP_2) | instid1(VALU_DEP_1)
	v_rcp_f64_e32 v[15:16], v[13:14]
	s_waitcnt_depctr 0xfff
	v_fma_f64 v[21:22], -v[13:14], v[15:16], 1.0
	v_fma_f64 v[15:16], v[15:16], v[21:22], v[15:16]
	s_delay_alu instid0(VALU_DEP_1) | instskip(NEXT) | instid1(VALU_DEP_1)
	v_fma_f64 v[21:22], -v[13:14], v[15:16], 1.0
	v_fma_f64 v[15:16], v[15:16], v[21:22], v[15:16]
	s_delay_alu instid0(VALU_DEP_1) | instskip(NEXT) | instid1(VALU_DEP_1)
	v_mul_f64 v[21:22], v[25:26], v[15:16]
	v_fma_f64 v[13:14], -v[13:14], v[21:22], v[25:26]
	s_delay_alu instid0(VALU_DEP_1) | instskip(NEXT) | instid1(VALU_DEP_1)
	v_div_fmas_f64 v[13:14], v[13:14], v[15:16], v[21:22]
	v_div_fixup_f64 v[13:14], v[13:14], v[19:20], v[17:18]
	s_delay_alu instid0(VALU_DEP_1) | instskip(NEXT) | instid1(VALU_DEP_1)
	v_fma_f64 v[15:16], v[17:18], v[13:14], v[19:20]
	v_div_scale_f64 v[17:18], null, v[15:16], v[15:16], 1.0
	v_div_scale_f64 v[25:26], vcc_lo, 1.0, v[15:16], 1.0
	s_delay_alu instid0(VALU_DEP_2) | instskip(SKIP_2) | instid1(VALU_DEP_1)
	v_rcp_f64_e32 v[19:20], v[17:18]
	s_waitcnt_depctr 0xfff
	v_fma_f64 v[21:22], -v[17:18], v[19:20], 1.0
	v_fma_f64 v[19:20], v[19:20], v[21:22], v[19:20]
	s_delay_alu instid0(VALU_DEP_1) | instskip(NEXT) | instid1(VALU_DEP_1)
	v_fma_f64 v[21:22], -v[17:18], v[19:20], 1.0
	v_fma_f64 v[19:20], v[19:20], v[21:22], v[19:20]
	s_delay_alu instid0(VALU_DEP_1) | instskip(NEXT) | instid1(VALU_DEP_1)
	v_mul_f64 v[21:22], v[25:26], v[19:20]
	v_fma_f64 v[17:18], -v[17:18], v[21:22], v[25:26]
                                        ; implicit-def: $vgpr25_vgpr26
	s_delay_alu instid0(VALU_DEP_1) | instskip(SKIP_1) | instid1(VALU_DEP_2)
	v_div_fmas_f64 v[17:18], v[17:18], v[19:20], v[21:22]
	v_fma_f64 v[19:20], v[13:14], 0, 1.0
                                        ; implicit-def: $vgpr21_vgpr22
	v_div_fixup_f64 v[15:16], v[17:18], v[15:16], 1.0
	v_add_f64 v[17:18], -v[13:14], 0
	s_delay_alu instid0(VALU_DEP_2) | instskip(NEXT) | instid1(VALU_DEP_2)
	v_mul_f64 v[13:14], v[19:20], v[15:16]
	v_mul_f64 v[15:16], v[17:18], v[15:16]
.LBB296_68:                             ;   in Loop: Header=BB296_4 Depth=1
	s_and_not1_saveexec_b32 s24, s2
	s_cbranch_execz .LBB296_70
; %bb.69:                               ;   in Loop: Header=BB296_4 Depth=1
	v_div_scale_f64 v[13:14], null, v[21:22], v[21:22], 1.0
	v_div_scale_f64 v[15:16], null, v[25:26], v[25:26], 0
	v_div_scale_f64 v[32:33], vcc_lo, 1.0, v[21:22], 1.0
	s_delay_alu instid0(VALU_DEP_3) | instskip(NEXT) | instid1(VALU_DEP_2)
	v_rcp_f64_e32 v[17:18], v[13:14]
	v_rcp_f64_e32 v[19:20], v[15:16]
	s_waitcnt_depctr 0xfff
	v_fma_f64 v[28:29], -v[13:14], v[17:18], 1.0
	v_fma_f64 v[30:31], -v[15:16], v[19:20], 1.0
	s_delay_alu instid0(VALU_DEP_2) | instskip(NEXT) | instid1(VALU_DEP_2)
	v_fma_f64 v[17:18], v[17:18], v[28:29], v[17:18]
	v_fma_f64 v[19:20], v[19:20], v[30:31], v[19:20]
	s_delay_alu instid0(VALU_DEP_2) | instskip(NEXT) | instid1(VALU_DEP_2)
	v_fma_f64 v[28:29], -v[13:14], v[17:18], 1.0
	v_fma_f64 v[30:31], -v[15:16], v[19:20], 1.0
	s_delay_alu instid0(VALU_DEP_2) | instskip(SKIP_1) | instid1(VALU_DEP_3)
	v_fma_f64 v[17:18], v[17:18], v[28:29], v[17:18]
	v_div_scale_f64 v[28:29], s2, 0, v[25:26], 0
	v_fma_f64 v[19:20], v[19:20], v[30:31], v[19:20]
	s_delay_alu instid0(VALU_DEP_3) | instskip(NEXT) | instid1(VALU_DEP_2)
	v_mul_f64 v[30:31], v[32:33], v[17:18]
	v_mul_f64 v[34:35], v[28:29], v[19:20]
	s_delay_alu instid0(VALU_DEP_2) | instskip(NEXT) | instid1(VALU_DEP_2)
	v_fma_f64 v[13:14], -v[13:14], v[30:31], v[32:33]
	v_fma_f64 v[15:16], -v[15:16], v[34:35], v[28:29]
	s_delay_alu instid0(VALU_DEP_2) | instskip(SKIP_1) | instid1(VALU_DEP_2)
	v_div_fmas_f64 v[13:14], v[13:14], v[17:18], v[30:31]
	s_mov_b32 vcc_lo, s2
	v_div_fmas_f64 v[15:16], v[15:16], v[19:20], v[34:35]
	s_delay_alu instid0(VALU_DEP_2) | instskip(NEXT) | instid1(VALU_DEP_2)
	v_div_fixup_f64 v[13:14], v[13:14], v[21:22], 1.0
	v_div_fixup_f64 v[15:16], v[15:16], v[25:26], 0
.LBB296_70:                             ;   in Loop: Header=BB296_4 Depth=1
	s_or_b32 exec_lo, exec_lo, s24
                                        ; implicit-def: $vgpr17_vgpr18
                                        ; implicit-def: $vgpr19_vgpr20
.LBB296_71:                             ;   in Loop: Header=BB296_4 Depth=1
	s_and_not1_saveexec_b32 s2, s3
	s_cbranch_execz .LBB296_73
; %bb.72:                               ;   in Loop: Header=BB296_4 Depth=1
	v_div_scale_f64 v[13:14], null, v[17:18], v[17:18], v[19:20]
	v_div_scale_f64 v[25:26], vcc_lo, v[19:20], v[17:18], v[19:20]
	s_delay_alu instid0(VALU_DEP_2) | instskip(SKIP_2) | instid1(VALU_DEP_1)
	v_rcp_f64_e32 v[15:16], v[13:14]
	s_waitcnt_depctr 0xfff
	v_fma_f64 v[21:22], -v[13:14], v[15:16], 1.0
	v_fma_f64 v[15:16], v[15:16], v[21:22], v[15:16]
	s_delay_alu instid0(VALU_DEP_1) | instskip(NEXT) | instid1(VALU_DEP_1)
	v_fma_f64 v[21:22], -v[13:14], v[15:16], 1.0
	v_fma_f64 v[15:16], v[15:16], v[21:22], v[15:16]
	s_delay_alu instid0(VALU_DEP_1) | instskip(NEXT) | instid1(VALU_DEP_1)
	v_mul_f64 v[21:22], v[25:26], v[15:16]
	v_fma_f64 v[13:14], -v[13:14], v[21:22], v[25:26]
	s_delay_alu instid0(VALU_DEP_1) | instskip(NEXT) | instid1(VALU_DEP_1)
	v_div_fmas_f64 v[13:14], v[13:14], v[15:16], v[21:22]
	v_div_fixup_f64 v[13:14], v[13:14], v[17:18], v[19:20]
	s_delay_alu instid0(VALU_DEP_1) | instskip(NEXT) | instid1(VALU_DEP_1)
	v_fma_f64 v[15:16], v[19:20], v[13:14], v[17:18]
	v_div_scale_f64 v[17:18], null, v[15:16], v[15:16], 1.0
	v_div_scale_f64 v[25:26], vcc_lo, 1.0, v[15:16], 1.0
	s_delay_alu instid0(VALU_DEP_2) | instskip(SKIP_2) | instid1(VALU_DEP_1)
	v_rcp_f64_e32 v[19:20], v[17:18]
	s_waitcnt_depctr 0xfff
	v_fma_f64 v[21:22], -v[17:18], v[19:20], 1.0
	v_fma_f64 v[19:20], v[19:20], v[21:22], v[19:20]
	s_delay_alu instid0(VALU_DEP_1) | instskip(NEXT) | instid1(VALU_DEP_1)
	v_fma_f64 v[21:22], -v[17:18], v[19:20], 1.0
	v_fma_f64 v[19:20], v[19:20], v[21:22], v[19:20]
	s_delay_alu instid0(VALU_DEP_1) | instskip(NEXT) | instid1(VALU_DEP_1)
	v_mul_f64 v[21:22], v[25:26], v[19:20]
	v_fma_f64 v[17:18], -v[17:18], v[21:22], v[25:26]
	s_delay_alu instid0(VALU_DEP_1) | instskip(SKIP_1) | instid1(VALU_DEP_2)
	v_div_fmas_f64 v[17:18], v[17:18], v[19:20], v[21:22]
	v_add_f64 v[19:20], v[13:14], 0
	v_div_fixup_f64 v[15:16], v[17:18], v[15:16], 1.0
	v_fma_f64 v[17:18], v[13:14], 0, -1.0
	s_delay_alu instid0(VALU_DEP_2) | instskip(NEXT) | instid1(VALU_DEP_2)
	v_mul_f64 v[13:14], v[19:20], v[15:16]
	v_mul_f64 v[15:16], v[17:18], v[15:16]
.LBB296_73:                             ;   in Loop: Header=BB296_4 Depth=1
	s_or_b32 exec_lo, exec_lo, s2
	s_waitcnt vmcnt(0)
	v_cmp_neq_f64_e32 vcc_lo, 0, v[9:10]
	v_cmp_neq_f64_e64 s2, 0, v[11:12]
	v_mov_b32_e32 v21, 0
	v_mov_b32_e32 v22, 0
	s_delay_alu instid0(VALU_DEP_3) | instskip(NEXT) | instid1(SALU_CYCLE_1)
	s_or_b32 s2, vcc_lo, s2
	s_and_saveexec_b32 s24, s2
	s_cbranch_execz .LBB296_100
; %bb.74:                               ;   in Loop: Header=BB296_4 Depth=1
	v_mov_b32_e32 v21, s12
	v_mov_b32_e32 v22, s13
	s_mov_b32 s25, exec_lo
	v_cmpx_neq_f64_e64 0x7ff00000, |v[11:12]|
	s_cbranch_execz .LBB296_99
; %bb.75:                               ;   in Loop: Header=BB296_4 Depth=1
	s_mov_b32 s2, exec_lo
	v_cmpx_o_f64_e32 v[9:10], v[9:10]
	s_xor_b32 s26, exec_lo, s2
	s_cbranch_execz .LBB296_96
; %bb.76:                               ;   in Loop: Header=BB296_4 Depth=1
	s_mov_b32 s3, exec_lo
	v_cmpx_neq_f64_e64 0x7ff00000, |v[9:10]|
	s_xor_b32 s27, exec_lo, s3
	s_cbranch_execz .LBB296_89
; %bb.77:                               ;   in Loop: Header=BB296_4 Depth=1
	v_max_f64 v[17:18], |v[11:12]|, |v[11:12]|
	v_max_f64 v[19:20], |v[9:10]|, |v[9:10]|
                                        ; implicit-def: $sgpr28
	s_delay_alu instid0(VALU_DEP_1) | instskip(NEXT) | instid1(VALU_DEP_1)
	v_max_f64 v[17:18], v[19:20], v[17:18]
	v_cmp_nle_f64_e64 s2, s[10:11], v[17:18]
	s_delay_alu instid0(VALU_DEP_1) | instskip(NEXT) | instid1(SALU_CYCLE_1)
	s_and_saveexec_b32 s3, s2
	s_xor_b32 s3, exec_lo, s3
	s_cbranch_execz .LBB296_81
; %bb.78:                               ;   in Loop: Header=BB296_4 Depth=1
	v_cmp_ge_f64_e64 s28, 0x200000, |v[9:10]|
	v_cmp_ge_f64_e64 s29, 0x200000, |v[11:12]|
	s_delay_alu instid0(VALU_DEP_1)
	s_and_b32 s30, s28, s29
	s_mov_b32 s28, 0
	s_and_saveexec_b32 s29, s30
; %bb.79:                               ;   in Loop: Header=BB296_4 Depth=1
	v_mul_f64 v[9:10], v[9:10], 4.0
	v_mul_f64 v[11:12], v[11:12], 4.0
	s_mov_b32 s28, exec_lo
; %bb.80:                               ;   in Loop: Header=BB296_4 Depth=1
	s_or_b32 exec_lo, exec_lo, s29
	s_delay_alu instid0(SALU_CYCLE_1)
	s_and_b32 s28, s28, exec_lo
.LBB296_81:                             ;   in Loop: Header=BB296_4 Depth=1
	s_and_not1_saveexec_b32 s3, s3
; %bb.82:                               ;   in Loop: Header=BB296_4 Depth=1
	s_delay_alu instid0(VALU_DEP_2) | instskip(NEXT) | instid1(VALU_DEP_2)
	v_ldexp_f64 v[9:10], v[9:10], -2
	v_ldexp_f64 v[11:12], v[11:12], -2
	s_and_not1_b32 s28, s28, exec_lo
; %bb.83:                               ;   in Loop: Header=BB296_4 Depth=1
	s_or_b32 exec_lo, exec_lo, s3
	s_delay_alu instid0(VALU_DEP_1) | instskip(NEXT) | instid1(VALU_DEP_3)
	v_max_f64 v[17:18], |v[11:12]|, |v[11:12]|
	v_max_f64 v[19:20], |v[9:10]|, |v[9:10]|
	v_cmp_class_f64_e64 s29, v[9:10], 0x204
	v_cmp_class_f64_e64 s30, v[11:12], 0x204
	v_cmp_le_f64_e64 s3, 0, v[9:10]
	s_delay_alu instid0(VALU_DEP_4) | instskip(NEXT) | instid1(VALU_DEP_3)
	v_max_f64 v[17:18], v[19:20], v[17:18]
	s_or_b32 s29, s30, s29
	s_delay_alu instid0(VALU_DEP_1) | instskip(NEXT) | instid1(VALU_DEP_1)
	v_frexp_exp_i32_f64_e32 v28, v[17:18]
	v_sub_nc_u32_e32 v19, 0, v28
	s_delay_alu instid0(VALU_DEP_1) | instskip(SKIP_1) | instid1(VALU_DEP_2)
	v_ldexp_f64 v[17:18], |v[11:12]|, v19
	v_ldexp_f64 v[19:20], |v[9:10]|, v19
	v_mul_f64 v[17:18], v[17:18], v[17:18]
	s_delay_alu instid0(VALU_DEP_1) | instskip(NEXT) | instid1(VALU_DEP_1)
	v_fma_f64 v[17:18], v[19:20], v[19:20], v[17:18]
	v_rsq_f64_e32 v[19:20], v[17:18]
	v_cmp_eq_f64_e32 vcc_lo, 0, v[17:18]
	s_waitcnt_depctr 0xfff
	v_mul_f64 v[21:22], v[17:18], v[19:20]
	v_mul_f64 v[19:20], v[19:20], 0.5
	s_delay_alu instid0(VALU_DEP_1) | instskip(NEXT) | instid1(VALU_DEP_1)
	v_fma_f64 v[25:26], -v[19:20], v[21:22], 0.5
	v_fma_f64 v[21:22], v[21:22], v[25:26], v[21:22]
	v_fma_f64 v[19:20], v[19:20], v[25:26], v[19:20]
	s_delay_alu instid0(VALU_DEP_2) | instskip(NEXT) | instid1(VALU_DEP_1)
	v_fma_f64 v[25:26], -v[21:22], v[21:22], v[17:18]
	v_fma_f64 v[19:20], v[25:26], v[19:20], v[21:22]
	s_delay_alu instid0(VALU_DEP_1) | instskip(SKIP_1) | instid1(VALU_DEP_2)
	v_dual_cndmask_b32 v18, v20, v18 :: v_dual_cndmask_b32 v17, v19, v17
	v_cmp_o_f64_e32 vcc_lo, v[11:12], v[11:12]
	v_ldexp_f64 v[17:18], v[17:18], v28
	s_delay_alu instid0(VALU_DEP_1) | instskip(NEXT) | instid1(VALU_DEP_2)
	v_cndmask_b32_e32 v17, 0, v17, vcc_lo
	v_cndmask_b32_e32 v18, 0x7ff80000, v18, vcc_lo
	s_delay_alu instid0(VALU_DEP_2) | instskip(NEXT) | instid1(VALU_DEP_2)
	v_cndmask_b32_e64 v17, v17, 0, s29
	v_cndmask_b32_e64 v18, v18, 0x7ff00000, s29
	s_and_saveexec_b32 s29, s3
	s_delay_alu instid0(SALU_CYCLE_1)
	s_xor_b32 s3, exec_lo, s29
	s_cbranch_execnz .LBB296_154
; %bb.84:                               ;   in Loop: Header=BB296_4 Depth=1
	s_and_not1_saveexec_b32 s3, s3
	s_cbranch_execnz .LBB296_155
.LBB296_85:                             ;   in Loop: Header=BB296_4 Depth=1
	s_or_b32 exec_lo, exec_lo, s3
	s_and_saveexec_b32 s3, s2
	s_delay_alu instid0(SALU_CYCLE_1)
	s_xor_b32 s2, exec_lo, s3
	s_cbranch_execnz .LBB296_156
.LBB296_86:                             ;   in Loop: Header=BB296_4 Depth=1
	s_and_not1_saveexec_b32 s2, s2
.LBB296_87:                             ;   in Loop: Header=BB296_4 Depth=1
	s_delay_alu instid0(VALU_DEP_2) | instskip(NEXT) | instid1(VALU_DEP_2)
	v_add_f64 v[9:10], v[9:10], v[9:10]
	v_add_f64 v[11:12], v[11:12], v[11:12]
.LBB296_88:                             ;   in Loop: Header=BB296_4 Depth=1
	s_or_b32 exec_lo, exec_lo, s2
.LBB296_89:                             ;   in Loop: Header=BB296_4 Depth=1
	s_and_not1_saveexec_b32 s2, s27
	s_cbranch_execz .LBB296_95
; %bb.90:                               ;   in Loop: Header=BB296_4 Depth=1
	s_delay_alu instid0(VALU_DEP_1) | instskip(SKIP_1) | instid1(VALU_DEP_3)
	v_add_f64 v[17:18], v[11:12], -v[11:12]
	s_mov_b32 s3, exec_lo
	v_cmpx_lt_i64_e32 -1, v[9:10]
	s_xor_b32 s3, exec_lo, s3
; %bb.91:                               ;   in Loop: Header=BB296_4 Depth=1
	s_delay_alu instid0(VALU_DEP_2) | instskip(NEXT) | instid1(VALU_DEP_1)
	v_bfi_b32 v18, 0x7fffffff, v18, v12
	v_dual_mov_b32 v11, v17 :: v_dual_mov_b32 v12, v18
                                        ; implicit-def: $vgpr17_vgpr18
; %bb.92:                               ;   in Loop: Header=BB296_4 Depth=1
	s_and_not1_saveexec_b32 s3, s3
; %bb.93:                               ;   in Loop: Header=BB296_4 Depth=1
	s_delay_alu instid0(VALU_DEP_1) | instskip(SKIP_1) | instid1(VALU_DEP_2)
	v_bfi_b32 v10, 0x7fffffff, v10, v12
	v_and_b32_e32 v18, 0x7fffffff, v18
	v_dual_mov_b32 v12, v10 :: v_dual_mov_b32 v11, v9
	s_delay_alu instid0(VALU_DEP_2)
	v_dual_mov_b32 v9, v17 :: v_dual_mov_b32 v10, v18
; %bb.94:                               ;   in Loop: Header=BB296_4 Depth=1
	s_or_b32 exec_lo, exec_lo, s3
.LBB296_95:                             ;   in Loop: Header=BB296_4 Depth=1
	s_delay_alu instid0(SALU_CYCLE_1)
	s_or_b32 exec_lo, exec_lo, s2
.LBB296_96:                             ;   in Loop: Header=BB296_4 Depth=1
	s_and_not1_saveexec_b32 s2, s26
; %bb.97:                               ;   in Loop: Header=BB296_4 Depth=1
	s_delay_alu instid0(VALU_DEP_1) | instskip(NEXT) | instid1(VALU_DEP_1)
	v_add_f64 v[11:12], v[11:12], -v[11:12]
	v_div_scale_f64 v[17:18], vcc_lo, v[11:12], v[11:12], v[11:12]
	s_delay_alu instid0(VALU_DEP_1) | instskip(SKIP_2) | instid1(VALU_DEP_1)
	v_rcp_f64_e32 v[19:20], v[17:18]
	s_waitcnt_depctr 0xfff
	v_fma_f64 v[21:22], -v[17:18], v[19:20], 1.0
	v_fma_f64 v[19:20], v[19:20], v[21:22], v[19:20]
	s_delay_alu instid0(VALU_DEP_1) | instskip(NEXT) | instid1(VALU_DEP_1)
	v_fma_f64 v[21:22], -v[17:18], v[19:20], 1.0
	v_fma_f64 v[19:20], v[19:20], v[21:22], v[19:20]
	s_delay_alu instid0(VALU_DEP_1) | instskip(NEXT) | instid1(VALU_DEP_1)
	v_mul_f64 v[21:22], v[17:18], v[19:20]
	v_fma_f64 v[17:18], -v[17:18], v[21:22], v[17:18]
	s_delay_alu instid0(VALU_DEP_1) | instskip(NEXT) | instid1(VALU_DEP_1)
	v_div_fmas_f64 v[17:18], v[17:18], v[19:20], v[21:22]
	v_div_fixup_f64 v[11:12], v[17:18], v[11:12], v[11:12]
; %bb.98:                               ;   in Loop: Header=BB296_4 Depth=1
	s_or_b32 exec_lo, exec_lo, s2
	v_dual_mov_b32 v22, v10 :: v_dual_mov_b32 v21, v9
.LBB296_99:                             ;   in Loop: Header=BB296_4 Depth=1
	s_or_b32 exec_lo, exec_lo, s25
.LBB296_100:                            ;   in Loop: Header=BB296_4 Depth=1
	s_delay_alu instid0(SALU_CYCLE_1) | instskip(NEXT) | instid1(VALU_DEP_1)
	s_or_b32 exec_lo, exec_lo, s24
	v_cmp_gt_f64_e32 vcc_lo, 0, v[21:22]
	s_delay_alu instid0(VALU_DEP_3) | instskip(SKIP_2) | instid1(VALU_DEP_2)
	v_cmp_gt_f64_e64 s2, 0, v[11:12]
	v_xor_b32_e32 v9, 0x80000000, v22
	v_xor_b32_e32 v17, 0x80000000, v12
                                        ; implicit-def: $vgpr19_vgpr20
	v_cndmask_b32_e32 v10, v22, v9, vcc_lo
	s_delay_alu instid0(VALU_DEP_2) | instskip(SKIP_3) | instid1(VALU_DEP_1)
	v_cndmask_b32_e64 v26, v12, v17, s2
	v_cndmask_b32_e32 v9, v21, v21, vcc_lo
	v_cndmask_b32_e64 v25, v11, v11, s2
	s_mov_b32 s2, exec_lo
	v_cmpx_ge_f64_e32 v[9:10], v[25:26]
	s_xor_b32 s3, exec_lo, s2
	s_cbranch_execz .LBB296_106
; %bb.101:                              ;   in Loop: Header=BB296_4 Depth=1
	v_cmp_neq_f64_e32 vcc_lo, 0, v[21:22]
	v_cmp_neq_f64_e64 s2, 0, v[11:12]
                                        ; implicit-def: $vgpr19_vgpr20
	s_delay_alu instid0(VALU_DEP_1) | instskip(NEXT) | instid1(SALU_CYCLE_1)
	s_or_b32 s2, vcc_lo, s2
	s_and_saveexec_b32 s24, s2
	s_delay_alu instid0(SALU_CYCLE_1)
	s_xor_b32 s2, exec_lo, s24
	s_cbranch_execz .LBB296_103
; %bb.102:                              ;   in Loop: Header=BB296_4 Depth=1
	v_div_scale_f64 v[9:10], null, v[21:22], v[21:22], v[11:12]
	v_div_scale_f64 v[25:26], vcc_lo, v[11:12], v[21:22], v[11:12]
	s_delay_alu instid0(VALU_DEP_2) | instskip(SKIP_2) | instid1(VALU_DEP_1)
	v_rcp_f64_e32 v[17:18], v[9:10]
	s_waitcnt_depctr 0xfff
	v_fma_f64 v[19:20], -v[9:10], v[17:18], 1.0
	v_fma_f64 v[17:18], v[17:18], v[19:20], v[17:18]
	s_delay_alu instid0(VALU_DEP_1) | instskip(NEXT) | instid1(VALU_DEP_1)
	v_fma_f64 v[19:20], -v[9:10], v[17:18], 1.0
	v_fma_f64 v[17:18], v[17:18], v[19:20], v[17:18]
	s_delay_alu instid0(VALU_DEP_1) | instskip(NEXT) | instid1(VALU_DEP_1)
	v_mul_f64 v[19:20], v[25:26], v[17:18]
	v_fma_f64 v[9:10], -v[9:10], v[19:20], v[25:26]
	s_delay_alu instid0(VALU_DEP_1) | instskip(NEXT) | instid1(VALU_DEP_1)
	v_div_fmas_f64 v[9:10], v[9:10], v[17:18], v[19:20]
	v_div_fixup_f64 v[9:10], v[9:10], v[21:22], v[11:12]
	s_delay_alu instid0(VALU_DEP_1) | instskip(NEXT) | instid1(VALU_DEP_1)
	v_fma_f64 v[11:12], v[11:12], v[9:10], v[21:22]
	v_div_scale_f64 v[17:18], null, v[11:12], v[11:12], 1.0
	v_div_scale_f64 v[25:26], vcc_lo, 1.0, v[11:12], 1.0
	s_delay_alu instid0(VALU_DEP_2) | instskip(SKIP_2) | instid1(VALU_DEP_1)
	v_rcp_f64_e32 v[19:20], v[17:18]
	s_waitcnt_depctr 0xfff
	v_fma_f64 v[21:22], -v[17:18], v[19:20], 1.0
	v_fma_f64 v[19:20], v[19:20], v[21:22], v[19:20]
	s_delay_alu instid0(VALU_DEP_1) | instskip(NEXT) | instid1(VALU_DEP_1)
	v_fma_f64 v[21:22], -v[17:18], v[19:20], 1.0
	v_fma_f64 v[19:20], v[19:20], v[21:22], v[19:20]
	s_delay_alu instid0(VALU_DEP_1) | instskip(NEXT) | instid1(VALU_DEP_1)
	v_mul_f64 v[21:22], v[25:26], v[19:20]
	v_fma_f64 v[17:18], -v[17:18], v[21:22], v[25:26]
                                        ; implicit-def: $vgpr25_vgpr26
	s_delay_alu instid0(VALU_DEP_1) | instskip(SKIP_2) | instid1(VALU_DEP_3)
	v_div_fmas_f64 v[17:18], v[17:18], v[19:20], v[21:22]
	v_fma_f64 v[19:20], v[9:10], 0, 1.0
	v_add_f64 v[9:10], -v[9:10], 0
	v_div_fixup_f64 v[11:12], v[17:18], v[11:12], 1.0
	s_delay_alu instid0(VALU_DEP_1) | instskip(NEXT) | instid1(VALU_DEP_3)
	v_mul_f64 v[17:18], v[19:20], v[11:12]
	v_mul_f64 v[19:20], v[9:10], v[11:12]
                                        ; implicit-def: $vgpr9_vgpr10
.LBB296_103:                            ;   in Loop: Header=BB296_4 Depth=1
	s_and_not1_saveexec_b32 s24, s2
	s_cbranch_execz .LBB296_105
; %bb.104:                              ;   in Loop: Header=BB296_4 Depth=1
	v_div_scale_f64 v[11:12], null, v[9:10], v[9:10], 1.0
	v_div_scale_f64 v[17:18], null, v[25:26], v[25:26], 0
	v_div_scale_f64 v[32:33], vcc_lo, 1.0, v[9:10], 1.0
	s_delay_alu instid0(VALU_DEP_3) | instskip(NEXT) | instid1(VALU_DEP_2)
	v_rcp_f64_e32 v[19:20], v[11:12]
	v_rcp_f64_e32 v[21:22], v[17:18]
	s_waitcnt_depctr 0xfff
	v_fma_f64 v[28:29], -v[11:12], v[19:20], 1.0
	v_fma_f64 v[30:31], -v[17:18], v[21:22], 1.0
	s_delay_alu instid0(VALU_DEP_2) | instskip(NEXT) | instid1(VALU_DEP_2)
	v_fma_f64 v[19:20], v[19:20], v[28:29], v[19:20]
	v_fma_f64 v[21:22], v[21:22], v[30:31], v[21:22]
	s_delay_alu instid0(VALU_DEP_2) | instskip(NEXT) | instid1(VALU_DEP_2)
	v_fma_f64 v[28:29], -v[11:12], v[19:20], 1.0
	v_fma_f64 v[30:31], -v[17:18], v[21:22], 1.0
	s_delay_alu instid0(VALU_DEP_2) | instskip(SKIP_1) | instid1(VALU_DEP_3)
	v_fma_f64 v[19:20], v[19:20], v[28:29], v[19:20]
	v_div_scale_f64 v[28:29], s2, 0, v[25:26], 0
	v_fma_f64 v[21:22], v[21:22], v[30:31], v[21:22]
	s_delay_alu instid0(VALU_DEP_3) | instskip(NEXT) | instid1(VALU_DEP_2)
	v_mul_f64 v[30:31], v[32:33], v[19:20]
	v_mul_f64 v[34:35], v[28:29], v[21:22]
	s_delay_alu instid0(VALU_DEP_2) | instskip(NEXT) | instid1(VALU_DEP_2)
	v_fma_f64 v[11:12], -v[11:12], v[30:31], v[32:33]
	v_fma_f64 v[17:18], -v[17:18], v[34:35], v[28:29]
	s_delay_alu instid0(VALU_DEP_2) | instskip(SKIP_1) | instid1(VALU_DEP_2)
	v_div_fmas_f64 v[11:12], v[11:12], v[19:20], v[30:31]
	s_mov_b32 vcc_lo, s2
	v_div_fmas_f64 v[19:20], v[17:18], v[21:22], v[34:35]
	s_delay_alu instid0(VALU_DEP_2) | instskip(NEXT) | instid1(VALU_DEP_2)
	v_div_fixup_f64 v[17:18], v[11:12], v[9:10], 1.0
	v_div_fixup_f64 v[19:20], v[19:20], v[25:26], 0
.LBB296_105:                            ;   in Loop: Header=BB296_4 Depth=1
	s_or_b32 exec_lo, exec_lo, s24
                                        ; implicit-def: $vgpr11_vgpr12
                                        ; implicit-def: $vgpr21_vgpr22
.LBB296_106:                            ;   in Loop: Header=BB296_4 Depth=1
	s_and_not1_saveexec_b32 s2, s3
	s_cbranch_execz .LBB296_108
; %bb.107:                              ;   in Loop: Header=BB296_4 Depth=1
	v_div_scale_f64 v[9:10], null, v[11:12], v[11:12], v[21:22]
	v_div_scale_f64 v[25:26], vcc_lo, v[21:22], v[11:12], v[21:22]
	s_delay_alu instid0(VALU_DEP_2) | instskip(SKIP_2) | instid1(VALU_DEP_1)
	v_rcp_f64_e32 v[17:18], v[9:10]
	s_waitcnt_depctr 0xfff
	v_fma_f64 v[19:20], -v[9:10], v[17:18], 1.0
	v_fma_f64 v[17:18], v[17:18], v[19:20], v[17:18]
	s_delay_alu instid0(VALU_DEP_1) | instskip(NEXT) | instid1(VALU_DEP_1)
	v_fma_f64 v[19:20], -v[9:10], v[17:18], 1.0
	v_fma_f64 v[17:18], v[17:18], v[19:20], v[17:18]
	s_delay_alu instid0(VALU_DEP_1) | instskip(NEXT) | instid1(VALU_DEP_1)
	v_mul_f64 v[19:20], v[25:26], v[17:18]
	v_fma_f64 v[9:10], -v[9:10], v[19:20], v[25:26]
	s_delay_alu instid0(VALU_DEP_1) | instskip(NEXT) | instid1(VALU_DEP_1)
	v_div_fmas_f64 v[9:10], v[9:10], v[17:18], v[19:20]
	v_div_fixup_f64 v[9:10], v[9:10], v[11:12], v[21:22]
	s_delay_alu instid0(VALU_DEP_1) | instskip(NEXT) | instid1(VALU_DEP_1)
	v_fma_f64 v[11:12], v[21:22], v[9:10], v[11:12]
	v_div_scale_f64 v[17:18], null, v[11:12], v[11:12], 1.0
	v_div_scale_f64 v[25:26], vcc_lo, 1.0, v[11:12], 1.0
	s_delay_alu instid0(VALU_DEP_2) | instskip(SKIP_2) | instid1(VALU_DEP_1)
	v_rcp_f64_e32 v[19:20], v[17:18]
	s_waitcnt_depctr 0xfff
	v_fma_f64 v[21:22], -v[17:18], v[19:20], 1.0
	v_fma_f64 v[19:20], v[19:20], v[21:22], v[19:20]
	s_delay_alu instid0(VALU_DEP_1) | instskip(NEXT) | instid1(VALU_DEP_1)
	v_fma_f64 v[21:22], -v[17:18], v[19:20], 1.0
	v_fma_f64 v[19:20], v[19:20], v[21:22], v[19:20]
	s_delay_alu instid0(VALU_DEP_1) | instskip(NEXT) | instid1(VALU_DEP_1)
	v_mul_f64 v[21:22], v[25:26], v[19:20]
	v_fma_f64 v[17:18], -v[17:18], v[21:22], v[25:26]
	s_delay_alu instid0(VALU_DEP_1) | instskip(SKIP_2) | instid1(VALU_DEP_3)
	v_div_fmas_f64 v[17:18], v[17:18], v[19:20], v[21:22]
	v_add_f64 v[19:20], v[9:10], 0
	v_fma_f64 v[9:10], v[9:10], 0, -1.0
	v_div_fixup_f64 v[11:12], v[17:18], v[11:12], 1.0
	s_delay_alu instid0(VALU_DEP_1) | instskip(NEXT) | instid1(VALU_DEP_3)
	v_mul_f64 v[17:18], v[19:20], v[11:12]
	v_mul_f64 v[19:20], v[9:10], v[11:12]
.LBB296_108:                            ;   in Loop: Header=BB296_4 Depth=1
	s_or_b32 exec_lo, exec_lo, s2
	v_cmp_neq_f64_e32 vcc_lo, 0, v[1:2]
	v_cmp_neq_f64_e64 s2, 0, v[3:4]
	v_mov_b32_e32 v21, 0
	v_mov_b32_e32 v22, 0
	s_delay_alu instid0(VALU_DEP_3) | instskip(NEXT) | instid1(SALU_CYCLE_1)
	s_or_b32 s2, vcc_lo, s2
	s_and_saveexec_b32 s24, s2
	s_cbranch_execz .LBB296_135
; %bb.109:                              ;   in Loop: Header=BB296_4 Depth=1
	v_mov_b32_e32 v21, s12
	v_mov_b32_e32 v22, s13
	s_mov_b32 s25, exec_lo
	v_cmpx_neq_f64_e64 0x7ff00000, |v[3:4]|
	s_cbranch_execz .LBB296_134
; %bb.110:                              ;   in Loop: Header=BB296_4 Depth=1
	s_mov_b32 s2, exec_lo
	v_cmpx_o_f64_e32 v[1:2], v[1:2]
	s_xor_b32 s26, exec_lo, s2
	s_cbranch_execz .LBB296_131
; %bb.111:                              ;   in Loop: Header=BB296_4 Depth=1
	s_mov_b32 s3, exec_lo
	v_cmpx_neq_f64_e64 0x7ff00000, |v[1:2]|
	s_xor_b32 s27, exec_lo, s3
	s_cbranch_execz .LBB296_124
; %bb.112:                              ;   in Loop: Header=BB296_4 Depth=1
	v_max_f64 v[9:10], |v[3:4]|, |v[3:4]|
	v_max_f64 v[11:12], |v[1:2]|, |v[1:2]|
                                        ; implicit-def: $sgpr28
	s_delay_alu instid0(VALU_DEP_1) | instskip(NEXT) | instid1(VALU_DEP_1)
	v_max_f64 v[9:10], v[11:12], v[9:10]
	v_cmp_nle_f64_e64 s2, s[10:11], v[9:10]
	s_delay_alu instid0(VALU_DEP_1) | instskip(NEXT) | instid1(SALU_CYCLE_1)
	s_and_saveexec_b32 s3, s2
	s_xor_b32 s3, exec_lo, s3
	s_cbranch_execz .LBB296_116
; %bb.113:                              ;   in Loop: Header=BB296_4 Depth=1
	v_cmp_ge_f64_e64 s28, 0x200000, |v[1:2]|
	v_cmp_ge_f64_e64 s29, 0x200000, |v[3:4]|
	s_delay_alu instid0(VALU_DEP_1)
	s_and_b32 s30, s28, s29
	s_mov_b32 s28, 0
	s_and_saveexec_b32 s29, s30
; %bb.114:                              ;   in Loop: Header=BB296_4 Depth=1
	v_mul_f64 v[1:2], v[1:2], 4.0
	v_mul_f64 v[3:4], v[3:4], 4.0
	s_mov_b32 s28, exec_lo
; %bb.115:                              ;   in Loop: Header=BB296_4 Depth=1
	s_or_b32 exec_lo, exec_lo, s29
	s_delay_alu instid0(SALU_CYCLE_1)
	s_and_b32 s28, s28, exec_lo
.LBB296_116:                            ;   in Loop: Header=BB296_4 Depth=1
	s_and_not1_saveexec_b32 s3, s3
; %bb.117:                              ;   in Loop: Header=BB296_4 Depth=1
	s_delay_alu instid0(VALU_DEP_2) | instskip(NEXT) | instid1(VALU_DEP_2)
	v_ldexp_f64 v[1:2], v[1:2], -2
	v_ldexp_f64 v[3:4], v[3:4], -2
	s_and_not1_b32 s28, s28, exec_lo
; %bb.118:                              ;   in Loop: Header=BB296_4 Depth=1
	s_or_b32 exec_lo, exec_lo, s3
	s_delay_alu instid0(VALU_DEP_1) | instskip(NEXT) | instid1(VALU_DEP_3)
	v_max_f64 v[9:10], |v[3:4]|, |v[3:4]|
	v_max_f64 v[11:12], |v[1:2]|, |v[1:2]|
	v_cmp_class_f64_e64 s29, v[1:2], 0x204
	v_cmp_class_f64_e64 s30, v[3:4], 0x204
	v_cmp_le_f64_e64 s3, 0, v[1:2]
	s_delay_alu instid0(VALU_DEP_4) | instskip(NEXT) | instid1(VALU_DEP_3)
	v_max_f64 v[9:10], v[11:12], v[9:10]
	s_or_b32 s29, s30, s29
	s_delay_alu instid0(VALU_DEP_1) | instskip(NEXT) | instid1(VALU_DEP_1)
	v_frexp_exp_i32_f64_e32 v28, v[9:10]
	v_sub_nc_u32_e32 v11, 0, v28
	s_delay_alu instid0(VALU_DEP_1) | instskip(SKIP_1) | instid1(VALU_DEP_2)
	v_ldexp_f64 v[9:10], |v[3:4]|, v11
	v_ldexp_f64 v[11:12], |v[1:2]|, v11
	v_mul_f64 v[9:10], v[9:10], v[9:10]
	s_delay_alu instid0(VALU_DEP_1) | instskip(NEXT) | instid1(VALU_DEP_1)
	v_fma_f64 v[9:10], v[11:12], v[11:12], v[9:10]
	v_rsq_f64_e32 v[11:12], v[9:10]
	v_cmp_eq_f64_e32 vcc_lo, 0, v[9:10]
	s_waitcnt_depctr 0xfff
	v_mul_f64 v[21:22], v[9:10], v[11:12]
	v_mul_f64 v[11:12], v[11:12], 0.5
	s_delay_alu instid0(VALU_DEP_1) | instskip(NEXT) | instid1(VALU_DEP_1)
	v_fma_f64 v[25:26], -v[11:12], v[21:22], 0.5
	v_fma_f64 v[21:22], v[21:22], v[25:26], v[21:22]
	v_fma_f64 v[11:12], v[11:12], v[25:26], v[11:12]
	s_delay_alu instid0(VALU_DEP_2) | instskip(NEXT) | instid1(VALU_DEP_1)
	v_fma_f64 v[25:26], -v[21:22], v[21:22], v[9:10]
	v_fma_f64 v[11:12], v[25:26], v[11:12], v[21:22]
	s_delay_alu instid0(VALU_DEP_1) | instskip(SKIP_1) | instid1(VALU_DEP_2)
	v_dual_cndmask_b32 v10, v12, v10 :: v_dual_cndmask_b32 v9, v11, v9
	v_cmp_o_f64_e32 vcc_lo, v[3:4], v[3:4]
	v_ldexp_f64 v[9:10], v[9:10], v28
	s_delay_alu instid0(VALU_DEP_1) | instskip(NEXT) | instid1(VALU_DEP_2)
	v_cndmask_b32_e32 v9, 0, v9, vcc_lo
	v_cndmask_b32_e32 v10, 0x7ff80000, v10, vcc_lo
	s_delay_alu instid0(VALU_DEP_2) | instskip(NEXT) | instid1(VALU_DEP_2)
	v_cndmask_b32_e64 v9, v9, 0, s29
	v_cndmask_b32_e64 v10, v10, 0x7ff00000, s29
	s_and_saveexec_b32 s29, s3
	s_delay_alu instid0(SALU_CYCLE_1)
	s_xor_b32 s3, exec_lo, s29
	s_cbranch_execnz .LBB296_159
; %bb.119:                              ;   in Loop: Header=BB296_4 Depth=1
	s_and_not1_saveexec_b32 s3, s3
	s_cbranch_execnz .LBB296_160
.LBB296_120:                            ;   in Loop: Header=BB296_4 Depth=1
	s_or_b32 exec_lo, exec_lo, s3
	s_and_saveexec_b32 s3, s2
	s_delay_alu instid0(SALU_CYCLE_1)
	s_xor_b32 s2, exec_lo, s3
	s_cbranch_execnz .LBB296_161
.LBB296_121:                            ;   in Loop: Header=BB296_4 Depth=1
	s_and_not1_saveexec_b32 s2, s2
.LBB296_122:                            ;   in Loop: Header=BB296_4 Depth=1
	s_delay_alu instid0(VALU_DEP_2) | instskip(NEXT) | instid1(VALU_DEP_2)
	v_add_f64 v[1:2], v[1:2], v[1:2]
	v_add_f64 v[3:4], v[3:4], v[3:4]
.LBB296_123:                            ;   in Loop: Header=BB296_4 Depth=1
	s_or_b32 exec_lo, exec_lo, s2
.LBB296_124:                            ;   in Loop: Header=BB296_4 Depth=1
	s_and_not1_saveexec_b32 s2, s27
	s_cbranch_execz .LBB296_130
; %bb.125:                              ;   in Loop: Header=BB296_4 Depth=1
	s_delay_alu instid0(VALU_DEP_1) | instskip(SKIP_1) | instid1(VALU_DEP_3)
	v_add_f64 v[9:10], v[3:4], -v[3:4]
	s_mov_b32 s3, exec_lo
	v_cmpx_lt_i64_e32 -1, v[1:2]
	s_xor_b32 s3, exec_lo, s3
; %bb.126:                              ;   in Loop: Header=BB296_4 Depth=1
	s_delay_alu instid0(VALU_DEP_2) | instskip(NEXT) | instid1(VALU_DEP_1)
	v_bfi_b32 v10, 0x7fffffff, v10, v4
	v_dual_mov_b32 v3, v9 :: v_dual_mov_b32 v4, v10
                                        ; implicit-def: $vgpr9_vgpr10
; %bb.127:                              ;   in Loop: Header=BB296_4 Depth=1
	s_and_not1_saveexec_b32 s3, s3
; %bb.128:                              ;   in Loop: Header=BB296_4 Depth=1
	s_delay_alu instid0(VALU_DEP_1) | instskip(SKIP_1) | instid1(VALU_DEP_2)
	v_bfi_b32 v2, 0x7fffffff, v2, v4
	v_and_b32_e32 v10, 0x7fffffff, v10
	v_dual_mov_b32 v4, v2 :: v_dual_mov_b32 v3, v1
	s_delay_alu instid0(VALU_DEP_2)
	v_dual_mov_b32 v1, v9 :: v_dual_mov_b32 v2, v10
; %bb.129:                              ;   in Loop: Header=BB296_4 Depth=1
	s_or_b32 exec_lo, exec_lo, s3
.LBB296_130:                            ;   in Loop: Header=BB296_4 Depth=1
	s_delay_alu instid0(SALU_CYCLE_1)
	s_or_b32 exec_lo, exec_lo, s2
.LBB296_131:                            ;   in Loop: Header=BB296_4 Depth=1
	s_and_not1_saveexec_b32 s2, s26
; %bb.132:                              ;   in Loop: Header=BB296_4 Depth=1
	s_delay_alu instid0(VALU_DEP_1) | instskip(NEXT) | instid1(VALU_DEP_1)
	v_add_f64 v[3:4], v[3:4], -v[3:4]
	v_div_scale_f64 v[9:10], vcc_lo, v[3:4], v[3:4], v[3:4]
	s_delay_alu instid0(VALU_DEP_1) | instskip(SKIP_2) | instid1(VALU_DEP_1)
	v_rcp_f64_e32 v[11:12], v[9:10]
	s_waitcnt_depctr 0xfff
	v_fma_f64 v[21:22], -v[9:10], v[11:12], 1.0
	v_fma_f64 v[11:12], v[11:12], v[21:22], v[11:12]
	s_delay_alu instid0(VALU_DEP_1) | instskip(NEXT) | instid1(VALU_DEP_1)
	v_fma_f64 v[21:22], -v[9:10], v[11:12], 1.0
	v_fma_f64 v[11:12], v[11:12], v[21:22], v[11:12]
	s_delay_alu instid0(VALU_DEP_1) | instskip(NEXT) | instid1(VALU_DEP_1)
	v_mul_f64 v[21:22], v[9:10], v[11:12]
	v_fma_f64 v[9:10], -v[9:10], v[21:22], v[9:10]
	s_delay_alu instid0(VALU_DEP_1) | instskip(NEXT) | instid1(VALU_DEP_1)
	v_div_fmas_f64 v[9:10], v[9:10], v[11:12], v[21:22]
	v_div_fixup_f64 v[3:4], v[9:10], v[3:4], v[3:4]
; %bb.133:                              ;   in Loop: Header=BB296_4 Depth=1
	s_or_b32 exec_lo, exec_lo, s2
	v_dual_mov_b32 v22, v2 :: v_dual_mov_b32 v21, v1
.LBB296_134:                            ;   in Loop: Header=BB296_4 Depth=1
	s_or_b32 exec_lo, exec_lo, s25
.LBB296_135:                            ;   in Loop: Header=BB296_4 Depth=1
	s_delay_alu instid0(SALU_CYCLE_1) | instskip(NEXT) | instid1(VALU_DEP_1)
	s_or_b32 exec_lo, exec_lo, s24
	v_cmp_gt_f64_e32 vcc_lo, 0, v[21:22]
	s_delay_alu instid0(VALU_DEP_3) | instskip(SKIP_2) | instid1(VALU_DEP_2)
	v_cmp_gt_f64_e64 s2, 0, v[3:4]
	v_xor_b32_e32 v1, 0x80000000, v22
	v_xor_b32_e32 v9, 0x80000000, v4
                                        ; implicit-def: $vgpr11_vgpr12
	v_cndmask_b32_e32 v2, v22, v1, vcc_lo
	s_delay_alu instid0(VALU_DEP_2) | instskip(SKIP_3) | instid1(VALU_DEP_1)
	v_cndmask_b32_e64 v26, v4, v9, s2
	v_cndmask_b32_e32 v1, v21, v21, vcc_lo
	v_cndmask_b32_e64 v25, v3, v3, s2
	s_mov_b32 s2, exec_lo
	v_cmpx_ge_f64_e32 v[1:2], v[25:26]
	s_xor_b32 s3, exec_lo, s2
	s_cbranch_execz .LBB296_141
; %bb.136:                              ;   in Loop: Header=BB296_4 Depth=1
	v_cmp_neq_f64_e32 vcc_lo, 0, v[21:22]
	v_cmp_neq_f64_e64 s2, 0, v[3:4]
                                        ; implicit-def: $vgpr11_vgpr12
	s_delay_alu instid0(VALU_DEP_1) | instskip(NEXT) | instid1(SALU_CYCLE_1)
	s_or_b32 s2, vcc_lo, s2
	s_and_saveexec_b32 s24, s2
	s_delay_alu instid0(SALU_CYCLE_1)
	s_xor_b32 s2, exec_lo, s24
	s_cbranch_execz .LBB296_138
; %bb.137:                              ;   in Loop: Header=BB296_4 Depth=1
	v_div_scale_f64 v[1:2], null, v[21:22], v[21:22], v[3:4]
	v_div_scale_f64 v[25:26], vcc_lo, v[3:4], v[21:22], v[3:4]
	s_delay_alu instid0(VALU_DEP_2) | instskip(SKIP_2) | instid1(VALU_DEP_1)
	v_rcp_f64_e32 v[9:10], v[1:2]
	s_waitcnt_depctr 0xfff
	v_fma_f64 v[11:12], -v[1:2], v[9:10], 1.0
	v_fma_f64 v[9:10], v[9:10], v[11:12], v[9:10]
	s_delay_alu instid0(VALU_DEP_1) | instskip(NEXT) | instid1(VALU_DEP_1)
	v_fma_f64 v[11:12], -v[1:2], v[9:10], 1.0
	v_fma_f64 v[9:10], v[9:10], v[11:12], v[9:10]
	s_delay_alu instid0(VALU_DEP_1) | instskip(NEXT) | instid1(VALU_DEP_1)
	v_mul_f64 v[11:12], v[25:26], v[9:10]
	v_fma_f64 v[1:2], -v[1:2], v[11:12], v[25:26]
	s_delay_alu instid0(VALU_DEP_1) | instskip(NEXT) | instid1(VALU_DEP_1)
	v_div_fmas_f64 v[1:2], v[1:2], v[9:10], v[11:12]
	v_div_fixup_f64 v[1:2], v[1:2], v[21:22], v[3:4]
	s_delay_alu instid0(VALU_DEP_1) | instskip(NEXT) | instid1(VALU_DEP_1)
	v_fma_f64 v[3:4], v[3:4], v[1:2], v[21:22]
	v_div_scale_f64 v[9:10], null, v[3:4], v[3:4], 1.0
	v_div_scale_f64 v[25:26], vcc_lo, 1.0, v[3:4], 1.0
	s_delay_alu instid0(VALU_DEP_2) | instskip(SKIP_2) | instid1(VALU_DEP_1)
	v_rcp_f64_e32 v[11:12], v[9:10]
	s_waitcnt_depctr 0xfff
	v_fma_f64 v[21:22], -v[9:10], v[11:12], 1.0
	v_fma_f64 v[11:12], v[11:12], v[21:22], v[11:12]
	s_delay_alu instid0(VALU_DEP_1) | instskip(NEXT) | instid1(VALU_DEP_1)
	v_fma_f64 v[21:22], -v[9:10], v[11:12], 1.0
	v_fma_f64 v[11:12], v[11:12], v[21:22], v[11:12]
	s_delay_alu instid0(VALU_DEP_1) | instskip(NEXT) | instid1(VALU_DEP_1)
	v_mul_f64 v[21:22], v[25:26], v[11:12]
	v_fma_f64 v[9:10], -v[9:10], v[21:22], v[25:26]
                                        ; implicit-def: $vgpr25_vgpr26
	s_delay_alu instid0(VALU_DEP_1) | instskip(SKIP_2) | instid1(VALU_DEP_3)
	v_div_fmas_f64 v[9:10], v[9:10], v[11:12], v[21:22]
	v_fma_f64 v[11:12], v[1:2], 0, 1.0
	v_add_f64 v[1:2], -v[1:2], 0
	v_div_fixup_f64 v[3:4], v[9:10], v[3:4], 1.0
	s_delay_alu instid0(VALU_DEP_1) | instskip(NEXT) | instid1(VALU_DEP_3)
	v_mul_f64 v[9:10], v[11:12], v[3:4]
	v_mul_f64 v[11:12], v[1:2], v[3:4]
                                        ; implicit-def: $vgpr1_vgpr2
.LBB296_138:                            ;   in Loop: Header=BB296_4 Depth=1
	s_and_not1_saveexec_b32 s24, s2
	s_cbranch_execz .LBB296_140
; %bb.139:                              ;   in Loop: Header=BB296_4 Depth=1
	v_div_scale_f64 v[3:4], null, v[1:2], v[1:2], 1.0
	v_div_scale_f64 v[9:10], null, v[25:26], v[25:26], 0
	v_div_scale_f64 v[32:33], vcc_lo, 1.0, v[1:2], 1.0
	s_delay_alu instid0(VALU_DEP_3) | instskip(NEXT) | instid1(VALU_DEP_2)
	v_rcp_f64_e32 v[11:12], v[3:4]
	v_rcp_f64_e32 v[21:22], v[9:10]
	s_waitcnt_depctr 0xfff
	v_fma_f64 v[28:29], -v[3:4], v[11:12], 1.0
	v_fma_f64 v[30:31], -v[9:10], v[21:22], 1.0
	s_delay_alu instid0(VALU_DEP_2) | instskip(NEXT) | instid1(VALU_DEP_2)
	v_fma_f64 v[11:12], v[11:12], v[28:29], v[11:12]
	v_fma_f64 v[21:22], v[21:22], v[30:31], v[21:22]
	s_delay_alu instid0(VALU_DEP_2) | instskip(NEXT) | instid1(VALU_DEP_2)
	v_fma_f64 v[28:29], -v[3:4], v[11:12], 1.0
	v_fma_f64 v[30:31], -v[9:10], v[21:22], 1.0
	s_delay_alu instid0(VALU_DEP_2) | instskip(SKIP_1) | instid1(VALU_DEP_3)
	v_fma_f64 v[11:12], v[11:12], v[28:29], v[11:12]
	v_div_scale_f64 v[28:29], s2, 0, v[25:26], 0
	v_fma_f64 v[21:22], v[21:22], v[30:31], v[21:22]
	s_delay_alu instid0(VALU_DEP_3) | instskip(NEXT) | instid1(VALU_DEP_2)
	v_mul_f64 v[30:31], v[32:33], v[11:12]
	v_mul_f64 v[34:35], v[28:29], v[21:22]
	s_delay_alu instid0(VALU_DEP_2) | instskip(NEXT) | instid1(VALU_DEP_2)
	v_fma_f64 v[3:4], -v[3:4], v[30:31], v[32:33]
	v_fma_f64 v[9:10], -v[9:10], v[34:35], v[28:29]
	s_delay_alu instid0(VALU_DEP_2) | instskip(SKIP_1) | instid1(VALU_DEP_2)
	v_div_fmas_f64 v[3:4], v[3:4], v[11:12], v[30:31]
	s_mov_b32 vcc_lo, s2
	v_div_fmas_f64 v[11:12], v[9:10], v[21:22], v[34:35]
	s_delay_alu instid0(VALU_DEP_2) | instskip(NEXT) | instid1(VALU_DEP_2)
	v_div_fixup_f64 v[9:10], v[3:4], v[1:2], 1.0
	v_div_fixup_f64 v[11:12], v[11:12], v[25:26], 0
.LBB296_140:                            ;   in Loop: Header=BB296_4 Depth=1
	s_or_b32 exec_lo, exec_lo, s24
                                        ; implicit-def: $vgpr3_vgpr4
                                        ; implicit-def: $vgpr21_vgpr22
.LBB296_141:                            ;   in Loop: Header=BB296_4 Depth=1
	s_and_not1_saveexec_b32 s2, s3
	s_cbranch_execz .LBB296_3
; %bb.142:                              ;   in Loop: Header=BB296_4 Depth=1
	v_div_scale_f64 v[1:2], null, v[3:4], v[3:4], v[21:22]
	v_div_scale_f64 v[25:26], vcc_lo, v[21:22], v[3:4], v[21:22]
	s_delay_alu instid0(VALU_DEP_2) | instskip(SKIP_2) | instid1(VALU_DEP_1)
	v_rcp_f64_e32 v[9:10], v[1:2]
	s_waitcnt_depctr 0xfff
	v_fma_f64 v[11:12], -v[1:2], v[9:10], 1.0
	v_fma_f64 v[9:10], v[9:10], v[11:12], v[9:10]
	s_delay_alu instid0(VALU_DEP_1) | instskip(NEXT) | instid1(VALU_DEP_1)
	v_fma_f64 v[11:12], -v[1:2], v[9:10], 1.0
	v_fma_f64 v[9:10], v[9:10], v[11:12], v[9:10]
	s_delay_alu instid0(VALU_DEP_1) | instskip(NEXT) | instid1(VALU_DEP_1)
	v_mul_f64 v[11:12], v[25:26], v[9:10]
	v_fma_f64 v[1:2], -v[1:2], v[11:12], v[25:26]
	s_delay_alu instid0(VALU_DEP_1) | instskip(NEXT) | instid1(VALU_DEP_1)
	v_div_fmas_f64 v[1:2], v[1:2], v[9:10], v[11:12]
	v_div_fixup_f64 v[1:2], v[1:2], v[3:4], v[21:22]
	s_delay_alu instid0(VALU_DEP_1) | instskip(NEXT) | instid1(VALU_DEP_1)
	v_fma_f64 v[3:4], v[21:22], v[1:2], v[3:4]
	v_div_scale_f64 v[9:10], null, v[3:4], v[3:4], 1.0
	v_div_scale_f64 v[25:26], vcc_lo, 1.0, v[3:4], 1.0
	s_delay_alu instid0(VALU_DEP_2) | instskip(SKIP_2) | instid1(VALU_DEP_1)
	v_rcp_f64_e32 v[11:12], v[9:10]
	s_waitcnt_depctr 0xfff
	v_fma_f64 v[21:22], -v[9:10], v[11:12], 1.0
	v_fma_f64 v[11:12], v[11:12], v[21:22], v[11:12]
	s_delay_alu instid0(VALU_DEP_1) | instskip(NEXT) | instid1(VALU_DEP_1)
	v_fma_f64 v[21:22], -v[9:10], v[11:12], 1.0
	v_fma_f64 v[11:12], v[11:12], v[21:22], v[11:12]
	s_delay_alu instid0(VALU_DEP_1) | instskip(NEXT) | instid1(VALU_DEP_1)
	v_mul_f64 v[21:22], v[25:26], v[11:12]
	v_fma_f64 v[9:10], -v[9:10], v[21:22], v[25:26]
	s_delay_alu instid0(VALU_DEP_1) | instskip(SKIP_2) | instid1(VALU_DEP_3)
	v_div_fmas_f64 v[9:10], v[9:10], v[11:12], v[21:22]
	v_add_f64 v[11:12], v[1:2], 0
	v_fma_f64 v[1:2], v[1:2], 0, -1.0
	v_div_fixup_f64 v[3:4], v[9:10], v[3:4], 1.0
	s_delay_alu instid0(VALU_DEP_1) | instskip(NEXT) | instid1(VALU_DEP_3)
	v_mul_f64 v[9:10], v[11:12], v[3:4]
	v_mul_f64 v[11:12], v[1:2], v[3:4]
	s_branch .LBB296_3
.LBB296_143:                            ;   in Loop: Header=BB296_4 Depth=1
	s_or_b32 exec_lo, exec_lo, s2
	s_and_not1_saveexec_b32 s2, s26
	s_cbranch_execnz .LBB296_27
	s_branch .LBB296_28
.LBB296_144:                            ;   in Loop: Header=BB296_4 Depth=1
	s_delay_alu instid0(VALU_DEP_1) | instskip(NEXT) | instid1(VALU_DEP_1)
	v_add_f64 v[5:6], v[19:20], v[5:6]
	v_mul_f64 v[5:6], v[5:6], 0.5
	s_delay_alu instid0(VALU_DEP_1) | instskip(SKIP_1) | instid1(VALU_DEP_1)
	v_cmp_gt_f64_e32 vcc_lo, 0x10000000, v[5:6]
	v_cndmask_b32_e64 v7, 0, 1, vcc_lo
	v_lshlrev_b32_e32 v7, 8, v7
	s_delay_alu instid0(VALU_DEP_1) | instskip(NEXT) | instid1(VALU_DEP_1)
	v_ldexp_f64 v[5:6], v[5:6], v7
	v_rsq_f64_e32 v[7:8], v[5:6]
	s_waitcnt_depctr 0xfff
	v_mul_f64 v[13:14], v[5:6], v[7:8]
	v_mul_f64 v[7:8], v[7:8], 0.5
	s_delay_alu instid0(VALU_DEP_1) | instskip(NEXT) | instid1(VALU_DEP_1)
	v_fma_f64 v[19:20], -v[7:8], v[13:14], 0.5
	v_fma_f64 v[13:14], v[13:14], v[19:20], v[13:14]
	v_fma_f64 v[7:8], v[7:8], v[19:20], v[7:8]
	s_delay_alu instid0(VALU_DEP_2) | instskip(NEXT) | instid1(VALU_DEP_1)
	v_fma_f64 v[19:20], -v[13:14], v[13:14], v[5:6]
	v_fma_f64 v[13:14], v[19:20], v[7:8], v[13:14]
	s_delay_alu instid0(VALU_DEP_1) | instskip(NEXT) | instid1(VALU_DEP_1)
	v_fma_f64 v[19:20], -v[13:14], v[13:14], v[5:6]
	v_fma_f64 v[7:8], v[19:20], v[7:8], v[13:14]
	v_cndmask_b32_e64 v13, 0, 0xffffff80, vcc_lo
	v_cmp_class_f64_e64 vcc_lo, v[5:6], 0x260
	s_delay_alu instid0(VALU_DEP_2) | instskip(NEXT) | instid1(VALU_DEP_1)
	v_ldexp_f64 v[7:8], v[7:8], v13
	v_dual_cndmask_b32 v20, v8, v6 :: v_dual_cndmask_b32 v19, v7, v5
	s_delay_alu instid0(VALU_DEP_1) | instskip(NEXT) | instid1(VALU_DEP_1)
	v_add_f64 v[5:6], v[19:20], v[19:20]
	v_div_scale_f64 v[7:8], null, v[5:6], v[5:6], v[21:22]
	s_delay_alu instid0(VALU_DEP_1) | instskip(SKIP_2) | instid1(VALU_DEP_1)
	v_rcp_f64_e32 v[13:14], v[7:8]
	s_waitcnt_depctr 0xfff
	v_fma_f64 v[25:26], -v[7:8], v[13:14], 1.0
	v_fma_f64 v[13:14], v[13:14], v[25:26], v[13:14]
	s_delay_alu instid0(VALU_DEP_1) | instskip(NEXT) | instid1(VALU_DEP_1)
	v_fma_f64 v[25:26], -v[7:8], v[13:14], 1.0
	v_fma_f64 v[13:14], v[13:14], v[25:26], v[13:14]
	v_div_scale_f64 v[25:26], vcc_lo, v[21:22], v[5:6], v[21:22]
	s_delay_alu instid0(VALU_DEP_1) | instskip(NEXT) | instid1(VALU_DEP_1)
	v_mul_f64 v[28:29], v[25:26], v[13:14]
	v_fma_f64 v[7:8], -v[7:8], v[28:29], v[25:26]
	s_delay_alu instid0(VALU_DEP_1) | instskip(NEXT) | instid1(VALU_DEP_1)
	v_div_fmas_f64 v[7:8], v[7:8], v[13:14], v[28:29]
	v_div_fixup_f64 v[21:22], v[7:8], v[5:6], v[21:22]
                                        ; implicit-def: $vgpr5_vgpr6
	s_and_not1_saveexec_b32 s3, s3
	s_cbranch_execz .LBB296_16
.LBB296_145:                            ;   in Loop: Header=BB296_4 Depth=1
	v_add_f64 v[5:6], v[5:6], -v[19:20]
	s_delay_alu instid0(VALU_DEP_1) | instskip(NEXT) | instid1(VALU_DEP_1)
	v_mul_f64 v[5:6], v[5:6], 0.5
	v_cmp_gt_f64_e32 vcc_lo, 0x10000000, v[5:6]
	v_cndmask_b32_e64 v7, 0, 1, vcc_lo
	s_delay_alu instid0(VALU_DEP_1) | instskip(NEXT) | instid1(VALU_DEP_1)
	v_lshlrev_b32_e32 v7, 8, v7
	v_ldexp_f64 v[5:6], v[5:6], v7
	s_delay_alu instid0(VALU_DEP_1) | instskip(SKIP_3) | instid1(VALU_DEP_1)
	v_rsq_f64_e32 v[7:8], v[5:6]
	s_waitcnt_depctr 0xfff
	v_mul_f64 v[13:14], v[5:6], v[7:8]
	v_mul_f64 v[7:8], v[7:8], 0.5
	v_fma_f64 v[19:20], -v[7:8], v[13:14], 0.5
	s_delay_alu instid0(VALU_DEP_1) | instskip(SKIP_1) | instid1(VALU_DEP_2)
	v_fma_f64 v[13:14], v[13:14], v[19:20], v[13:14]
	v_fma_f64 v[7:8], v[7:8], v[19:20], v[7:8]
	v_fma_f64 v[19:20], -v[13:14], v[13:14], v[5:6]
	s_delay_alu instid0(VALU_DEP_1) | instskip(NEXT) | instid1(VALU_DEP_1)
	v_fma_f64 v[13:14], v[19:20], v[7:8], v[13:14]
	v_fma_f64 v[19:20], -v[13:14], v[13:14], v[5:6]
	s_delay_alu instid0(VALU_DEP_1) | instskip(SKIP_3) | instid1(VALU_DEP_3)
	v_fma_f64 v[7:8], v[19:20], v[7:8], v[13:14]
	v_cndmask_b32_e64 v13, 0, 0xffffff80, vcc_lo
	v_cmp_class_f64_e64 vcc_lo, v[5:6], 0x260
	v_and_b32_e32 v14, 0x7fffffff, v22
	v_ldexp_f64 v[7:8], v[7:8], v13
	s_delay_alu instid0(VALU_DEP_1) | instskip(NEXT) | instid1(VALU_DEP_1)
	v_dual_cndmask_b32 v6, v8, v6 :: v_dual_cndmask_b32 v5, v7, v5
	v_add_f64 v[7:8], v[5:6], v[5:6]
	v_bfi_b32 v6, 0x7fffffff, v6, v22
	v_mov_b32_e32 v13, v21
	s_delay_alu instid0(VALU_DEP_1) | instskip(SKIP_1) | instid1(VALU_DEP_2)
	v_div_scale_f64 v[19:20], null, v[7:8], v[7:8], v[13:14]
	v_div_scale_f64 v[13:14], vcc_lo, v[13:14], v[7:8], v[13:14]
	v_rcp_f64_e32 v[25:26], v[19:20]
	s_waitcnt_depctr 0xfff
	v_fma_f64 v[28:29], -v[19:20], v[25:26], 1.0
	s_delay_alu instid0(VALU_DEP_1) | instskip(NEXT) | instid1(VALU_DEP_1)
	v_fma_f64 v[25:26], v[25:26], v[28:29], v[25:26]
	v_fma_f64 v[28:29], -v[19:20], v[25:26], 1.0
	s_delay_alu instid0(VALU_DEP_1) | instskip(NEXT) | instid1(VALU_DEP_1)
	v_fma_f64 v[25:26], v[25:26], v[28:29], v[25:26]
	v_mul_f64 v[28:29], v[13:14], v[25:26]
	s_delay_alu instid0(VALU_DEP_1) | instskip(NEXT) | instid1(VALU_DEP_1)
	v_fma_f64 v[13:14], -v[19:20], v[28:29], v[13:14]
	v_div_fmas_f64 v[13:14], v[13:14], v[25:26], v[28:29]
	s_delay_alu instid0(VALU_DEP_1) | instskip(SKIP_3) | instid1(SALU_CYCLE_1)
	v_div_fixup_f64 v[19:20], v[13:14], v[7:8], |v[21:22]|
	v_dual_mov_b32 v22, v6 :: v_dual_mov_b32 v21, v5
	s_or_b32 exec_lo, exec_lo, s3
	s_and_saveexec_b32 s3, s2
	s_xor_b32 s2, exec_lo, s3
	s_cbranch_execz .LBB296_17
.LBB296_146:                            ;   in Loop: Header=BB296_4 Depth=1
	s_and_saveexec_b32 s3, s28
; %bb.147:                              ;   in Loop: Header=BB296_4 Depth=1
	s_delay_alu instid0(VALU_DEP_2) | instskip(NEXT) | instid1(VALU_DEP_2)
	v_mul_f64 v[19:20], v[19:20], 0.5
	v_mul_f64 v[21:22], v[21:22], 0.5
; %bb.148:                              ;   in Loop: Header=BB296_4 Depth=1
	s_or_b32 exec_lo, exec_lo, s3
	s_and_not1_saveexec_b32 s2, s2
	s_cbranch_execnz .LBB296_18
	s_branch .LBB296_19
.LBB296_149:                            ;   in Loop: Header=BB296_4 Depth=1
	s_delay_alu instid0(VALU_DEP_1) | instskip(NEXT) | instid1(VALU_DEP_1)
	v_add_f64 v[13:14], v[15:16], v[13:14]
	v_mul_f64 v[13:14], v[13:14], 0.5
	s_delay_alu instid0(VALU_DEP_1) | instskip(SKIP_1) | instid1(VALU_DEP_1)
	v_cmp_gt_f64_e32 vcc_lo, 0x10000000, v[13:14]
	v_cndmask_b32_e64 v15, 0, 1, vcc_lo
	v_lshlrev_b32_e32 v15, 8, v15
	s_delay_alu instid0(VALU_DEP_1) | instskip(NEXT) | instid1(VALU_DEP_1)
	v_ldexp_f64 v[13:14], v[13:14], v15
	v_rsq_f64_e32 v[15:16], v[13:14]
	s_waitcnt_depctr 0xfff
	v_mul_f64 v[19:20], v[13:14], v[15:16]
	v_mul_f64 v[15:16], v[15:16], 0.5
	s_delay_alu instid0(VALU_DEP_1) | instskip(NEXT) | instid1(VALU_DEP_1)
	v_fma_f64 v[21:22], -v[15:16], v[19:20], 0.5
	v_fma_f64 v[19:20], v[19:20], v[21:22], v[19:20]
	v_fma_f64 v[15:16], v[15:16], v[21:22], v[15:16]
	s_delay_alu instid0(VALU_DEP_2) | instskip(NEXT) | instid1(VALU_DEP_1)
	v_fma_f64 v[21:22], -v[19:20], v[19:20], v[13:14]
	v_fma_f64 v[19:20], v[21:22], v[15:16], v[19:20]
	s_delay_alu instid0(VALU_DEP_1) | instskip(NEXT) | instid1(VALU_DEP_1)
	v_fma_f64 v[21:22], -v[19:20], v[19:20], v[13:14]
	v_fma_f64 v[15:16], v[21:22], v[15:16], v[19:20]
	v_cndmask_b32_e64 v19, 0, 0xffffff80, vcc_lo
	v_cmp_class_f64_e64 vcc_lo, v[13:14], 0x260
	s_delay_alu instid0(VALU_DEP_2) | instskip(NEXT) | instid1(VALU_DEP_1)
	v_ldexp_f64 v[15:16], v[15:16], v19
	v_dual_cndmask_b32 v16, v16, v14 :: v_dual_cndmask_b32 v15, v15, v13
	s_delay_alu instid0(VALU_DEP_1) | instskip(NEXT) | instid1(VALU_DEP_1)
	v_add_f64 v[13:14], v[15:16], v[15:16]
	v_div_scale_f64 v[19:20], null, v[13:14], v[13:14], v[17:18]
	s_delay_alu instid0(VALU_DEP_1) | instskip(SKIP_2) | instid1(VALU_DEP_1)
	v_rcp_f64_e32 v[21:22], v[19:20]
	s_waitcnt_depctr 0xfff
	v_fma_f64 v[25:26], -v[19:20], v[21:22], 1.0
	v_fma_f64 v[21:22], v[21:22], v[25:26], v[21:22]
	s_delay_alu instid0(VALU_DEP_1) | instskip(NEXT) | instid1(VALU_DEP_1)
	v_fma_f64 v[25:26], -v[19:20], v[21:22], 1.0
	v_fma_f64 v[21:22], v[21:22], v[25:26], v[21:22]
	v_div_scale_f64 v[25:26], vcc_lo, v[17:18], v[13:14], v[17:18]
	s_delay_alu instid0(VALU_DEP_1) | instskip(NEXT) | instid1(VALU_DEP_1)
	v_mul_f64 v[28:29], v[25:26], v[21:22]
	v_fma_f64 v[19:20], -v[19:20], v[28:29], v[25:26]
	s_delay_alu instid0(VALU_DEP_1) | instskip(NEXT) | instid1(VALU_DEP_1)
	v_div_fmas_f64 v[19:20], v[19:20], v[21:22], v[28:29]
	v_div_fixup_f64 v[17:18], v[19:20], v[13:14], v[17:18]
                                        ; implicit-def: $vgpr13_vgpr14
	s_and_not1_saveexec_b32 s3, s3
	s_cbranch_execz .LBB296_50
.LBB296_150:                            ;   in Loop: Header=BB296_4 Depth=1
	v_add_f64 v[13:14], v[13:14], -v[15:16]
	s_delay_alu instid0(VALU_DEP_1) | instskip(NEXT) | instid1(VALU_DEP_1)
	v_mul_f64 v[13:14], v[13:14], 0.5
	v_cmp_gt_f64_e32 vcc_lo, 0x10000000, v[13:14]
	v_cndmask_b32_e64 v15, 0, 1, vcc_lo
	s_delay_alu instid0(VALU_DEP_1) | instskip(NEXT) | instid1(VALU_DEP_1)
	v_lshlrev_b32_e32 v15, 8, v15
	v_ldexp_f64 v[13:14], v[13:14], v15
	s_delay_alu instid0(VALU_DEP_1) | instskip(SKIP_3) | instid1(VALU_DEP_1)
	v_rsq_f64_e32 v[15:16], v[13:14]
	s_waitcnt_depctr 0xfff
	v_mul_f64 v[19:20], v[13:14], v[15:16]
	v_mul_f64 v[15:16], v[15:16], 0.5
	v_fma_f64 v[21:22], -v[15:16], v[19:20], 0.5
	s_delay_alu instid0(VALU_DEP_1) | instskip(SKIP_1) | instid1(VALU_DEP_2)
	v_fma_f64 v[19:20], v[19:20], v[21:22], v[19:20]
	v_fma_f64 v[15:16], v[15:16], v[21:22], v[15:16]
	v_fma_f64 v[21:22], -v[19:20], v[19:20], v[13:14]
	s_delay_alu instid0(VALU_DEP_1) | instskip(NEXT) | instid1(VALU_DEP_1)
	v_fma_f64 v[19:20], v[21:22], v[15:16], v[19:20]
	v_fma_f64 v[21:22], -v[19:20], v[19:20], v[13:14]
	s_delay_alu instid0(VALU_DEP_1) | instskip(SKIP_3) | instid1(VALU_DEP_3)
	v_fma_f64 v[15:16], v[21:22], v[15:16], v[19:20]
	v_cndmask_b32_e64 v19, 0, 0xffffff80, vcc_lo
	v_cmp_class_f64_e64 vcc_lo, v[13:14], 0x260
	v_and_b32_e32 v20, 0x7fffffff, v18
	v_ldexp_f64 v[15:16], v[15:16], v19
	s_delay_alu instid0(VALU_DEP_1) | instskip(NEXT) | instid1(VALU_DEP_1)
	v_dual_cndmask_b32 v14, v16, v14 :: v_dual_cndmask_b32 v13, v15, v13
	v_add_f64 v[15:16], v[13:14], v[13:14]
	v_bfi_b32 v14, 0x7fffffff, v14, v18
	v_mov_b32_e32 v19, v17
	s_delay_alu instid0(VALU_DEP_1) | instskip(SKIP_1) | instid1(VALU_DEP_2)
	v_div_scale_f64 v[21:22], null, v[15:16], v[15:16], v[19:20]
	v_div_scale_f64 v[19:20], vcc_lo, v[19:20], v[15:16], v[19:20]
	v_rcp_f64_e32 v[25:26], v[21:22]
	s_waitcnt_depctr 0xfff
	v_fma_f64 v[28:29], -v[21:22], v[25:26], 1.0
	s_delay_alu instid0(VALU_DEP_1) | instskip(NEXT) | instid1(VALU_DEP_1)
	v_fma_f64 v[25:26], v[25:26], v[28:29], v[25:26]
	v_fma_f64 v[28:29], -v[21:22], v[25:26], 1.0
	s_delay_alu instid0(VALU_DEP_1) | instskip(NEXT) | instid1(VALU_DEP_1)
	v_fma_f64 v[25:26], v[25:26], v[28:29], v[25:26]
	v_mul_f64 v[28:29], v[19:20], v[25:26]
	s_delay_alu instid0(VALU_DEP_1) | instskip(NEXT) | instid1(VALU_DEP_1)
	v_fma_f64 v[19:20], -v[21:22], v[28:29], v[19:20]
	v_div_fmas_f64 v[19:20], v[19:20], v[25:26], v[28:29]
	s_delay_alu instid0(VALU_DEP_1) | instskip(SKIP_3) | instid1(SALU_CYCLE_1)
	v_div_fixup_f64 v[15:16], v[19:20], v[15:16], |v[17:18]|
	v_dual_mov_b32 v18, v14 :: v_dual_mov_b32 v17, v13
	s_or_b32 exec_lo, exec_lo, s3
	s_and_saveexec_b32 s3, s2
	s_xor_b32 s2, exec_lo, s3
	s_cbranch_execz .LBB296_51
.LBB296_151:                            ;   in Loop: Header=BB296_4 Depth=1
	s_and_saveexec_b32 s3, s28
; %bb.152:                              ;   in Loop: Header=BB296_4 Depth=1
	s_delay_alu instid0(VALU_DEP_2) | instskip(NEXT) | instid1(VALU_DEP_2)
	v_mul_f64 v[15:16], v[15:16], 0.5
	v_mul_f64 v[17:18], v[17:18], 0.5
; %bb.153:                              ;   in Loop: Header=BB296_4 Depth=1
	s_or_b32 exec_lo, exec_lo, s3
	s_and_not1_saveexec_b32 s2, s2
	s_cbranch_execnz .LBB296_52
	s_branch .LBB296_53
.LBB296_154:                            ;   in Loop: Header=BB296_4 Depth=1
	s_delay_alu instid0(VALU_DEP_1) | instskip(NEXT) | instid1(VALU_DEP_1)
	v_add_f64 v[9:10], v[9:10], v[17:18]
	v_mul_f64 v[9:10], v[9:10], 0.5
	s_delay_alu instid0(VALU_DEP_1) | instskip(SKIP_1) | instid1(VALU_DEP_1)
	v_cmp_gt_f64_e32 vcc_lo, 0x10000000, v[9:10]
	v_cndmask_b32_e64 v17, 0, 1, vcc_lo
	v_lshlrev_b32_e32 v17, 8, v17
	s_delay_alu instid0(VALU_DEP_1) | instskip(NEXT) | instid1(VALU_DEP_1)
	v_ldexp_f64 v[9:10], v[9:10], v17
	v_rsq_f64_e32 v[17:18], v[9:10]
	s_waitcnt_depctr 0xfff
	v_mul_f64 v[19:20], v[9:10], v[17:18]
	v_mul_f64 v[17:18], v[17:18], 0.5
	s_delay_alu instid0(VALU_DEP_1) | instskip(NEXT) | instid1(VALU_DEP_1)
	v_fma_f64 v[21:22], -v[17:18], v[19:20], 0.5
	v_fma_f64 v[19:20], v[19:20], v[21:22], v[19:20]
	v_fma_f64 v[17:18], v[17:18], v[21:22], v[17:18]
	s_delay_alu instid0(VALU_DEP_2) | instskip(NEXT) | instid1(VALU_DEP_1)
	v_fma_f64 v[21:22], -v[19:20], v[19:20], v[9:10]
	v_fma_f64 v[19:20], v[21:22], v[17:18], v[19:20]
	s_delay_alu instid0(VALU_DEP_1) | instskip(NEXT) | instid1(VALU_DEP_1)
	v_fma_f64 v[21:22], -v[19:20], v[19:20], v[9:10]
	v_fma_f64 v[17:18], v[21:22], v[17:18], v[19:20]
	v_cndmask_b32_e64 v19, 0, 0xffffff80, vcc_lo
	v_cmp_class_f64_e64 vcc_lo, v[9:10], 0x260
	s_delay_alu instid0(VALU_DEP_2) | instskip(NEXT) | instid1(VALU_DEP_1)
	v_ldexp_f64 v[17:18], v[17:18], v19
	v_dual_cndmask_b32 v10, v18, v10 :: v_dual_cndmask_b32 v9, v17, v9
	s_delay_alu instid0(VALU_DEP_1) | instskip(NEXT) | instid1(VALU_DEP_1)
	v_add_f64 v[17:18], v[9:10], v[9:10]
	v_div_scale_f64 v[19:20], null, v[17:18], v[17:18], v[11:12]
	s_delay_alu instid0(VALU_DEP_1) | instskip(SKIP_2) | instid1(VALU_DEP_1)
	v_rcp_f64_e32 v[21:22], v[19:20]
	s_waitcnt_depctr 0xfff
	v_fma_f64 v[25:26], -v[19:20], v[21:22], 1.0
	v_fma_f64 v[21:22], v[21:22], v[25:26], v[21:22]
	s_delay_alu instid0(VALU_DEP_1) | instskip(NEXT) | instid1(VALU_DEP_1)
	v_fma_f64 v[25:26], -v[19:20], v[21:22], 1.0
	v_fma_f64 v[21:22], v[21:22], v[25:26], v[21:22]
	v_div_scale_f64 v[25:26], vcc_lo, v[11:12], v[17:18], v[11:12]
	s_delay_alu instid0(VALU_DEP_1) | instskip(NEXT) | instid1(VALU_DEP_1)
	v_mul_f64 v[28:29], v[25:26], v[21:22]
	v_fma_f64 v[19:20], -v[19:20], v[28:29], v[25:26]
	s_delay_alu instid0(VALU_DEP_1) | instskip(NEXT) | instid1(VALU_DEP_1)
	v_div_fmas_f64 v[19:20], v[19:20], v[21:22], v[28:29]
	v_div_fixup_f64 v[11:12], v[19:20], v[17:18], v[11:12]
                                        ; implicit-def: $vgpr17_vgpr18
	s_and_not1_saveexec_b32 s3, s3
	s_cbranch_execz .LBB296_85
.LBB296_155:                            ;   in Loop: Header=BB296_4 Depth=1
	v_add_f64 v[9:10], v[17:18], -v[9:10]
	s_delay_alu instid0(VALU_DEP_1) | instskip(NEXT) | instid1(VALU_DEP_1)
	v_mul_f64 v[9:10], v[9:10], 0.5
	v_cmp_gt_f64_e32 vcc_lo, 0x10000000, v[9:10]
	v_cndmask_b32_e64 v17, 0, 1, vcc_lo
	s_delay_alu instid0(VALU_DEP_1) | instskip(NEXT) | instid1(VALU_DEP_1)
	v_lshlrev_b32_e32 v17, 8, v17
	v_ldexp_f64 v[9:10], v[9:10], v17
	s_delay_alu instid0(VALU_DEP_1) | instskip(SKIP_3) | instid1(VALU_DEP_1)
	v_rsq_f64_e32 v[17:18], v[9:10]
	s_waitcnt_depctr 0xfff
	v_mul_f64 v[19:20], v[9:10], v[17:18]
	v_mul_f64 v[17:18], v[17:18], 0.5
	v_fma_f64 v[21:22], -v[17:18], v[19:20], 0.5
	s_delay_alu instid0(VALU_DEP_1) | instskip(SKIP_1) | instid1(VALU_DEP_2)
	v_fma_f64 v[19:20], v[19:20], v[21:22], v[19:20]
	v_fma_f64 v[17:18], v[17:18], v[21:22], v[17:18]
	v_fma_f64 v[21:22], -v[19:20], v[19:20], v[9:10]
	s_delay_alu instid0(VALU_DEP_1) | instskip(NEXT) | instid1(VALU_DEP_1)
	v_fma_f64 v[19:20], v[21:22], v[17:18], v[19:20]
	v_fma_f64 v[21:22], -v[19:20], v[19:20], v[9:10]
	s_delay_alu instid0(VALU_DEP_1) | instskip(SKIP_3) | instid1(VALU_DEP_3)
	v_fma_f64 v[17:18], v[21:22], v[17:18], v[19:20]
	v_cndmask_b32_e64 v19, 0, 0xffffff80, vcc_lo
	v_cmp_class_f64_e64 vcc_lo, v[9:10], 0x260
	v_and_b32_e32 v20, 0x7fffffff, v12
	v_ldexp_f64 v[17:18], v[17:18], v19
	s_delay_alu instid0(VALU_DEP_1) | instskip(NEXT) | instid1(VALU_DEP_1)
	v_dual_cndmask_b32 v18, v18, v10 :: v_dual_cndmask_b32 v17, v17, v9
	v_add_f64 v[9:10], v[17:18], v[17:18]
	v_bfi_b32 v18, 0x7fffffff, v18, v12
	v_mov_b32_e32 v19, v11
	s_delay_alu instid0(VALU_DEP_1) | instskip(SKIP_1) | instid1(VALU_DEP_2)
	v_div_scale_f64 v[21:22], null, v[9:10], v[9:10], v[19:20]
	v_div_scale_f64 v[19:20], vcc_lo, v[19:20], v[9:10], v[19:20]
	v_rcp_f64_e32 v[25:26], v[21:22]
	s_waitcnt_depctr 0xfff
	v_fma_f64 v[28:29], -v[21:22], v[25:26], 1.0
	s_delay_alu instid0(VALU_DEP_1) | instskip(NEXT) | instid1(VALU_DEP_1)
	v_fma_f64 v[25:26], v[25:26], v[28:29], v[25:26]
	v_fma_f64 v[28:29], -v[21:22], v[25:26], 1.0
	s_delay_alu instid0(VALU_DEP_1) | instskip(NEXT) | instid1(VALU_DEP_1)
	v_fma_f64 v[25:26], v[25:26], v[28:29], v[25:26]
	v_mul_f64 v[28:29], v[19:20], v[25:26]
	s_delay_alu instid0(VALU_DEP_1) | instskip(NEXT) | instid1(VALU_DEP_1)
	v_fma_f64 v[19:20], -v[21:22], v[28:29], v[19:20]
	v_div_fmas_f64 v[19:20], v[19:20], v[25:26], v[28:29]
	s_delay_alu instid0(VALU_DEP_1) | instskip(SKIP_3) | instid1(SALU_CYCLE_1)
	v_div_fixup_f64 v[9:10], v[19:20], v[9:10], |v[11:12]|
	v_dual_mov_b32 v11, v17 :: v_dual_mov_b32 v12, v18
	s_or_b32 exec_lo, exec_lo, s3
	s_and_saveexec_b32 s3, s2
	s_xor_b32 s2, exec_lo, s3
	s_cbranch_execz .LBB296_86
.LBB296_156:                            ;   in Loop: Header=BB296_4 Depth=1
	s_and_saveexec_b32 s3, s28
; %bb.157:                              ;   in Loop: Header=BB296_4 Depth=1
	s_delay_alu instid0(VALU_DEP_2) | instskip(NEXT) | instid1(VALU_DEP_2)
	v_mul_f64 v[9:10], v[9:10], 0.5
	v_mul_f64 v[11:12], v[11:12], 0.5
; %bb.158:                              ;   in Loop: Header=BB296_4 Depth=1
	s_or_b32 exec_lo, exec_lo, s3
	s_and_not1_saveexec_b32 s2, s2
	s_cbranch_execnz .LBB296_87
	s_branch .LBB296_88
.LBB296_159:                            ;   in Loop: Header=BB296_4 Depth=1
	s_delay_alu instid0(VALU_DEP_1) | instskip(NEXT) | instid1(VALU_DEP_1)
	v_add_f64 v[1:2], v[1:2], v[9:10]
	v_mul_f64 v[1:2], v[1:2], 0.5
	s_delay_alu instid0(VALU_DEP_1) | instskip(SKIP_1) | instid1(VALU_DEP_1)
	v_cmp_gt_f64_e32 vcc_lo, 0x10000000, v[1:2]
	v_cndmask_b32_e64 v9, 0, 1, vcc_lo
	v_lshlrev_b32_e32 v9, 8, v9
	s_delay_alu instid0(VALU_DEP_1) | instskip(NEXT) | instid1(VALU_DEP_1)
	v_ldexp_f64 v[1:2], v[1:2], v9
	v_rsq_f64_e32 v[9:10], v[1:2]
	s_waitcnt_depctr 0xfff
	v_mul_f64 v[11:12], v[1:2], v[9:10]
	v_mul_f64 v[9:10], v[9:10], 0.5
	s_delay_alu instid0(VALU_DEP_1) | instskip(NEXT) | instid1(VALU_DEP_1)
	v_fma_f64 v[21:22], -v[9:10], v[11:12], 0.5
	v_fma_f64 v[11:12], v[11:12], v[21:22], v[11:12]
	v_fma_f64 v[9:10], v[9:10], v[21:22], v[9:10]
	s_delay_alu instid0(VALU_DEP_2) | instskip(NEXT) | instid1(VALU_DEP_1)
	v_fma_f64 v[21:22], -v[11:12], v[11:12], v[1:2]
	v_fma_f64 v[11:12], v[21:22], v[9:10], v[11:12]
	s_delay_alu instid0(VALU_DEP_1) | instskip(NEXT) | instid1(VALU_DEP_1)
	v_fma_f64 v[21:22], -v[11:12], v[11:12], v[1:2]
	v_fma_f64 v[9:10], v[21:22], v[9:10], v[11:12]
	v_cndmask_b32_e64 v11, 0, 0xffffff80, vcc_lo
	v_cmp_class_f64_e64 vcc_lo, v[1:2], 0x260
	s_delay_alu instid0(VALU_DEP_2) | instskip(NEXT) | instid1(VALU_DEP_1)
	v_ldexp_f64 v[9:10], v[9:10], v11
	v_dual_cndmask_b32 v2, v10, v2 :: v_dual_cndmask_b32 v1, v9, v1
	s_delay_alu instid0(VALU_DEP_1) | instskip(NEXT) | instid1(VALU_DEP_1)
	v_add_f64 v[9:10], v[1:2], v[1:2]
	v_div_scale_f64 v[11:12], null, v[9:10], v[9:10], v[3:4]
	s_delay_alu instid0(VALU_DEP_1) | instskip(SKIP_2) | instid1(VALU_DEP_1)
	v_rcp_f64_e32 v[21:22], v[11:12]
	s_waitcnt_depctr 0xfff
	v_fma_f64 v[25:26], -v[11:12], v[21:22], 1.0
	v_fma_f64 v[21:22], v[21:22], v[25:26], v[21:22]
	s_delay_alu instid0(VALU_DEP_1) | instskip(NEXT) | instid1(VALU_DEP_1)
	v_fma_f64 v[25:26], -v[11:12], v[21:22], 1.0
	v_fma_f64 v[21:22], v[21:22], v[25:26], v[21:22]
	v_div_scale_f64 v[25:26], vcc_lo, v[3:4], v[9:10], v[3:4]
	s_delay_alu instid0(VALU_DEP_1) | instskip(NEXT) | instid1(VALU_DEP_1)
	v_mul_f64 v[28:29], v[25:26], v[21:22]
	v_fma_f64 v[11:12], -v[11:12], v[28:29], v[25:26]
	s_delay_alu instid0(VALU_DEP_1) | instskip(NEXT) | instid1(VALU_DEP_1)
	v_div_fmas_f64 v[11:12], v[11:12], v[21:22], v[28:29]
	v_div_fixup_f64 v[3:4], v[11:12], v[9:10], v[3:4]
                                        ; implicit-def: $vgpr9_vgpr10
	s_and_not1_saveexec_b32 s3, s3
	s_cbranch_execz .LBB296_120
.LBB296_160:                            ;   in Loop: Header=BB296_4 Depth=1
	v_add_f64 v[1:2], v[9:10], -v[1:2]
	s_delay_alu instid0(VALU_DEP_1) | instskip(NEXT) | instid1(VALU_DEP_1)
	v_mul_f64 v[1:2], v[1:2], 0.5
	v_cmp_gt_f64_e32 vcc_lo, 0x10000000, v[1:2]
	v_cndmask_b32_e64 v9, 0, 1, vcc_lo
	s_delay_alu instid0(VALU_DEP_1) | instskip(NEXT) | instid1(VALU_DEP_1)
	v_lshlrev_b32_e32 v9, 8, v9
	v_ldexp_f64 v[1:2], v[1:2], v9
	s_delay_alu instid0(VALU_DEP_1) | instskip(SKIP_3) | instid1(VALU_DEP_1)
	v_rsq_f64_e32 v[9:10], v[1:2]
	s_waitcnt_depctr 0xfff
	v_mul_f64 v[11:12], v[1:2], v[9:10]
	v_mul_f64 v[9:10], v[9:10], 0.5
	v_fma_f64 v[21:22], -v[9:10], v[11:12], 0.5
	s_delay_alu instid0(VALU_DEP_1) | instskip(SKIP_1) | instid1(VALU_DEP_2)
	v_fma_f64 v[11:12], v[11:12], v[21:22], v[11:12]
	v_fma_f64 v[9:10], v[9:10], v[21:22], v[9:10]
	v_fma_f64 v[21:22], -v[11:12], v[11:12], v[1:2]
	s_delay_alu instid0(VALU_DEP_1) | instskip(NEXT) | instid1(VALU_DEP_1)
	v_fma_f64 v[11:12], v[21:22], v[9:10], v[11:12]
	v_fma_f64 v[21:22], -v[11:12], v[11:12], v[1:2]
	s_delay_alu instid0(VALU_DEP_1) | instskip(SKIP_3) | instid1(VALU_DEP_3)
	v_fma_f64 v[9:10], v[21:22], v[9:10], v[11:12]
	v_cndmask_b32_e64 v11, 0, 0xffffff80, vcc_lo
	v_cmp_class_f64_e64 vcc_lo, v[1:2], 0x260
	v_and_b32_e32 v12, 0x7fffffff, v4
	v_ldexp_f64 v[9:10], v[9:10], v11
	s_delay_alu instid0(VALU_DEP_1) | instskip(NEXT) | instid1(VALU_DEP_1)
	v_dual_cndmask_b32 v10, v10, v2 :: v_dual_cndmask_b32 v9, v9, v1
	v_add_f64 v[1:2], v[9:10], v[9:10]
	v_bfi_b32 v10, 0x7fffffff, v10, v4
	v_mov_b32_e32 v11, v3
	s_delay_alu instid0(VALU_DEP_1) | instskip(SKIP_1) | instid1(VALU_DEP_2)
	v_div_scale_f64 v[21:22], null, v[1:2], v[1:2], v[11:12]
	v_div_scale_f64 v[11:12], vcc_lo, v[11:12], v[1:2], v[11:12]
	v_rcp_f64_e32 v[25:26], v[21:22]
	s_waitcnt_depctr 0xfff
	v_fma_f64 v[28:29], -v[21:22], v[25:26], 1.0
	s_delay_alu instid0(VALU_DEP_1) | instskip(NEXT) | instid1(VALU_DEP_1)
	v_fma_f64 v[25:26], v[25:26], v[28:29], v[25:26]
	v_fma_f64 v[28:29], -v[21:22], v[25:26], 1.0
	s_delay_alu instid0(VALU_DEP_1) | instskip(NEXT) | instid1(VALU_DEP_1)
	v_fma_f64 v[25:26], v[25:26], v[28:29], v[25:26]
	v_mul_f64 v[28:29], v[11:12], v[25:26]
	s_delay_alu instid0(VALU_DEP_1) | instskip(NEXT) | instid1(VALU_DEP_1)
	v_fma_f64 v[11:12], -v[21:22], v[28:29], v[11:12]
	v_div_fmas_f64 v[11:12], v[11:12], v[25:26], v[28:29]
	s_delay_alu instid0(VALU_DEP_1) | instskip(SKIP_3) | instid1(SALU_CYCLE_1)
	v_div_fixup_f64 v[1:2], v[11:12], v[1:2], |v[3:4]|
	v_dual_mov_b32 v3, v9 :: v_dual_mov_b32 v4, v10
	s_or_b32 exec_lo, exec_lo, s3
	s_and_saveexec_b32 s3, s2
	s_xor_b32 s2, exec_lo, s3
	s_cbranch_execz .LBB296_121
.LBB296_161:                            ;   in Loop: Header=BB296_4 Depth=1
	s_and_saveexec_b32 s3, s28
; %bb.162:                              ;   in Loop: Header=BB296_4 Depth=1
	s_delay_alu instid0(VALU_DEP_2) | instskip(NEXT) | instid1(VALU_DEP_2)
	v_mul_f64 v[1:2], v[1:2], 0.5
	v_mul_f64 v[3:4], v[3:4], 0.5
; %bb.163:                              ;   in Loop: Header=BB296_4 Depth=1
	s_or_b32 exec_lo, exec_lo, s3
	s_and_not1_saveexec_b32 s2, s2
	s_cbranch_execnz .LBB296_122
	s_branch .LBB296_123
.LBB296_164:
	s_or_b32 exec_lo, exec_lo, s20
	s_mov_b32 s2, 0
.LBB296_165:
	s_delay_alu instid0(SALU_CYCLE_1)
	s_and_not1_b32 vcc_lo, exec_lo, s2
	s_cbranch_vccnz .LBB296_345
; %bb.166:
	v_cmp_lt_i64_e64 s2, s[8:9], 1
	s_delay_alu instid0(VALU_DEP_1)
	s_and_b32 vcc_lo, exec_lo, s2
	s_cbranch_vccnz .LBB296_345
; %bb.167:
	s_load_b32 s0, s[0:1], 0xc5c
	v_mov_b32_e32 v1, 0
	v_lshl_or_b32 v2, v0, 4, 8
	v_cmp_gt_u64_e64 s1, 0x10000, s[8:9]
	s_mov_b32 s11, 0
	s_mov_b32 s16, 0
	v_mov_b32_e32 v3, v1
	v_add_co_u32 v26, s2, s14, v2
	s_delay_alu instid0(VALU_DEP_1) | instskip(SKIP_1) | instid1(VALU_DEP_1)
	v_add_co_ci_u32_e64 v27, null, s15, 0, s2
	v_add_co_u32 v28, s2, s4, v2
	v_add_co_ci_u32_e64 v29, null, s5, 0, s2
	s_mov_b32 s17, 0x7ff00000
	s_waitcnt lgkmcnt(0)
	s_and_b32 s20, s0, 0xffff
	s_and_b32 s0, s1, exec_lo
	v_add_lshl_u32 v6, v0, s20, 4
	v_mad_u64_u32 v[4:5], null, s20, 48, v[2:3]
	s_cselect_b32 s13, s9, 0
	s_cselect_b32 s12, s8, 0x10000
	s_delay_alu instid0(VALU_DEP_2) | instskip(NEXT) | instid1(VALU_DEP_1)
	v_add_co_u32 v30, s0, s4, v6
	v_add_co_ci_u32_e64 v31, null, s5, 0, s0
	v_add_co_u32 v34, s0, s14, v6
	s_delay_alu instid0(VALU_DEP_1)
	v_add_co_ci_u32_e64 v35, null, s15, 0, s0
	s_lshl_b32 s0, s20, 5
	v_add_co_u32 v32, vcc_lo, s14, v4
	v_add_co_u32 v2, s0, v2, s0
	v_add_co_ci_u32_e32 v33, vcc_lo, s15, v5, vcc_lo
	v_add_co_ci_u32_e64 v3, null, 0, 0, s0
	v_add_co_u32 v36, vcc_lo, s4, v4
	v_add_co_ci_u32_e32 v37, vcc_lo, s5, v5, vcc_lo
	v_add_co_u32 v38, vcc_lo, s14, v2
	s_delay_alu instid0(VALU_DEP_4)
	v_add_co_ci_u32_e32 v39, vcc_lo, s15, v3, vcc_lo
	v_add_co_u32 v40, vcc_lo, s4, v2
	v_add_co_ci_u32_e32 v41, vcc_lo, s5, v3, vcc_lo
	s_lshl_b32 s10, s20, 2
	s_mov_b32 s14, 0x99fcef32
	s_lshl_b32 s21, s20, 1
	s_mul_i32 s22, s20, 3
	s_mov_b32 s15, 0x7fda8279
	s_lshl_b32 s23, s20, 6
	s_mov_b64 s[18:19], s[10:11]
	s_branch .LBB296_169
.LBB296_168:                            ;   in Loop: Header=BB296_169 Depth=1
	s_or_b32 exec_lo, exec_lo, s0
	v_add_co_u32 v0, vcc_lo, v0, s10
	v_add_co_ci_u32_e32 v1, vcc_lo, 0, v1, vcc_lo
	v_add_co_u32 v26, vcc_lo, v26, s23
	v_add_co_ci_u32_e32 v27, vcc_lo, 0, v27, vcc_lo
	;; [unrolled: 2-line block ×7, first 2 shown]
	v_cmp_ge_i64_e64 s0, s[18:19], s[8:9]
	v_cmp_lt_u64_e64 s1, 0xffff, s[18:19]
	v_add_co_u32 v38, vcc_lo, v38, s23
	v_add_co_ci_u32_e32 v39, vcc_lo, 0, v39, vcc_lo
	v_add_co_u32 v40, vcc_lo, v40, s23
	v_add_co_ci_u32_e32 v41, vcc_lo, 0, v41, vcc_lo
	s_or_b32 s0, s0, s1
	s_add_u32 s18, s18, s10
	s_addc_u32 s19, s19, 0
	s_and_b32 vcc_lo, exec_lo, s0
	s_cbranch_vccnz .LBB296_345
.LBB296_169:                            ; =>This Inner Loop Header: Depth=1
	v_mov_b32_e32 v18, 0
	v_mov_b32_e32 v19, 0
	v_cmp_gt_u64_e64 s0, s[12:13], v[0:1]
	s_delay_alu instid0(VALU_DEP_2) | instskip(SKIP_1) | instid1(VALU_DEP_3)
	v_dual_mov_b32 v23, v19 :: v_dual_mov_b32 v22, v18
	v_dual_mov_b32 v21, v19 :: v_dual_mov_b32 v20, v18
	s_and_saveexec_b32 s1, s0
	s_cbranch_execz .LBB296_171
; %bb.170:                              ;   in Loop: Header=BB296_169 Depth=1
	v_add_co_u32 v2, vcc_lo, v26, s6
	v_add_co_ci_u32_e32 v3, vcc_lo, s7, v27, vcc_lo
	global_load_b128 v[20:23], v[2:3], off offset:-8
.LBB296_171:                            ;   in Loop: Header=BB296_169 Depth=1
	s_or_b32 exec_lo, exec_lo, s1
	v_add_co_u32 v2, vcc_lo, s20, v0
	v_add_co_ci_u32_e32 v3, vcc_lo, 0, v1, vcc_lo
	v_dual_mov_b32 v16, v18 :: v_dual_mov_b32 v17, v19
	s_delay_alu instid0(VALU_DEP_2) | instskip(NEXT) | instid1(VALU_DEP_1)
	v_cmp_gt_u64_e64 s1, s[12:13], v[2:3]
	s_and_saveexec_b32 s2, s1
	s_cbranch_execz .LBB296_173
; %bb.172:                              ;   in Loop: Header=BB296_169 Depth=1
	v_add_co_u32 v2, vcc_lo, v34, s6
	v_add_co_ci_u32_e32 v3, vcc_lo, s7, v35, vcc_lo
	global_load_b128 v[16:19], v[2:3], off
.LBB296_173:                            ;   in Loop: Header=BB296_169 Depth=1
	s_or_b32 exec_lo, exec_lo, s2
	v_add_co_u32 v2, vcc_lo, s21, v0
	v_add_co_ci_u32_e32 v3, vcc_lo, 0, v1, vcc_lo
	v_mov_b32_e32 v4, 0
	v_mov_b32_e32 v5, 0
	s_delay_alu instid0(VALU_DEP_3) | instskip(NEXT) | instid1(VALU_DEP_2)
	v_cmp_gt_u64_e64 s2, s[12:13], v[2:3]
	v_dual_mov_b32 v13, v5 :: v_dual_mov_b32 v12, v4
	v_dual_mov_b32 v11, v5 :: v_dual_mov_b32 v10, v4
	s_delay_alu instid0(VALU_DEP_3)
	s_and_saveexec_b32 s3, s2
	s_cbranch_execz .LBB296_175
; %bb.174:                              ;   in Loop: Header=BB296_169 Depth=1
	v_add_co_u32 v2, vcc_lo, v38, s6
	v_add_co_ci_u32_e32 v3, vcc_lo, s7, v39, vcc_lo
	global_load_b128 v[10:13], v[2:3], off offset:-8
.LBB296_175:                            ;   in Loop: Header=BB296_169 Depth=1
	s_or_b32 exec_lo, exec_lo, s3
	v_add_co_u32 v2, vcc_lo, s22, v0
	v_add_co_ci_u32_e32 v3, vcc_lo, 0, v1, vcc_lo
	s_delay_alu instid0(VALU_DEP_1) | instskip(SKIP_1) | instid1(VALU_DEP_2)
	v_cmp_gt_u64_e64 s3, s[12:13], v[2:3]
	v_dual_mov_b32 v2, v4 :: v_dual_mov_b32 v3, v5
	s_and_saveexec_b32 s4, s3
	s_cbranch_execz .LBB296_177
; %bb.176:                              ;   in Loop: Header=BB296_169 Depth=1
	v_add_co_u32 v2, vcc_lo, v32, s6
	v_add_co_ci_u32_e32 v3, vcc_lo, s7, v33, vcc_lo
	global_load_b128 v[2:5], v[2:3], off offset:-8
.LBB296_177:                            ;   in Loop: Header=BB296_169 Depth=1
	s_or_b32 exec_lo, exec_lo, s4
	s_waitcnt vmcnt(0)
	v_cmp_neq_f64_e32 vcc_lo, 0, v[20:21]
	v_cmp_neq_f64_e64 s4, 0, v[22:23]
	v_mov_b32_e32 v14, 0
	v_mov_b32_e32 v15, 0
	s_delay_alu instid0(VALU_DEP_3) | instskip(NEXT) | instid1(SALU_CYCLE_1)
	s_or_b32 s4, vcc_lo, s4
	s_and_saveexec_b32 s11, s4
	s_cbranch_execz .LBB296_203
; %bb.178:                              ;   in Loop: Header=BB296_169 Depth=1
	v_mov_b32_e32 v14, s16
	v_mov_b32_e32 v15, s17
	s_mov_b32 s24, exec_lo
	v_cmpx_neq_f64_e64 0x7ff00000, |v[22:23]|
	s_cbranch_execz .LBB296_202
; %bb.179:                              ;   in Loop: Header=BB296_169 Depth=1
	s_mov_b32 s4, exec_lo
	v_cmpx_o_f64_e32 v[20:21], v[20:21]
	s_xor_b32 s25, exec_lo, s4
	s_cbranch_execz .LBB296_199
; %bb.180:                              ;   in Loop: Header=BB296_169 Depth=1
	s_mov_b32 s5, exec_lo
	v_cmpx_neq_f64_e64 0x7ff00000, |v[20:21]|
	s_xor_b32 s26, exec_lo, s5
	s_cbranch_execz .LBB296_193
; %bb.181:                              ;   in Loop: Header=BB296_169 Depth=1
	v_max_f64 v[6:7], |v[20:21]|, |v[20:21]|
	v_max_f64 v[8:9], |v[22:23]|, |v[22:23]|
                                        ; implicit-def: $sgpr27
	s_delay_alu instid0(VALU_DEP_1) | instskip(NEXT) | instid1(VALU_DEP_1)
	v_max_f64 v[6:7], v[8:9], v[6:7]
	v_cmp_nle_f64_e64 s4, s[14:15], v[6:7]
	s_delay_alu instid0(VALU_DEP_1) | instskip(NEXT) | instid1(SALU_CYCLE_1)
	s_and_saveexec_b32 s5, s4
	s_xor_b32 s5, exec_lo, s5
	s_cbranch_execz .LBB296_185
; %bb.182:                              ;   in Loop: Header=BB296_169 Depth=1
	v_cmp_ge_f64_e64 s27, 0x200000, |v[20:21]|
	v_cmp_ge_f64_e64 s28, 0x200000, |v[22:23]|
	s_delay_alu instid0(VALU_DEP_1)
	s_and_b32 s29, s28, s27
	s_mov_b32 s27, 0
	s_and_saveexec_b32 s28, s29
; %bb.183:                              ;   in Loop: Header=BB296_169 Depth=1
	v_mul_f64 v[20:21], v[20:21], 4.0
	v_mul_f64 v[22:23], v[22:23], 4.0
	s_mov_b32 s27, exec_lo
; %bb.184:                              ;   in Loop: Header=BB296_169 Depth=1
	s_or_b32 exec_lo, exec_lo, s28
	s_delay_alu instid0(SALU_CYCLE_1)
	s_and_b32 s27, s27, exec_lo
.LBB296_185:                            ;   in Loop: Header=BB296_169 Depth=1
	s_and_not1_saveexec_b32 s5, s5
; %bb.186:                              ;   in Loop: Header=BB296_169 Depth=1
	s_delay_alu instid0(VALU_DEP_2) | instskip(NEXT) | instid1(VALU_DEP_2)
	v_ldexp_f64 v[20:21], v[20:21], -2
	v_ldexp_f64 v[22:23], v[22:23], -2
	s_and_not1_b32 s27, s27, exec_lo
; %bb.187:                              ;   in Loop: Header=BB296_169 Depth=1
	s_or_b32 exec_lo, exec_lo, s5
	s_delay_alu instid0(VALU_DEP_1) | instskip(NEXT) | instid1(VALU_DEP_3)
	v_max_f64 v[6:7], |v[22:23]|, |v[22:23]|
	v_max_f64 v[8:9], |v[20:21]|, |v[20:21]|
	v_cmp_class_f64_e64 s28, v[20:21], 0x204
	v_cmp_class_f64_e64 s29, v[22:23], 0x204
	v_cmp_le_f64_e64 s5, 0, v[20:21]
	s_delay_alu instid0(VALU_DEP_4) | instskip(NEXT) | instid1(VALU_DEP_3)
	v_max_f64 v[6:7], v[8:9], v[6:7]
	s_or_b32 s28, s29, s28
	s_delay_alu instid0(VALU_DEP_1) | instskip(NEXT) | instid1(VALU_DEP_1)
	v_frexp_exp_i32_f64_e32 v42, v[6:7]
	v_sub_nc_u32_e32 v8, 0, v42
	s_delay_alu instid0(VALU_DEP_1) | instskip(SKIP_1) | instid1(VALU_DEP_2)
	v_ldexp_f64 v[6:7], |v[22:23]|, v8
	v_ldexp_f64 v[8:9], |v[20:21]|, v8
	v_mul_f64 v[6:7], v[6:7], v[6:7]
	s_delay_alu instid0(VALU_DEP_1) | instskip(NEXT) | instid1(VALU_DEP_1)
	v_fma_f64 v[6:7], v[8:9], v[8:9], v[6:7]
	v_rsq_f64_e32 v[8:9], v[6:7]
	v_cmp_eq_f64_e32 vcc_lo, 0, v[6:7]
	s_waitcnt_depctr 0xfff
	v_mul_f64 v[14:15], v[6:7], v[8:9]
	v_mul_f64 v[8:9], v[8:9], 0.5
	s_delay_alu instid0(VALU_DEP_1) | instskip(NEXT) | instid1(VALU_DEP_1)
	v_fma_f64 v[24:25], -v[8:9], v[14:15], 0.5
	v_fma_f64 v[14:15], v[14:15], v[24:25], v[14:15]
	v_fma_f64 v[8:9], v[8:9], v[24:25], v[8:9]
	s_delay_alu instid0(VALU_DEP_2) | instskip(NEXT) | instid1(VALU_DEP_1)
	v_fma_f64 v[24:25], -v[14:15], v[14:15], v[6:7]
	v_fma_f64 v[8:9], v[24:25], v[8:9], v[14:15]
	s_delay_alu instid0(VALU_DEP_1) | instskip(SKIP_1) | instid1(VALU_DEP_2)
	v_dual_cndmask_b32 v7, v9, v7 :: v_dual_cndmask_b32 v6, v8, v6
	v_cmp_o_f64_e32 vcc_lo, v[22:23], v[22:23]
	v_ldexp_f64 v[6:7], v[6:7], v42
	s_delay_alu instid0(VALU_DEP_1) | instskip(NEXT) | instid1(VALU_DEP_2)
	v_cndmask_b32_e32 v6, 0, v6, vcc_lo
	v_cndmask_b32_e32 v7, 0x7ff80000, v7, vcc_lo
	s_delay_alu instid0(VALU_DEP_2) | instskip(NEXT) | instid1(VALU_DEP_2)
	v_cndmask_b32_e64 v6, v6, 0, s28
	v_cndmask_b32_e64 v7, v7, 0x7ff00000, s28
	s_and_saveexec_b32 s28, s5
	s_delay_alu instid0(SALU_CYCLE_1)
	s_xor_b32 s5, exec_lo, s28
	s_cbranch_execnz .LBB296_325
; %bb.188:                              ;   in Loop: Header=BB296_169 Depth=1
	s_and_not1_saveexec_b32 s5, s5
	s_cbranch_execnz .LBB296_326
.LBB296_189:                            ;   in Loop: Header=BB296_169 Depth=1
	s_or_b32 exec_lo, exec_lo, s5
	s_and_saveexec_b32 s5, s4
	s_delay_alu instid0(SALU_CYCLE_1)
	s_xor_b32 s4, exec_lo, s5
	s_cbranch_execnz .LBB296_327
.LBB296_190:                            ;   in Loop: Header=BB296_169 Depth=1
	s_and_not1_saveexec_b32 s4, s4
.LBB296_191:                            ;   in Loop: Header=BB296_169 Depth=1
	s_delay_alu instid0(VALU_DEP_2) | instskip(NEXT) | instid1(VALU_DEP_2)
	v_add_f64 v[20:21], v[20:21], v[20:21]
	v_add_f64 v[22:23], v[22:23], v[22:23]
.LBB296_192:                            ;   in Loop: Header=BB296_169 Depth=1
	s_or_b32 exec_lo, exec_lo, s4
.LBB296_193:                            ;   in Loop: Header=BB296_169 Depth=1
	s_and_not1_saveexec_b32 s4, s26
	s_cbranch_execz .LBB296_324
; %bb.194:                              ;   in Loop: Header=BB296_169 Depth=1
	s_delay_alu instid0(VALU_DEP_1) | instskip(SKIP_1) | instid1(VALU_DEP_3)
	v_add_f64 v[6:7], v[22:23], -v[22:23]
	s_mov_b32 s5, exec_lo
	v_cmpx_lt_i64_e32 -1, v[20:21]
	s_xor_b32 s5, exec_lo, s5
; %bb.195:                              ;   in Loop: Header=BB296_169 Depth=1
	s_delay_alu instid0(VALU_DEP_2) | instskip(NEXT) | instid1(VALU_DEP_1)
	v_bfi_b32 v7, 0x7fffffff, v7, v23
	v_dual_mov_b32 v23, v7 :: v_dual_mov_b32 v22, v6
                                        ; implicit-def: $vgpr6_vgpr7
; %bb.196:                              ;   in Loop: Header=BB296_169 Depth=1
	s_and_not1_saveexec_b32 s5, s5
; %bb.197:                              ;   in Loop: Header=BB296_169 Depth=1
	s_delay_alu instid0(VALU_DEP_1) | instskip(SKIP_1) | instid1(VALU_DEP_2)
	v_bfi_b32 v21, 0x7fffffff, v21, v23
	v_and_b32_e32 v7, 0x7fffffff, v7
	v_dual_mov_b32 v23, v21 :: v_dual_mov_b32 v22, v20
	s_delay_alu instid0(VALU_DEP_2)
	v_dual_mov_b32 v21, v7 :: v_dual_mov_b32 v20, v6
; %bb.198:                              ;   in Loop: Header=BB296_169 Depth=1
	s_or_b32 exec_lo, exec_lo, s5
	s_delay_alu instid0(SALU_CYCLE_1)
	s_or_b32 exec_lo, exec_lo, s4
.LBB296_199:                            ;   in Loop: Header=BB296_169 Depth=1
	s_and_not1_saveexec_b32 s4, s25
.LBB296_200:                            ;   in Loop: Header=BB296_169 Depth=1
	s_delay_alu instid0(VALU_DEP_1) | instskip(NEXT) | instid1(VALU_DEP_1)
	v_add_f64 v[6:7], v[22:23], -v[22:23]
	v_div_scale_f64 v[8:9], vcc_lo, v[6:7], v[6:7], v[6:7]
	s_delay_alu instid0(VALU_DEP_1) | instskip(SKIP_2) | instid1(VALU_DEP_1)
	v_rcp_f64_e32 v[14:15], v[8:9]
	s_waitcnt_depctr 0xfff
	v_fma_f64 v[22:23], -v[8:9], v[14:15], 1.0
	v_fma_f64 v[14:15], v[14:15], v[22:23], v[14:15]
	s_delay_alu instid0(VALU_DEP_1) | instskip(NEXT) | instid1(VALU_DEP_1)
	v_fma_f64 v[22:23], -v[8:9], v[14:15], 1.0
	v_fma_f64 v[14:15], v[14:15], v[22:23], v[14:15]
	s_delay_alu instid0(VALU_DEP_1) | instskip(NEXT) | instid1(VALU_DEP_1)
	v_mul_f64 v[22:23], v[8:9], v[14:15]
	v_fma_f64 v[8:9], -v[8:9], v[22:23], v[8:9]
	s_delay_alu instid0(VALU_DEP_1) | instskip(NEXT) | instid1(VALU_DEP_1)
	v_div_fmas_f64 v[8:9], v[8:9], v[14:15], v[22:23]
	v_div_fixup_f64 v[22:23], v[8:9], v[6:7], v[6:7]
.LBB296_201:                            ;   in Loop: Header=BB296_169 Depth=1
	s_or_b32 exec_lo, exec_lo, s4
	s_delay_alu instid0(VALU_DEP_2)
	v_dual_mov_b32 v14, v20 :: v_dual_mov_b32 v15, v21
.LBB296_202:                            ;   in Loop: Header=BB296_169 Depth=1
	s_or_b32 exec_lo, exec_lo, s24
.LBB296_203:                            ;   in Loop: Header=BB296_169 Depth=1
	s_delay_alu instid0(SALU_CYCLE_1) | instskip(NEXT) | instid1(VALU_DEP_1)
	s_or_b32 exec_lo, exec_lo, s11
	v_cmp_gt_f64_e32 vcc_lo, 0, v[14:15]
	s_delay_alu instid0(VALU_DEP_3) | instskip(SKIP_2) | instid1(VALU_DEP_2)
	v_cmp_gt_f64_e64 s4, 0, v[22:23]
	v_xor_b32_e32 v6, 0x80000000, v15
	v_xor_b32_e32 v7, 0x80000000, v23
                                        ; implicit-def: $vgpr8_vgpr9
	v_cndmask_b32_e32 v21, v15, v6, vcc_lo
	s_delay_alu instid0(VALU_DEP_2) | instskip(SKIP_3) | instid1(VALU_DEP_1)
	v_cndmask_b32_e64 v25, v23, v7, s4
	v_cndmask_b32_e32 v20, v14, v14, vcc_lo
	v_cndmask_b32_e64 v24, v22, v22, s4
	s_mov_b32 s4, exec_lo
	v_cmpx_ge_f64_e32 v[20:21], v[24:25]
	s_xor_b32 s5, exec_lo, s4
	s_cbranch_execz .LBB296_209
; %bb.204:                              ;   in Loop: Header=BB296_169 Depth=1
	v_cmp_neq_f64_e32 vcc_lo, 0, v[14:15]
	v_cmp_neq_f64_e64 s4, 0, v[22:23]
                                        ; implicit-def: $vgpr8_vgpr9
	s_delay_alu instid0(VALU_DEP_1) | instskip(NEXT) | instid1(SALU_CYCLE_1)
	s_or_b32 s4, vcc_lo, s4
	s_and_saveexec_b32 s11, s4
	s_delay_alu instid0(SALU_CYCLE_1)
	s_xor_b32 s4, exec_lo, s11
	s_cbranch_execz .LBB296_206
; %bb.205:                              ;   in Loop: Header=BB296_169 Depth=1
	v_div_scale_f64 v[6:7], null, v[14:15], v[14:15], v[22:23]
	v_div_scale_f64 v[24:25], vcc_lo, v[22:23], v[14:15], v[22:23]
	s_delay_alu instid0(VALU_DEP_2) | instskip(SKIP_2) | instid1(VALU_DEP_1)
	v_rcp_f64_e32 v[8:9], v[6:7]
	s_waitcnt_depctr 0xfff
	v_fma_f64 v[20:21], -v[6:7], v[8:9], 1.0
	v_fma_f64 v[8:9], v[8:9], v[20:21], v[8:9]
	s_delay_alu instid0(VALU_DEP_1) | instskip(NEXT) | instid1(VALU_DEP_1)
	v_fma_f64 v[20:21], -v[6:7], v[8:9], 1.0
	v_fma_f64 v[8:9], v[8:9], v[20:21], v[8:9]
	s_delay_alu instid0(VALU_DEP_1) | instskip(NEXT) | instid1(VALU_DEP_1)
	v_mul_f64 v[20:21], v[24:25], v[8:9]
	v_fma_f64 v[6:7], -v[6:7], v[20:21], v[24:25]
	s_delay_alu instid0(VALU_DEP_1) | instskip(NEXT) | instid1(VALU_DEP_1)
	v_div_fmas_f64 v[6:7], v[6:7], v[8:9], v[20:21]
	v_div_fixup_f64 v[6:7], v[6:7], v[14:15], v[22:23]
	s_delay_alu instid0(VALU_DEP_1) | instskip(NEXT) | instid1(VALU_DEP_1)
	v_fma_f64 v[8:9], v[22:23], v[6:7], v[14:15]
	v_div_scale_f64 v[14:15], null, v[8:9], v[8:9], 1.0
	v_div_scale_f64 v[24:25], vcc_lo, 1.0, v[8:9], 1.0
	s_delay_alu instid0(VALU_DEP_2) | instskip(SKIP_2) | instid1(VALU_DEP_1)
	v_rcp_f64_e32 v[20:21], v[14:15]
	s_waitcnt_depctr 0xfff
	v_fma_f64 v[22:23], -v[14:15], v[20:21], 1.0
	v_fma_f64 v[20:21], v[20:21], v[22:23], v[20:21]
	s_delay_alu instid0(VALU_DEP_1) | instskip(NEXT) | instid1(VALU_DEP_1)
	v_fma_f64 v[22:23], -v[14:15], v[20:21], 1.0
	v_fma_f64 v[20:21], v[20:21], v[22:23], v[20:21]
	s_delay_alu instid0(VALU_DEP_1) | instskip(NEXT) | instid1(VALU_DEP_1)
	v_mul_f64 v[22:23], v[24:25], v[20:21]
	v_fma_f64 v[14:15], -v[14:15], v[22:23], v[24:25]
                                        ; implicit-def: $vgpr24_vgpr25
	s_delay_alu instid0(VALU_DEP_1) | instskip(SKIP_1) | instid1(VALU_DEP_2)
	v_div_fmas_f64 v[14:15], v[14:15], v[20:21], v[22:23]
	v_fma_f64 v[20:21], v[6:7], 0, 1.0
	v_div_fixup_f64 v[8:9], v[14:15], v[8:9], 1.0
	v_add_f64 v[14:15], -v[6:7], 0
	s_delay_alu instid0(VALU_DEP_2) | instskip(NEXT) | instid1(VALU_DEP_2)
	v_mul_f64 v[6:7], v[20:21], v[8:9]
	v_mul_f64 v[8:9], v[14:15], v[8:9]
                                        ; implicit-def: $vgpr20_vgpr21
.LBB296_206:                            ;   in Loop: Header=BB296_169 Depth=1
	s_and_not1_saveexec_b32 s11, s4
	s_cbranch_execz .LBB296_208
; %bb.207:                              ;   in Loop: Header=BB296_169 Depth=1
	v_div_scale_f64 v[6:7], null, v[20:21], v[20:21], 1.0
	v_div_scale_f64 v[8:9], null, v[24:25], v[24:25], 0
	v_div_scale_f64 v[46:47], vcc_lo, 1.0, v[20:21], 1.0
	s_delay_alu instid0(VALU_DEP_3) | instskip(NEXT) | instid1(VALU_DEP_2)
	v_rcp_f64_e32 v[14:15], v[6:7]
	v_rcp_f64_e32 v[22:23], v[8:9]
	s_waitcnt_depctr 0xfff
	v_fma_f64 v[42:43], -v[6:7], v[14:15], 1.0
	v_fma_f64 v[44:45], -v[8:9], v[22:23], 1.0
	s_delay_alu instid0(VALU_DEP_2) | instskip(NEXT) | instid1(VALU_DEP_2)
	v_fma_f64 v[14:15], v[14:15], v[42:43], v[14:15]
	v_fma_f64 v[22:23], v[22:23], v[44:45], v[22:23]
	s_delay_alu instid0(VALU_DEP_2) | instskip(NEXT) | instid1(VALU_DEP_2)
	v_fma_f64 v[42:43], -v[6:7], v[14:15], 1.0
	v_fma_f64 v[44:45], -v[8:9], v[22:23], 1.0
	s_delay_alu instid0(VALU_DEP_2) | instskip(SKIP_1) | instid1(VALU_DEP_3)
	v_fma_f64 v[14:15], v[14:15], v[42:43], v[14:15]
	v_div_scale_f64 v[42:43], s4, 0, v[24:25], 0
	v_fma_f64 v[22:23], v[22:23], v[44:45], v[22:23]
	s_delay_alu instid0(VALU_DEP_3) | instskip(NEXT) | instid1(VALU_DEP_2)
	v_mul_f64 v[44:45], v[46:47], v[14:15]
	v_mul_f64 v[48:49], v[42:43], v[22:23]
	s_delay_alu instid0(VALU_DEP_2) | instskip(NEXT) | instid1(VALU_DEP_2)
	v_fma_f64 v[6:7], -v[6:7], v[44:45], v[46:47]
	v_fma_f64 v[8:9], -v[8:9], v[48:49], v[42:43]
	s_delay_alu instid0(VALU_DEP_2) | instskip(SKIP_1) | instid1(VALU_DEP_2)
	v_div_fmas_f64 v[6:7], v[6:7], v[14:15], v[44:45]
	s_mov_b32 vcc_lo, s4
	v_div_fmas_f64 v[8:9], v[8:9], v[22:23], v[48:49]
	s_delay_alu instid0(VALU_DEP_2) | instskip(NEXT) | instid1(VALU_DEP_2)
	v_div_fixup_f64 v[6:7], v[6:7], v[20:21], 1.0
	v_div_fixup_f64 v[8:9], v[8:9], v[24:25], 0
.LBB296_208:                            ;   in Loop: Header=BB296_169 Depth=1
	s_or_b32 exec_lo, exec_lo, s11
                                        ; implicit-def: $vgpr22_vgpr23
                                        ; implicit-def: $vgpr14_vgpr15
.LBB296_209:                            ;   in Loop: Header=BB296_169 Depth=1
	s_and_not1_saveexec_b32 s4, s5
	s_cbranch_execz .LBB296_211
; %bb.210:                              ;   in Loop: Header=BB296_169 Depth=1
	v_div_scale_f64 v[6:7], null, v[22:23], v[22:23], v[14:15]
	v_div_scale_f64 v[24:25], vcc_lo, v[14:15], v[22:23], v[14:15]
	s_delay_alu instid0(VALU_DEP_2) | instskip(SKIP_2) | instid1(VALU_DEP_1)
	v_rcp_f64_e32 v[8:9], v[6:7]
	s_waitcnt_depctr 0xfff
	v_fma_f64 v[20:21], -v[6:7], v[8:9], 1.0
	v_fma_f64 v[8:9], v[8:9], v[20:21], v[8:9]
	s_delay_alu instid0(VALU_DEP_1) | instskip(NEXT) | instid1(VALU_DEP_1)
	v_fma_f64 v[20:21], -v[6:7], v[8:9], 1.0
	v_fma_f64 v[8:9], v[8:9], v[20:21], v[8:9]
	s_delay_alu instid0(VALU_DEP_1) | instskip(NEXT) | instid1(VALU_DEP_1)
	v_mul_f64 v[20:21], v[24:25], v[8:9]
	v_fma_f64 v[6:7], -v[6:7], v[20:21], v[24:25]
	s_delay_alu instid0(VALU_DEP_1) | instskip(NEXT) | instid1(VALU_DEP_1)
	v_div_fmas_f64 v[6:7], v[6:7], v[8:9], v[20:21]
	v_div_fixup_f64 v[6:7], v[6:7], v[22:23], v[14:15]
	s_delay_alu instid0(VALU_DEP_1) | instskip(NEXT) | instid1(VALU_DEP_1)
	v_fma_f64 v[8:9], v[14:15], v[6:7], v[22:23]
	v_div_scale_f64 v[14:15], null, v[8:9], v[8:9], 1.0
	v_div_scale_f64 v[24:25], vcc_lo, 1.0, v[8:9], 1.0
	s_delay_alu instid0(VALU_DEP_2) | instskip(SKIP_2) | instid1(VALU_DEP_1)
	v_rcp_f64_e32 v[20:21], v[14:15]
	s_waitcnt_depctr 0xfff
	v_fma_f64 v[22:23], -v[14:15], v[20:21], 1.0
	v_fma_f64 v[20:21], v[20:21], v[22:23], v[20:21]
	s_delay_alu instid0(VALU_DEP_1) | instskip(NEXT) | instid1(VALU_DEP_1)
	v_fma_f64 v[22:23], -v[14:15], v[20:21], 1.0
	v_fma_f64 v[20:21], v[20:21], v[22:23], v[20:21]
	s_delay_alu instid0(VALU_DEP_1) | instskip(NEXT) | instid1(VALU_DEP_1)
	v_mul_f64 v[22:23], v[24:25], v[20:21]
	v_fma_f64 v[14:15], -v[14:15], v[22:23], v[24:25]
	s_delay_alu instid0(VALU_DEP_1) | instskip(SKIP_1) | instid1(VALU_DEP_2)
	v_div_fmas_f64 v[14:15], v[14:15], v[20:21], v[22:23]
	v_add_f64 v[20:21], v[6:7], 0
	v_div_fixup_f64 v[8:9], v[14:15], v[8:9], 1.0
	v_fma_f64 v[14:15], v[6:7], 0, -1.0
	s_delay_alu instid0(VALU_DEP_2) | instskip(NEXT) | instid1(VALU_DEP_2)
	v_mul_f64 v[6:7], v[20:21], v[8:9]
	v_mul_f64 v[8:9], v[14:15], v[8:9]
.LBB296_211:                            ;   in Loop: Header=BB296_169 Depth=1
	s_or_b32 exec_lo, exec_lo, s4
	v_cmp_neq_f64_e32 vcc_lo, 0, v[16:17]
	v_cmp_neq_f64_e64 s4, 0, v[18:19]
	v_mov_b32_e32 v20, 0
	v_mov_b32_e32 v21, 0
	s_delay_alu instid0(VALU_DEP_3) | instskip(NEXT) | instid1(SALU_CYCLE_1)
	s_or_b32 s4, vcc_lo, s4
	s_and_saveexec_b32 s11, s4
	s_cbranch_execz .LBB296_238
; %bb.212:                              ;   in Loop: Header=BB296_169 Depth=1
	v_mov_b32_e32 v20, s16
	v_mov_b32_e32 v21, s17
	s_mov_b32 s24, exec_lo
	v_cmpx_neq_f64_e64 0x7ff00000, |v[18:19]|
	s_cbranch_execz .LBB296_237
; %bb.213:                              ;   in Loop: Header=BB296_169 Depth=1
	s_mov_b32 s4, exec_lo
	v_cmpx_o_f64_e32 v[16:17], v[16:17]
	s_xor_b32 s25, exec_lo, s4
	s_cbranch_execz .LBB296_234
; %bb.214:                              ;   in Loop: Header=BB296_169 Depth=1
	s_mov_b32 s5, exec_lo
	v_cmpx_neq_f64_e64 0x7ff00000, |v[16:17]|
	s_xor_b32 s26, exec_lo, s5
	s_cbranch_execz .LBB296_227
; %bb.215:                              ;   in Loop: Header=BB296_169 Depth=1
	v_max_f64 v[14:15], |v[16:17]|, |v[16:17]|
	v_max_f64 v[20:21], |v[18:19]|, |v[18:19]|
                                        ; implicit-def: $sgpr27
	s_delay_alu instid0(VALU_DEP_1) | instskip(NEXT) | instid1(VALU_DEP_1)
	v_max_f64 v[14:15], v[20:21], v[14:15]
	v_cmp_nle_f64_e64 s4, s[14:15], v[14:15]
	s_delay_alu instid0(VALU_DEP_1) | instskip(NEXT) | instid1(SALU_CYCLE_1)
	s_and_saveexec_b32 s5, s4
	s_xor_b32 s5, exec_lo, s5
	s_cbranch_execz .LBB296_219
; %bb.216:                              ;   in Loop: Header=BB296_169 Depth=1
	v_cmp_ge_f64_e64 s27, 0x200000, |v[16:17]|
	v_cmp_ge_f64_e64 s28, 0x200000, |v[18:19]|
	s_delay_alu instid0(VALU_DEP_1)
	s_and_b32 s29, s28, s27
	s_mov_b32 s27, 0
	s_and_saveexec_b32 s28, s29
; %bb.217:                              ;   in Loop: Header=BB296_169 Depth=1
	v_mul_f64 v[16:17], v[16:17], 4.0
	v_mul_f64 v[18:19], v[18:19], 4.0
	s_mov_b32 s27, exec_lo
; %bb.218:                              ;   in Loop: Header=BB296_169 Depth=1
	s_or_b32 exec_lo, exec_lo, s28
	s_delay_alu instid0(SALU_CYCLE_1)
	s_and_b32 s27, s27, exec_lo
.LBB296_219:                            ;   in Loop: Header=BB296_169 Depth=1
	s_and_not1_saveexec_b32 s5, s5
; %bb.220:                              ;   in Loop: Header=BB296_169 Depth=1
	s_delay_alu instid0(VALU_DEP_2) | instskip(NEXT) | instid1(VALU_DEP_2)
	v_ldexp_f64 v[16:17], v[16:17], -2
	v_ldexp_f64 v[18:19], v[18:19], -2
	s_and_not1_b32 s27, s27, exec_lo
; %bb.221:                              ;   in Loop: Header=BB296_169 Depth=1
	s_or_b32 exec_lo, exec_lo, s5
	s_delay_alu instid0(VALU_DEP_1) | instskip(NEXT) | instid1(VALU_DEP_3)
	v_max_f64 v[14:15], |v[18:19]|, |v[18:19]|
	v_max_f64 v[20:21], |v[16:17]|, |v[16:17]|
	v_cmp_class_f64_e64 s28, v[16:17], 0x204
	v_cmp_class_f64_e64 s29, v[18:19], 0x204
	v_cmp_le_f64_e64 s5, 0, v[16:17]
	s_delay_alu instid0(VALU_DEP_4) | instskip(NEXT) | instid1(VALU_DEP_3)
	v_max_f64 v[14:15], v[20:21], v[14:15]
	s_or_b32 s28, s29, s28
	s_delay_alu instid0(VALU_DEP_1) | instskip(NEXT) | instid1(VALU_DEP_1)
	v_frexp_exp_i32_f64_e32 v42, v[14:15]
	v_sub_nc_u32_e32 v20, 0, v42
	s_delay_alu instid0(VALU_DEP_1) | instskip(SKIP_1) | instid1(VALU_DEP_2)
	v_ldexp_f64 v[14:15], |v[18:19]|, v20
	v_ldexp_f64 v[20:21], |v[16:17]|, v20
	v_mul_f64 v[14:15], v[14:15], v[14:15]
	s_delay_alu instid0(VALU_DEP_1) | instskip(NEXT) | instid1(VALU_DEP_1)
	v_fma_f64 v[14:15], v[20:21], v[20:21], v[14:15]
	v_rsq_f64_e32 v[20:21], v[14:15]
	v_cmp_eq_f64_e32 vcc_lo, 0, v[14:15]
	s_waitcnt_depctr 0xfff
	v_mul_f64 v[22:23], v[14:15], v[20:21]
	v_mul_f64 v[20:21], v[20:21], 0.5
	s_delay_alu instid0(VALU_DEP_1) | instskip(NEXT) | instid1(VALU_DEP_1)
	v_fma_f64 v[24:25], -v[20:21], v[22:23], 0.5
	v_fma_f64 v[22:23], v[22:23], v[24:25], v[22:23]
	v_fma_f64 v[20:21], v[20:21], v[24:25], v[20:21]
	s_delay_alu instid0(VALU_DEP_2) | instskip(NEXT) | instid1(VALU_DEP_1)
	v_fma_f64 v[24:25], -v[22:23], v[22:23], v[14:15]
	v_fma_f64 v[20:21], v[24:25], v[20:21], v[22:23]
	s_delay_alu instid0(VALU_DEP_1) | instskip(SKIP_1) | instid1(VALU_DEP_2)
	v_dual_cndmask_b32 v15, v21, v15 :: v_dual_cndmask_b32 v14, v20, v14
	v_cmp_o_f64_e32 vcc_lo, v[18:19], v[18:19]
	v_ldexp_f64 v[14:15], v[14:15], v42
	s_delay_alu instid0(VALU_DEP_1) | instskip(NEXT) | instid1(VALU_DEP_2)
	v_cndmask_b32_e32 v14, 0, v14, vcc_lo
	v_cndmask_b32_e32 v15, 0x7ff80000, v15, vcc_lo
	s_delay_alu instid0(VALU_DEP_2) | instskip(NEXT) | instid1(VALU_DEP_2)
	v_cndmask_b32_e64 v14, v14, 0, s28
	v_cndmask_b32_e64 v15, v15, 0x7ff00000, s28
	s_and_saveexec_b32 s28, s5
	s_delay_alu instid0(SALU_CYCLE_1)
	s_xor_b32 s5, exec_lo, s28
	s_cbranch_execnz .LBB296_330
; %bb.222:                              ;   in Loop: Header=BB296_169 Depth=1
	s_and_not1_saveexec_b32 s5, s5
	s_cbranch_execnz .LBB296_331
.LBB296_223:                            ;   in Loop: Header=BB296_169 Depth=1
	s_or_b32 exec_lo, exec_lo, s5
	s_and_saveexec_b32 s5, s4
	s_delay_alu instid0(SALU_CYCLE_1)
	s_xor_b32 s4, exec_lo, s5
	s_cbranch_execnz .LBB296_332
.LBB296_224:                            ;   in Loop: Header=BB296_169 Depth=1
	s_and_not1_saveexec_b32 s4, s4
.LBB296_225:                            ;   in Loop: Header=BB296_169 Depth=1
	s_delay_alu instid0(VALU_DEP_2) | instskip(NEXT) | instid1(VALU_DEP_2)
	v_add_f64 v[16:17], v[16:17], v[16:17]
	v_add_f64 v[18:19], v[18:19], v[18:19]
.LBB296_226:                            ;   in Loop: Header=BB296_169 Depth=1
	s_or_b32 exec_lo, exec_lo, s4
.LBB296_227:                            ;   in Loop: Header=BB296_169 Depth=1
	s_and_not1_saveexec_b32 s4, s26
	s_cbranch_execz .LBB296_233
; %bb.228:                              ;   in Loop: Header=BB296_169 Depth=1
	s_delay_alu instid0(VALU_DEP_1) | instskip(SKIP_1) | instid1(VALU_DEP_3)
	v_add_f64 v[14:15], v[18:19], -v[18:19]
	s_mov_b32 s5, exec_lo
	v_cmpx_lt_i64_e32 -1, v[16:17]
	s_xor_b32 s5, exec_lo, s5
; %bb.229:                              ;   in Loop: Header=BB296_169 Depth=1
	s_delay_alu instid0(VALU_DEP_2) | instskip(NEXT) | instid1(VALU_DEP_1)
	v_bfi_b32 v15, 0x7fffffff, v15, v19
	v_dual_mov_b32 v19, v15 :: v_dual_mov_b32 v18, v14
                                        ; implicit-def: $vgpr14_vgpr15
; %bb.230:                              ;   in Loop: Header=BB296_169 Depth=1
	s_and_not1_saveexec_b32 s5, s5
; %bb.231:                              ;   in Loop: Header=BB296_169 Depth=1
	s_delay_alu instid0(VALU_DEP_1) | instskip(SKIP_1) | instid1(VALU_DEP_2)
	v_bfi_b32 v17, 0x7fffffff, v17, v19
	v_and_b32_e32 v15, 0x7fffffff, v15
	v_dual_mov_b32 v19, v17 :: v_dual_mov_b32 v18, v16
	s_delay_alu instid0(VALU_DEP_2)
	v_dual_mov_b32 v17, v15 :: v_dual_mov_b32 v16, v14
; %bb.232:                              ;   in Loop: Header=BB296_169 Depth=1
	s_or_b32 exec_lo, exec_lo, s5
.LBB296_233:                            ;   in Loop: Header=BB296_169 Depth=1
	s_delay_alu instid0(SALU_CYCLE_1)
	s_or_b32 exec_lo, exec_lo, s4
.LBB296_234:                            ;   in Loop: Header=BB296_169 Depth=1
	s_and_not1_saveexec_b32 s4, s25
; %bb.235:                              ;   in Loop: Header=BB296_169 Depth=1
	s_delay_alu instid0(VALU_DEP_1) | instskip(NEXT) | instid1(VALU_DEP_1)
	v_add_f64 v[14:15], v[18:19], -v[18:19]
	v_div_scale_f64 v[18:19], vcc_lo, v[14:15], v[14:15], v[14:15]
	s_delay_alu instid0(VALU_DEP_1) | instskip(SKIP_2) | instid1(VALU_DEP_1)
	v_rcp_f64_e32 v[20:21], v[18:19]
	s_waitcnt_depctr 0xfff
	v_fma_f64 v[22:23], -v[18:19], v[20:21], 1.0
	v_fma_f64 v[20:21], v[20:21], v[22:23], v[20:21]
	s_delay_alu instid0(VALU_DEP_1) | instskip(NEXT) | instid1(VALU_DEP_1)
	v_fma_f64 v[22:23], -v[18:19], v[20:21], 1.0
	v_fma_f64 v[20:21], v[20:21], v[22:23], v[20:21]
	s_delay_alu instid0(VALU_DEP_1) | instskip(NEXT) | instid1(VALU_DEP_1)
	v_mul_f64 v[22:23], v[18:19], v[20:21]
	v_fma_f64 v[18:19], -v[18:19], v[22:23], v[18:19]
	s_delay_alu instid0(VALU_DEP_1) | instskip(NEXT) | instid1(VALU_DEP_1)
	v_div_fmas_f64 v[18:19], v[18:19], v[20:21], v[22:23]
	v_div_fixup_f64 v[18:19], v[18:19], v[14:15], v[14:15]
; %bb.236:                              ;   in Loop: Header=BB296_169 Depth=1
	s_or_b32 exec_lo, exec_lo, s4
	v_dual_mov_b32 v21, v17 :: v_dual_mov_b32 v20, v16
.LBB296_237:                            ;   in Loop: Header=BB296_169 Depth=1
	s_or_b32 exec_lo, exec_lo, s24
.LBB296_238:                            ;   in Loop: Header=BB296_169 Depth=1
	s_delay_alu instid0(SALU_CYCLE_1) | instskip(NEXT) | instid1(VALU_DEP_1)
	s_or_b32 exec_lo, exec_lo, s11
	v_cmp_gt_f64_e32 vcc_lo, 0, v[20:21]
	s_delay_alu instid0(VALU_DEP_3) | instskip(SKIP_2) | instid1(VALU_DEP_2)
	v_cmp_gt_f64_e64 s4, 0, v[18:19]
	v_xor_b32_e32 v14, 0x80000000, v21
	v_xor_b32_e32 v15, 0x80000000, v19
                                        ; implicit-def: $vgpr16_vgpr17
	v_dual_cndmask_b32 v23, v21, v14 :: v_dual_cndmask_b32 v22, v20, v20
	s_delay_alu instid0(VALU_DEP_2) | instskip(SKIP_2) | instid1(VALU_DEP_1)
	v_cndmask_b32_e64 v25, v19, v15, s4
	v_cndmask_b32_e64 v24, v18, v18, s4
	s_mov_b32 s4, exec_lo
	v_cmpx_ge_f64_e32 v[22:23], v[24:25]
	s_xor_b32 s5, exec_lo, s4
	s_cbranch_execz .LBB296_244
; %bb.239:                              ;   in Loop: Header=BB296_169 Depth=1
	v_cmp_neq_f64_e32 vcc_lo, 0, v[20:21]
	v_cmp_neq_f64_e64 s4, 0, v[18:19]
                                        ; implicit-def: $vgpr16_vgpr17
	s_delay_alu instid0(VALU_DEP_1) | instskip(NEXT) | instid1(SALU_CYCLE_1)
	s_or_b32 s4, vcc_lo, s4
	s_and_saveexec_b32 s11, s4
	s_delay_alu instid0(SALU_CYCLE_1)
	s_xor_b32 s4, exec_lo, s11
	s_cbranch_execz .LBB296_241
; %bb.240:                              ;   in Loop: Header=BB296_169 Depth=1
	v_div_scale_f64 v[14:15], null, v[20:21], v[20:21], v[18:19]
	v_div_scale_f64 v[24:25], vcc_lo, v[18:19], v[20:21], v[18:19]
	s_delay_alu instid0(VALU_DEP_2) | instskip(SKIP_2) | instid1(VALU_DEP_1)
	v_rcp_f64_e32 v[16:17], v[14:15]
	s_waitcnt_depctr 0xfff
	v_fma_f64 v[22:23], -v[14:15], v[16:17], 1.0
	v_fma_f64 v[16:17], v[16:17], v[22:23], v[16:17]
	s_delay_alu instid0(VALU_DEP_1) | instskip(NEXT) | instid1(VALU_DEP_1)
	v_fma_f64 v[22:23], -v[14:15], v[16:17], 1.0
	v_fma_f64 v[16:17], v[16:17], v[22:23], v[16:17]
	s_delay_alu instid0(VALU_DEP_1) | instskip(NEXT) | instid1(VALU_DEP_1)
	v_mul_f64 v[22:23], v[24:25], v[16:17]
	v_fma_f64 v[14:15], -v[14:15], v[22:23], v[24:25]
	s_delay_alu instid0(VALU_DEP_1) | instskip(NEXT) | instid1(VALU_DEP_1)
	v_div_fmas_f64 v[14:15], v[14:15], v[16:17], v[22:23]
	v_div_fixup_f64 v[14:15], v[14:15], v[20:21], v[18:19]
	s_delay_alu instid0(VALU_DEP_1) | instskip(NEXT) | instid1(VALU_DEP_1)
	v_fma_f64 v[16:17], v[18:19], v[14:15], v[20:21]
	v_div_scale_f64 v[18:19], null, v[16:17], v[16:17], 1.0
	v_div_scale_f64 v[24:25], vcc_lo, 1.0, v[16:17], 1.0
	s_delay_alu instid0(VALU_DEP_2) | instskip(SKIP_2) | instid1(VALU_DEP_1)
	v_rcp_f64_e32 v[20:21], v[18:19]
	s_waitcnt_depctr 0xfff
	v_fma_f64 v[22:23], -v[18:19], v[20:21], 1.0
	v_fma_f64 v[20:21], v[20:21], v[22:23], v[20:21]
	s_delay_alu instid0(VALU_DEP_1) | instskip(NEXT) | instid1(VALU_DEP_1)
	v_fma_f64 v[22:23], -v[18:19], v[20:21], 1.0
	v_fma_f64 v[20:21], v[20:21], v[22:23], v[20:21]
	s_delay_alu instid0(VALU_DEP_1) | instskip(NEXT) | instid1(VALU_DEP_1)
	v_mul_f64 v[22:23], v[24:25], v[20:21]
	v_fma_f64 v[18:19], -v[18:19], v[22:23], v[24:25]
                                        ; implicit-def: $vgpr24_vgpr25
	s_delay_alu instid0(VALU_DEP_1) | instskip(SKIP_1) | instid1(VALU_DEP_2)
	v_div_fmas_f64 v[18:19], v[18:19], v[20:21], v[22:23]
	v_fma_f64 v[20:21], v[14:15], 0, 1.0
                                        ; implicit-def: $vgpr22_vgpr23
	v_div_fixup_f64 v[16:17], v[18:19], v[16:17], 1.0
	v_add_f64 v[18:19], -v[14:15], 0
	s_delay_alu instid0(VALU_DEP_2) | instskip(NEXT) | instid1(VALU_DEP_2)
	v_mul_f64 v[14:15], v[20:21], v[16:17]
	v_mul_f64 v[16:17], v[18:19], v[16:17]
.LBB296_241:                            ;   in Loop: Header=BB296_169 Depth=1
	s_and_not1_saveexec_b32 s11, s4
	s_cbranch_execz .LBB296_243
; %bb.242:                              ;   in Loop: Header=BB296_169 Depth=1
	v_div_scale_f64 v[14:15], null, v[22:23], v[22:23], 1.0
	v_div_scale_f64 v[16:17], null, v[24:25], v[24:25], 0
	v_div_scale_f64 v[46:47], vcc_lo, 1.0, v[22:23], 1.0
	s_delay_alu instid0(VALU_DEP_3) | instskip(NEXT) | instid1(VALU_DEP_2)
	v_rcp_f64_e32 v[18:19], v[14:15]
	v_rcp_f64_e32 v[20:21], v[16:17]
	s_waitcnt_depctr 0xfff
	v_fma_f64 v[42:43], -v[14:15], v[18:19], 1.0
	v_fma_f64 v[44:45], -v[16:17], v[20:21], 1.0
	s_delay_alu instid0(VALU_DEP_2) | instskip(NEXT) | instid1(VALU_DEP_2)
	v_fma_f64 v[18:19], v[18:19], v[42:43], v[18:19]
	v_fma_f64 v[20:21], v[20:21], v[44:45], v[20:21]
	s_delay_alu instid0(VALU_DEP_2) | instskip(NEXT) | instid1(VALU_DEP_2)
	v_fma_f64 v[42:43], -v[14:15], v[18:19], 1.0
	v_fma_f64 v[44:45], -v[16:17], v[20:21], 1.0
	s_delay_alu instid0(VALU_DEP_2) | instskip(SKIP_1) | instid1(VALU_DEP_3)
	v_fma_f64 v[18:19], v[18:19], v[42:43], v[18:19]
	v_div_scale_f64 v[42:43], s4, 0, v[24:25], 0
	v_fma_f64 v[20:21], v[20:21], v[44:45], v[20:21]
	s_delay_alu instid0(VALU_DEP_3) | instskip(NEXT) | instid1(VALU_DEP_2)
	v_mul_f64 v[44:45], v[46:47], v[18:19]
	v_mul_f64 v[48:49], v[42:43], v[20:21]
	s_delay_alu instid0(VALU_DEP_2) | instskip(NEXT) | instid1(VALU_DEP_2)
	v_fma_f64 v[14:15], -v[14:15], v[44:45], v[46:47]
	v_fma_f64 v[16:17], -v[16:17], v[48:49], v[42:43]
	s_delay_alu instid0(VALU_DEP_2) | instskip(SKIP_1) | instid1(VALU_DEP_2)
	v_div_fmas_f64 v[14:15], v[14:15], v[18:19], v[44:45]
	s_mov_b32 vcc_lo, s4
	v_div_fmas_f64 v[16:17], v[16:17], v[20:21], v[48:49]
	s_delay_alu instid0(VALU_DEP_2) | instskip(NEXT) | instid1(VALU_DEP_2)
	v_div_fixup_f64 v[14:15], v[14:15], v[22:23], 1.0
	v_div_fixup_f64 v[16:17], v[16:17], v[24:25], 0
.LBB296_243:                            ;   in Loop: Header=BB296_169 Depth=1
	s_or_b32 exec_lo, exec_lo, s11
                                        ; implicit-def: $vgpr18_vgpr19
                                        ; implicit-def: $vgpr20_vgpr21
.LBB296_244:                            ;   in Loop: Header=BB296_169 Depth=1
	s_and_not1_saveexec_b32 s4, s5
	s_cbranch_execz .LBB296_246
; %bb.245:                              ;   in Loop: Header=BB296_169 Depth=1
	v_div_scale_f64 v[14:15], null, v[18:19], v[18:19], v[20:21]
	v_div_scale_f64 v[24:25], vcc_lo, v[20:21], v[18:19], v[20:21]
	s_delay_alu instid0(VALU_DEP_2) | instskip(SKIP_2) | instid1(VALU_DEP_1)
	v_rcp_f64_e32 v[16:17], v[14:15]
	s_waitcnt_depctr 0xfff
	v_fma_f64 v[22:23], -v[14:15], v[16:17], 1.0
	v_fma_f64 v[16:17], v[16:17], v[22:23], v[16:17]
	s_delay_alu instid0(VALU_DEP_1) | instskip(NEXT) | instid1(VALU_DEP_1)
	v_fma_f64 v[22:23], -v[14:15], v[16:17], 1.0
	v_fma_f64 v[16:17], v[16:17], v[22:23], v[16:17]
	s_delay_alu instid0(VALU_DEP_1) | instskip(NEXT) | instid1(VALU_DEP_1)
	v_mul_f64 v[22:23], v[24:25], v[16:17]
	v_fma_f64 v[14:15], -v[14:15], v[22:23], v[24:25]
	s_delay_alu instid0(VALU_DEP_1) | instskip(NEXT) | instid1(VALU_DEP_1)
	v_div_fmas_f64 v[14:15], v[14:15], v[16:17], v[22:23]
	v_div_fixup_f64 v[14:15], v[14:15], v[18:19], v[20:21]
	s_delay_alu instid0(VALU_DEP_1) | instskip(NEXT) | instid1(VALU_DEP_1)
	v_fma_f64 v[16:17], v[20:21], v[14:15], v[18:19]
	v_div_scale_f64 v[18:19], null, v[16:17], v[16:17], 1.0
	v_div_scale_f64 v[24:25], vcc_lo, 1.0, v[16:17], 1.0
	s_delay_alu instid0(VALU_DEP_2) | instskip(SKIP_2) | instid1(VALU_DEP_1)
	v_rcp_f64_e32 v[20:21], v[18:19]
	s_waitcnt_depctr 0xfff
	v_fma_f64 v[22:23], -v[18:19], v[20:21], 1.0
	v_fma_f64 v[20:21], v[20:21], v[22:23], v[20:21]
	s_delay_alu instid0(VALU_DEP_1) | instskip(NEXT) | instid1(VALU_DEP_1)
	v_fma_f64 v[22:23], -v[18:19], v[20:21], 1.0
	v_fma_f64 v[20:21], v[20:21], v[22:23], v[20:21]
	s_delay_alu instid0(VALU_DEP_1) | instskip(NEXT) | instid1(VALU_DEP_1)
	v_mul_f64 v[22:23], v[24:25], v[20:21]
	v_fma_f64 v[18:19], -v[18:19], v[22:23], v[24:25]
	s_delay_alu instid0(VALU_DEP_1) | instskip(SKIP_1) | instid1(VALU_DEP_2)
	v_div_fmas_f64 v[18:19], v[18:19], v[20:21], v[22:23]
	v_add_f64 v[20:21], v[14:15], 0
	v_div_fixup_f64 v[16:17], v[18:19], v[16:17], 1.0
	v_fma_f64 v[18:19], v[14:15], 0, -1.0
	s_delay_alu instid0(VALU_DEP_2) | instskip(NEXT) | instid1(VALU_DEP_2)
	v_mul_f64 v[14:15], v[20:21], v[16:17]
	v_mul_f64 v[16:17], v[18:19], v[16:17]
.LBB296_246:                            ;   in Loop: Header=BB296_169 Depth=1
	s_or_b32 exec_lo, exec_lo, s4
	v_cmp_neq_f64_e32 vcc_lo, 0, v[10:11]
	v_cmp_neq_f64_e64 s4, 0, v[12:13]
	v_mov_b32_e32 v22, 0
	v_mov_b32_e32 v23, 0
	s_delay_alu instid0(VALU_DEP_3) | instskip(NEXT) | instid1(SALU_CYCLE_1)
	s_or_b32 s4, vcc_lo, s4
	s_and_saveexec_b32 s11, s4
	s_cbranch_execz .LBB296_273
; %bb.247:                              ;   in Loop: Header=BB296_169 Depth=1
	v_mov_b32_e32 v22, s16
	v_mov_b32_e32 v23, s17
	s_mov_b32 s24, exec_lo
	v_cmpx_neq_f64_e64 0x7ff00000, |v[12:13]|
	s_cbranch_execz .LBB296_272
; %bb.248:                              ;   in Loop: Header=BB296_169 Depth=1
	s_mov_b32 s4, exec_lo
	v_cmpx_o_f64_e32 v[10:11], v[10:11]
	s_xor_b32 s25, exec_lo, s4
	s_cbranch_execz .LBB296_269
; %bb.249:                              ;   in Loop: Header=BB296_169 Depth=1
	s_mov_b32 s5, exec_lo
	v_cmpx_neq_f64_e64 0x7ff00000, |v[10:11]|
	s_xor_b32 s26, exec_lo, s5
	s_cbranch_execz .LBB296_262
; %bb.250:                              ;   in Loop: Header=BB296_169 Depth=1
	v_max_f64 v[18:19], |v[10:11]|, |v[10:11]|
	v_max_f64 v[20:21], |v[12:13]|, |v[12:13]|
                                        ; implicit-def: $sgpr27
	s_delay_alu instid0(VALU_DEP_1) | instskip(NEXT) | instid1(VALU_DEP_1)
	v_max_f64 v[18:19], v[20:21], v[18:19]
	v_cmp_nle_f64_e64 s4, s[14:15], v[18:19]
	s_delay_alu instid0(VALU_DEP_1) | instskip(NEXT) | instid1(SALU_CYCLE_1)
	s_and_saveexec_b32 s5, s4
	s_xor_b32 s5, exec_lo, s5
	s_cbranch_execz .LBB296_254
; %bb.251:                              ;   in Loop: Header=BB296_169 Depth=1
	v_cmp_ge_f64_e64 s27, 0x200000, |v[10:11]|
	v_cmp_ge_f64_e64 s28, 0x200000, |v[12:13]|
	s_delay_alu instid0(VALU_DEP_1)
	s_and_b32 s29, s28, s27
	s_mov_b32 s27, 0
	s_and_saveexec_b32 s28, s29
; %bb.252:                              ;   in Loop: Header=BB296_169 Depth=1
	v_mul_f64 v[10:11], v[10:11], 4.0
	v_mul_f64 v[12:13], v[12:13], 4.0
	s_mov_b32 s27, exec_lo
; %bb.253:                              ;   in Loop: Header=BB296_169 Depth=1
	s_or_b32 exec_lo, exec_lo, s28
	s_delay_alu instid0(SALU_CYCLE_1)
	s_and_b32 s27, s27, exec_lo
.LBB296_254:                            ;   in Loop: Header=BB296_169 Depth=1
	s_and_not1_saveexec_b32 s5, s5
; %bb.255:                              ;   in Loop: Header=BB296_169 Depth=1
	s_delay_alu instid0(VALU_DEP_2) | instskip(NEXT) | instid1(VALU_DEP_2)
	v_ldexp_f64 v[10:11], v[10:11], -2
	v_ldexp_f64 v[12:13], v[12:13], -2
	s_and_not1_b32 s27, s27, exec_lo
; %bb.256:                              ;   in Loop: Header=BB296_169 Depth=1
	s_or_b32 exec_lo, exec_lo, s5
	s_delay_alu instid0(VALU_DEP_1) | instskip(NEXT) | instid1(VALU_DEP_3)
	v_max_f64 v[18:19], |v[12:13]|, |v[12:13]|
	v_max_f64 v[20:21], |v[10:11]|, |v[10:11]|
	v_cmp_class_f64_e64 s28, v[10:11], 0x204
	v_cmp_class_f64_e64 s29, v[12:13], 0x204
	v_cmp_le_f64_e64 s5, 0, v[10:11]
	s_delay_alu instid0(VALU_DEP_4) | instskip(NEXT) | instid1(VALU_DEP_3)
	v_max_f64 v[18:19], v[20:21], v[18:19]
	s_or_b32 s28, s29, s28
	s_delay_alu instid0(VALU_DEP_1) | instskip(NEXT) | instid1(VALU_DEP_1)
	v_frexp_exp_i32_f64_e32 v42, v[18:19]
	v_sub_nc_u32_e32 v20, 0, v42
	s_delay_alu instid0(VALU_DEP_1) | instskip(SKIP_1) | instid1(VALU_DEP_2)
	v_ldexp_f64 v[18:19], |v[12:13]|, v20
	v_ldexp_f64 v[20:21], |v[10:11]|, v20
	v_mul_f64 v[18:19], v[18:19], v[18:19]
	s_delay_alu instid0(VALU_DEP_1) | instskip(NEXT) | instid1(VALU_DEP_1)
	v_fma_f64 v[18:19], v[20:21], v[20:21], v[18:19]
	v_rsq_f64_e32 v[20:21], v[18:19]
	v_cmp_eq_f64_e32 vcc_lo, 0, v[18:19]
	s_waitcnt_depctr 0xfff
	v_mul_f64 v[22:23], v[18:19], v[20:21]
	v_mul_f64 v[20:21], v[20:21], 0.5
	s_delay_alu instid0(VALU_DEP_1) | instskip(NEXT) | instid1(VALU_DEP_1)
	v_fma_f64 v[24:25], -v[20:21], v[22:23], 0.5
	v_fma_f64 v[22:23], v[22:23], v[24:25], v[22:23]
	v_fma_f64 v[20:21], v[20:21], v[24:25], v[20:21]
	s_delay_alu instid0(VALU_DEP_2) | instskip(NEXT) | instid1(VALU_DEP_1)
	v_fma_f64 v[24:25], -v[22:23], v[22:23], v[18:19]
	v_fma_f64 v[20:21], v[24:25], v[20:21], v[22:23]
	s_delay_alu instid0(VALU_DEP_1) | instskip(SKIP_1) | instid1(VALU_DEP_2)
	v_dual_cndmask_b32 v19, v21, v19 :: v_dual_cndmask_b32 v18, v20, v18
	v_cmp_o_f64_e32 vcc_lo, v[12:13], v[12:13]
	v_ldexp_f64 v[18:19], v[18:19], v42
	s_delay_alu instid0(VALU_DEP_1) | instskip(NEXT) | instid1(VALU_DEP_2)
	v_cndmask_b32_e32 v18, 0, v18, vcc_lo
	v_cndmask_b32_e32 v19, 0x7ff80000, v19, vcc_lo
	s_delay_alu instid0(VALU_DEP_2) | instskip(NEXT) | instid1(VALU_DEP_2)
	v_cndmask_b32_e64 v18, v18, 0, s28
	v_cndmask_b32_e64 v19, v19, 0x7ff00000, s28
	s_and_saveexec_b32 s28, s5
	s_delay_alu instid0(SALU_CYCLE_1)
	s_xor_b32 s5, exec_lo, s28
	s_cbranch_execnz .LBB296_335
; %bb.257:                              ;   in Loop: Header=BB296_169 Depth=1
	s_and_not1_saveexec_b32 s5, s5
	s_cbranch_execnz .LBB296_336
.LBB296_258:                            ;   in Loop: Header=BB296_169 Depth=1
	s_or_b32 exec_lo, exec_lo, s5
	s_and_saveexec_b32 s5, s4
	s_delay_alu instid0(SALU_CYCLE_1)
	s_xor_b32 s4, exec_lo, s5
	s_cbranch_execnz .LBB296_337
.LBB296_259:                            ;   in Loop: Header=BB296_169 Depth=1
	s_and_not1_saveexec_b32 s4, s4
.LBB296_260:                            ;   in Loop: Header=BB296_169 Depth=1
	s_delay_alu instid0(VALU_DEP_2) | instskip(NEXT) | instid1(VALU_DEP_2)
	v_add_f64 v[10:11], v[10:11], v[10:11]
	v_add_f64 v[12:13], v[12:13], v[12:13]
.LBB296_261:                            ;   in Loop: Header=BB296_169 Depth=1
	s_or_b32 exec_lo, exec_lo, s4
.LBB296_262:                            ;   in Loop: Header=BB296_169 Depth=1
	s_and_not1_saveexec_b32 s4, s26
	s_cbranch_execz .LBB296_268
; %bb.263:                              ;   in Loop: Header=BB296_169 Depth=1
	s_delay_alu instid0(VALU_DEP_1) | instskip(SKIP_1) | instid1(VALU_DEP_3)
	v_add_f64 v[18:19], v[12:13], -v[12:13]
	s_mov_b32 s5, exec_lo
	v_cmpx_lt_i64_e32 -1, v[10:11]
	s_xor_b32 s5, exec_lo, s5
; %bb.264:                              ;   in Loop: Header=BB296_169 Depth=1
	s_delay_alu instid0(VALU_DEP_2) | instskip(NEXT) | instid1(VALU_DEP_1)
	v_bfi_b32 v19, 0x7fffffff, v19, v13
	v_dual_mov_b32 v12, v18 :: v_dual_mov_b32 v13, v19
                                        ; implicit-def: $vgpr18_vgpr19
; %bb.265:                              ;   in Loop: Header=BB296_169 Depth=1
	s_and_not1_saveexec_b32 s5, s5
; %bb.266:                              ;   in Loop: Header=BB296_169 Depth=1
	s_delay_alu instid0(VALU_DEP_1) | instskip(SKIP_1) | instid1(VALU_DEP_2)
	v_bfi_b32 v11, 0x7fffffff, v11, v13
	v_and_b32_e32 v19, 0x7fffffff, v19
	v_dual_mov_b32 v13, v11 :: v_dual_mov_b32 v12, v10
	s_delay_alu instid0(VALU_DEP_2)
	v_dual_mov_b32 v10, v18 :: v_dual_mov_b32 v11, v19
; %bb.267:                              ;   in Loop: Header=BB296_169 Depth=1
	s_or_b32 exec_lo, exec_lo, s5
.LBB296_268:                            ;   in Loop: Header=BB296_169 Depth=1
	s_delay_alu instid0(SALU_CYCLE_1)
	s_or_b32 exec_lo, exec_lo, s4
.LBB296_269:                            ;   in Loop: Header=BB296_169 Depth=1
	s_and_not1_saveexec_b32 s4, s25
; %bb.270:                              ;   in Loop: Header=BB296_169 Depth=1
	s_delay_alu instid0(VALU_DEP_1) | instskip(NEXT) | instid1(VALU_DEP_1)
	v_add_f64 v[12:13], v[12:13], -v[12:13]
	v_div_scale_f64 v[18:19], vcc_lo, v[12:13], v[12:13], v[12:13]
	s_delay_alu instid0(VALU_DEP_1) | instskip(SKIP_2) | instid1(VALU_DEP_1)
	v_rcp_f64_e32 v[20:21], v[18:19]
	s_waitcnt_depctr 0xfff
	v_fma_f64 v[22:23], -v[18:19], v[20:21], 1.0
	v_fma_f64 v[20:21], v[20:21], v[22:23], v[20:21]
	s_delay_alu instid0(VALU_DEP_1) | instskip(NEXT) | instid1(VALU_DEP_1)
	v_fma_f64 v[22:23], -v[18:19], v[20:21], 1.0
	v_fma_f64 v[20:21], v[20:21], v[22:23], v[20:21]
	s_delay_alu instid0(VALU_DEP_1) | instskip(NEXT) | instid1(VALU_DEP_1)
	v_mul_f64 v[22:23], v[18:19], v[20:21]
	v_fma_f64 v[18:19], -v[18:19], v[22:23], v[18:19]
	s_delay_alu instid0(VALU_DEP_1) | instskip(NEXT) | instid1(VALU_DEP_1)
	v_div_fmas_f64 v[18:19], v[18:19], v[20:21], v[22:23]
	v_div_fixup_f64 v[12:13], v[18:19], v[12:13], v[12:13]
; %bb.271:                              ;   in Loop: Header=BB296_169 Depth=1
	s_or_b32 exec_lo, exec_lo, s4
	v_dual_mov_b32 v23, v11 :: v_dual_mov_b32 v22, v10
.LBB296_272:                            ;   in Loop: Header=BB296_169 Depth=1
	s_or_b32 exec_lo, exec_lo, s24
.LBB296_273:                            ;   in Loop: Header=BB296_169 Depth=1
	s_delay_alu instid0(SALU_CYCLE_1) | instskip(NEXT) | instid1(VALU_DEP_1)
	s_or_b32 exec_lo, exec_lo, s11
	v_cmp_gt_f64_e32 vcc_lo, 0, v[22:23]
	s_delay_alu instid0(VALU_DEP_3) | instskip(SKIP_2) | instid1(VALU_DEP_2)
	v_cmp_gt_f64_e64 s4, 0, v[12:13]
	v_xor_b32_e32 v10, 0x80000000, v23
	v_xor_b32_e32 v18, 0x80000000, v13
                                        ; implicit-def: $vgpr20_vgpr21
	v_cndmask_b32_e32 v11, v23, v10, vcc_lo
	s_delay_alu instid0(VALU_DEP_2) | instskip(SKIP_3) | instid1(VALU_DEP_1)
	v_cndmask_b32_e64 v25, v13, v18, s4
	v_cndmask_b32_e32 v10, v22, v22, vcc_lo
	v_cndmask_b32_e64 v24, v12, v12, s4
	s_mov_b32 s4, exec_lo
	v_cmpx_ge_f64_e32 v[10:11], v[24:25]
	s_xor_b32 s5, exec_lo, s4
	s_cbranch_execz .LBB296_279
; %bb.274:                              ;   in Loop: Header=BB296_169 Depth=1
	v_cmp_neq_f64_e32 vcc_lo, 0, v[22:23]
	v_cmp_neq_f64_e64 s4, 0, v[12:13]
                                        ; implicit-def: $vgpr20_vgpr21
	s_delay_alu instid0(VALU_DEP_1) | instskip(NEXT) | instid1(SALU_CYCLE_1)
	s_or_b32 s4, vcc_lo, s4
	s_and_saveexec_b32 s11, s4
	s_delay_alu instid0(SALU_CYCLE_1)
	s_xor_b32 s4, exec_lo, s11
	s_cbranch_execz .LBB296_276
; %bb.275:                              ;   in Loop: Header=BB296_169 Depth=1
	v_div_scale_f64 v[10:11], null, v[22:23], v[22:23], v[12:13]
	v_div_scale_f64 v[24:25], vcc_lo, v[12:13], v[22:23], v[12:13]
	s_delay_alu instid0(VALU_DEP_2) | instskip(SKIP_2) | instid1(VALU_DEP_1)
	v_rcp_f64_e32 v[18:19], v[10:11]
	s_waitcnt_depctr 0xfff
	v_fma_f64 v[20:21], -v[10:11], v[18:19], 1.0
	v_fma_f64 v[18:19], v[18:19], v[20:21], v[18:19]
	s_delay_alu instid0(VALU_DEP_1) | instskip(NEXT) | instid1(VALU_DEP_1)
	v_fma_f64 v[20:21], -v[10:11], v[18:19], 1.0
	v_fma_f64 v[18:19], v[18:19], v[20:21], v[18:19]
	s_delay_alu instid0(VALU_DEP_1) | instskip(NEXT) | instid1(VALU_DEP_1)
	v_mul_f64 v[20:21], v[24:25], v[18:19]
	v_fma_f64 v[10:11], -v[10:11], v[20:21], v[24:25]
	s_delay_alu instid0(VALU_DEP_1) | instskip(NEXT) | instid1(VALU_DEP_1)
	v_div_fmas_f64 v[10:11], v[10:11], v[18:19], v[20:21]
	v_div_fixup_f64 v[10:11], v[10:11], v[22:23], v[12:13]
	s_delay_alu instid0(VALU_DEP_1) | instskip(NEXT) | instid1(VALU_DEP_1)
	v_fma_f64 v[12:13], v[12:13], v[10:11], v[22:23]
	v_div_scale_f64 v[18:19], null, v[12:13], v[12:13], 1.0
	v_div_scale_f64 v[24:25], vcc_lo, 1.0, v[12:13], 1.0
	s_delay_alu instid0(VALU_DEP_2) | instskip(SKIP_2) | instid1(VALU_DEP_1)
	v_rcp_f64_e32 v[20:21], v[18:19]
	s_waitcnt_depctr 0xfff
	v_fma_f64 v[22:23], -v[18:19], v[20:21], 1.0
	v_fma_f64 v[20:21], v[20:21], v[22:23], v[20:21]
	s_delay_alu instid0(VALU_DEP_1) | instskip(NEXT) | instid1(VALU_DEP_1)
	v_fma_f64 v[22:23], -v[18:19], v[20:21], 1.0
	v_fma_f64 v[20:21], v[20:21], v[22:23], v[20:21]
	s_delay_alu instid0(VALU_DEP_1) | instskip(NEXT) | instid1(VALU_DEP_1)
	v_mul_f64 v[22:23], v[24:25], v[20:21]
	v_fma_f64 v[18:19], -v[18:19], v[22:23], v[24:25]
                                        ; implicit-def: $vgpr24_vgpr25
	s_delay_alu instid0(VALU_DEP_1) | instskip(SKIP_2) | instid1(VALU_DEP_3)
	v_div_fmas_f64 v[18:19], v[18:19], v[20:21], v[22:23]
	v_fma_f64 v[20:21], v[10:11], 0, 1.0
	v_add_f64 v[10:11], -v[10:11], 0
	v_div_fixup_f64 v[12:13], v[18:19], v[12:13], 1.0
	s_delay_alu instid0(VALU_DEP_1) | instskip(NEXT) | instid1(VALU_DEP_3)
	v_mul_f64 v[18:19], v[20:21], v[12:13]
	v_mul_f64 v[20:21], v[10:11], v[12:13]
                                        ; implicit-def: $vgpr10_vgpr11
.LBB296_276:                            ;   in Loop: Header=BB296_169 Depth=1
	s_and_not1_saveexec_b32 s11, s4
	s_cbranch_execz .LBB296_278
; %bb.277:                              ;   in Loop: Header=BB296_169 Depth=1
	v_div_scale_f64 v[12:13], null, v[10:11], v[10:11], 1.0
	v_div_scale_f64 v[18:19], null, v[24:25], v[24:25], 0
	v_div_scale_f64 v[46:47], vcc_lo, 1.0, v[10:11], 1.0
	s_delay_alu instid0(VALU_DEP_3) | instskip(NEXT) | instid1(VALU_DEP_2)
	v_rcp_f64_e32 v[20:21], v[12:13]
	v_rcp_f64_e32 v[22:23], v[18:19]
	s_waitcnt_depctr 0xfff
	v_fma_f64 v[42:43], -v[12:13], v[20:21], 1.0
	v_fma_f64 v[44:45], -v[18:19], v[22:23], 1.0
	s_delay_alu instid0(VALU_DEP_2) | instskip(NEXT) | instid1(VALU_DEP_2)
	v_fma_f64 v[20:21], v[20:21], v[42:43], v[20:21]
	v_fma_f64 v[22:23], v[22:23], v[44:45], v[22:23]
	s_delay_alu instid0(VALU_DEP_2) | instskip(NEXT) | instid1(VALU_DEP_2)
	v_fma_f64 v[42:43], -v[12:13], v[20:21], 1.0
	v_fma_f64 v[44:45], -v[18:19], v[22:23], 1.0
	s_delay_alu instid0(VALU_DEP_2) | instskip(SKIP_1) | instid1(VALU_DEP_3)
	v_fma_f64 v[20:21], v[20:21], v[42:43], v[20:21]
	v_div_scale_f64 v[42:43], s4, 0, v[24:25], 0
	v_fma_f64 v[22:23], v[22:23], v[44:45], v[22:23]
	s_delay_alu instid0(VALU_DEP_3) | instskip(NEXT) | instid1(VALU_DEP_2)
	v_mul_f64 v[44:45], v[46:47], v[20:21]
	v_mul_f64 v[48:49], v[42:43], v[22:23]
	s_delay_alu instid0(VALU_DEP_2) | instskip(NEXT) | instid1(VALU_DEP_2)
	v_fma_f64 v[12:13], -v[12:13], v[44:45], v[46:47]
	v_fma_f64 v[18:19], -v[18:19], v[48:49], v[42:43]
	s_delay_alu instid0(VALU_DEP_2) | instskip(SKIP_1) | instid1(VALU_DEP_2)
	v_div_fmas_f64 v[12:13], v[12:13], v[20:21], v[44:45]
	s_mov_b32 vcc_lo, s4
	v_div_fmas_f64 v[20:21], v[18:19], v[22:23], v[48:49]
	s_delay_alu instid0(VALU_DEP_2) | instskip(NEXT) | instid1(VALU_DEP_2)
	v_div_fixup_f64 v[18:19], v[12:13], v[10:11], 1.0
	v_div_fixup_f64 v[20:21], v[20:21], v[24:25], 0
.LBB296_278:                            ;   in Loop: Header=BB296_169 Depth=1
	s_or_b32 exec_lo, exec_lo, s11
                                        ; implicit-def: $vgpr12_vgpr13
                                        ; implicit-def: $vgpr22_vgpr23
.LBB296_279:                            ;   in Loop: Header=BB296_169 Depth=1
	s_and_not1_saveexec_b32 s4, s5
	s_cbranch_execz .LBB296_281
; %bb.280:                              ;   in Loop: Header=BB296_169 Depth=1
	v_div_scale_f64 v[10:11], null, v[12:13], v[12:13], v[22:23]
	v_div_scale_f64 v[24:25], vcc_lo, v[22:23], v[12:13], v[22:23]
	s_delay_alu instid0(VALU_DEP_2) | instskip(SKIP_2) | instid1(VALU_DEP_1)
	v_rcp_f64_e32 v[18:19], v[10:11]
	s_waitcnt_depctr 0xfff
	v_fma_f64 v[20:21], -v[10:11], v[18:19], 1.0
	v_fma_f64 v[18:19], v[18:19], v[20:21], v[18:19]
	s_delay_alu instid0(VALU_DEP_1) | instskip(NEXT) | instid1(VALU_DEP_1)
	v_fma_f64 v[20:21], -v[10:11], v[18:19], 1.0
	v_fma_f64 v[18:19], v[18:19], v[20:21], v[18:19]
	s_delay_alu instid0(VALU_DEP_1) | instskip(NEXT) | instid1(VALU_DEP_1)
	v_mul_f64 v[20:21], v[24:25], v[18:19]
	v_fma_f64 v[10:11], -v[10:11], v[20:21], v[24:25]
	s_delay_alu instid0(VALU_DEP_1) | instskip(NEXT) | instid1(VALU_DEP_1)
	v_div_fmas_f64 v[10:11], v[10:11], v[18:19], v[20:21]
	v_div_fixup_f64 v[10:11], v[10:11], v[12:13], v[22:23]
	s_delay_alu instid0(VALU_DEP_1) | instskip(NEXT) | instid1(VALU_DEP_1)
	v_fma_f64 v[12:13], v[22:23], v[10:11], v[12:13]
	v_div_scale_f64 v[18:19], null, v[12:13], v[12:13], 1.0
	v_div_scale_f64 v[24:25], vcc_lo, 1.0, v[12:13], 1.0
	s_delay_alu instid0(VALU_DEP_2) | instskip(SKIP_2) | instid1(VALU_DEP_1)
	v_rcp_f64_e32 v[20:21], v[18:19]
	s_waitcnt_depctr 0xfff
	v_fma_f64 v[22:23], -v[18:19], v[20:21], 1.0
	v_fma_f64 v[20:21], v[20:21], v[22:23], v[20:21]
	s_delay_alu instid0(VALU_DEP_1) | instskip(NEXT) | instid1(VALU_DEP_1)
	v_fma_f64 v[22:23], -v[18:19], v[20:21], 1.0
	v_fma_f64 v[20:21], v[20:21], v[22:23], v[20:21]
	s_delay_alu instid0(VALU_DEP_1) | instskip(NEXT) | instid1(VALU_DEP_1)
	v_mul_f64 v[22:23], v[24:25], v[20:21]
	v_fma_f64 v[18:19], -v[18:19], v[22:23], v[24:25]
	s_delay_alu instid0(VALU_DEP_1) | instskip(SKIP_2) | instid1(VALU_DEP_3)
	v_div_fmas_f64 v[18:19], v[18:19], v[20:21], v[22:23]
	v_add_f64 v[20:21], v[10:11], 0
	v_fma_f64 v[10:11], v[10:11], 0, -1.0
	v_div_fixup_f64 v[12:13], v[18:19], v[12:13], 1.0
	s_delay_alu instid0(VALU_DEP_1) | instskip(NEXT) | instid1(VALU_DEP_3)
	v_mul_f64 v[18:19], v[20:21], v[12:13]
	v_mul_f64 v[20:21], v[10:11], v[12:13]
.LBB296_281:                            ;   in Loop: Header=BB296_169 Depth=1
	s_or_b32 exec_lo, exec_lo, s4
	v_cmp_neq_f64_e32 vcc_lo, 0, v[2:3]
	v_cmp_neq_f64_e64 s4, 0, v[4:5]
	v_mov_b32_e32 v22, 0
	v_mov_b32_e32 v23, 0
	s_delay_alu instid0(VALU_DEP_3) | instskip(NEXT) | instid1(SALU_CYCLE_1)
	s_or_b32 s4, vcc_lo, s4
	s_and_saveexec_b32 s11, s4
	s_cbranch_execz .LBB296_308
; %bb.282:                              ;   in Loop: Header=BB296_169 Depth=1
	v_mov_b32_e32 v22, s16
	v_mov_b32_e32 v23, s17
	s_mov_b32 s24, exec_lo
	v_cmpx_neq_f64_e64 0x7ff00000, |v[4:5]|
	s_cbranch_execz .LBB296_307
; %bb.283:                              ;   in Loop: Header=BB296_169 Depth=1
	s_mov_b32 s4, exec_lo
	v_cmpx_o_f64_e32 v[2:3], v[2:3]
	s_xor_b32 s25, exec_lo, s4
	s_cbranch_execz .LBB296_304
; %bb.284:                              ;   in Loop: Header=BB296_169 Depth=1
	s_mov_b32 s5, exec_lo
	v_cmpx_neq_f64_e64 0x7ff00000, |v[2:3]|
	s_xor_b32 s26, exec_lo, s5
	s_cbranch_execz .LBB296_297
; %bb.285:                              ;   in Loop: Header=BB296_169 Depth=1
	v_max_f64 v[10:11], |v[2:3]|, |v[2:3]|
	v_max_f64 v[12:13], |v[4:5]|, |v[4:5]|
                                        ; implicit-def: $sgpr27
	s_delay_alu instid0(VALU_DEP_1) | instskip(NEXT) | instid1(VALU_DEP_1)
	v_max_f64 v[10:11], v[12:13], v[10:11]
	v_cmp_nle_f64_e64 s4, s[14:15], v[10:11]
	s_delay_alu instid0(VALU_DEP_1) | instskip(NEXT) | instid1(SALU_CYCLE_1)
	s_and_saveexec_b32 s5, s4
	s_xor_b32 s5, exec_lo, s5
	s_cbranch_execz .LBB296_289
; %bb.286:                              ;   in Loop: Header=BB296_169 Depth=1
	v_cmp_ge_f64_e64 s27, 0x200000, |v[2:3]|
	v_cmp_ge_f64_e64 s28, 0x200000, |v[4:5]|
	s_delay_alu instid0(VALU_DEP_1)
	s_and_b32 s29, s28, s27
	s_mov_b32 s27, 0
	s_and_saveexec_b32 s28, s29
; %bb.287:                              ;   in Loop: Header=BB296_169 Depth=1
	v_mul_f64 v[2:3], v[2:3], 4.0
	v_mul_f64 v[4:5], v[4:5], 4.0
	s_mov_b32 s27, exec_lo
; %bb.288:                              ;   in Loop: Header=BB296_169 Depth=1
	s_or_b32 exec_lo, exec_lo, s28
	s_delay_alu instid0(SALU_CYCLE_1)
	s_and_b32 s27, s27, exec_lo
.LBB296_289:                            ;   in Loop: Header=BB296_169 Depth=1
	s_and_not1_saveexec_b32 s5, s5
; %bb.290:                              ;   in Loop: Header=BB296_169 Depth=1
	s_delay_alu instid0(VALU_DEP_2) | instskip(NEXT) | instid1(VALU_DEP_2)
	v_ldexp_f64 v[2:3], v[2:3], -2
	v_ldexp_f64 v[4:5], v[4:5], -2
	s_and_not1_b32 s27, s27, exec_lo
; %bb.291:                              ;   in Loop: Header=BB296_169 Depth=1
	s_or_b32 exec_lo, exec_lo, s5
	s_delay_alu instid0(VALU_DEP_1) | instskip(NEXT) | instid1(VALU_DEP_3)
	v_max_f64 v[10:11], |v[4:5]|, |v[4:5]|
	v_max_f64 v[12:13], |v[2:3]|, |v[2:3]|
	v_cmp_class_f64_e64 s28, v[2:3], 0x204
	v_cmp_class_f64_e64 s29, v[4:5], 0x204
	v_cmp_le_f64_e64 s5, 0, v[2:3]
	s_delay_alu instid0(VALU_DEP_4) | instskip(NEXT) | instid1(VALU_DEP_3)
	v_max_f64 v[10:11], v[12:13], v[10:11]
	s_or_b32 s28, s29, s28
	s_delay_alu instid0(VALU_DEP_1) | instskip(NEXT) | instid1(VALU_DEP_1)
	v_frexp_exp_i32_f64_e32 v42, v[10:11]
	v_sub_nc_u32_e32 v12, 0, v42
	s_delay_alu instid0(VALU_DEP_1) | instskip(SKIP_1) | instid1(VALU_DEP_2)
	v_ldexp_f64 v[10:11], |v[4:5]|, v12
	v_ldexp_f64 v[12:13], |v[2:3]|, v12
	v_mul_f64 v[10:11], v[10:11], v[10:11]
	s_delay_alu instid0(VALU_DEP_1) | instskip(NEXT) | instid1(VALU_DEP_1)
	v_fma_f64 v[10:11], v[12:13], v[12:13], v[10:11]
	v_rsq_f64_e32 v[12:13], v[10:11]
	v_cmp_eq_f64_e32 vcc_lo, 0, v[10:11]
	s_waitcnt_depctr 0xfff
	v_mul_f64 v[22:23], v[10:11], v[12:13]
	v_mul_f64 v[12:13], v[12:13], 0.5
	s_delay_alu instid0(VALU_DEP_1) | instskip(NEXT) | instid1(VALU_DEP_1)
	v_fma_f64 v[24:25], -v[12:13], v[22:23], 0.5
	v_fma_f64 v[22:23], v[22:23], v[24:25], v[22:23]
	v_fma_f64 v[12:13], v[12:13], v[24:25], v[12:13]
	s_delay_alu instid0(VALU_DEP_2) | instskip(NEXT) | instid1(VALU_DEP_1)
	v_fma_f64 v[24:25], -v[22:23], v[22:23], v[10:11]
	v_fma_f64 v[12:13], v[24:25], v[12:13], v[22:23]
	s_delay_alu instid0(VALU_DEP_1) | instskip(SKIP_1) | instid1(VALU_DEP_2)
	v_dual_cndmask_b32 v11, v13, v11 :: v_dual_cndmask_b32 v10, v12, v10
	v_cmp_o_f64_e32 vcc_lo, v[4:5], v[4:5]
	v_ldexp_f64 v[10:11], v[10:11], v42
	s_delay_alu instid0(VALU_DEP_1) | instskip(NEXT) | instid1(VALU_DEP_2)
	v_cndmask_b32_e32 v10, 0, v10, vcc_lo
	v_cndmask_b32_e32 v11, 0x7ff80000, v11, vcc_lo
	s_delay_alu instid0(VALU_DEP_2) | instskip(NEXT) | instid1(VALU_DEP_2)
	v_cndmask_b32_e64 v10, v10, 0, s28
	v_cndmask_b32_e64 v11, v11, 0x7ff00000, s28
	s_and_saveexec_b32 s28, s5
	s_delay_alu instid0(SALU_CYCLE_1)
	s_xor_b32 s5, exec_lo, s28
	s_cbranch_execnz .LBB296_340
; %bb.292:                              ;   in Loop: Header=BB296_169 Depth=1
	s_and_not1_saveexec_b32 s5, s5
	s_cbranch_execnz .LBB296_341
.LBB296_293:                            ;   in Loop: Header=BB296_169 Depth=1
	s_or_b32 exec_lo, exec_lo, s5
	s_and_saveexec_b32 s5, s4
	s_delay_alu instid0(SALU_CYCLE_1)
	s_xor_b32 s4, exec_lo, s5
	s_cbranch_execnz .LBB296_342
.LBB296_294:                            ;   in Loop: Header=BB296_169 Depth=1
	s_and_not1_saveexec_b32 s4, s4
.LBB296_295:                            ;   in Loop: Header=BB296_169 Depth=1
	s_delay_alu instid0(VALU_DEP_2) | instskip(NEXT) | instid1(VALU_DEP_2)
	v_add_f64 v[2:3], v[2:3], v[2:3]
	v_add_f64 v[4:5], v[4:5], v[4:5]
.LBB296_296:                            ;   in Loop: Header=BB296_169 Depth=1
	s_or_b32 exec_lo, exec_lo, s4
.LBB296_297:                            ;   in Loop: Header=BB296_169 Depth=1
	s_and_not1_saveexec_b32 s4, s26
	s_cbranch_execz .LBB296_303
; %bb.298:                              ;   in Loop: Header=BB296_169 Depth=1
	s_delay_alu instid0(VALU_DEP_1) | instskip(SKIP_1) | instid1(VALU_DEP_3)
	v_add_f64 v[10:11], v[4:5], -v[4:5]
	s_mov_b32 s5, exec_lo
	v_cmpx_lt_i64_e32 -1, v[2:3]
	s_xor_b32 s5, exec_lo, s5
; %bb.299:                              ;   in Loop: Header=BB296_169 Depth=1
	s_delay_alu instid0(VALU_DEP_2) | instskip(NEXT) | instid1(VALU_DEP_1)
	v_bfi_b32 v11, 0x7fffffff, v11, v5
	v_dual_mov_b32 v4, v10 :: v_dual_mov_b32 v5, v11
                                        ; implicit-def: $vgpr10_vgpr11
; %bb.300:                              ;   in Loop: Header=BB296_169 Depth=1
	s_and_not1_saveexec_b32 s5, s5
; %bb.301:                              ;   in Loop: Header=BB296_169 Depth=1
	s_delay_alu instid0(VALU_DEP_1) | instskip(SKIP_1) | instid1(VALU_DEP_2)
	v_bfi_b32 v3, 0x7fffffff, v3, v5
	v_and_b32_e32 v11, 0x7fffffff, v11
	v_dual_mov_b32 v5, v3 :: v_dual_mov_b32 v4, v2
	s_delay_alu instid0(VALU_DEP_2)
	v_dual_mov_b32 v2, v10 :: v_dual_mov_b32 v3, v11
; %bb.302:                              ;   in Loop: Header=BB296_169 Depth=1
	s_or_b32 exec_lo, exec_lo, s5
.LBB296_303:                            ;   in Loop: Header=BB296_169 Depth=1
	s_delay_alu instid0(SALU_CYCLE_1)
	s_or_b32 exec_lo, exec_lo, s4
.LBB296_304:                            ;   in Loop: Header=BB296_169 Depth=1
	s_and_not1_saveexec_b32 s4, s25
; %bb.305:                              ;   in Loop: Header=BB296_169 Depth=1
	s_delay_alu instid0(VALU_DEP_1) | instskip(NEXT) | instid1(VALU_DEP_1)
	v_add_f64 v[4:5], v[4:5], -v[4:5]
	v_div_scale_f64 v[10:11], vcc_lo, v[4:5], v[4:5], v[4:5]
	s_delay_alu instid0(VALU_DEP_1) | instskip(SKIP_2) | instid1(VALU_DEP_1)
	v_rcp_f64_e32 v[12:13], v[10:11]
	s_waitcnt_depctr 0xfff
	v_fma_f64 v[22:23], -v[10:11], v[12:13], 1.0
	v_fma_f64 v[12:13], v[12:13], v[22:23], v[12:13]
	s_delay_alu instid0(VALU_DEP_1) | instskip(NEXT) | instid1(VALU_DEP_1)
	v_fma_f64 v[22:23], -v[10:11], v[12:13], 1.0
	v_fma_f64 v[12:13], v[12:13], v[22:23], v[12:13]
	s_delay_alu instid0(VALU_DEP_1) | instskip(NEXT) | instid1(VALU_DEP_1)
	v_mul_f64 v[22:23], v[10:11], v[12:13]
	v_fma_f64 v[10:11], -v[10:11], v[22:23], v[10:11]
	s_delay_alu instid0(VALU_DEP_1) | instskip(NEXT) | instid1(VALU_DEP_1)
	v_div_fmas_f64 v[10:11], v[10:11], v[12:13], v[22:23]
	v_div_fixup_f64 v[4:5], v[10:11], v[4:5], v[4:5]
; %bb.306:                              ;   in Loop: Header=BB296_169 Depth=1
	s_or_b32 exec_lo, exec_lo, s4
	v_dual_mov_b32 v23, v3 :: v_dual_mov_b32 v22, v2
.LBB296_307:                            ;   in Loop: Header=BB296_169 Depth=1
	s_or_b32 exec_lo, exec_lo, s24
.LBB296_308:                            ;   in Loop: Header=BB296_169 Depth=1
	s_delay_alu instid0(SALU_CYCLE_1) | instskip(NEXT) | instid1(VALU_DEP_1)
	s_or_b32 exec_lo, exec_lo, s11
	v_cmp_gt_f64_e32 vcc_lo, 0, v[22:23]
	s_delay_alu instid0(VALU_DEP_3) | instskip(SKIP_2) | instid1(VALU_DEP_2)
	v_cmp_gt_f64_e64 s4, 0, v[4:5]
	v_xor_b32_e32 v2, 0x80000000, v23
	v_xor_b32_e32 v10, 0x80000000, v5
                                        ; implicit-def: $vgpr12_vgpr13
	v_cndmask_b32_e32 v3, v23, v2, vcc_lo
	s_delay_alu instid0(VALU_DEP_2) | instskip(SKIP_3) | instid1(VALU_DEP_1)
	v_cndmask_b32_e64 v25, v5, v10, s4
	v_cndmask_b32_e32 v2, v22, v22, vcc_lo
	v_cndmask_b32_e64 v24, v4, v4, s4
	s_mov_b32 s4, exec_lo
	v_cmpx_ge_f64_e32 v[2:3], v[24:25]
	s_xor_b32 s5, exec_lo, s4
	s_cbranch_execnz .LBB296_314
; %bb.309:                              ;   in Loop: Header=BB296_169 Depth=1
	s_and_not1_saveexec_b32 s4, s5
	s_cbranch_execnz .LBB296_319
.LBB296_310:                            ;   in Loop: Header=BB296_169 Depth=1
	s_or_b32 exec_lo, exec_lo, s4
	s_and_saveexec_b32 s4, s0
	s_delay_alu instid0(SALU_CYCLE_1)
	s_xor_b32 s0, exec_lo, s4
	s_cbranch_execnz .LBB296_320
.LBB296_311:                            ;   in Loop: Header=BB296_169 Depth=1
	s_or_b32 exec_lo, exec_lo, s0
	s_and_saveexec_b32 s0, s1
	s_cbranch_execnz .LBB296_321
.LBB296_312:                            ;   in Loop: Header=BB296_169 Depth=1
	s_or_b32 exec_lo, exec_lo, s0
	s_and_saveexec_b32 s0, s2
	s_cbranch_execnz .LBB296_322
.LBB296_313:                            ;   in Loop: Header=BB296_169 Depth=1
	s_or_b32 exec_lo, exec_lo, s0
	s_and_saveexec_b32 s0, s3
	s_cbranch_execz .LBB296_168
	s_branch .LBB296_323
.LBB296_314:                            ;   in Loop: Header=BB296_169 Depth=1
	v_cmp_neq_f64_e32 vcc_lo, 0, v[22:23]
	v_cmp_neq_f64_e64 s4, 0, v[4:5]
                                        ; implicit-def: $vgpr12_vgpr13
	s_delay_alu instid0(VALU_DEP_1) | instskip(NEXT) | instid1(SALU_CYCLE_1)
	s_or_b32 s4, vcc_lo, s4
	s_and_saveexec_b32 s11, s4
	s_delay_alu instid0(SALU_CYCLE_1)
	s_xor_b32 s4, exec_lo, s11
	s_cbranch_execz .LBB296_316
; %bb.315:                              ;   in Loop: Header=BB296_169 Depth=1
	v_div_scale_f64 v[2:3], null, v[22:23], v[22:23], v[4:5]
	v_div_scale_f64 v[24:25], vcc_lo, v[4:5], v[22:23], v[4:5]
	s_delay_alu instid0(VALU_DEP_2) | instskip(SKIP_2) | instid1(VALU_DEP_1)
	v_rcp_f64_e32 v[10:11], v[2:3]
	s_waitcnt_depctr 0xfff
	v_fma_f64 v[12:13], -v[2:3], v[10:11], 1.0
	v_fma_f64 v[10:11], v[10:11], v[12:13], v[10:11]
	s_delay_alu instid0(VALU_DEP_1) | instskip(NEXT) | instid1(VALU_DEP_1)
	v_fma_f64 v[12:13], -v[2:3], v[10:11], 1.0
	v_fma_f64 v[10:11], v[10:11], v[12:13], v[10:11]
	s_delay_alu instid0(VALU_DEP_1) | instskip(NEXT) | instid1(VALU_DEP_1)
	v_mul_f64 v[12:13], v[24:25], v[10:11]
	v_fma_f64 v[2:3], -v[2:3], v[12:13], v[24:25]
	s_delay_alu instid0(VALU_DEP_1) | instskip(NEXT) | instid1(VALU_DEP_1)
	v_div_fmas_f64 v[2:3], v[2:3], v[10:11], v[12:13]
	v_div_fixup_f64 v[2:3], v[2:3], v[22:23], v[4:5]
	s_delay_alu instid0(VALU_DEP_1) | instskip(NEXT) | instid1(VALU_DEP_1)
	v_fma_f64 v[4:5], v[4:5], v[2:3], v[22:23]
	v_div_scale_f64 v[10:11], null, v[4:5], v[4:5], 1.0
	v_div_scale_f64 v[24:25], vcc_lo, 1.0, v[4:5], 1.0
	s_delay_alu instid0(VALU_DEP_2) | instskip(SKIP_2) | instid1(VALU_DEP_1)
	v_rcp_f64_e32 v[12:13], v[10:11]
	s_waitcnt_depctr 0xfff
	v_fma_f64 v[22:23], -v[10:11], v[12:13], 1.0
	v_fma_f64 v[12:13], v[12:13], v[22:23], v[12:13]
	s_delay_alu instid0(VALU_DEP_1) | instskip(NEXT) | instid1(VALU_DEP_1)
	v_fma_f64 v[22:23], -v[10:11], v[12:13], 1.0
	v_fma_f64 v[12:13], v[12:13], v[22:23], v[12:13]
	s_delay_alu instid0(VALU_DEP_1) | instskip(NEXT) | instid1(VALU_DEP_1)
	v_mul_f64 v[22:23], v[24:25], v[12:13]
	v_fma_f64 v[10:11], -v[10:11], v[22:23], v[24:25]
                                        ; implicit-def: $vgpr24_vgpr25
	s_delay_alu instid0(VALU_DEP_1) | instskip(SKIP_2) | instid1(VALU_DEP_3)
	v_div_fmas_f64 v[10:11], v[10:11], v[12:13], v[22:23]
	v_fma_f64 v[12:13], v[2:3], 0, 1.0
	v_add_f64 v[2:3], -v[2:3], 0
	v_div_fixup_f64 v[4:5], v[10:11], v[4:5], 1.0
	s_delay_alu instid0(VALU_DEP_1) | instskip(NEXT) | instid1(VALU_DEP_3)
	v_mul_f64 v[10:11], v[12:13], v[4:5]
	v_mul_f64 v[12:13], v[2:3], v[4:5]
                                        ; implicit-def: $vgpr2_vgpr3
.LBB296_316:                            ;   in Loop: Header=BB296_169 Depth=1
	s_and_not1_saveexec_b32 s11, s4
	s_cbranch_execz .LBB296_318
; %bb.317:                              ;   in Loop: Header=BB296_169 Depth=1
	v_div_scale_f64 v[4:5], null, v[2:3], v[2:3], 1.0
	v_div_scale_f64 v[10:11], null, v[24:25], v[24:25], 0
	v_div_scale_f64 v[46:47], vcc_lo, 1.0, v[2:3], 1.0
	s_delay_alu instid0(VALU_DEP_3) | instskip(NEXT) | instid1(VALU_DEP_2)
	v_rcp_f64_e32 v[12:13], v[4:5]
	v_rcp_f64_e32 v[22:23], v[10:11]
	s_waitcnt_depctr 0xfff
	v_fma_f64 v[42:43], -v[4:5], v[12:13], 1.0
	v_fma_f64 v[44:45], -v[10:11], v[22:23], 1.0
	s_delay_alu instid0(VALU_DEP_2) | instskip(NEXT) | instid1(VALU_DEP_2)
	v_fma_f64 v[12:13], v[12:13], v[42:43], v[12:13]
	v_fma_f64 v[22:23], v[22:23], v[44:45], v[22:23]
	s_delay_alu instid0(VALU_DEP_2) | instskip(NEXT) | instid1(VALU_DEP_2)
	v_fma_f64 v[42:43], -v[4:5], v[12:13], 1.0
	v_fma_f64 v[44:45], -v[10:11], v[22:23], 1.0
	s_delay_alu instid0(VALU_DEP_2) | instskip(SKIP_1) | instid1(VALU_DEP_3)
	v_fma_f64 v[12:13], v[12:13], v[42:43], v[12:13]
	v_div_scale_f64 v[42:43], s4, 0, v[24:25], 0
	v_fma_f64 v[22:23], v[22:23], v[44:45], v[22:23]
	s_delay_alu instid0(VALU_DEP_3) | instskip(NEXT) | instid1(VALU_DEP_2)
	v_mul_f64 v[44:45], v[46:47], v[12:13]
	v_mul_f64 v[48:49], v[42:43], v[22:23]
	s_delay_alu instid0(VALU_DEP_2) | instskip(NEXT) | instid1(VALU_DEP_2)
	v_fma_f64 v[4:5], -v[4:5], v[44:45], v[46:47]
	v_fma_f64 v[10:11], -v[10:11], v[48:49], v[42:43]
	s_delay_alu instid0(VALU_DEP_2) | instskip(SKIP_1) | instid1(VALU_DEP_2)
	v_div_fmas_f64 v[4:5], v[4:5], v[12:13], v[44:45]
	s_mov_b32 vcc_lo, s4
	v_div_fmas_f64 v[12:13], v[10:11], v[22:23], v[48:49]
	s_delay_alu instid0(VALU_DEP_2) | instskip(NEXT) | instid1(VALU_DEP_2)
	v_div_fixup_f64 v[10:11], v[4:5], v[2:3], 1.0
	v_div_fixup_f64 v[12:13], v[12:13], v[24:25], 0
.LBB296_318:                            ;   in Loop: Header=BB296_169 Depth=1
	s_or_b32 exec_lo, exec_lo, s11
                                        ; implicit-def: $vgpr4_vgpr5
                                        ; implicit-def: $vgpr22_vgpr23
	s_and_not1_saveexec_b32 s4, s5
	s_cbranch_execz .LBB296_310
.LBB296_319:                            ;   in Loop: Header=BB296_169 Depth=1
	v_div_scale_f64 v[2:3], null, v[4:5], v[4:5], v[22:23]
	v_div_scale_f64 v[24:25], vcc_lo, v[22:23], v[4:5], v[22:23]
	s_delay_alu instid0(VALU_DEP_2) | instskip(SKIP_2) | instid1(VALU_DEP_1)
	v_rcp_f64_e32 v[10:11], v[2:3]
	s_waitcnt_depctr 0xfff
	v_fma_f64 v[12:13], -v[2:3], v[10:11], 1.0
	v_fma_f64 v[10:11], v[10:11], v[12:13], v[10:11]
	s_delay_alu instid0(VALU_DEP_1) | instskip(NEXT) | instid1(VALU_DEP_1)
	v_fma_f64 v[12:13], -v[2:3], v[10:11], 1.0
	v_fma_f64 v[10:11], v[10:11], v[12:13], v[10:11]
	s_delay_alu instid0(VALU_DEP_1) | instskip(NEXT) | instid1(VALU_DEP_1)
	v_mul_f64 v[12:13], v[24:25], v[10:11]
	v_fma_f64 v[2:3], -v[2:3], v[12:13], v[24:25]
	s_delay_alu instid0(VALU_DEP_1) | instskip(NEXT) | instid1(VALU_DEP_1)
	v_div_fmas_f64 v[2:3], v[2:3], v[10:11], v[12:13]
	v_div_fixup_f64 v[2:3], v[2:3], v[4:5], v[22:23]
	s_delay_alu instid0(VALU_DEP_1) | instskip(NEXT) | instid1(VALU_DEP_1)
	v_fma_f64 v[4:5], v[22:23], v[2:3], v[4:5]
	v_div_scale_f64 v[10:11], null, v[4:5], v[4:5], 1.0
	v_div_scale_f64 v[24:25], vcc_lo, 1.0, v[4:5], 1.0
	s_delay_alu instid0(VALU_DEP_2) | instskip(SKIP_2) | instid1(VALU_DEP_1)
	v_rcp_f64_e32 v[12:13], v[10:11]
	s_waitcnt_depctr 0xfff
	v_fma_f64 v[22:23], -v[10:11], v[12:13], 1.0
	v_fma_f64 v[12:13], v[12:13], v[22:23], v[12:13]
	s_delay_alu instid0(VALU_DEP_1) | instskip(NEXT) | instid1(VALU_DEP_1)
	v_fma_f64 v[22:23], -v[10:11], v[12:13], 1.0
	v_fma_f64 v[12:13], v[12:13], v[22:23], v[12:13]
	s_delay_alu instid0(VALU_DEP_1) | instskip(NEXT) | instid1(VALU_DEP_1)
	v_mul_f64 v[22:23], v[24:25], v[12:13]
	v_fma_f64 v[10:11], -v[10:11], v[22:23], v[24:25]
	s_delay_alu instid0(VALU_DEP_1) | instskip(SKIP_2) | instid1(VALU_DEP_3)
	v_div_fmas_f64 v[10:11], v[10:11], v[12:13], v[22:23]
	v_add_f64 v[12:13], v[2:3], 0
	v_fma_f64 v[2:3], v[2:3], 0, -1.0
	v_div_fixup_f64 v[4:5], v[10:11], v[4:5], 1.0
	s_delay_alu instid0(VALU_DEP_1) | instskip(NEXT) | instid1(VALU_DEP_3)
	v_mul_f64 v[10:11], v[12:13], v[4:5]
	v_mul_f64 v[12:13], v[2:3], v[4:5]
	s_or_b32 exec_lo, exec_lo, s4
	s_and_saveexec_b32 s4, s0
	s_delay_alu instid0(SALU_CYCLE_1)
	s_xor_b32 s0, exec_lo, s4
	s_cbranch_execz .LBB296_311
.LBB296_320:                            ;   in Loop: Header=BB296_169 Depth=1
	v_add_co_u32 v2, vcc_lo, v28, s6
	v_add_co_ci_u32_e32 v3, vcc_lo, s7, v29, vcc_lo
	global_store_b128 v[2:3], v[6:9], off offset:-8
	s_or_b32 exec_lo, exec_lo, s0
	s_and_saveexec_b32 s0, s1
	s_cbranch_execz .LBB296_312
.LBB296_321:                            ;   in Loop: Header=BB296_169 Depth=1
	v_add_co_u32 v2, vcc_lo, v30, s6
	v_add_co_ci_u32_e32 v3, vcc_lo, s7, v31, vcc_lo
	global_store_b128 v[2:3], v[14:17], off
	s_or_b32 exec_lo, exec_lo, s0
	s_and_saveexec_b32 s0, s2
	s_cbranch_execz .LBB296_313
.LBB296_322:                            ;   in Loop: Header=BB296_169 Depth=1
	v_add_co_u32 v2, vcc_lo, v40, s6
	v_add_co_ci_u32_e32 v3, vcc_lo, s7, v41, vcc_lo
	global_store_b128 v[2:3], v[18:21], off offset:-8
	s_or_b32 exec_lo, exec_lo, s0
	s_and_saveexec_b32 s0, s3
	s_cbranch_execz .LBB296_168
.LBB296_323:                            ;   in Loop: Header=BB296_169 Depth=1
	v_add_co_u32 v2, vcc_lo, v36, s6
	v_add_co_ci_u32_e32 v3, vcc_lo, s7, v37, vcc_lo
	global_store_b128 v[2:3], v[10:13], off offset:-8
	s_branch .LBB296_168
.LBB296_324:                            ;   in Loop: Header=BB296_169 Depth=1
	s_or_b32 exec_lo, exec_lo, s4
	s_and_not1_saveexec_b32 s4, s25
	s_cbranch_execnz .LBB296_200
	s_branch .LBB296_201
.LBB296_325:                            ;   in Loop: Header=BB296_169 Depth=1
	s_delay_alu instid0(VALU_DEP_1) | instskip(NEXT) | instid1(VALU_DEP_1)
	v_add_f64 v[6:7], v[20:21], v[6:7]
	v_mul_f64 v[6:7], v[6:7], 0.5
	s_delay_alu instid0(VALU_DEP_1) | instskip(SKIP_1) | instid1(VALU_DEP_1)
	v_cmp_gt_f64_e32 vcc_lo, 0x10000000, v[6:7]
	v_cndmask_b32_e64 v8, 0, 1, vcc_lo
	v_lshlrev_b32_e32 v8, 8, v8
	s_delay_alu instid0(VALU_DEP_1) | instskip(NEXT) | instid1(VALU_DEP_1)
	v_ldexp_f64 v[6:7], v[6:7], v8
	v_rsq_f64_e32 v[8:9], v[6:7]
	s_waitcnt_depctr 0xfff
	v_mul_f64 v[14:15], v[6:7], v[8:9]
	v_mul_f64 v[8:9], v[8:9], 0.5
	s_delay_alu instid0(VALU_DEP_1) | instskip(NEXT) | instid1(VALU_DEP_1)
	v_fma_f64 v[20:21], -v[8:9], v[14:15], 0.5
	v_fma_f64 v[14:15], v[14:15], v[20:21], v[14:15]
	v_fma_f64 v[8:9], v[8:9], v[20:21], v[8:9]
	s_delay_alu instid0(VALU_DEP_2) | instskip(NEXT) | instid1(VALU_DEP_1)
	v_fma_f64 v[20:21], -v[14:15], v[14:15], v[6:7]
	v_fma_f64 v[14:15], v[20:21], v[8:9], v[14:15]
	s_delay_alu instid0(VALU_DEP_1) | instskip(NEXT) | instid1(VALU_DEP_1)
	v_fma_f64 v[20:21], -v[14:15], v[14:15], v[6:7]
	v_fma_f64 v[8:9], v[20:21], v[8:9], v[14:15]
	v_cndmask_b32_e64 v14, 0, 0xffffff80, vcc_lo
	v_cmp_class_f64_e64 vcc_lo, v[6:7], 0x260
	s_delay_alu instid0(VALU_DEP_2) | instskip(NEXT) | instid1(VALU_DEP_1)
	v_ldexp_f64 v[8:9], v[8:9], v14
	v_dual_cndmask_b32 v21, v9, v7 :: v_dual_cndmask_b32 v20, v8, v6
	s_delay_alu instid0(VALU_DEP_1) | instskip(NEXT) | instid1(VALU_DEP_1)
	v_add_f64 v[6:7], v[20:21], v[20:21]
	v_div_scale_f64 v[8:9], null, v[6:7], v[6:7], v[22:23]
	s_delay_alu instid0(VALU_DEP_1) | instskip(SKIP_2) | instid1(VALU_DEP_1)
	v_rcp_f64_e32 v[14:15], v[8:9]
	s_waitcnt_depctr 0xfff
	v_fma_f64 v[24:25], -v[8:9], v[14:15], 1.0
	v_fma_f64 v[14:15], v[14:15], v[24:25], v[14:15]
	s_delay_alu instid0(VALU_DEP_1) | instskip(NEXT) | instid1(VALU_DEP_1)
	v_fma_f64 v[24:25], -v[8:9], v[14:15], 1.0
	v_fma_f64 v[14:15], v[14:15], v[24:25], v[14:15]
	v_div_scale_f64 v[24:25], vcc_lo, v[22:23], v[6:7], v[22:23]
	s_delay_alu instid0(VALU_DEP_1) | instskip(NEXT) | instid1(VALU_DEP_1)
	v_mul_f64 v[42:43], v[24:25], v[14:15]
	v_fma_f64 v[8:9], -v[8:9], v[42:43], v[24:25]
	s_delay_alu instid0(VALU_DEP_1) | instskip(NEXT) | instid1(VALU_DEP_1)
	v_div_fmas_f64 v[8:9], v[8:9], v[14:15], v[42:43]
	v_div_fixup_f64 v[22:23], v[8:9], v[6:7], v[22:23]
                                        ; implicit-def: $vgpr6_vgpr7
	s_and_not1_saveexec_b32 s5, s5
	s_cbranch_execz .LBB296_189
.LBB296_326:                            ;   in Loop: Header=BB296_169 Depth=1
	v_add_f64 v[6:7], v[6:7], -v[20:21]
	s_delay_alu instid0(VALU_DEP_1) | instskip(NEXT) | instid1(VALU_DEP_1)
	v_mul_f64 v[6:7], v[6:7], 0.5
	v_cmp_gt_f64_e32 vcc_lo, 0x10000000, v[6:7]
	v_cndmask_b32_e64 v8, 0, 1, vcc_lo
	s_delay_alu instid0(VALU_DEP_1) | instskip(NEXT) | instid1(VALU_DEP_1)
	v_lshlrev_b32_e32 v8, 8, v8
	v_ldexp_f64 v[6:7], v[6:7], v8
	s_delay_alu instid0(VALU_DEP_1) | instskip(SKIP_3) | instid1(VALU_DEP_1)
	v_rsq_f64_e32 v[8:9], v[6:7]
	s_waitcnt_depctr 0xfff
	v_mul_f64 v[14:15], v[6:7], v[8:9]
	v_mul_f64 v[8:9], v[8:9], 0.5
	v_fma_f64 v[20:21], -v[8:9], v[14:15], 0.5
	s_delay_alu instid0(VALU_DEP_1) | instskip(SKIP_1) | instid1(VALU_DEP_2)
	v_fma_f64 v[14:15], v[14:15], v[20:21], v[14:15]
	v_fma_f64 v[8:9], v[8:9], v[20:21], v[8:9]
	v_fma_f64 v[20:21], -v[14:15], v[14:15], v[6:7]
	s_delay_alu instid0(VALU_DEP_1) | instskip(NEXT) | instid1(VALU_DEP_1)
	v_fma_f64 v[14:15], v[20:21], v[8:9], v[14:15]
	v_fma_f64 v[20:21], -v[14:15], v[14:15], v[6:7]
	s_delay_alu instid0(VALU_DEP_1) | instskip(SKIP_3) | instid1(VALU_DEP_3)
	v_fma_f64 v[8:9], v[20:21], v[8:9], v[14:15]
	v_cndmask_b32_e64 v14, 0, 0xffffff80, vcc_lo
	v_cmp_class_f64_e64 vcc_lo, v[6:7], 0x260
	v_and_b32_e32 v15, 0x7fffffff, v23
	v_ldexp_f64 v[8:9], v[8:9], v14
	s_delay_alu instid0(VALU_DEP_1) | instskip(NEXT) | instid1(VALU_DEP_1)
	v_dual_cndmask_b32 v7, v9, v7 :: v_dual_cndmask_b32 v6, v8, v6
	v_add_f64 v[8:9], v[6:7], v[6:7]
	v_bfi_b32 v7, 0x7fffffff, v7, v23
	v_mov_b32_e32 v14, v22
	s_delay_alu instid0(VALU_DEP_1) | instskip(SKIP_1) | instid1(VALU_DEP_2)
	v_div_scale_f64 v[20:21], null, v[8:9], v[8:9], v[14:15]
	v_div_scale_f64 v[14:15], vcc_lo, v[14:15], v[8:9], v[14:15]
	v_rcp_f64_e32 v[24:25], v[20:21]
	s_waitcnt_depctr 0xfff
	v_fma_f64 v[42:43], -v[20:21], v[24:25], 1.0
	s_delay_alu instid0(VALU_DEP_1) | instskip(NEXT) | instid1(VALU_DEP_1)
	v_fma_f64 v[24:25], v[24:25], v[42:43], v[24:25]
	v_fma_f64 v[42:43], -v[20:21], v[24:25], 1.0
	s_delay_alu instid0(VALU_DEP_1) | instskip(NEXT) | instid1(VALU_DEP_1)
	v_fma_f64 v[24:25], v[24:25], v[42:43], v[24:25]
	v_mul_f64 v[42:43], v[14:15], v[24:25]
	s_delay_alu instid0(VALU_DEP_1) | instskip(NEXT) | instid1(VALU_DEP_1)
	v_fma_f64 v[14:15], -v[20:21], v[42:43], v[14:15]
	v_div_fmas_f64 v[14:15], v[14:15], v[24:25], v[42:43]
	s_delay_alu instid0(VALU_DEP_1) | instskip(SKIP_3) | instid1(SALU_CYCLE_1)
	v_div_fixup_f64 v[20:21], v[14:15], v[8:9], |v[22:23]|
	v_dual_mov_b32 v23, v7 :: v_dual_mov_b32 v22, v6
	s_or_b32 exec_lo, exec_lo, s5
	s_and_saveexec_b32 s5, s4
	s_xor_b32 s4, exec_lo, s5
	s_cbranch_execz .LBB296_190
.LBB296_327:                            ;   in Loop: Header=BB296_169 Depth=1
	s_and_saveexec_b32 s5, s27
; %bb.328:                              ;   in Loop: Header=BB296_169 Depth=1
	s_delay_alu instid0(VALU_DEP_2) | instskip(NEXT) | instid1(VALU_DEP_2)
	v_mul_f64 v[20:21], v[20:21], 0.5
	v_mul_f64 v[22:23], v[22:23], 0.5
; %bb.329:                              ;   in Loop: Header=BB296_169 Depth=1
	s_or_b32 exec_lo, exec_lo, s5
	s_and_not1_saveexec_b32 s4, s4
	s_cbranch_execnz .LBB296_191
	s_branch .LBB296_192
.LBB296_330:                            ;   in Loop: Header=BB296_169 Depth=1
	s_delay_alu instid0(VALU_DEP_1) | instskip(NEXT) | instid1(VALU_DEP_1)
	v_add_f64 v[14:15], v[16:17], v[14:15]
	v_mul_f64 v[14:15], v[14:15], 0.5
	s_delay_alu instid0(VALU_DEP_1) | instskip(SKIP_1) | instid1(VALU_DEP_1)
	v_cmp_gt_f64_e32 vcc_lo, 0x10000000, v[14:15]
	v_cndmask_b32_e64 v16, 0, 1, vcc_lo
	v_lshlrev_b32_e32 v16, 8, v16
	s_delay_alu instid0(VALU_DEP_1) | instskip(NEXT) | instid1(VALU_DEP_1)
	v_ldexp_f64 v[14:15], v[14:15], v16
	v_rsq_f64_e32 v[16:17], v[14:15]
	s_waitcnt_depctr 0xfff
	v_mul_f64 v[20:21], v[14:15], v[16:17]
	v_mul_f64 v[16:17], v[16:17], 0.5
	s_delay_alu instid0(VALU_DEP_1) | instskip(NEXT) | instid1(VALU_DEP_1)
	v_fma_f64 v[22:23], -v[16:17], v[20:21], 0.5
	v_fma_f64 v[20:21], v[20:21], v[22:23], v[20:21]
	v_fma_f64 v[16:17], v[16:17], v[22:23], v[16:17]
	s_delay_alu instid0(VALU_DEP_2) | instskip(NEXT) | instid1(VALU_DEP_1)
	v_fma_f64 v[22:23], -v[20:21], v[20:21], v[14:15]
	v_fma_f64 v[20:21], v[22:23], v[16:17], v[20:21]
	s_delay_alu instid0(VALU_DEP_1) | instskip(NEXT) | instid1(VALU_DEP_1)
	v_fma_f64 v[22:23], -v[20:21], v[20:21], v[14:15]
	v_fma_f64 v[16:17], v[22:23], v[16:17], v[20:21]
	v_cndmask_b32_e64 v20, 0, 0xffffff80, vcc_lo
	v_cmp_class_f64_e64 vcc_lo, v[14:15], 0x260
	s_delay_alu instid0(VALU_DEP_2) | instskip(NEXT) | instid1(VALU_DEP_1)
	v_ldexp_f64 v[16:17], v[16:17], v20
	v_dual_cndmask_b32 v17, v17, v15 :: v_dual_cndmask_b32 v16, v16, v14
	s_delay_alu instid0(VALU_DEP_1) | instskip(NEXT) | instid1(VALU_DEP_1)
	v_add_f64 v[14:15], v[16:17], v[16:17]
	v_div_scale_f64 v[20:21], null, v[14:15], v[14:15], v[18:19]
	s_delay_alu instid0(VALU_DEP_1) | instskip(SKIP_2) | instid1(VALU_DEP_1)
	v_rcp_f64_e32 v[22:23], v[20:21]
	s_waitcnt_depctr 0xfff
	v_fma_f64 v[24:25], -v[20:21], v[22:23], 1.0
	v_fma_f64 v[22:23], v[22:23], v[24:25], v[22:23]
	s_delay_alu instid0(VALU_DEP_1) | instskip(NEXT) | instid1(VALU_DEP_1)
	v_fma_f64 v[24:25], -v[20:21], v[22:23], 1.0
	v_fma_f64 v[22:23], v[22:23], v[24:25], v[22:23]
	v_div_scale_f64 v[24:25], vcc_lo, v[18:19], v[14:15], v[18:19]
	s_delay_alu instid0(VALU_DEP_1) | instskip(NEXT) | instid1(VALU_DEP_1)
	v_mul_f64 v[42:43], v[24:25], v[22:23]
	v_fma_f64 v[20:21], -v[20:21], v[42:43], v[24:25]
	s_delay_alu instid0(VALU_DEP_1) | instskip(NEXT) | instid1(VALU_DEP_1)
	v_div_fmas_f64 v[20:21], v[20:21], v[22:23], v[42:43]
	v_div_fixup_f64 v[18:19], v[20:21], v[14:15], v[18:19]
                                        ; implicit-def: $vgpr14_vgpr15
	s_and_not1_saveexec_b32 s5, s5
	s_cbranch_execz .LBB296_223
.LBB296_331:                            ;   in Loop: Header=BB296_169 Depth=1
	v_add_f64 v[14:15], v[14:15], -v[16:17]
	s_delay_alu instid0(VALU_DEP_1) | instskip(NEXT) | instid1(VALU_DEP_1)
	v_mul_f64 v[14:15], v[14:15], 0.5
	v_cmp_gt_f64_e32 vcc_lo, 0x10000000, v[14:15]
	v_cndmask_b32_e64 v16, 0, 1, vcc_lo
	s_delay_alu instid0(VALU_DEP_1) | instskip(NEXT) | instid1(VALU_DEP_1)
	v_lshlrev_b32_e32 v16, 8, v16
	v_ldexp_f64 v[14:15], v[14:15], v16
	s_delay_alu instid0(VALU_DEP_1) | instskip(SKIP_3) | instid1(VALU_DEP_1)
	v_rsq_f64_e32 v[16:17], v[14:15]
	s_waitcnt_depctr 0xfff
	v_mul_f64 v[20:21], v[14:15], v[16:17]
	v_mul_f64 v[16:17], v[16:17], 0.5
	v_fma_f64 v[22:23], -v[16:17], v[20:21], 0.5
	s_delay_alu instid0(VALU_DEP_1) | instskip(SKIP_1) | instid1(VALU_DEP_2)
	v_fma_f64 v[20:21], v[20:21], v[22:23], v[20:21]
	v_fma_f64 v[16:17], v[16:17], v[22:23], v[16:17]
	v_fma_f64 v[22:23], -v[20:21], v[20:21], v[14:15]
	s_delay_alu instid0(VALU_DEP_1) | instskip(NEXT) | instid1(VALU_DEP_1)
	v_fma_f64 v[20:21], v[22:23], v[16:17], v[20:21]
	v_fma_f64 v[22:23], -v[20:21], v[20:21], v[14:15]
	s_delay_alu instid0(VALU_DEP_1) | instskip(SKIP_3) | instid1(VALU_DEP_3)
	v_fma_f64 v[16:17], v[22:23], v[16:17], v[20:21]
	v_cndmask_b32_e64 v20, 0, 0xffffff80, vcc_lo
	v_cmp_class_f64_e64 vcc_lo, v[14:15], 0x260
	v_and_b32_e32 v21, 0x7fffffff, v19
	v_ldexp_f64 v[16:17], v[16:17], v20
	s_delay_alu instid0(VALU_DEP_1) | instskip(NEXT) | instid1(VALU_DEP_1)
	v_dual_cndmask_b32 v15, v17, v15 :: v_dual_cndmask_b32 v14, v16, v14
	v_add_f64 v[16:17], v[14:15], v[14:15]
	v_bfi_b32 v15, 0x7fffffff, v15, v19
	v_mov_b32_e32 v20, v18
	s_delay_alu instid0(VALU_DEP_1) | instskip(SKIP_1) | instid1(VALU_DEP_2)
	v_div_scale_f64 v[22:23], null, v[16:17], v[16:17], v[20:21]
	v_div_scale_f64 v[20:21], vcc_lo, v[20:21], v[16:17], v[20:21]
	v_rcp_f64_e32 v[24:25], v[22:23]
	s_waitcnt_depctr 0xfff
	v_fma_f64 v[42:43], -v[22:23], v[24:25], 1.0
	s_delay_alu instid0(VALU_DEP_1) | instskip(NEXT) | instid1(VALU_DEP_1)
	v_fma_f64 v[24:25], v[24:25], v[42:43], v[24:25]
	v_fma_f64 v[42:43], -v[22:23], v[24:25], 1.0
	s_delay_alu instid0(VALU_DEP_1) | instskip(NEXT) | instid1(VALU_DEP_1)
	v_fma_f64 v[24:25], v[24:25], v[42:43], v[24:25]
	v_mul_f64 v[42:43], v[20:21], v[24:25]
	s_delay_alu instid0(VALU_DEP_1) | instskip(NEXT) | instid1(VALU_DEP_1)
	v_fma_f64 v[20:21], -v[22:23], v[42:43], v[20:21]
	v_div_fmas_f64 v[20:21], v[20:21], v[24:25], v[42:43]
	s_delay_alu instid0(VALU_DEP_1) | instskip(SKIP_3) | instid1(SALU_CYCLE_1)
	v_div_fixup_f64 v[16:17], v[20:21], v[16:17], |v[18:19]|
	v_dual_mov_b32 v19, v15 :: v_dual_mov_b32 v18, v14
	s_or_b32 exec_lo, exec_lo, s5
	s_and_saveexec_b32 s5, s4
	s_xor_b32 s4, exec_lo, s5
	s_cbranch_execz .LBB296_224
.LBB296_332:                            ;   in Loop: Header=BB296_169 Depth=1
	s_and_saveexec_b32 s5, s27
; %bb.333:                              ;   in Loop: Header=BB296_169 Depth=1
	s_delay_alu instid0(VALU_DEP_2) | instskip(NEXT) | instid1(VALU_DEP_2)
	v_mul_f64 v[16:17], v[16:17], 0.5
	v_mul_f64 v[18:19], v[18:19], 0.5
; %bb.334:                              ;   in Loop: Header=BB296_169 Depth=1
	s_or_b32 exec_lo, exec_lo, s5
	s_and_not1_saveexec_b32 s4, s4
	s_cbranch_execnz .LBB296_225
	s_branch .LBB296_226
.LBB296_335:                            ;   in Loop: Header=BB296_169 Depth=1
	s_delay_alu instid0(VALU_DEP_1) | instskip(NEXT) | instid1(VALU_DEP_1)
	v_add_f64 v[10:11], v[10:11], v[18:19]
	v_mul_f64 v[10:11], v[10:11], 0.5
	s_delay_alu instid0(VALU_DEP_1) | instskip(SKIP_1) | instid1(VALU_DEP_1)
	v_cmp_gt_f64_e32 vcc_lo, 0x10000000, v[10:11]
	v_cndmask_b32_e64 v18, 0, 1, vcc_lo
	v_lshlrev_b32_e32 v18, 8, v18
	s_delay_alu instid0(VALU_DEP_1) | instskip(NEXT) | instid1(VALU_DEP_1)
	v_ldexp_f64 v[10:11], v[10:11], v18
	v_rsq_f64_e32 v[18:19], v[10:11]
	s_waitcnt_depctr 0xfff
	v_mul_f64 v[20:21], v[10:11], v[18:19]
	v_mul_f64 v[18:19], v[18:19], 0.5
	s_delay_alu instid0(VALU_DEP_1) | instskip(NEXT) | instid1(VALU_DEP_1)
	v_fma_f64 v[22:23], -v[18:19], v[20:21], 0.5
	v_fma_f64 v[20:21], v[20:21], v[22:23], v[20:21]
	v_fma_f64 v[18:19], v[18:19], v[22:23], v[18:19]
	s_delay_alu instid0(VALU_DEP_2) | instskip(NEXT) | instid1(VALU_DEP_1)
	v_fma_f64 v[22:23], -v[20:21], v[20:21], v[10:11]
	v_fma_f64 v[20:21], v[22:23], v[18:19], v[20:21]
	s_delay_alu instid0(VALU_DEP_1) | instskip(NEXT) | instid1(VALU_DEP_1)
	v_fma_f64 v[22:23], -v[20:21], v[20:21], v[10:11]
	v_fma_f64 v[18:19], v[22:23], v[18:19], v[20:21]
	v_cndmask_b32_e64 v20, 0, 0xffffff80, vcc_lo
	v_cmp_class_f64_e64 vcc_lo, v[10:11], 0x260
	s_delay_alu instid0(VALU_DEP_2) | instskip(NEXT) | instid1(VALU_DEP_1)
	v_ldexp_f64 v[18:19], v[18:19], v20
	v_dual_cndmask_b32 v11, v19, v11 :: v_dual_cndmask_b32 v10, v18, v10
	s_delay_alu instid0(VALU_DEP_1) | instskip(NEXT) | instid1(VALU_DEP_1)
	v_add_f64 v[18:19], v[10:11], v[10:11]
	v_div_scale_f64 v[20:21], null, v[18:19], v[18:19], v[12:13]
	s_delay_alu instid0(VALU_DEP_1) | instskip(SKIP_2) | instid1(VALU_DEP_1)
	v_rcp_f64_e32 v[22:23], v[20:21]
	s_waitcnt_depctr 0xfff
	v_fma_f64 v[24:25], -v[20:21], v[22:23], 1.0
	v_fma_f64 v[22:23], v[22:23], v[24:25], v[22:23]
	s_delay_alu instid0(VALU_DEP_1) | instskip(NEXT) | instid1(VALU_DEP_1)
	v_fma_f64 v[24:25], -v[20:21], v[22:23], 1.0
	v_fma_f64 v[22:23], v[22:23], v[24:25], v[22:23]
	v_div_scale_f64 v[24:25], vcc_lo, v[12:13], v[18:19], v[12:13]
	s_delay_alu instid0(VALU_DEP_1) | instskip(NEXT) | instid1(VALU_DEP_1)
	v_mul_f64 v[42:43], v[24:25], v[22:23]
	v_fma_f64 v[20:21], -v[20:21], v[42:43], v[24:25]
	s_delay_alu instid0(VALU_DEP_1) | instskip(NEXT) | instid1(VALU_DEP_1)
	v_div_fmas_f64 v[20:21], v[20:21], v[22:23], v[42:43]
	v_div_fixup_f64 v[12:13], v[20:21], v[18:19], v[12:13]
                                        ; implicit-def: $vgpr18_vgpr19
	s_and_not1_saveexec_b32 s5, s5
	s_cbranch_execz .LBB296_258
.LBB296_336:                            ;   in Loop: Header=BB296_169 Depth=1
	v_add_f64 v[10:11], v[18:19], -v[10:11]
	s_delay_alu instid0(VALU_DEP_1) | instskip(NEXT) | instid1(VALU_DEP_1)
	v_mul_f64 v[10:11], v[10:11], 0.5
	v_cmp_gt_f64_e32 vcc_lo, 0x10000000, v[10:11]
	v_cndmask_b32_e64 v18, 0, 1, vcc_lo
	s_delay_alu instid0(VALU_DEP_1) | instskip(NEXT) | instid1(VALU_DEP_1)
	v_lshlrev_b32_e32 v18, 8, v18
	v_ldexp_f64 v[10:11], v[10:11], v18
	s_delay_alu instid0(VALU_DEP_1) | instskip(SKIP_3) | instid1(VALU_DEP_1)
	v_rsq_f64_e32 v[18:19], v[10:11]
	s_waitcnt_depctr 0xfff
	v_mul_f64 v[20:21], v[10:11], v[18:19]
	v_mul_f64 v[18:19], v[18:19], 0.5
	v_fma_f64 v[22:23], -v[18:19], v[20:21], 0.5
	s_delay_alu instid0(VALU_DEP_1) | instskip(SKIP_1) | instid1(VALU_DEP_2)
	v_fma_f64 v[20:21], v[20:21], v[22:23], v[20:21]
	v_fma_f64 v[18:19], v[18:19], v[22:23], v[18:19]
	v_fma_f64 v[22:23], -v[20:21], v[20:21], v[10:11]
	s_delay_alu instid0(VALU_DEP_1) | instskip(NEXT) | instid1(VALU_DEP_1)
	v_fma_f64 v[20:21], v[22:23], v[18:19], v[20:21]
	v_fma_f64 v[22:23], -v[20:21], v[20:21], v[10:11]
	s_delay_alu instid0(VALU_DEP_1) | instskip(SKIP_3) | instid1(VALU_DEP_3)
	v_fma_f64 v[18:19], v[22:23], v[18:19], v[20:21]
	v_cndmask_b32_e64 v20, 0, 0xffffff80, vcc_lo
	v_cmp_class_f64_e64 vcc_lo, v[10:11], 0x260
	v_and_b32_e32 v21, 0x7fffffff, v13
	v_ldexp_f64 v[18:19], v[18:19], v20
	s_delay_alu instid0(VALU_DEP_1) | instskip(NEXT) | instid1(VALU_DEP_1)
	v_dual_cndmask_b32 v19, v19, v11 :: v_dual_cndmask_b32 v18, v18, v10
	v_add_f64 v[10:11], v[18:19], v[18:19]
	v_bfi_b32 v19, 0x7fffffff, v19, v13
	v_mov_b32_e32 v20, v12
	s_delay_alu instid0(VALU_DEP_1) | instskip(SKIP_1) | instid1(VALU_DEP_2)
	v_div_scale_f64 v[22:23], null, v[10:11], v[10:11], v[20:21]
	v_div_scale_f64 v[20:21], vcc_lo, v[20:21], v[10:11], v[20:21]
	v_rcp_f64_e32 v[24:25], v[22:23]
	s_waitcnt_depctr 0xfff
	v_fma_f64 v[42:43], -v[22:23], v[24:25], 1.0
	s_delay_alu instid0(VALU_DEP_1) | instskip(NEXT) | instid1(VALU_DEP_1)
	v_fma_f64 v[24:25], v[24:25], v[42:43], v[24:25]
	v_fma_f64 v[42:43], -v[22:23], v[24:25], 1.0
	s_delay_alu instid0(VALU_DEP_1) | instskip(NEXT) | instid1(VALU_DEP_1)
	v_fma_f64 v[24:25], v[24:25], v[42:43], v[24:25]
	v_mul_f64 v[42:43], v[20:21], v[24:25]
	s_delay_alu instid0(VALU_DEP_1) | instskip(NEXT) | instid1(VALU_DEP_1)
	v_fma_f64 v[20:21], -v[22:23], v[42:43], v[20:21]
	v_div_fmas_f64 v[20:21], v[20:21], v[24:25], v[42:43]
	s_delay_alu instid0(VALU_DEP_1) | instskip(SKIP_3) | instid1(SALU_CYCLE_1)
	v_div_fixup_f64 v[10:11], v[20:21], v[10:11], |v[12:13]|
	v_dual_mov_b32 v12, v18 :: v_dual_mov_b32 v13, v19
	s_or_b32 exec_lo, exec_lo, s5
	s_and_saveexec_b32 s5, s4
	s_xor_b32 s4, exec_lo, s5
	s_cbranch_execz .LBB296_259
.LBB296_337:                            ;   in Loop: Header=BB296_169 Depth=1
	s_and_saveexec_b32 s5, s27
; %bb.338:                              ;   in Loop: Header=BB296_169 Depth=1
	s_delay_alu instid0(VALU_DEP_2) | instskip(NEXT) | instid1(VALU_DEP_2)
	v_mul_f64 v[10:11], v[10:11], 0.5
	v_mul_f64 v[12:13], v[12:13], 0.5
; %bb.339:                              ;   in Loop: Header=BB296_169 Depth=1
	s_or_b32 exec_lo, exec_lo, s5
	s_and_not1_saveexec_b32 s4, s4
	s_cbranch_execnz .LBB296_260
	s_branch .LBB296_261
.LBB296_340:                            ;   in Loop: Header=BB296_169 Depth=1
	s_delay_alu instid0(VALU_DEP_1) | instskip(NEXT) | instid1(VALU_DEP_1)
	v_add_f64 v[2:3], v[2:3], v[10:11]
	v_mul_f64 v[2:3], v[2:3], 0.5
	s_delay_alu instid0(VALU_DEP_1) | instskip(SKIP_1) | instid1(VALU_DEP_1)
	v_cmp_gt_f64_e32 vcc_lo, 0x10000000, v[2:3]
	v_cndmask_b32_e64 v10, 0, 1, vcc_lo
	v_lshlrev_b32_e32 v10, 8, v10
	s_delay_alu instid0(VALU_DEP_1) | instskip(NEXT) | instid1(VALU_DEP_1)
	v_ldexp_f64 v[2:3], v[2:3], v10
	v_rsq_f64_e32 v[10:11], v[2:3]
	s_waitcnt_depctr 0xfff
	v_mul_f64 v[12:13], v[2:3], v[10:11]
	v_mul_f64 v[10:11], v[10:11], 0.5
	s_delay_alu instid0(VALU_DEP_1) | instskip(NEXT) | instid1(VALU_DEP_1)
	v_fma_f64 v[22:23], -v[10:11], v[12:13], 0.5
	v_fma_f64 v[12:13], v[12:13], v[22:23], v[12:13]
	v_fma_f64 v[10:11], v[10:11], v[22:23], v[10:11]
	s_delay_alu instid0(VALU_DEP_2) | instskip(NEXT) | instid1(VALU_DEP_1)
	v_fma_f64 v[22:23], -v[12:13], v[12:13], v[2:3]
	v_fma_f64 v[12:13], v[22:23], v[10:11], v[12:13]
	s_delay_alu instid0(VALU_DEP_1) | instskip(NEXT) | instid1(VALU_DEP_1)
	v_fma_f64 v[22:23], -v[12:13], v[12:13], v[2:3]
	v_fma_f64 v[10:11], v[22:23], v[10:11], v[12:13]
	v_cndmask_b32_e64 v12, 0, 0xffffff80, vcc_lo
	v_cmp_class_f64_e64 vcc_lo, v[2:3], 0x260
	s_delay_alu instid0(VALU_DEP_2) | instskip(NEXT) | instid1(VALU_DEP_1)
	v_ldexp_f64 v[10:11], v[10:11], v12
	v_dual_cndmask_b32 v3, v11, v3 :: v_dual_cndmask_b32 v2, v10, v2
	s_delay_alu instid0(VALU_DEP_1) | instskip(NEXT) | instid1(VALU_DEP_1)
	v_add_f64 v[10:11], v[2:3], v[2:3]
	v_div_scale_f64 v[12:13], null, v[10:11], v[10:11], v[4:5]
	s_delay_alu instid0(VALU_DEP_1) | instskip(SKIP_2) | instid1(VALU_DEP_1)
	v_rcp_f64_e32 v[22:23], v[12:13]
	s_waitcnt_depctr 0xfff
	v_fma_f64 v[24:25], -v[12:13], v[22:23], 1.0
	v_fma_f64 v[22:23], v[22:23], v[24:25], v[22:23]
	s_delay_alu instid0(VALU_DEP_1) | instskip(NEXT) | instid1(VALU_DEP_1)
	v_fma_f64 v[24:25], -v[12:13], v[22:23], 1.0
	v_fma_f64 v[22:23], v[22:23], v[24:25], v[22:23]
	v_div_scale_f64 v[24:25], vcc_lo, v[4:5], v[10:11], v[4:5]
	s_delay_alu instid0(VALU_DEP_1) | instskip(NEXT) | instid1(VALU_DEP_1)
	v_mul_f64 v[42:43], v[24:25], v[22:23]
	v_fma_f64 v[12:13], -v[12:13], v[42:43], v[24:25]
	s_delay_alu instid0(VALU_DEP_1) | instskip(NEXT) | instid1(VALU_DEP_1)
	v_div_fmas_f64 v[12:13], v[12:13], v[22:23], v[42:43]
	v_div_fixup_f64 v[4:5], v[12:13], v[10:11], v[4:5]
                                        ; implicit-def: $vgpr10_vgpr11
	s_and_not1_saveexec_b32 s5, s5
	s_cbranch_execz .LBB296_293
.LBB296_341:                            ;   in Loop: Header=BB296_169 Depth=1
	v_add_f64 v[2:3], v[10:11], -v[2:3]
	s_delay_alu instid0(VALU_DEP_1) | instskip(NEXT) | instid1(VALU_DEP_1)
	v_mul_f64 v[2:3], v[2:3], 0.5
	v_cmp_gt_f64_e32 vcc_lo, 0x10000000, v[2:3]
	v_cndmask_b32_e64 v10, 0, 1, vcc_lo
	s_delay_alu instid0(VALU_DEP_1) | instskip(NEXT) | instid1(VALU_DEP_1)
	v_lshlrev_b32_e32 v10, 8, v10
	v_ldexp_f64 v[2:3], v[2:3], v10
	s_delay_alu instid0(VALU_DEP_1) | instskip(SKIP_3) | instid1(VALU_DEP_1)
	v_rsq_f64_e32 v[10:11], v[2:3]
	s_waitcnt_depctr 0xfff
	v_mul_f64 v[12:13], v[2:3], v[10:11]
	v_mul_f64 v[10:11], v[10:11], 0.5
	v_fma_f64 v[22:23], -v[10:11], v[12:13], 0.5
	s_delay_alu instid0(VALU_DEP_1) | instskip(SKIP_1) | instid1(VALU_DEP_2)
	v_fma_f64 v[12:13], v[12:13], v[22:23], v[12:13]
	v_fma_f64 v[10:11], v[10:11], v[22:23], v[10:11]
	v_fma_f64 v[22:23], -v[12:13], v[12:13], v[2:3]
	s_delay_alu instid0(VALU_DEP_1) | instskip(NEXT) | instid1(VALU_DEP_1)
	v_fma_f64 v[12:13], v[22:23], v[10:11], v[12:13]
	v_fma_f64 v[22:23], -v[12:13], v[12:13], v[2:3]
	s_delay_alu instid0(VALU_DEP_1) | instskip(SKIP_3) | instid1(VALU_DEP_3)
	v_fma_f64 v[10:11], v[22:23], v[10:11], v[12:13]
	v_cndmask_b32_e64 v12, 0, 0xffffff80, vcc_lo
	v_cmp_class_f64_e64 vcc_lo, v[2:3], 0x260
	v_and_b32_e32 v13, 0x7fffffff, v5
	v_ldexp_f64 v[10:11], v[10:11], v12
	s_delay_alu instid0(VALU_DEP_1) | instskip(NEXT) | instid1(VALU_DEP_1)
	v_dual_cndmask_b32 v11, v11, v3 :: v_dual_cndmask_b32 v10, v10, v2
	v_add_f64 v[2:3], v[10:11], v[10:11]
	v_bfi_b32 v11, 0x7fffffff, v11, v5
	v_mov_b32_e32 v12, v4
	s_delay_alu instid0(VALU_DEP_1) | instskip(SKIP_1) | instid1(VALU_DEP_2)
	v_div_scale_f64 v[22:23], null, v[2:3], v[2:3], v[12:13]
	v_div_scale_f64 v[12:13], vcc_lo, v[12:13], v[2:3], v[12:13]
	v_rcp_f64_e32 v[24:25], v[22:23]
	s_waitcnt_depctr 0xfff
	v_fma_f64 v[42:43], -v[22:23], v[24:25], 1.0
	s_delay_alu instid0(VALU_DEP_1) | instskip(NEXT) | instid1(VALU_DEP_1)
	v_fma_f64 v[24:25], v[24:25], v[42:43], v[24:25]
	v_fma_f64 v[42:43], -v[22:23], v[24:25], 1.0
	s_delay_alu instid0(VALU_DEP_1) | instskip(NEXT) | instid1(VALU_DEP_1)
	v_fma_f64 v[24:25], v[24:25], v[42:43], v[24:25]
	v_mul_f64 v[42:43], v[12:13], v[24:25]
	s_delay_alu instid0(VALU_DEP_1) | instskip(NEXT) | instid1(VALU_DEP_1)
	v_fma_f64 v[12:13], -v[22:23], v[42:43], v[12:13]
	v_div_fmas_f64 v[12:13], v[12:13], v[24:25], v[42:43]
	s_delay_alu instid0(VALU_DEP_1) | instskip(SKIP_3) | instid1(SALU_CYCLE_1)
	v_div_fixup_f64 v[2:3], v[12:13], v[2:3], |v[4:5]|
	v_dual_mov_b32 v4, v10 :: v_dual_mov_b32 v5, v11
	s_or_b32 exec_lo, exec_lo, s5
	s_and_saveexec_b32 s5, s4
	s_xor_b32 s4, exec_lo, s5
	s_cbranch_execz .LBB296_294
.LBB296_342:                            ;   in Loop: Header=BB296_169 Depth=1
	s_and_saveexec_b32 s5, s27
; %bb.343:                              ;   in Loop: Header=BB296_169 Depth=1
	s_delay_alu instid0(VALU_DEP_2) | instskip(NEXT) | instid1(VALU_DEP_2)
	v_mul_f64 v[2:3], v[2:3], 0.5
	v_mul_f64 v[4:5], v[4:5], 0.5
; %bb.344:                              ;   in Loop: Header=BB296_169 Depth=1
	s_or_b32 exec_lo, exec_lo, s5
	s_and_not1_saveexec_b32 s4, s4
	s_cbranch_execnz .LBB296_295
	s_branch .LBB296_296
.LBB296_345:
	s_nop 0
	s_sendmsg sendmsg(MSG_DEALLOC_VGPRS)
	s_endpgm
	.section	.rodata,"a",@progbits
	.p2align	6, 0x0
	.amdhsa_kernel _ZN2at6native12_GLOBAL__N_125multi_tensor_apply_kernelINS1_18TensorListMetadataILi2EEENS1_14UnaryOpFunctorIN3c107complexIdEELi2ELi1ELi1EEEJNS0_5RsqrtIS8_EEEEEvT_T0_DpT1_
		.amdhsa_group_segment_fixed_size 0
		.amdhsa_private_segment_fixed_size 0
		.amdhsa_kernarg_size 3408
		.amdhsa_user_sgpr_count 15
		.amdhsa_user_sgpr_dispatch_ptr 0
		.amdhsa_user_sgpr_queue_ptr 0
		.amdhsa_user_sgpr_kernarg_segment_ptr 1
		.amdhsa_user_sgpr_dispatch_id 0
		.amdhsa_user_sgpr_private_segment_size 0
		.amdhsa_wavefront_size32 1
		.amdhsa_uses_dynamic_stack 0
		.amdhsa_enable_private_segment 0
		.amdhsa_system_sgpr_workgroup_id_x 1
		.amdhsa_system_sgpr_workgroup_id_y 0
		.amdhsa_system_sgpr_workgroup_id_z 0
		.amdhsa_system_sgpr_workgroup_info 0
		.amdhsa_system_vgpr_workitem_id 0
		.amdhsa_next_free_vgpr 50
		.amdhsa_next_free_sgpr 31
		.amdhsa_reserve_vcc 1
		.amdhsa_float_round_mode_32 0
		.amdhsa_float_round_mode_16_64 0
		.amdhsa_float_denorm_mode_32 3
		.amdhsa_float_denorm_mode_16_64 3
		.amdhsa_dx10_clamp 1
		.amdhsa_ieee_mode 1
		.amdhsa_fp16_overflow 0
		.amdhsa_workgroup_processor_mode 1
		.amdhsa_memory_ordered 1
		.amdhsa_forward_progress 0
		.amdhsa_shared_vgpr_count 0
		.amdhsa_exception_fp_ieee_invalid_op 0
		.amdhsa_exception_fp_denorm_src 0
		.amdhsa_exception_fp_ieee_div_zero 0
		.amdhsa_exception_fp_ieee_overflow 0
		.amdhsa_exception_fp_ieee_underflow 0
		.amdhsa_exception_fp_ieee_inexact 0
		.amdhsa_exception_int_div_zero 0
	.end_amdhsa_kernel
	.section	.text._ZN2at6native12_GLOBAL__N_125multi_tensor_apply_kernelINS1_18TensorListMetadataILi2EEENS1_14UnaryOpFunctorIN3c107complexIdEELi2ELi1ELi1EEEJNS0_5RsqrtIS8_EEEEEvT_T0_DpT1_,"axG",@progbits,_ZN2at6native12_GLOBAL__N_125multi_tensor_apply_kernelINS1_18TensorListMetadataILi2EEENS1_14UnaryOpFunctorIN3c107complexIdEELi2ELi1ELi1EEEJNS0_5RsqrtIS8_EEEEEvT_T0_DpT1_,comdat
.Lfunc_end296:
	.size	_ZN2at6native12_GLOBAL__N_125multi_tensor_apply_kernelINS1_18TensorListMetadataILi2EEENS1_14UnaryOpFunctorIN3c107complexIdEELi2ELi1ELi1EEEJNS0_5RsqrtIS8_EEEEEvT_T0_DpT1_, .Lfunc_end296-_ZN2at6native12_GLOBAL__N_125multi_tensor_apply_kernelINS1_18TensorListMetadataILi2EEENS1_14UnaryOpFunctorIN3c107complexIdEELi2ELi1ELi1EEEJNS0_5RsqrtIS8_EEEEEvT_T0_DpT1_
                                        ; -- End function
	.section	.AMDGPU.csdata,"",@progbits
; Kernel info:
; codeLenInByte = 20796
; NumSgprs: 33
; NumVgprs: 50
; ScratchSize: 0
; MemoryBound: 1
; FloatMode: 240
; IeeeMode: 1
; LDSByteSize: 0 bytes/workgroup (compile time only)
; SGPRBlocks: 4
; VGPRBlocks: 6
; NumSGPRsForWavesPerEU: 33
; NumVGPRsForWavesPerEU: 50
; Occupancy: 16
; WaveLimiterHint : 0
; COMPUTE_PGM_RSRC2:SCRATCH_EN: 0
; COMPUTE_PGM_RSRC2:USER_SGPR: 15
; COMPUTE_PGM_RSRC2:TRAP_HANDLER: 0
; COMPUTE_PGM_RSRC2:TGID_X_EN: 1
; COMPUTE_PGM_RSRC2:TGID_Y_EN: 0
; COMPUTE_PGM_RSRC2:TGID_Z_EN: 0
; COMPUTE_PGM_RSRC2:TIDIG_COMP_CNT: 0
	.section	.text._ZN2at6native12_GLOBAL__N_125multi_tensor_apply_kernelINS1_18TensorListMetadataILi2EEENS1_14UnaryOpFunctorIN3c107complexIfEELi2ELi1ELi1EEEJNS0_5RsqrtIS8_EEEEEvT_T0_DpT1_,"axG",@progbits,_ZN2at6native12_GLOBAL__N_125multi_tensor_apply_kernelINS1_18TensorListMetadataILi2EEENS1_14UnaryOpFunctorIN3c107complexIfEELi2ELi1ELi1EEEJNS0_5RsqrtIS8_EEEEEvT_T0_DpT1_,comdat
	.globl	_ZN2at6native12_GLOBAL__N_125multi_tensor_apply_kernelINS1_18TensorListMetadataILi2EEENS1_14UnaryOpFunctorIN3c107complexIfEELi2ELi1ELi1EEEJNS0_5RsqrtIS8_EEEEEvT_T0_DpT1_ ; -- Begin function _ZN2at6native12_GLOBAL__N_125multi_tensor_apply_kernelINS1_18TensorListMetadataILi2EEENS1_14UnaryOpFunctorIN3c107complexIfEELi2ELi1ELi1EEEJNS0_5RsqrtIS8_EEEEEvT_T0_DpT1_
	.p2align	8
	.type	_ZN2at6native12_GLOBAL__N_125multi_tensor_apply_kernelINS1_18TensorListMetadataILi2EEENS1_14UnaryOpFunctorIN3c107complexIfEELi2ELi1ELi1EEEJNS0_5RsqrtIS8_EEEEEvT_T0_DpT1_,@function
_ZN2at6native12_GLOBAL__N_125multi_tensor_apply_kernelINS1_18TensorListMetadataILi2EEENS1_14UnaryOpFunctorIN3c107complexIfEELi2ELi1ELi1EEEJNS0_5RsqrtIS8_EEEEEvT_T0_DpT1_: ; @_ZN2at6native12_GLOBAL__N_125multi_tensor_apply_kernelINS1_18TensorListMetadataILi2EEENS1_14UnaryOpFunctorIN3c107complexIfEELi2ELi1ELi1EEEJNS0_5RsqrtIS8_EEEEEvT_T0_DpT1_
; %bb.0:
	v_mov_b32_e32 v1, s15
	s_add_u32 s2, s0, s15
	s_mul_hi_u32 s3, s15, 3
	s_mul_i32 s15, s15, 3
	s_addc_u32 s4, s1, 0
	global_load_u8 v1, v1, s[0:1] offset:1536
	s_add_u32 s2, s2, s15
	s_addc_u32 s3, s4, s3
	s_mov_b32 s17, 0
	s_load_b32 s2, s[2:3], 0x740
	s_mov_b32 s19, s17
	s_mov_b32 s21, s17
	s_waitcnt vmcnt(0)
	v_readfirstlane_b32 s5, v1
	s_delay_alu instid0(VALU_DEP_1)
	s_lshl_b32 s3, s5, 3
	s_clause 0x2
	s_load_b64 s[4:5], s[0:1], s3 offset:0x0
	s_load_b64 s[14:15], s[0:1], s3 offset:0x200
	;; [unrolled: 1-line block ×3, first 2 shown]
	s_waitcnt lgkmcnt(0)
	s_ashr_i32 s3, s2, 31
	s_delay_alu instid0(SALU_CYCLE_1) | instskip(NEXT) | instid1(SALU_CYCLE_1)
	s_lshl_b64 s[6:7], s[2:3], 19
	s_add_u32 s10, s4, s6
	s_addc_u32 s11, s5, s7
	s_add_u32 s12, s14, s6
	s_addc_u32 s13, s15, s7
	s_and_b32 s18, s10, 31
	s_and_b32 s20, s8, 3
	;; [unrolled: 1-line block ×3, first 2 shown]
	s_or_b64 s[18:19], s[18:19], s[20:21]
	s_lshl_b64 s[2:3], s[2:3], 16
	s_or_b64 s[16:17], s[16:17], s[18:19]
	s_sub_u32 s8, s8, s2
	s_subb_u32 s9, s9, s3
	s_cmp_eq_u64 s[16:17], 0
	s_mov_b32 s2, -1
	s_cbranch_scc0 .LBB297_157
; %bb.1:
	v_dual_mov_b32 v14, 0 :: v_dual_lshlrev_b32 v13, 2, v0
	s_mov_b32 s16, exec_lo
	s_delay_alu instid0(VALU_DEP_1)
	v_cmpx_gt_i64_e64 s[8:9], v[13:14]
	s_cbranch_execz .LBB297_156
; %bb.2:
	s_load_b32 s2, s[0:1], 0xc5c
	v_lshlrev_b32_e32 v15, 5, v0
	s_mov_b32 s17, 0
	s_waitcnt lgkmcnt(0)
	s_and_b32 s2, s2, 0xffff
	s_delay_alu instid0(SALU_CYCLE_1)
	v_add_lshl_u32 v13, v0, s2, 2
	s_lshl_b32 s18, s2, 2
	s_lshl_b32 s19, s2, 5
	s_branch .LBB297_4
.LBB297_3:                              ;   in Loop: Header=BB297_4 Depth=1
	s_or_b32 exec_lo, exec_lo, s2
	v_cmp_le_i64_e32 vcc_lo, s[8:9], v[13:14]
	v_cmp_lt_u64_e64 s2, 0xffff, v[13:14]
	v_add_co_u32 v1, s3, s12, v15
	s_delay_alu instid0(VALU_DEP_1)
	v_add_co_ci_u32_e64 v2, null, s13, 0, s3
	s_clause 0x1
	global_store_b128 v[1:2], v[5:8], off
	global_store_b128 v[1:2], v[9:12], off offset:16
	s_or_b32 s2, vcc_lo, s2
	s_add_u32 s10, s10, s19
	v_add_co_u32 v13, vcc_lo, v13, s18
	s_addc_u32 s11, s11, 0
	s_add_u32 s12, s12, s19
	v_add_co_ci_u32_e32 v14, vcc_lo, 0, v14, vcc_lo
	s_addc_u32 s13, s13, 0
	s_and_b32 s2, exec_lo, s2
	s_delay_alu instid0(SALU_CYCLE_1) | instskip(NEXT) | instid1(SALU_CYCLE_1)
	s_or_b32 s17, s2, s17
	s_and_not1_b32 exec_lo, exec_lo, s17
	s_cbranch_execz .LBB297_156
.LBB297_4:                              ; =>This Inner Loop Header: Depth=1
	v_add_co_u32 v1, s2, s10, v15
	s_delay_alu instid0(VALU_DEP_1)
	v_add_co_ci_u32_e64 v2, null, s11, 0, s2
	s_clause 0x1
	global_load_b128 v[6:9], v[1:2], off
	global_load_b128 v[1:4], v[1:2], off offset:16
	s_waitcnt vmcnt(1)
	v_dual_mov_b32 v11, 0 :: v_dual_mov_b32 v10, v7
	v_cmp_neq_f32_e32 vcc_lo, 0, v6
	v_cmp_neq_f32_e64 s2, 0, v7
	s_delay_alu instid0(VALU_DEP_1) | instskip(NEXT) | instid1(SALU_CYCLE_1)
	s_or_b32 s2, vcc_lo, s2
	s_and_saveexec_b32 s20, s2
	s_cbranch_execz .LBB297_33
; %bb.5:                                ;   in Loop: Header=BB297_4 Depth=1
	v_dual_mov_b32 v11, 0x7f800000 :: v_dual_mov_b32 v10, v7
	s_mov_b32 s21, exec_lo
	v_cmpx_neq_f32_e64 0x7f800000, |v7|
	s_cbranch_execz .LBB297_32
; %bb.6:                                ;   in Loop: Header=BB297_4 Depth=1
                                        ; implicit-def: $vgpr10
                                        ; implicit-def: $vgpr11
	s_mov_b32 s2, exec_lo
	v_cmpx_o_f32_e32 v6, v6
	s_xor_b32 s22, exec_lo, s2
	s_cbranch_execz .LBB297_29
; %bb.7:                                ;   in Loop: Header=BB297_4 Depth=1
                                        ; implicit-def: $vgpr10
                                        ; implicit-def: $vgpr11
	s_mov_b32 s3, exec_lo
	v_cmpx_neq_f32_e64 0x7f800000, |v6|
	s_xor_b32 s23, exec_lo, s3
	s_cbranch_execz .LBB297_23
; %bb.8:                                ;   in Loop: Header=BB297_4 Depth=1
	v_max_f32_e64 v5, |v7|, |v7|
	v_max_f32_e64 v10, |v6|, |v6|
                                        ; implicit-def: $sgpr24
	s_delay_alu instid0(VALU_DEP_1) | instskip(NEXT) | instid1(VALU_DEP_1)
	v_max_f32_e32 v5, v10, v5
                                        ; implicit-def: $vgpr10
	v_cmp_nle_f32_e64 s2, 0x7ed413cb, v5
                                        ; implicit-def: $vgpr5
	s_delay_alu instid0(VALU_DEP_1) | instskip(NEXT) | instid1(SALU_CYCLE_1)
	s_and_saveexec_b32 s3, s2
	s_xor_b32 s3, exec_lo, s3
	s_cbranch_execz .LBB297_12
; %bb.9:                                ;   in Loop: Header=BB297_4 Depth=1
	v_cmp_ge_f32_e64 s24, 0x1000000, |v6|
	v_cmp_ge_f32_e64 s25, 0x1000000, |v7|
	v_dual_mov_b32 v10, v6 :: v_dual_mov_b32 v5, v7
	s_delay_alu instid0(VALU_DEP_2)
	s_and_b32 s26, s24, s25
	s_mov_b32 s24, 0
	s_and_saveexec_b32 s25, s26
; %bb.10:                               ;   in Loop: Header=BB297_4 Depth=1
	v_dual_mul_f32 v10, 4.0, v6 :: v_dual_mul_f32 v5, 4.0, v7
	s_mov_b32 s24, exec_lo
; %bb.11:                               ;   in Loop: Header=BB297_4 Depth=1
	s_or_b32 exec_lo, exec_lo, s25
	s_delay_alu instid0(SALU_CYCLE_1)
	s_and_b32 s24, s24, exec_lo
.LBB297_12:                             ;   in Loop: Header=BB297_4 Depth=1
	s_and_not1_saveexec_b32 s3, s3
; %bb.13:                               ;   in Loop: Header=BB297_4 Depth=1
	v_dual_mul_f32 v10, 0x3e800000, v6 :: v_dual_mul_f32 v5, 0x3e800000, v7
	s_and_not1_b32 s24, s24, exec_lo
; %bb.14:                               ;   in Loop: Header=BB297_4 Depth=1
	s_or_b32 exec_lo, exec_lo, s3
	s_delay_alu instid0(VALU_DEP_1) | instskip(NEXT) | instid1(VALU_DEP_2)
	v_max_f32_e64 v11, |v5|, |v5|
	v_max_f32_e64 v12, |v10|, |v10|
	s_delay_alu instid0(VALU_DEP_1) | instskip(NEXT) | instid1(VALU_DEP_1)
	v_max_f32_e32 v16, v12, v11
	v_cvt_f64_f32_e32 v[11:12], v16
	s_delay_alu instid0(VALU_DEP_1) | instskip(NEXT) | instid1(VALU_DEP_1)
	v_frexp_exp_i32_f64_e32 v11, v[11:12]
	v_sub_nc_u32_e32 v12, 0, v11
	s_delay_alu instid0(VALU_DEP_1) | instskip(SKIP_1) | instid1(VALU_DEP_2)
	v_ldexp_f32 v17, |v5|, v12
	v_ldexp_f32 v12, |v10|, v12
	v_mul_f32_e32 v17, v17, v17
	v_cmp_neq_f32_e64 s3, 0x7f800000, v16
                                        ; implicit-def: $vgpr16
	s_delay_alu instid0(VALU_DEP_2) | instskip(NEXT) | instid1(VALU_DEP_1)
	v_fmac_f32_e32 v17, v12, v12
	v_sqrt_f32_e32 v12, v17
	s_waitcnt_depctr 0xfff
	v_ldexp_f32 v11, v12, v11
                                        ; implicit-def: $vgpr12
	s_delay_alu instid0(VALU_DEP_1)
	v_cndmask_b32_e64 v11, 0x7f800000, v11, s3
	s_mov_b32 s3, exec_lo
	v_cmpx_le_f32_e32 0, v10
	s_xor_b32 s25, exec_lo, s3
	s_cbranch_execz .LBB297_16
; %bb.15:                               ;   in Loop: Header=BB297_4 Depth=1
	v_add_f32_e32 v10, v10, v11
	s_delay_alu instid0(VALU_DEP_1) | instskip(NEXT) | instid1(VALU_DEP_1)
	v_mul_f32_e32 v10, 0.5, v10
	v_mul_f32_e32 v11, 0x4f800000, v10
	v_cmp_gt_f32_e32 vcc_lo, 0xf800000, v10
	s_delay_alu instid0(VALU_DEP_2) | instskip(NEXT) | instid1(VALU_DEP_1)
	v_cndmask_b32_e32 v10, v10, v11, vcc_lo
	v_sqrt_f32_e32 v11, v10
	s_waitcnt_depctr 0xfff
	v_add_nc_u32_e32 v12, -1, v11
	v_add_nc_u32_e32 v16, 1, v11
	s_delay_alu instid0(VALU_DEP_2) | instskip(NEXT) | instid1(VALU_DEP_2)
	v_fma_f32 v17, -v12, v11, v10
	v_fma_f32 v18, -v16, v11, v10
	s_delay_alu instid0(VALU_DEP_2) | instskip(NEXT) | instid1(VALU_DEP_1)
	v_cmp_ge_f32_e64 s3, 0, v17
	v_cndmask_b32_e64 v11, v11, v12, s3
	s_delay_alu instid0(VALU_DEP_3) | instskip(NEXT) | instid1(VALU_DEP_1)
	v_cmp_lt_f32_e64 s3, 0, v18
	v_cndmask_b32_e64 v11, v11, v16, s3
	s_delay_alu instid0(VALU_DEP_1) | instskip(NEXT) | instid1(VALU_DEP_1)
	v_mul_f32_e32 v12, 0x37800000, v11
	v_cndmask_b32_e32 v11, v11, v12, vcc_lo
	v_cmp_class_f32_e64 vcc_lo, v10, 0x260
	s_delay_alu instid0(VALU_DEP_2) | instskip(NEXT) | instid1(VALU_DEP_1)
	v_cndmask_b32_e32 v12, v11, v10, vcc_lo
	v_add_f32_e32 v10, v12, v12
	s_delay_alu instid0(VALU_DEP_1) | instskip(NEXT) | instid1(VALU_DEP_1)
	v_div_scale_f32 v11, null, v10, v10, v5
	v_rcp_f32_e32 v16, v11
	s_waitcnt_depctr 0xfff
	v_fma_f32 v17, -v11, v16, 1.0
	s_delay_alu instid0(VALU_DEP_1) | instskip(SKIP_1) | instid1(VALU_DEP_1)
	v_fmac_f32_e32 v16, v17, v16
	v_div_scale_f32 v17, vcc_lo, v5, v10, v5
	v_mul_f32_e32 v18, v17, v16
	s_delay_alu instid0(VALU_DEP_1) | instskip(NEXT) | instid1(VALU_DEP_1)
	v_fma_f32 v19, -v11, v18, v17
	v_fmac_f32_e32 v18, v19, v16
	s_delay_alu instid0(VALU_DEP_1) | instskip(NEXT) | instid1(VALU_DEP_1)
	v_fma_f32 v11, -v11, v18, v17
	v_div_fmas_f32 v11, v11, v16, v18
	s_delay_alu instid0(VALU_DEP_1)
	v_div_fixup_f32 v16, v11, v10, v5
                                        ; implicit-def: $vgpr11
                                        ; implicit-def: $vgpr10
                                        ; implicit-def: $vgpr5
	s_and_not1_saveexec_b32 s25, s25
	s_cbranch_execz .LBB297_18
	s_branch .LBB297_17
.LBB297_16:                             ;   in Loop: Header=BB297_4 Depth=1
	s_and_not1_saveexec_b32 s25, s25
	s_cbranch_execz .LBB297_18
.LBB297_17:                             ;   in Loop: Header=BB297_4 Depth=1
	v_sub_f32_e32 v10, v11, v10
	s_delay_alu instid0(VALU_DEP_1) | instskip(NEXT) | instid1(VALU_DEP_1)
	v_mul_f32_e32 v10, 0.5, v10
	v_mul_f32_e32 v11, 0x4f800000, v10
	v_cmp_gt_f32_e32 vcc_lo, 0xf800000, v10
	s_delay_alu instid0(VALU_DEP_2) | instskip(NEXT) | instid1(VALU_DEP_1)
	v_cndmask_b32_e32 v10, v10, v11, vcc_lo
	v_sqrt_f32_e32 v11, v10
	s_waitcnt_depctr 0xfff
	v_add_nc_u32_e32 v12, -1, v11
	v_add_nc_u32_e32 v16, 1, v11
	s_delay_alu instid0(VALU_DEP_2) | instskip(NEXT) | instid1(VALU_DEP_2)
	v_fma_f32 v17, -v12, v11, v10
	v_fma_f32 v18, -v16, v11, v10
	s_delay_alu instid0(VALU_DEP_2) | instskip(NEXT) | instid1(VALU_DEP_1)
	v_cmp_ge_f32_e64 s3, 0, v17
	v_cndmask_b32_e64 v11, v11, v12, s3
	s_delay_alu instid0(VALU_DEP_3) | instskip(NEXT) | instid1(VALU_DEP_1)
	v_cmp_lt_f32_e64 s3, 0, v18
	v_cndmask_b32_e64 v11, v11, v16, s3
	s_delay_alu instid0(VALU_DEP_1) | instskip(NEXT) | instid1(VALU_DEP_1)
	v_mul_f32_e32 v12, 0x37800000, v11
	v_cndmask_b32_e32 v11, v11, v12, vcc_lo
	v_cmp_class_f32_e64 vcc_lo, v10, 0x260
	s_delay_alu instid0(VALU_DEP_2) | instskip(NEXT) | instid1(VALU_DEP_1)
	v_dual_cndmask_b32 v10, v11, v10 :: v_dual_and_b32 v11, 0x7fffffff, v5
	v_add_f32_e32 v12, v10, v10
	s_delay_alu instid0(VALU_DEP_1) | instskip(SKIP_1) | instid1(VALU_DEP_2)
	v_div_scale_f32 v16, null, v12, v12, v11
	v_div_scale_f32 v11, vcc_lo, v11, v12, v11
	v_rcp_f32_e32 v17, v16
	s_waitcnt_depctr 0xfff
	v_fma_f32 v18, -v16, v17, 1.0
	s_delay_alu instid0(VALU_DEP_1) | instskip(NEXT) | instid1(VALU_DEP_1)
	v_fmac_f32_e32 v17, v18, v17
	v_mul_f32_e32 v18, v11, v17
	s_delay_alu instid0(VALU_DEP_1) | instskip(NEXT) | instid1(VALU_DEP_1)
	v_fma_f32 v19, -v16, v18, v11
	v_fmac_f32_e32 v18, v19, v17
	s_delay_alu instid0(VALU_DEP_1) | instskip(SKIP_1) | instid1(VALU_DEP_2)
	v_fma_f32 v11, -v16, v18, v11
	v_bfi_b32 v16, 0x7fffffff, v10, v5
	v_div_fmas_f32 v11, v11, v17, v18
	s_delay_alu instid0(VALU_DEP_1)
	v_div_fixup_f32 v12, v11, v12, |v5|
.LBB297_18:                             ;   in Loop: Header=BB297_4 Depth=1
	s_or_b32 exec_lo, exec_lo, s25
                                        ; implicit-def: $vgpr10
                                        ; implicit-def: $vgpr11
	s_and_saveexec_b32 s3, s2
	s_delay_alu instid0(SALU_CYCLE_1)
	s_xor_b32 s2, exec_lo, s3
	s_cbranch_execz .LBB297_20
; %bb.19:                               ;   in Loop: Header=BB297_4 Depth=1
	v_mul_f32_e32 v5, 0.5, v12
	v_mul_f32_e32 v10, 0.5, v16
	s_delay_alu instid0(VALU_DEP_2) | instskip(NEXT) | instid1(VALU_DEP_2)
	v_cndmask_b32_e64 v11, v12, v5, s24
	v_cndmask_b32_e64 v10, v16, v10, s24
                                        ; implicit-def: $vgpr12
                                        ; implicit-def: $vgpr16
	s_and_not1_saveexec_b32 s2, s2
	s_cbranch_execnz .LBB297_21
	s_branch .LBB297_22
.LBB297_20:                             ;   in Loop: Header=BB297_4 Depth=1
	s_and_not1_saveexec_b32 s2, s2
.LBB297_21:                             ;   in Loop: Header=BB297_4 Depth=1
	v_add_f32_e32 v11, v12, v12
	v_add_f32_e32 v10, v16, v16
.LBB297_22:                             ;   in Loop: Header=BB297_4 Depth=1
	s_or_b32 exec_lo, exec_lo, s2
.LBB297_23:                             ;   in Loop: Header=BB297_4 Depth=1
	s_and_not1_saveexec_b32 s2, s23
	s_cbranch_execz .LBB297_53
; %bb.24:                               ;   in Loop: Header=BB297_4 Depth=1
	v_sub_f32_e32 v5, v7, v7
	s_mov_b32 s3, exec_lo
                                        ; implicit-def: $vgpr10
	v_cmpx_lt_i32_e32 -1, v6
	s_xor_b32 s3, exec_lo, s3
; %bb.25:                               ;   in Loop: Header=BB297_4 Depth=1
	s_delay_alu instid0(VALU_DEP_2)
	v_bfi_b32 v10, 0x7fffffff, v5, v7
                                        ; implicit-def: $vgpr5
; %bb.26:                               ;   in Loop: Header=BB297_4 Depth=1
	s_or_saveexec_b32 s3, s3
	v_mov_b32_e32 v11, v6
	s_xor_b32 exec_lo, exec_lo, s3
; %bb.27:                               ;   in Loop: Header=BB297_4 Depth=1
	v_and_b32_e32 v11, 0x7fffffff, v5
	v_bfi_b32 v10, 0x7fffffff, v6, v7
; %bb.28:                               ;   in Loop: Header=BB297_4 Depth=1
	s_or_b32 exec_lo, exec_lo, s3
	s_delay_alu instid0(SALU_CYCLE_1)
	s_or_b32 exec_lo, exec_lo, s2
.LBB297_29:                             ;   in Loop: Header=BB297_4 Depth=1
	s_and_not1_saveexec_b32 s2, s22
	s_cbranch_execz .LBB297_31
.LBB297_30:                             ;   in Loop: Header=BB297_4 Depth=1
	v_sub_f32_e32 v5, v7, v7
	s_delay_alu instid0(VALU_DEP_1) | instskip(NEXT) | instid1(VALU_DEP_1)
	v_div_scale_f32 v7, vcc_lo, v5, v5, v5
	v_rcp_f32_e32 v10, v7
	s_waitcnt_depctr 0xfff
	v_fma_f32 v11, -v7, v10, 1.0
	s_delay_alu instid0(VALU_DEP_1) | instskip(NEXT) | instid1(VALU_DEP_1)
	v_fmac_f32_e32 v10, v11, v10
	v_mul_f32_e32 v11, v7, v10
	s_delay_alu instid0(VALU_DEP_1) | instskip(NEXT) | instid1(VALU_DEP_1)
	v_fma_f32 v12, -v7, v11, v7
	v_fmac_f32_e32 v11, v12, v10
	s_delay_alu instid0(VALU_DEP_1) | instskip(NEXT) | instid1(VALU_DEP_1)
	v_fma_f32 v7, -v7, v11, v7
	v_div_fmas_f32 v7, v7, v10, v11
	v_mov_b32_e32 v11, v6
	s_delay_alu instid0(VALU_DEP_2)
	v_div_fixup_f32 v10, v7, v5, v5
.LBB297_31:                             ;   in Loop: Header=BB297_4 Depth=1
	s_or_b32 exec_lo, exec_lo, s2
.LBB297_32:                             ;   in Loop: Header=BB297_4 Depth=1
	s_delay_alu instid0(SALU_CYCLE_1)
	s_or_b32 exec_lo, exec_lo, s21
.LBB297_33:                             ;   in Loop: Header=BB297_4 Depth=1
	s_delay_alu instid0(SALU_CYCLE_1)
	s_or_b32 exec_lo, exec_lo, s20
	v_cmp_gt_f32_e32 vcc_lo, 0, v11
                                        ; implicit-def: $vgpr6
	s_mov_b32 s2, exec_lo
	v_cndmask_b32_e64 v7, v11, -v11, vcc_lo
	v_cmp_gt_f32_e32 vcc_lo, 0, v10
	v_cndmask_b32_e64 v12, v10, -v10, vcc_lo
	s_delay_alu instid0(VALU_DEP_1)
	v_cmpx_ge_f32_e32 v7, v12
	s_xor_b32 s3, exec_lo, s2
	s_cbranch_execz .LBB297_39
; %bb.34:                               ;   in Loop: Header=BB297_4 Depth=1
	v_cmp_neq_f32_e32 vcc_lo, 0, v11
	v_cmp_neq_f32_e64 s2, 0, v10
                                        ; implicit-def: $vgpr6
	s_delay_alu instid0(VALU_DEP_1) | instskip(NEXT) | instid1(SALU_CYCLE_1)
	s_or_b32 s2, vcc_lo, s2
	s_and_saveexec_b32 s20, s2
	s_delay_alu instid0(SALU_CYCLE_1)
	s_xor_b32 s2, exec_lo, s20
	s_cbranch_execz .LBB297_36
; %bb.35:                               ;   in Loop: Header=BB297_4 Depth=1
	v_div_scale_f32 v5, null, v11, v11, v10
	v_div_scale_f32 v12, vcc_lo, v10, v11, v10
	s_delay_alu instid0(VALU_DEP_2) | instskip(SKIP_2) | instid1(VALU_DEP_1)
	v_rcp_f32_e32 v6, v5
	s_waitcnt_depctr 0xfff
	v_fma_f32 v7, -v5, v6, 1.0
	v_fmac_f32_e32 v6, v7, v6
	s_delay_alu instid0(VALU_DEP_1) | instskip(NEXT) | instid1(VALU_DEP_1)
	v_mul_f32_e32 v7, v12, v6
	v_fma_f32 v16, -v5, v7, v12
	s_delay_alu instid0(VALU_DEP_1) | instskip(NEXT) | instid1(VALU_DEP_1)
	v_fmac_f32_e32 v7, v16, v6
	v_fma_f32 v5, -v5, v7, v12
	s_delay_alu instid0(VALU_DEP_1) | instskip(NEXT) | instid1(VALU_DEP_1)
	v_div_fmas_f32 v5, v5, v6, v7
	v_div_fixup_f32 v6, v5, v11, v10
	s_delay_alu instid0(VALU_DEP_1) | instskip(NEXT) | instid1(VALU_DEP_1)
	v_fmac_f32_e32 v11, v10, v6
	v_div_scale_f32 v5, null, v11, v11, 1.0
	v_div_scale_f32 v12, vcc_lo, 1.0, v11, 1.0
	s_delay_alu instid0(VALU_DEP_2) | instskip(SKIP_2) | instid1(VALU_DEP_1)
	v_rcp_f32_e32 v7, v5
	s_waitcnt_depctr 0xfff
	v_fma_f32 v10, -v5, v7, 1.0
	v_fmac_f32_e32 v7, v10, v7
	s_delay_alu instid0(VALU_DEP_1) | instskip(NEXT) | instid1(VALU_DEP_1)
	v_mul_f32_e32 v10, v12, v7
	v_fma_f32 v16, -v5, v10, v12
	s_delay_alu instid0(VALU_DEP_1) | instskip(NEXT) | instid1(VALU_DEP_1)
	v_fmac_f32_e32 v10, v16, v7
	v_fma_f32 v5, -v5, v10, v12
                                        ; implicit-def: $vgpr12
	s_delay_alu instid0(VALU_DEP_1) | instskip(SKIP_1) | instid1(VALU_DEP_2)
	v_div_fmas_f32 v5, v5, v7, v10
	v_fma_f32 v7, v6, 0, 1.0
	v_div_fixup_f32 v10, v5, v11, 1.0
	s_delay_alu instid0(VALU_DEP_1)
	v_mul_f32_e32 v5, v7, v10
	v_mul_f32_e64 v6, -v6, v10
                                        ; implicit-def: $vgpr7
.LBB297_36:                             ;   in Loop: Header=BB297_4 Depth=1
	s_and_not1_saveexec_b32 s20, s2
	s_cbranch_execz .LBB297_38
; %bb.37:                               ;   in Loop: Header=BB297_4 Depth=1
	v_div_scale_f32 v5, null, v7, v7, 1.0
	v_div_scale_f32 v6, null, v12, v12, 0
	v_div_scale_f32 v18, vcc_lo, 1.0, v7, 1.0
	s_delay_alu instid0(VALU_DEP_3) | instskip(NEXT) | instid1(VALU_DEP_2)
	v_rcp_f32_e32 v10, v5
	v_rcp_f32_e32 v11, v6
	s_waitcnt_depctr 0xfff
	v_fma_f32 v16, -v5, v10, 1.0
	v_fma_f32 v17, -v6, v11, 1.0
	s_delay_alu instid0(VALU_DEP_1) | instskip(SKIP_1) | instid1(VALU_DEP_2)
	v_dual_fmac_f32 v10, v16, v10 :: v_dual_fmac_f32 v11, v17, v11
	v_div_scale_f32 v16, s2, 0, v12, 0
	v_mul_f32_e32 v17, v18, v10
	s_delay_alu instid0(VALU_DEP_2) | instskip(NEXT) | instid1(VALU_DEP_2)
	v_mul_f32_e32 v19, v16, v11
	v_fma_f32 v20, -v5, v17, v18
	s_delay_alu instid0(VALU_DEP_2) | instskip(NEXT) | instid1(VALU_DEP_2)
	v_fma_f32 v21, -v6, v19, v16
	v_fmac_f32_e32 v17, v20, v10
	s_delay_alu instid0(VALU_DEP_2) | instskip(NEXT) | instid1(VALU_DEP_2)
	v_fmac_f32_e32 v19, v21, v11
	v_fma_f32 v5, -v5, v17, v18
	s_delay_alu instid0(VALU_DEP_2) | instskip(NEXT) | instid1(VALU_DEP_2)
	v_fma_f32 v6, -v6, v19, v16
	v_div_fmas_f32 v5, v5, v10, v17
	s_mov_b32 vcc_lo, s2
	s_delay_alu instid0(VALU_DEP_2) | instskip(NEXT) | instid1(VALU_DEP_2)
	v_div_fmas_f32 v6, v6, v11, v19
	v_div_fixup_f32 v5, v5, v7, 1.0
	s_delay_alu instid0(VALU_DEP_2)
	v_div_fixup_f32 v6, v6, v12, 0
.LBB297_38:                             ;   in Loop: Header=BB297_4 Depth=1
	s_or_b32 exec_lo, exec_lo, s20
                                        ; implicit-def: $vgpr10
                                        ; implicit-def: $vgpr11
.LBB297_39:                             ;   in Loop: Header=BB297_4 Depth=1
	s_and_not1_saveexec_b32 s2, s3
	s_cbranch_execz .LBB297_41
; %bb.40:                               ;   in Loop: Header=BB297_4 Depth=1
	v_div_scale_f32 v5, null, v10, v10, v11
	v_div_scale_f32 v12, vcc_lo, v11, v10, v11
	s_delay_alu instid0(VALU_DEP_2) | instskip(SKIP_2) | instid1(VALU_DEP_1)
	v_rcp_f32_e32 v6, v5
	s_waitcnt_depctr 0xfff
	v_fma_f32 v7, -v5, v6, 1.0
	v_fmac_f32_e32 v6, v7, v6
	s_delay_alu instid0(VALU_DEP_1) | instskip(NEXT) | instid1(VALU_DEP_1)
	v_mul_f32_e32 v7, v12, v6
	v_fma_f32 v16, -v5, v7, v12
	s_delay_alu instid0(VALU_DEP_1) | instskip(NEXT) | instid1(VALU_DEP_1)
	v_fmac_f32_e32 v7, v16, v6
	v_fma_f32 v5, -v5, v7, v12
	s_delay_alu instid0(VALU_DEP_1) | instskip(NEXT) | instid1(VALU_DEP_1)
	v_div_fmas_f32 v5, v5, v6, v7
	v_div_fixup_f32 v5, v5, v10, v11
	s_delay_alu instid0(VALU_DEP_1) | instskip(NEXT) | instid1(VALU_DEP_1)
	v_fmac_f32_e32 v10, v11, v5
	v_div_scale_f32 v6, null, v10, v10, 1.0
	v_div_scale_f32 v12, vcc_lo, 1.0, v10, 1.0
	s_delay_alu instid0(VALU_DEP_2) | instskip(SKIP_2) | instid1(VALU_DEP_1)
	v_rcp_f32_e32 v7, v6
	s_waitcnt_depctr 0xfff
	v_fma_f32 v11, -v6, v7, 1.0
	v_fmac_f32_e32 v7, v11, v7
	s_delay_alu instid0(VALU_DEP_1) | instskip(NEXT) | instid1(VALU_DEP_1)
	v_mul_f32_e32 v11, v12, v7
	v_fma_f32 v16, -v6, v11, v12
	s_delay_alu instid0(VALU_DEP_1) | instskip(NEXT) | instid1(VALU_DEP_1)
	v_fmac_f32_e32 v11, v16, v7
	v_fma_f32 v6, -v6, v11, v12
	s_delay_alu instid0(VALU_DEP_1) | instskip(SKIP_1) | instid1(VALU_DEP_2)
	v_div_fmas_f32 v6, v6, v7, v11
	v_add_f32_e32 v7, 0, v5
	v_div_fixup_f32 v6, v6, v10, 1.0
	v_fma_f32 v10, v5, 0, -1.0
	s_delay_alu instid0(VALU_DEP_2) | instskip(NEXT) | instid1(VALU_DEP_2)
	v_mul_f32_e32 v5, v7, v6
	v_mul_f32_e32 v6, v10, v6
.LBB297_41:                             ;   in Loop: Header=BB297_4 Depth=1
	s_or_b32 exec_lo, exec_lo, s2
	v_cmp_neq_f32_e32 vcc_lo, 0, v8
	v_cmp_neq_f32_e64 s2, 0, v9
	v_mov_b32_e32 v10, 0
	s_delay_alu instid0(VALU_DEP_2) | instskip(NEXT) | instid1(SALU_CYCLE_1)
	s_or_b32 s2, vcc_lo, s2
	s_and_saveexec_b32 s20, s2
	s_cbranch_execz .LBB297_72
; %bb.42:                               ;   in Loop: Header=BB297_4 Depth=1
	v_mov_b32_e32 v10, 0x7f800000
	s_mov_b32 s21, exec_lo
	v_cmpx_neq_f32_e64 0x7f800000, |v9|
	s_cbranch_execz .LBB297_71
; %bb.43:                               ;   in Loop: Header=BB297_4 Depth=1
	s_mov_b32 s2, exec_lo
	v_cmpx_o_f32_e32 v8, v8
	s_xor_b32 s22, exec_lo, s2
	s_cbranch_execz .LBB297_68
; %bb.44:                               ;   in Loop: Header=BB297_4 Depth=1
	s_mov_b32 s3, exec_lo
	v_cmpx_neq_f32_e64 0x7f800000, |v8|
	s_xor_b32 s23, exec_lo, s3
	s_cbranch_execz .LBB297_61
; %bb.45:                               ;   in Loop: Header=BB297_4 Depth=1
	v_max_f32_e64 v7, |v9|, |v9|
	v_max_f32_e64 v10, |v8|, |v8|
                                        ; implicit-def: $sgpr24
	s_delay_alu instid0(VALU_DEP_1) | instskip(NEXT) | instid1(VALU_DEP_1)
	v_max_f32_e32 v7, v10, v7
	v_cmp_nle_f32_e64 s2, 0x7ed413cb, v7
	s_delay_alu instid0(VALU_DEP_1) | instskip(NEXT) | instid1(SALU_CYCLE_1)
	s_and_saveexec_b32 s3, s2
	s_xor_b32 s3, exec_lo, s3
	s_cbranch_execz .LBB297_49
; %bb.46:                               ;   in Loop: Header=BB297_4 Depth=1
	v_cmp_ge_f32_e64 s24, 0x1000000, |v8|
	v_cmp_ge_f32_e64 s25, 0x1000000, |v9|
	s_delay_alu instid0(VALU_DEP_1)
	s_and_b32 s26, s24, s25
	s_mov_b32 s24, 0
	s_and_saveexec_b32 s25, s26
; %bb.47:                               ;   in Loop: Header=BB297_4 Depth=1
	v_dual_mul_f32 v8, 4.0, v8 :: v_dual_mul_f32 v9, 4.0, v9
	s_mov_b32 s24, exec_lo
; %bb.48:                               ;   in Loop: Header=BB297_4 Depth=1
	s_or_b32 exec_lo, exec_lo, s25
	s_delay_alu instid0(SALU_CYCLE_1)
	s_and_b32 s24, s24, exec_lo
.LBB297_49:                             ;   in Loop: Header=BB297_4 Depth=1
	s_and_not1_saveexec_b32 s3, s3
; %bb.50:                               ;   in Loop: Header=BB297_4 Depth=1
	v_dual_mul_f32 v8, 0x3e800000, v8 :: v_dual_mul_f32 v9, 0x3e800000, v9
	s_and_not1_b32 s24, s24, exec_lo
; %bb.51:                               ;   in Loop: Header=BB297_4 Depth=1
	s_or_b32 exec_lo, exec_lo, s3
	s_delay_alu instid0(VALU_DEP_1) | instskip(NEXT) | instid1(VALU_DEP_2)
	v_max_f32_e64 v7, |v9|, |v9|
	v_max_f32_e64 v10, |v8|, |v8|
	s_delay_alu instid0(VALU_DEP_1) | instskip(NEXT) | instid1(VALU_DEP_1)
	v_max_f32_e32 v7, v10, v7
	v_cvt_f64_f32_e32 v[10:11], v7
	s_delay_alu instid0(VALU_DEP_1) | instskip(NEXT) | instid1(VALU_DEP_1)
	v_frexp_exp_i32_f64_e32 v10, v[10:11]
	v_sub_nc_u32_e32 v11, 0, v10
	s_delay_alu instid0(VALU_DEP_1) | instskip(SKIP_1) | instid1(VALU_DEP_2)
	v_ldexp_f32 v12, |v9|, v11
	v_ldexp_f32 v11, |v8|, v11
	v_mul_f32_e32 v12, v12, v12
	v_cmp_neq_f32_e64 s3, 0x7f800000, v7
                                        ; implicit-def: $vgpr7
	s_delay_alu instid0(VALU_DEP_2) | instskip(NEXT) | instid1(VALU_DEP_1)
	v_fmac_f32_e32 v12, v11, v11
	v_sqrt_f32_e32 v11, v12
	s_waitcnt_depctr 0xfff
	v_ldexp_f32 v10, v11, v10
	s_delay_alu instid0(VALU_DEP_1)
	v_cndmask_b32_e64 v11, 0x7f800000, v10, s3
                                        ; implicit-def: $vgpr10
	s_mov_b32 s3, exec_lo
	v_cmpx_le_f32_e32 0, v8
	s_xor_b32 s25, exec_lo, s3
	s_cbranch_execz .LBB297_54
; %bb.52:                               ;   in Loop: Header=BB297_4 Depth=1
	v_add_f32_e32 v7, v8, v11
	s_delay_alu instid0(VALU_DEP_1) | instskip(NEXT) | instid1(VALU_DEP_1)
	v_mul_f32_e32 v7, 0.5, v7
	v_mul_f32_e32 v8, 0x4f800000, v7
	v_cmp_gt_f32_e32 vcc_lo, 0xf800000, v7
	s_delay_alu instid0(VALU_DEP_2) | instskip(NEXT) | instid1(VALU_DEP_1)
	v_cndmask_b32_e32 v7, v7, v8, vcc_lo
	v_sqrt_f32_e32 v8, v7
	s_waitcnt_depctr 0xfff
	v_add_nc_u32_e32 v10, -1, v8
	v_add_nc_u32_e32 v11, 1, v8
	s_delay_alu instid0(VALU_DEP_2) | instskip(NEXT) | instid1(VALU_DEP_2)
	v_fma_f32 v12, -v10, v8, v7
	v_fma_f32 v16, -v11, v8, v7
	s_delay_alu instid0(VALU_DEP_2) | instskip(NEXT) | instid1(VALU_DEP_1)
	v_cmp_ge_f32_e64 s3, 0, v12
	v_cndmask_b32_e64 v8, v8, v10, s3
	s_delay_alu instid0(VALU_DEP_3) | instskip(NEXT) | instid1(VALU_DEP_1)
	v_cmp_lt_f32_e64 s3, 0, v16
	v_cndmask_b32_e64 v8, v8, v11, s3
	s_delay_alu instid0(VALU_DEP_1) | instskip(NEXT) | instid1(VALU_DEP_1)
	v_mul_f32_e32 v10, 0x37800000, v8
	v_cndmask_b32_e32 v8, v8, v10, vcc_lo
	v_cmp_class_f32_e64 vcc_lo, v7, 0x260
	s_delay_alu instid0(VALU_DEP_2) | instskip(NEXT) | instid1(VALU_DEP_1)
	v_cndmask_b32_e32 v7, v8, v7, vcc_lo
	v_add_f32_e32 v8, v7, v7
	s_delay_alu instid0(VALU_DEP_1) | instskip(NEXT) | instid1(VALU_DEP_1)
	v_div_scale_f32 v10, null, v8, v8, v9
	v_rcp_f32_e32 v11, v10
	s_waitcnt_depctr 0xfff
	v_fma_f32 v12, -v10, v11, 1.0
	s_delay_alu instid0(VALU_DEP_1) | instskip(SKIP_1) | instid1(VALU_DEP_1)
	v_fmac_f32_e32 v11, v12, v11
	v_div_scale_f32 v12, vcc_lo, v9, v8, v9
	v_mul_f32_e32 v16, v12, v11
	s_delay_alu instid0(VALU_DEP_1) | instskip(NEXT) | instid1(VALU_DEP_1)
	v_fma_f32 v17, -v10, v16, v12
	v_fmac_f32_e32 v16, v17, v11
	s_delay_alu instid0(VALU_DEP_1) | instskip(NEXT) | instid1(VALU_DEP_1)
	v_fma_f32 v10, -v10, v16, v12
	v_div_fmas_f32 v10, v10, v11, v16
                                        ; implicit-def: $vgpr11
	s_delay_alu instid0(VALU_DEP_1)
	v_div_fixup_f32 v10, v10, v8, v9
                                        ; implicit-def: $vgpr8
	s_and_not1_saveexec_b32 s25, s25
	s_cbranch_execz .LBB297_56
	s_branch .LBB297_55
.LBB297_53:                             ;   in Loop: Header=BB297_4 Depth=1
	s_or_b32 exec_lo, exec_lo, s2
	s_and_not1_saveexec_b32 s2, s22
	s_cbranch_execnz .LBB297_30
	s_branch .LBB297_31
.LBB297_54:                             ;   in Loop: Header=BB297_4 Depth=1
	s_and_not1_saveexec_b32 s25, s25
	s_cbranch_execz .LBB297_56
.LBB297_55:                             ;   in Loop: Header=BB297_4 Depth=1
	v_sub_f32_e32 v7, v11, v8
	s_delay_alu instid0(VALU_DEP_1) | instskip(NEXT) | instid1(VALU_DEP_1)
	v_mul_f32_e32 v7, 0.5, v7
	v_mul_f32_e32 v8, 0x4f800000, v7
	v_cmp_gt_f32_e32 vcc_lo, 0xf800000, v7
	s_delay_alu instid0(VALU_DEP_2) | instskip(NEXT) | instid1(VALU_DEP_1)
	v_cndmask_b32_e32 v7, v7, v8, vcc_lo
	v_sqrt_f32_e32 v8, v7
	s_waitcnt_depctr 0xfff
	v_add_nc_u32_e32 v10, -1, v8
	v_add_nc_u32_e32 v11, 1, v8
	s_delay_alu instid0(VALU_DEP_2) | instskip(NEXT) | instid1(VALU_DEP_2)
	v_fma_f32 v12, -v10, v8, v7
	v_fma_f32 v16, -v11, v8, v7
	s_delay_alu instid0(VALU_DEP_2) | instskip(NEXT) | instid1(VALU_DEP_1)
	v_cmp_ge_f32_e64 s3, 0, v12
	v_cndmask_b32_e64 v8, v8, v10, s3
	s_delay_alu instid0(VALU_DEP_3) | instskip(NEXT) | instid1(VALU_DEP_1)
	v_cmp_lt_f32_e64 s3, 0, v16
	v_cndmask_b32_e64 v8, v8, v11, s3
	s_delay_alu instid0(VALU_DEP_1) | instskip(NEXT) | instid1(VALU_DEP_1)
	v_mul_f32_e32 v10, 0x37800000, v8
	v_cndmask_b32_e32 v8, v8, v10, vcc_lo
	v_cmp_class_f32_e64 vcc_lo, v7, 0x260
	s_delay_alu instid0(VALU_DEP_2) | instskip(NEXT) | instid1(VALU_DEP_1)
	v_dual_cndmask_b32 v8, v8, v7 :: v_dual_and_b32 v7, 0x7fffffff, v9
	v_add_f32_e32 v10, v8, v8
	s_delay_alu instid0(VALU_DEP_1) | instskip(SKIP_1) | instid1(VALU_DEP_2)
	v_div_scale_f32 v11, null, v10, v10, v7
	v_div_scale_f32 v7, vcc_lo, v7, v10, v7
	v_rcp_f32_e32 v12, v11
	s_waitcnt_depctr 0xfff
	v_fma_f32 v16, -v11, v12, 1.0
	s_delay_alu instid0(VALU_DEP_1) | instskip(NEXT) | instid1(VALU_DEP_1)
	v_fmac_f32_e32 v12, v16, v12
	v_mul_f32_e32 v16, v7, v12
	s_delay_alu instid0(VALU_DEP_1) | instskip(NEXT) | instid1(VALU_DEP_1)
	v_fma_f32 v17, -v11, v16, v7
	v_fmac_f32_e32 v16, v17, v12
	s_delay_alu instid0(VALU_DEP_1) | instskip(NEXT) | instid1(VALU_DEP_1)
	v_fma_f32 v7, -v11, v16, v7
	v_div_fmas_f32 v7, v7, v12, v16
	s_delay_alu instid0(VALU_DEP_1)
	v_div_fixup_f32 v7, v7, v10, |v9|
	v_bfi_b32 v10, 0x7fffffff, v8, v9
.LBB297_56:                             ;   in Loop: Header=BB297_4 Depth=1
	s_or_b32 exec_lo, exec_lo, s25
                                        ; implicit-def: $vgpr9
	s_and_saveexec_b32 s3, s2
	s_delay_alu instid0(SALU_CYCLE_1)
	s_xor_b32 s2, exec_lo, s3
	s_cbranch_execz .LBB297_58
; %bb.57:                               ;   in Loop: Header=BB297_4 Depth=1
	v_dual_mul_f32 v8, 0.5, v7 :: v_dual_mul_f32 v9, 0.5, v10
	s_delay_alu instid0(VALU_DEP_1) | instskip(NEXT) | instid1(VALU_DEP_2)
	v_cndmask_b32_e64 v8, v7, v8, s24
	v_cndmask_b32_e64 v9, v10, v9, s24
                                        ; implicit-def: $vgpr7
                                        ; implicit-def: $vgpr10
	s_and_not1_saveexec_b32 s2, s2
	s_cbranch_execnz .LBB297_59
	s_branch .LBB297_60
.LBB297_58:                             ;   in Loop: Header=BB297_4 Depth=1
	s_and_not1_saveexec_b32 s2, s2
.LBB297_59:                             ;   in Loop: Header=BB297_4 Depth=1
	v_dual_add_f32 v8, v7, v7 :: v_dual_add_f32 v9, v10, v10
.LBB297_60:                             ;   in Loop: Header=BB297_4 Depth=1
	s_or_b32 exec_lo, exec_lo, s2
.LBB297_61:                             ;   in Loop: Header=BB297_4 Depth=1
	s_and_not1_saveexec_b32 s2, s23
	s_cbranch_execz .LBB297_67
; %bb.62:                               ;   in Loop: Header=BB297_4 Depth=1
	s_delay_alu instid0(VALU_DEP_1)
	v_sub_f32_e32 v7, v9, v9
	s_mov_b32 s3, exec_lo
	v_cmpx_lt_i32_e32 -1, v8
	s_xor_b32 s3, exec_lo, s3
; %bb.63:                               ;   in Loop: Header=BB297_4 Depth=1
	s_delay_alu instid0(VALU_DEP_2)
	v_bfi_b32 v9, 0x7fffffff, v7, v9
                                        ; implicit-def: $vgpr7
; %bb.64:                               ;   in Loop: Header=BB297_4 Depth=1
	s_and_not1_saveexec_b32 s3, s3
; %bb.65:                               ;   in Loop: Header=BB297_4 Depth=1
	v_and_b32_e32 v7, 0x7fffffff, v7
	s_delay_alu instid0(VALU_DEP_2) | instskip(NEXT) | instid1(VALU_DEP_2)
	v_bfi_b32 v9, 0x7fffffff, v8, v9
	v_mov_b32_e32 v8, v7
; %bb.66:                               ;   in Loop: Header=BB297_4 Depth=1
	s_or_b32 exec_lo, exec_lo, s3
.LBB297_67:                             ;   in Loop: Header=BB297_4 Depth=1
	s_delay_alu instid0(SALU_CYCLE_1)
	s_or_b32 exec_lo, exec_lo, s2
.LBB297_68:                             ;   in Loop: Header=BB297_4 Depth=1
	s_and_not1_saveexec_b32 s2, s22
; %bb.69:                               ;   in Loop: Header=BB297_4 Depth=1
	v_sub_f32_e32 v7, v9, v9
	s_delay_alu instid0(VALU_DEP_1) | instskip(NEXT) | instid1(VALU_DEP_1)
	v_div_scale_f32 v9, vcc_lo, v7, v7, v7
	v_rcp_f32_e32 v10, v9
	s_waitcnt_depctr 0xfff
	v_fma_f32 v11, -v9, v10, 1.0
	s_delay_alu instid0(VALU_DEP_1) | instskip(NEXT) | instid1(VALU_DEP_1)
	v_fmac_f32_e32 v10, v11, v10
	v_mul_f32_e32 v11, v9, v10
	s_delay_alu instid0(VALU_DEP_1) | instskip(NEXT) | instid1(VALU_DEP_1)
	v_fma_f32 v12, -v9, v11, v9
	v_fmac_f32_e32 v11, v12, v10
	s_delay_alu instid0(VALU_DEP_1) | instskip(NEXT) | instid1(VALU_DEP_1)
	v_fma_f32 v9, -v9, v11, v9
	v_div_fmas_f32 v9, v9, v10, v11
	s_delay_alu instid0(VALU_DEP_1)
	v_div_fixup_f32 v9, v9, v7, v7
; %bb.70:                               ;   in Loop: Header=BB297_4 Depth=1
	s_or_b32 exec_lo, exec_lo, s2
	v_mov_b32_e32 v10, v8
.LBB297_71:                             ;   in Loop: Header=BB297_4 Depth=1
	s_or_b32 exec_lo, exec_lo, s21
.LBB297_72:                             ;   in Loop: Header=BB297_4 Depth=1
	s_delay_alu instid0(SALU_CYCLE_1) | instskip(NEXT) | instid1(VALU_DEP_1)
	s_or_b32 exec_lo, exec_lo, s20
	v_cmp_gt_f32_e32 vcc_lo, 0, v10
	s_mov_b32 s2, exec_lo
	v_cndmask_b32_e64 v11, v10, -v10, vcc_lo
	v_cmp_gt_f32_e32 vcc_lo, 0, v9
	v_cndmask_b32_e64 v12, v9, -v9, vcc_lo
	s_delay_alu instid0(VALU_DEP_1)
	v_cmpx_ge_f32_e32 v11, v12
	s_xor_b32 s3, exec_lo, s2
	s_cbranch_execz .LBB297_78
; %bb.73:                               ;   in Loop: Header=BB297_4 Depth=1
	v_cmp_neq_f32_e32 vcc_lo, 0, v10
	v_cmp_neq_f32_e64 s2, 0, v9
	s_delay_alu instid0(VALU_DEP_1) | instskip(NEXT) | instid1(SALU_CYCLE_1)
	s_or_b32 s2, vcc_lo, s2
	s_and_saveexec_b32 s20, s2
	s_delay_alu instid0(SALU_CYCLE_1)
	s_xor_b32 s2, exec_lo, s20
	s_cbranch_execz .LBB297_75
; %bb.74:                               ;   in Loop: Header=BB297_4 Depth=1
	v_div_scale_f32 v7, null, v10, v10, v9
	v_div_scale_f32 v12, vcc_lo, v9, v10, v9
	s_delay_alu instid0(VALU_DEP_2) | instskip(SKIP_2) | instid1(VALU_DEP_1)
	v_rcp_f32_e32 v8, v7
	s_waitcnt_depctr 0xfff
	v_fma_f32 v11, -v7, v8, 1.0
	v_fmac_f32_e32 v8, v11, v8
	s_delay_alu instid0(VALU_DEP_1) | instskip(NEXT) | instid1(VALU_DEP_1)
	v_mul_f32_e32 v11, v12, v8
	v_fma_f32 v16, -v7, v11, v12
	s_delay_alu instid0(VALU_DEP_1) | instskip(NEXT) | instid1(VALU_DEP_1)
	v_fmac_f32_e32 v11, v16, v8
	v_fma_f32 v7, -v7, v11, v12
	s_delay_alu instid0(VALU_DEP_1) | instskip(NEXT) | instid1(VALU_DEP_1)
	v_div_fmas_f32 v7, v7, v8, v11
	v_div_fixup_f32 v8, v7, v10, v9
	s_delay_alu instid0(VALU_DEP_1) | instskip(NEXT) | instid1(VALU_DEP_1)
	v_fmac_f32_e32 v10, v9, v8
	v_div_scale_f32 v7, null, v10, v10, 1.0
	s_delay_alu instid0(VALU_DEP_1) | instskip(SKIP_2) | instid1(VALU_DEP_1)
	v_rcp_f32_e32 v9, v7
	s_waitcnt_depctr 0xfff
	v_fma_f32 v11, -v7, v9, 1.0
	v_fmac_f32_e32 v9, v11, v9
	v_div_scale_f32 v12, vcc_lo, 1.0, v10, 1.0
	s_delay_alu instid0(VALU_DEP_1) | instskip(NEXT) | instid1(VALU_DEP_1)
	v_mul_f32_e32 v11, v12, v9
	v_fma_f32 v16, -v7, v11, v12
	s_delay_alu instid0(VALU_DEP_1) | instskip(NEXT) | instid1(VALU_DEP_1)
	v_fmac_f32_e32 v11, v16, v9
	v_fma_f32 v7, -v7, v11, v12
                                        ; implicit-def: $vgpr12
	s_delay_alu instid0(VALU_DEP_1) | instskip(SKIP_1) | instid1(VALU_DEP_2)
	v_div_fmas_f32 v7, v7, v9, v11
	v_fma_f32 v9, v8, 0, 1.0
                                        ; implicit-def: $vgpr11
	v_div_fixup_f32 v10, v7, v10, 1.0
	s_delay_alu instid0(VALU_DEP_1)
	v_mul_f32_e32 v7, v9, v10
	v_mul_f32_e64 v8, -v8, v10
.LBB297_75:                             ;   in Loop: Header=BB297_4 Depth=1
	s_and_not1_saveexec_b32 s20, s2
	s_cbranch_execz .LBB297_77
; %bb.76:                               ;   in Loop: Header=BB297_4 Depth=1
	v_div_scale_f32 v7, null, v11, v11, 1.0
	v_div_scale_f32 v8, null, v12, v12, 0
	v_div_scale_f32 v18, vcc_lo, 1.0, v11, 1.0
	s_delay_alu instid0(VALU_DEP_3) | instskip(NEXT) | instid1(VALU_DEP_2)
	v_rcp_f32_e32 v9, v7
	v_rcp_f32_e32 v10, v8
	s_waitcnt_depctr 0xfff
	v_fma_f32 v16, -v7, v9, 1.0
	v_fma_f32 v17, -v8, v10, 1.0
	s_delay_alu instid0(VALU_DEP_1) | instskip(SKIP_1) | instid1(VALU_DEP_2)
	v_dual_fmac_f32 v9, v16, v9 :: v_dual_fmac_f32 v10, v17, v10
	v_div_scale_f32 v16, s2, 0, v12, 0
	v_mul_f32_e32 v17, v18, v9
	s_delay_alu instid0(VALU_DEP_2) | instskip(NEXT) | instid1(VALU_DEP_2)
	v_mul_f32_e32 v19, v16, v10
	v_fma_f32 v20, -v7, v17, v18
	s_delay_alu instid0(VALU_DEP_2) | instskip(NEXT) | instid1(VALU_DEP_2)
	v_fma_f32 v21, -v8, v19, v16
	v_fmac_f32_e32 v17, v20, v9
	s_delay_alu instid0(VALU_DEP_2) | instskip(NEXT) | instid1(VALU_DEP_2)
	v_fmac_f32_e32 v19, v21, v10
	v_fma_f32 v7, -v7, v17, v18
	s_delay_alu instid0(VALU_DEP_2) | instskip(NEXT) | instid1(VALU_DEP_2)
	v_fma_f32 v8, -v8, v19, v16
	v_div_fmas_f32 v7, v7, v9, v17
	s_mov_b32 vcc_lo, s2
	s_delay_alu instid0(VALU_DEP_2) | instskip(NEXT) | instid1(VALU_DEP_2)
	v_div_fmas_f32 v8, v8, v10, v19
	v_div_fixup_f32 v7, v7, v11, 1.0
	s_delay_alu instid0(VALU_DEP_2)
	v_div_fixup_f32 v8, v8, v12, 0
.LBB297_77:                             ;   in Loop: Header=BB297_4 Depth=1
	s_or_b32 exec_lo, exec_lo, s20
                                        ; implicit-def: $vgpr9
                                        ; implicit-def: $vgpr10
.LBB297_78:                             ;   in Loop: Header=BB297_4 Depth=1
	s_and_not1_saveexec_b32 s2, s3
	s_cbranch_execz .LBB297_80
; %bb.79:                               ;   in Loop: Header=BB297_4 Depth=1
	v_div_scale_f32 v7, null, v9, v9, v10
	v_div_scale_f32 v12, vcc_lo, v10, v9, v10
	s_delay_alu instid0(VALU_DEP_2) | instskip(SKIP_2) | instid1(VALU_DEP_1)
	v_rcp_f32_e32 v8, v7
	s_waitcnt_depctr 0xfff
	v_fma_f32 v11, -v7, v8, 1.0
	v_fmac_f32_e32 v8, v11, v8
	s_delay_alu instid0(VALU_DEP_1) | instskip(NEXT) | instid1(VALU_DEP_1)
	v_mul_f32_e32 v11, v12, v8
	v_fma_f32 v16, -v7, v11, v12
	s_delay_alu instid0(VALU_DEP_1) | instskip(NEXT) | instid1(VALU_DEP_1)
	v_fmac_f32_e32 v11, v16, v8
	v_fma_f32 v7, -v7, v11, v12
	s_delay_alu instid0(VALU_DEP_1) | instskip(NEXT) | instid1(VALU_DEP_1)
	v_div_fmas_f32 v7, v7, v8, v11
	v_div_fixup_f32 v7, v7, v9, v10
	s_delay_alu instid0(VALU_DEP_1) | instskip(NEXT) | instid1(VALU_DEP_1)
	v_fmac_f32_e32 v9, v10, v7
	v_div_scale_f32 v8, null, v9, v9, 1.0
	v_div_scale_f32 v12, vcc_lo, 1.0, v9, 1.0
	s_delay_alu instid0(VALU_DEP_2) | instskip(SKIP_2) | instid1(VALU_DEP_1)
	v_rcp_f32_e32 v10, v8
	s_waitcnt_depctr 0xfff
	v_fma_f32 v11, -v8, v10, 1.0
	v_fmac_f32_e32 v10, v11, v10
	s_delay_alu instid0(VALU_DEP_1) | instskip(NEXT) | instid1(VALU_DEP_1)
	v_mul_f32_e32 v11, v12, v10
	v_fma_f32 v16, -v8, v11, v12
	s_delay_alu instid0(VALU_DEP_1) | instskip(NEXT) | instid1(VALU_DEP_1)
	v_fmac_f32_e32 v11, v16, v10
	v_fma_f32 v8, -v8, v11, v12
	s_delay_alu instid0(VALU_DEP_1) | instskip(SKIP_1) | instid1(VALU_DEP_2)
	v_div_fmas_f32 v8, v8, v10, v11
	v_add_f32_e32 v10, 0, v7
	v_div_fixup_f32 v8, v8, v9, 1.0
	v_fma_f32 v9, v7, 0, -1.0
	s_delay_alu instid0(VALU_DEP_2) | instskip(NEXT) | instid1(VALU_DEP_2)
	v_mul_f32_e32 v7, v10, v8
	v_mul_f32_e32 v8, v9, v8
.LBB297_80:                             ;   in Loop: Header=BB297_4 Depth=1
	s_or_b32 exec_lo, exec_lo, s2
	s_waitcnt vmcnt(0)
	v_cmp_neq_f32_e32 vcc_lo, 0, v1
	v_cmp_neq_f32_e64 s2, 0, v2
	v_dual_mov_b32 v12, 0 :: v_dual_mov_b32 v11, v2
	s_delay_alu instid0(VALU_DEP_2) | instskip(NEXT) | instid1(SALU_CYCLE_1)
	s_or_b32 s2, vcc_lo, s2
	s_and_saveexec_b32 s20, s2
	s_cbranch_execz .LBB297_110
; %bb.81:                               ;   in Loop: Header=BB297_4 Depth=1
	v_dual_mov_b32 v12, 0x7f800000 :: v_dual_mov_b32 v11, v2
	s_mov_b32 s21, exec_lo
	v_cmpx_neq_f32_e64 0x7f800000, |v2|
	s_cbranch_execz .LBB297_109
; %bb.82:                               ;   in Loop: Header=BB297_4 Depth=1
                                        ; implicit-def: $vgpr11
                                        ; implicit-def: $vgpr12
	s_mov_b32 s2, exec_lo
	v_cmpx_o_f32_e32 v1, v1
	s_xor_b32 s22, exec_lo, s2
	s_cbranch_execz .LBB297_106
; %bb.83:                               ;   in Loop: Header=BB297_4 Depth=1
                                        ; implicit-def: $vgpr11
                                        ; implicit-def: $vgpr12
	s_mov_b32 s3, exec_lo
	v_cmpx_neq_f32_e64 0x7f800000, |v1|
	s_xor_b32 s23, exec_lo, s3
	s_cbranch_execz .LBB297_99
; %bb.84:                               ;   in Loop: Header=BB297_4 Depth=1
	v_max_f32_e64 v9, |v2|, |v2|
	v_max_f32_e64 v10, |v1|, |v1|
                                        ; implicit-def: $sgpr24
	s_delay_alu instid0(VALU_DEP_1) | instskip(NEXT) | instid1(VALU_DEP_1)
	v_max_f32_e32 v9, v10, v9
                                        ; implicit-def: $vgpr10
	v_cmp_nle_f32_e64 s2, 0x7ed413cb, v9
                                        ; implicit-def: $vgpr9
	s_delay_alu instid0(VALU_DEP_1) | instskip(NEXT) | instid1(SALU_CYCLE_1)
	s_and_saveexec_b32 s3, s2
	s_xor_b32 s3, exec_lo, s3
	s_cbranch_execz .LBB297_88
; %bb.85:                               ;   in Loop: Header=BB297_4 Depth=1
	v_cmp_ge_f32_e64 s24, 0x1000000, |v1|
	v_cmp_ge_f32_e64 s25, 0x1000000, |v2|
	v_dual_mov_b32 v10, v1 :: v_dual_mov_b32 v9, v2
	s_delay_alu instid0(VALU_DEP_2)
	s_and_b32 s26, s24, s25
	s_mov_b32 s24, 0
	s_and_saveexec_b32 s25, s26
; %bb.86:                               ;   in Loop: Header=BB297_4 Depth=1
	v_dual_mul_f32 v10, 4.0, v1 :: v_dual_mul_f32 v9, 4.0, v2
	s_mov_b32 s24, exec_lo
; %bb.87:                               ;   in Loop: Header=BB297_4 Depth=1
	s_or_b32 exec_lo, exec_lo, s25
	s_delay_alu instid0(SALU_CYCLE_1)
	s_and_b32 s24, s24, exec_lo
.LBB297_88:                             ;   in Loop: Header=BB297_4 Depth=1
	s_and_not1_saveexec_b32 s3, s3
; %bb.89:                               ;   in Loop: Header=BB297_4 Depth=1
	v_dual_mul_f32 v10, 0x3e800000, v1 :: v_dual_mul_f32 v9, 0x3e800000, v2
	s_and_not1_b32 s24, s24, exec_lo
; %bb.90:                               ;   in Loop: Header=BB297_4 Depth=1
	s_or_b32 exec_lo, exec_lo, s3
	s_delay_alu instid0(VALU_DEP_1) | instskip(NEXT) | instid1(VALU_DEP_2)
	v_max_f32_e64 v11, |v9|, |v9|
	v_max_f32_e64 v12, |v10|, |v10|
	s_delay_alu instid0(VALU_DEP_1) | instskip(NEXT) | instid1(VALU_DEP_1)
	v_max_f32_e32 v16, v12, v11
	v_cvt_f64_f32_e32 v[11:12], v16
	s_delay_alu instid0(VALU_DEP_1) | instskip(NEXT) | instid1(VALU_DEP_1)
	v_frexp_exp_i32_f64_e32 v11, v[11:12]
	v_sub_nc_u32_e32 v12, 0, v11
	s_delay_alu instid0(VALU_DEP_1) | instskip(SKIP_1) | instid1(VALU_DEP_2)
	v_ldexp_f32 v17, |v9|, v12
	v_ldexp_f32 v12, |v10|, v12
	v_mul_f32_e32 v17, v17, v17
	v_cmp_neq_f32_e64 s3, 0x7f800000, v16
                                        ; implicit-def: $vgpr16
	s_delay_alu instid0(VALU_DEP_2) | instskip(NEXT) | instid1(VALU_DEP_1)
	v_fmac_f32_e32 v17, v12, v12
	v_sqrt_f32_e32 v12, v17
                                        ; implicit-def: $vgpr17
	s_waitcnt_depctr 0xfff
	v_ldexp_f32 v11, v12, v11
	s_delay_alu instid0(VALU_DEP_1)
	v_cndmask_b32_e64 v11, 0x7f800000, v11, s3
	s_mov_b32 s3, exec_lo
	v_cmpx_le_f32_e32 0, v10
	s_xor_b32 s25, exec_lo, s3
	s_cbranch_execz .LBB297_92
; %bb.91:                               ;   in Loop: Header=BB297_4 Depth=1
	v_add_f32_e32 v10, v10, v11
	s_delay_alu instid0(VALU_DEP_1) | instskip(NEXT) | instid1(VALU_DEP_1)
	v_mul_f32_e32 v10, 0.5, v10
	v_mul_f32_e32 v11, 0x4f800000, v10
	v_cmp_gt_f32_e32 vcc_lo, 0xf800000, v10
	s_delay_alu instid0(VALU_DEP_2) | instskip(NEXT) | instid1(VALU_DEP_1)
	v_cndmask_b32_e32 v10, v10, v11, vcc_lo
	v_sqrt_f32_e32 v11, v10
	s_waitcnt_depctr 0xfff
	v_add_nc_u32_e32 v12, -1, v11
	v_add_nc_u32_e32 v16, 1, v11
	s_delay_alu instid0(VALU_DEP_2) | instskip(NEXT) | instid1(VALU_DEP_2)
	v_fma_f32 v17, -v12, v11, v10
	v_fma_f32 v18, -v16, v11, v10
	s_delay_alu instid0(VALU_DEP_2) | instskip(NEXT) | instid1(VALU_DEP_1)
	v_cmp_ge_f32_e64 s3, 0, v17
	v_cndmask_b32_e64 v11, v11, v12, s3
	s_delay_alu instid0(VALU_DEP_3) | instskip(NEXT) | instid1(VALU_DEP_1)
	v_cmp_lt_f32_e64 s3, 0, v18
	v_cndmask_b32_e64 v11, v11, v16, s3
	s_delay_alu instid0(VALU_DEP_1) | instskip(NEXT) | instid1(VALU_DEP_1)
	v_mul_f32_e32 v12, 0x37800000, v11
	v_cndmask_b32_e32 v11, v11, v12, vcc_lo
	v_cmp_class_f32_e64 vcc_lo, v10, 0x260
	s_delay_alu instid0(VALU_DEP_2) | instskip(NEXT) | instid1(VALU_DEP_1)
	v_cndmask_b32_e32 v16, v11, v10, vcc_lo
	v_add_f32_e32 v10, v16, v16
	s_delay_alu instid0(VALU_DEP_1) | instskip(NEXT) | instid1(VALU_DEP_1)
	v_div_scale_f32 v11, null, v10, v10, v9
	v_rcp_f32_e32 v12, v11
	s_waitcnt_depctr 0xfff
	v_fma_f32 v17, -v11, v12, 1.0
	s_delay_alu instid0(VALU_DEP_1) | instskip(SKIP_1) | instid1(VALU_DEP_1)
	v_fmac_f32_e32 v12, v17, v12
	v_div_scale_f32 v17, vcc_lo, v9, v10, v9
	v_mul_f32_e32 v18, v17, v12
	s_delay_alu instid0(VALU_DEP_1) | instskip(NEXT) | instid1(VALU_DEP_1)
	v_fma_f32 v19, -v11, v18, v17
	v_fmac_f32_e32 v18, v19, v12
	s_delay_alu instid0(VALU_DEP_1) | instskip(NEXT) | instid1(VALU_DEP_1)
	v_fma_f32 v11, -v11, v18, v17
	v_div_fmas_f32 v11, v11, v12, v18
	s_delay_alu instid0(VALU_DEP_1)
	v_div_fixup_f32 v17, v11, v10, v9
                                        ; implicit-def: $vgpr11
                                        ; implicit-def: $vgpr10
                                        ; implicit-def: $vgpr9
	s_and_not1_saveexec_b32 s25, s25
	s_cbranch_execz .LBB297_94
	s_branch .LBB297_93
.LBB297_92:                             ;   in Loop: Header=BB297_4 Depth=1
	s_and_not1_saveexec_b32 s25, s25
	s_cbranch_execz .LBB297_94
.LBB297_93:                             ;   in Loop: Header=BB297_4 Depth=1
	v_sub_f32_e32 v10, v11, v10
	s_delay_alu instid0(VALU_DEP_1) | instskip(NEXT) | instid1(VALU_DEP_1)
	v_mul_f32_e32 v10, 0.5, v10
	v_mul_f32_e32 v11, 0x4f800000, v10
	v_cmp_gt_f32_e32 vcc_lo, 0xf800000, v10
	s_delay_alu instid0(VALU_DEP_2) | instskip(NEXT) | instid1(VALU_DEP_1)
	v_cndmask_b32_e32 v10, v10, v11, vcc_lo
	v_sqrt_f32_e32 v11, v10
	s_waitcnt_depctr 0xfff
	v_add_nc_u32_e32 v12, -1, v11
	v_add_nc_u32_e32 v16, 1, v11
	s_delay_alu instid0(VALU_DEP_2) | instskip(NEXT) | instid1(VALU_DEP_2)
	v_fma_f32 v17, -v12, v11, v10
	v_fma_f32 v18, -v16, v11, v10
	s_delay_alu instid0(VALU_DEP_2) | instskip(NEXT) | instid1(VALU_DEP_1)
	v_cmp_ge_f32_e64 s3, 0, v17
	v_cndmask_b32_e64 v11, v11, v12, s3
	s_delay_alu instid0(VALU_DEP_3) | instskip(NEXT) | instid1(VALU_DEP_1)
	v_cmp_lt_f32_e64 s3, 0, v18
	v_cndmask_b32_e64 v11, v11, v16, s3
	s_delay_alu instid0(VALU_DEP_1) | instskip(NEXT) | instid1(VALU_DEP_1)
	v_mul_f32_e32 v12, 0x37800000, v11
	v_cndmask_b32_e32 v11, v11, v12, vcc_lo
	v_cmp_class_f32_e64 vcc_lo, v10, 0x260
	s_delay_alu instid0(VALU_DEP_2) | instskip(NEXT) | instid1(VALU_DEP_1)
	v_dual_cndmask_b32 v10, v11, v10 :: v_dual_and_b32 v11, 0x7fffffff, v9
	v_add_f32_e32 v12, v10, v10
	s_delay_alu instid0(VALU_DEP_1) | instskip(SKIP_1) | instid1(VALU_DEP_2)
	v_div_scale_f32 v16, null, v12, v12, v11
	v_div_scale_f32 v11, vcc_lo, v11, v12, v11
	v_rcp_f32_e32 v17, v16
	s_waitcnt_depctr 0xfff
	v_fma_f32 v18, -v16, v17, 1.0
	s_delay_alu instid0(VALU_DEP_1) | instskip(NEXT) | instid1(VALU_DEP_1)
	v_fmac_f32_e32 v17, v18, v17
	v_mul_f32_e32 v18, v11, v17
	s_delay_alu instid0(VALU_DEP_1) | instskip(NEXT) | instid1(VALU_DEP_1)
	v_fma_f32 v19, -v16, v18, v11
	v_fmac_f32_e32 v18, v19, v17
	s_delay_alu instid0(VALU_DEP_1) | instskip(NEXT) | instid1(VALU_DEP_1)
	v_fma_f32 v11, -v16, v18, v11
	v_div_fmas_f32 v11, v11, v17, v18
	v_bfi_b32 v17, 0x7fffffff, v10, v9
	s_delay_alu instid0(VALU_DEP_2)
	v_div_fixup_f32 v16, v11, v12, |v9|
.LBB297_94:                             ;   in Loop: Header=BB297_4 Depth=1
	s_or_b32 exec_lo, exec_lo, s25
                                        ; implicit-def: $vgpr11
                                        ; implicit-def: $vgpr12
	s_and_saveexec_b32 s3, s2
	s_delay_alu instid0(SALU_CYCLE_1)
	s_xor_b32 s2, exec_lo, s3
	s_cbranch_execz .LBB297_96
; %bb.95:                               ;   in Loop: Header=BB297_4 Depth=1
	v_dual_mul_f32 v9, 0.5, v16 :: v_dual_mul_f32 v10, 0.5, v17
	s_delay_alu instid0(VALU_DEP_1) | instskip(NEXT) | instid1(VALU_DEP_2)
	v_cndmask_b32_e64 v12, v16, v9, s24
	v_cndmask_b32_e64 v11, v17, v10, s24
                                        ; implicit-def: $vgpr16
                                        ; implicit-def: $vgpr17
	s_and_not1_saveexec_b32 s2, s2
	s_cbranch_execnz .LBB297_97
	s_branch .LBB297_98
.LBB297_96:                             ;   in Loop: Header=BB297_4 Depth=1
	s_and_not1_saveexec_b32 s2, s2
.LBB297_97:                             ;   in Loop: Header=BB297_4 Depth=1
	v_dual_add_f32 v12, v16, v16 :: v_dual_add_f32 v11, v17, v17
.LBB297_98:                             ;   in Loop: Header=BB297_4 Depth=1
	s_or_b32 exec_lo, exec_lo, s2
.LBB297_99:                             ;   in Loop: Header=BB297_4 Depth=1
	s_and_not1_saveexec_b32 s2, s23
	s_cbranch_execz .LBB297_105
; %bb.100:                              ;   in Loop: Header=BB297_4 Depth=1
	v_sub_f32_e32 v9, v2, v2
	s_mov_b32 s3, exec_lo
                                        ; implicit-def: $vgpr11
	v_cmpx_lt_i32_e32 -1, v1
	s_xor_b32 s3, exec_lo, s3
; %bb.101:                              ;   in Loop: Header=BB297_4 Depth=1
	s_delay_alu instid0(VALU_DEP_2)
	v_bfi_b32 v11, 0x7fffffff, v9, v2
                                        ; implicit-def: $vgpr9
; %bb.102:                              ;   in Loop: Header=BB297_4 Depth=1
	s_or_saveexec_b32 s3, s3
	v_mov_b32_e32 v12, v1
	s_xor_b32 exec_lo, exec_lo, s3
; %bb.103:                              ;   in Loop: Header=BB297_4 Depth=1
	v_and_b32_e32 v12, 0x7fffffff, v9
	v_bfi_b32 v11, 0x7fffffff, v1, v2
; %bb.104:                              ;   in Loop: Header=BB297_4 Depth=1
	s_or_b32 exec_lo, exec_lo, s3
.LBB297_105:                            ;   in Loop: Header=BB297_4 Depth=1
	s_delay_alu instid0(SALU_CYCLE_1)
	s_or_b32 exec_lo, exec_lo, s2
.LBB297_106:                            ;   in Loop: Header=BB297_4 Depth=1
	s_and_not1_saveexec_b32 s2, s22
; %bb.107:                              ;   in Loop: Header=BB297_4 Depth=1
	v_sub_f32_e32 v2, v2, v2
	s_delay_alu instid0(VALU_DEP_1) | instskip(NEXT) | instid1(VALU_DEP_1)
	v_div_scale_f32 v9, vcc_lo, v2, v2, v2
	v_rcp_f32_e32 v10, v9
	s_waitcnt_depctr 0xfff
	v_fma_f32 v11, -v9, v10, 1.0
	s_delay_alu instid0(VALU_DEP_1) | instskip(NEXT) | instid1(VALU_DEP_1)
	v_fmac_f32_e32 v10, v11, v10
	v_mul_f32_e32 v11, v9, v10
	s_delay_alu instid0(VALU_DEP_1) | instskip(NEXT) | instid1(VALU_DEP_1)
	v_fma_f32 v12, -v9, v11, v9
	v_dual_fmac_f32 v11, v12, v10 :: v_dual_mov_b32 v12, v1
	s_delay_alu instid0(VALU_DEP_1) | instskip(NEXT) | instid1(VALU_DEP_1)
	v_fma_f32 v9, -v9, v11, v9
	v_div_fmas_f32 v9, v9, v10, v11
	s_delay_alu instid0(VALU_DEP_1)
	v_div_fixup_f32 v11, v9, v2, v2
; %bb.108:                              ;   in Loop: Header=BB297_4 Depth=1
	s_or_b32 exec_lo, exec_lo, s2
.LBB297_109:                            ;   in Loop: Header=BB297_4 Depth=1
	s_delay_alu instid0(SALU_CYCLE_1)
	s_or_b32 exec_lo, exec_lo, s21
.LBB297_110:                            ;   in Loop: Header=BB297_4 Depth=1
	s_delay_alu instid0(SALU_CYCLE_1)
	s_or_b32 exec_lo, exec_lo, s20
	v_cmp_gt_f32_e32 vcc_lo, 0, v12
                                        ; implicit-def: $vgpr10
	s_mov_b32 s2, exec_lo
	v_cndmask_b32_e64 v1, v12, -v12, vcc_lo
	v_cmp_gt_f32_e32 vcc_lo, 0, v11
	v_cndmask_b32_e64 v2, v11, -v11, vcc_lo
	s_delay_alu instid0(VALU_DEP_1)
	v_cmpx_ge_f32_e32 v1, v2
	s_xor_b32 s3, exec_lo, s2
	s_cbranch_execz .LBB297_116
; %bb.111:                              ;   in Loop: Header=BB297_4 Depth=1
	v_cmp_neq_f32_e32 vcc_lo, 0, v12
	v_cmp_neq_f32_e64 s2, 0, v11
                                        ; implicit-def: $vgpr10
	s_delay_alu instid0(VALU_DEP_1) | instskip(NEXT) | instid1(SALU_CYCLE_1)
	s_or_b32 s2, vcc_lo, s2
	s_and_saveexec_b32 s20, s2
	s_delay_alu instid0(SALU_CYCLE_1)
	s_xor_b32 s2, exec_lo, s20
	s_cbranch_execz .LBB297_113
; %bb.112:                              ;   in Loop: Header=BB297_4 Depth=1
	v_div_scale_f32 v1, null, v12, v12, v11
	v_div_scale_f32 v10, vcc_lo, v11, v12, v11
	s_delay_alu instid0(VALU_DEP_2) | instskip(SKIP_2) | instid1(VALU_DEP_1)
	v_rcp_f32_e32 v2, v1
	s_waitcnt_depctr 0xfff
	v_fma_f32 v9, -v1, v2, 1.0
	v_fmac_f32_e32 v2, v9, v2
	s_delay_alu instid0(VALU_DEP_1) | instskip(NEXT) | instid1(VALU_DEP_1)
	v_mul_f32_e32 v9, v10, v2
	v_fma_f32 v16, -v1, v9, v10
	s_delay_alu instid0(VALU_DEP_1) | instskip(NEXT) | instid1(VALU_DEP_1)
	v_fmac_f32_e32 v9, v16, v2
	v_fma_f32 v1, -v1, v9, v10
	s_delay_alu instid0(VALU_DEP_1) | instskip(NEXT) | instid1(VALU_DEP_1)
	v_div_fmas_f32 v1, v1, v2, v9
	v_div_fixup_f32 v1, v1, v12, v11
	s_delay_alu instid0(VALU_DEP_1) | instskip(NEXT) | instid1(VALU_DEP_1)
	v_fmac_f32_e32 v12, v11, v1
	v_div_scale_f32 v2, null, v12, v12, 1.0
	v_div_scale_f32 v11, vcc_lo, 1.0, v12, 1.0
	s_delay_alu instid0(VALU_DEP_2) | instskip(SKIP_2) | instid1(VALU_DEP_1)
	v_rcp_f32_e32 v9, v2
	s_waitcnt_depctr 0xfff
	v_fma_f32 v10, -v2, v9, 1.0
	v_fmac_f32_e32 v9, v10, v9
	s_delay_alu instid0(VALU_DEP_1) | instskip(NEXT) | instid1(VALU_DEP_1)
	v_mul_f32_e32 v10, v11, v9
	v_fma_f32 v16, -v2, v10, v11
	s_delay_alu instid0(VALU_DEP_1) | instskip(NEXT) | instid1(VALU_DEP_1)
	v_fmac_f32_e32 v10, v16, v9
	v_fma_f32 v2, -v2, v10, v11
	s_delay_alu instid0(VALU_DEP_1) | instskip(SKIP_1) | instid1(VALU_DEP_2)
	v_div_fmas_f32 v2, v2, v9, v10
	v_fma_f32 v9, v1, 0, 1.0
	v_div_fixup_f32 v2, v2, v12, 1.0
	s_delay_alu instid0(VALU_DEP_1)
	v_mul_f32_e32 v9, v9, v2
	v_mul_f32_e64 v10, -v1, v2
                                        ; implicit-def: $vgpr1
                                        ; implicit-def: $vgpr2
.LBB297_113:                            ;   in Loop: Header=BB297_4 Depth=1
	s_and_not1_saveexec_b32 s20, s2
	s_cbranch_execz .LBB297_115
; %bb.114:                              ;   in Loop: Header=BB297_4 Depth=1
	v_div_scale_f32 v9, null, v1, v1, 1.0
	v_div_scale_f32 v10, null, v2, v2, 0
	v_div_scale_f32 v18, vcc_lo, 1.0, v1, 1.0
	s_delay_alu instid0(VALU_DEP_3) | instskip(NEXT) | instid1(VALU_DEP_2)
	v_rcp_f32_e32 v11, v9
	v_rcp_f32_e32 v12, v10
	s_waitcnt_depctr 0xfff
	v_fma_f32 v16, -v9, v11, 1.0
	v_fma_f32 v17, -v10, v12, 1.0
	s_delay_alu instid0(VALU_DEP_1) | instskip(SKIP_1) | instid1(VALU_DEP_2)
	v_dual_fmac_f32 v11, v16, v11 :: v_dual_fmac_f32 v12, v17, v12
	v_div_scale_f32 v16, s2, 0, v2, 0
	v_mul_f32_e32 v17, v18, v11
	s_delay_alu instid0(VALU_DEP_2) | instskip(NEXT) | instid1(VALU_DEP_2)
	v_mul_f32_e32 v19, v16, v12
	v_fma_f32 v20, -v9, v17, v18
	s_delay_alu instid0(VALU_DEP_2) | instskip(NEXT) | instid1(VALU_DEP_2)
	v_fma_f32 v21, -v10, v19, v16
	v_fmac_f32_e32 v17, v20, v11
	s_delay_alu instid0(VALU_DEP_2) | instskip(NEXT) | instid1(VALU_DEP_2)
	v_fmac_f32_e32 v19, v21, v12
	v_fma_f32 v9, -v9, v17, v18
	s_delay_alu instid0(VALU_DEP_2) | instskip(NEXT) | instid1(VALU_DEP_2)
	v_fma_f32 v10, -v10, v19, v16
	v_div_fmas_f32 v9, v9, v11, v17
	s_mov_b32 vcc_lo, s2
	s_delay_alu instid0(VALU_DEP_2) | instskip(NEXT) | instid1(VALU_DEP_2)
	v_div_fmas_f32 v10, v10, v12, v19
	v_div_fixup_f32 v9, v9, v1, 1.0
	s_delay_alu instid0(VALU_DEP_2)
	v_div_fixup_f32 v10, v10, v2, 0
.LBB297_115:                            ;   in Loop: Header=BB297_4 Depth=1
	s_or_b32 exec_lo, exec_lo, s20
                                        ; implicit-def: $vgpr11
                                        ; implicit-def: $vgpr12
.LBB297_116:                            ;   in Loop: Header=BB297_4 Depth=1
	s_and_not1_saveexec_b32 s2, s3
	s_cbranch_execz .LBB297_118
; %bb.117:                              ;   in Loop: Header=BB297_4 Depth=1
	v_div_scale_f32 v1, null, v11, v11, v12
	v_div_scale_f32 v10, vcc_lo, v12, v11, v12
	s_delay_alu instid0(VALU_DEP_2) | instskip(SKIP_2) | instid1(VALU_DEP_1)
	v_rcp_f32_e32 v2, v1
	s_waitcnt_depctr 0xfff
	v_fma_f32 v9, -v1, v2, 1.0
	v_fmac_f32_e32 v2, v9, v2
	s_delay_alu instid0(VALU_DEP_1) | instskip(NEXT) | instid1(VALU_DEP_1)
	v_mul_f32_e32 v9, v10, v2
	v_fma_f32 v16, -v1, v9, v10
	s_delay_alu instid0(VALU_DEP_1) | instskip(NEXT) | instid1(VALU_DEP_1)
	v_fmac_f32_e32 v9, v16, v2
	v_fma_f32 v1, -v1, v9, v10
	s_delay_alu instid0(VALU_DEP_1) | instskip(NEXT) | instid1(VALU_DEP_1)
	v_div_fmas_f32 v1, v1, v2, v9
	v_div_fixup_f32 v1, v1, v11, v12
	s_delay_alu instid0(VALU_DEP_1) | instskip(NEXT) | instid1(VALU_DEP_1)
	v_fmac_f32_e32 v11, v12, v1
	v_div_scale_f32 v2, null, v11, v11, 1.0
	v_div_scale_f32 v12, vcc_lo, 1.0, v11, 1.0
	s_delay_alu instid0(VALU_DEP_2) | instskip(SKIP_2) | instid1(VALU_DEP_1)
	v_rcp_f32_e32 v9, v2
	s_waitcnt_depctr 0xfff
	v_fma_f32 v10, -v2, v9, 1.0
	v_fmac_f32_e32 v9, v10, v9
	s_delay_alu instid0(VALU_DEP_1) | instskip(NEXT) | instid1(VALU_DEP_1)
	v_mul_f32_e32 v10, v12, v9
	v_fma_f32 v16, -v2, v10, v12
	s_delay_alu instid0(VALU_DEP_1) | instskip(NEXT) | instid1(VALU_DEP_1)
	v_fmac_f32_e32 v10, v16, v9
	v_fma_f32 v2, -v2, v10, v12
	s_delay_alu instid0(VALU_DEP_1) | instskip(SKIP_2) | instid1(VALU_DEP_3)
	v_div_fmas_f32 v2, v2, v9, v10
	v_add_f32_e32 v9, 0, v1
	v_fma_f32 v1, v1, 0, -1.0
	v_div_fixup_f32 v2, v2, v11, 1.0
	s_delay_alu instid0(VALU_DEP_1) | instskip(NEXT) | instid1(VALU_DEP_3)
	v_mul_f32_e32 v9, v9, v2
	v_mul_f32_e32 v10, v1, v2
.LBB297_118:                            ;   in Loop: Header=BB297_4 Depth=1
	s_or_b32 exec_lo, exec_lo, s2
	v_cmp_neq_f32_e32 vcc_lo, 0, v3
	v_cmp_neq_f32_e64 s2, 0, v4
	v_mov_b32_e32 v1, 0
	s_delay_alu instid0(VALU_DEP_2) | instskip(NEXT) | instid1(SALU_CYCLE_1)
	s_or_b32 s2, vcc_lo, s2
	s_and_saveexec_b32 s20, s2
	s_cbranch_execz .LBB297_148
; %bb.119:                              ;   in Loop: Header=BB297_4 Depth=1
	v_mov_b32_e32 v1, 0x7f800000
	s_mov_b32 s21, exec_lo
	v_cmpx_neq_f32_e64 0x7f800000, |v4|
	s_cbranch_execz .LBB297_147
; %bb.120:                              ;   in Loop: Header=BB297_4 Depth=1
	s_mov_b32 s2, exec_lo
	v_cmpx_o_f32_e32 v3, v3
	s_xor_b32 s22, exec_lo, s2
	s_cbranch_execz .LBB297_144
; %bb.121:                              ;   in Loop: Header=BB297_4 Depth=1
	s_mov_b32 s3, exec_lo
	v_cmpx_neq_f32_e64 0x7f800000, |v3|
	s_xor_b32 s23, exec_lo, s3
	s_cbranch_execz .LBB297_137
; %bb.122:                              ;   in Loop: Header=BB297_4 Depth=1
	v_max_f32_e64 v1, |v4|, |v4|
	v_max_f32_e64 v2, |v3|, |v3|
                                        ; implicit-def: $sgpr24
	s_delay_alu instid0(VALU_DEP_1) | instskip(NEXT) | instid1(VALU_DEP_1)
	v_max_f32_e32 v1, v2, v1
	v_cmp_nle_f32_e64 s2, 0x7ed413cb, v1
	s_delay_alu instid0(VALU_DEP_1) | instskip(NEXT) | instid1(SALU_CYCLE_1)
	s_and_saveexec_b32 s3, s2
	s_xor_b32 s3, exec_lo, s3
	s_cbranch_execz .LBB297_126
; %bb.123:                              ;   in Loop: Header=BB297_4 Depth=1
	v_cmp_ge_f32_e64 s24, 0x1000000, |v3|
	v_cmp_ge_f32_e64 s25, 0x1000000, |v4|
	s_delay_alu instid0(VALU_DEP_1)
	s_and_b32 s26, s24, s25
	s_mov_b32 s24, 0
	s_and_saveexec_b32 s25, s26
; %bb.124:                              ;   in Loop: Header=BB297_4 Depth=1
	v_dual_mul_f32 v3, 4.0, v3 :: v_dual_mul_f32 v4, 4.0, v4
	s_mov_b32 s24, exec_lo
; %bb.125:                              ;   in Loop: Header=BB297_4 Depth=1
	s_or_b32 exec_lo, exec_lo, s25
	s_delay_alu instid0(SALU_CYCLE_1)
	s_and_b32 s24, s24, exec_lo
.LBB297_126:                            ;   in Loop: Header=BB297_4 Depth=1
	s_and_not1_saveexec_b32 s3, s3
; %bb.127:                              ;   in Loop: Header=BB297_4 Depth=1
	v_dual_mul_f32 v3, 0x3e800000, v3 :: v_dual_mul_f32 v4, 0x3e800000, v4
	s_and_not1_b32 s24, s24, exec_lo
; %bb.128:                              ;   in Loop: Header=BB297_4 Depth=1
	s_or_b32 exec_lo, exec_lo, s3
	s_delay_alu instid0(VALU_DEP_1) | instskip(NEXT) | instid1(VALU_DEP_2)
	v_max_f32_e64 v1, |v4|, |v4|
	v_max_f32_e64 v2, |v3|, |v3|
	s_delay_alu instid0(VALU_DEP_1) | instskip(NEXT) | instid1(VALU_DEP_1)
	v_max_f32_e32 v11, v2, v1
	v_cvt_f64_f32_e32 v[1:2], v11
	s_delay_alu instid0(VALU_DEP_1) | instskip(NEXT) | instid1(VALU_DEP_1)
	v_frexp_exp_i32_f64_e32 v1, v[1:2]
	v_sub_nc_u32_e32 v2, 0, v1
	s_delay_alu instid0(VALU_DEP_1) | instskip(SKIP_1) | instid1(VALU_DEP_2)
	v_ldexp_f32 v12, |v4|, v2
	v_ldexp_f32 v2, |v3|, v2
	v_mul_f32_e32 v12, v12, v12
	v_cmp_neq_f32_e64 s3, 0x7f800000, v11
	s_delay_alu instid0(VALU_DEP_2) | instskip(NEXT) | instid1(VALU_DEP_1)
	v_fmac_f32_e32 v12, v2, v2
	v_sqrt_f32_e32 v2, v12
	s_waitcnt_depctr 0xfff
	v_ldexp_f32 v1, v2, v1
                                        ; implicit-def: $vgpr2
	s_delay_alu instid0(VALU_DEP_1)
	v_cndmask_b32_e64 v11, 0x7f800000, v1, s3
                                        ; implicit-def: $vgpr1
	s_mov_b32 s3, exec_lo
	v_cmpx_le_f32_e32 0, v3
	s_xor_b32 s25, exec_lo, s3
	s_cbranch_execz .LBB297_130
; %bb.129:                              ;   in Loop: Header=BB297_4 Depth=1
	v_add_f32_e32 v1, v3, v11
	s_delay_alu instid0(VALU_DEP_1) | instskip(NEXT) | instid1(VALU_DEP_1)
	v_mul_f32_e32 v1, 0.5, v1
	v_mul_f32_e32 v2, 0x4f800000, v1
	v_cmp_gt_f32_e32 vcc_lo, 0xf800000, v1
	s_delay_alu instid0(VALU_DEP_2) | instskip(NEXT) | instid1(VALU_DEP_1)
	v_cndmask_b32_e32 v1, v1, v2, vcc_lo
	v_sqrt_f32_e32 v2, v1
	s_waitcnt_depctr 0xfff
	v_add_nc_u32_e32 v3, -1, v2
	v_add_nc_u32_e32 v11, 1, v2
	s_delay_alu instid0(VALU_DEP_2) | instskip(NEXT) | instid1(VALU_DEP_2)
	v_fma_f32 v12, -v3, v2, v1
	v_fma_f32 v16, -v11, v2, v1
	s_delay_alu instid0(VALU_DEP_2) | instskip(NEXT) | instid1(VALU_DEP_1)
	v_cmp_ge_f32_e64 s3, 0, v12
	v_cndmask_b32_e64 v2, v2, v3, s3
	s_delay_alu instid0(VALU_DEP_3) | instskip(NEXT) | instid1(VALU_DEP_1)
	v_cmp_lt_f32_e64 s3, 0, v16
	v_cndmask_b32_e64 v2, v2, v11, s3
	s_delay_alu instid0(VALU_DEP_1) | instskip(NEXT) | instid1(VALU_DEP_1)
	v_mul_f32_e32 v3, 0x37800000, v2
	v_cndmask_b32_e32 v2, v2, v3, vcc_lo
	v_cmp_class_f32_e64 vcc_lo, v1, 0x260
	s_delay_alu instid0(VALU_DEP_2) | instskip(NEXT) | instid1(VALU_DEP_1)
	v_cndmask_b32_e32 v1, v2, v1, vcc_lo
	v_add_f32_e32 v2, v1, v1
	s_delay_alu instid0(VALU_DEP_1) | instskip(NEXT) | instid1(VALU_DEP_1)
	v_div_scale_f32 v3, null, v2, v2, v4
	v_rcp_f32_e32 v11, v3
	s_waitcnt_depctr 0xfff
	v_fma_f32 v12, -v3, v11, 1.0
	s_delay_alu instid0(VALU_DEP_1) | instskip(SKIP_1) | instid1(VALU_DEP_1)
	v_fmac_f32_e32 v11, v12, v11
	v_div_scale_f32 v12, vcc_lo, v4, v2, v4
	v_mul_f32_e32 v16, v12, v11
	s_delay_alu instid0(VALU_DEP_1) | instskip(NEXT) | instid1(VALU_DEP_1)
	v_fma_f32 v17, -v3, v16, v12
	v_fmac_f32_e32 v16, v17, v11
	s_delay_alu instid0(VALU_DEP_1) | instskip(NEXT) | instid1(VALU_DEP_1)
	v_fma_f32 v3, -v3, v16, v12
	v_div_fmas_f32 v3, v3, v11, v16
                                        ; implicit-def: $vgpr11
	s_delay_alu instid0(VALU_DEP_1)
	v_div_fixup_f32 v2, v3, v2, v4
                                        ; implicit-def: $vgpr3
	s_and_not1_saveexec_b32 s25, s25
	s_cbranch_execz .LBB297_132
	s_branch .LBB297_131
.LBB297_130:                            ;   in Loop: Header=BB297_4 Depth=1
	s_and_not1_saveexec_b32 s25, s25
	s_cbranch_execz .LBB297_132
.LBB297_131:                            ;   in Loop: Header=BB297_4 Depth=1
	v_sub_f32_e32 v1, v11, v3
	s_delay_alu instid0(VALU_DEP_1) | instskip(NEXT) | instid1(VALU_DEP_1)
	v_mul_f32_e32 v1, 0.5, v1
	v_mul_f32_e32 v2, 0x4f800000, v1
	v_cmp_gt_f32_e32 vcc_lo, 0xf800000, v1
	s_delay_alu instid0(VALU_DEP_2) | instskip(NEXT) | instid1(VALU_DEP_1)
	v_cndmask_b32_e32 v1, v1, v2, vcc_lo
	v_sqrt_f32_e32 v2, v1
	s_waitcnt_depctr 0xfff
	v_add_nc_u32_e32 v3, -1, v2
	v_add_nc_u32_e32 v11, 1, v2
	s_delay_alu instid0(VALU_DEP_2) | instskip(NEXT) | instid1(VALU_DEP_2)
	v_fma_f32 v12, -v3, v2, v1
	v_fma_f32 v16, -v11, v2, v1
	s_delay_alu instid0(VALU_DEP_2) | instskip(NEXT) | instid1(VALU_DEP_1)
	v_cmp_ge_f32_e64 s3, 0, v12
	v_cndmask_b32_e64 v2, v2, v3, s3
	s_delay_alu instid0(VALU_DEP_3) | instskip(NEXT) | instid1(VALU_DEP_1)
	v_cmp_lt_f32_e64 s3, 0, v16
	v_cndmask_b32_e64 v2, v2, v11, s3
	s_delay_alu instid0(VALU_DEP_1) | instskip(NEXT) | instid1(VALU_DEP_1)
	v_mul_f32_e32 v3, 0x37800000, v2
	v_cndmask_b32_e32 v2, v2, v3, vcc_lo
	v_cmp_class_f32_e64 vcc_lo, v1, 0x260
	s_delay_alu instid0(VALU_DEP_2) | instskip(NEXT) | instid1(VALU_DEP_1)
	v_dual_cndmask_b32 v2, v2, v1 :: v_dual_and_b32 v1, 0x7fffffff, v4
	v_add_f32_e32 v3, v2, v2
	v_bfi_b32 v2, 0x7fffffff, v2, v4
	s_delay_alu instid0(VALU_DEP_2) | instskip(SKIP_1) | instid1(VALU_DEP_2)
	v_div_scale_f32 v11, null, v3, v3, v1
	v_div_scale_f32 v1, vcc_lo, v1, v3, v1
	v_rcp_f32_e32 v12, v11
	s_waitcnt_depctr 0xfff
	v_fma_f32 v16, -v11, v12, 1.0
	s_delay_alu instid0(VALU_DEP_1) | instskip(NEXT) | instid1(VALU_DEP_1)
	v_fmac_f32_e32 v12, v16, v12
	v_mul_f32_e32 v16, v1, v12
	s_delay_alu instid0(VALU_DEP_1) | instskip(NEXT) | instid1(VALU_DEP_1)
	v_fma_f32 v17, -v11, v16, v1
	v_fmac_f32_e32 v16, v17, v12
	s_delay_alu instid0(VALU_DEP_1) | instskip(NEXT) | instid1(VALU_DEP_1)
	v_fma_f32 v1, -v11, v16, v1
	v_div_fmas_f32 v1, v1, v12, v16
	s_delay_alu instid0(VALU_DEP_1)
	v_div_fixup_f32 v1, v1, v3, |v4|
.LBB297_132:                            ;   in Loop: Header=BB297_4 Depth=1
	s_or_b32 exec_lo, exec_lo, s25
                                        ; implicit-def: $vgpr4
	s_and_saveexec_b32 s3, s2
	s_delay_alu instid0(SALU_CYCLE_1)
	s_xor_b32 s2, exec_lo, s3
	s_cbranch_execz .LBB297_134
; %bb.133:                              ;   in Loop: Header=BB297_4 Depth=1
	v_dual_mul_f32 v3, 0.5, v1 :: v_dual_mul_f32 v4, 0.5, v2
	s_delay_alu instid0(VALU_DEP_1) | instskip(NEXT) | instid1(VALU_DEP_2)
	v_cndmask_b32_e64 v3, v1, v3, s24
	v_cndmask_b32_e64 v4, v2, v4, s24
                                        ; implicit-def: $vgpr1
                                        ; implicit-def: $vgpr2
	s_and_not1_saveexec_b32 s2, s2
	s_cbranch_execnz .LBB297_135
	s_branch .LBB297_136
.LBB297_134:                            ;   in Loop: Header=BB297_4 Depth=1
	s_and_not1_saveexec_b32 s2, s2
.LBB297_135:                            ;   in Loop: Header=BB297_4 Depth=1
	v_dual_add_f32 v3, v1, v1 :: v_dual_add_f32 v4, v2, v2
.LBB297_136:                            ;   in Loop: Header=BB297_4 Depth=1
	s_or_b32 exec_lo, exec_lo, s2
.LBB297_137:                            ;   in Loop: Header=BB297_4 Depth=1
	s_and_not1_saveexec_b32 s2, s23
	s_cbranch_execz .LBB297_143
; %bb.138:                              ;   in Loop: Header=BB297_4 Depth=1
	s_delay_alu instid0(VALU_DEP_1)
	v_sub_f32_e32 v1, v4, v4
	s_mov_b32 s3, exec_lo
	v_cmpx_lt_i32_e32 -1, v3
	s_xor_b32 s3, exec_lo, s3
; %bb.139:                              ;   in Loop: Header=BB297_4 Depth=1
	s_delay_alu instid0(VALU_DEP_2)
	v_bfi_b32 v4, 0x7fffffff, v1, v4
                                        ; implicit-def: $vgpr1
; %bb.140:                              ;   in Loop: Header=BB297_4 Depth=1
	s_and_not1_saveexec_b32 s3, s3
; %bb.141:                              ;   in Loop: Header=BB297_4 Depth=1
	v_and_b32_e32 v1, 0x7fffffff, v1
	s_delay_alu instid0(VALU_DEP_2) | instskip(NEXT) | instid1(VALU_DEP_2)
	v_bfi_b32 v4, 0x7fffffff, v3, v4
	v_mov_b32_e32 v3, v1
; %bb.142:                              ;   in Loop: Header=BB297_4 Depth=1
	s_or_b32 exec_lo, exec_lo, s3
.LBB297_143:                            ;   in Loop: Header=BB297_4 Depth=1
	s_delay_alu instid0(SALU_CYCLE_1)
	s_or_b32 exec_lo, exec_lo, s2
.LBB297_144:                            ;   in Loop: Header=BB297_4 Depth=1
	s_and_not1_saveexec_b32 s2, s22
; %bb.145:                              ;   in Loop: Header=BB297_4 Depth=1
	v_sub_f32_e32 v1, v4, v4
	s_delay_alu instid0(VALU_DEP_1) | instskip(NEXT) | instid1(VALU_DEP_1)
	v_div_scale_f32 v2, vcc_lo, v1, v1, v1
	v_rcp_f32_e32 v4, v2
	s_waitcnt_depctr 0xfff
	v_fma_f32 v11, -v2, v4, 1.0
	s_delay_alu instid0(VALU_DEP_1) | instskip(NEXT) | instid1(VALU_DEP_1)
	v_fmac_f32_e32 v4, v11, v4
	v_mul_f32_e32 v11, v2, v4
	s_delay_alu instid0(VALU_DEP_1) | instskip(NEXT) | instid1(VALU_DEP_1)
	v_fma_f32 v12, -v2, v11, v2
	v_fmac_f32_e32 v11, v12, v4
	s_delay_alu instid0(VALU_DEP_1) | instskip(NEXT) | instid1(VALU_DEP_1)
	v_fma_f32 v2, -v2, v11, v2
	v_div_fmas_f32 v2, v2, v4, v11
	s_delay_alu instid0(VALU_DEP_1)
	v_div_fixup_f32 v4, v2, v1, v1
; %bb.146:                              ;   in Loop: Header=BB297_4 Depth=1
	s_or_b32 exec_lo, exec_lo, s2
	v_mov_b32_e32 v1, v3
.LBB297_147:                            ;   in Loop: Header=BB297_4 Depth=1
	s_or_b32 exec_lo, exec_lo, s21
.LBB297_148:                            ;   in Loop: Header=BB297_4 Depth=1
	s_delay_alu instid0(SALU_CYCLE_1) | instskip(NEXT) | instid1(VALU_DEP_1)
	s_or_b32 exec_lo, exec_lo, s20
	v_cmp_gt_f32_e32 vcc_lo, 0, v1
	s_mov_b32 s2, exec_lo
	v_cndmask_b32_e64 v2, v1, -v1, vcc_lo
	v_cmp_gt_f32_e32 vcc_lo, 0, v4
	v_cndmask_b32_e64 v3, v4, -v4, vcc_lo
	s_delay_alu instid0(VALU_DEP_1)
	v_cmpx_ge_f32_e32 v2, v3
	s_xor_b32 s3, exec_lo, s2
	s_cbranch_execz .LBB297_154
; %bb.149:                              ;   in Loop: Header=BB297_4 Depth=1
	v_cmp_neq_f32_e32 vcc_lo, 0, v1
	v_cmp_neq_f32_e64 s2, 0, v4
	s_delay_alu instid0(VALU_DEP_1) | instskip(NEXT) | instid1(SALU_CYCLE_1)
	s_or_b32 s2, vcc_lo, s2
	s_and_saveexec_b32 s20, s2
	s_delay_alu instid0(SALU_CYCLE_1)
	s_xor_b32 s2, exec_lo, s20
	s_cbranch_execz .LBB297_151
; %bb.150:                              ;   in Loop: Header=BB297_4 Depth=1
	v_div_scale_f32 v2, null, v1, v1, v4
	v_div_scale_f32 v12, vcc_lo, v4, v1, v4
	s_delay_alu instid0(VALU_DEP_2) | instskip(SKIP_2) | instid1(VALU_DEP_1)
	v_rcp_f32_e32 v3, v2
	s_waitcnt_depctr 0xfff
	v_fma_f32 v11, -v2, v3, 1.0
	v_fmac_f32_e32 v3, v11, v3
	s_delay_alu instid0(VALU_DEP_1) | instskip(NEXT) | instid1(VALU_DEP_1)
	v_mul_f32_e32 v11, v12, v3
	v_fma_f32 v16, -v2, v11, v12
	s_delay_alu instid0(VALU_DEP_1) | instskip(NEXT) | instid1(VALU_DEP_1)
	v_fmac_f32_e32 v11, v16, v3
	v_fma_f32 v2, -v2, v11, v12
	s_delay_alu instid0(VALU_DEP_1) | instskip(NEXT) | instid1(VALU_DEP_1)
	v_div_fmas_f32 v2, v2, v3, v11
	v_div_fixup_f32 v2, v2, v1, v4
	s_delay_alu instid0(VALU_DEP_1) | instskip(NEXT) | instid1(VALU_DEP_1)
	v_fmac_f32_e32 v1, v4, v2
	v_div_scale_f32 v3, null, v1, v1, 1.0
	s_delay_alu instid0(VALU_DEP_1) | instskip(SKIP_2) | instid1(VALU_DEP_1)
	v_rcp_f32_e32 v4, v3
	s_waitcnt_depctr 0xfff
	v_fma_f32 v11, -v3, v4, 1.0
	v_fmac_f32_e32 v4, v11, v4
	v_div_scale_f32 v12, vcc_lo, 1.0, v1, 1.0
	s_delay_alu instid0(VALU_DEP_1) | instskip(NEXT) | instid1(VALU_DEP_1)
	v_mul_f32_e32 v11, v12, v4
	v_fma_f32 v16, -v3, v11, v12
	s_delay_alu instid0(VALU_DEP_1) | instskip(NEXT) | instid1(VALU_DEP_1)
	v_fmac_f32_e32 v11, v16, v4
	v_fma_f32 v3, -v3, v11, v12
	s_delay_alu instid0(VALU_DEP_1) | instskip(SKIP_1) | instid1(VALU_DEP_2)
	v_div_fmas_f32 v3, v3, v4, v11
	v_fma_f32 v4, v2, 0, 1.0
	v_div_fixup_f32 v1, v3, v1, 1.0
                                        ; implicit-def: $vgpr3
	s_delay_alu instid0(VALU_DEP_1)
	v_mul_f32_e32 v11, v4, v1
	v_mul_f32_e64 v12, -v2, v1
                                        ; implicit-def: $vgpr2
.LBB297_151:                            ;   in Loop: Header=BB297_4 Depth=1
	s_and_not1_saveexec_b32 s20, s2
	s_cbranch_execz .LBB297_153
; %bb.152:                              ;   in Loop: Header=BB297_4 Depth=1
	v_div_scale_f32 v1, null, v2, v2, 1.0
	v_div_scale_f32 v4, null, v3, v3, 0
	v_div_scale_f32 v18, vcc_lo, 1.0, v2, 1.0
	s_delay_alu instid0(VALU_DEP_3) | instskip(NEXT) | instid1(VALU_DEP_2)
	v_rcp_f32_e32 v11, v1
	v_rcp_f32_e32 v12, v4
	s_waitcnt_depctr 0xfff
	v_fma_f32 v16, -v1, v11, 1.0
	v_fma_f32 v17, -v4, v12, 1.0
	s_delay_alu instid0(VALU_DEP_1) | instskip(SKIP_1) | instid1(VALU_DEP_2)
	v_dual_fmac_f32 v11, v16, v11 :: v_dual_fmac_f32 v12, v17, v12
	v_div_scale_f32 v16, s2, 0, v3, 0
	v_mul_f32_e32 v17, v18, v11
	s_delay_alu instid0(VALU_DEP_2) | instskip(NEXT) | instid1(VALU_DEP_2)
	v_mul_f32_e32 v19, v16, v12
	v_fma_f32 v20, -v1, v17, v18
	s_delay_alu instid0(VALU_DEP_2) | instskip(NEXT) | instid1(VALU_DEP_2)
	v_fma_f32 v21, -v4, v19, v16
	v_fmac_f32_e32 v17, v20, v11
	s_delay_alu instid0(VALU_DEP_2) | instskip(NEXT) | instid1(VALU_DEP_2)
	v_fmac_f32_e32 v19, v21, v12
	v_fma_f32 v1, -v1, v17, v18
	s_delay_alu instid0(VALU_DEP_2) | instskip(NEXT) | instid1(VALU_DEP_2)
	v_fma_f32 v4, -v4, v19, v16
	v_div_fmas_f32 v1, v1, v11, v17
	s_mov_b32 vcc_lo, s2
	s_delay_alu instid0(VALU_DEP_2) | instskip(NEXT) | instid1(VALU_DEP_2)
	v_div_fmas_f32 v4, v4, v12, v19
	v_div_fixup_f32 v11, v1, v2, 1.0
	s_delay_alu instid0(VALU_DEP_2)
	v_div_fixup_f32 v12, v4, v3, 0
.LBB297_153:                            ;   in Loop: Header=BB297_4 Depth=1
	s_or_b32 exec_lo, exec_lo, s20
                                        ; implicit-def: $vgpr4
                                        ; implicit-def: $vgpr1
.LBB297_154:                            ;   in Loop: Header=BB297_4 Depth=1
	s_and_not1_saveexec_b32 s2, s3
	s_cbranch_execz .LBB297_3
; %bb.155:                              ;   in Loop: Header=BB297_4 Depth=1
	v_div_scale_f32 v2, null, v4, v4, v1
	v_div_scale_f32 v12, vcc_lo, v1, v4, v1
	s_delay_alu instid0(VALU_DEP_2) | instskip(SKIP_2) | instid1(VALU_DEP_1)
	v_rcp_f32_e32 v3, v2
	s_waitcnt_depctr 0xfff
	v_fma_f32 v11, -v2, v3, 1.0
	v_fmac_f32_e32 v3, v11, v3
	s_delay_alu instid0(VALU_DEP_1) | instskip(NEXT) | instid1(VALU_DEP_1)
	v_mul_f32_e32 v11, v12, v3
	v_fma_f32 v16, -v2, v11, v12
	s_delay_alu instid0(VALU_DEP_1) | instskip(NEXT) | instid1(VALU_DEP_1)
	v_fmac_f32_e32 v11, v16, v3
	v_fma_f32 v2, -v2, v11, v12
	s_delay_alu instid0(VALU_DEP_1) | instskip(NEXT) | instid1(VALU_DEP_1)
	v_div_fmas_f32 v2, v2, v3, v11
	v_div_fixup_f32 v2, v2, v4, v1
	s_delay_alu instid0(VALU_DEP_1) | instskip(NEXT) | instid1(VALU_DEP_1)
	v_fmac_f32_e32 v4, v1, v2
	v_div_scale_f32 v1, null, v4, v4, 1.0
	v_div_scale_f32 v12, vcc_lo, 1.0, v4, 1.0
	s_delay_alu instid0(VALU_DEP_2) | instskip(SKIP_2) | instid1(VALU_DEP_1)
	v_rcp_f32_e32 v3, v1
	s_waitcnt_depctr 0xfff
	v_fma_f32 v11, -v1, v3, 1.0
	v_fmac_f32_e32 v3, v11, v3
	s_delay_alu instid0(VALU_DEP_1) | instskip(NEXT) | instid1(VALU_DEP_1)
	v_mul_f32_e32 v11, v12, v3
	v_fma_f32 v16, -v1, v11, v12
	s_delay_alu instid0(VALU_DEP_1) | instskip(NEXT) | instid1(VALU_DEP_1)
	v_fmac_f32_e32 v11, v16, v3
	v_fma_f32 v1, -v1, v11, v12
	s_delay_alu instid0(VALU_DEP_1) | instskip(SKIP_2) | instid1(VALU_DEP_3)
	v_div_fmas_f32 v1, v1, v3, v11
	v_add_f32_e32 v3, 0, v2
	v_fma_f32 v2, v2, 0, -1.0
	v_div_fixup_f32 v1, v1, v4, 1.0
	s_delay_alu instid0(VALU_DEP_1) | instskip(NEXT) | instid1(VALU_DEP_4)
	v_mul_f32_e32 v12, v2, v1
	v_mul_f32_e32 v11, v3, v1
	s_branch .LBB297_3
.LBB297_156:
	s_or_b32 exec_lo, exec_lo, s16
	s_mov_b32 s2, 0
.LBB297_157:
	s_delay_alu instid0(SALU_CYCLE_1)
	s_and_not1_b32 vcc_lo, exec_lo, s2
	s_cbranch_vccnz .LBB297_329
; %bb.158:
	v_cmp_lt_i64_e64 s2, s[8:9], 1
	s_delay_alu instid0(VALU_DEP_1)
	s_and_b32 vcc_lo, exec_lo, s2
	s_cbranch_vccnz .LBB297_329
; %bb.159:
	s_load_b32 s0, s[0:1], 0xc5c
	v_mov_b32_e32 v1, 0
	v_lshl_or_b32 v2, v0, 3, 4
	v_cmp_gt_u64_e64 s1, 0x10000, s[8:9]
	s_mov_b32 s11, 0
	s_delay_alu instid0(VALU_DEP_3) | instskip(NEXT) | instid1(VALU_DEP_3)
	v_mov_b32_e32 v3, v1
	v_add_co_u32 v13, s2, s4, v2
	s_delay_alu instid0(VALU_DEP_1) | instskip(SKIP_1) | instid1(VALU_DEP_1)
	v_add_co_ci_u32_e64 v14, null, s5, 0, s2
	v_add_co_u32 v15, s2, s14, v2
	v_add_co_ci_u32_e64 v16, null, s15, 0, s2
	s_waitcnt lgkmcnt(0)
	s_and_b32 s16, s0, 0xffff
	s_and_b32 s0, s1, exec_lo
	v_add_lshl_u32 v6, v0, s16, 3
	v_mad_u64_u32 v[4:5], null, s16, 24, v[2:3]
	s_cselect_b32 s13, s9, 0
	s_cselect_b32 s12, s8, 0x10000
	s_delay_alu instid0(VALU_DEP_2) | instskip(NEXT) | instid1(VALU_DEP_1)
	v_add_co_u32 v17, s0, s14, v6
	v_add_co_ci_u32_e64 v18, null, s15, 0, s0
	v_add_co_u32 v21, s0, s4, v6
	s_delay_alu instid0(VALU_DEP_1)
	v_add_co_ci_u32_e64 v22, null, s5, 0, s0
	s_lshl_b32 s0, s16, 4
	v_add_co_u32 v19, vcc_lo, s4, v4
	v_add_co_u32 v2, s0, v2, s0
	v_add_co_ci_u32_e32 v20, vcc_lo, s5, v5, vcc_lo
	v_add_co_ci_u32_e64 v3, null, 0, 0, s0
	v_add_co_u32 v23, vcc_lo, s14, v4
	v_add_co_ci_u32_e32 v24, vcc_lo, s15, v5, vcc_lo
	v_add_co_u32 v25, vcc_lo, s4, v2
	s_delay_alu instid0(VALU_DEP_4)
	v_add_co_ci_u32_e32 v26, vcc_lo, s5, v3, vcc_lo
	v_add_co_u32 v27, vcc_lo, s14, v2
	v_add_co_ci_u32_e32 v28, vcc_lo, s15, v3, vcc_lo
	s_lshl_b32 s10, s16, 2
	s_lshl_b32 s17, s16, 1
	s_mul_i32 s18, s16, 3
	s_lshl_b32 s19, s16, 5
	s_mov_b64 s[14:15], s[10:11]
	s_branch .LBB297_161
.LBB297_160:                            ;   in Loop: Header=BB297_161 Depth=1
	s_or_b32 exec_lo, exec_lo, s0
	v_add_co_u32 v0, vcc_lo, v0, s10
	v_add_co_ci_u32_e32 v1, vcc_lo, 0, v1, vcc_lo
	v_add_co_u32 v13, vcc_lo, v13, s19
	v_add_co_ci_u32_e32 v14, vcc_lo, 0, v14, vcc_lo
	;; [unrolled: 2-line block ×7, first 2 shown]
	v_cmp_ge_i64_e64 s0, s[14:15], s[8:9]
	v_cmp_lt_u64_e64 s1, 0xffff, s[14:15]
	v_add_co_u32 v25, vcc_lo, v25, s19
	v_add_co_ci_u32_e32 v26, vcc_lo, 0, v26, vcc_lo
	v_add_co_u32 v27, vcc_lo, v27, s19
	v_add_co_ci_u32_e32 v28, vcc_lo, 0, v28, vcc_lo
	s_or_b32 s0, s0, s1
	s_add_u32 s14, s14, s10
	s_addc_u32 s15, s15, 0
	s_and_b32 vcc_lo, exec_lo, s0
	s_cbranch_vccnz .LBB297_329
.LBB297_161:                            ; =>This Inner Loop Header: Depth=1
	v_cmp_gt_u64_e64 s0, s[12:13], v[0:1]
	v_dual_mov_b32 v12, 0 :: v_dual_mov_b32 v11, 0
	s_delay_alu instid0(VALU_DEP_2)
	s_and_saveexec_b32 s1, s0
	s_cbranch_execz .LBB297_163
; %bb.162:                              ;   in Loop: Header=BB297_161 Depth=1
	v_add_co_u32 v2, vcc_lo, v13, s6
	v_add_co_ci_u32_e32 v3, vcc_lo, s7, v14, vcc_lo
	global_load_b64 v[11:12], v[2:3], off offset:-4
.LBB297_163:                            ;   in Loop: Header=BB297_161 Depth=1
	s_or_b32 exec_lo, exec_lo, s1
	v_add_co_u32 v2, vcc_lo, s16, v0
	v_add_co_ci_u32_e32 v3, vcc_lo, 0, v1, vcc_lo
	v_dual_mov_b32 v7, 0 :: v_dual_mov_b32 v10, 0
	v_mov_b32_e32 v9, 0
	s_delay_alu instid0(VALU_DEP_3) | instskip(NEXT) | instid1(VALU_DEP_1)
	v_cmp_gt_u64_e64 s1, s[12:13], v[2:3]
	s_and_saveexec_b32 s2, s1
	s_cbranch_execz .LBB297_165
; %bb.164:                              ;   in Loop: Header=BB297_161 Depth=1
	v_add_co_u32 v2, vcc_lo, v21, s6
	v_add_co_ci_u32_e32 v3, vcc_lo, s7, v22, vcc_lo
	global_load_b64 v[9:10], v[2:3], off
.LBB297_165:                            ;   in Loop: Header=BB297_161 Depth=1
	s_or_b32 exec_lo, exec_lo, s2
	v_add_co_u32 v2, vcc_lo, s17, v0
	v_add_co_ci_u32_e32 v3, vcc_lo, 0, v1, vcc_lo
	v_mov_b32_e32 v6, 0
	s_delay_alu instid0(VALU_DEP_2) | instskip(NEXT) | instid1(VALU_DEP_1)
	v_cmp_gt_u64_e64 s2, s[12:13], v[2:3]
	s_and_saveexec_b32 s3, s2
	s_cbranch_execz .LBB297_167
; %bb.166:                              ;   in Loop: Header=BB297_161 Depth=1
	v_add_co_u32 v2, vcc_lo, v25, s6
	v_add_co_ci_u32_e32 v3, vcc_lo, s7, v26, vcc_lo
	global_load_b64 v[6:7], v[2:3], off offset:-4
.LBB297_167:                            ;   in Loop: Header=BB297_161 Depth=1
	s_or_b32 exec_lo, exec_lo, s3
	v_add_co_u32 v2, vcc_lo, s18, v0
	v_add_co_ci_u32_e32 v3, vcc_lo, 0, v1, vcc_lo
	v_mov_b32_e32 v8, 0
	s_delay_alu instid0(VALU_DEP_2) | instskip(SKIP_1) | instid1(VALU_DEP_2)
	v_cmp_gt_u64_e64 s3, s[12:13], v[2:3]
	v_dual_mov_b32 v3, 0 :: v_dual_mov_b32 v2, 0
	s_and_saveexec_b32 s4, s3
	s_cbranch_execz .LBB297_169
; %bb.168:                              ;   in Loop: Header=BB297_161 Depth=1
	v_add_co_u32 v2, vcc_lo, v19, s6
	v_add_co_ci_u32_e32 v3, vcc_lo, s7, v20, vcc_lo
	global_load_b64 v[2:3], v[2:3], off offset:-4
.LBB297_169:                            ;   in Loop: Header=BB297_161 Depth=1
	s_or_b32 exec_lo, exec_lo, s4
	s_waitcnt vmcnt(0)
	v_cmp_neq_f32_e32 vcc_lo, 0, v11
	v_cmp_neq_f32_e64 s4, 0, v12
	s_delay_alu instid0(VALU_DEP_1) | instskip(NEXT) | instid1(SALU_CYCLE_1)
	s_or_b32 s4, vcc_lo, s4
	s_and_saveexec_b32 s11, s4
	s_cbranch_execz .LBB297_198
; %bb.170:                              ;   in Loop: Header=BB297_161 Depth=1
	v_mov_b32_e32 v8, 0x7f800000
	s_mov_b32 s20, exec_lo
	v_cmpx_neq_f32_e64 0x7f800000, |v12|
	s_cbranch_execz .LBB297_197
; %bb.171:                              ;   in Loop: Header=BB297_161 Depth=1
	s_mov_b32 s4, exec_lo
	v_cmpx_o_f32_e32 v11, v11
	s_xor_b32 s21, exec_lo, s4
	s_cbranch_execz .LBB297_194
; %bb.172:                              ;   in Loop: Header=BB297_161 Depth=1
	s_mov_b32 s5, exec_lo
	v_cmpx_neq_f32_e64 0x7f800000, |v11|
	s_xor_b32 s22, exec_lo, s5
	s_cbranch_execz .LBB297_188
; %bb.173:                              ;   in Loop: Header=BB297_161 Depth=1
	v_max_f32_e64 v4, |v11|, |v11|
	v_max_f32_e64 v5, |v12|, |v12|
                                        ; implicit-def: $sgpr23
	s_delay_alu instid0(VALU_DEP_1) | instskip(NEXT) | instid1(VALU_DEP_1)
	v_max_f32_e32 v4, v5, v4
	v_cmp_nle_f32_e64 s4, 0x7ed413cb, v4
	s_delay_alu instid0(VALU_DEP_1) | instskip(NEXT) | instid1(SALU_CYCLE_1)
	s_and_saveexec_b32 s5, s4
	s_xor_b32 s5, exec_lo, s5
	s_cbranch_execz .LBB297_177
; %bb.174:                              ;   in Loop: Header=BB297_161 Depth=1
	v_cmp_ge_f32_e64 s23, 0x1000000, |v11|
	v_cmp_ge_f32_e64 s24, 0x1000000, |v12|
	s_delay_alu instid0(VALU_DEP_1)
	s_and_b32 s25, s24, s23
	s_mov_b32 s23, 0
	s_and_saveexec_b32 s24, s25
; %bb.175:                              ;   in Loop: Header=BB297_161 Depth=1
	v_dual_mul_f32 v11, 4.0, v11 :: v_dual_mul_f32 v12, 4.0, v12
	s_mov_b32 s23, exec_lo
; %bb.176:                              ;   in Loop: Header=BB297_161 Depth=1
	s_or_b32 exec_lo, exec_lo, s24
	s_delay_alu instid0(SALU_CYCLE_1)
	s_and_b32 s23, s23, exec_lo
.LBB297_177:                            ;   in Loop: Header=BB297_161 Depth=1
	s_and_not1_saveexec_b32 s5, s5
; %bb.178:                              ;   in Loop: Header=BB297_161 Depth=1
	v_dual_mul_f32 v11, 0x3e800000, v11 :: v_dual_mul_f32 v12, 0x3e800000, v12
	s_and_not1_b32 s23, s23, exec_lo
; %bb.179:                              ;   in Loop: Header=BB297_161 Depth=1
	s_or_b32 exec_lo, exec_lo, s5
	s_delay_alu instid0(VALU_DEP_1) | instskip(NEXT) | instid1(VALU_DEP_2)
	v_max_f32_e64 v4, |v12|, |v12|
	v_max_f32_e64 v5, |v11|, |v11|
	s_delay_alu instid0(VALU_DEP_1) | instskip(NEXT) | instid1(VALU_DEP_1)
	v_max_f32_e32 v8, v5, v4
	v_cvt_f64_f32_e32 v[4:5], v8
	v_cmp_neq_f32_e64 s5, 0x7f800000, v8
	s_delay_alu instid0(VALU_DEP_2) | instskip(NEXT) | instid1(VALU_DEP_1)
	v_frexp_exp_i32_f64_e32 v4, v[4:5]
	v_sub_nc_u32_e32 v5, 0, v4
	s_delay_alu instid0(VALU_DEP_1) | instskip(SKIP_1) | instid1(VALU_DEP_2)
	v_ldexp_f32 v29, |v12|, v5
	v_ldexp_f32 v5, |v11|, v5
	v_mul_f32_e32 v29, v29, v29
	s_delay_alu instid0(VALU_DEP_1) | instskip(NEXT) | instid1(VALU_DEP_1)
	v_fmac_f32_e32 v29, v5, v5
	v_sqrt_f32_e32 v5, v29
	s_waitcnt_depctr 0xfff
	v_ldexp_f32 v4, v5, v4
                                        ; implicit-def: $vgpr5
	s_delay_alu instid0(VALU_DEP_1)
	v_cndmask_b32_e64 v8, 0x7f800000, v4, s5
                                        ; implicit-def: $vgpr4
	s_mov_b32 s5, exec_lo
	v_cmpx_le_f32_e32 0, v11
	s_xor_b32 s24, exec_lo, s5
	s_cbranch_execz .LBB297_181
; %bb.180:                              ;   in Loop: Header=BB297_161 Depth=1
	v_add_f32_e32 v4, v11, v8
	s_delay_alu instid0(VALU_DEP_1) | instskip(NEXT) | instid1(VALU_DEP_1)
	v_mul_f32_e32 v4, 0.5, v4
	v_mul_f32_e32 v5, 0x4f800000, v4
	v_cmp_gt_f32_e32 vcc_lo, 0xf800000, v4
	s_delay_alu instid0(VALU_DEP_2) | instskip(NEXT) | instid1(VALU_DEP_1)
	v_cndmask_b32_e32 v4, v4, v5, vcc_lo
	v_sqrt_f32_e32 v5, v4
	s_waitcnt_depctr 0xfff
	v_add_nc_u32_e32 v8, -1, v5
	v_add_nc_u32_e32 v11, 1, v5
	s_delay_alu instid0(VALU_DEP_2) | instskip(NEXT) | instid1(VALU_DEP_2)
	v_fma_f32 v29, -v8, v5, v4
	v_fma_f32 v30, -v11, v5, v4
	s_delay_alu instid0(VALU_DEP_2) | instskip(NEXT) | instid1(VALU_DEP_1)
	v_cmp_ge_f32_e64 s5, 0, v29
	v_cndmask_b32_e64 v5, v5, v8, s5
	s_delay_alu instid0(VALU_DEP_3) | instskip(NEXT) | instid1(VALU_DEP_1)
	v_cmp_lt_f32_e64 s5, 0, v30
	v_cndmask_b32_e64 v5, v5, v11, s5
	s_delay_alu instid0(VALU_DEP_1) | instskip(NEXT) | instid1(VALU_DEP_1)
	v_mul_f32_e32 v8, 0x37800000, v5
	v_cndmask_b32_e32 v5, v5, v8, vcc_lo
	v_cmp_class_f32_e64 vcc_lo, v4, 0x260
	s_delay_alu instid0(VALU_DEP_2) | instskip(NEXT) | instid1(VALU_DEP_1)
	v_cndmask_b32_e32 v4, v5, v4, vcc_lo
	v_add_f32_e32 v5, v4, v4
	s_delay_alu instid0(VALU_DEP_1) | instskip(NEXT) | instid1(VALU_DEP_1)
	v_div_scale_f32 v8, null, v5, v5, v12
	v_rcp_f32_e32 v11, v8
	s_waitcnt_depctr 0xfff
	v_fma_f32 v29, -v8, v11, 1.0
	s_delay_alu instid0(VALU_DEP_1) | instskip(SKIP_1) | instid1(VALU_DEP_1)
	v_fmac_f32_e32 v11, v29, v11
	v_div_scale_f32 v29, vcc_lo, v12, v5, v12
	v_mul_f32_e32 v30, v29, v11
	s_delay_alu instid0(VALU_DEP_1) | instskip(NEXT) | instid1(VALU_DEP_1)
	v_fma_f32 v31, -v8, v30, v29
	v_fmac_f32_e32 v30, v31, v11
	s_delay_alu instid0(VALU_DEP_1) | instskip(NEXT) | instid1(VALU_DEP_1)
	v_fma_f32 v8, -v8, v30, v29
	v_div_fmas_f32 v8, v8, v11, v30
                                        ; implicit-def: $vgpr11
	s_delay_alu instid0(VALU_DEP_1)
	v_div_fixup_f32 v5, v8, v5, v12
                                        ; implicit-def: $vgpr8
	s_and_not1_saveexec_b32 s24, s24
	s_cbranch_execz .LBB297_183
	s_branch .LBB297_182
.LBB297_181:                            ;   in Loop: Header=BB297_161 Depth=1
	s_and_not1_saveexec_b32 s24, s24
	s_cbranch_execz .LBB297_183
.LBB297_182:                            ;   in Loop: Header=BB297_161 Depth=1
	v_sub_f32_e32 v4, v8, v11
	s_delay_alu instid0(VALU_DEP_1) | instskip(NEXT) | instid1(VALU_DEP_1)
	v_mul_f32_e32 v4, 0.5, v4
	v_mul_f32_e32 v5, 0x4f800000, v4
	v_cmp_gt_f32_e32 vcc_lo, 0xf800000, v4
	s_delay_alu instid0(VALU_DEP_2) | instskip(NEXT) | instid1(VALU_DEP_1)
	v_cndmask_b32_e32 v4, v4, v5, vcc_lo
	v_sqrt_f32_e32 v5, v4
	s_waitcnt_depctr 0xfff
	v_add_nc_u32_e32 v8, -1, v5
	v_add_nc_u32_e32 v11, 1, v5
	s_delay_alu instid0(VALU_DEP_2) | instskip(NEXT) | instid1(VALU_DEP_2)
	v_fma_f32 v29, -v8, v5, v4
	v_fma_f32 v30, -v11, v5, v4
	s_delay_alu instid0(VALU_DEP_2) | instskip(NEXT) | instid1(VALU_DEP_1)
	v_cmp_ge_f32_e64 s5, 0, v29
	v_cndmask_b32_e64 v5, v5, v8, s5
	s_delay_alu instid0(VALU_DEP_3) | instskip(NEXT) | instid1(VALU_DEP_1)
	v_cmp_lt_f32_e64 s5, 0, v30
	v_cndmask_b32_e64 v5, v5, v11, s5
	s_delay_alu instid0(VALU_DEP_1) | instskip(NEXT) | instid1(VALU_DEP_1)
	v_mul_f32_e32 v8, 0x37800000, v5
	v_cndmask_b32_e32 v5, v5, v8, vcc_lo
	v_cmp_class_f32_e64 vcc_lo, v4, 0x260
	s_delay_alu instid0(VALU_DEP_2) | instskip(SKIP_1) | instid1(VALU_DEP_2)
	v_cndmask_b32_e32 v5, v5, v4, vcc_lo
	v_and_b32_e32 v4, 0x7fffffff, v12
	v_add_f32_e32 v8, v5, v5
	v_bfi_b32 v5, 0x7fffffff, v5, v12
	s_delay_alu instid0(VALU_DEP_2) | instskip(SKIP_1) | instid1(VALU_DEP_2)
	v_div_scale_f32 v11, null, v8, v8, v4
	v_div_scale_f32 v4, vcc_lo, v4, v8, v4
	v_rcp_f32_e32 v29, v11
	s_waitcnt_depctr 0xfff
	v_fma_f32 v30, -v11, v29, 1.0
	s_delay_alu instid0(VALU_DEP_1) | instskip(NEXT) | instid1(VALU_DEP_1)
	v_fmac_f32_e32 v29, v30, v29
	v_mul_f32_e32 v30, v4, v29
	s_delay_alu instid0(VALU_DEP_1) | instskip(NEXT) | instid1(VALU_DEP_1)
	v_fma_f32 v31, -v11, v30, v4
	v_fmac_f32_e32 v30, v31, v29
	s_delay_alu instid0(VALU_DEP_1) | instskip(NEXT) | instid1(VALU_DEP_1)
	v_fma_f32 v4, -v11, v30, v4
	v_div_fmas_f32 v4, v4, v29, v30
	s_delay_alu instid0(VALU_DEP_1)
	v_div_fixup_f32 v4, v4, v8, |v12|
.LBB297_183:                            ;   in Loop: Header=BB297_161 Depth=1
	s_or_b32 exec_lo, exec_lo, s24
                                        ; implicit-def: $vgpr12
	s_and_saveexec_b32 s5, s4
	s_delay_alu instid0(SALU_CYCLE_1)
	s_xor_b32 s4, exec_lo, s5
	s_cbranch_execz .LBB297_185
; %bb.184:                              ;   in Loop: Header=BB297_161 Depth=1
	v_mul_f32_e32 v8, 0.5, v4
	v_mul_f32_e32 v12, 0.5, v5
	s_delay_alu instid0(VALU_DEP_2) | instskip(NEXT) | instid1(VALU_DEP_2)
	v_cndmask_b32_e64 v11, v4, v8, s23
	v_cndmask_b32_e64 v12, v5, v12, s23
                                        ; implicit-def: $vgpr4
                                        ; implicit-def: $vgpr5
	s_and_not1_saveexec_b32 s4, s4
	s_cbranch_execnz .LBB297_186
	s_branch .LBB297_187
.LBB297_185:                            ;   in Loop: Header=BB297_161 Depth=1
	s_and_not1_saveexec_b32 s4, s4
.LBB297_186:                            ;   in Loop: Header=BB297_161 Depth=1
	v_dual_add_f32 v11, v4, v4 :: v_dual_add_f32 v12, v5, v5
.LBB297_187:                            ;   in Loop: Header=BB297_161 Depth=1
	s_or_b32 exec_lo, exec_lo, s4
.LBB297_188:                            ;   in Loop: Header=BB297_161 Depth=1
	s_and_not1_saveexec_b32 s4, s22
	s_cbranch_execz .LBB297_218
; %bb.189:                              ;   in Loop: Header=BB297_161 Depth=1
	s_delay_alu instid0(VALU_DEP_1)
	v_sub_f32_e32 v4, v12, v12
	s_mov_b32 s5, exec_lo
	v_cmpx_lt_i32_e32 -1, v11
	s_xor_b32 s5, exec_lo, s5
; %bb.190:                              ;   in Loop: Header=BB297_161 Depth=1
	s_delay_alu instid0(VALU_DEP_2)
	v_bfi_b32 v12, 0x7fffffff, v4, v12
                                        ; implicit-def: $vgpr4
; %bb.191:                              ;   in Loop: Header=BB297_161 Depth=1
	s_and_not1_saveexec_b32 s5, s5
; %bb.192:                              ;   in Loop: Header=BB297_161 Depth=1
	v_and_b32_e32 v4, 0x7fffffff, v4
	s_delay_alu instid0(VALU_DEP_2) | instskip(NEXT) | instid1(VALU_DEP_2)
	v_bfi_b32 v12, 0x7fffffff, v11, v12
	v_mov_b32_e32 v11, v4
; %bb.193:                              ;   in Loop: Header=BB297_161 Depth=1
	s_or_b32 exec_lo, exec_lo, s5
	s_delay_alu instid0(SALU_CYCLE_1)
	s_or_b32 exec_lo, exec_lo, s4
.LBB297_194:                            ;   in Loop: Header=BB297_161 Depth=1
	s_and_not1_saveexec_b32 s4, s21
.LBB297_195:                            ;   in Loop: Header=BB297_161 Depth=1
	v_sub_f32_e32 v4, v12, v12
	s_delay_alu instid0(VALU_DEP_1) | instskip(NEXT) | instid1(VALU_DEP_1)
	v_div_scale_f32 v5, vcc_lo, v4, v4, v4
	v_rcp_f32_e32 v8, v5
	s_waitcnt_depctr 0xfff
	v_fma_f32 v12, -v5, v8, 1.0
	s_delay_alu instid0(VALU_DEP_1) | instskip(NEXT) | instid1(VALU_DEP_1)
	v_fmac_f32_e32 v8, v12, v8
	v_mul_f32_e32 v12, v5, v8
	s_delay_alu instid0(VALU_DEP_1) | instskip(NEXT) | instid1(VALU_DEP_1)
	v_fma_f32 v29, -v5, v12, v5
	v_fmac_f32_e32 v12, v29, v8
	s_delay_alu instid0(VALU_DEP_1) | instskip(NEXT) | instid1(VALU_DEP_1)
	v_fma_f32 v5, -v5, v12, v5
	v_div_fmas_f32 v5, v5, v8, v12
	s_delay_alu instid0(VALU_DEP_1)
	v_div_fixup_f32 v12, v5, v4, v4
.LBB297_196:                            ;   in Loop: Header=BB297_161 Depth=1
	s_or_b32 exec_lo, exec_lo, s4
	v_mov_b32_e32 v8, v11
.LBB297_197:                            ;   in Loop: Header=BB297_161 Depth=1
	s_or_b32 exec_lo, exec_lo, s20
.LBB297_198:                            ;   in Loop: Header=BB297_161 Depth=1
	s_delay_alu instid0(SALU_CYCLE_1) | instskip(NEXT) | instid1(VALU_DEP_1)
	s_or_b32 exec_lo, exec_lo, s11
	v_cmp_gt_f32_e32 vcc_lo, 0, v8
                                        ; implicit-def: $vgpr5
	s_mov_b32 s4, exec_lo
	v_cndmask_b32_e64 v11, v8, -v8, vcc_lo
	v_cmp_gt_f32_e32 vcc_lo, 0, v12
	v_cndmask_b32_e64 v29, v12, -v12, vcc_lo
	s_delay_alu instid0(VALU_DEP_1)
	v_cmpx_ge_f32_e32 v11, v29
	s_xor_b32 s5, exec_lo, s4
	s_cbranch_execz .LBB297_204
; %bb.199:                              ;   in Loop: Header=BB297_161 Depth=1
	v_cmp_neq_f32_e32 vcc_lo, 0, v8
	v_cmp_neq_f32_e64 s4, 0, v12
                                        ; implicit-def: $vgpr5
	s_delay_alu instid0(VALU_DEP_1) | instskip(NEXT) | instid1(SALU_CYCLE_1)
	s_or_b32 s4, vcc_lo, s4
	s_and_saveexec_b32 s11, s4
	s_delay_alu instid0(SALU_CYCLE_1)
	s_xor_b32 s4, exec_lo, s11
	s_cbranch_execz .LBB297_201
; %bb.200:                              ;   in Loop: Header=BB297_161 Depth=1
	v_div_scale_f32 v4, null, v8, v8, v12
	v_div_scale_f32 v29, vcc_lo, v12, v8, v12
	s_delay_alu instid0(VALU_DEP_2) | instskip(SKIP_2) | instid1(VALU_DEP_1)
	v_rcp_f32_e32 v5, v4
	s_waitcnt_depctr 0xfff
	v_fma_f32 v11, -v4, v5, 1.0
	v_fmac_f32_e32 v5, v11, v5
	s_delay_alu instid0(VALU_DEP_1) | instskip(NEXT) | instid1(VALU_DEP_1)
	v_mul_f32_e32 v11, v29, v5
	v_fma_f32 v30, -v4, v11, v29
	s_delay_alu instid0(VALU_DEP_1) | instskip(NEXT) | instid1(VALU_DEP_1)
	v_fmac_f32_e32 v11, v30, v5
	v_fma_f32 v4, -v4, v11, v29
	s_delay_alu instid0(VALU_DEP_1) | instskip(NEXT) | instid1(VALU_DEP_1)
	v_div_fmas_f32 v4, v4, v5, v11
	v_div_fixup_f32 v5, v4, v8, v12
	s_delay_alu instid0(VALU_DEP_1) | instskip(NEXT) | instid1(VALU_DEP_1)
	v_fmac_f32_e32 v8, v12, v5
	v_div_scale_f32 v4, null, v8, v8, 1.0
	v_div_scale_f32 v29, vcc_lo, 1.0, v8, 1.0
	s_delay_alu instid0(VALU_DEP_2) | instskip(SKIP_2) | instid1(VALU_DEP_1)
	v_rcp_f32_e32 v11, v4
	s_waitcnt_depctr 0xfff
	v_fma_f32 v12, -v4, v11, 1.0
	v_fmac_f32_e32 v11, v12, v11
	s_delay_alu instid0(VALU_DEP_1) | instskip(NEXT) | instid1(VALU_DEP_1)
	v_mul_f32_e32 v12, v29, v11
	v_fma_f32 v30, -v4, v12, v29
	s_delay_alu instid0(VALU_DEP_1) | instskip(NEXT) | instid1(VALU_DEP_1)
	v_fmac_f32_e32 v12, v30, v11
	v_fma_f32 v4, -v4, v12, v29
                                        ; implicit-def: $vgpr29
	s_delay_alu instid0(VALU_DEP_1) | instskip(SKIP_1) | instid1(VALU_DEP_2)
	v_div_fmas_f32 v4, v4, v11, v12
	v_fma_f32 v11, v5, 0, 1.0
	v_div_fixup_f32 v8, v4, v8, 1.0
	s_delay_alu instid0(VALU_DEP_1)
	v_mul_f32_e32 v4, v11, v8
	v_mul_f32_e64 v5, -v5, v8
                                        ; implicit-def: $vgpr11
.LBB297_201:                            ;   in Loop: Header=BB297_161 Depth=1
	s_and_not1_saveexec_b32 s11, s4
	s_cbranch_execz .LBB297_203
; %bb.202:                              ;   in Loop: Header=BB297_161 Depth=1
	v_div_scale_f32 v4, null, v11, v11, 1.0
	v_div_scale_f32 v5, null, v29, v29, 0
	v_div_scale_f32 v32, vcc_lo, 1.0, v11, 1.0
	s_delay_alu instid0(VALU_DEP_3) | instskip(NEXT) | instid1(VALU_DEP_2)
	v_rcp_f32_e32 v8, v4
	v_rcp_f32_e32 v12, v5
	s_waitcnt_depctr 0xfff
	v_fma_f32 v30, -v4, v8, 1.0
	v_fma_f32 v31, -v5, v12, 1.0
	s_delay_alu instid0(VALU_DEP_2) | instskip(SKIP_1) | instid1(VALU_DEP_3)
	v_fmac_f32_e32 v8, v30, v8
	v_div_scale_f32 v30, s4, 0, v29, 0
	v_fmac_f32_e32 v12, v31, v12
	s_delay_alu instid0(VALU_DEP_3) | instskip(NEXT) | instid1(VALU_DEP_2)
	v_mul_f32_e32 v31, v32, v8
	v_mul_f32_e32 v33, v30, v12
	s_delay_alu instid0(VALU_DEP_2) | instskip(NEXT) | instid1(VALU_DEP_2)
	v_fma_f32 v34, -v4, v31, v32
	v_fma_f32 v35, -v5, v33, v30
	s_delay_alu instid0(VALU_DEP_2) | instskip(NEXT) | instid1(VALU_DEP_2)
	v_fmac_f32_e32 v31, v34, v8
	v_fmac_f32_e32 v33, v35, v12
	s_delay_alu instid0(VALU_DEP_2) | instskip(NEXT) | instid1(VALU_DEP_2)
	v_fma_f32 v4, -v4, v31, v32
	v_fma_f32 v5, -v5, v33, v30
	s_delay_alu instid0(VALU_DEP_2) | instskip(SKIP_1) | instid1(VALU_DEP_2)
	v_div_fmas_f32 v4, v4, v8, v31
	s_mov_b32 vcc_lo, s4
	v_div_fmas_f32 v5, v5, v12, v33
	s_delay_alu instid0(VALU_DEP_2) | instskip(NEXT) | instid1(VALU_DEP_2)
	v_div_fixup_f32 v4, v4, v11, 1.0
	v_div_fixup_f32 v5, v5, v29, 0
.LBB297_203:                            ;   in Loop: Header=BB297_161 Depth=1
	s_or_b32 exec_lo, exec_lo, s11
                                        ; implicit-def: $vgpr12
                                        ; implicit-def: $vgpr8
.LBB297_204:                            ;   in Loop: Header=BB297_161 Depth=1
	s_and_not1_saveexec_b32 s4, s5
	s_cbranch_execz .LBB297_206
; %bb.205:                              ;   in Loop: Header=BB297_161 Depth=1
	v_div_scale_f32 v4, null, v12, v12, v8
	v_div_scale_f32 v29, vcc_lo, v8, v12, v8
	s_delay_alu instid0(VALU_DEP_2) | instskip(SKIP_2) | instid1(VALU_DEP_1)
	v_rcp_f32_e32 v5, v4
	s_waitcnt_depctr 0xfff
	v_fma_f32 v11, -v4, v5, 1.0
	v_fmac_f32_e32 v5, v11, v5
	s_delay_alu instid0(VALU_DEP_1) | instskip(NEXT) | instid1(VALU_DEP_1)
	v_mul_f32_e32 v11, v29, v5
	v_fma_f32 v30, -v4, v11, v29
	s_delay_alu instid0(VALU_DEP_1) | instskip(NEXT) | instid1(VALU_DEP_1)
	v_fmac_f32_e32 v11, v30, v5
	v_fma_f32 v4, -v4, v11, v29
	s_delay_alu instid0(VALU_DEP_1) | instskip(NEXT) | instid1(VALU_DEP_1)
	v_div_fmas_f32 v4, v4, v5, v11
	v_div_fixup_f32 v4, v4, v12, v8
	s_delay_alu instid0(VALU_DEP_1) | instskip(NEXT) | instid1(VALU_DEP_1)
	v_fmac_f32_e32 v12, v8, v4
	v_div_scale_f32 v5, null, v12, v12, 1.0
	v_div_scale_f32 v29, vcc_lo, 1.0, v12, 1.0
	s_delay_alu instid0(VALU_DEP_2) | instskip(SKIP_2) | instid1(VALU_DEP_1)
	v_rcp_f32_e32 v8, v5
	s_waitcnt_depctr 0xfff
	v_fma_f32 v11, -v5, v8, 1.0
	v_fmac_f32_e32 v8, v11, v8
	s_delay_alu instid0(VALU_DEP_1) | instskip(NEXT) | instid1(VALU_DEP_1)
	v_mul_f32_e32 v11, v29, v8
	v_fma_f32 v30, -v5, v11, v29
	s_delay_alu instid0(VALU_DEP_1) | instskip(NEXT) | instid1(VALU_DEP_1)
	v_fmac_f32_e32 v11, v30, v8
	v_fma_f32 v5, -v5, v11, v29
	s_delay_alu instid0(VALU_DEP_1) | instskip(SKIP_2) | instid1(VALU_DEP_3)
	v_div_fmas_f32 v5, v5, v8, v11
	v_add_f32_e32 v8, 0, v4
	v_fma_f32 v11, v4, 0, -1.0
	v_div_fixup_f32 v5, v5, v12, 1.0
	s_delay_alu instid0(VALU_DEP_1) | instskip(NEXT) | instid1(VALU_DEP_3)
	v_mul_f32_e32 v4, v8, v5
	v_mul_f32_e32 v5, v11, v5
.LBB297_206:                            ;   in Loop: Header=BB297_161 Depth=1
	s_or_b32 exec_lo, exec_lo, s4
	v_cmp_neq_f32_e32 vcc_lo, 0, v9
	v_cmp_neq_f32_e64 s4, 0, v10
	v_mov_b32_e32 v11, 0
	s_delay_alu instid0(VALU_DEP_2) | instskip(NEXT) | instid1(SALU_CYCLE_1)
	s_or_b32 s4, vcc_lo, s4
	s_and_saveexec_b32 s11, s4
	s_cbranch_execz .LBB297_237
; %bb.207:                              ;   in Loop: Header=BB297_161 Depth=1
	v_mov_b32_e32 v11, 0x7f800000
	s_mov_b32 s20, exec_lo
	v_cmpx_neq_f32_e64 0x7f800000, |v10|
	s_cbranch_execz .LBB297_236
; %bb.208:                              ;   in Loop: Header=BB297_161 Depth=1
	s_mov_b32 s4, exec_lo
	v_cmpx_o_f32_e32 v9, v9
	s_xor_b32 s21, exec_lo, s4
	s_cbranch_execz .LBB297_233
; %bb.209:                              ;   in Loop: Header=BB297_161 Depth=1
	s_mov_b32 s5, exec_lo
	v_cmpx_neq_f32_e64 0x7f800000, |v9|
	s_xor_b32 s22, exec_lo, s5
	s_cbranch_execz .LBB297_226
; %bb.210:                              ;   in Loop: Header=BB297_161 Depth=1
	v_max_f32_e64 v8, |v9|, |v9|
	v_max_f32_e64 v11, |v10|, |v10|
                                        ; implicit-def: $sgpr23
	s_delay_alu instid0(VALU_DEP_1) | instskip(NEXT) | instid1(VALU_DEP_1)
	v_max_f32_e32 v8, v11, v8
	v_cmp_nle_f32_e64 s4, 0x7ed413cb, v8
	s_delay_alu instid0(VALU_DEP_1) | instskip(NEXT) | instid1(SALU_CYCLE_1)
	s_and_saveexec_b32 s5, s4
	s_xor_b32 s5, exec_lo, s5
	s_cbranch_execz .LBB297_214
; %bb.211:                              ;   in Loop: Header=BB297_161 Depth=1
	v_cmp_ge_f32_e64 s23, 0x1000000, |v9|
	v_cmp_ge_f32_e64 s24, 0x1000000, |v10|
	s_delay_alu instid0(VALU_DEP_1)
	s_and_b32 s25, s24, s23
	s_mov_b32 s23, 0
	s_and_saveexec_b32 s24, s25
; %bb.212:                              ;   in Loop: Header=BB297_161 Depth=1
	v_dual_mul_f32 v9, 4.0, v9 :: v_dual_mul_f32 v10, 4.0, v10
	s_mov_b32 s23, exec_lo
; %bb.213:                              ;   in Loop: Header=BB297_161 Depth=1
	s_or_b32 exec_lo, exec_lo, s24
	s_delay_alu instid0(SALU_CYCLE_1)
	s_and_b32 s23, s23, exec_lo
.LBB297_214:                            ;   in Loop: Header=BB297_161 Depth=1
	s_and_not1_saveexec_b32 s5, s5
; %bb.215:                              ;   in Loop: Header=BB297_161 Depth=1
	v_dual_mul_f32 v9, 0x3e800000, v9 :: v_dual_mul_f32 v10, 0x3e800000, v10
	s_and_not1_b32 s23, s23, exec_lo
; %bb.216:                              ;   in Loop: Header=BB297_161 Depth=1
	s_or_b32 exec_lo, exec_lo, s5
	s_delay_alu instid0(VALU_DEP_1) | instskip(NEXT) | instid1(VALU_DEP_2)
	v_max_f32_e64 v8, |v10|, |v10|
	v_max_f32_e64 v11, |v9|, |v9|
	s_delay_alu instid0(VALU_DEP_1) | instskip(NEXT) | instid1(VALU_DEP_1)
	v_max_f32_e32 v8, v11, v8
	v_cvt_f64_f32_e32 v[11:12], v8
	s_delay_alu instid0(VALU_DEP_1) | instskip(NEXT) | instid1(VALU_DEP_1)
	v_frexp_exp_i32_f64_e32 v11, v[11:12]
	v_sub_nc_u32_e32 v12, 0, v11
	s_delay_alu instid0(VALU_DEP_1) | instskip(SKIP_1) | instid1(VALU_DEP_2)
	v_ldexp_f32 v29, |v10|, v12
	v_ldexp_f32 v12, |v9|, v12
	v_mul_f32_e32 v29, v29, v29
	v_cmp_neq_f32_e64 s5, 0x7f800000, v8
                                        ; implicit-def: $vgpr8
	s_delay_alu instid0(VALU_DEP_2) | instskip(NEXT) | instid1(VALU_DEP_1)
	v_fmac_f32_e32 v29, v12, v12
	v_sqrt_f32_e32 v12, v29
	s_waitcnt_depctr 0xfff
	v_ldexp_f32 v11, v12, v11
	s_delay_alu instid0(VALU_DEP_1)
	v_cndmask_b32_e64 v12, 0x7f800000, v11, s5
                                        ; implicit-def: $vgpr11
	s_mov_b32 s5, exec_lo
	v_cmpx_le_f32_e32 0, v9
	s_xor_b32 s24, exec_lo, s5
	s_cbranch_execz .LBB297_219
; %bb.217:                              ;   in Loop: Header=BB297_161 Depth=1
	v_add_f32_e32 v8, v9, v12
	s_delay_alu instid0(VALU_DEP_1) | instskip(NEXT) | instid1(VALU_DEP_1)
	v_mul_f32_e32 v8, 0.5, v8
	v_mul_f32_e32 v9, 0x4f800000, v8
	v_cmp_gt_f32_e32 vcc_lo, 0xf800000, v8
	s_delay_alu instid0(VALU_DEP_2) | instskip(NEXT) | instid1(VALU_DEP_1)
	v_cndmask_b32_e32 v8, v8, v9, vcc_lo
	v_sqrt_f32_e32 v9, v8
	s_waitcnt_depctr 0xfff
	v_add_nc_u32_e32 v11, -1, v9
	v_add_nc_u32_e32 v12, 1, v9
	s_delay_alu instid0(VALU_DEP_2) | instskip(NEXT) | instid1(VALU_DEP_2)
	v_fma_f32 v29, -v11, v9, v8
	v_fma_f32 v30, -v12, v9, v8
	s_delay_alu instid0(VALU_DEP_2) | instskip(NEXT) | instid1(VALU_DEP_1)
	v_cmp_ge_f32_e64 s5, 0, v29
	v_cndmask_b32_e64 v9, v9, v11, s5
	s_delay_alu instid0(VALU_DEP_3) | instskip(NEXT) | instid1(VALU_DEP_1)
	v_cmp_lt_f32_e64 s5, 0, v30
	v_cndmask_b32_e64 v9, v9, v12, s5
	s_delay_alu instid0(VALU_DEP_1) | instskip(NEXT) | instid1(VALU_DEP_1)
	v_mul_f32_e32 v11, 0x37800000, v9
	v_cndmask_b32_e32 v9, v9, v11, vcc_lo
	v_cmp_class_f32_e64 vcc_lo, v8, 0x260
	s_delay_alu instid0(VALU_DEP_2) | instskip(NEXT) | instid1(VALU_DEP_1)
	v_cndmask_b32_e32 v8, v9, v8, vcc_lo
	v_add_f32_e32 v9, v8, v8
	s_delay_alu instid0(VALU_DEP_1) | instskip(NEXT) | instid1(VALU_DEP_1)
	v_div_scale_f32 v11, null, v9, v9, v10
	v_rcp_f32_e32 v12, v11
	s_waitcnt_depctr 0xfff
	v_fma_f32 v29, -v11, v12, 1.0
	s_delay_alu instid0(VALU_DEP_1) | instskip(SKIP_1) | instid1(VALU_DEP_1)
	v_fmac_f32_e32 v12, v29, v12
	v_div_scale_f32 v29, vcc_lo, v10, v9, v10
	v_mul_f32_e32 v30, v29, v12
	s_delay_alu instid0(VALU_DEP_1) | instskip(NEXT) | instid1(VALU_DEP_1)
	v_fma_f32 v31, -v11, v30, v29
	v_fmac_f32_e32 v30, v31, v12
	s_delay_alu instid0(VALU_DEP_1) | instskip(NEXT) | instid1(VALU_DEP_1)
	v_fma_f32 v11, -v11, v30, v29
	v_div_fmas_f32 v11, v11, v12, v30
                                        ; implicit-def: $vgpr12
	s_delay_alu instid0(VALU_DEP_1)
	v_div_fixup_f32 v11, v11, v9, v10
                                        ; implicit-def: $vgpr9
	s_and_not1_saveexec_b32 s24, s24
	s_cbranch_execz .LBB297_221
	s_branch .LBB297_220
.LBB297_218:                            ;   in Loop: Header=BB297_161 Depth=1
	s_or_b32 exec_lo, exec_lo, s4
	s_and_not1_saveexec_b32 s4, s21
	s_cbranch_execnz .LBB297_195
	s_branch .LBB297_196
.LBB297_219:                            ;   in Loop: Header=BB297_161 Depth=1
	s_and_not1_saveexec_b32 s24, s24
	s_cbranch_execz .LBB297_221
.LBB297_220:                            ;   in Loop: Header=BB297_161 Depth=1
	v_sub_f32_e32 v8, v12, v9
	s_delay_alu instid0(VALU_DEP_1) | instskip(NEXT) | instid1(VALU_DEP_1)
	v_mul_f32_e32 v8, 0.5, v8
	v_mul_f32_e32 v9, 0x4f800000, v8
	v_cmp_gt_f32_e32 vcc_lo, 0xf800000, v8
	s_delay_alu instid0(VALU_DEP_2) | instskip(NEXT) | instid1(VALU_DEP_1)
	v_cndmask_b32_e32 v8, v8, v9, vcc_lo
	v_sqrt_f32_e32 v9, v8
	s_waitcnt_depctr 0xfff
	v_add_nc_u32_e32 v11, -1, v9
	v_add_nc_u32_e32 v12, 1, v9
	s_delay_alu instid0(VALU_DEP_2) | instskip(NEXT) | instid1(VALU_DEP_2)
	v_fma_f32 v29, -v11, v9, v8
	v_fma_f32 v30, -v12, v9, v8
	s_delay_alu instid0(VALU_DEP_2) | instskip(NEXT) | instid1(VALU_DEP_1)
	v_cmp_ge_f32_e64 s5, 0, v29
	v_cndmask_b32_e64 v9, v9, v11, s5
	s_delay_alu instid0(VALU_DEP_3) | instskip(NEXT) | instid1(VALU_DEP_1)
	v_cmp_lt_f32_e64 s5, 0, v30
	v_cndmask_b32_e64 v9, v9, v12, s5
	s_delay_alu instid0(VALU_DEP_1) | instskip(NEXT) | instid1(VALU_DEP_1)
	v_mul_f32_e32 v11, 0x37800000, v9
	v_cndmask_b32_e32 v9, v9, v11, vcc_lo
	v_cmp_class_f32_e64 vcc_lo, v8, 0x260
	s_delay_alu instid0(VALU_DEP_2) | instskip(NEXT) | instid1(VALU_DEP_1)
	v_dual_cndmask_b32 v9, v9, v8 :: v_dual_and_b32 v8, 0x7fffffff, v10
	v_add_f32_e32 v11, v9, v9
	s_delay_alu instid0(VALU_DEP_1) | instskip(SKIP_1) | instid1(VALU_DEP_2)
	v_div_scale_f32 v12, null, v11, v11, v8
	v_div_scale_f32 v8, vcc_lo, v8, v11, v8
	v_rcp_f32_e32 v29, v12
	s_waitcnt_depctr 0xfff
	v_fma_f32 v30, -v12, v29, 1.0
	s_delay_alu instid0(VALU_DEP_1) | instskip(NEXT) | instid1(VALU_DEP_1)
	v_fmac_f32_e32 v29, v30, v29
	v_mul_f32_e32 v30, v8, v29
	s_delay_alu instid0(VALU_DEP_1) | instskip(NEXT) | instid1(VALU_DEP_1)
	v_fma_f32 v31, -v12, v30, v8
	v_fmac_f32_e32 v30, v31, v29
	s_delay_alu instid0(VALU_DEP_1) | instskip(NEXT) | instid1(VALU_DEP_1)
	v_fma_f32 v8, -v12, v30, v8
	v_div_fmas_f32 v8, v8, v29, v30
	s_delay_alu instid0(VALU_DEP_1)
	v_div_fixup_f32 v8, v8, v11, |v10|
	v_bfi_b32 v11, 0x7fffffff, v9, v10
.LBB297_221:                            ;   in Loop: Header=BB297_161 Depth=1
	s_or_b32 exec_lo, exec_lo, s24
                                        ; implicit-def: $vgpr10
	s_and_saveexec_b32 s5, s4
	s_delay_alu instid0(SALU_CYCLE_1)
	s_xor_b32 s4, exec_lo, s5
	s_cbranch_execz .LBB297_223
; %bb.222:                              ;   in Loop: Header=BB297_161 Depth=1
	v_dual_mul_f32 v9, 0.5, v8 :: v_dual_mul_f32 v10, 0.5, v11
	s_delay_alu instid0(VALU_DEP_1) | instskip(NEXT) | instid1(VALU_DEP_2)
	v_cndmask_b32_e64 v9, v8, v9, s23
	v_cndmask_b32_e64 v10, v11, v10, s23
                                        ; implicit-def: $vgpr8
                                        ; implicit-def: $vgpr11
	s_and_not1_saveexec_b32 s4, s4
	s_cbranch_execnz .LBB297_224
	s_branch .LBB297_225
.LBB297_223:                            ;   in Loop: Header=BB297_161 Depth=1
	s_and_not1_saveexec_b32 s4, s4
.LBB297_224:                            ;   in Loop: Header=BB297_161 Depth=1
	v_dual_add_f32 v9, v8, v8 :: v_dual_add_f32 v10, v11, v11
.LBB297_225:                            ;   in Loop: Header=BB297_161 Depth=1
	s_or_b32 exec_lo, exec_lo, s4
.LBB297_226:                            ;   in Loop: Header=BB297_161 Depth=1
	s_and_not1_saveexec_b32 s4, s22
	s_cbranch_execz .LBB297_232
; %bb.227:                              ;   in Loop: Header=BB297_161 Depth=1
	s_delay_alu instid0(VALU_DEP_1)
	v_sub_f32_e32 v8, v10, v10
	s_mov_b32 s5, exec_lo
	v_cmpx_lt_i32_e32 -1, v9
	s_xor_b32 s5, exec_lo, s5
; %bb.228:                              ;   in Loop: Header=BB297_161 Depth=1
	s_delay_alu instid0(VALU_DEP_2)
	v_bfi_b32 v10, 0x7fffffff, v8, v10
                                        ; implicit-def: $vgpr8
; %bb.229:                              ;   in Loop: Header=BB297_161 Depth=1
	s_and_not1_saveexec_b32 s5, s5
; %bb.230:                              ;   in Loop: Header=BB297_161 Depth=1
	v_and_b32_e32 v8, 0x7fffffff, v8
	s_delay_alu instid0(VALU_DEP_2) | instskip(NEXT) | instid1(VALU_DEP_2)
	v_bfi_b32 v10, 0x7fffffff, v9, v10
	v_mov_b32_e32 v9, v8
; %bb.231:                              ;   in Loop: Header=BB297_161 Depth=1
	s_or_b32 exec_lo, exec_lo, s5
.LBB297_232:                            ;   in Loop: Header=BB297_161 Depth=1
	s_delay_alu instid0(SALU_CYCLE_1)
	s_or_b32 exec_lo, exec_lo, s4
.LBB297_233:                            ;   in Loop: Header=BB297_161 Depth=1
	s_and_not1_saveexec_b32 s4, s21
; %bb.234:                              ;   in Loop: Header=BB297_161 Depth=1
	v_sub_f32_e32 v8, v10, v10
	s_delay_alu instid0(VALU_DEP_1) | instskip(NEXT) | instid1(VALU_DEP_1)
	v_div_scale_f32 v10, vcc_lo, v8, v8, v8
	v_rcp_f32_e32 v11, v10
	s_waitcnt_depctr 0xfff
	v_fma_f32 v12, -v10, v11, 1.0
	s_delay_alu instid0(VALU_DEP_1) | instskip(NEXT) | instid1(VALU_DEP_1)
	v_fmac_f32_e32 v11, v12, v11
	v_mul_f32_e32 v12, v10, v11
	s_delay_alu instid0(VALU_DEP_1) | instskip(NEXT) | instid1(VALU_DEP_1)
	v_fma_f32 v29, -v10, v12, v10
	v_fmac_f32_e32 v12, v29, v11
	s_delay_alu instid0(VALU_DEP_1) | instskip(NEXT) | instid1(VALU_DEP_1)
	v_fma_f32 v10, -v10, v12, v10
	v_div_fmas_f32 v10, v10, v11, v12
	s_delay_alu instid0(VALU_DEP_1)
	v_div_fixup_f32 v10, v10, v8, v8
; %bb.235:                              ;   in Loop: Header=BB297_161 Depth=1
	s_or_b32 exec_lo, exec_lo, s4
	v_mov_b32_e32 v11, v9
.LBB297_236:                            ;   in Loop: Header=BB297_161 Depth=1
	s_or_b32 exec_lo, exec_lo, s20
.LBB297_237:                            ;   in Loop: Header=BB297_161 Depth=1
	s_delay_alu instid0(SALU_CYCLE_1) | instskip(NEXT) | instid1(VALU_DEP_1)
	s_or_b32 exec_lo, exec_lo, s11
	v_cmp_gt_f32_e32 vcc_lo, 0, v11
                                        ; implicit-def: $vgpr9
	s_mov_b32 s4, exec_lo
	v_cndmask_b32_e64 v12, v11, -v11, vcc_lo
	v_cmp_gt_f32_e32 vcc_lo, 0, v10
	v_cndmask_b32_e64 v29, v10, -v10, vcc_lo
	s_delay_alu instid0(VALU_DEP_1)
	v_cmpx_ge_f32_e32 v12, v29
	s_xor_b32 s5, exec_lo, s4
	s_cbranch_execz .LBB297_243
; %bb.238:                              ;   in Loop: Header=BB297_161 Depth=1
	v_cmp_neq_f32_e32 vcc_lo, 0, v11
	v_cmp_neq_f32_e64 s4, 0, v10
                                        ; implicit-def: $vgpr9
	s_delay_alu instid0(VALU_DEP_1) | instskip(NEXT) | instid1(SALU_CYCLE_1)
	s_or_b32 s4, vcc_lo, s4
	s_and_saveexec_b32 s11, s4
	s_delay_alu instid0(SALU_CYCLE_1)
	s_xor_b32 s4, exec_lo, s11
	s_cbranch_execz .LBB297_240
; %bb.239:                              ;   in Loop: Header=BB297_161 Depth=1
	v_div_scale_f32 v8, null, v11, v11, v10
	v_div_scale_f32 v29, vcc_lo, v10, v11, v10
	s_delay_alu instid0(VALU_DEP_2) | instskip(SKIP_2) | instid1(VALU_DEP_1)
	v_rcp_f32_e32 v9, v8
	s_waitcnt_depctr 0xfff
	v_fma_f32 v12, -v8, v9, 1.0
	v_fmac_f32_e32 v9, v12, v9
	s_delay_alu instid0(VALU_DEP_1) | instskip(NEXT) | instid1(VALU_DEP_1)
	v_mul_f32_e32 v12, v29, v9
	v_fma_f32 v30, -v8, v12, v29
	s_delay_alu instid0(VALU_DEP_1) | instskip(NEXT) | instid1(VALU_DEP_1)
	v_fmac_f32_e32 v12, v30, v9
	v_fma_f32 v8, -v8, v12, v29
	s_delay_alu instid0(VALU_DEP_1) | instskip(NEXT) | instid1(VALU_DEP_1)
	v_div_fmas_f32 v8, v8, v9, v12
	v_div_fixup_f32 v9, v8, v11, v10
	s_delay_alu instid0(VALU_DEP_1) | instskip(NEXT) | instid1(VALU_DEP_1)
	v_fmac_f32_e32 v11, v10, v9
	v_div_scale_f32 v8, null, v11, v11, 1.0
	s_delay_alu instid0(VALU_DEP_1) | instskip(SKIP_2) | instid1(VALU_DEP_1)
	v_rcp_f32_e32 v10, v8
	s_waitcnt_depctr 0xfff
	v_fma_f32 v12, -v8, v10, 1.0
	v_fmac_f32_e32 v10, v12, v10
	v_div_scale_f32 v29, vcc_lo, 1.0, v11, 1.0
	s_delay_alu instid0(VALU_DEP_1) | instskip(NEXT) | instid1(VALU_DEP_1)
	v_mul_f32_e32 v12, v29, v10
	v_fma_f32 v30, -v8, v12, v29
	s_delay_alu instid0(VALU_DEP_1) | instskip(NEXT) | instid1(VALU_DEP_1)
	v_fmac_f32_e32 v12, v30, v10
	v_fma_f32 v8, -v8, v12, v29
                                        ; implicit-def: $vgpr29
	s_delay_alu instid0(VALU_DEP_1) | instskip(SKIP_1) | instid1(VALU_DEP_2)
	v_div_fmas_f32 v8, v8, v10, v12
	v_fma_f32 v10, v9, 0, 1.0
                                        ; implicit-def: $vgpr12
	v_div_fixup_f32 v11, v8, v11, 1.0
	s_delay_alu instid0(VALU_DEP_1)
	v_mul_f32_e32 v8, v10, v11
	v_mul_f32_e64 v9, -v9, v11
.LBB297_240:                            ;   in Loop: Header=BB297_161 Depth=1
	s_and_not1_saveexec_b32 s11, s4
	s_cbranch_execz .LBB297_242
; %bb.241:                              ;   in Loop: Header=BB297_161 Depth=1
	v_div_scale_f32 v8, null, v12, v12, 1.0
	v_div_scale_f32 v9, null, v29, v29, 0
	v_div_scale_f32 v32, vcc_lo, 1.0, v12, 1.0
	s_delay_alu instid0(VALU_DEP_3) | instskip(NEXT) | instid1(VALU_DEP_2)
	v_rcp_f32_e32 v10, v8
	v_rcp_f32_e32 v11, v9
	s_waitcnt_depctr 0xfff
	v_fma_f32 v30, -v8, v10, 1.0
	v_fma_f32 v31, -v9, v11, 1.0
	s_delay_alu instid0(VALU_DEP_1) | instskip(SKIP_1) | instid1(VALU_DEP_2)
	v_dual_fmac_f32 v10, v30, v10 :: v_dual_fmac_f32 v11, v31, v11
	v_div_scale_f32 v30, s4, 0, v29, 0
	v_mul_f32_e32 v31, v32, v10
	s_delay_alu instid0(VALU_DEP_2) | instskip(NEXT) | instid1(VALU_DEP_2)
	v_mul_f32_e32 v33, v30, v11
	v_fma_f32 v34, -v8, v31, v32
	s_delay_alu instid0(VALU_DEP_2) | instskip(NEXT) | instid1(VALU_DEP_2)
	v_fma_f32 v35, -v9, v33, v30
	v_fmac_f32_e32 v31, v34, v10
	s_delay_alu instid0(VALU_DEP_2) | instskip(NEXT) | instid1(VALU_DEP_2)
	v_fmac_f32_e32 v33, v35, v11
	v_fma_f32 v8, -v8, v31, v32
	s_delay_alu instid0(VALU_DEP_2) | instskip(NEXT) | instid1(VALU_DEP_2)
	v_fma_f32 v9, -v9, v33, v30
	v_div_fmas_f32 v8, v8, v10, v31
	s_mov_b32 vcc_lo, s4
	s_delay_alu instid0(VALU_DEP_2) | instskip(NEXT) | instid1(VALU_DEP_2)
	v_div_fmas_f32 v9, v9, v11, v33
	v_div_fixup_f32 v8, v8, v12, 1.0
	s_delay_alu instid0(VALU_DEP_2)
	v_div_fixup_f32 v9, v9, v29, 0
.LBB297_242:                            ;   in Loop: Header=BB297_161 Depth=1
	s_or_b32 exec_lo, exec_lo, s11
                                        ; implicit-def: $vgpr10
                                        ; implicit-def: $vgpr11
.LBB297_243:                            ;   in Loop: Header=BB297_161 Depth=1
	s_and_not1_saveexec_b32 s4, s5
	s_cbranch_execz .LBB297_245
; %bb.244:                              ;   in Loop: Header=BB297_161 Depth=1
	v_div_scale_f32 v8, null, v10, v10, v11
	v_div_scale_f32 v29, vcc_lo, v11, v10, v11
	s_delay_alu instid0(VALU_DEP_2) | instskip(SKIP_2) | instid1(VALU_DEP_1)
	v_rcp_f32_e32 v9, v8
	s_waitcnt_depctr 0xfff
	v_fma_f32 v12, -v8, v9, 1.0
	v_fmac_f32_e32 v9, v12, v9
	s_delay_alu instid0(VALU_DEP_1) | instskip(NEXT) | instid1(VALU_DEP_1)
	v_mul_f32_e32 v12, v29, v9
	v_fma_f32 v30, -v8, v12, v29
	s_delay_alu instid0(VALU_DEP_1) | instskip(NEXT) | instid1(VALU_DEP_1)
	v_fmac_f32_e32 v12, v30, v9
	v_fma_f32 v8, -v8, v12, v29
	s_delay_alu instid0(VALU_DEP_1) | instskip(NEXT) | instid1(VALU_DEP_1)
	v_div_fmas_f32 v8, v8, v9, v12
	v_div_fixup_f32 v8, v8, v10, v11
	s_delay_alu instid0(VALU_DEP_1) | instskip(NEXT) | instid1(VALU_DEP_1)
	v_fmac_f32_e32 v10, v11, v8
	v_div_scale_f32 v9, null, v10, v10, 1.0
	v_div_scale_f32 v29, vcc_lo, 1.0, v10, 1.0
	s_delay_alu instid0(VALU_DEP_2) | instskip(SKIP_2) | instid1(VALU_DEP_1)
	v_rcp_f32_e32 v11, v9
	s_waitcnt_depctr 0xfff
	v_fma_f32 v12, -v9, v11, 1.0
	v_fmac_f32_e32 v11, v12, v11
	s_delay_alu instid0(VALU_DEP_1) | instskip(NEXT) | instid1(VALU_DEP_1)
	v_mul_f32_e32 v12, v29, v11
	v_fma_f32 v30, -v9, v12, v29
	s_delay_alu instid0(VALU_DEP_1) | instskip(NEXT) | instid1(VALU_DEP_1)
	v_fmac_f32_e32 v12, v30, v11
	v_fma_f32 v9, -v9, v12, v29
	s_delay_alu instid0(VALU_DEP_1) | instskip(SKIP_1) | instid1(VALU_DEP_2)
	v_div_fmas_f32 v9, v9, v11, v12
	v_add_f32_e32 v11, 0, v8
	v_div_fixup_f32 v9, v9, v10, 1.0
	v_fma_f32 v10, v8, 0, -1.0
	s_delay_alu instid0(VALU_DEP_2) | instskip(NEXT) | instid1(VALU_DEP_2)
	v_mul_f32_e32 v8, v11, v9
	v_mul_f32_e32 v9, v10, v9
.LBB297_245:                            ;   in Loop: Header=BB297_161 Depth=1
	s_or_b32 exec_lo, exec_lo, s4
	v_cmp_neq_f32_e32 vcc_lo, 0, v6
	v_cmp_neq_f32_e64 s4, 0, v7
	v_mov_b32_e32 v12, 0
	s_delay_alu instid0(VALU_DEP_2) | instskip(NEXT) | instid1(SALU_CYCLE_1)
	s_or_b32 s4, vcc_lo, s4
	s_and_saveexec_b32 s11, s4
	s_cbranch_execz .LBB297_275
; %bb.246:                              ;   in Loop: Header=BB297_161 Depth=1
	v_mov_b32_e32 v12, 0x7f800000
	s_mov_b32 s20, exec_lo
	v_cmpx_neq_f32_e64 0x7f800000, |v7|
	s_cbranch_execz .LBB297_274
; %bb.247:                              ;   in Loop: Header=BB297_161 Depth=1
	s_mov_b32 s4, exec_lo
	v_cmpx_o_f32_e32 v6, v6
	s_xor_b32 s21, exec_lo, s4
	s_cbranch_execz .LBB297_271
; %bb.248:                              ;   in Loop: Header=BB297_161 Depth=1
	s_mov_b32 s5, exec_lo
	v_cmpx_neq_f32_e64 0x7f800000, |v6|
	s_xor_b32 s22, exec_lo, s5
	s_cbranch_execz .LBB297_264
; %bb.249:                              ;   in Loop: Header=BB297_161 Depth=1
	v_max_f32_e64 v10, |v6|, |v6|
	v_max_f32_e64 v11, |v7|, |v7|
                                        ; implicit-def: $sgpr23
	s_delay_alu instid0(VALU_DEP_1) | instskip(NEXT) | instid1(VALU_DEP_1)
	v_max_f32_e32 v10, v11, v10
	v_cmp_nle_f32_e64 s4, 0x7ed413cb, v10
	s_delay_alu instid0(VALU_DEP_1) | instskip(NEXT) | instid1(SALU_CYCLE_1)
	s_and_saveexec_b32 s5, s4
	s_xor_b32 s5, exec_lo, s5
	s_cbranch_execz .LBB297_253
; %bb.250:                              ;   in Loop: Header=BB297_161 Depth=1
	v_cmp_ge_f32_e64 s23, 0x1000000, |v6|
	v_cmp_ge_f32_e64 s24, 0x1000000, |v7|
	s_delay_alu instid0(VALU_DEP_1)
	s_and_b32 s25, s24, s23
	s_mov_b32 s23, 0
	s_and_saveexec_b32 s24, s25
; %bb.251:                              ;   in Loop: Header=BB297_161 Depth=1
	v_dual_mul_f32 v6, 4.0, v6 :: v_dual_mul_f32 v7, 4.0, v7
	s_mov_b32 s23, exec_lo
; %bb.252:                              ;   in Loop: Header=BB297_161 Depth=1
	s_or_b32 exec_lo, exec_lo, s24
	s_delay_alu instid0(SALU_CYCLE_1)
	s_and_b32 s23, s23, exec_lo
.LBB297_253:                            ;   in Loop: Header=BB297_161 Depth=1
	s_and_not1_saveexec_b32 s5, s5
; %bb.254:                              ;   in Loop: Header=BB297_161 Depth=1
	v_dual_mul_f32 v6, 0x3e800000, v6 :: v_dual_mul_f32 v7, 0x3e800000, v7
	s_and_not1_b32 s23, s23, exec_lo
; %bb.255:                              ;   in Loop: Header=BB297_161 Depth=1
	s_or_b32 exec_lo, exec_lo, s5
	s_delay_alu instid0(VALU_DEP_1) | instskip(NEXT) | instid1(VALU_DEP_2)
	v_max_f32_e64 v10, |v7|, |v7|
	v_max_f32_e64 v11, |v6|, |v6|
	s_delay_alu instid0(VALU_DEP_1) | instskip(NEXT) | instid1(VALU_DEP_1)
	v_max_f32_e32 v12, v11, v10
	v_cvt_f64_f32_e32 v[10:11], v12
	s_delay_alu instid0(VALU_DEP_1) | instskip(NEXT) | instid1(VALU_DEP_1)
	v_frexp_exp_i32_f64_e32 v10, v[10:11]
	v_sub_nc_u32_e32 v11, 0, v10
	s_delay_alu instid0(VALU_DEP_1) | instskip(SKIP_1) | instid1(VALU_DEP_2)
	v_ldexp_f32 v29, |v7|, v11
	v_ldexp_f32 v11, |v6|, v11
	v_mul_f32_e32 v29, v29, v29
	v_cmp_neq_f32_e64 s5, 0x7f800000, v12
	s_delay_alu instid0(VALU_DEP_2) | instskip(NEXT) | instid1(VALU_DEP_1)
	v_fmac_f32_e32 v29, v11, v11
	v_sqrt_f32_e32 v11, v29
	s_waitcnt_depctr 0xfff
	v_ldexp_f32 v10, v11, v10
                                        ; implicit-def: $vgpr11
	s_delay_alu instid0(VALU_DEP_1)
	v_cndmask_b32_e64 v12, 0x7f800000, v10, s5
                                        ; implicit-def: $vgpr10
	s_mov_b32 s5, exec_lo
	v_cmpx_le_f32_e32 0, v6
	s_xor_b32 s24, exec_lo, s5
	s_cbranch_execz .LBB297_257
; %bb.256:                              ;   in Loop: Header=BB297_161 Depth=1
	v_add_f32_e32 v6, v6, v12
	s_delay_alu instid0(VALU_DEP_1) | instskip(NEXT) | instid1(VALU_DEP_1)
	v_mul_f32_e32 v6, 0.5, v6
	v_mul_f32_e32 v10, 0x4f800000, v6
	v_cmp_gt_f32_e32 vcc_lo, 0xf800000, v6
	s_delay_alu instid0(VALU_DEP_2) | instskip(NEXT) | instid1(VALU_DEP_1)
	v_cndmask_b32_e32 v6, v6, v10, vcc_lo
	v_sqrt_f32_e32 v10, v6
	s_waitcnt_depctr 0xfff
	v_add_nc_u32_e32 v11, -1, v10
	v_add_nc_u32_e32 v12, 1, v10
	s_delay_alu instid0(VALU_DEP_2) | instskip(NEXT) | instid1(VALU_DEP_2)
	v_fma_f32 v29, -v11, v10, v6
	v_fma_f32 v30, -v12, v10, v6
	s_delay_alu instid0(VALU_DEP_2) | instskip(NEXT) | instid1(VALU_DEP_1)
	v_cmp_ge_f32_e64 s5, 0, v29
	v_cndmask_b32_e64 v10, v10, v11, s5
	s_delay_alu instid0(VALU_DEP_3) | instskip(NEXT) | instid1(VALU_DEP_1)
	v_cmp_lt_f32_e64 s5, 0, v30
	v_cndmask_b32_e64 v10, v10, v12, s5
	s_delay_alu instid0(VALU_DEP_1) | instskip(NEXT) | instid1(VALU_DEP_1)
	v_mul_f32_e32 v11, 0x37800000, v10
	v_cndmask_b32_e32 v10, v10, v11, vcc_lo
	v_cmp_class_f32_e64 vcc_lo, v6, 0x260
	s_delay_alu instid0(VALU_DEP_2) | instskip(NEXT) | instid1(VALU_DEP_1)
	v_cndmask_b32_e32 v10, v10, v6, vcc_lo
	v_add_f32_e32 v6, v10, v10
	s_delay_alu instid0(VALU_DEP_1) | instskip(NEXT) | instid1(VALU_DEP_1)
	v_div_scale_f32 v11, null, v6, v6, v7
	v_rcp_f32_e32 v12, v11
	s_waitcnt_depctr 0xfff
	v_fma_f32 v29, -v11, v12, 1.0
	s_delay_alu instid0(VALU_DEP_1) | instskip(SKIP_1) | instid1(VALU_DEP_1)
	v_fmac_f32_e32 v12, v29, v12
	v_div_scale_f32 v29, vcc_lo, v7, v6, v7
	v_mul_f32_e32 v30, v29, v12
	s_delay_alu instid0(VALU_DEP_1) | instskip(NEXT) | instid1(VALU_DEP_1)
	v_fma_f32 v31, -v11, v30, v29
	v_fmac_f32_e32 v30, v31, v12
	s_delay_alu instid0(VALU_DEP_1) | instskip(NEXT) | instid1(VALU_DEP_1)
	v_fma_f32 v11, -v11, v30, v29
	v_div_fmas_f32 v11, v11, v12, v30
                                        ; implicit-def: $vgpr12
	s_delay_alu instid0(VALU_DEP_1)
	v_div_fixup_f32 v11, v11, v6, v7
                                        ; implicit-def: $vgpr6
	s_and_not1_saveexec_b32 s24, s24
	s_cbranch_execz .LBB297_259
	s_branch .LBB297_258
.LBB297_257:                            ;   in Loop: Header=BB297_161 Depth=1
	s_and_not1_saveexec_b32 s24, s24
	s_cbranch_execz .LBB297_259
.LBB297_258:                            ;   in Loop: Header=BB297_161 Depth=1
	v_sub_f32_e32 v6, v12, v6
	s_delay_alu instid0(VALU_DEP_1) | instskip(NEXT) | instid1(VALU_DEP_1)
	v_mul_f32_e32 v6, 0.5, v6
	v_mul_f32_e32 v10, 0x4f800000, v6
	v_cmp_gt_f32_e32 vcc_lo, 0xf800000, v6
	s_delay_alu instid0(VALU_DEP_2) | instskip(NEXT) | instid1(VALU_DEP_1)
	v_cndmask_b32_e32 v6, v6, v10, vcc_lo
	v_sqrt_f32_e32 v10, v6
	s_waitcnt_depctr 0xfff
	v_add_nc_u32_e32 v11, -1, v10
	v_add_nc_u32_e32 v12, 1, v10
	s_delay_alu instid0(VALU_DEP_2) | instskip(NEXT) | instid1(VALU_DEP_2)
	v_fma_f32 v29, -v11, v10, v6
	v_fma_f32 v30, -v12, v10, v6
	s_delay_alu instid0(VALU_DEP_2) | instskip(NEXT) | instid1(VALU_DEP_1)
	v_cmp_ge_f32_e64 s5, 0, v29
	v_cndmask_b32_e64 v10, v10, v11, s5
	s_delay_alu instid0(VALU_DEP_3) | instskip(NEXT) | instid1(VALU_DEP_1)
	v_cmp_lt_f32_e64 s5, 0, v30
	v_cndmask_b32_e64 v10, v10, v12, s5
	s_delay_alu instid0(VALU_DEP_1) | instskip(NEXT) | instid1(VALU_DEP_1)
	v_mul_f32_e32 v11, 0x37800000, v10
	v_cndmask_b32_e32 v10, v10, v11, vcc_lo
	v_cmp_class_f32_e64 vcc_lo, v6, 0x260
	s_delay_alu instid0(VALU_DEP_2) | instskip(NEXT) | instid1(VALU_DEP_1)
	v_cndmask_b32_e32 v6, v10, v6, vcc_lo
	v_dual_add_f32 v11, v6, v6 :: v_dual_and_b32 v10, 0x7fffffff, v7
	s_delay_alu instid0(VALU_DEP_1) | instskip(SKIP_1) | instid1(VALU_DEP_2)
	v_div_scale_f32 v12, null, v11, v11, v10
	v_div_scale_f32 v10, vcc_lo, v10, v11, v10
	v_rcp_f32_e32 v29, v12
	s_waitcnt_depctr 0xfff
	v_fma_f32 v30, -v12, v29, 1.0
	s_delay_alu instid0(VALU_DEP_1) | instskip(NEXT) | instid1(VALU_DEP_1)
	v_fmac_f32_e32 v29, v30, v29
	v_mul_f32_e32 v30, v10, v29
	s_delay_alu instid0(VALU_DEP_1) | instskip(NEXT) | instid1(VALU_DEP_1)
	v_fma_f32 v31, -v12, v30, v10
	v_fmac_f32_e32 v30, v31, v29
	s_delay_alu instid0(VALU_DEP_1) | instskip(NEXT) | instid1(VALU_DEP_1)
	v_fma_f32 v10, -v12, v30, v10
	v_div_fmas_f32 v10, v10, v29, v30
	s_delay_alu instid0(VALU_DEP_1)
	v_div_fixup_f32 v10, v10, v11, |v7|
	v_bfi_b32 v11, 0x7fffffff, v6, v7
.LBB297_259:                            ;   in Loop: Header=BB297_161 Depth=1
	s_or_b32 exec_lo, exec_lo, s24
                                        ; implicit-def: $vgpr7
	s_and_saveexec_b32 s5, s4
	s_delay_alu instid0(SALU_CYCLE_1)
	s_xor_b32 s4, exec_lo, s5
	s_cbranch_execz .LBB297_261
; %bb.260:                              ;   in Loop: Header=BB297_161 Depth=1
	v_dual_mul_f32 v6, 0.5, v10 :: v_dual_mul_f32 v7, 0.5, v11
	s_delay_alu instid0(VALU_DEP_1) | instskip(NEXT) | instid1(VALU_DEP_2)
	v_cndmask_b32_e64 v6, v10, v6, s23
	v_cndmask_b32_e64 v7, v11, v7, s23
                                        ; implicit-def: $vgpr10
                                        ; implicit-def: $vgpr11
	s_and_not1_saveexec_b32 s4, s4
	s_cbranch_execnz .LBB297_262
	s_branch .LBB297_263
.LBB297_261:                            ;   in Loop: Header=BB297_161 Depth=1
	s_and_not1_saveexec_b32 s4, s4
.LBB297_262:                            ;   in Loop: Header=BB297_161 Depth=1
	v_dual_add_f32 v6, v10, v10 :: v_dual_add_f32 v7, v11, v11
.LBB297_263:                            ;   in Loop: Header=BB297_161 Depth=1
	s_or_b32 exec_lo, exec_lo, s4
.LBB297_264:                            ;   in Loop: Header=BB297_161 Depth=1
	s_and_not1_saveexec_b32 s4, s22
	s_cbranch_execz .LBB297_270
; %bb.265:                              ;   in Loop: Header=BB297_161 Depth=1
	s_delay_alu instid0(VALU_DEP_1)
	v_sub_f32_e32 v10, v7, v7
	s_mov_b32 s5, exec_lo
	v_cmpx_lt_i32_e32 -1, v6
	s_xor_b32 s5, exec_lo, s5
; %bb.266:                              ;   in Loop: Header=BB297_161 Depth=1
	s_delay_alu instid0(VALU_DEP_2)
	v_bfi_b32 v7, 0x7fffffff, v10, v7
                                        ; implicit-def: $vgpr10
; %bb.267:                              ;   in Loop: Header=BB297_161 Depth=1
	s_and_not1_saveexec_b32 s5, s5
; %bb.268:                              ;   in Loop: Header=BB297_161 Depth=1
	v_and_b32_e32 v10, 0x7fffffff, v10
	s_delay_alu instid0(VALU_DEP_2) | instskip(NEXT) | instid1(VALU_DEP_2)
	v_bfi_b32 v7, 0x7fffffff, v6, v7
	v_mov_b32_e32 v6, v10
; %bb.269:                              ;   in Loop: Header=BB297_161 Depth=1
	s_or_b32 exec_lo, exec_lo, s5
.LBB297_270:                            ;   in Loop: Header=BB297_161 Depth=1
	s_delay_alu instid0(SALU_CYCLE_1)
	s_or_b32 exec_lo, exec_lo, s4
.LBB297_271:                            ;   in Loop: Header=BB297_161 Depth=1
	s_and_not1_saveexec_b32 s4, s21
; %bb.272:                              ;   in Loop: Header=BB297_161 Depth=1
	v_sub_f32_e32 v7, v7, v7
	s_delay_alu instid0(VALU_DEP_1) | instskip(NEXT) | instid1(VALU_DEP_1)
	v_div_scale_f32 v10, vcc_lo, v7, v7, v7
	v_rcp_f32_e32 v11, v10
	s_waitcnt_depctr 0xfff
	v_fma_f32 v12, -v10, v11, 1.0
	s_delay_alu instid0(VALU_DEP_1) | instskip(NEXT) | instid1(VALU_DEP_1)
	v_fmac_f32_e32 v11, v12, v11
	v_mul_f32_e32 v12, v10, v11
	s_delay_alu instid0(VALU_DEP_1) | instskip(NEXT) | instid1(VALU_DEP_1)
	v_fma_f32 v29, -v10, v12, v10
	v_fmac_f32_e32 v12, v29, v11
	s_delay_alu instid0(VALU_DEP_1) | instskip(NEXT) | instid1(VALU_DEP_1)
	v_fma_f32 v10, -v10, v12, v10
	v_div_fmas_f32 v10, v10, v11, v12
	s_delay_alu instid0(VALU_DEP_1)
	v_div_fixup_f32 v7, v10, v7, v7
; %bb.273:                              ;   in Loop: Header=BB297_161 Depth=1
	s_or_b32 exec_lo, exec_lo, s4
	v_mov_b32_e32 v12, v6
.LBB297_274:                            ;   in Loop: Header=BB297_161 Depth=1
	s_or_b32 exec_lo, exec_lo, s20
.LBB297_275:                            ;   in Loop: Header=BB297_161 Depth=1
	s_delay_alu instid0(SALU_CYCLE_1) | instskip(NEXT) | instid1(VALU_DEP_1)
	s_or_b32 exec_lo, exec_lo, s11
	v_cmp_gt_f32_e32 vcc_lo, 0, v12
                                        ; implicit-def: $vgpr11
	s_mov_b32 s4, exec_lo
	v_cndmask_b32_e64 v6, v12, -v12, vcc_lo
	v_cmp_gt_f32_e32 vcc_lo, 0, v7
	v_cndmask_b32_e64 v29, v7, -v7, vcc_lo
	s_delay_alu instid0(VALU_DEP_1)
	v_cmpx_ge_f32_e32 v6, v29
	s_xor_b32 s5, exec_lo, s4
	s_cbranch_execz .LBB297_281
; %bb.276:                              ;   in Loop: Header=BB297_161 Depth=1
	v_cmp_neq_f32_e32 vcc_lo, 0, v12
	v_cmp_neq_f32_e64 s4, 0, v7
                                        ; implicit-def: $vgpr11
	s_delay_alu instid0(VALU_DEP_1) | instskip(NEXT) | instid1(SALU_CYCLE_1)
	s_or_b32 s4, vcc_lo, s4
	s_and_saveexec_b32 s11, s4
	s_delay_alu instid0(SALU_CYCLE_1)
	s_xor_b32 s4, exec_lo, s11
	s_cbranch_execz .LBB297_278
; %bb.277:                              ;   in Loop: Header=BB297_161 Depth=1
	v_div_scale_f32 v6, null, v12, v12, v7
	v_div_scale_f32 v29, vcc_lo, v7, v12, v7
	s_delay_alu instid0(VALU_DEP_2) | instskip(SKIP_2) | instid1(VALU_DEP_1)
	v_rcp_f32_e32 v10, v6
	s_waitcnt_depctr 0xfff
	v_fma_f32 v11, -v6, v10, 1.0
	v_fmac_f32_e32 v10, v11, v10
	s_delay_alu instid0(VALU_DEP_1) | instskip(NEXT) | instid1(VALU_DEP_1)
	v_mul_f32_e32 v11, v29, v10
	v_fma_f32 v30, -v6, v11, v29
	s_delay_alu instid0(VALU_DEP_1) | instskip(NEXT) | instid1(VALU_DEP_1)
	v_fmac_f32_e32 v11, v30, v10
	v_fma_f32 v6, -v6, v11, v29
	s_delay_alu instid0(VALU_DEP_1) | instskip(NEXT) | instid1(VALU_DEP_1)
	v_div_fmas_f32 v6, v6, v10, v11
	v_div_fixup_f32 v6, v6, v12, v7
	s_delay_alu instid0(VALU_DEP_1) | instskip(NEXT) | instid1(VALU_DEP_1)
	v_fmac_f32_e32 v12, v7, v6
	v_div_scale_f32 v7, null, v12, v12, 1.0
	v_div_scale_f32 v29, vcc_lo, 1.0, v12, 1.0
	s_delay_alu instid0(VALU_DEP_2) | instskip(SKIP_2) | instid1(VALU_DEP_1)
	v_rcp_f32_e32 v10, v7
	s_waitcnt_depctr 0xfff
	v_fma_f32 v11, -v7, v10, 1.0
	v_fmac_f32_e32 v10, v11, v10
	s_delay_alu instid0(VALU_DEP_1) | instskip(NEXT) | instid1(VALU_DEP_1)
	v_mul_f32_e32 v11, v29, v10
	v_fma_f32 v30, -v7, v11, v29
	s_delay_alu instid0(VALU_DEP_1) | instskip(NEXT) | instid1(VALU_DEP_1)
	v_fmac_f32_e32 v11, v30, v10
	v_fma_f32 v7, -v7, v11, v29
                                        ; implicit-def: $vgpr29
	s_delay_alu instid0(VALU_DEP_1) | instskip(SKIP_1) | instid1(VALU_DEP_2)
	v_div_fmas_f32 v7, v7, v10, v11
	v_fma_f32 v10, v6, 0, 1.0
	v_div_fixup_f32 v7, v7, v12, 1.0
	s_delay_alu instid0(VALU_DEP_1)
	v_mul_f32_e32 v10, v10, v7
	v_mul_f32_e64 v11, -v6, v7
                                        ; implicit-def: $vgpr6
.LBB297_278:                            ;   in Loop: Header=BB297_161 Depth=1
	s_and_not1_saveexec_b32 s11, s4
	s_cbranch_execz .LBB297_280
; %bb.279:                              ;   in Loop: Header=BB297_161 Depth=1
	v_div_scale_f32 v7, null, v6, v6, 1.0
	v_div_scale_f32 v10, null, v29, v29, 0
	v_div_scale_f32 v32, vcc_lo, 1.0, v6, 1.0
	s_delay_alu instid0(VALU_DEP_3) | instskip(NEXT) | instid1(VALU_DEP_2)
	v_rcp_f32_e32 v11, v7
	v_rcp_f32_e32 v12, v10
	s_waitcnt_depctr 0xfff
	v_fma_f32 v30, -v7, v11, 1.0
	v_fma_f32 v31, -v10, v12, 1.0
	s_delay_alu instid0(VALU_DEP_1) | instskip(SKIP_1) | instid1(VALU_DEP_2)
	v_dual_fmac_f32 v11, v30, v11 :: v_dual_fmac_f32 v12, v31, v12
	v_div_scale_f32 v30, s4, 0, v29, 0
	v_mul_f32_e32 v31, v32, v11
	s_delay_alu instid0(VALU_DEP_2) | instskip(NEXT) | instid1(VALU_DEP_2)
	v_mul_f32_e32 v33, v30, v12
	v_fma_f32 v34, -v7, v31, v32
	s_delay_alu instid0(VALU_DEP_2) | instskip(NEXT) | instid1(VALU_DEP_2)
	v_fma_f32 v35, -v10, v33, v30
	v_fmac_f32_e32 v31, v34, v11
	s_delay_alu instid0(VALU_DEP_2) | instskip(NEXT) | instid1(VALU_DEP_2)
	v_fmac_f32_e32 v33, v35, v12
	v_fma_f32 v7, -v7, v31, v32
	s_delay_alu instid0(VALU_DEP_2) | instskip(NEXT) | instid1(VALU_DEP_2)
	v_fma_f32 v10, -v10, v33, v30
	v_div_fmas_f32 v7, v7, v11, v31
	s_mov_b32 vcc_lo, s4
	s_delay_alu instid0(VALU_DEP_2) | instskip(NEXT) | instid1(VALU_DEP_2)
	v_div_fmas_f32 v11, v10, v12, v33
	v_div_fixup_f32 v10, v7, v6, 1.0
	s_delay_alu instid0(VALU_DEP_2)
	v_div_fixup_f32 v11, v11, v29, 0
.LBB297_280:                            ;   in Loop: Header=BB297_161 Depth=1
	s_or_b32 exec_lo, exec_lo, s11
                                        ; implicit-def: $vgpr7
                                        ; implicit-def: $vgpr12
.LBB297_281:                            ;   in Loop: Header=BB297_161 Depth=1
	s_and_not1_saveexec_b32 s4, s5
	s_cbranch_execz .LBB297_283
; %bb.282:                              ;   in Loop: Header=BB297_161 Depth=1
	v_div_scale_f32 v6, null, v7, v7, v12
	v_div_scale_f32 v29, vcc_lo, v12, v7, v12
	s_delay_alu instid0(VALU_DEP_2) | instskip(SKIP_2) | instid1(VALU_DEP_1)
	v_rcp_f32_e32 v10, v6
	s_waitcnt_depctr 0xfff
	v_fma_f32 v11, -v6, v10, 1.0
	v_fmac_f32_e32 v10, v11, v10
	s_delay_alu instid0(VALU_DEP_1) | instskip(NEXT) | instid1(VALU_DEP_1)
	v_mul_f32_e32 v11, v29, v10
	v_fma_f32 v30, -v6, v11, v29
	s_delay_alu instid0(VALU_DEP_1) | instskip(NEXT) | instid1(VALU_DEP_1)
	v_fmac_f32_e32 v11, v30, v10
	v_fma_f32 v6, -v6, v11, v29
	s_delay_alu instid0(VALU_DEP_1) | instskip(NEXT) | instid1(VALU_DEP_1)
	v_div_fmas_f32 v6, v6, v10, v11
	v_div_fixup_f32 v6, v6, v7, v12
	s_delay_alu instid0(VALU_DEP_1) | instskip(NEXT) | instid1(VALU_DEP_1)
	v_fmac_f32_e32 v7, v12, v6
	v_div_scale_f32 v10, null, v7, v7, 1.0
	v_div_scale_f32 v29, vcc_lo, 1.0, v7, 1.0
	s_delay_alu instid0(VALU_DEP_2) | instskip(SKIP_2) | instid1(VALU_DEP_1)
	v_rcp_f32_e32 v11, v10
	s_waitcnt_depctr 0xfff
	v_fma_f32 v12, -v10, v11, 1.0
	v_fmac_f32_e32 v11, v12, v11
	s_delay_alu instid0(VALU_DEP_1) | instskip(NEXT) | instid1(VALU_DEP_1)
	v_mul_f32_e32 v12, v29, v11
	v_fma_f32 v30, -v10, v12, v29
	s_delay_alu instid0(VALU_DEP_1) | instskip(NEXT) | instid1(VALU_DEP_1)
	v_fmac_f32_e32 v12, v30, v11
	v_fma_f32 v10, -v10, v12, v29
	s_delay_alu instid0(VALU_DEP_1) | instskip(SKIP_2) | instid1(VALU_DEP_3)
	v_div_fmas_f32 v10, v10, v11, v12
	v_add_f32_e32 v11, 0, v6
	v_fma_f32 v6, v6, 0, -1.0
	v_div_fixup_f32 v7, v10, v7, 1.0
	s_delay_alu instid0(VALU_DEP_1) | instskip(NEXT) | instid1(VALU_DEP_3)
	v_mul_f32_e32 v10, v11, v7
	v_mul_f32_e32 v11, v6, v7
.LBB297_283:                            ;   in Loop: Header=BB297_161 Depth=1
	s_or_b32 exec_lo, exec_lo, s4
	v_cmp_neq_f32_e32 vcc_lo, 0, v2
	v_cmp_neq_f32_e64 s4, 0, v3
	v_mov_b32_e32 v12, 0
	s_delay_alu instid0(VALU_DEP_2) | instskip(NEXT) | instid1(SALU_CYCLE_1)
	s_or_b32 s4, vcc_lo, s4
	s_and_saveexec_b32 s11, s4
	s_cbranch_execz .LBB297_313
; %bb.284:                              ;   in Loop: Header=BB297_161 Depth=1
	v_mov_b32_e32 v12, 0x7f800000
	s_mov_b32 s20, exec_lo
	v_cmpx_neq_f32_e64 0x7f800000, |v3|
	s_cbranch_execz .LBB297_312
; %bb.285:                              ;   in Loop: Header=BB297_161 Depth=1
	s_mov_b32 s4, exec_lo
	v_cmpx_o_f32_e32 v2, v2
	s_xor_b32 s21, exec_lo, s4
	s_cbranch_execz .LBB297_309
; %bb.286:                              ;   in Loop: Header=BB297_161 Depth=1
	s_mov_b32 s5, exec_lo
	v_cmpx_neq_f32_e64 0x7f800000, |v2|
	s_xor_b32 s22, exec_lo, s5
	s_cbranch_execz .LBB297_302
; %bb.287:                              ;   in Loop: Header=BB297_161 Depth=1
	v_max_f32_e64 v6, |v2|, |v2|
	v_max_f32_e64 v7, |v3|, |v3|
                                        ; implicit-def: $sgpr23
	s_delay_alu instid0(VALU_DEP_1) | instskip(NEXT) | instid1(VALU_DEP_1)
	v_max_f32_e32 v6, v7, v6
	v_cmp_nle_f32_e64 s4, 0x7ed413cb, v6
	s_delay_alu instid0(VALU_DEP_1) | instskip(NEXT) | instid1(SALU_CYCLE_1)
	s_and_saveexec_b32 s5, s4
	s_xor_b32 s5, exec_lo, s5
	s_cbranch_execz .LBB297_291
; %bb.288:                              ;   in Loop: Header=BB297_161 Depth=1
	v_cmp_ge_f32_e64 s23, 0x1000000, |v2|
	v_cmp_ge_f32_e64 s24, 0x1000000, |v3|
	s_delay_alu instid0(VALU_DEP_1)
	s_and_b32 s25, s24, s23
	s_mov_b32 s23, 0
	s_and_saveexec_b32 s24, s25
; %bb.289:                              ;   in Loop: Header=BB297_161 Depth=1
	v_dual_mul_f32 v2, 4.0, v2 :: v_dual_mul_f32 v3, 4.0, v3
	s_mov_b32 s23, exec_lo
; %bb.290:                              ;   in Loop: Header=BB297_161 Depth=1
	s_or_b32 exec_lo, exec_lo, s24
	s_delay_alu instid0(SALU_CYCLE_1)
	s_and_b32 s23, s23, exec_lo
.LBB297_291:                            ;   in Loop: Header=BB297_161 Depth=1
	s_and_not1_saveexec_b32 s5, s5
; %bb.292:                              ;   in Loop: Header=BB297_161 Depth=1
	v_dual_mul_f32 v2, 0x3e800000, v2 :: v_dual_mul_f32 v3, 0x3e800000, v3
	s_and_not1_b32 s23, s23, exec_lo
; %bb.293:                              ;   in Loop: Header=BB297_161 Depth=1
	s_or_b32 exec_lo, exec_lo, s5
	s_delay_alu instid0(VALU_DEP_1) | instskip(NEXT) | instid1(VALU_DEP_2)
	v_max_f32_e64 v6, |v3|, |v3|
	v_max_f32_e64 v7, |v2|, |v2|
	s_delay_alu instid0(VALU_DEP_1) | instskip(NEXT) | instid1(VALU_DEP_1)
	v_max_f32_e32 v12, v7, v6
	v_cvt_f64_f32_e32 v[6:7], v12
	s_delay_alu instid0(VALU_DEP_1) | instskip(NEXT) | instid1(VALU_DEP_1)
	v_frexp_exp_i32_f64_e32 v6, v[6:7]
	v_sub_nc_u32_e32 v7, 0, v6
	s_delay_alu instid0(VALU_DEP_1) | instskip(SKIP_1) | instid1(VALU_DEP_2)
	v_ldexp_f32 v29, |v3|, v7
	v_ldexp_f32 v7, |v2|, v7
	v_mul_f32_e32 v29, v29, v29
	v_cmp_neq_f32_e64 s5, 0x7f800000, v12
	s_delay_alu instid0(VALU_DEP_2) | instskip(NEXT) | instid1(VALU_DEP_1)
	v_fmac_f32_e32 v29, v7, v7
	v_sqrt_f32_e32 v7, v29
	s_waitcnt_depctr 0xfff
	v_ldexp_f32 v6, v7, v6
                                        ; implicit-def: $vgpr7
	s_delay_alu instid0(VALU_DEP_1)
	v_cndmask_b32_e64 v12, 0x7f800000, v6, s5
                                        ; implicit-def: $vgpr6
	s_mov_b32 s5, exec_lo
	v_cmpx_le_f32_e32 0, v2
	s_xor_b32 s24, exec_lo, s5
	s_cbranch_execz .LBB297_295
; %bb.294:                              ;   in Loop: Header=BB297_161 Depth=1
	v_add_f32_e32 v2, v2, v12
	s_delay_alu instid0(VALU_DEP_1) | instskip(NEXT) | instid1(VALU_DEP_1)
	v_mul_f32_e32 v2, 0.5, v2
	v_mul_f32_e32 v6, 0x4f800000, v2
	v_cmp_gt_f32_e32 vcc_lo, 0xf800000, v2
	s_delay_alu instid0(VALU_DEP_2) | instskip(NEXT) | instid1(VALU_DEP_1)
	v_cndmask_b32_e32 v2, v2, v6, vcc_lo
	v_sqrt_f32_e32 v6, v2
	s_waitcnt_depctr 0xfff
	v_add_nc_u32_e32 v7, -1, v6
	v_add_nc_u32_e32 v12, 1, v6
	s_delay_alu instid0(VALU_DEP_2) | instskip(NEXT) | instid1(VALU_DEP_2)
	v_fma_f32 v29, -v7, v6, v2
	v_fma_f32 v30, -v12, v6, v2
	s_delay_alu instid0(VALU_DEP_2) | instskip(NEXT) | instid1(VALU_DEP_1)
	v_cmp_ge_f32_e64 s5, 0, v29
	v_cndmask_b32_e64 v6, v6, v7, s5
	s_delay_alu instid0(VALU_DEP_3) | instskip(NEXT) | instid1(VALU_DEP_1)
	v_cmp_lt_f32_e64 s5, 0, v30
	v_cndmask_b32_e64 v6, v6, v12, s5
	s_delay_alu instid0(VALU_DEP_1) | instskip(NEXT) | instid1(VALU_DEP_1)
	v_mul_f32_e32 v7, 0x37800000, v6
	v_cndmask_b32_e32 v6, v6, v7, vcc_lo
	v_cmp_class_f32_e64 vcc_lo, v2, 0x260
	s_delay_alu instid0(VALU_DEP_2) | instskip(NEXT) | instid1(VALU_DEP_1)
	v_cndmask_b32_e32 v6, v6, v2, vcc_lo
	v_add_f32_e32 v2, v6, v6
	s_delay_alu instid0(VALU_DEP_1) | instskip(NEXT) | instid1(VALU_DEP_1)
	v_div_scale_f32 v7, null, v2, v2, v3
	v_rcp_f32_e32 v12, v7
	s_waitcnt_depctr 0xfff
	v_fma_f32 v29, -v7, v12, 1.0
	s_delay_alu instid0(VALU_DEP_1) | instskip(SKIP_1) | instid1(VALU_DEP_1)
	v_fmac_f32_e32 v12, v29, v12
	v_div_scale_f32 v29, vcc_lo, v3, v2, v3
	v_mul_f32_e32 v30, v29, v12
	s_delay_alu instid0(VALU_DEP_1) | instskip(NEXT) | instid1(VALU_DEP_1)
	v_fma_f32 v31, -v7, v30, v29
	v_fmac_f32_e32 v30, v31, v12
	s_delay_alu instid0(VALU_DEP_1) | instskip(NEXT) | instid1(VALU_DEP_1)
	v_fma_f32 v7, -v7, v30, v29
	v_div_fmas_f32 v7, v7, v12, v30
                                        ; implicit-def: $vgpr12
	s_delay_alu instid0(VALU_DEP_1)
	v_div_fixup_f32 v7, v7, v2, v3
                                        ; implicit-def: $vgpr2
	s_and_not1_saveexec_b32 s24, s24
	s_cbranch_execz .LBB297_297
	s_branch .LBB297_296
.LBB297_295:                            ;   in Loop: Header=BB297_161 Depth=1
	s_and_not1_saveexec_b32 s24, s24
	s_cbranch_execz .LBB297_297
.LBB297_296:                            ;   in Loop: Header=BB297_161 Depth=1
	v_sub_f32_e32 v2, v12, v2
	s_delay_alu instid0(VALU_DEP_1) | instskip(NEXT) | instid1(VALU_DEP_1)
	v_mul_f32_e32 v2, 0.5, v2
	v_mul_f32_e32 v6, 0x4f800000, v2
	v_cmp_gt_f32_e32 vcc_lo, 0xf800000, v2
	s_delay_alu instid0(VALU_DEP_2) | instskip(NEXT) | instid1(VALU_DEP_1)
	v_cndmask_b32_e32 v2, v2, v6, vcc_lo
	v_sqrt_f32_e32 v6, v2
	s_waitcnt_depctr 0xfff
	v_add_nc_u32_e32 v7, -1, v6
	v_add_nc_u32_e32 v12, 1, v6
	s_delay_alu instid0(VALU_DEP_2) | instskip(NEXT) | instid1(VALU_DEP_2)
	v_fma_f32 v29, -v7, v6, v2
	v_fma_f32 v30, -v12, v6, v2
	s_delay_alu instid0(VALU_DEP_2) | instskip(NEXT) | instid1(VALU_DEP_1)
	v_cmp_ge_f32_e64 s5, 0, v29
	v_cndmask_b32_e64 v6, v6, v7, s5
	s_delay_alu instid0(VALU_DEP_3) | instskip(NEXT) | instid1(VALU_DEP_1)
	v_cmp_lt_f32_e64 s5, 0, v30
	v_cndmask_b32_e64 v6, v6, v12, s5
	s_delay_alu instid0(VALU_DEP_1) | instskip(NEXT) | instid1(VALU_DEP_1)
	v_mul_f32_e32 v7, 0x37800000, v6
	v_cndmask_b32_e32 v6, v6, v7, vcc_lo
	v_cmp_class_f32_e64 vcc_lo, v2, 0x260
	s_delay_alu instid0(VALU_DEP_2) | instskip(NEXT) | instid1(VALU_DEP_1)
	v_cndmask_b32_e32 v2, v6, v2, vcc_lo
	v_dual_add_f32 v7, v2, v2 :: v_dual_and_b32 v6, 0x7fffffff, v3
	s_delay_alu instid0(VALU_DEP_1) | instskip(SKIP_1) | instid1(VALU_DEP_2)
	v_div_scale_f32 v12, null, v7, v7, v6
	v_div_scale_f32 v6, vcc_lo, v6, v7, v6
	v_rcp_f32_e32 v29, v12
	s_waitcnt_depctr 0xfff
	v_fma_f32 v30, -v12, v29, 1.0
	s_delay_alu instid0(VALU_DEP_1) | instskip(NEXT) | instid1(VALU_DEP_1)
	v_fmac_f32_e32 v29, v30, v29
	v_mul_f32_e32 v30, v6, v29
	s_delay_alu instid0(VALU_DEP_1) | instskip(NEXT) | instid1(VALU_DEP_1)
	v_fma_f32 v31, -v12, v30, v6
	v_fmac_f32_e32 v30, v31, v29
	s_delay_alu instid0(VALU_DEP_1) | instskip(NEXT) | instid1(VALU_DEP_1)
	v_fma_f32 v6, -v12, v30, v6
	v_div_fmas_f32 v6, v6, v29, v30
	s_delay_alu instid0(VALU_DEP_1)
	v_div_fixup_f32 v6, v6, v7, |v3|
	v_bfi_b32 v7, 0x7fffffff, v2, v3
.LBB297_297:                            ;   in Loop: Header=BB297_161 Depth=1
	s_or_b32 exec_lo, exec_lo, s24
                                        ; implicit-def: $vgpr3
	s_and_saveexec_b32 s5, s4
	s_delay_alu instid0(SALU_CYCLE_1)
	s_xor_b32 s4, exec_lo, s5
	s_cbranch_execz .LBB297_299
; %bb.298:                              ;   in Loop: Header=BB297_161 Depth=1
	v_dual_mul_f32 v2, 0.5, v6 :: v_dual_mul_f32 v3, 0.5, v7
	s_delay_alu instid0(VALU_DEP_1) | instskip(NEXT) | instid1(VALU_DEP_2)
	v_cndmask_b32_e64 v2, v6, v2, s23
	v_cndmask_b32_e64 v3, v7, v3, s23
                                        ; implicit-def: $vgpr6
                                        ; implicit-def: $vgpr7
	s_and_not1_saveexec_b32 s4, s4
	s_cbranch_execnz .LBB297_300
	s_branch .LBB297_301
.LBB297_299:                            ;   in Loop: Header=BB297_161 Depth=1
	s_and_not1_saveexec_b32 s4, s4
.LBB297_300:                            ;   in Loop: Header=BB297_161 Depth=1
	v_dual_add_f32 v2, v6, v6 :: v_dual_add_f32 v3, v7, v7
.LBB297_301:                            ;   in Loop: Header=BB297_161 Depth=1
	s_or_b32 exec_lo, exec_lo, s4
.LBB297_302:                            ;   in Loop: Header=BB297_161 Depth=1
	s_and_not1_saveexec_b32 s4, s22
	s_cbranch_execz .LBB297_308
; %bb.303:                              ;   in Loop: Header=BB297_161 Depth=1
	s_delay_alu instid0(VALU_DEP_1)
	v_sub_f32_e32 v6, v3, v3
	s_mov_b32 s5, exec_lo
	v_cmpx_lt_i32_e32 -1, v2
	s_xor_b32 s5, exec_lo, s5
; %bb.304:                              ;   in Loop: Header=BB297_161 Depth=1
	s_delay_alu instid0(VALU_DEP_2)
	v_bfi_b32 v3, 0x7fffffff, v6, v3
                                        ; implicit-def: $vgpr6
; %bb.305:                              ;   in Loop: Header=BB297_161 Depth=1
	s_and_not1_saveexec_b32 s5, s5
; %bb.306:                              ;   in Loop: Header=BB297_161 Depth=1
	v_and_b32_e32 v6, 0x7fffffff, v6
	s_delay_alu instid0(VALU_DEP_2) | instskip(NEXT) | instid1(VALU_DEP_2)
	v_bfi_b32 v3, 0x7fffffff, v2, v3
	v_mov_b32_e32 v2, v6
; %bb.307:                              ;   in Loop: Header=BB297_161 Depth=1
	s_or_b32 exec_lo, exec_lo, s5
.LBB297_308:                            ;   in Loop: Header=BB297_161 Depth=1
	s_delay_alu instid0(SALU_CYCLE_1)
	s_or_b32 exec_lo, exec_lo, s4
.LBB297_309:                            ;   in Loop: Header=BB297_161 Depth=1
	s_and_not1_saveexec_b32 s4, s21
; %bb.310:                              ;   in Loop: Header=BB297_161 Depth=1
	v_sub_f32_e32 v3, v3, v3
	s_delay_alu instid0(VALU_DEP_1) | instskip(NEXT) | instid1(VALU_DEP_1)
	v_div_scale_f32 v6, vcc_lo, v3, v3, v3
	v_rcp_f32_e32 v7, v6
	s_waitcnt_depctr 0xfff
	v_fma_f32 v12, -v6, v7, 1.0
	s_delay_alu instid0(VALU_DEP_1) | instskip(NEXT) | instid1(VALU_DEP_1)
	v_fmac_f32_e32 v7, v12, v7
	v_mul_f32_e32 v12, v6, v7
	s_delay_alu instid0(VALU_DEP_1) | instskip(NEXT) | instid1(VALU_DEP_1)
	v_fma_f32 v29, -v6, v12, v6
	v_fmac_f32_e32 v12, v29, v7
	s_delay_alu instid0(VALU_DEP_1) | instskip(NEXT) | instid1(VALU_DEP_1)
	v_fma_f32 v6, -v6, v12, v6
	v_div_fmas_f32 v6, v6, v7, v12
	s_delay_alu instid0(VALU_DEP_1)
	v_div_fixup_f32 v3, v6, v3, v3
; %bb.311:                              ;   in Loop: Header=BB297_161 Depth=1
	s_or_b32 exec_lo, exec_lo, s4
	v_mov_b32_e32 v12, v2
.LBB297_312:                            ;   in Loop: Header=BB297_161 Depth=1
	s_or_b32 exec_lo, exec_lo, s20
.LBB297_313:                            ;   in Loop: Header=BB297_161 Depth=1
	s_delay_alu instid0(SALU_CYCLE_1) | instskip(NEXT) | instid1(VALU_DEP_1)
	s_or_b32 exec_lo, exec_lo, s11
	v_cmp_gt_f32_e32 vcc_lo, 0, v12
                                        ; implicit-def: $vgpr7
	s_mov_b32 s4, exec_lo
	v_cndmask_b32_e64 v2, v12, -v12, vcc_lo
	v_cmp_gt_f32_e32 vcc_lo, 0, v3
	v_cndmask_b32_e64 v29, v3, -v3, vcc_lo
	s_delay_alu instid0(VALU_DEP_1)
	v_cmpx_ge_f32_e32 v2, v29
	s_xor_b32 s5, exec_lo, s4
	s_cbranch_execz .LBB297_323
; %bb.314:                              ;   in Loop: Header=BB297_161 Depth=1
	v_cmp_neq_f32_e32 vcc_lo, 0, v12
	v_cmp_neq_f32_e64 s4, 0, v3
                                        ; implicit-def: $vgpr7
	s_delay_alu instid0(VALU_DEP_1) | instskip(NEXT) | instid1(SALU_CYCLE_1)
	s_or_b32 s4, vcc_lo, s4
	s_and_saveexec_b32 s11, s4
	s_delay_alu instid0(SALU_CYCLE_1)
	s_xor_b32 s4, exec_lo, s11
	s_cbranch_execz .LBB297_316
; %bb.315:                              ;   in Loop: Header=BB297_161 Depth=1
	v_div_scale_f32 v2, null, v12, v12, v3
	v_div_scale_f32 v29, vcc_lo, v3, v12, v3
	s_delay_alu instid0(VALU_DEP_2) | instskip(SKIP_2) | instid1(VALU_DEP_1)
	v_rcp_f32_e32 v6, v2
	s_waitcnt_depctr 0xfff
	v_fma_f32 v7, -v2, v6, 1.0
	v_fmac_f32_e32 v6, v7, v6
	s_delay_alu instid0(VALU_DEP_1) | instskip(NEXT) | instid1(VALU_DEP_1)
	v_mul_f32_e32 v7, v29, v6
	v_fma_f32 v30, -v2, v7, v29
	s_delay_alu instid0(VALU_DEP_1) | instskip(NEXT) | instid1(VALU_DEP_1)
	v_fmac_f32_e32 v7, v30, v6
	v_fma_f32 v2, -v2, v7, v29
	s_delay_alu instid0(VALU_DEP_1) | instskip(NEXT) | instid1(VALU_DEP_1)
	v_div_fmas_f32 v2, v2, v6, v7
	v_div_fixup_f32 v2, v2, v12, v3
	s_delay_alu instid0(VALU_DEP_1) | instskip(NEXT) | instid1(VALU_DEP_1)
	v_fmac_f32_e32 v12, v3, v2
	v_div_scale_f32 v3, null, v12, v12, 1.0
	v_div_scale_f32 v29, vcc_lo, 1.0, v12, 1.0
	s_delay_alu instid0(VALU_DEP_2) | instskip(SKIP_2) | instid1(VALU_DEP_1)
	v_rcp_f32_e32 v6, v3
	s_waitcnt_depctr 0xfff
	v_fma_f32 v7, -v3, v6, 1.0
	v_fmac_f32_e32 v6, v7, v6
	s_delay_alu instid0(VALU_DEP_1) | instskip(NEXT) | instid1(VALU_DEP_1)
	v_mul_f32_e32 v7, v29, v6
	v_fma_f32 v30, -v3, v7, v29
	s_delay_alu instid0(VALU_DEP_1) | instskip(NEXT) | instid1(VALU_DEP_1)
	v_fmac_f32_e32 v7, v30, v6
	v_fma_f32 v3, -v3, v7, v29
                                        ; implicit-def: $vgpr29
	s_delay_alu instid0(VALU_DEP_1) | instskip(SKIP_1) | instid1(VALU_DEP_2)
	v_div_fmas_f32 v3, v3, v6, v7
	v_fma_f32 v6, v2, 0, 1.0
	v_div_fixup_f32 v3, v3, v12, 1.0
	s_delay_alu instid0(VALU_DEP_1)
	v_mul_f32_e32 v6, v6, v3
	v_mul_f32_e64 v7, -v2, v3
                                        ; implicit-def: $vgpr2
.LBB297_316:                            ;   in Loop: Header=BB297_161 Depth=1
	s_and_not1_saveexec_b32 s11, s4
	s_cbranch_execz .LBB297_318
; %bb.317:                              ;   in Loop: Header=BB297_161 Depth=1
	v_div_scale_f32 v3, null, v2, v2, 1.0
	v_div_scale_f32 v6, null, v29, v29, 0
	v_div_scale_f32 v32, vcc_lo, 1.0, v2, 1.0
	s_delay_alu instid0(VALU_DEP_3) | instskip(NEXT) | instid1(VALU_DEP_2)
	v_rcp_f32_e32 v7, v3
	v_rcp_f32_e32 v12, v6
	s_waitcnt_depctr 0xfff
	v_fma_f32 v30, -v3, v7, 1.0
	v_fma_f32 v31, -v6, v12, 1.0
	s_delay_alu instid0(VALU_DEP_1) | instskip(SKIP_1) | instid1(VALU_DEP_2)
	v_dual_fmac_f32 v7, v30, v7 :: v_dual_fmac_f32 v12, v31, v12
	v_div_scale_f32 v30, s4, 0, v29, 0
	v_mul_f32_e32 v31, v32, v7
	s_delay_alu instid0(VALU_DEP_2) | instskip(NEXT) | instid1(VALU_DEP_2)
	v_mul_f32_e32 v33, v30, v12
	v_fma_f32 v34, -v3, v31, v32
	s_delay_alu instid0(VALU_DEP_2) | instskip(NEXT) | instid1(VALU_DEP_2)
	v_fma_f32 v35, -v6, v33, v30
	v_fmac_f32_e32 v31, v34, v7
	s_delay_alu instid0(VALU_DEP_2) | instskip(NEXT) | instid1(VALU_DEP_2)
	v_fmac_f32_e32 v33, v35, v12
	v_fma_f32 v3, -v3, v31, v32
	s_delay_alu instid0(VALU_DEP_2) | instskip(NEXT) | instid1(VALU_DEP_2)
	v_fma_f32 v6, -v6, v33, v30
	v_div_fmas_f32 v3, v3, v7, v31
	s_mov_b32 vcc_lo, s4
	s_delay_alu instid0(VALU_DEP_2) | instskip(NEXT) | instid1(VALU_DEP_2)
	v_div_fmas_f32 v7, v6, v12, v33
	v_div_fixup_f32 v6, v3, v2, 1.0
	s_delay_alu instid0(VALU_DEP_2)
	v_div_fixup_f32 v7, v7, v29, 0
.LBB297_318:                            ;   in Loop: Header=BB297_161 Depth=1
	s_or_b32 exec_lo, exec_lo, s11
                                        ; implicit-def: $vgpr3
                                        ; implicit-def: $vgpr12
	s_and_not1_saveexec_b32 s4, s5
	s_cbranch_execnz .LBB297_324
.LBB297_319:                            ;   in Loop: Header=BB297_161 Depth=1
	s_or_b32 exec_lo, exec_lo, s4
	s_and_saveexec_b32 s4, s0
	s_delay_alu instid0(SALU_CYCLE_1)
	s_xor_b32 s0, exec_lo, s4
	s_cbranch_execz .LBB297_325
.LBB297_320:                            ;   in Loop: Header=BB297_161 Depth=1
	v_add_co_u32 v2, vcc_lo, v15, s6
	v_add_co_ci_u32_e32 v3, vcc_lo, s7, v16, vcc_lo
	global_store_b64 v[2:3], v[4:5], off offset:-4
	s_or_b32 exec_lo, exec_lo, s0
	s_and_saveexec_b32 s0, s1
	s_cbranch_execnz .LBB297_326
.LBB297_321:                            ;   in Loop: Header=BB297_161 Depth=1
	s_or_b32 exec_lo, exec_lo, s0
	s_and_saveexec_b32 s0, s2
	s_cbranch_execz .LBB297_327
.LBB297_322:                            ;   in Loop: Header=BB297_161 Depth=1
	v_add_co_u32 v2, vcc_lo, v27, s6
	v_add_co_ci_u32_e32 v3, vcc_lo, s7, v28, vcc_lo
	global_store_b64 v[2:3], v[10:11], off offset:-4
	s_or_b32 exec_lo, exec_lo, s0
	s_and_saveexec_b32 s0, s3
	s_cbranch_execz .LBB297_160
	s_branch .LBB297_328
.LBB297_323:                            ;   in Loop: Header=BB297_161 Depth=1
	s_and_not1_saveexec_b32 s4, s5
	s_cbranch_execz .LBB297_319
.LBB297_324:                            ;   in Loop: Header=BB297_161 Depth=1
	v_div_scale_f32 v2, null, v3, v3, v12
	v_div_scale_f32 v29, vcc_lo, v12, v3, v12
	s_delay_alu instid0(VALU_DEP_2) | instskip(SKIP_2) | instid1(VALU_DEP_1)
	v_rcp_f32_e32 v6, v2
	s_waitcnt_depctr 0xfff
	v_fma_f32 v7, -v2, v6, 1.0
	v_fmac_f32_e32 v6, v7, v6
	s_delay_alu instid0(VALU_DEP_1) | instskip(NEXT) | instid1(VALU_DEP_1)
	v_mul_f32_e32 v7, v29, v6
	v_fma_f32 v30, -v2, v7, v29
	s_delay_alu instid0(VALU_DEP_1) | instskip(NEXT) | instid1(VALU_DEP_1)
	v_fmac_f32_e32 v7, v30, v6
	v_fma_f32 v2, -v2, v7, v29
	s_delay_alu instid0(VALU_DEP_1) | instskip(NEXT) | instid1(VALU_DEP_1)
	v_div_fmas_f32 v2, v2, v6, v7
	v_div_fixup_f32 v2, v2, v3, v12
	s_delay_alu instid0(VALU_DEP_1) | instskip(NEXT) | instid1(VALU_DEP_1)
	v_fmac_f32_e32 v3, v12, v2
	v_div_scale_f32 v6, null, v3, v3, 1.0
	v_div_scale_f32 v29, vcc_lo, 1.0, v3, 1.0
	s_delay_alu instid0(VALU_DEP_2) | instskip(SKIP_2) | instid1(VALU_DEP_1)
	v_rcp_f32_e32 v7, v6
	s_waitcnt_depctr 0xfff
	v_fma_f32 v12, -v6, v7, 1.0
	v_fmac_f32_e32 v7, v12, v7
	s_delay_alu instid0(VALU_DEP_1) | instskip(NEXT) | instid1(VALU_DEP_1)
	v_mul_f32_e32 v12, v29, v7
	v_fma_f32 v30, -v6, v12, v29
	s_delay_alu instid0(VALU_DEP_1) | instskip(NEXT) | instid1(VALU_DEP_1)
	v_fmac_f32_e32 v12, v30, v7
	v_fma_f32 v6, -v6, v12, v29
	s_delay_alu instid0(VALU_DEP_1) | instskip(SKIP_2) | instid1(VALU_DEP_3)
	v_div_fmas_f32 v6, v6, v7, v12
	v_add_f32_e32 v7, 0, v2
	v_fma_f32 v2, v2, 0, -1.0
	v_div_fixup_f32 v3, v6, v3, 1.0
	s_delay_alu instid0(VALU_DEP_1) | instskip(NEXT) | instid1(VALU_DEP_3)
	v_mul_f32_e32 v6, v7, v3
	v_mul_f32_e32 v7, v2, v3
	s_or_b32 exec_lo, exec_lo, s4
	s_and_saveexec_b32 s4, s0
	s_delay_alu instid0(SALU_CYCLE_1)
	s_xor_b32 s0, exec_lo, s4
	s_cbranch_execnz .LBB297_320
.LBB297_325:                            ;   in Loop: Header=BB297_161 Depth=1
	s_or_b32 exec_lo, exec_lo, s0
	s_and_saveexec_b32 s0, s1
	s_cbranch_execz .LBB297_321
.LBB297_326:                            ;   in Loop: Header=BB297_161 Depth=1
	v_add_co_u32 v2, vcc_lo, v17, s6
	v_add_co_ci_u32_e32 v3, vcc_lo, s7, v18, vcc_lo
	global_store_b64 v[2:3], v[8:9], off
	s_or_b32 exec_lo, exec_lo, s0
	s_and_saveexec_b32 s0, s2
	s_cbranch_execnz .LBB297_322
.LBB297_327:                            ;   in Loop: Header=BB297_161 Depth=1
	s_or_b32 exec_lo, exec_lo, s0
	s_and_saveexec_b32 s0, s3
	s_cbranch_execz .LBB297_160
.LBB297_328:                            ;   in Loop: Header=BB297_161 Depth=1
	v_add_co_u32 v2, vcc_lo, v23, s6
	v_add_co_ci_u32_e32 v3, vcc_lo, s7, v24, vcc_lo
	global_store_b64 v[2:3], v[6:7], off offset:-4
	s_branch .LBB297_160
.LBB297_329:
	s_nop 0
	s_sendmsg sendmsg(MSG_DEALLOC_VGPRS)
	s_endpgm
	.section	.rodata,"a",@progbits
	.p2align	6, 0x0
	.amdhsa_kernel _ZN2at6native12_GLOBAL__N_125multi_tensor_apply_kernelINS1_18TensorListMetadataILi2EEENS1_14UnaryOpFunctorIN3c107complexIfEELi2ELi1ELi1EEEJNS0_5RsqrtIS8_EEEEEvT_T0_DpT1_
		.amdhsa_group_segment_fixed_size 0
		.amdhsa_private_segment_fixed_size 0
		.amdhsa_kernarg_size 3408
		.amdhsa_user_sgpr_count 15
		.amdhsa_user_sgpr_dispatch_ptr 0
		.amdhsa_user_sgpr_queue_ptr 0
		.amdhsa_user_sgpr_kernarg_segment_ptr 1
		.amdhsa_user_sgpr_dispatch_id 0
		.amdhsa_user_sgpr_private_segment_size 0
		.amdhsa_wavefront_size32 1
		.amdhsa_uses_dynamic_stack 0
		.amdhsa_enable_private_segment 0
		.amdhsa_system_sgpr_workgroup_id_x 1
		.amdhsa_system_sgpr_workgroup_id_y 0
		.amdhsa_system_sgpr_workgroup_id_z 0
		.amdhsa_system_sgpr_workgroup_info 0
		.amdhsa_system_vgpr_workitem_id 0
		.amdhsa_next_free_vgpr 36
		.amdhsa_next_free_sgpr 27
		.amdhsa_reserve_vcc 1
		.amdhsa_float_round_mode_32 0
		.amdhsa_float_round_mode_16_64 0
		.amdhsa_float_denorm_mode_32 3
		.amdhsa_float_denorm_mode_16_64 3
		.amdhsa_dx10_clamp 1
		.amdhsa_ieee_mode 1
		.amdhsa_fp16_overflow 0
		.amdhsa_workgroup_processor_mode 1
		.amdhsa_memory_ordered 1
		.amdhsa_forward_progress 0
		.amdhsa_shared_vgpr_count 0
		.amdhsa_exception_fp_ieee_invalid_op 0
		.amdhsa_exception_fp_denorm_src 0
		.amdhsa_exception_fp_ieee_div_zero 0
		.amdhsa_exception_fp_ieee_overflow 0
		.amdhsa_exception_fp_ieee_underflow 0
		.amdhsa_exception_fp_ieee_inexact 0
		.amdhsa_exception_int_div_zero 0
	.end_amdhsa_kernel
	.section	.text._ZN2at6native12_GLOBAL__N_125multi_tensor_apply_kernelINS1_18TensorListMetadataILi2EEENS1_14UnaryOpFunctorIN3c107complexIfEELi2ELi1ELi1EEEJNS0_5RsqrtIS8_EEEEEvT_T0_DpT1_,"axG",@progbits,_ZN2at6native12_GLOBAL__N_125multi_tensor_apply_kernelINS1_18TensorListMetadataILi2EEENS1_14UnaryOpFunctorIN3c107complexIfEELi2ELi1ELi1EEEJNS0_5RsqrtIS8_EEEEEvT_T0_DpT1_,comdat
.Lfunc_end297:
	.size	_ZN2at6native12_GLOBAL__N_125multi_tensor_apply_kernelINS1_18TensorListMetadataILi2EEENS1_14UnaryOpFunctorIN3c107complexIfEELi2ELi1ELi1EEEJNS0_5RsqrtIS8_EEEEEvT_T0_DpT1_, .Lfunc_end297-_ZN2at6native12_GLOBAL__N_125multi_tensor_apply_kernelINS1_18TensorListMetadataILi2EEENS1_14UnaryOpFunctorIN3c107complexIfEELi2ELi1ELi1EEEJNS0_5RsqrtIS8_EEEEEvT_T0_DpT1_
                                        ; -- End function
	.section	.AMDGPU.csdata,"",@progbits
; Kernel info:
; codeLenInByte = 16696
; NumSgprs: 29
; NumVgprs: 36
; ScratchSize: 0
; MemoryBound: 0
; FloatMode: 240
; IeeeMode: 1
; LDSByteSize: 0 bytes/workgroup (compile time only)
; SGPRBlocks: 3
; VGPRBlocks: 4
; NumSGPRsForWavesPerEU: 29
; NumVGPRsForWavesPerEU: 36
; Occupancy: 16
; WaveLimiterHint : 0
; COMPUTE_PGM_RSRC2:SCRATCH_EN: 0
; COMPUTE_PGM_RSRC2:USER_SGPR: 15
; COMPUTE_PGM_RSRC2:TRAP_HANDLER: 0
; COMPUTE_PGM_RSRC2:TGID_X_EN: 1
; COMPUTE_PGM_RSRC2:TGID_Y_EN: 0
; COMPUTE_PGM_RSRC2:TGID_Z_EN: 0
; COMPUTE_PGM_RSRC2:TIDIG_COMP_CNT: 0
	.section	.text._ZN2at6native12_GLOBAL__N_125multi_tensor_apply_kernelINS1_18TensorListMetadataILi2EEENS1_14UnaryOpFunctorIN3c104HalfELi2ELi1ELi1EEEJNS0_5RsqrtIfEEEEEvT_T0_DpT1_,"axG",@progbits,_ZN2at6native12_GLOBAL__N_125multi_tensor_apply_kernelINS1_18TensorListMetadataILi2EEENS1_14UnaryOpFunctorIN3c104HalfELi2ELi1ELi1EEEJNS0_5RsqrtIfEEEEEvT_T0_DpT1_,comdat
	.globl	_ZN2at6native12_GLOBAL__N_125multi_tensor_apply_kernelINS1_18TensorListMetadataILi2EEENS1_14UnaryOpFunctorIN3c104HalfELi2ELi1ELi1EEEJNS0_5RsqrtIfEEEEEvT_T0_DpT1_ ; -- Begin function _ZN2at6native12_GLOBAL__N_125multi_tensor_apply_kernelINS1_18TensorListMetadataILi2EEENS1_14UnaryOpFunctorIN3c104HalfELi2ELi1ELi1EEEJNS0_5RsqrtIfEEEEEvT_T0_DpT1_
	.p2align	8
	.type	_ZN2at6native12_GLOBAL__N_125multi_tensor_apply_kernelINS1_18TensorListMetadataILi2EEENS1_14UnaryOpFunctorIN3c104HalfELi2ELi1ELi1EEEJNS0_5RsqrtIfEEEEEvT_T0_DpT1_,@function
_ZN2at6native12_GLOBAL__N_125multi_tensor_apply_kernelINS1_18TensorListMetadataILi2EEENS1_14UnaryOpFunctorIN3c104HalfELi2ELi1ELi1EEEJNS0_5RsqrtIfEEEEEvT_T0_DpT1_: ; @_ZN2at6native12_GLOBAL__N_125multi_tensor_apply_kernelINS1_18TensorListMetadataILi2EEENS1_14UnaryOpFunctorIN3c104HalfELi2ELi1ELi1EEEJNS0_5RsqrtIfEEEEEvT_T0_DpT1_
; %bb.0:
	v_mov_b32_e32 v1, s15
	s_add_u32 s2, s0, s15
	s_mul_hi_u32 s3, s15, 3
	s_mul_i32 s15, s15, 3
	s_addc_u32 s4, s1, 0
	global_load_u8 v1, v1, s[0:1] offset:1536
	s_add_u32 s2, s2, s15
	s_addc_u32 s3, s4, s3
	s_mov_b32 s7, 0
	s_load_b32 s2, s[2:3], 0x740
	s_mov_b32 s11, s7
	s_mov_b32 s21, s7
	s_waitcnt vmcnt(0)
	v_readfirstlane_b32 s5, v1
	s_delay_alu instid0(VALU_DEP_1)
	s_lshl_b32 s3, s5, 3
	s_clause 0x2
	s_load_b64 s[12:13], s[0:1], s3 offset:0x0
	s_load_b64 s[14:15], s[0:1], s3 offset:0x200
	;; [unrolled: 1-line block ×3, first 2 shown]
	s_waitcnt lgkmcnt(0)
	s_ashr_i32 s3, s2, 31
	s_delay_alu instid0(SALU_CYCLE_1) | instskip(NEXT) | instid1(SALU_CYCLE_1)
	s_lshl_b64 s[8:9], s[2:3], 17
	s_add_u32 s16, s12, s8
	s_addc_u32 s17, s13, s9
	s_and_b32 s6, s16, 7
	s_add_u32 s18, s14, s8
	s_addc_u32 s19, s15, s9
	s_and_b32 s10, s4, 3
	s_and_b32 s20, s18, 7
	s_or_b64 s[6:7], s[6:7], s[10:11]
	s_lshl_b64 s[2:3], s[2:3], 16
	s_or_b64 s[6:7], s[20:21], s[6:7]
	s_sub_u32 s10, s4, s2
	s_subb_u32 s11, s5, s3
	s_cmp_eq_u64 s[6:7], 0
	s_mov_b32 s2, -1
	s_cbranch_scc0 .LBB298_5
; %bb.1:
	v_dual_mov_b32 v2, 0 :: v_dual_lshlrev_b32 v1, 2, v0
	s_mov_b32 s20, exec_lo
	s_delay_alu instid0(VALU_DEP_1)
	v_cmpx_gt_i64_e64 s[10:11], v[1:2]
	s_cbranch_execz .LBB298_4
; %bb.2:
	s_load_b32 s2, s[0:1], 0xc5c
	v_lshlrev_b32_e32 v3, 3, v0
	s_mov_b32 s21, 0
	s_waitcnt lgkmcnt(0)
	s_and_b32 s2, s2, 0xffff
	s_delay_alu instid0(SALU_CYCLE_1)
	v_add_lshl_u32 v1, v0, s2, 2
	s_lshl_b32 s22, s2, 2
	s_lshl_b32 s23, s2, 3
.LBB298_3:                              ; =>This Inner Loop Header: Depth=1
	v_add_co_u32 v4, s2, s16, v3
	s_delay_alu instid0(VALU_DEP_1)
	v_add_co_ci_u32_e64 v5, null, s17, 0, s2
	v_add_co_u32 v6, s5, s18, v3
	v_cmp_lt_u64_e64 s6, 0xffff, v[1:2]
	global_load_b64 v[4:5], v[4:5], off
	s_waitcnt vmcnt(0)
	v_cvt_f32_f16_e32 v7, v4
	v_lshrrev_b32_e32 v4, 16, v4
	v_cvt_f32_f16_e32 v8, v5
	v_lshrrev_b32_e32 v5, 16, v5
	s_delay_alu instid0(VALU_DEP_4) | instskip(NEXT) | instid1(VALU_DEP_4)
	v_mul_f32_e32 v9, 0x4b800000, v7
	v_cvt_f32_f16_e32 v4, v4
	s_delay_alu instid0(VALU_DEP_4) | instskip(NEXT) | instid1(VALU_DEP_4)
	v_mul_f32_e32 v10, 0x4b800000, v8
	v_cvt_f32_f16_e32 v5, v5
	v_cmp_gt_f32_e64 s2, 0x800000, v7
	v_cmp_gt_f32_e32 vcc_lo, 0x800000, v8
	v_cmp_gt_f32_e64 s4, 0x800000, v4
	s_delay_alu instid0(VALU_DEP_4) | instskip(NEXT) | instid1(VALU_DEP_4)
	v_mul_f32_e32 v11, 0x4b800000, v5
	v_cndmask_b32_e64 v9, v7, v9, s2
	v_dual_mul_f32 v7, 0x4b800000, v4 :: v_dual_cndmask_b32 v8, v8, v10
	v_cmp_gt_f32_e64 s3, 0x800000, v5
	s_delay_alu instid0(VALU_DEP_3) | instskip(NEXT) | instid1(VALU_DEP_2)
	v_rsq_f32_e32 v9, v9
	v_cndmask_b32_e64 v4, v4, v7, s4
	s_delay_alu instid0(VALU_DEP_3) | instskip(NEXT) | instid1(VALU_DEP_2)
	v_rsq_f32_e32 v8, v8
	v_cndmask_b32_e64 v5, v5, v11, s3
	v_add_co_ci_u32_e64 v7, null, s19, 0, s5
	s_delay_alu instid0(VALU_DEP_3) | instskip(SKIP_1) | instid1(VALU_DEP_3)
	v_rsq_f32_e32 v4, v4
	v_cmp_le_i64_e64 s5, s[10:11], v[1:2]
	v_rsq_f32_e32 v5, v5
	v_add_co_u32 v1, s7, v1, s22
	s_delay_alu instid0(TRANS32_DEP_3) | instskip(NEXT) | instid1(VALU_DEP_3)
	v_dual_mul_f32 v10, 0x45800000, v9 :: v_dual_mul_f32 v11, 0x45800000, v8
	s_or_b32 s5, s5, s6
	s_add_u32 s16, s16, s23
	s_addc_u32 s17, s17, 0
	s_waitcnt_depctr 0xfff
	v_mul_f32_e32 v13, 0x45800000, v4
	v_cndmask_b32_e64 v9, v9, v10, s2
	v_mul_f32_e32 v12, 0x45800000, v5
	v_cndmask_b32_e32 v8, v8, v11, vcc_lo
	s_add_u32 s18, s18, s23
	v_cndmask_b32_e64 v4, v4, v13, s4
	v_cvt_f16_f32_e32 v9, v9
	v_cndmask_b32_e64 v5, v5, v12, s3
	v_cvt_f16_f32_e32 v8, v8
	v_add_co_ci_u32_e64 v2, s7, 0, v2, s7
	v_cvt_f16_f32_e32 v4, v4
	s_delay_alu instid0(VALU_DEP_4) | instskip(SKIP_2) | instid1(VALU_DEP_2)
	v_cvt_f16_f32_e32 v5, v5
	s_addc_u32 s19, s19, 0
	s_and_b32 s2, exec_lo, s5
	v_pack_b32_f16 v4, v9, v4
	s_delay_alu instid0(VALU_DEP_2)
	v_pack_b32_f16 v5, v8, v5
	s_or_b32 s21, s2, s21
	global_store_b64 v[6:7], v[4:5], off
	s_and_not1_b32 exec_lo, exec_lo, s21
	s_cbranch_execnz .LBB298_3
.LBB298_4:
	s_or_b32 exec_lo, exec_lo, s20
	s_mov_b32 s2, 0
.LBB298_5:
	s_delay_alu instid0(SALU_CYCLE_1)
	s_and_not1_b32 vcc_lo, exec_lo, s2
	s_cbranch_vccnz .LBB298_25
; %bb.6:
	v_cmp_lt_i64_e64 s2, s[10:11], 1
	s_delay_alu instid0(VALU_DEP_1)
	s_and_b32 vcc_lo, exec_lo, s2
	s_cbranch_vccnz .LBB298_25
; %bb.7:
	s_load_b32 s0, s[0:1], 0xc5c
	v_dual_mov_b32 v10, 0 :: v_dual_lshlrev_b32 v9, 1, v0
	v_cmp_gt_u64_e64 s1, 0x10000, s[10:11]
	s_mov_b64 s[6:7], 0
	s_delay_alu instid0(VALU_DEP_2) | instskip(NEXT) | instid1(VALU_DEP_1)
	v_add_co_u32 v1, s2, s12, v9
	v_add_co_ci_u32_e64 v2, null, s13, 0, s2
	v_add_co_u32 v3, s2, s14, v9
	s_delay_alu instid0(VALU_DEP_1)
	v_add_co_ci_u32_e64 v4, null, s15, 0, s2
	s_waitcnt lgkmcnt(0)
	s_and_b32 s0, s0, 0xffff
	s_and_b32 s1, s1, exec_lo
	v_mad_u64_u32 v[7:8], null, s0, 6, v[9:10]
	s_cselect_b32 s5, s11, 0
	s_cselect_b32 s4, s10, 0x10000
	s_mul_i32 s2, s0, 3
	s_lshl_b32 s16, s0, 2
	s_lshl_b32 s1, s0, 1
	v_add_co_u32 v14, s3, s16, v9
	v_add_co_u32 v9, s2, s2, v0
	s_delay_alu instid0(VALU_DEP_1) | instskip(SKIP_3) | instid1(VALU_DEP_3)
	v_add_co_ci_u32_e64 v10, null, 0, 0, s2
	v_add_co_u32 v13, s2, v0, s0
	v_add_co_u32 v5, vcc_lo, s12, v7
	v_add_co_ci_u32_e32 v6, vcc_lo, s13, v8, vcc_lo
	v_lshlrev_b32_e32 v21, 1, v13
	v_add_co_u32 v7, vcc_lo, s14, v7
	v_add_co_ci_u32_e64 v15, null, 0, 0, s3
	v_add_co_ci_u32_e32 v8, vcc_lo, s15, v8, vcc_lo
	v_add_co_u32 v17, s1, s1, v0
	v_add_co_u32 v11, vcc_lo, s12, v14
	v_add_co_ci_u32_e64 v18, null, 0, 0, s1
	v_add_co_u32 v19, s1, s12, v21
	v_add_co_ci_u32_e32 v12, vcc_lo, s13, v15, vcc_lo
	v_add_co_u32 v14, vcc_lo, s14, v14
	v_add_co_ci_u32_e64 v20, null, s13, 0, s1
	v_add_co_u32 v21, s1, s14, v21
	v_add_co_ci_u32_e32 v15, vcc_lo, s15, v15, vcc_lo
	v_add_co_ci_u32_e64 v16, null, 0, 0, s2
	v_add_co_ci_u32_e64 v22, null, s15, 0, s1
	s_lshl_b32 s12, s0, 3
	s_branch .LBB298_9
.LBB298_8:                              ;   in Loop: Header=BB298_9 Depth=1
	s_or_b32 exec_lo, exec_lo, s1
	v_add_co_u32 v1, vcc_lo, v1, s12
	v_add_co_ci_u32_e32 v2, vcc_lo, 0, v2, vcc_lo
	v_add_co_u32 v3, vcc_lo, v3, s12
	v_add_co_ci_u32_e32 v4, vcc_lo, 0, v4, vcc_lo
	;; [unrolled: 2-line block ×5, first 2 shown]
	s_add_u32 s6, s6, s16
	v_add_co_u32 v14, vcc_lo, v14, s12
	s_addc_u32 s7, s7, 0
	v_add_co_ci_u32_e32 v15, vcc_lo, 0, v15, vcc_lo
	v_cmp_ge_i64_e64 s0, s[6:7], s[10:11]
	v_cmp_lt_u64_e64 s1, 0xffff, s[6:7]
	v_add_co_u32 v19, vcc_lo, v19, s12
	v_add_co_ci_u32_e32 v20, vcc_lo, 0, v20, vcc_lo
	v_add_co_u32 v21, vcc_lo, v21, s12
	v_add_co_ci_u32_e32 v22, vcc_lo, 0, v22, vcc_lo
	s_or_b32 s0, s0, s1
	s_delay_alu instid0(SALU_CYCLE_1)
	s_and_b32 vcc_lo, exec_lo, s0
	s_cbranch_vccnz .LBB298_25
.LBB298_9:                              ; =>This Inner Loop Header: Depth=1
	s_waitcnt vmcnt(0)
	v_add_co_u32 v23, s0, v0, s6
	s_delay_alu instid0(VALU_DEP_1) | instskip(SKIP_1) | instid1(VALU_DEP_2)
	v_add_co_ci_u32_e64 v24, null, 0, s7, s0
	v_mov_b32_e32 v26, 0
	v_cmp_gt_u64_e64 s2, s[4:5], v[23:24]
	s_delay_alu instid0(VALU_DEP_1)
	s_and_saveexec_b32 s0, s2
	s_cbranch_execz .LBB298_11
; %bb.10:                               ;   in Loop: Header=BB298_9 Depth=1
	v_add_co_u32 v23, vcc_lo, v1, s8
	v_add_co_ci_u32_e32 v24, vcc_lo, s9, v2, vcc_lo
	global_load_u16 v26, v[23:24], off
.LBB298_11:                             ;   in Loop: Header=BB298_9 Depth=1
	s_or_b32 exec_lo, exec_lo, s0
	v_add_co_u32 v23, vcc_lo, v13, s6
	v_add_co_ci_u32_e32 v24, vcc_lo, s7, v16, vcc_lo
	s_delay_alu instid0(VALU_DEP_1) | instskip(SKIP_1) | instid1(VALU_DEP_2)
	v_cmp_gt_u64_e64 s1, s[4:5], v[23:24]
	v_mov_b32_e32 v24, 0
	s_and_saveexec_b32 s0, s1
	s_cbranch_execz .LBB298_13
; %bb.12:                               ;   in Loop: Header=BB298_9 Depth=1
	v_add_co_u32 v23, vcc_lo, v19, s8
	v_add_co_ci_u32_e32 v24, vcc_lo, s9, v20, vcc_lo
	global_load_u16 v24, v[23:24], off
.LBB298_13:                             ;   in Loop: Header=BB298_9 Depth=1
	s_or_b32 exec_lo, exec_lo, s0
	v_add_co_u32 v27, vcc_lo, v17, s6
	v_add_co_ci_u32_e32 v28, vcc_lo, s7, v18, vcc_lo
	v_mov_b32_e32 v23, 0
	v_mov_b32_e32 v25, 0
	s_delay_alu instid0(VALU_DEP_3)
	v_cmp_gt_u64_e32 vcc_lo, s[4:5], v[27:28]
	s_and_saveexec_b32 s3, vcc_lo
	s_cbranch_execz .LBB298_15
; %bb.14:                               ;   in Loop: Header=BB298_9 Depth=1
	v_add_co_u32 v27, s0, v11, s8
	s_delay_alu instid0(VALU_DEP_1)
	v_add_co_ci_u32_e64 v28, s0, s9, v12, s0
	global_load_u16 v25, v[27:28], off
.LBB298_15:                             ;   in Loop: Header=BB298_9 Depth=1
	s_or_b32 exec_lo, exec_lo, s3
	v_add_co_u32 v27, s0, v9, s6
	s_delay_alu instid0(VALU_DEP_1) | instskip(NEXT) | instid1(VALU_DEP_1)
	v_add_co_ci_u32_e64 v28, s0, s7, v10, s0
	v_cmp_gt_u64_e64 s0, s[4:5], v[27:28]
	s_delay_alu instid0(VALU_DEP_1)
	s_and_saveexec_b32 s13, s0
	s_cbranch_execnz .LBB298_20
; %bb.16:                               ;   in Loop: Header=BB298_9 Depth=1
	s_or_b32 exec_lo, exec_lo, s13
	s_and_saveexec_b32 s3, s2
	s_cbranch_execnz .LBB298_21
.LBB298_17:                             ;   in Loop: Header=BB298_9 Depth=1
	s_or_b32 exec_lo, exec_lo, s3
	s_and_saveexec_b32 s2, s1
	s_cbranch_execnz .LBB298_22
.LBB298_18:                             ;   in Loop: Header=BB298_9 Depth=1
	s_or_b32 exec_lo, exec_lo, s2
	s_and_saveexec_b32 s1, vcc_lo
	s_cbranch_execnz .LBB298_23
.LBB298_19:                             ;   in Loop: Header=BB298_9 Depth=1
	s_or_b32 exec_lo, exec_lo, s1
	s_and_saveexec_b32 s1, s0
	s_cbranch_execz .LBB298_8
	s_branch .LBB298_24
.LBB298_20:                             ;   in Loop: Header=BB298_9 Depth=1
	v_add_co_u32 v27, s3, v5, s8
	s_delay_alu instid0(VALU_DEP_1)
	v_add_co_ci_u32_e64 v28, s3, s9, v6, s3
	global_load_u16 v23, v[27:28], off
	s_or_b32 exec_lo, exec_lo, s13
	s_and_saveexec_b32 s3, s2
	s_cbranch_execz .LBB298_17
.LBB298_21:                             ;   in Loop: Header=BB298_9 Depth=1
	s_waitcnt vmcnt(0)
	v_cvt_f32_f16_e32 v26, v26
	s_delay_alu instid0(VALU_DEP_1) | instskip(SKIP_1) | instid1(VALU_DEP_1)
	v_mul_f32_e32 v27, 0x4b800000, v26
	v_cmp_gt_f32_e64 s2, 0x800000, v26
	v_cndmask_b32_e64 v26, v26, v27, s2
	s_delay_alu instid0(VALU_DEP_1) | instskip(SKIP_2) | instid1(VALU_DEP_1)
	v_rsq_f32_e32 v26, v26
	s_waitcnt_depctr 0xfff
	v_mul_f32_e32 v27, 0x45800000, v26
	v_cndmask_b32_e64 v26, v26, v27, s2
	s_delay_alu instid0(VALU_DEP_1) | instskip(SKIP_1) | instid1(VALU_DEP_1)
	v_cvt_f16_f32_e32 v28, v26
	v_add_co_u32 v26, s2, v3, s8
	v_add_co_ci_u32_e64 v27, s2, s9, v4, s2
	global_store_b16 v[26:27], v28, off
	s_or_b32 exec_lo, exec_lo, s3
	s_and_saveexec_b32 s2, s1
	s_cbranch_execz .LBB298_18
.LBB298_22:                             ;   in Loop: Header=BB298_9 Depth=1
	s_waitcnt vmcnt(0)
	v_cvt_f32_f16_e32 v24, v24
	s_delay_alu instid0(VALU_DEP_1) | instskip(SKIP_1) | instid1(VALU_DEP_1)
	v_mul_f32_e32 v26, 0x4b800000, v24
	v_cmp_gt_f32_e64 s1, 0x800000, v24
	v_cndmask_b32_e64 v24, v24, v26, s1
	s_delay_alu instid0(VALU_DEP_1) | instskip(SKIP_2) | instid1(VALU_DEP_1)
	v_rsq_f32_e32 v24, v24
	s_waitcnt_depctr 0xfff
	v_mul_f32_e32 v26, 0x45800000, v24
	v_cndmask_b32_e64 v24, v24, v26, s1
	v_add_co_u32 v26, s1, v21, s8
	s_delay_alu instid0(VALU_DEP_1) | instskip(NEXT) | instid1(VALU_DEP_3)
	v_add_co_ci_u32_e64 v27, s1, s9, v22, s1
	v_cvt_f16_f32_e32 v24, v24
	global_store_b16 v[26:27], v24, off
	s_or_b32 exec_lo, exec_lo, s2
	s_and_saveexec_b32 s1, vcc_lo
	s_cbranch_execz .LBB298_19
.LBB298_23:                             ;   in Loop: Header=BB298_9 Depth=1
	s_waitcnt vmcnt(0)
	v_cvt_f32_f16_e32 v24, v25
	s_delay_alu instid0(VALU_DEP_1) | instskip(SKIP_1) | instid1(VALU_DEP_2)
	v_mul_f32_e32 v25, 0x4b800000, v24
	v_cmp_gt_f32_e32 vcc_lo, 0x800000, v24
	v_cndmask_b32_e32 v24, v24, v25, vcc_lo
	s_delay_alu instid0(VALU_DEP_1) | instskip(SKIP_2) | instid1(VALU_DEP_1)
	v_rsq_f32_e32 v24, v24
	s_waitcnt_depctr 0xfff
	v_mul_f32_e32 v25, 0x45800000, v24
	v_cndmask_b32_e32 v24, v24, v25, vcc_lo
	s_delay_alu instid0(VALU_DEP_1)
	v_cvt_f16_f32_e32 v26, v24
	v_add_co_u32 v24, vcc_lo, v14, s8
	v_add_co_ci_u32_e32 v25, vcc_lo, s9, v15, vcc_lo
	global_store_b16 v[24:25], v26, off
	s_or_b32 exec_lo, exec_lo, s1
	s_and_saveexec_b32 s1, s0
	s_cbranch_execz .LBB298_8
.LBB298_24:                             ;   in Loop: Header=BB298_9 Depth=1
	s_waitcnt vmcnt(0)
	v_cvt_f32_f16_e32 v23, v23
	s_delay_alu instid0(VALU_DEP_1) | instskip(SKIP_1) | instid1(VALU_DEP_2)
	v_mul_f32_e32 v24, 0x4b800000, v23
	v_cmp_gt_f32_e32 vcc_lo, 0x800000, v23
	v_cndmask_b32_e32 v23, v23, v24, vcc_lo
	s_delay_alu instid0(VALU_DEP_1) | instskip(SKIP_2) | instid1(VALU_DEP_1)
	v_rsq_f32_e32 v23, v23
	s_waitcnt_depctr 0xfff
	v_mul_f32_e32 v24, 0x45800000, v23
	v_cndmask_b32_e32 v23, v23, v24, vcc_lo
	s_delay_alu instid0(VALU_DEP_1)
	v_cvt_f16_f32_e32 v25, v23
	v_add_co_u32 v23, vcc_lo, v7, s8
	v_add_co_ci_u32_e32 v24, vcc_lo, s9, v8, vcc_lo
	global_store_b16 v[23:24], v25, off
	s_branch .LBB298_8
.LBB298_25:
	s_nop 0
	s_sendmsg sendmsg(MSG_DEALLOC_VGPRS)
	s_endpgm
	.section	.rodata,"a",@progbits
	.p2align	6, 0x0
	.amdhsa_kernel _ZN2at6native12_GLOBAL__N_125multi_tensor_apply_kernelINS1_18TensorListMetadataILi2EEENS1_14UnaryOpFunctorIN3c104HalfELi2ELi1ELi1EEEJNS0_5RsqrtIfEEEEEvT_T0_DpT1_
		.amdhsa_group_segment_fixed_size 0
		.amdhsa_private_segment_fixed_size 0
		.amdhsa_kernarg_size 3408
		.amdhsa_user_sgpr_count 15
		.amdhsa_user_sgpr_dispatch_ptr 0
		.amdhsa_user_sgpr_queue_ptr 0
		.amdhsa_user_sgpr_kernarg_segment_ptr 1
		.amdhsa_user_sgpr_dispatch_id 0
		.amdhsa_user_sgpr_private_segment_size 0
		.amdhsa_wavefront_size32 1
		.amdhsa_uses_dynamic_stack 0
		.amdhsa_enable_private_segment 0
		.amdhsa_system_sgpr_workgroup_id_x 1
		.amdhsa_system_sgpr_workgroup_id_y 0
		.amdhsa_system_sgpr_workgroup_id_z 0
		.amdhsa_system_sgpr_workgroup_info 0
		.amdhsa_system_vgpr_workitem_id 0
		.amdhsa_next_free_vgpr 29
		.amdhsa_next_free_sgpr 24
		.amdhsa_reserve_vcc 1
		.amdhsa_float_round_mode_32 0
		.amdhsa_float_round_mode_16_64 0
		.amdhsa_float_denorm_mode_32 3
		.amdhsa_float_denorm_mode_16_64 3
		.amdhsa_dx10_clamp 1
		.amdhsa_ieee_mode 1
		.amdhsa_fp16_overflow 0
		.amdhsa_workgroup_processor_mode 1
		.amdhsa_memory_ordered 1
		.amdhsa_forward_progress 0
		.amdhsa_shared_vgpr_count 0
		.amdhsa_exception_fp_ieee_invalid_op 0
		.amdhsa_exception_fp_denorm_src 0
		.amdhsa_exception_fp_ieee_div_zero 0
		.amdhsa_exception_fp_ieee_overflow 0
		.amdhsa_exception_fp_ieee_underflow 0
		.amdhsa_exception_fp_ieee_inexact 0
		.amdhsa_exception_int_div_zero 0
	.end_amdhsa_kernel
	.section	.text._ZN2at6native12_GLOBAL__N_125multi_tensor_apply_kernelINS1_18TensorListMetadataILi2EEENS1_14UnaryOpFunctorIN3c104HalfELi2ELi1ELi1EEEJNS0_5RsqrtIfEEEEEvT_T0_DpT1_,"axG",@progbits,_ZN2at6native12_GLOBAL__N_125multi_tensor_apply_kernelINS1_18TensorListMetadataILi2EEENS1_14UnaryOpFunctorIN3c104HalfELi2ELi1ELi1EEEJNS0_5RsqrtIfEEEEEvT_T0_DpT1_,comdat
.Lfunc_end298:
	.size	_ZN2at6native12_GLOBAL__N_125multi_tensor_apply_kernelINS1_18TensorListMetadataILi2EEENS1_14UnaryOpFunctorIN3c104HalfELi2ELi1ELi1EEEJNS0_5RsqrtIfEEEEEvT_T0_DpT1_, .Lfunc_end298-_ZN2at6native12_GLOBAL__N_125multi_tensor_apply_kernelINS1_18TensorListMetadataILi2EEENS1_14UnaryOpFunctorIN3c104HalfELi2ELi1ELi1EEEJNS0_5RsqrtIfEEEEEvT_T0_DpT1_
                                        ; -- End function
	.section	.AMDGPU.csdata,"",@progbits
; Kernel info:
; codeLenInByte = 1868
; NumSgprs: 26
; NumVgprs: 29
; ScratchSize: 0
; MemoryBound: 0
; FloatMode: 240
; IeeeMode: 1
; LDSByteSize: 0 bytes/workgroup (compile time only)
; SGPRBlocks: 3
; VGPRBlocks: 3
; NumSGPRsForWavesPerEU: 26
; NumVGPRsForWavesPerEU: 29
; Occupancy: 16
; WaveLimiterHint : 0
; COMPUTE_PGM_RSRC2:SCRATCH_EN: 0
; COMPUTE_PGM_RSRC2:USER_SGPR: 15
; COMPUTE_PGM_RSRC2:TRAP_HANDLER: 0
; COMPUTE_PGM_RSRC2:TGID_X_EN: 1
; COMPUTE_PGM_RSRC2:TGID_Y_EN: 0
; COMPUTE_PGM_RSRC2:TGID_Z_EN: 0
; COMPUTE_PGM_RSRC2:TIDIG_COMP_CNT: 0
	.section	.text._ZN2at6native12_GLOBAL__N_125multi_tensor_apply_kernelINS1_18TensorListMetadataILi2EEENS1_14UnaryOpFunctorIN3c108BFloat16ELi2ELi1ELi1EEEJNS0_5RsqrtIfEEEEEvT_T0_DpT1_,"axG",@progbits,_ZN2at6native12_GLOBAL__N_125multi_tensor_apply_kernelINS1_18TensorListMetadataILi2EEENS1_14UnaryOpFunctorIN3c108BFloat16ELi2ELi1ELi1EEEJNS0_5RsqrtIfEEEEEvT_T0_DpT1_,comdat
	.globl	_ZN2at6native12_GLOBAL__N_125multi_tensor_apply_kernelINS1_18TensorListMetadataILi2EEENS1_14UnaryOpFunctorIN3c108BFloat16ELi2ELi1ELi1EEEJNS0_5RsqrtIfEEEEEvT_T0_DpT1_ ; -- Begin function _ZN2at6native12_GLOBAL__N_125multi_tensor_apply_kernelINS1_18TensorListMetadataILi2EEENS1_14UnaryOpFunctorIN3c108BFloat16ELi2ELi1ELi1EEEJNS0_5RsqrtIfEEEEEvT_T0_DpT1_
	.p2align	8
	.type	_ZN2at6native12_GLOBAL__N_125multi_tensor_apply_kernelINS1_18TensorListMetadataILi2EEENS1_14UnaryOpFunctorIN3c108BFloat16ELi2ELi1ELi1EEEJNS0_5RsqrtIfEEEEEvT_T0_DpT1_,@function
_ZN2at6native12_GLOBAL__N_125multi_tensor_apply_kernelINS1_18TensorListMetadataILi2EEENS1_14UnaryOpFunctorIN3c108BFloat16ELi2ELi1ELi1EEEJNS0_5RsqrtIfEEEEEvT_T0_DpT1_: ; @_ZN2at6native12_GLOBAL__N_125multi_tensor_apply_kernelINS1_18TensorListMetadataILi2EEENS1_14UnaryOpFunctorIN3c108BFloat16ELi2ELi1ELi1EEEJNS0_5RsqrtIfEEEEEvT_T0_DpT1_
; %bb.0:
	v_mov_b32_e32 v1, s15
	s_add_u32 s2, s0, s15
	s_mul_hi_u32 s3, s15, 3
	s_mul_i32 s15, s15, 3
	s_addc_u32 s4, s1, 0
	global_load_u8 v1, v1, s[0:1] offset:1536
	s_add_u32 s2, s2, s15
	s_addc_u32 s3, s4, s3
	s_mov_b32 s7, 0
	s_load_b32 s2, s[2:3], 0x740
	s_mov_b32 s17, s7
	s_mov_b32 s11, s7
	s_waitcnt vmcnt(0)
	v_readfirstlane_b32 s5, v1
	s_delay_alu instid0(VALU_DEP_1)
	s_lshl_b32 s3, s5, 3
	s_clause 0x2
	s_load_b64 s[12:13], s[0:1], s3 offset:0x0
	s_load_b64 s[14:15], s[0:1], s3 offset:0x200
	s_load_b64 s[4:5], s[0:1], s3 offset:0x400
	s_waitcnt lgkmcnt(0)
	s_ashr_i32 s3, s2, 31
	s_delay_alu instid0(SALU_CYCLE_1) | instskip(SKIP_4) | instid1(SALU_CYCLE_1)
	s_lshl_b64 s[8:9], s[2:3], 17
	s_lshl_b64 s[2:3], s[2:3], 16
	s_and_b32 s6, s12, 7
	s_and_b32 s10, s14, 7
	;; [unrolled: 1-line block ×3, first 2 shown]
	s_or_b64 s[6:7], s[6:7], s[16:17]
	s_delay_alu instid0(SALU_CYCLE_1)
	s_or_b64 s[6:7], s[10:11], s[6:7]
	s_sub_u32 s10, s4, s2
	s_subb_u32 s11, s5, s3
	s_cmp_eq_u64 s[6:7], 0
	s_mov_b32 s2, -1
	s_cbranch_scc0 .LBB299_5
; %bb.1:
	v_dual_mov_b32 v2, 0 :: v_dual_lshlrev_b32 v1, 2, v0
	s_mov_b32 s16, exec_lo
	s_delay_alu instid0(VALU_DEP_1)
	v_cmpx_gt_i64_e64 s[10:11], v[1:2]
	s_cbranch_execz .LBB299_4
; %bb.2:
	s_load_b32 s2, s[0:1], 0xc5c
	v_lshlrev_b32_e32 v1, 3, v0
	s_mov_b32 s17, 0
	s_delay_alu instid0(VALU_DEP_1) | instskip(NEXT) | instid1(VALU_DEP_1)
	v_add_co_u32 v3, s3, s8, v1
	v_add_co_ci_u32_e64 v4, null, s9, 0, s3
	s_waitcnt lgkmcnt(0)
	s_and_b32 s2, s2, 0xffff
	s_delay_alu instid0(SALU_CYCLE_1)
	v_add_lshl_u32 v1, v0, s2, 2
	s_lshl_b32 s18, s2, 3
	s_lshl_b32 s19, s2, 2
.LBB299_3:                              ; =>This Inner Loop Header: Depth=1
	v_add_co_u32 v5, vcc_lo, s12, v3
	v_add_co_ci_u32_e32 v6, vcc_lo, s13, v4, vcc_lo
	v_add_co_u32 v7, vcc_lo, s14, v3
	v_add_co_u32 v3, s3, v3, s18
	global_load_b64 v[5:6], v[5:6], off
	v_add_co_ci_u32_e32 v8, vcc_lo, s15, v4, vcc_lo
	v_add_co_ci_u32_e64 v4, s3, 0, v4, s3
	v_cmp_le_i64_e32 vcc_lo, s[10:11], v[1:2]
	v_cmp_lt_u64_e64 s2, 0xffff, v[1:2]
	v_add_co_u32 v1, s7, v1, s19
	s_delay_alu instid0(VALU_DEP_2) | instskip(NEXT) | instid1(SALU_CYCLE_1)
	s_or_b32 s2, vcc_lo, s2
	s_and_b32 s2, exec_lo, s2
	s_delay_alu instid0(SALU_CYCLE_1)
	s_or_b32 s17, s2, s17
	s_waitcnt vmcnt(0)
	v_and_b32_e32 v10, 0xffff0000, v5
	v_lshlrev_b32_e32 v9, 16, v5
	v_alignbit_b32 v5, v6, v5, 16
	v_and_b32_e32 v6, 0xffff0000, v6
	s_delay_alu instid0(VALU_DEP_3) | instskip(SKIP_1) | instid1(VALU_DEP_4)
	v_dual_mul_f32 v12, 0x4b800000, v10 :: v_dual_mul_f32 v11, 0x4b800000, v9
	v_cmp_gt_f32_e64 s3, 0x800000, v10
	v_and_b32_e32 v5, 0xffff0000, v5
	v_cmp_gt_f32_e64 s5, 0x800000, v9
	v_mul_f32_e32 v13, 0x4b800000, v6
	v_cmp_gt_f32_e64 s4, 0x800000, v6
	v_cndmask_b32_e64 v10, v10, v12, s3
	v_cmp_gt_f32_e64 s6, 0x800000, v5
	v_cndmask_b32_e64 v9, v9, v11, s5
	v_mul_f32_e32 v11, 0x4b800000, v5
	v_cndmask_b32_e64 v6, v6, v13, s4
	v_rsq_f32_e32 v10, v10
	s_delay_alu instid0(VALU_DEP_3) | instskip(NEXT) | instid1(VALU_DEP_2)
	v_rsq_f32_e32 v9, v9
	v_cndmask_b32_e64 v5, v5, v11, s6
	s_delay_alu instid0(VALU_DEP_2) | instskip(NEXT) | instid1(VALU_DEP_1)
	v_rsq_f32_e32 v6, v6
	v_rsq_f32_e32 v5, v5
	s_delay_alu instid0(TRANS32_DEP_3)
	v_dual_mul_f32 v12, 0x45800000, v10 :: v_dual_mul_f32 v11, 0x45800000, v9
	s_waitcnt_depctr 0xfff
	v_mul_f32_e32 v13, 0x45800000, v6
	v_cndmask_b32_e64 v10, v10, v12, s3
	v_cndmask_b32_e64 v9, v9, v11, s5
	v_mul_f32_e32 v11, 0x45800000, v5
	s_delay_alu instid0(VALU_DEP_4) | instskip(NEXT) | instid1(VALU_DEP_4)
	v_cndmask_b32_e64 v6, v6, v13, s4
	v_cmp_o_f32_e64 s4, v10, v10
	s_delay_alu instid0(VALU_DEP_4) | instskip(NEXT) | instid1(VALU_DEP_4)
	v_bfe_u32 v12, v9, 16, 1
	v_cndmask_b32_e64 v5, v5, v11, s6
	v_bfe_u32 v11, v10, 16, 1
	v_bfe_u32 v13, v6, 16, 1
	v_cmp_o_f32_e64 s3, v9, v9
	v_add3_u32 v12, v9, v12, 0x7fff
	v_bfe_u32 v14, v5, 16, 1
	v_add3_u32 v11, v10, v11, 0x7fff
	v_add3_u32 v13, v6, v13, 0x7fff
	s_delay_alu instid0(VALU_DEP_4) | instskip(NEXT) | instid1(VALU_DEP_4)
	v_lshrrev_b32_e32 v12, 16, v12
	v_add3_u32 v14, v5, v14, 0x7fff
	s_delay_alu instid0(VALU_DEP_4) | instskip(NEXT) | instid1(VALU_DEP_4)
	v_and_b32_e32 v11, 0xffff0000, v11
	v_and_b32_e32 v13, 0xffff0000, v13
	s_delay_alu instid0(VALU_DEP_3) | instskip(NEXT) | instid1(VALU_DEP_3)
	v_lshrrev_b32_e32 v9, 16, v14
	v_cndmask_b32_e64 v10, 0x7fc00000, v11, s4
	v_cndmask_b32_e64 v11, 0x7fc0, v12, s3
	v_cmp_o_f32_e64 s3, v6, v6
	s_delay_alu instid0(VALU_DEP_1) | instskip(SKIP_1) | instid1(VALU_DEP_1)
	v_cndmask_b32_e64 v6, 0x7fc00000, v13, s3
	v_cmp_o_f32_e64 s3, v5, v5
	v_cndmask_b32_e64 v5, 0x7fc0, v9, s3
	v_or_b32_e32 v9, v11, v10
	v_add_co_ci_u32_e64 v2, s3, 0, v2, s7
	s_delay_alu instid0(VALU_DEP_3) | instskip(NEXT) | instid1(VALU_DEP_3)
	v_or3_b32 v6, 0, v5, v6
	v_or3_b32 v5, v9, 0, 0
	global_store_b64 v[7:8], v[5:6], off
	s_and_not1_b32 exec_lo, exec_lo, s17
	s_cbranch_execnz .LBB299_3
.LBB299_4:
	s_or_b32 exec_lo, exec_lo, s16
	s_mov_b32 s2, 0
.LBB299_5:
	s_delay_alu instid0(SALU_CYCLE_1)
	s_and_not1_b32 vcc_lo, exec_lo, s2
	s_cbranch_vccnz .LBB299_25
; %bb.6:
	v_cmp_lt_i64_e64 s2, s[10:11], 1
	s_delay_alu instid0(VALU_DEP_1)
	s_and_b32 vcc_lo, exec_lo, s2
	s_cbranch_vccnz .LBB299_25
; %bb.7:
	s_load_b32 s0, s[0:1], 0xc5c
	v_dual_mov_b32 v10, 0 :: v_dual_lshlrev_b32 v9, 1, v0
	v_cmp_gt_u64_e64 s1, 0x10000, s[10:11]
	s_mov_b64 s[6:7], 0
	s_delay_alu instid0(VALU_DEP_2) | instskip(NEXT) | instid1(VALU_DEP_1)
	v_add_co_u32 v1, s2, s12, v9
	v_add_co_ci_u32_e64 v2, null, s13, 0, s2
	v_add_co_u32 v3, s2, s14, v9
	s_delay_alu instid0(VALU_DEP_1)
	v_add_co_ci_u32_e64 v4, null, s15, 0, s2
	s_waitcnt lgkmcnt(0)
	s_and_b32 s0, s0, 0xffff
	s_and_b32 s1, s1, exec_lo
	v_mad_u64_u32 v[7:8], null, s0, 6, v[9:10]
	s_cselect_b32 s5, s11, 0
	s_cselect_b32 s4, s10, 0x10000
	s_mul_i32 s2, s0, 3
	s_lshl_b32 s16, s0, 2
	s_lshl_b32 s1, s0, 1
	v_add_co_u32 v14, s3, s16, v9
	v_add_co_u32 v9, s2, s2, v0
	s_delay_alu instid0(VALU_DEP_1) | instskip(SKIP_3) | instid1(VALU_DEP_3)
	v_add_co_ci_u32_e64 v10, null, 0, 0, s2
	v_add_co_u32 v13, s2, v0, s0
	v_add_co_u32 v5, vcc_lo, s12, v7
	v_add_co_ci_u32_e32 v6, vcc_lo, s13, v8, vcc_lo
	v_lshlrev_b32_e32 v21, 1, v13
	v_add_co_u32 v7, vcc_lo, s14, v7
	v_add_co_ci_u32_e64 v15, null, 0, 0, s3
	v_add_co_ci_u32_e32 v8, vcc_lo, s15, v8, vcc_lo
	v_add_co_u32 v17, s1, s1, v0
	v_add_co_u32 v11, vcc_lo, s12, v14
	v_add_co_ci_u32_e64 v18, null, 0, 0, s1
	v_add_co_u32 v19, s1, s12, v21
	v_add_co_ci_u32_e32 v12, vcc_lo, s13, v15, vcc_lo
	v_add_co_u32 v14, vcc_lo, s14, v14
	v_add_co_ci_u32_e64 v20, null, s13, 0, s1
	v_add_co_u32 v21, s1, s14, v21
	v_add_co_ci_u32_e32 v15, vcc_lo, s15, v15, vcc_lo
	v_add_co_ci_u32_e64 v16, null, 0, 0, s2
	v_add_co_ci_u32_e64 v22, null, s15, 0, s1
	s_lshl_b32 s12, s0, 3
	s_branch .LBB299_9
.LBB299_8:                              ;   in Loop: Header=BB299_9 Depth=1
	s_or_b32 exec_lo, exec_lo, s0
	v_add_co_u32 v1, vcc_lo, v1, s12
	v_add_co_ci_u32_e32 v2, vcc_lo, 0, v2, vcc_lo
	v_add_co_u32 v3, vcc_lo, v3, s12
	v_add_co_ci_u32_e32 v4, vcc_lo, 0, v4, vcc_lo
	;; [unrolled: 2-line block ×5, first 2 shown]
	s_add_u32 s6, s6, s16
	v_add_co_u32 v14, vcc_lo, v14, s12
	s_addc_u32 s7, s7, 0
	v_add_co_ci_u32_e32 v15, vcc_lo, 0, v15, vcc_lo
	v_cmp_ge_i64_e64 s0, s[6:7], s[10:11]
	v_cmp_lt_u64_e64 s1, 0xffff, s[6:7]
	v_add_co_u32 v19, vcc_lo, v19, s12
	v_add_co_ci_u32_e32 v20, vcc_lo, 0, v20, vcc_lo
	v_add_co_u32 v21, vcc_lo, v21, s12
	v_add_co_ci_u32_e32 v22, vcc_lo, 0, v22, vcc_lo
	s_or_b32 s0, s0, s1
	s_delay_alu instid0(SALU_CYCLE_1)
	s_and_b32 vcc_lo, exec_lo, s0
	s_cbranch_vccnz .LBB299_25
.LBB299_9:                              ; =>This Inner Loop Header: Depth=1
	s_waitcnt vmcnt(0)
	v_add_co_u32 v23, s0, v0, s6
	s_delay_alu instid0(VALU_DEP_1) | instskip(SKIP_1) | instid1(VALU_DEP_2)
	v_add_co_ci_u32_e64 v24, null, 0, s7, s0
	v_mov_b32_e32 v26, 0
	v_cmp_gt_u64_e64 s2, s[4:5], v[23:24]
	s_delay_alu instid0(VALU_DEP_1)
	s_and_saveexec_b32 s0, s2
	s_cbranch_execz .LBB299_11
; %bb.10:                               ;   in Loop: Header=BB299_9 Depth=1
	v_add_co_u32 v23, vcc_lo, v1, s8
	v_add_co_ci_u32_e32 v24, vcc_lo, s9, v2, vcc_lo
	global_load_u16 v26, v[23:24], off
.LBB299_11:                             ;   in Loop: Header=BB299_9 Depth=1
	s_or_b32 exec_lo, exec_lo, s0
	v_add_co_u32 v23, vcc_lo, v13, s6
	v_add_co_ci_u32_e32 v24, vcc_lo, s7, v16, vcc_lo
	v_mov_b32_e32 v25, 0
	s_delay_alu instid0(VALU_DEP_2) | instskip(NEXT) | instid1(VALU_DEP_1)
	v_cmp_gt_u64_e64 s1, s[4:5], v[23:24]
	s_and_saveexec_b32 s0, s1
	s_cbranch_execz .LBB299_13
; %bb.12:                               ;   in Loop: Header=BB299_9 Depth=1
	v_add_co_u32 v23, vcc_lo, v19, s8
	v_add_co_ci_u32_e32 v24, vcc_lo, s9, v20, vcc_lo
	global_load_u16 v25, v[23:24], off
.LBB299_13:                             ;   in Loop: Header=BB299_9 Depth=1
	s_or_b32 exec_lo, exec_lo, s0
	v_add_co_u32 v23, vcc_lo, v17, s6
	v_add_co_ci_u32_e32 v24, vcc_lo, s7, v18, vcc_lo
	s_delay_alu instid0(VALU_DEP_1) | instskip(SKIP_1) | instid1(VALU_DEP_2)
	v_cmp_gt_u64_e64 s0, s[4:5], v[23:24]
	v_dual_mov_b32 v23, 0 :: v_dual_mov_b32 v24, 0
	s_and_saveexec_b32 s3, s0
	s_cbranch_execz .LBB299_15
; %bb.14:                               ;   in Loop: Header=BB299_9 Depth=1
	v_add_co_u32 v27, vcc_lo, v11, s8
	v_add_co_ci_u32_e32 v28, vcc_lo, s9, v12, vcc_lo
	global_load_u16 v24, v[27:28], off
.LBB299_15:                             ;   in Loop: Header=BB299_9 Depth=1
	s_or_b32 exec_lo, exec_lo, s3
	v_add_co_u32 v27, vcc_lo, v9, s6
	v_add_co_ci_u32_e32 v28, vcc_lo, s7, v10, vcc_lo
	s_delay_alu instid0(VALU_DEP_1)
	v_cmp_gt_u64_e32 vcc_lo, s[4:5], v[27:28]
	s_and_saveexec_b32 s13, vcc_lo
	s_cbranch_execnz .LBB299_20
; %bb.16:                               ;   in Loop: Header=BB299_9 Depth=1
	s_or_b32 exec_lo, exec_lo, s13
	s_and_saveexec_b32 s3, s2
	s_cbranch_execnz .LBB299_21
.LBB299_17:                             ;   in Loop: Header=BB299_9 Depth=1
	s_or_b32 exec_lo, exec_lo, s3
	s_and_saveexec_b32 s2, s1
	s_cbranch_execnz .LBB299_22
.LBB299_18:                             ;   in Loop: Header=BB299_9 Depth=1
	s_or_b32 exec_lo, exec_lo, s2
	s_and_saveexec_b32 s1, s0
	s_cbranch_execnz .LBB299_23
.LBB299_19:                             ;   in Loop: Header=BB299_9 Depth=1
	s_or_b32 exec_lo, exec_lo, s1
	s_and_saveexec_b32 s0, vcc_lo
	s_cbranch_execz .LBB299_8
	s_branch .LBB299_24
.LBB299_20:                             ;   in Loop: Header=BB299_9 Depth=1
	v_add_co_u32 v27, s3, v5, s8
	s_delay_alu instid0(VALU_DEP_1)
	v_add_co_ci_u32_e64 v28, s3, s9, v6, s3
	global_load_u16 v23, v[27:28], off
	s_or_b32 exec_lo, exec_lo, s13
	s_and_saveexec_b32 s3, s2
	s_cbranch_execz .LBB299_17
.LBB299_21:                             ;   in Loop: Header=BB299_9 Depth=1
	s_waitcnt vmcnt(0)
	v_lshlrev_b32_e32 v26, 16, v26
	s_delay_alu instid0(VALU_DEP_1) | instskip(SKIP_1) | instid1(VALU_DEP_1)
	v_mul_f32_e32 v27, 0x4b800000, v26
	v_cmp_gt_f32_e64 s2, 0x800000, v26
	v_cndmask_b32_e64 v26, v26, v27, s2
	s_delay_alu instid0(VALU_DEP_1) | instskip(SKIP_2) | instid1(VALU_DEP_1)
	v_rsq_f32_e32 v26, v26
	s_waitcnt_depctr 0xfff
	v_mul_f32_e32 v27, 0x45800000, v26
	v_cndmask_b32_e64 v26, v26, v27, s2
	s_delay_alu instid0(VALU_DEP_1) | instskip(SKIP_1) | instid1(VALU_DEP_2)
	v_bfe_u32 v27, v26, 16, 1
	v_cmp_o_f32_e64 s2, v26, v26
	v_add3_u32 v27, v26, v27, 0x7fff
	s_delay_alu instid0(VALU_DEP_1) | instskip(NEXT) | instid1(VALU_DEP_1)
	v_lshrrev_b32_e32 v27, 16, v27
	v_cndmask_b32_e64 v28, 0x7fc0, v27, s2
	v_add_co_u32 v26, s2, v3, s8
	s_delay_alu instid0(VALU_DEP_1)
	v_add_co_ci_u32_e64 v27, s2, s9, v4, s2
	global_store_b16 v[26:27], v28, off
	s_or_b32 exec_lo, exec_lo, s3
	s_and_saveexec_b32 s2, s1
	s_cbranch_execz .LBB299_18
.LBB299_22:                             ;   in Loop: Header=BB299_9 Depth=1
	s_waitcnt vmcnt(0)
	v_lshlrev_b32_e32 v25, 16, v25
	s_delay_alu instid0(VALU_DEP_1) | instskip(SKIP_1) | instid1(VALU_DEP_1)
	v_mul_f32_e32 v26, 0x4b800000, v25
	v_cmp_gt_f32_e64 s1, 0x800000, v25
	v_cndmask_b32_e64 v25, v25, v26, s1
	s_delay_alu instid0(VALU_DEP_1) | instskip(SKIP_2) | instid1(VALU_DEP_1)
	v_rsq_f32_e32 v25, v25
	s_waitcnt_depctr 0xfff
	v_mul_f32_e32 v26, 0x45800000, v25
	v_cndmask_b32_e64 v25, v25, v26, s1
	s_delay_alu instid0(VALU_DEP_1) | instskip(SKIP_1) | instid1(VALU_DEP_2)
	v_bfe_u32 v26, v25, 16, 1
	v_cmp_o_f32_e64 s1, v25, v25
	v_add3_u32 v26, v25, v26, 0x7fff
	s_delay_alu instid0(VALU_DEP_1) | instskip(NEXT) | instid1(VALU_DEP_1)
	v_lshrrev_b32_e32 v26, 16, v26
	v_cndmask_b32_e64 v27, 0x7fc0, v26, s1
	v_add_co_u32 v25, s1, v21, s8
	s_delay_alu instid0(VALU_DEP_1)
	v_add_co_ci_u32_e64 v26, s1, s9, v22, s1
	global_store_b16 v[25:26], v27, off
	s_or_b32 exec_lo, exec_lo, s2
	s_and_saveexec_b32 s1, s0
	s_cbranch_execz .LBB299_19
.LBB299_23:                             ;   in Loop: Header=BB299_9 Depth=1
	s_waitcnt vmcnt(0)
	v_lshlrev_b32_e32 v24, 16, v24
	s_delay_alu instid0(VALU_DEP_1) | instskip(SKIP_1) | instid1(VALU_DEP_1)
	v_mul_f32_e32 v25, 0x4b800000, v24
	v_cmp_gt_f32_e64 s0, 0x800000, v24
	v_cndmask_b32_e64 v24, v24, v25, s0
	s_delay_alu instid0(VALU_DEP_1) | instskip(SKIP_2) | instid1(VALU_DEP_1)
	v_rsq_f32_e32 v24, v24
	s_waitcnt_depctr 0xfff
	v_mul_f32_e32 v25, 0x45800000, v24
	v_cndmask_b32_e64 v24, v24, v25, s0
	s_delay_alu instid0(VALU_DEP_1) | instskip(SKIP_1) | instid1(VALU_DEP_2)
	v_bfe_u32 v25, v24, 16, 1
	v_cmp_o_f32_e64 s0, v24, v24
	v_add3_u32 v25, v24, v25, 0x7fff
	s_delay_alu instid0(VALU_DEP_1) | instskip(NEXT) | instid1(VALU_DEP_1)
	v_lshrrev_b32_e32 v25, 16, v25
	v_cndmask_b32_e64 v26, 0x7fc0, v25, s0
	v_add_co_u32 v24, s0, v14, s8
	s_delay_alu instid0(VALU_DEP_1)
	v_add_co_ci_u32_e64 v25, s0, s9, v15, s0
	global_store_b16 v[24:25], v26, off
	s_or_b32 exec_lo, exec_lo, s1
	s_and_saveexec_b32 s0, vcc_lo
	s_cbranch_execz .LBB299_8
.LBB299_24:                             ;   in Loop: Header=BB299_9 Depth=1
	s_waitcnt vmcnt(0)
	v_lshlrev_b32_e32 v23, 16, v23
	s_delay_alu instid0(VALU_DEP_1) | instskip(SKIP_1) | instid1(VALU_DEP_2)
	v_mul_f32_e32 v24, 0x4b800000, v23
	v_cmp_gt_f32_e32 vcc_lo, 0x800000, v23
	v_cndmask_b32_e32 v23, v23, v24, vcc_lo
	s_delay_alu instid0(VALU_DEP_1) | instskip(SKIP_2) | instid1(VALU_DEP_1)
	v_rsq_f32_e32 v23, v23
	s_waitcnt_depctr 0xfff
	v_mul_f32_e32 v24, 0x45800000, v23
	v_cndmask_b32_e32 v23, v23, v24, vcc_lo
	s_delay_alu instid0(VALU_DEP_1) | instskip(SKIP_1) | instid1(VALU_DEP_2)
	v_bfe_u32 v24, v23, 16, 1
	v_cmp_o_f32_e32 vcc_lo, v23, v23
	v_add3_u32 v24, v23, v24, 0x7fff
	s_delay_alu instid0(VALU_DEP_1) | instskip(NEXT) | instid1(VALU_DEP_1)
	v_lshrrev_b32_e32 v24, 16, v24
	v_cndmask_b32_e32 v25, 0x7fc0, v24, vcc_lo
	v_add_co_u32 v23, vcc_lo, v7, s8
	v_add_co_ci_u32_e32 v24, vcc_lo, s9, v8, vcc_lo
	global_store_b16 v[23:24], v25, off
	s_branch .LBB299_8
.LBB299_25:
	s_nop 0
	s_sendmsg sendmsg(MSG_DEALLOC_VGPRS)
	s_endpgm
	.section	.rodata,"a",@progbits
	.p2align	6, 0x0
	.amdhsa_kernel _ZN2at6native12_GLOBAL__N_125multi_tensor_apply_kernelINS1_18TensorListMetadataILi2EEENS1_14UnaryOpFunctorIN3c108BFloat16ELi2ELi1ELi1EEEJNS0_5RsqrtIfEEEEEvT_T0_DpT1_
		.amdhsa_group_segment_fixed_size 0
		.amdhsa_private_segment_fixed_size 0
		.amdhsa_kernarg_size 3408
		.amdhsa_user_sgpr_count 15
		.amdhsa_user_sgpr_dispatch_ptr 0
		.amdhsa_user_sgpr_queue_ptr 0
		.amdhsa_user_sgpr_kernarg_segment_ptr 1
		.amdhsa_user_sgpr_dispatch_id 0
		.amdhsa_user_sgpr_private_segment_size 0
		.amdhsa_wavefront_size32 1
		.amdhsa_uses_dynamic_stack 0
		.amdhsa_enable_private_segment 0
		.amdhsa_system_sgpr_workgroup_id_x 1
		.amdhsa_system_sgpr_workgroup_id_y 0
		.amdhsa_system_sgpr_workgroup_id_z 0
		.amdhsa_system_sgpr_workgroup_info 0
		.amdhsa_system_vgpr_workitem_id 0
		.amdhsa_next_free_vgpr 29
		.amdhsa_next_free_sgpr 20
		.amdhsa_reserve_vcc 1
		.amdhsa_float_round_mode_32 0
		.amdhsa_float_round_mode_16_64 0
		.amdhsa_float_denorm_mode_32 3
		.amdhsa_float_denorm_mode_16_64 3
		.amdhsa_dx10_clamp 1
		.amdhsa_ieee_mode 1
		.amdhsa_fp16_overflow 0
		.amdhsa_workgroup_processor_mode 1
		.amdhsa_memory_ordered 1
		.amdhsa_forward_progress 0
		.amdhsa_shared_vgpr_count 0
		.amdhsa_exception_fp_ieee_invalid_op 0
		.amdhsa_exception_fp_denorm_src 0
		.amdhsa_exception_fp_ieee_div_zero 0
		.amdhsa_exception_fp_ieee_overflow 0
		.amdhsa_exception_fp_ieee_underflow 0
		.amdhsa_exception_fp_ieee_inexact 0
		.amdhsa_exception_int_div_zero 0
	.end_amdhsa_kernel
	.section	.text._ZN2at6native12_GLOBAL__N_125multi_tensor_apply_kernelINS1_18TensorListMetadataILi2EEENS1_14UnaryOpFunctorIN3c108BFloat16ELi2ELi1ELi1EEEJNS0_5RsqrtIfEEEEEvT_T0_DpT1_,"axG",@progbits,_ZN2at6native12_GLOBAL__N_125multi_tensor_apply_kernelINS1_18TensorListMetadataILi2EEENS1_14UnaryOpFunctorIN3c108BFloat16ELi2ELi1ELi1EEEJNS0_5RsqrtIfEEEEEvT_T0_DpT1_,comdat
.Lfunc_end299:
	.size	_ZN2at6native12_GLOBAL__N_125multi_tensor_apply_kernelINS1_18TensorListMetadataILi2EEENS1_14UnaryOpFunctorIN3c108BFloat16ELi2ELi1ELi1EEEJNS0_5RsqrtIfEEEEEvT_T0_DpT1_, .Lfunc_end299-_ZN2at6native12_GLOBAL__N_125multi_tensor_apply_kernelINS1_18TensorListMetadataILi2EEENS1_14UnaryOpFunctorIN3c108BFloat16ELi2ELi1ELi1EEEJNS0_5RsqrtIfEEEEEvT_T0_DpT1_
                                        ; -- End function
	.section	.AMDGPU.csdata,"",@progbits
; Kernel info:
; codeLenInByte = 2248
; NumSgprs: 22
; NumVgprs: 29
; ScratchSize: 0
; MemoryBound: 0
; FloatMode: 240
; IeeeMode: 1
; LDSByteSize: 0 bytes/workgroup (compile time only)
; SGPRBlocks: 2
; VGPRBlocks: 3
; NumSGPRsForWavesPerEU: 22
; NumVGPRsForWavesPerEU: 29
; Occupancy: 16
; WaveLimiterHint : 0
; COMPUTE_PGM_RSRC2:SCRATCH_EN: 0
; COMPUTE_PGM_RSRC2:USER_SGPR: 15
; COMPUTE_PGM_RSRC2:TRAP_HANDLER: 0
; COMPUTE_PGM_RSRC2:TGID_X_EN: 1
; COMPUTE_PGM_RSRC2:TGID_Y_EN: 0
; COMPUTE_PGM_RSRC2:TGID_Z_EN: 0
; COMPUTE_PGM_RSRC2:TIDIG_COMP_CNT: 0
	.section	.text._ZN2at6native12_GLOBAL__N_125multi_tensor_apply_kernelINS1_18TensorListMetadataILi1EEENS1_14UnaryOpFunctorIdLi1ELi1ELi0EEEJNS0_5RsqrtIdEEEEEvT_T0_DpT1_,"axG",@progbits,_ZN2at6native12_GLOBAL__N_125multi_tensor_apply_kernelINS1_18TensorListMetadataILi1EEENS1_14UnaryOpFunctorIdLi1ELi1ELi0EEEJNS0_5RsqrtIdEEEEEvT_T0_DpT1_,comdat
	.globl	_ZN2at6native12_GLOBAL__N_125multi_tensor_apply_kernelINS1_18TensorListMetadataILi1EEENS1_14UnaryOpFunctorIdLi1ELi1ELi0EEEJNS0_5RsqrtIdEEEEEvT_T0_DpT1_ ; -- Begin function _ZN2at6native12_GLOBAL__N_125multi_tensor_apply_kernelINS1_18TensorListMetadataILi1EEENS1_14UnaryOpFunctorIdLi1ELi1ELi0EEEJNS0_5RsqrtIdEEEEEvT_T0_DpT1_
	.p2align	8
	.type	_ZN2at6native12_GLOBAL__N_125multi_tensor_apply_kernelINS1_18TensorListMetadataILi1EEENS1_14UnaryOpFunctorIdLi1ELi1ELi0EEEJNS0_5RsqrtIdEEEEEvT_T0_DpT1_,@function
_ZN2at6native12_GLOBAL__N_125multi_tensor_apply_kernelINS1_18TensorListMetadataILi1EEENS1_14UnaryOpFunctorIdLi1ELi1ELi0EEEJNS0_5RsqrtIdEEEEEvT_T0_DpT1_: ; @_ZN2at6native12_GLOBAL__N_125multi_tensor_apply_kernelINS1_18TensorListMetadataILi1EEENS1_14UnaryOpFunctorIdLi1ELi1ELi0EEEJNS0_5RsqrtIdEEEEEvT_T0_DpT1_
; %bb.0:
	v_mov_b32_e32 v1, s15
	s_add_u32 s2, s0, s15
	s_mul_hi_u32 s3, s15, 3
	s_mul_i32 s15, s15, 3
	s_addc_u32 s4, s1, 0
	global_load_u8 v1, v1, s[0:1] offset:1760
	s_add_u32 s2, s2, s15
	s_addc_u32 s3, s4, s3
	s_mov_b32 s13, 0
	s_load_b32 s2, s[2:3], 0x820
	s_waitcnt vmcnt(0)
	v_readfirstlane_b32 s5, v1
	s_delay_alu instid0(VALU_DEP_1)
	s_lshl_b32 s3, s5, 3
	s_clause 0x1
	s_load_b64 s[8:9], s[0:1], s3 offset:0x0
	s_load_b64 s[4:5], s[0:1], s3 offset:0x370
	s_waitcnt lgkmcnt(0)
	s_ashr_i32 s3, s2, 31
	s_delay_alu instid0(SALU_CYCLE_1)
	s_lshl_b64 s[10:11], s[2:3], 19
	s_lshl_b64 s[2:3], s[2:3], 16
	s_and_b32 s12, s8, 31
	s_sub_u32 s6, s4, s2
	s_subb_u32 s7, s5, s3
	s_and_b32 s2, s4, 3
	s_mov_b32 s3, s13
	s_delay_alu instid0(SALU_CYCLE_1) | instskip(NEXT) | instid1(SALU_CYCLE_1)
	s_or_b64 s[2:3], s[12:13], s[2:3]
	s_cmp_eq_u64 s[2:3], 0
	s_cbranch_scc1 .LBB300_21
; %bb.1:
	v_cmp_lt_i64_e64 s2, s[6:7], 1
	s_delay_alu instid0(VALU_DEP_1)
	s_and_b32 vcc_lo, exec_lo, s2
	s_cbranch_vccnz .LBB300_20
; %bb.2:
	s_load_b32 s2, s[0:1], 0xd3c
	v_cmp_gt_u64_e64 s3, 0x10000, s[6:7]
	v_lshlrev_b32_e32 v1, 3, v0
	s_waitcnt lgkmcnt(0)
	s_and_b32 s2, s2, 0xffff
	s_delay_alu instid0(VALU_DEP_2)
	s_and_b32 s3, s3, exec_lo
	v_add_co_u32 v13, s5, v0, s2
	s_cselect_b32 s13, s7, 0
	s_cselect_b32 s12, s6, 0x10000
	s_lshl_b32 s3, s2, 1
	s_lshl_b32 s16, s2, 2
	v_lshlrev_b32_e32 v3, 3, v13
	v_add_co_ci_u32_e64 v14, null, 0, 0, s5
	s_add_u32 s5, s8, s10
	v_add_co_u32 v17, s3, s3, v0
	s_mul_i32 s4, s2, 3
	s_addc_u32 s14, s9, s11
	v_add_co_ci_u32_e64 v18, null, 0, 0, s3
	v_add_co_u32 v1, s3, s5, v1
	v_add_co_u32 v15, s4, s4, v0
	v_add_co_ci_u32_e64 v2, null, s14, 0, s3
	v_add_co_u32 v3, s3, s5, v3
	v_add_co_ci_u32_e64 v16, null, 0, 0, s4
	v_add_co_ci_u32_e64 v4, null, s14, 0, s3
	s_lshl_b32 s17, s2, 5
	s_mul_i32 s18, s2, 24
	s_lshl_b32 s19, s2, 4
	s_mov_b64 s[14:15], 0
	s_branch .LBB300_4
.LBB300_3:                              ;   in Loop: Header=BB300_4 Depth=1
	s_or_b32 exec_lo, exec_lo, s2
	s_add_u32 s14, s14, s16
	s_addc_u32 s15, s15, 0
	v_add_co_u32 v1, vcc_lo, v1, s17
	v_cmp_lt_i64_e64 s2, s[14:15], s[6:7]
	v_cmp_gt_u64_e64 s3, 0x10000, s[14:15]
	v_add_co_ci_u32_e32 v2, vcc_lo, 0, v2, vcc_lo
	v_add_co_u32 v3, vcc_lo, v3, s17
	v_add_co_ci_u32_e32 v4, vcc_lo, 0, v4, vcc_lo
	s_delay_alu instid0(VALU_DEP_4) | instskip(NEXT) | instid1(SALU_CYCLE_1)
	s_and_b32 s2, s2, s3
	s_and_b32 vcc_lo, exec_lo, s2
	s_cbranch_vccz .LBB300_20
.LBB300_4:                              ; =>This Inner Loop Header: Depth=1
	s_waitcnt vmcnt(0)
	v_add_co_u32 v5, s2, v0, s14
	s_delay_alu instid0(VALU_DEP_1) | instskip(SKIP_2) | instid1(VALU_DEP_3)
	v_add_co_ci_u32_e64 v6, null, 0, s15, s2
	v_mov_b32_e32 v7, 0
	v_mov_b32_e32 v8, 0
	v_cmp_gt_u64_e64 s4, s[12:13], v[5:6]
	s_delay_alu instid0(VALU_DEP_2) | instskip(NEXT) | instid1(VALU_DEP_2)
	v_dual_mov_b32 v10, v8 :: v_dual_mov_b32 v9, v7
	s_and_saveexec_b32 s2, s4
	s_cbranch_execz .LBB300_6
; %bb.5:                                ;   in Loop: Header=BB300_4 Depth=1
	global_load_b64 v[9:10], v[1:2], off
.LBB300_6:                              ;   in Loop: Header=BB300_4 Depth=1
	s_or_b32 exec_lo, exec_lo, s2
	v_add_co_u32 v5, vcc_lo, v13, s14
	v_add_co_ci_u32_e32 v6, vcc_lo, s15, v14, vcc_lo
	s_delay_alu instid0(VALU_DEP_1) | instskip(NEXT) | instid1(VALU_DEP_1)
	v_cmp_gt_u64_e64 s3, s[12:13], v[5:6]
	s_and_saveexec_b32 s2, s3
	s_cbranch_execz .LBB300_8
; %bb.7:                                ;   in Loop: Header=BB300_4 Depth=1
	global_load_b64 v[7:8], v[3:4], off
.LBB300_8:                              ;   in Loop: Header=BB300_4 Depth=1
	s_or_b32 exec_lo, exec_lo, s2
	v_add_co_u32 v11, vcc_lo, v17, s14
	v_add_co_ci_u32_e32 v12, vcc_lo, s15, v18, vcc_lo
	v_mov_b32_e32 v5, 0
	v_mov_b32_e32 v6, 0
	s_delay_alu instid0(VALU_DEP_3) | instskip(NEXT) | instid1(VALU_DEP_2)
	v_cmp_gt_u64_e64 s2, s[12:13], v[11:12]
	v_dual_mov_b32 v12, v6 :: v_dual_mov_b32 v11, v5
	s_delay_alu instid0(VALU_DEP_2)
	s_and_saveexec_b32 s5, s2
	s_cbranch_execz .LBB300_10
; %bb.9:                                ;   in Loop: Header=BB300_4 Depth=1
	v_add_co_u32 v11, vcc_lo, v1, s19
	v_add_co_ci_u32_e32 v12, vcc_lo, 0, v2, vcc_lo
	global_load_b64 v[11:12], v[11:12], off
.LBB300_10:                             ;   in Loop: Header=BB300_4 Depth=1
	s_or_b32 exec_lo, exec_lo, s5
	v_add_co_u32 v19, vcc_lo, v15, s14
	v_add_co_ci_u32_e32 v20, vcc_lo, s15, v16, vcc_lo
	s_delay_alu instid0(VALU_DEP_1)
	v_cmp_gt_u64_e32 vcc_lo, s[12:13], v[19:20]
	s_and_saveexec_b32 s20, vcc_lo
	s_cbranch_execnz .LBB300_15
; %bb.11:                               ;   in Loop: Header=BB300_4 Depth=1
	s_or_b32 exec_lo, exec_lo, s20
	s_and_saveexec_b32 s5, s4
	s_cbranch_execnz .LBB300_16
.LBB300_12:                             ;   in Loop: Header=BB300_4 Depth=1
	s_or_b32 exec_lo, exec_lo, s5
	s_and_saveexec_b32 s4, s3
	s_cbranch_execnz .LBB300_17
.LBB300_13:                             ;   in Loop: Header=BB300_4 Depth=1
	s_or_b32 exec_lo, exec_lo, s4
	s_and_saveexec_b32 s3, s2
	s_cbranch_execnz .LBB300_18
.LBB300_14:                             ;   in Loop: Header=BB300_4 Depth=1
	s_or_b32 exec_lo, exec_lo, s3
	s_and_saveexec_b32 s2, vcc_lo
	s_cbranch_execz .LBB300_3
	s_branch .LBB300_19
.LBB300_15:                             ;   in Loop: Header=BB300_4 Depth=1
	v_add_co_u32 v5, s5, v1, s18
	s_delay_alu instid0(VALU_DEP_1)
	v_add_co_ci_u32_e64 v6, s5, 0, v2, s5
	global_load_b64 v[5:6], v[5:6], off
	s_or_b32 exec_lo, exec_lo, s20
	s_and_saveexec_b32 s5, s4
	s_cbranch_execz .LBB300_12
.LBB300_16:                             ;   in Loop: Header=BB300_4 Depth=1
	s_waitcnt vmcnt(0)
	v_rsq_f64_e32 v[19:20], v[9:10]
	s_waitcnt_depctr 0xfff
	v_mul_f64 v[9:10], v[19:20], -v[9:10]
	v_cmp_class_f64_e64 s4, v[19:20], 0x180
	s_delay_alu instid0(VALU_DEP_2) | instskip(NEXT) | instid1(VALU_DEP_1)
	v_fma_f64 v[9:10], v[9:10], v[19:20], 1.0
	v_mul_f64 v[21:22], v[19:20], v[9:10]
	v_fma_f64 v[9:10], 0x3fd80000, v[9:10], 0.5
	s_delay_alu instid0(VALU_DEP_1) | instskip(NEXT) | instid1(VALU_DEP_1)
	v_fma_f64 v[9:10], v[21:22], v[9:10], v[19:20]
	v_cndmask_b32_e64 v10, v20, v10, s4
	s_delay_alu instid0(VALU_DEP_2)
	v_cndmask_b32_e64 v9, v19, v9, s4
	global_store_b64 v[1:2], v[9:10], off
	s_or_b32 exec_lo, exec_lo, s5
	s_and_saveexec_b32 s4, s3
	s_cbranch_execz .LBB300_13
.LBB300_17:                             ;   in Loop: Header=BB300_4 Depth=1
	s_waitcnt vmcnt(0)
	v_rsq_f64_e32 v[9:10], v[7:8]
	s_waitcnt_depctr 0xfff
	v_mul_f64 v[7:8], v[9:10], -v[7:8]
	v_cmp_class_f64_e64 s3, v[9:10], 0x180
	s_delay_alu instid0(VALU_DEP_2) | instskip(NEXT) | instid1(VALU_DEP_1)
	v_fma_f64 v[7:8], v[7:8], v[9:10], 1.0
	v_mul_f64 v[19:20], v[9:10], v[7:8]
	v_fma_f64 v[7:8], 0x3fd80000, v[7:8], 0.5
	s_delay_alu instid0(VALU_DEP_1) | instskip(NEXT) | instid1(VALU_DEP_1)
	v_fma_f64 v[7:8], v[19:20], v[7:8], v[9:10]
	v_cndmask_b32_e64 v8, v10, v8, s3
	s_delay_alu instid0(VALU_DEP_2)
	v_cndmask_b32_e64 v7, v9, v7, s3
	global_store_b64 v[3:4], v[7:8], off
	s_or_b32 exec_lo, exec_lo, s4
	s_and_saveexec_b32 s3, s2
	s_cbranch_execz .LBB300_14
.LBB300_18:                             ;   in Loop: Header=BB300_4 Depth=1
	s_waitcnt vmcnt(0)
	v_rsq_f64_e32 v[7:8], v[11:12]
	s_waitcnt_depctr 0xfff
	v_mul_f64 v[9:10], v[7:8], -v[11:12]
	v_cmp_class_f64_e64 s2, v[7:8], 0x180
	s_delay_alu instid0(VALU_DEP_2) | instskip(NEXT) | instid1(VALU_DEP_1)
	v_fma_f64 v[9:10], v[9:10], v[7:8], 1.0
	v_mul_f64 v[11:12], v[7:8], v[9:10]
	v_fma_f64 v[9:10], 0x3fd80000, v[9:10], 0.5
	s_delay_alu instid0(VALU_DEP_1) | instskip(NEXT) | instid1(VALU_DEP_1)
	v_fma_f64 v[9:10], v[11:12], v[9:10], v[7:8]
	v_cndmask_b32_e64 v8, v8, v10, s2
	s_delay_alu instid0(VALU_DEP_2) | instskip(SKIP_1) | instid1(VALU_DEP_1)
	v_cndmask_b32_e64 v7, v7, v9, s2
	v_add_co_u32 v9, s2, v1, s19
	v_add_co_ci_u32_e64 v10, s2, 0, v2, s2
	global_store_b64 v[9:10], v[7:8], off
	s_or_b32 exec_lo, exec_lo, s3
	s_and_saveexec_b32 s2, vcc_lo
	s_cbranch_execz .LBB300_3
.LBB300_19:                             ;   in Loop: Header=BB300_4 Depth=1
	s_waitcnt vmcnt(0)
	v_rsq_f64_e32 v[7:8], v[5:6]
	s_waitcnt_depctr 0xfff
	v_mul_f64 v[5:6], v[7:8], -v[5:6]
	v_cmp_class_f64_e64 vcc_lo, v[7:8], 0x180
	s_delay_alu instid0(VALU_DEP_2) | instskip(NEXT) | instid1(VALU_DEP_1)
	v_fma_f64 v[5:6], v[5:6], v[7:8], 1.0
	v_mul_f64 v[9:10], v[7:8], v[5:6]
	v_fma_f64 v[5:6], 0x3fd80000, v[5:6], 0.5
	s_delay_alu instid0(VALU_DEP_1) | instskip(NEXT) | instid1(VALU_DEP_1)
	v_fma_f64 v[5:6], v[9:10], v[5:6], v[7:8]
	v_dual_cndmask_b32 v6, v8, v6 :: v_dual_cndmask_b32 v5, v7, v5
	v_add_co_u32 v7, vcc_lo, v1, s18
	v_add_co_ci_u32_e32 v8, vcc_lo, 0, v2, vcc_lo
	global_store_b64 v[7:8], v[5:6], off
	s_branch .LBB300_3
.LBB300_20:
	s_cbranch_execz .LBB300_22
	s_branch .LBB300_25
.LBB300_21:
.LBB300_22:
	v_dual_mov_b32 v2, 0 :: v_dual_lshlrev_b32 v1, 2, v0
	s_mov_b32 s5, 0
	s_mov_b32 s2, exec_lo
	s_delay_alu instid0(VALU_DEP_1)
	v_cmpx_gt_i64_e64 s[6:7], v[1:2]
	s_cbranch_execz .LBB300_25
; %bb.23:
	s_load_b32 s0, s[0:1], 0xd3c
	v_lshlrev_b32_e32 v1, 5, v0
	s_waitcnt lgkmcnt(0)
	s_and_b32 s0, s0, 0xffff
	s_delay_alu instid0(SALU_CYCLE_1) | instskip(SKIP_3) | instid1(VALU_DEP_1)
	s_lshl_b32 s12, s0, 2
	s_add_u32 s1, s8, s10
	s_addc_u32 s2, s9, s11
	v_add_co_u32 v3, s1, s1, v1
	v_add_co_ci_u32_e64 v4, null, s2, 0, s1
	v_add_lshl_u32 v1, v0, s0, 2
	s_delay_alu instid0(VALU_DEP_3) | instskip(NEXT) | instid1(VALU_DEP_3)
	v_add_co_u32 v3, vcc_lo, v3, 16
	v_add_co_ci_u32_e32 v4, vcc_lo, 0, v4, vcc_lo
	s_lshl_b32 s8, s0, 5
.LBB300_24:                             ; =>This Inner Loop Header: Depth=1
	s_clause 0x1
	global_load_b128 v[5:8], v[3:4], off offset:-16
	global_load_b128 v[9:12], v[3:4], off
	v_cmp_le_i64_e64 s3, s[6:7], v[1:2]
	v_cmp_lt_u64_e64 s4, 0xffff, v[1:2]
	s_waitcnt vmcnt(1)
	v_rsq_f64_e32 v[13:14], v[5:6]
	v_rsq_f64_e32 v[15:16], v[7:8]
	s_waitcnt vmcnt(0)
	v_rsq_f64_e32 v[17:18], v[9:10]
	v_rsq_f64_e32 v[19:20], v[11:12]
	v_mul_f64 v[5:6], v[13:14], -v[5:6]
	s_delay_alu instid0(TRANS32_DEP_3)
	v_mul_f64 v[7:8], v[15:16], -v[7:8]
	s_waitcnt_depctr 0xfff
	v_mul_f64 v[9:10], v[17:18], -v[9:10]
	v_mul_f64 v[11:12], v[19:20], -v[11:12]
	v_cmp_class_f64_e64 vcc_lo, v[13:14], 0x180
	v_cmp_class_f64_e64 s0, v[15:16], 0x180
	v_cmp_class_f64_e64 s1, v[17:18], 0x180
	;; [unrolled: 1-line block ×3, first 2 shown]
	v_fma_f64 v[5:6], v[5:6], v[13:14], 1.0
	v_fma_f64 v[7:8], v[7:8], v[15:16], 1.0
	;; [unrolled: 1-line block ×4, first 2 shown]
	s_delay_alu instid0(VALU_DEP_4)
	v_mul_f64 v[21:22], v[13:14], v[5:6]
	v_fma_f64 v[5:6], 0x3fd80000, v[5:6], 0.5
	v_mul_f64 v[23:24], v[15:16], v[7:8]
	v_fma_f64 v[7:8], 0x3fd80000, v[7:8], 0.5
	;; [unrolled: 2-line block ×4, first 2 shown]
	v_fma_f64 v[5:6], v[21:22], v[5:6], v[13:14]
	v_fma_f64 v[7:8], v[23:24], v[7:8], v[15:16]
	;; [unrolled: 1-line block ×3, first 2 shown]
	s_delay_alu instid0(VALU_DEP_4) | instskip(NEXT) | instid1(VALU_DEP_4)
	v_fma_f64 v[11:12], v[27:28], v[11:12], v[19:20]
	v_dual_cndmask_b32 v6, v14, v6 :: v_dual_cndmask_b32 v5, v13, v5
	s_delay_alu instid0(VALU_DEP_4)
	v_cndmask_b32_e64 v8, v16, v8, s0
	v_cndmask_b32_e64 v7, v15, v7, s0
	;; [unrolled: 1-line block ×6, first 2 shown]
	v_add_co_u32 v1, vcc_lo, v1, s12
	v_add_co_ci_u32_e32 v2, vcc_lo, 0, v2, vcc_lo
	s_clause 0x1
	global_store_b128 v[3:4], v[5:8], off offset:-16
	global_store_b128 v[3:4], v[9:12], off
	v_add_co_u32 v3, vcc_lo, v3, s8
	s_or_b32 s0, s3, s4
	v_add_co_ci_u32_e32 v4, vcc_lo, 0, v4, vcc_lo
	s_and_b32 s0, exec_lo, s0
	s_delay_alu instid0(SALU_CYCLE_1) | instskip(NEXT) | instid1(SALU_CYCLE_1)
	s_or_b32 s5, s0, s5
	s_and_not1_b32 exec_lo, exec_lo, s5
	s_cbranch_execnz .LBB300_24
.LBB300_25:
	s_nop 0
	s_sendmsg sendmsg(MSG_DEALLOC_VGPRS)
	s_endpgm
	.section	.rodata,"a",@progbits
	.p2align	6, 0x0
	.amdhsa_kernel _ZN2at6native12_GLOBAL__N_125multi_tensor_apply_kernelINS1_18TensorListMetadataILi1EEENS1_14UnaryOpFunctorIdLi1ELi1ELi0EEEJNS0_5RsqrtIdEEEEEvT_T0_DpT1_
		.amdhsa_group_segment_fixed_size 0
		.amdhsa_private_segment_fixed_size 0
		.amdhsa_kernarg_size 3632
		.amdhsa_user_sgpr_count 15
		.amdhsa_user_sgpr_dispatch_ptr 0
		.amdhsa_user_sgpr_queue_ptr 0
		.amdhsa_user_sgpr_kernarg_segment_ptr 1
		.amdhsa_user_sgpr_dispatch_id 0
		.amdhsa_user_sgpr_private_segment_size 0
		.amdhsa_wavefront_size32 1
		.amdhsa_uses_dynamic_stack 0
		.amdhsa_enable_private_segment 0
		.amdhsa_system_sgpr_workgroup_id_x 1
		.amdhsa_system_sgpr_workgroup_id_y 0
		.amdhsa_system_sgpr_workgroup_id_z 0
		.amdhsa_system_sgpr_workgroup_info 0
		.amdhsa_system_vgpr_workitem_id 0
		.amdhsa_next_free_vgpr 29
		.amdhsa_next_free_sgpr 21
		.amdhsa_reserve_vcc 1
		.amdhsa_float_round_mode_32 0
		.amdhsa_float_round_mode_16_64 0
		.amdhsa_float_denorm_mode_32 3
		.amdhsa_float_denorm_mode_16_64 3
		.amdhsa_dx10_clamp 1
		.amdhsa_ieee_mode 1
		.amdhsa_fp16_overflow 0
		.amdhsa_workgroup_processor_mode 1
		.amdhsa_memory_ordered 1
		.amdhsa_forward_progress 0
		.amdhsa_shared_vgpr_count 0
		.amdhsa_exception_fp_ieee_invalid_op 0
		.amdhsa_exception_fp_denorm_src 0
		.amdhsa_exception_fp_ieee_div_zero 0
		.amdhsa_exception_fp_ieee_overflow 0
		.amdhsa_exception_fp_ieee_underflow 0
		.amdhsa_exception_fp_ieee_inexact 0
		.amdhsa_exception_int_div_zero 0
	.end_amdhsa_kernel
	.section	.text._ZN2at6native12_GLOBAL__N_125multi_tensor_apply_kernelINS1_18TensorListMetadataILi1EEENS1_14UnaryOpFunctorIdLi1ELi1ELi0EEEJNS0_5RsqrtIdEEEEEvT_T0_DpT1_,"axG",@progbits,_ZN2at6native12_GLOBAL__N_125multi_tensor_apply_kernelINS1_18TensorListMetadataILi1EEENS1_14UnaryOpFunctorIdLi1ELi1ELi0EEEJNS0_5RsqrtIdEEEEEvT_T0_DpT1_,comdat
.Lfunc_end300:
	.size	_ZN2at6native12_GLOBAL__N_125multi_tensor_apply_kernelINS1_18TensorListMetadataILi1EEENS1_14UnaryOpFunctorIdLi1ELi1ELi0EEEJNS0_5RsqrtIdEEEEEvT_T0_DpT1_, .Lfunc_end300-_ZN2at6native12_GLOBAL__N_125multi_tensor_apply_kernelINS1_18TensorListMetadataILi1EEENS1_14UnaryOpFunctorIdLi1ELi1ELi0EEEJNS0_5RsqrtIdEEEEEvT_T0_DpT1_
                                        ; -- End function
	.section	.AMDGPU.csdata,"",@progbits
; Kernel info:
; codeLenInByte = 1764
; NumSgprs: 23
; NumVgprs: 29
; ScratchSize: 0
; MemoryBound: 0
; FloatMode: 240
; IeeeMode: 1
; LDSByteSize: 0 bytes/workgroup (compile time only)
; SGPRBlocks: 2
; VGPRBlocks: 3
; NumSGPRsForWavesPerEU: 23
; NumVGPRsForWavesPerEU: 29
; Occupancy: 16
; WaveLimiterHint : 0
; COMPUTE_PGM_RSRC2:SCRATCH_EN: 0
; COMPUTE_PGM_RSRC2:USER_SGPR: 15
; COMPUTE_PGM_RSRC2:TRAP_HANDLER: 0
; COMPUTE_PGM_RSRC2:TGID_X_EN: 1
; COMPUTE_PGM_RSRC2:TGID_Y_EN: 0
; COMPUTE_PGM_RSRC2:TGID_Z_EN: 0
; COMPUTE_PGM_RSRC2:TIDIG_COMP_CNT: 0
	.section	.text._ZN2at6native12_GLOBAL__N_125multi_tensor_apply_kernelINS1_18TensorListMetadataILi1EEENS1_14UnaryOpFunctorIfLi1ELi1ELi0EEEJNS0_5RsqrtIfEEEEEvT_T0_DpT1_,"axG",@progbits,_ZN2at6native12_GLOBAL__N_125multi_tensor_apply_kernelINS1_18TensorListMetadataILi1EEENS1_14UnaryOpFunctorIfLi1ELi1ELi0EEEJNS0_5RsqrtIfEEEEEvT_T0_DpT1_,comdat
	.globl	_ZN2at6native12_GLOBAL__N_125multi_tensor_apply_kernelINS1_18TensorListMetadataILi1EEENS1_14UnaryOpFunctorIfLi1ELi1ELi0EEEJNS0_5RsqrtIfEEEEEvT_T0_DpT1_ ; -- Begin function _ZN2at6native12_GLOBAL__N_125multi_tensor_apply_kernelINS1_18TensorListMetadataILi1EEENS1_14UnaryOpFunctorIfLi1ELi1ELi0EEEJNS0_5RsqrtIfEEEEEvT_T0_DpT1_
	.p2align	8
	.type	_ZN2at6native12_GLOBAL__N_125multi_tensor_apply_kernelINS1_18TensorListMetadataILi1EEENS1_14UnaryOpFunctorIfLi1ELi1ELi0EEEJNS0_5RsqrtIfEEEEEvT_T0_DpT1_,@function
_ZN2at6native12_GLOBAL__N_125multi_tensor_apply_kernelINS1_18TensorListMetadataILi1EEENS1_14UnaryOpFunctorIfLi1ELi1ELi0EEEJNS0_5RsqrtIfEEEEEvT_T0_DpT1_: ; @_ZN2at6native12_GLOBAL__N_125multi_tensor_apply_kernelINS1_18TensorListMetadataILi1EEENS1_14UnaryOpFunctorIfLi1ELi1ELi0EEEJNS0_5RsqrtIfEEEEEvT_T0_DpT1_
; %bb.0:
	v_mov_b32_e32 v1, s15
	s_add_u32 s2, s0, s15
	s_mul_hi_u32 s3, s15, 3
	s_mul_i32 s15, s15, 3
	s_addc_u32 s4, s1, 0
	global_load_u8 v1, v1, s[0:1] offset:1760
	s_add_u32 s2, s2, s15
	s_addc_u32 s3, s4, s3
	s_mov_b32 s13, 0
	s_load_b32 s2, s[2:3], 0x820
	s_waitcnt vmcnt(0)
	v_readfirstlane_b32 s5, v1
	s_delay_alu instid0(VALU_DEP_1)
	s_lshl_b32 s3, s5, 3
	s_clause 0x1
	s_load_b64 s[8:9], s[0:1], s3 offset:0x0
	s_load_b64 s[4:5], s[0:1], s3 offset:0x370
	s_waitcnt lgkmcnt(0)
	s_ashr_i32 s3, s2, 31
	s_delay_alu instid0(SALU_CYCLE_1)
	s_lshl_b64 s[10:11], s[2:3], 18
	s_lshl_b64 s[2:3], s[2:3], 16
	s_and_b32 s12, s8, 15
	s_sub_u32 s6, s4, s2
	s_subb_u32 s7, s5, s3
	s_and_b32 s2, s4, 3
	s_mov_b32 s3, s13
	s_delay_alu instid0(SALU_CYCLE_1) | instskip(NEXT) | instid1(SALU_CYCLE_1)
	s_or_b64 s[2:3], s[12:13], s[2:3]
	s_cmp_eq_u64 s[2:3], 0
	s_cbranch_scc1 .LBB301_21
; %bb.1:
	v_cmp_lt_i64_e64 s2, s[6:7], 1
	s_delay_alu instid0(VALU_DEP_1)
	s_and_b32 vcc_lo, exec_lo, s2
	s_cbranch_vccnz .LBB301_20
; %bb.2:
	s_load_b32 s2, s[0:1], 0xd3c
	v_cmp_gt_u64_e64 s3, 0x10000, s[6:7]
	v_lshlrev_b32_e32 v1, 2, v0
	s_waitcnt lgkmcnt(0)
	s_and_b32 s2, s2, 0xffff
	s_delay_alu instid0(VALU_DEP_2)
	s_and_b32 s3, s3, exec_lo
	v_add_co_u32 v5, s5, v0, s2
	s_cselect_b32 s13, s7, 0
	s_cselect_b32 s12, s6, 0x10000
	s_lshl_b32 s3, s2, 1
	s_lshl_b32 s16, s2, 2
	v_lshlrev_b32_e32 v3, 2, v5
	v_add_co_ci_u32_e64 v6, null, 0, 0, s5
	s_add_u32 s5, s8, s10
	v_add_co_u32 v9, s3, s3, v0
	s_mul_i32 s4, s2, 3
	s_addc_u32 s14, s9, s11
	v_add_co_ci_u32_e64 v10, null, 0, 0, s3
	v_add_co_u32 v1, s3, s5, v1
	v_add_co_u32 v7, s4, s4, v0
	v_add_co_ci_u32_e64 v2, null, s14, 0, s3
	v_add_co_u32 v3, s3, s5, v3
	v_add_co_ci_u32_e64 v8, null, 0, 0, s4
	v_add_co_ci_u32_e64 v4, null, s14, 0, s3
	s_lshl_b32 s17, s2, 4
	s_mul_i32 s18, s2, 12
	s_lshl_b32 s19, s2, 3
	s_mov_b64 s[14:15], 0
	s_branch .LBB301_4
.LBB301_3:                              ;   in Loop: Header=BB301_4 Depth=1
	s_or_b32 exec_lo, exec_lo, s2
	s_add_u32 s14, s14, s16
	s_addc_u32 s15, s15, 0
	v_add_co_u32 v1, vcc_lo, v1, s17
	v_cmp_lt_i64_e64 s2, s[14:15], s[6:7]
	v_cmp_gt_u64_e64 s3, 0x10000, s[14:15]
	v_add_co_ci_u32_e32 v2, vcc_lo, 0, v2, vcc_lo
	v_add_co_u32 v3, vcc_lo, v3, s17
	v_add_co_ci_u32_e32 v4, vcc_lo, 0, v4, vcc_lo
	s_delay_alu instid0(VALU_DEP_4) | instskip(NEXT) | instid1(SALU_CYCLE_1)
	s_and_b32 s2, s2, s3
	s_and_b32 vcc_lo, exec_lo, s2
	s_cbranch_vccz .LBB301_20
.LBB301_4:                              ; =>This Inner Loop Header: Depth=1
	s_waitcnt vmcnt(0)
	v_add_co_u32 v11, s2, v0, s14
	s_delay_alu instid0(VALU_DEP_1) | instskip(NEXT) | instid1(VALU_DEP_1)
	v_add_co_ci_u32_e64 v12, null, 0, s15, s2
	v_cmp_gt_u64_e32 vcc_lo, s[12:13], v[11:12]
	v_mov_b32_e32 v12, 0
	s_and_saveexec_b32 s2, vcc_lo
	s_cbranch_execz .LBB301_6
; %bb.5:                                ;   in Loop: Header=BB301_4 Depth=1
	global_load_b32 v12, v[1:2], off
.LBB301_6:                              ;   in Loop: Header=BB301_4 Depth=1
	s_or_b32 exec_lo, exec_lo, s2
	v_add_co_u32 v13, s2, v5, s14
	s_delay_alu instid0(VALU_DEP_1) | instskip(NEXT) | instid1(VALU_DEP_1)
	v_add_co_ci_u32_e64 v14, s2, s15, v6, s2
	v_cmp_gt_u64_e64 s2, s[12:13], v[13:14]
	v_mov_b32_e32 v13, 0
	s_delay_alu instid0(VALU_DEP_2)
	s_and_saveexec_b32 s3, s2
	s_cbranch_execz .LBB301_8
; %bb.7:                                ;   in Loop: Header=BB301_4 Depth=1
	global_load_b32 v13, v[3:4], off
.LBB301_8:                              ;   in Loop: Header=BB301_4 Depth=1
	s_or_b32 exec_lo, exec_lo, s3
	v_add_co_u32 v14, s3, v9, s14
	s_delay_alu instid0(VALU_DEP_1) | instskip(SKIP_1) | instid1(VALU_DEP_2)
	v_add_co_ci_u32_e64 v15, s3, s15, v10, s3
	v_mov_b32_e32 v11, 0
	v_cmp_gt_u64_e64 s3, s[12:13], v[14:15]
	v_mov_b32_e32 v14, 0
	s_delay_alu instid0(VALU_DEP_2)
	s_and_saveexec_b32 s5, s3
	s_cbranch_execz .LBB301_10
; %bb.9:                                ;   in Loop: Header=BB301_4 Depth=1
	v_add_co_u32 v14, s4, v1, s19
	s_delay_alu instid0(VALU_DEP_1)
	v_add_co_ci_u32_e64 v15, s4, 0, v2, s4
	global_load_b32 v14, v[14:15], off
.LBB301_10:                             ;   in Loop: Header=BB301_4 Depth=1
	s_or_b32 exec_lo, exec_lo, s5
	v_add_co_u32 v15, s4, v7, s14
	s_delay_alu instid0(VALU_DEP_1) | instskip(NEXT) | instid1(VALU_DEP_1)
	v_add_co_ci_u32_e64 v16, s4, s15, v8, s4
	v_cmp_gt_u64_e64 s4, s[12:13], v[15:16]
	s_delay_alu instid0(VALU_DEP_1)
	s_and_saveexec_b32 s20, s4
	s_cbranch_execnz .LBB301_15
; %bb.11:                               ;   in Loop: Header=BB301_4 Depth=1
	s_or_b32 exec_lo, exec_lo, s20
	s_and_saveexec_b32 s5, vcc_lo
	s_cbranch_execnz .LBB301_16
.LBB301_12:                             ;   in Loop: Header=BB301_4 Depth=1
	s_or_b32 exec_lo, exec_lo, s5
	s_and_saveexec_b32 s5, s2
	s_cbranch_execnz .LBB301_17
.LBB301_13:                             ;   in Loop: Header=BB301_4 Depth=1
	s_or_b32 exec_lo, exec_lo, s5
	s_and_saveexec_b32 s2, s3
	s_cbranch_execnz .LBB301_18
.LBB301_14:                             ;   in Loop: Header=BB301_4 Depth=1
	s_or_b32 exec_lo, exec_lo, s2
	s_and_saveexec_b32 s2, s4
	s_cbranch_execz .LBB301_3
	s_branch .LBB301_19
.LBB301_15:                             ;   in Loop: Header=BB301_4 Depth=1
	v_add_co_u32 v15, s5, v1, s18
	s_delay_alu instid0(VALU_DEP_1)
	v_add_co_ci_u32_e64 v16, s5, 0, v2, s5
	global_load_b32 v11, v[15:16], off
	s_or_b32 exec_lo, exec_lo, s20
	s_and_saveexec_b32 s5, vcc_lo
	s_cbranch_execz .LBB301_12
.LBB301_16:                             ;   in Loop: Header=BB301_4 Depth=1
	s_waitcnt vmcnt(0)
	v_mul_f32_e32 v15, 0x4b800000, v12
	v_cmp_gt_f32_e32 vcc_lo, 0x800000, v12
	s_delay_alu instid0(VALU_DEP_2) | instskip(NEXT) | instid1(VALU_DEP_1)
	v_cndmask_b32_e32 v12, v12, v15, vcc_lo
	v_rsq_f32_e32 v12, v12
	s_waitcnt_depctr 0xfff
	v_mul_f32_e32 v15, 0x45800000, v12
	s_delay_alu instid0(VALU_DEP_1)
	v_cndmask_b32_e32 v12, v12, v15, vcc_lo
	global_store_b32 v[1:2], v12, off
	s_or_b32 exec_lo, exec_lo, s5
	s_and_saveexec_b32 s5, s2
	s_cbranch_execz .LBB301_13
.LBB301_17:                             ;   in Loop: Header=BB301_4 Depth=1
	s_waitcnt vmcnt(0)
	v_mul_f32_e32 v12, 0x4b800000, v13
	v_cmp_gt_f32_e32 vcc_lo, 0x800000, v13
	s_delay_alu instid0(VALU_DEP_2) | instskip(NEXT) | instid1(VALU_DEP_1)
	v_cndmask_b32_e32 v12, v13, v12, vcc_lo
	v_rsq_f32_e32 v12, v12
	s_waitcnt_depctr 0xfff
	v_mul_f32_e32 v13, 0x45800000, v12
	s_delay_alu instid0(VALU_DEP_1)
	v_cndmask_b32_e32 v12, v12, v13, vcc_lo
	global_store_b32 v[3:4], v12, off
	s_or_b32 exec_lo, exec_lo, s5
	s_and_saveexec_b32 s2, s3
	s_cbranch_execz .LBB301_14
.LBB301_18:                             ;   in Loop: Header=BB301_4 Depth=1
	s_waitcnt vmcnt(0)
	v_mul_f32_e32 v12, 0x4b800000, v14
	v_cmp_gt_f32_e32 vcc_lo, 0x800000, v14
	s_delay_alu instid0(VALU_DEP_2) | instskip(NEXT) | instid1(VALU_DEP_1)
	v_cndmask_b32_e32 v12, v14, v12, vcc_lo
	v_rsq_f32_e32 v12, v12
	s_waitcnt_depctr 0xfff
	v_mul_f32_e32 v13, 0x45800000, v12
	s_delay_alu instid0(VALU_DEP_1)
	v_cndmask_b32_e32 v14, v12, v13, vcc_lo
	v_add_co_u32 v12, vcc_lo, v1, s19
	v_add_co_ci_u32_e32 v13, vcc_lo, 0, v2, vcc_lo
	global_store_b32 v[12:13], v14, off
	s_or_b32 exec_lo, exec_lo, s2
	s_and_saveexec_b32 s2, s4
	s_cbranch_execz .LBB301_3
.LBB301_19:                             ;   in Loop: Header=BB301_4 Depth=1
	s_waitcnt vmcnt(0)
	v_mul_f32_e32 v12, 0x4b800000, v11
	v_cmp_gt_f32_e32 vcc_lo, 0x800000, v11
	s_delay_alu instid0(VALU_DEP_2) | instskip(NEXT) | instid1(VALU_DEP_1)
	v_cndmask_b32_e32 v11, v11, v12, vcc_lo
	v_rsq_f32_e32 v11, v11
	s_waitcnt_depctr 0xfff
	v_mul_f32_e32 v12, 0x45800000, v11
	s_delay_alu instid0(VALU_DEP_1)
	v_cndmask_b32_e32 v13, v11, v12, vcc_lo
	v_add_co_u32 v11, vcc_lo, v1, s18
	v_add_co_ci_u32_e32 v12, vcc_lo, 0, v2, vcc_lo
	global_store_b32 v[11:12], v13, off
	s_branch .LBB301_3
.LBB301_20:
	s_cbranch_execz .LBB301_22
	s_branch .LBB301_25
.LBB301_21:
.LBB301_22:
	v_dual_mov_b32 v2, 0 :: v_dual_lshlrev_b32 v1, 2, v0
	s_mov_b32 s5, 0
	s_mov_b32 s2, exec_lo
	s_delay_alu instid0(VALU_DEP_1)
	v_cmpx_gt_i64_e64 s[6:7], v[1:2]
	s_cbranch_execz .LBB301_25
; %bb.23:
	s_load_b32 s0, s[0:1], 0xd3c
	v_lshlrev_b32_e32 v1, 4, v0
	s_waitcnt lgkmcnt(0)
	s_and_b32 s0, s0, 0xffff
	s_delay_alu instid0(SALU_CYCLE_1) | instskip(SKIP_3) | instid1(VALU_DEP_1)
	s_lshl_b32 s12, s0, 2
	s_add_u32 s1, s8, s10
	s_addc_u32 s2, s9, s11
	v_add_co_u32 v3, s1, s1, v1
	v_add_co_ci_u32_e64 v4, null, s2, 0, s1
	v_add_lshl_u32 v1, v0, s0, 2
	s_delay_alu instid0(VALU_DEP_3) | instskip(NEXT) | instid1(VALU_DEP_3)
	v_add_co_u32 v3, vcc_lo, v3, 8
	v_add_co_ci_u32_e32 v4, vcc_lo, 0, v4, vcc_lo
	s_lshl_b32 s8, s0, 4
.LBB301_24:                             ; =>This Inner Loop Header: Depth=1
	global_load_b128 v[5:8], v[3:4], off offset:-8
	v_cmp_le_i64_e64 s3, s[6:7], v[1:2]
	v_cmp_lt_u64_e64 s4, 0xffff, v[1:2]
	s_waitcnt vmcnt(0)
	v_dual_mul_f32 v0, 0x4b800000, v5 :: v_dual_mul_f32 v9, 0x4b800000, v6
	v_dual_mul_f32 v10, 0x4b800000, v7 :: v_dual_mul_f32 v11, 0x4b800000, v8
	v_cmp_gt_f32_e32 vcc_lo, 0x800000, v5
	v_cmp_gt_f32_e64 s0, 0x800000, v6
	v_cmp_gt_f32_e64 s1, 0x800000, v7
	;; [unrolled: 1-line block ×3, first 2 shown]
	v_cndmask_b32_e32 v0, v5, v0, vcc_lo
	s_delay_alu instid0(VALU_DEP_4) | instskip(NEXT) | instid1(VALU_DEP_4)
	v_cndmask_b32_e64 v5, v6, v9, s0
	v_cndmask_b32_e64 v6, v7, v10, s1
	s_delay_alu instid0(VALU_DEP_4) | instskip(NEXT) | instid1(VALU_DEP_3)
	v_cndmask_b32_e64 v7, v8, v11, s2
	v_rsq_f32_e32 v8, v5
	s_delay_alu instid0(VALU_DEP_2) | instskip(NEXT) | instid1(VALU_DEP_1)
	v_rsq_f32_e32 v9, v6
	v_rsq_f32_e32 v10, v7
	s_waitcnt_depctr 0xfff
	v_dual_mul_f32 v6, 0x45800000, v8 :: v_dual_mul_f32 v7, 0x45800000, v9
	v_mul_f32_e32 v11, 0x45800000, v10
	v_rsq_f32_e32 v0, v0
	s_delay_alu instid0(VALU_DEP_2) | instskip(NEXT) | instid1(VALU_DEP_3)
	v_cndmask_b32_e64 v6, v8, v6, s0
	v_cndmask_b32_e64 v7, v9, v7, s1
	s_delay_alu instid0(VALU_DEP_3) | instskip(SKIP_1) | instid1(SALU_CYCLE_1)
	v_cndmask_b32_e64 v8, v10, v11, s2
	s_or_b32 s0, s3, s4
	s_and_b32 s0, exec_lo, s0
	s_delay_alu instid0(SALU_CYCLE_1) | instskip(SKIP_2) | instid1(VALU_DEP_1)
	s_or_b32 s5, s0, s5
	s_waitcnt_depctr 0xfff
	v_mul_f32_e32 v5, 0x45800000, v0
	v_cndmask_b32_e32 v5, v0, v5, vcc_lo
	v_add_co_u32 v1, vcc_lo, v1, s12
	v_add_co_ci_u32_e32 v2, vcc_lo, 0, v2, vcc_lo
	global_store_b128 v[3:4], v[5:8], off offset:-8
	v_add_co_u32 v3, vcc_lo, v3, s8
	v_add_co_ci_u32_e32 v4, vcc_lo, 0, v4, vcc_lo
	s_and_not1_b32 exec_lo, exec_lo, s5
	s_cbranch_execnz .LBB301_24
.LBB301_25:
	s_nop 0
	s_sendmsg sendmsg(MSG_DEALLOC_VGPRS)
	s_endpgm
	.section	.rodata,"a",@progbits
	.p2align	6, 0x0
	.amdhsa_kernel _ZN2at6native12_GLOBAL__N_125multi_tensor_apply_kernelINS1_18TensorListMetadataILi1EEENS1_14UnaryOpFunctorIfLi1ELi1ELi0EEEJNS0_5RsqrtIfEEEEEvT_T0_DpT1_
		.amdhsa_group_segment_fixed_size 0
		.amdhsa_private_segment_fixed_size 0
		.amdhsa_kernarg_size 3632
		.amdhsa_user_sgpr_count 15
		.amdhsa_user_sgpr_dispatch_ptr 0
		.amdhsa_user_sgpr_queue_ptr 0
		.amdhsa_user_sgpr_kernarg_segment_ptr 1
		.amdhsa_user_sgpr_dispatch_id 0
		.amdhsa_user_sgpr_private_segment_size 0
		.amdhsa_wavefront_size32 1
		.amdhsa_uses_dynamic_stack 0
		.amdhsa_enable_private_segment 0
		.amdhsa_system_sgpr_workgroup_id_x 1
		.amdhsa_system_sgpr_workgroup_id_y 0
		.amdhsa_system_sgpr_workgroup_id_z 0
		.amdhsa_system_sgpr_workgroup_info 0
		.amdhsa_system_vgpr_workitem_id 0
		.amdhsa_next_free_vgpr 17
		.amdhsa_next_free_sgpr 21
		.amdhsa_reserve_vcc 1
		.amdhsa_float_round_mode_32 0
		.amdhsa_float_round_mode_16_64 0
		.amdhsa_float_denorm_mode_32 3
		.amdhsa_float_denorm_mode_16_64 3
		.amdhsa_dx10_clamp 1
		.amdhsa_ieee_mode 1
		.amdhsa_fp16_overflow 0
		.amdhsa_workgroup_processor_mode 1
		.amdhsa_memory_ordered 1
		.amdhsa_forward_progress 0
		.amdhsa_shared_vgpr_count 0
		.amdhsa_exception_fp_ieee_invalid_op 0
		.amdhsa_exception_fp_denorm_src 0
		.amdhsa_exception_fp_ieee_div_zero 0
		.amdhsa_exception_fp_ieee_overflow 0
		.amdhsa_exception_fp_ieee_underflow 0
		.amdhsa_exception_fp_ieee_inexact 0
		.amdhsa_exception_int_div_zero 0
	.end_amdhsa_kernel
	.section	.text._ZN2at6native12_GLOBAL__N_125multi_tensor_apply_kernelINS1_18TensorListMetadataILi1EEENS1_14UnaryOpFunctorIfLi1ELi1ELi0EEEJNS0_5RsqrtIfEEEEEvT_T0_DpT1_,"axG",@progbits,_ZN2at6native12_GLOBAL__N_125multi_tensor_apply_kernelINS1_18TensorListMetadataILi1EEENS1_14UnaryOpFunctorIfLi1ELi1ELi0EEEJNS0_5RsqrtIfEEEEEvT_T0_DpT1_,comdat
.Lfunc_end301:
	.size	_ZN2at6native12_GLOBAL__N_125multi_tensor_apply_kernelINS1_18TensorListMetadataILi1EEENS1_14UnaryOpFunctorIfLi1ELi1ELi0EEEJNS0_5RsqrtIfEEEEEvT_T0_DpT1_, .Lfunc_end301-_ZN2at6native12_GLOBAL__N_125multi_tensor_apply_kernelINS1_18TensorListMetadataILi1EEENS1_14UnaryOpFunctorIfLi1ELi1ELi0EEEJNS0_5RsqrtIfEEEEEvT_T0_DpT1_
                                        ; -- End function
	.section	.AMDGPU.csdata,"",@progbits
; Kernel info:
; codeLenInByte = 1456
; NumSgprs: 23
; NumVgprs: 17
; ScratchSize: 0
; MemoryBound: 0
; FloatMode: 240
; IeeeMode: 1
; LDSByteSize: 0 bytes/workgroup (compile time only)
; SGPRBlocks: 2
; VGPRBlocks: 2
; NumSGPRsForWavesPerEU: 23
; NumVGPRsForWavesPerEU: 17
; Occupancy: 16
; WaveLimiterHint : 0
; COMPUTE_PGM_RSRC2:SCRATCH_EN: 0
; COMPUTE_PGM_RSRC2:USER_SGPR: 15
; COMPUTE_PGM_RSRC2:TRAP_HANDLER: 0
; COMPUTE_PGM_RSRC2:TGID_X_EN: 1
; COMPUTE_PGM_RSRC2:TGID_Y_EN: 0
; COMPUTE_PGM_RSRC2:TGID_Z_EN: 0
; COMPUTE_PGM_RSRC2:TIDIG_COMP_CNT: 0
	.section	.text._ZN2at6native12_GLOBAL__N_125multi_tensor_apply_kernelINS1_18TensorListMetadataILi1EEENS1_14UnaryOpFunctorIN3c107complexIdEELi1ELi1ELi0EEEJNS0_5RsqrtIS8_EEEEEvT_T0_DpT1_,"axG",@progbits,_ZN2at6native12_GLOBAL__N_125multi_tensor_apply_kernelINS1_18TensorListMetadataILi1EEENS1_14UnaryOpFunctorIN3c107complexIdEELi1ELi1ELi0EEEJNS0_5RsqrtIS8_EEEEEvT_T0_DpT1_,comdat
	.globl	_ZN2at6native12_GLOBAL__N_125multi_tensor_apply_kernelINS1_18TensorListMetadataILi1EEENS1_14UnaryOpFunctorIN3c107complexIdEELi1ELi1ELi0EEEJNS0_5RsqrtIS8_EEEEEvT_T0_DpT1_ ; -- Begin function _ZN2at6native12_GLOBAL__N_125multi_tensor_apply_kernelINS1_18TensorListMetadataILi1EEENS1_14UnaryOpFunctorIN3c107complexIdEELi1ELi1ELi0EEEJNS0_5RsqrtIS8_EEEEEvT_T0_DpT1_
	.p2align	8
	.type	_ZN2at6native12_GLOBAL__N_125multi_tensor_apply_kernelINS1_18TensorListMetadataILi1EEENS1_14UnaryOpFunctorIN3c107complexIdEELi1ELi1ELi0EEEJNS0_5RsqrtIS8_EEEEEvT_T0_DpT1_,@function
_ZN2at6native12_GLOBAL__N_125multi_tensor_apply_kernelINS1_18TensorListMetadataILi1EEENS1_14UnaryOpFunctorIN3c107complexIdEELi1ELi1ELi0EEEJNS0_5RsqrtIS8_EEEEEvT_T0_DpT1_: ; @_ZN2at6native12_GLOBAL__N_125multi_tensor_apply_kernelINS1_18TensorListMetadataILi1EEENS1_14UnaryOpFunctorIN3c107complexIdEELi1ELi1ELi0EEEJNS0_5RsqrtIS8_EEEEEvT_T0_DpT1_
; %bb.0:
	v_mov_b32_e32 v1, s15
	s_add_u32 s2, s0, s15
	s_mul_hi_u32 s3, s15, 3
	s_mul_i32 s15, s15, 3
	s_addc_u32 s4, s1, 0
	global_load_u8 v1, v1, s[0:1] offset:1760
	s_add_u32 s2, s2, s15
	s_addc_u32 s3, s4, s3
	s_mov_b32 s7, 0
	s_load_b32 s2, s[2:3], 0x820
	s_waitcnt vmcnt(0)
	v_readfirstlane_b32 s5, v1
	s_delay_alu instid0(VALU_DEP_1)
	s_lshl_b32 s3, s5, 3
	s_clause 0x1
	s_load_b64 s[10:11], s[0:1], s3 offset:0x0
	s_load_b64 s[4:5], s[0:1], s3 offset:0x370
	s_waitcnt lgkmcnt(0)
	s_ashr_i32 s3, s2, 31
	s_delay_alu instid0(SALU_CYCLE_1) | instskip(NEXT) | instid1(SALU_CYCLE_1)
	s_lshl_b64 s[12:13], s[2:3], 20
	s_add_u32 s22, s10, s12
	s_addc_u32 s23, s11, s13
	s_lshl_b64 s[2:3], s[2:3], 16
	s_and_b32 s6, s22, 63
	s_sub_u32 s8, s4, s2
	s_subb_u32 s9, s5, s3
	s_and_b32 s2, s4, 3
	s_mov_b32 s3, s7
	s_delay_alu instid0(SALU_CYCLE_1) | instskip(NEXT) | instid1(SALU_CYCLE_1)
	s_or_b64 s[2:3], s[6:7], s[2:3]
	s_cmp_eq_u64 s[2:3], 0
	s_cbranch_scc1 .LBB302_181
; %bb.1:
	v_cmp_lt_i64_e64 s2, s[8:9], 1
	s_delay_alu instid0(VALU_DEP_1)
	s_and_b32 vcc_lo, exec_lo, s2
	s_cbranch_vccnz .LBB302_180
; %bb.2:
	s_load_b32 s2, s[0:1], 0xd3c
	v_cmp_gt_u64_e64 s3, 0x10000, s[8:9]
	v_dual_mov_b32 v24, 0 :: v_dual_lshlrev_b32 v23, 4, v0
	s_mov_b32 s14, 0x99fcef32
	s_mov_b32 s18, 0
	;; [unrolled: 1-line block ×4, first 2 shown]
	s_mov_b64 s[20:21], 0
	s_waitcnt lgkmcnt(0)
	s_and_b32 s2, s2, 0xffff
	s_and_b32 s3, s3, exec_lo
	v_add_co_u32 v29, s5, v0, s2
	v_mad_u64_u32 v[25:26], null, s2, 48, v[23:24]
	s_cselect_b32 s17, s9, 0
	s_cselect_b32 s16, s8, 0x10000
	v_add_co_ci_u32_e64 v30, null, 0, 0, s5
	s_lshl_b32 s5, s2, 5
	s_lshl_b32 s3, s2, 1
	v_add_co_u32 v1, s5, s5, v23
	s_mul_i32 s4, s2, 3
	v_add_co_u32 v35, s3, s3, v0
	v_add_co_u32 v24, s4, s4, v0
	s_delay_alu instid0(VALU_DEP_1)
	v_add_co_ci_u32_e64 v31, null, 0, 0, s4
	v_add_co_ci_u32_e64 v32, null, 0, 0, s5
	v_lshlrev_b32_e32 v33, 4, v29
	v_or_b32_e32 v34, 8, v1
	v_or_b32_e32 v25, 8, v25
	v_add_co_ci_u32_e64 v36, null, 0, 0, s3
	s_lshl_b32 s24, s2, 2
	s_lshl_b32 s25, s2, 6
	s_branch .LBB302_4
.LBB302_3:                              ;   in Loop: Header=BB302_4 Depth=1
	s_or_b32 exec_lo, exec_lo, s2
	s_add_u32 s20, s20, s24
	s_addc_u32 s21, s21, 0
	s_delay_alu instid0(SALU_CYCLE_1) | instskip(SKIP_1) | instid1(VALU_DEP_1)
	v_cmp_ge_i64_e64 s2, s[20:21], s[8:9]
	v_cmp_lt_u64_e64 s3, 0xffff, s[20:21]
	s_or_b32 s2, s2, s3
	s_add_u32 s22, s22, s25
	s_addc_u32 s23, s23, 0
	s_and_b32 vcc_lo, exec_lo, s2
	s_cbranch_vccnz .LBB302_180
.LBB302_4:                              ; =>This Inner Loop Header: Depth=1
	v_add_co_u32 v1, s2, v0, s20
	s_delay_alu instid0(VALU_DEP_1) | instskip(SKIP_2) | instid1(VALU_DEP_3)
	v_add_co_ci_u32_e64 v2, null, 0, s21, s2
	v_mov_b32_e32 v17, 0
	v_mov_b32_e32 v18, 0
	v_cmp_gt_u64_e64 s2, s[16:17], v[1:2]
	s_delay_alu instid0(VALU_DEP_2) | instskip(SKIP_1) | instid1(VALU_DEP_3)
	v_dual_mov_b32 v22, v18 :: v_dual_mov_b32 v21, v17
	v_dual_mov_b32 v20, v18 :: v_dual_mov_b32 v19, v17
	s_and_saveexec_b32 s3, s2
	s_cbranch_execz .LBB302_6
; %bb.5:                                ;   in Loop: Header=BB302_4 Depth=1
	v_add_co_u32 v1, s4, s22, v23
	s_delay_alu instid0(VALU_DEP_1)
	v_add_co_ci_u32_e64 v2, null, s23, 0, s4
	global_load_b128 v[19:22], v[1:2], off
.LBB302_6:                              ;   in Loop: Header=BB302_4 Depth=1
	s_or_b32 exec_lo, exec_lo, s3
	v_add_co_u32 v1, vcc_lo, v29, s20
	v_add_co_ci_u32_e32 v2, vcc_lo, s21, v30, vcc_lo
	v_dual_mov_b32 v15, v17 :: v_dual_mov_b32 v16, v18
	s_delay_alu instid0(VALU_DEP_2) | instskip(NEXT) | instid1(VALU_DEP_1)
	v_cmp_gt_u64_e64 s3, s[16:17], v[1:2]
	s_and_saveexec_b32 s4, s3
	s_cbranch_execz .LBB302_8
; %bb.7:                                ;   in Loop: Header=BB302_4 Depth=1
	v_add_co_u32 v1, s5, s22, v33
	s_delay_alu instid0(VALU_DEP_1)
	v_add_co_ci_u32_e64 v2, null, s23, 0, s5
	global_load_b128 v[15:18], v[1:2], off
.LBB302_8:                              ;   in Loop: Header=BB302_4 Depth=1
	s_or_b32 exec_lo, exec_lo, s4
	v_add_co_u32 v1, vcc_lo, v35, s20
	v_add_co_ci_u32_e32 v2, vcc_lo, s21, v36, vcc_lo
	v_mov_b32_e32 v3, 0
	v_mov_b32_e32 v4, 0
	s_delay_alu instid0(VALU_DEP_3) | instskip(NEXT) | instid1(VALU_DEP_2)
	v_cmp_gt_u64_e64 s4, s[16:17], v[1:2]
	v_dual_mov_b32 v12, v4 :: v_dual_mov_b32 v11, v3
	v_dual_mov_b32 v10, v4 :: v_dual_mov_b32 v9, v3
	s_delay_alu instid0(VALU_DEP_3)
	s_and_saveexec_b32 s5, s4
	s_cbranch_execz .LBB302_10
; %bb.9:                                ;   in Loop: Header=BB302_4 Depth=1
	v_add_co_u32 v1, vcc_lo, s22, v34
	v_add_co_ci_u32_e32 v2, vcc_lo, s23, v32, vcc_lo
	global_load_b128 v[9:12], v[1:2], off offset:-8
.LBB302_10:                             ;   in Loop: Header=BB302_4 Depth=1
	s_or_b32 exec_lo, exec_lo, s5
	v_add_co_u32 v1, vcc_lo, v24, s20
	v_add_co_ci_u32_e32 v2, vcc_lo, s21, v31, vcc_lo
	s_delay_alu instid0(VALU_DEP_1) | instskip(SKIP_1) | instid1(VALU_DEP_2)
	v_cmp_gt_u64_e64 s5, s[16:17], v[1:2]
	v_dual_mov_b32 v1, v3 :: v_dual_mov_b32 v2, v4
	s_and_saveexec_b32 s6, s5
	s_cbranch_execz .LBB302_12
; %bb.11:                               ;   in Loop: Header=BB302_4 Depth=1
	v_add_co_u32 v1, vcc_lo, s22, v25
	v_add_co_ci_u32_e32 v2, vcc_lo, s23, v26, vcc_lo
	global_load_b128 v[1:4], v[1:2], off offset:-8
.LBB302_12:                             ;   in Loop: Header=BB302_4 Depth=1
	s_or_b32 exec_lo, exec_lo, s6
	s_waitcnt vmcnt(0)
	v_cmp_neq_f64_e32 vcc_lo, 0, v[19:20]
	v_cmp_neq_f64_e64 s6, 0, v[21:22]
	v_mov_b32_e32 v13, 0
	v_mov_b32_e32 v14, 0
	s_delay_alu instid0(VALU_DEP_3) | instskip(NEXT) | instid1(SALU_CYCLE_1)
	s_or_b32 s6, vcc_lo, s6
	s_and_saveexec_b32 s26, s6
	s_cbranch_execz .LBB302_38
; %bb.13:                               ;   in Loop: Header=BB302_4 Depth=1
	v_mov_b32_e32 v13, s18
	v_mov_b32_e32 v14, s19
	s_mov_b32 s27, exec_lo
	v_cmpx_neq_f64_e64 0x7ff00000, |v[21:22]|
	s_cbranch_execz .LBB302_37
; %bb.14:                               ;   in Loop: Header=BB302_4 Depth=1
	s_mov_b32 s6, exec_lo
	v_cmpx_o_f64_e32 v[19:20], v[19:20]
	s_xor_b32 s28, exec_lo, s6
	s_cbranch_execz .LBB302_34
; %bb.15:                               ;   in Loop: Header=BB302_4 Depth=1
	s_mov_b32 s7, exec_lo
	v_cmpx_neq_f64_e64 0x7ff00000, |v[19:20]|
	s_xor_b32 s29, exec_lo, s7
	s_cbranch_execz .LBB302_28
; %bb.16:                               ;   in Loop: Header=BB302_4 Depth=1
	v_max_f64 v[5:6], |v[19:20]|, |v[19:20]|
	v_max_f64 v[7:8], |v[21:22]|, |v[21:22]|
                                        ; implicit-def: $sgpr30
	s_delay_alu instid0(VALU_DEP_1) | instskip(NEXT) | instid1(VALU_DEP_1)
	v_max_f64 v[5:6], v[7:8], v[5:6]
	v_cmp_nle_f64_e64 s6, s[14:15], v[5:6]
	s_delay_alu instid0(VALU_DEP_1) | instskip(NEXT) | instid1(SALU_CYCLE_1)
	s_and_saveexec_b32 s7, s6
	s_xor_b32 s7, exec_lo, s7
	s_cbranch_execz .LBB302_20
; %bb.17:                               ;   in Loop: Header=BB302_4 Depth=1
	v_cmp_ge_f64_e64 s30, 0x200000, |v[19:20]|
	v_cmp_ge_f64_e64 s31, 0x200000, |v[21:22]|
	s_delay_alu instid0(VALU_DEP_1)
	s_and_b32 s33, s31, s30
	s_mov_b32 s30, 0
	s_and_saveexec_b32 s31, s33
; %bb.18:                               ;   in Loop: Header=BB302_4 Depth=1
	v_mul_f64 v[19:20], v[19:20], 4.0
	v_mul_f64 v[21:22], v[21:22], 4.0
	s_mov_b32 s30, exec_lo
; %bb.19:                               ;   in Loop: Header=BB302_4 Depth=1
	s_or_b32 exec_lo, exec_lo, s31
	s_delay_alu instid0(SALU_CYCLE_1)
	s_and_b32 s30, s30, exec_lo
.LBB302_20:                             ;   in Loop: Header=BB302_4 Depth=1
	s_and_not1_saveexec_b32 s7, s7
; %bb.21:                               ;   in Loop: Header=BB302_4 Depth=1
	s_delay_alu instid0(VALU_DEP_2) | instskip(NEXT) | instid1(VALU_DEP_2)
	v_ldexp_f64 v[19:20], v[19:20], -2
	v_ldexp_f64 v[21:22], v[21:22], -2
	s_and_not1_b32 s30, s30, exec_lo
; %bb.22:                               ;   in Loop: Header=BB302_4 Depth=1
	s_or_b32 exec_lo, exec_lo, s7
	s_delay_alu instid0(VALU_DEP_1) | instskip(NEXT) | instid1(VALU_DEP_3)
	v_max_f64 v[5:6], |v[21:22]|, |v[21:22]|
	v_max_f64 v[7:8], |v[19:20]|, |v[19:20]|
	v_cmp_class_f64_e64 s31, v[19:20], 0x204
	v_cmp_class_f64_e64 s33, v[21:22], 0x204
	v_cmp_le_f64_e64 s7, 0, v[19:20]
	s_delay_alu instid0(VALU_DEP_4) | instskip(NEXT) | instid1(VALU_DEP_3)
	v_max_f64 v[5:6], v[7:8], v[5:6]
	s_or_b32 s31, s33, s31
	s_delay_alu instid0(VALU_DEP_1) | instskip(NEXT) | instid1(VALU_DEP_1)
	v_frexp_exp_i32_f64_e32 v37, v[5:6]
	v_sub_nc_u32_e32 v7, 0, v37
	s_delay_alu instid0(VALU_DEP_1) | instskip(SKIP_1) | instid1(VALU_DEP_2)
	v_ldexp_f64 v[5:6], |v[21:22]|, v7
	v_ldexp_f64 v[7:8], |v[19:20]|, v7
	v_mul_f64 v[5:6], v[5:6], v[5:6]
	s_delay_alu instid0(VALU_DEP_1) | instskip(NEXT) | instid1(VALU_DEP_1)
	v_fma_f64 v[5:6], v[7:8], v[7:8], v[5:6]
	v_rsq_f64_e32 v[7:8], v[5:6]
	v_cmp_eq_f64_e32 vcc_lo, 0, v[5:6]
	s_waitcnt_depctr 0xfff
	v_mul_f64 v[13:14], v[5:6], v[7:8]
	v_mul_f64 v[7:8], v[7:8], 0.5
	s_delay_alu instid0(VALU_DEP_1) | instskip(NEXT) | instid1(VALU_DEP_1)
	v_fma_f64 v[27:28], -v[7:8], v[13:14], 0.5
	v_fma_f64 v[13:14], v[13:14], v[27:28], v[13:14]
	v_fma_f64 v[7:8], v[7:8], v[27:28], v[7:8]
	s_delay_alu instid0(VALU_DEP_2) | instskip(NEXT) | instid1(VALU_DEP_1)
	v_fma_f64 v[27:28], -v[13:14], v[13:14], v[5:6]
	v_fma_f64 v[7:8], v[27:28], v[7:8], v[13:14]
	s_delay_alu instid0(VALU_DEP_1) | instskip(SKIP_1) | instid1(VALU_DEP_2)
	v_dual_cndmask_b32 v6, v8, v6 :: v_dual_cndmask_b32 v5, v7, v5
	v_cmp_o_f64_e32 vcc_lo, v[21:22], v[21:22]
	v_ldexp_f64 v[5:6], v[5:6], v37
	s_delay_alu instid0(VALU_DEP_1) | instskip(NEXT) | instid1(VALU_DEP_2)
	v_cndmask_b32_e32 v5, 0, v5, vcc_lo
	v_cndmask_b32_e32 v6, 0x7ff80000, v6, vcc_lo
	s_delay_alu instid0(VALU_DEP_2) | instskip(NEXT) | instid1(VALU_DEP_2)
	v_cndmask_b32_e64 v5, v5, 0, s31
	v_cndmask_b32_e64 v6, v6, 0x7ff00000, s31
	s_and_saveexec_b32 s31, s7
	s_delay_alu instid0(SALU_CYCLE_1)
	s_xor_b32 s7, exec_lo, s31
	s_cbranch_execnz .LBB302_160
; %bb.23:                               ;   in Loop: Header=BB302_4 Depth=1
	s_and_not1_saveexec_b32 s7, s7
	s_cbranch_execnz .LBB302_161
.LBB302_24:                             ;   in Loop: Header=BB302_4 Depth=1
	s_or_b32 exec_lo, exec_lo, s7
	s_and_saveexec_b32 s7, s6
	s_delay_alu instid0(SALU_CYCLE_1)
	s_xor_b32 s6, exec_lo, s7
	s_cbranch_execnz .LBB302_162
.LBB302_25:                             ;   in Loop: Header=BB302_4 Depth=1
	s_and_not1_saveexec_b32 s6, s6
.LBB302_26:                             ;   in Loop: Header=BB302_4 Depth=1
	s_delay_alu instid0(VALU_DEP_2) | instskip(NEXT) | instid1(VALU_DEP_2)
	v_add_f64 v[19:20], v[19:20], v[19:20]
	v_add_f64 v[21:22], v[21:22], v[21:22]
.LBB302_27:                             ;   in Loop: Header=BB302_4 Depth=1
	s_or_b32 exec_lo, exec_lo, s6
.LBB302_28:                             ;   in Loop: Header=BB302_4 Depth=1
	s_and_not1_saveexec_b32 s6, s29
	s_cbranch_execz .LBB302_159
; %bb.29:                               ;   in Loop: Header=BB302_4 Depth=1
	s_delay_alu instid0(VALU_DEP_1) | instskip(SKIP_1) | instid1(VALU_DEP_3)
	v_add_f64 v[5:6], v[21:22], -v[21:22]
	s_mov_b32 s7, exec_lo
	v_cmpx_lt_i64_e32 -1, v[19:20]
	s_xor_b32 s7, exec_lo, s7
; %bb.30:                               ;   in Loop: Header=BB302_4 Depth=1
	s_delay_alu instid0(VALU_DEP_2) | instskip(NEXT) | instid1(VALU_DEP_1)
	v_bfi_b32 v6, 0x7fffffff, v6, v22
	v_dual_mov_b32 v22, v6 :: v_dual_mov_b32 v21, v5
                                        ; implicit-def: $vgpr5_vgpr6
; %bb.31:                               ;   in Loop: Header=BB302_4 Depth=1
	s_and_not1_saveexec_b32 s7, s7
; %bb.32:                               ;   in Loop: Header=BB302_4 Depth=1
	s_delay_alu instid0(VALU_DEP_1) | instskip(SKIP_1) | instid1(VALU_DEP_2)
	v_bfi_b32 v20, 0x7fffffff, v20, v22
	v_and_b32_e32 v6, 0x7fffffff, v6
	v_dual_mov_b32 v22, v20 :: v_dual_mov_b32 v21, v19
	s_delay_alu instid0(VALU_DEP_2)
	v_dual_mov_b32 v20, v6 :: v_dual_mov_b32 v19, v5
; %bb.33:                               ;   in Loop: Header=BB302_4 Depth=1
	s_or_b32 exec_lo, exec_lo, s7
	s_delay_alu instid0(SALU_CYCLE_1)
	s_or_b32 exec_lo, exec_lo, s6
.LBB302_34:                             ;   in Loop: Header=BB302_4 Depth=1
	s_and_not1_saveexec_b32 s6, s28
.LBB302_35:                             ;   in Loop: Header=BB302_4 Depth=1
	s_delay_alu instid0(VALU_DEP_1) | instskip(NEXT) | instid1(VALU_DEP_1)
	v_add_f64 v[5:6], v[21:22], -v[21:22]
	v_div_scale_f64 v[7:8], vcc_lo, v[5:6], v[5:6], v[5:6]
	s_delay_alu instid0(VALU_DEP_1) | instskip(SKIP_2) | instid1(VALU_DEP_1)
	v_rcp_f64_e32 v[13:14], v[7:8]
	s_waitcnt_depctr 0xfff
	v_fma_f64 v[21:22], -v[7:8], v[13:14], 1.0
	v_fma_f64 v[13:14], v[13:14], v[21:22], v[13:14]
	s_delay_alu instid0(VALU_DEP_1) | instskip(NEXT) | instid1(VALU_DEP_1)
	v_fma_f64 v[21:22], -v[7:8], v[13:14], 1.0
	v_fma_f64 v[13:14], v[13:14], v[21:22], v[13:14]
	s_delay_alu instid0(VALU_DEP_1) | instskip(NEXT) | instid1(VALU_DEP_1)
	v_mul_f64 v[21:22], v[7:8], v[13:14]
	v_fma_f64 v[7:8], -v[7:8], v[21:22], v[7:8]
	s_delay_alu instid0(VALU_DEP_1) | instskip(NEXT) | instid1(VALU_DEP_1)
	v_div_fmas_f64 v[7:8], v[7:8], v[13:14], v[21:22]
	v_div_fixup_f64 v[21:22], v[7:8], v[5:6], v[5:6]
.LBB302_36:                             ;   in Loop: Header=BB302_4 Depth=1
	s_or_b32 exec_lo, exec_lo, s6
	s_delay_alu instid0(VALU_DEP_2)
	v_dual_mov_b32 v13, v19 :: v_dual_mov_b32 v14, v20
.LBB302_37:                             ;   in Loop: Header=BB302_4 Depth=1
	s_or_b32 exec_lo, exec_lo, s27
.LBB302_38:                             ;   in Loop: Header=BB302_4 Depth=1
	s_delay_alu instid0(SALU_CYCLE_1) | instskip(NEXT) | instid1(VALU_DEP_1)
	s_or_b32 exec_lo, exec_lo, s26
	v_cmp_gt_f64_e32 vcc_lo, 0, v[13:14]
	s_delay_alu instid0(VALU_DEP_3) | instskip(SKIP_2) | instid1(VALU_DEP_2)
	v_cmp_gt_f64_e64 s6, 0, v[21:22]
	v_xor_b32_e32 v5, 0x80000000, v14
	v_xor_b32_e32 v6, 0x80000000, v22
                                        ; implicit-def: $vgpr7_vgpr8
	v_cndmask_b32_e32 v20, v14, v5, vcc_lo
	s_delay_alu instid0(VALU_DEP_2) | instskip(SKIP_3) | instid1(VALU_DEP_1)
	v_cndmask_b32_e64 v28, v22, v6, s6
	v_cndmask_b32_e32 v19, v13, v13, vcc_lo
	v_cndmask_b32_e64 v27, v21, v21, s6
	s_mov_b32 s6, exec_lo
	v_cmpx_ge_f64_e32 v[19:20], v[27:28]
	s_xor_b32 s7, exec_lo, s6
	s_cbranch_execz .LBB302_44
; %bb.39:                               ;   in Loop: Header=BB302_4 Depth=1
	v_cmp_neq_f64_e32 vcc_lo, 0, v[13:14]
	v_cmp_neq_f64_e64 s6, 0, v[21:22]
                                        ; implicit-def: $vgpr7_vgpr8
	s_delay_alu instid0(VALU_DEP_1) | instskip(NEXT) | instid1(SALU_CYCLE_1)
	s_or_b32 s6, vcc_lo, s6
	s_and_saveexec_b32 s26, s6
	s_delay_alu instid0(SALU_CYCLE_1)
	s_xor_b32 s6, exec_lo, s26
	s_cbranch_execz .LBB302_41
; %bb.40:                               ;   in Loop: Header=BB302_4 Depth=1
	v_div_scale_f64 v[5:6], null, v[13:14], v[13:14], v[21:22]
	v_div_scale_f64 v[27:28], vcc_lo, v[21:22], v[13:14], v[21:22]
	s_delay_alu instid0(VALU_DEP_2) | instskip(SKIP_2) | instid1(VALU_DEP_1)
	v_rcp_f64_e32 v[7:8], v[5:6]
	s_waitcnt_depctr 0xfff
	v_fma_f64 v[19:20], -v[5:6], v[7:8], 1.0
	v_fma_f64 v[7:8], v[7:8], v[19:20], v[7:8]
	s_delay_alu instid0(VALU_DEP_1) | instskip(NEXT) | instid1(VALU_DEP_1)
	v_fma_f64 v[19:20], -v[5:6], v[7:8], 1.0
	v_fma_f64 v[7:8], v[7:8], v[19:20], v[7:8]
	s_delay_alu instid0(VALU_DEP_1) | instskip(NEXT) | instid1(VALU_DEP_1)
	v_mul_f64 v[19:20], v[27:28], v[7:8]
	v_fma_f64 v[5:6], -v[5:6], v[19:20], v[27:28]
	s_delay_alu instid0(VALU_DEP_1) | instskip(NEXT) | instid1(VALU_DEP_1)
	v_div_fmas_f64 v[5:6], v[5:6], v[7:8], v[19:20]
	v_div_fixup_f64 v[5:6], v[5:6], v[13:14], v[21:22]
	s_delay_alu instid0(VALU_DEP_1) | instskip(NEXT) | instid1(VALU_DEP_1)
	v_fma_f64 v[7:8], v[21:22], v[5:6], v[13:14]
	v_div_scale_f64 v[13:14], null, v[7:8], v[7:8], 1.0
	v_div_scale_f64 v[27:28], vcc_lo, 1.0, v[7:8], 1.0
	s_delay_alu instid0(VALU_DEP_2) | instskip(SKIP_2) | instid1(VALU_DEP_1)
	v_rcp_f64_e32 v[19:20], v[13:14]
	s_waitcnt_depctr 0xfff
	v_fma_f64 v[21:22], -v[13:14], v[19:20], 1.0
	v_fma_f64 v[19:20], v[19:20], v[21:22], v[19:20]
	s_delay_alu instid0(VALU_DEP_1) | instskip(NEXT) | instid1(VALU_DEP_1)
	v_fma_f64 v[21:22], -v[13:14], v[19:20], 1.0
	v_fma_f64 v[19:20], v[19:20], v[21:22], v[19:20]
	s_delay_alu instid0(VALU_DEP_1) | instskip(NEXT) | instid1(VALU_DEP_1)
	v_mul_f64 v[21:22], v[27:28], v[19:20]
	v_fma_f64 v[13:14], -v[13:14], v[21:22], v[27:28]
                                        ; implicit-def: $vgpr27_vgpr28
	s_delay_alu instid0(VALU_DEP_1) | instskip(SKIP_1) | instid1(VALU_DEP_2)
	v_div_fmas_f64 v[13:14], v[13:14], v[19:20], v[21:22]
	v_fma_f64 v[19:20], v[5:6], 0, 1.0
	v_div_fixup_f64 v[7:8], v[13:14], v[7:8], 1.0
	v_add_f64 v[13:14], -v[5:6], 0
	s_delay_alu instid0(VALU_DEP_2) | instskip(NEXT) | instid1(VALU_DEP_2)
	v_mul_f64 v[5:6], v[19:20], v[7:8]
	v_mul_f64 v[7:8], v[13:14], v[7:8]
                                        ; implicit-def: $vgpr19_vgpr20
.LBB302_41:                             ;   in Loop: Header=BB302_4 Depth=1
	s_and_not1_saveexec_b32 s26, s6
	s_cbranch_execz .LBB302_43
; %bb.42:                               ;   in Loop: Header=BB302_4 Depth=1
	v_div_scale_f64 v[5:6], null, v[19:20], v[19:20], 1.0
	v_div_scale_f64 v[7:8], null, v[27:28], v[27:28], 0
	v_div_scale_f64 v[41:42], vcc_lo, 1.0, v[19:20], 1.0
	s_delay_alu instid0(VALU_DEP_3) | instskip(NEXT) | instid1(VALU_DEP_2)
	v_rcp_f64_e32 v[13:14], v[5:6]
	v_rcp_f64_e32 v[21:22], v[7:8]
	s_waitcnt_depctr 0xfff
	v_fma_f64 v[37:38], -v[5:6], v[13:14], 1.0
	v_fma_f64 v[39:40], -v[7:8], v[21:22], 1.0
	s_delay_alu instid0(VALU_DEP_2) | instskip(NEXT) | instid1(VALU_DEP_2)
	v_fma_f64 v[13:14], v[13:14], v[37:38], v[13:14]
	v_fma_f64 v[21:22], v[21:22], v[39:40], v[21:22]
	s_delay_alu instid0(VALU_DEP_2) | instskip(NEXT) | instid1(VALU_DEP_2)
	v_fma_f64 v[37:38], -v[5:6], v[13:14], 1.0
	v_fma_f64 v[39:40], -v[7:8], v[21:22], 1.0
	s_delay_alu instid0(VALU_DEP_2) | instskip(SKIP_1) | instid1(VALU_DEP_3)
	v_fma_f64 v[13:14], v[13:14], v[37:38], v[13:14]
	v_div_scale_f64 v[37:38], s6, 0, v[27:28], 0
	v_fma_f64 v[21:22], v[21:22], v[39:40], v[21:22]
	s_delay_alu instid0(VALU_DEP_3) | instskip(NEXT) | instid1(VALU_DEP_2)
	v_mul_f64 v[39:40], v[41:42], v[13:14]
	v_mul_f64 v[43:44], v[37:38], v[21:22]
	s_delay_alu instid0(VALU_DEP_2) | instskip(NEXT) | instid1(VALU_DEP_2)
	v_fma_f64 v[5:6], -v[5:6], v[39:40], v[41:42]
	v_fma_f64 v[7:8], -v[7:8], v[43:44], v[37:38]
	s_delay_alu instid0(VALU_DEP_2) | instskip(SKIP_1) | instid1(VALU_DEP_2)
	v_div_fmas_f64 v[5:6], v[5:6], v[13:14], v[39:40]
	s_mov_b32 vcc_lo, s6
	v_div_fmas_f64 v[7:8], v[7:8], v[21:22], v[43:44]
	s_delay_alu instid0(VALU_DEP_2) | instskip(NEXT) | instid1(VALU_DEP_2)
	v_div_fixup_f64 v[5:6], v[5:6], v[19:20], 1.0
	v_div_fixup_f64 v[7:8], v[7:8], v[27:28], 0
.LBB302_43:                             ;   in Loop: Header=BB302_4 Depth=1
	s_or_b32 exec_lo, exec_lo, s26
                                        ; implicit-def: $vgpr21_vgpr22
                                        ; implicit-def: $vgpr13_vgpr14
.LBB302_44:                             ;   in Loop: Header=BB302_4 Depth=1
	s_and_not1_saveexec_b32 s6, s7
	s_cbranch_execz .LBB302_46
; %bb.45:                               ;   in Loop: Header=BB302_4 Depth=1
	v_div_scale_f64 v[5:6], null, v[21:22], v[21:22], v[13:14]
	v_div_scale_f64 v[27:28], vcc_lo, v[13:14], v[21:22], v[13:14]
	s_delay_alu instid0(VALU_DEP_2) | instskip(SKIP_2) | instid1(VALU_DEP_1)
	v_rcp_f64_e32 v[7:8], v[5:6]
	s_waitcnt_depctr 0xfff
	v_fma_f64 v[19:20], -v[5:6], v[7:8], 1.0
	v_fma_f64 v[7:8], v[7:8], v[19:20], v[7:8]
	s_delay_alu instid0(VALU_DEP_1) | instskip(NEXT) | instid1(VALU_DEP_1)
	v_fma_f64 v[19:20], -v[5:6], v[7:8], 1.0
	v_fma_f64 v[7:8], v[7:8], v[19:20], v[7:8]
	s_delay_alu instid0(VALU_DEP_1) | instskip(NEXT) | instid1(VALU_DEP_1)
	v_mul_f64 v[19:20], v[27:28], v[7:8]
	v_fma_f64 v[5:6], -v[5:6], v[19:20], v[27:28]
	s_delay_alu instid0(VALU_DEP_1) | instskip(NEXT) | instid1(VALU_DEP_1)
	v_div_fmas_f64 v[5:6], v[5:6], v[7:8], v[19:20]
	v_div_fixup_f64 v[5:6], v[5:6], v[21:22], v[13:14]
	s_delay_alu instid0(VALU_DEP_1) | instskip(NEXT) | instid1(VALU_DEP_1)
	v_fma_f64 v[7:8], v[13:14], v[5:6], v[21:22]
	v_div_scale_f64 v[13:14], null, v[7:8], v[7:8], 1.0
	v_div_scale_f64 v[27:28], vcc_lo, 1.0, v[7:8], 1.0
	s_delay_alu instid0(VALU_DEP_2) | instskip(SKIP_2) | instid1(VALU_DEP_1)
	v_rcp_f64_e32 v[19:20], v[13:14]
	s_waitcnt_depctr 0xfff
	v_fma_f64 v[21:22], -v[13:14], v[19:20], 1.0
	v_fma_f64 v[19:20], v[19:20], v[21:22], v[19:20]
	s_delay_alu instid0(VALU_DEP_1) | instskip(NEXT) | instid1(VALU_DEP_1)
	v_fma_f64 v[21:22], -v[13:14], v[19:20], 1.0
	v_fma_f64 v[19:20], v[19:20], v[21:22], v[19:20]
	s_delay_alu instid0(VALU_DEP_1) | instskip(NEXT) | instid1(VALU_DEP_1)
	v_mul_f64 v[21:22], v[27:28], v[19:20]
	v_fma_f64 v[13:14], -v[13:14], v[21:22], v[27:28]
	s_delay_alu instid0(VALU_DEP_1) | instskip(SKIP_1) | instid1(VALU_DEP_2)
	v_div_fmas_f64 v[13:14], v[13:14], v[19:20], v[21:22]
	v_add_f64 v[19:20], v[5:6], 0
	v_div_fixup_f64 v[7:8], v[13:14], v[7:8], 1.0
	v_fma_f64 v[13:14], v[5:6], 0, -1.0
	s_delay_alu instid0(VALU_DEP_2) | instskip(NEXT) | instid1(VALU_DEP_2)
	v_mul_f64 v[5:6], v[19:20], v[7:8]
	v_mul_f64 v[7:8], v[13:14], v[7:8]
.LBB302_46:                             ;   in Loop: Header=BB302_4 Depth=1
	s_or_b32 exec_lo, exec_lo, s6
	v_cmp_neq_f64_e32 vcc_lo, 0, v[15:16]
	v_cmp_neq_f64_e64 s6, 0, v[17:18]
	v_mov_b32_e32 v19, 0
	v_mov_b32_e32 v20, 0
	s_delay_alu instid0(VALU_DEP_3) | instskip(NEXT) | instid1(SALU_CYCLE_1)
	s_or_b32 s6, vcc_lo, s6
	s_and_saveexec_b32 s26, s6
	s_cbranch_execz .LBB302_73
; %bb.47:                               ;   in Loop: Header=BB302_4 Depth=1
	v_mov_b32_e32 v19, s18
	v_mov_b32_e32 v20, s19
	s_mov_b32 s27, exec_lo
	v_cmpx_neq_f64_e64 0x7ff00000, |v[17:18]|
	s_cbranch_execz .LBB302_72
; %bb.48:                               ;   in Loop: Header=BB302_4 Depth=1
	s_mov_b32 s6, exec_lo
	v_cmpx_o_f64_e32 v[15:16], v[15:16]
	s_xor_b32 s28, exec_lo, s6
	s_cbranch_execz .LBB302_69
; %bb.49:                               ;   in Loop: Header=BB302_4 Depth=1
	s_mov_b32 s7, exec_lo
	v_cmpx_neq_f64_e64 0x7ff00000, |v[15:16]|
	s_xor_b32 s29, exec_lo, s7
	s_cbranch_execz .LBB302_62
; %bb.50:                               ;   in Loop: Header=BB302_4 Depth=1
	v_max_f64 v[13:14], |v[15:16]|, |v[15:16]|
	v_max_f64 v[19:20], |v[17:18]|, |v[17:18]|
                                        ; implicit-def: $sgpr30
	s_delay_alu instid0(VALU_DEP_1) | instskip(NEXT) | instid1(VALU_DEP_1)
	v_max_f64 v[13:14], v[19:20], v[13:14]
	v_cmp_nle_f64_e64 s6, s[14:15], v[13:14]
	s_delay_alu instid0(VALU_DEP_1) | instskip(NEXT) | instid1(SALU_CYCLE_1)
	s_and_saveexec_b32 s7, s6
	s_xor_b32 s7, exec_lo, s7
	s_cbranch_execz .LBB302_54
; %bb.51:                               ;   in Loop: Header=BB302_4 Depth=1
	v_cmp_ge_f64_e64 s30, 0x200000, |v[15:16]|
	v_cmp_ge_f64_e64 s31, 0x200000, |v[17:18]|
	s_delay_alu instid0(VALU_DEP_1)
	s_and_b32 s33, s31, s30
	s_mov_b32 s30, 0
	s_and_saveexec_b32 s31, s33
; %bb.52:                               ;   in Loop: Header=BB302_4 Depth=1
	v_mul_f64 v[15:16], v[15:16], 4.0
	v_mul_f64 v[17:18], v[17:18], 4.0
	s_mov_b32 s30, exec_lo
; %bb.53:                               ;   in Loop: Header=BB302_4 Depth=1
	s_or_b32 exec_lo, exec_lo, s31
	s_delay_alu instid0(SALU_CYCLE_1)
	s_and_b32 s30, s30, exec_lo
.LBB302_54:                             ;   in Loop: Header=BB302_4 Depth=1
	s_and_not1_saveexec_b32 s7, s7
; %bb.55:                               ;   in Loop: Header=BB302_4 Depth=1
	s_delay_alu instid0(VALU_DEP_2) | instskip(NEXT) | instid1(VALU_DEP_2)
	v_ldexp_f64 v[15:16], v[15:16], -2
	v_ldexp_f64 v[17:18], v[17:18], -2
	s_and_not1_b32 s30, s30, exec_lo
; %bb.56:                               ;   in Loop: Header=BB302_4 Depth=1
	s_or_b32 exec_lo, exec_lo, s7
	s_delay_alu instid0(VALU_DEP_1) | instskip(NEXT) | instid1(VALU_DEP_3)
	v_max_f64 v[13:14], |v[17:18]|, |v[17:18]|
	v_max_f64 v[19:20], |v[15:16]|, |v[15:16]|
	v_cmp_class_f64_e64 s31, v[15:16], 0x204
	v_cmp_class_f64_e64 s33, v[17:18], 0x204
	v_cmp_le_f64_e64 s7, 0, v[15:16]
	s_delay_alu instid0(VALU_DEP_4) | instskip(NEXT) | instid1(VALU_DEP_3)
	v_max_f64 v[13:14], v[19:20], v[13:14]
	s_or_b32 s31, s33, s31
	s_delay_alu instid0(VALU_DEP_1) | instskip(NEXT) | instid1(VALU_DEP_1)
	v_frexp_exp_i32_f64_e32 v37, v[13:14]
	v_sub_nc_u32_e32 v19, 0, v37
	s_delay_alu instid0(VALU_DEP_1) | instskip(SKIP_1) | instid1(VALU_DEP_2)
	v_ldexp_f64 v[13:14], |v[17:18]|, v19
	v_ldexp_f64 v[19:20], |v[15:16]|, v19
	v_mul_f64 v[13:14], v[13:14], v[13:14]
	s_delay_alu instid0(VALU_DEP_1) | instskip(NEXT) | instid1(VALU_DEP_1)
	v_fma_f64 v[13:14], v[19:20], v[19:20], v[13:14]
	v_rsq_f64_e32 v[19:20], v[13:14]
	v_cmp_eq_f64_e32 vcc_lo, 0, v[13:14]
	s_waitcnt_depctr 0xfff
	v_mul_f64 v[21:22], v[13:14], v[19:20]
	v_mul_f64 v[19:20], v[19:20], 0.5
	s_delay_alu instid0(VALU_DEP_1) | instskip(NEXT) | instid1(VALU_DEP_1)
	v_fma_f64 v[27:28], -v[19:20], v[21:22], 0.5
	v_fma_f64 v[21:22], v[21:22], v[27:28], v[21:22]
	v_fma_f64 v[19:20], v[19:20], v[27:28], v[19:20]
	s_delay_alu instid0(VALU_DEP_2) | instskip(NEXT) | instid1(VALU_DEP_1)
	v_fma_f64 v[27:28], -v[21:22], v[21:22], v[13:14]
	v_fma_f64 v[19:20], v[27:28], v[19:20], v[21:22]
	s_delay_alu instid0(VALU_DEP_1) | instskip(SKIP_1) | instid1(VALU_DEP_2)
	v_dual_cndmask_b32 v14, v20, v14 :: v_dual_cndmask_b32 v13, v19, v13
	v_cmp_o_f64_e32 vcc_lo, v[17:18], v[17:18]
	v_ldexp_f64 v[13:14], v[13:14], v37
	s_delay_alu instid0(VALU_DEP_1) | instskip(NEXT) | instid1(VALU_DEP_2)
	v_cndmask_b32_e32 v13, 0, v13, vcc_lo
	v_cndmask_b32_e32 v14, 0x7ff80000, v14, vcc_lo
	s_delay_alu instid0(VALU_DEP_2) | instskip(NEXT) | instid1(VALU_DEP_2)
	v_cndmask_b32_e64 v13, v13, 0, s31
	v_cndmask_b32_e64 v14, v14, 0x7ff00000, s31
	s_and_saveexec_b32 s31, s7
	s_delay_alu instid0(SALU_CYCLE_1)
	s_xor_b32 s7, exec_lo, s31
	s_cbranch_execnz .LBB302_165
; %bb.57:                               ;   in Loop: Header=BB302_4 Depth=1
	s_and_not1_saveexec_b32 s7, s7
	s_cbranch_execnz .LBB302_166
.LBB302_58:                             ;   in Loop: Header=BB302_4 Depth=1
	s_or_b32 exec_lo, exec_lo, s7
	s_and_saveexec_b32 s7, s6
	s_delay_alu instid0(SALU_CYCLE_1)
	s_xor_b32 s6, exec_lo, s7
	s_cbranch_execnz .LBB302_167
.LBB302_59:                             ;   in Loop: Header=BB302_4 Depth=1
	s_and_not1_saveexec_b32 s6, s6
.LBB302_60:                             ;   in Loop: Header=BB302_4 Depth=1
	s_delay_alu instid0(VALU_DEP_2) | instskip(NEXT) | instid1(VALU_DEP_2)
	v_add_f64 v[15:16], v[15:16], v[15:16]
	v_add_f64 v[17:18], v[17:18], v[17:18]
.LBB302_61:                             ;   in Loop: Header=BB302_4 Depth=1
	s_or_b32 exec_lo, exec_lo, s6
.LBB302_62:                             ;   in Loop: Header=BB302_4 Depth=1
	s_and_not1_saveexec_b32 s6, s29
	s_cbranch_execz .LBB302_68
; %bb.63:                               ;   in Loop: Header=BB302_4 Depth=1
	s_delay_alu instid0(VALU_DEP_1) | instskip(SKIP_1) | instid1(VALU_DEP_3)
	v_add_f64 v[13:14], v[17:18], -v[17:18]
	s_mov_b32 s7, exec_lo
	v_cmpx_lt_i64_e32 -1, v[15:16]
	s_xor_b32 s7, exec_lo, s7
; %bb.64:                               ;   in Loop: Header=BB302_4 Depth=1
	s_delay_alu instid0(VALU_DEP_2) | instskip(NEXT) | instid1(VALU_DEP_1)
	v_bfi_b32 v14, 0x7fffffff, v14, v18
	v_dual_mov_b32 v18, v14 :: v_dual_mov_b32 v17, v13
                                        ; implicit-def: $vgpr13_vgpr14
; %bb.65:                               ;   in Loop: Header=BB302_4 Depth=1
	s_and_not1_saveexec_b32 s7, s7
; %bb.66:                               ;   in Loop: Header=BB302_4 Depth=1
	s_delay_alu instid0(VALU_DEP_1) | instskip(SKIP_1) | instid1(VALU_DEP_2)
	v_bfi_b32 v16, 0x7fffffff, v16, v18
	v_and_b32_e32 v14, 0x7fffffff, v14
	v_dual_mov_b32 v18, v16 :: v_dual_mov_b32 v17, v15
	s_delay_alu instid0(VALU_DEP_2)
	v_dual_mov_b32 v16, v14 :: v_dual_mov_b32 v15, v13
; %bb.67:                               ;   in Loop: Header=BB302_4 Depth=1
	s_or_b32 exec_lo, exec_lo, s7
.LBB302_68:                             ;   in Loop: Header=BB302_4 Depth=1
	s_delay_alu instid0(SALU_CYCLE_1)
	s_or_b32 exec_lo, exec_lo, s6
.LBB302_69:                             ;   in Loop: Header=BB302_4 Depth=1
	s_and_not1_saveexec_b32 s6, s28
; %bb.70:                               ;   in Loop: Header=BB302_4 Depth=1
	s_delay_alu instid0(VALU_DEP_1) | instskip(NEXT) | instid1(VALU_DEP_1)
	v_add_f64 v[13:14], v[17:18], -v[17:18]
	v_div_scale_f64 v[17:18], vcc_lo, v[13:14], v[13:14], v[13:14]
	s_delay_alu instid0(VALU_DEP_1) | instskip(SKIP_2) | instid1(VALU_DEP_1)
	v_rcp_f64_e32 v[19:20], v[17:18]
	s_waitcnt_depctr 0xfff
	v_fma_f64 v[21:22], -v[17:18], v[19:20], 1.0
	v_fma_f64 v[19:20], v[19:20], v[21:22], v[19:20]
	s_delay_alu instid0(VALU_DEP_1) | instskip(NEXT) | instid1(VALU_DEP_1)
	v_fma_f64 v[21:22], -v[17:18], v[19:20], 1.0
	v_fma_f64 v[19:20], v[19:20], v[21:22], v[19:20]
	s_delay_alu instid0(VALU_DEP_1) | instskip(NEXT) | instid1(VALU_DEP_1)
	v_mul_f64 v[21:22], v[17:18], v[19:20]
	v_fma_f64 v[17:18], -v[17:18], v[21:22], v[17:18]
	s_delay_alu instid0(VALU_DEP_1) | instskip(NEXT) | instid1(VALU_DEP_1)
	v_div_fmas_f64 v[17:18], v[17:18], v[19:20], v[21:22]
	v_div_fixup_f64 v[17:18], v[17:18], v[13:14], v[13:14]
; %bb.71:                               ;   in Loop: Header=BB302_4 Depth=1
	s_or_b32 exec_lo, exec_lo, s6
	v_dual_mov_b32 v20, v16 :: v_dual_mov_b32 v19, v15
.LBB302_72:                             ;   in Loop: Header=BB302_4 Depth=1
	s_or_b32 exec_lo, exec_lo, s27
.LBB302_73:                             ;   in Loop: Header=BB302_4 Depth=1
	s_delay_alu instid0(SALU_CYCLE_1) | instskip(NEXT) | instid1(VALU_DEP_1)
	s_or_b32 exec_lo, exec_lo, s26
	v_cmp_gt_f64_e32 vcc_lo, 0, v[19:20]
	s_delay_alu instid0(VALU_DEP_3) | instskip(SKIP_2) | instid1(VALU_DEP_2)
	v_cmp_gt_f64_e64 s6, 0, v[17:18]
	v_xor_b32_e32 v13, 0x80000000, v20
	v_xor_b32_e32 v14, 0x80000000, v18
                                        ; implicit-def: $vgpr15_vgpr16
	v_dual_cndmask_b32 v22, v20, v13 :: v_dual_cndmask_b32 v21, v19, v19
	s_delay_alu instid0(VALU_DEP_2) | instskip(SKIP_2) | instid1(VALU_DEP_1)
	v_cndmask_b32_e64 v28, v18, v14, s6
	v_cndmask_b32_e64 v27, v17, v17, s6
	s_mov_b32 s6, exec_lo
	v_cmpx_ge_f64_e32 v[21:22], v[27:28]
	s_xor_b32 s7, exec_lo, s6
	s_cbranch_execz .LBB302_79
; %bb.74:                               ;   in Loop: Header=BB302_4 Depth=1
	v_cmp_neq_f64_e32 vcc_lo, 0, v[19:20]
	v_cmp_neq_f64_e64 s6, 0, v[17:18]
                                        ; implicit-def: $vgpr15_vgpr16
	s_delay_alu instid0(VALU_DEP_1) | instskip(NEXT) | instid1(SALU_CYCLE_1)
	s_or_b32 s6, vcc_lo, s6
	s_and_saveexec_b32 s26, s6
	s_delay_alu instid0(SALU_CYCLE_1)
	s_xor_b32 s6, exec_lo, s26
	s_cbranch_execz .LBB302_76
; %bb.75:                               ;   in Loop: Header=BB302_4 Depth=1
	v_div_scale_f64 v[13:14], null, v[19:20], v[19:20], v[17:18]
	v_div_scale_f64 v[27:28], vcc_lo, v[17:18], v[19:20], v[17:18]
	s_delay_alu instid0(VALU_DEP_2) | instskip(SKIP_2) | instid1(VALU_DEP_1)
	v_rcp_f64_e32 v[15:16], v[13:14]
	s_waitcnt_depctr 0xfff
	v_fma_f64 v[21:22], -v[13:14], v[15:16], 1.0
	v_fma_f64 v[15:16], v[15:16], v[21:22], v[15:16]
	s_delay_alu instid0(VALU_DEP_1) | instskip(NEXT) | instid1(VALU_DEP_1)
	v_fma_f64 v[21:22], -v[13:14], v[15:16], 1.0
	v_fma_f64 v[15:16], v[15:16], v[21:22], v[15:16]
	s_delay_alu instid0(VALU_DEP_1) | instskip(NEXT) | instid1(VALU_DEP_1)
	v_mul_f64 v[21:22], v[27:28], v[15:16]
	v_fma_f64 v[13:14], -v[13:14], v[21:22], v[27:28]
	s_delay_alu instid0(VALU_DEP_1) | instskip(NEXT) | instid1(VALU_DEP_1)
	v_div_fmas_f64 v[13:14], v[13:14], v[15:16], v[21:22]
	v_div_fixup_f64 v[13:14], v[13:14], v[19:20], v[17:18]
	s_delay_alu instid0(VALU_DEP_1) | instskip(NEXT) | instid1(VALU_DEP_1)
	v_fma_f64 v[15:16], v[17:18], v[13:14], v[19:20]
	v_div_scale_f64 v[17:18], null, v[15:16], v[15:16], 1.0
	v_div_scale_f64 v[27:28], vcc_lo, 1.0, v[15:16], 1.0
	s_delay_alu instid0(VALU_DEP_2) | instskip(SKIP_2) | instid1(VALU_DEP_1)
	v_rcp_f64_e32 v[19:20], v[17:18]
	s_waitcnt_depctr 0xfff
	v_fma_f64 v[21:22], -v[17:18], v[19:20], 1.0
	v_fma_f64 v[19:20], v[19:20], v[21:22], v[19:20]
	s_delay_alu instid0(VALU_DEP_1) | instskip(NEXT) | instid1(VALU_DEP_1)
	v_fma_f64 v[21:22], -v[17:18], v[19:20], 1.0
	v_fma_f64 v[19:20], v[19:20], v[21:22], v[19:20]
	s_delay_alu instid0(VALU_DEP_1) | instskip(NEXT) | instid1(VALU_DEP_1)
	v_mul_f64 v[21:22], v[27:28], v[19:20]
	v_fma_f64 v[17:18], -v[17:18], v[21:22], v[27:28]
                                        ; implicit-def: $vgpr27_vgpr28
	s_delay_alu instid0(VALU_DEP_1) | instskip(SKIP_1) | instid1(VALU_DEP_2)
	v_div_fmas_f64 v[17:18], v[17:18], v[19:20], v[21:22]
	v_fma_f64 v[19:20], v[13:14], 0, 1.0
                                        ; implicit-def: $vgpr21_vgpr22
	v_div_fixup_f64 v[15:16], v[17:18], v[15:16], 1.0
	v_add_f64 v[17:18], -v[13:14], 0
	s_delay_alu instid0(VALU_DEP_2) | instskip(NEXT) | instid1(VALU_DEP_2)
	v_mul_f64 v[13:14], v[19:20], v[15:16]
	v_mul_f64 v[15:16], v[17:18], v[15:16]
.LBB302_76:                             ;   in Loop: Header=BB302_4 Depth=1
	s_and_not1_saveexec_b32 s26, s6
	s_cbranch_execz .LBB302_78
; %bb.77:                               ;   in Loop: Header=BB302_4 Depth=1
	v_div_scale_f64 v[13:14], null, v[21:22], v[21:22], 1.0
	v_div_scale_f64 v[15:16], null, v[27:28], v[27:28], 0
	v_div_scale_f64 v[41:42], vcc_lo, 1.0, v[21:22], 1.0
	s_delay_alu instid0(VALU_DEP_3) | instskip(NEXT) | instid1(VALU_DEP_2)
	v_rcp_f64_e32 v[17:18], v[13:14]
	v_rcp_f64_e32 v[19:20], v[15:16]
	s_waitcnt_depctr 0xfff
	v_fma_f64 v[37:38], -v[13:14], v[17:18], 1.0
	v_fma_f64 v[39:40], -v[15:16], v[19:20], 1.0
	s_delay_alu instid0(VALU_DEP_2) | instskip(NEXT) | instid1(VALU_DEP_2)
	v_fma_f64 v[17:18], v[17:18], v[37:38], v[17:18]
	v_fma_f64 v[19:20], v[19:20], v[39:40], v[19:20]
	s_delay_alu instid0(VALU_DEP_2) | instskip(NEXT) | instid1(VALU_DEP_2)
	v_fma_f64 v[37:38], -v[13:14], v[17:18], 1.0
	v_fma_f64 v[39:40], -v[15:16], v[19:20], 1.0
	s_delay_alu instid0(VALU_DEP_2) | instskip(SKIP_1) | instid1(VALU_DEP_3)
	v_fma_f64 v[17:18], v[17:18], v[37:38], v[17:18]
	v_div_scale_f64 v[37:38], s6, 0, v[27:28], 0
	v_fma_f64 v[19:20], v[19:20], v[39:40], v[19:20]
	s_delay_alu instid0(VALU_DEP_3) | instskip(NEXT) | instid1(VALU_DEP_2)
	v_mul_f64 v[39:40], v[41:42], v[17:18]
	v_mul_f64 v[43:44], v[37:38], v[19:20]
	s_delay_alu instid0(VALU_DEP_2) | instskip(NEXT) | instid1(VALU_DEP_2)
	v_fma_f64 v[13:14], -v[13:14], v[39:40], v[41:42]
	v_fma_f64 v[15:16], -v[15:16], v[43:44], v[37:38]
	s_delay_alu instid0(VALU_DEP_2) | instskip(SKIP_1) | instid1(VALU_DEP_2)
	v_div_fmas_f64 v[13:14], v[13:14], v[17:18], v[39:40]
	s_mov_b32 vcc_lo, s6
	v_div_fmas_f64 v[15:16], v[15:16], v[19:20], v[43:44]
	s_delay_alu instid0(VALU_DEP_2) | instskip(NEXT) | instid1(VALU_DEP_2)
	v_div_fixup_f64 v[13:14], v[13:14], v[21:22], 1.0
	v_div_fixup_f64 v[15:16], v[15:16], v[27:28], 0
.LBB302_78:                             ;   in Loop: Header=BB302_4 Depth=1
	s_or_b32 exec_lo, exec_lo, s26
                                        ; implicit-def: $vgpr17_vgpr18
                                        ; implicit-def: $vgpr19_vgpr20
.LBB302_79:                             ;   in Loop: Header=BB302_4 Depth=1
	s_and_not1_saveexec_b32 s6, s7
	s_cbranch_execz .LBB302_81
; %bb.80:                               ;   in Loop: Header=BB302_4 Depth=1
	v_div_scale_f64 v[13:14], null, v[17:18], v[17:18], v[19:20]
	v_div_scale_f64 v[27:28], vcc_lo, v[19:20], v[17:18], v[19:20]
	s_delay_alu instid0(VALU_DEP_2) | instskip(SKIP_2) | instid1(VALU_DEP_1)
	v_rcp_f64_e32 v[15:16], v[13:14]
	s_waitcnt_depctr 0xfff
	v_fma_f64 v[21:22], -v[13:14], v[15:16], 1.0
	v_fma_f64 v[15:16], v[15:16], v[21:22], v[15:16]
	s_delay_alu instid0(VALU_DEP_1) | instskip(NEXT) | instid1(VALU_DEP_1)
	v_fma_f64 v[21:22], -v[13:14], v[15:16], 1.0
	v_fma_f64 v[15:16], v[15:16], v[21:22], v[15:16]
	s_delay_alu instid0(VALU_DEP_1) | instskip(NEXT) | instid1(VALU_DEP_1)
	v_mul_f64 v[21:22], v[27:28], v[15:16]
	v_fma_f64 v[13:14], -v[13:14], v[21:22], v[27:28]
	s_delay_alu instid0(VALU_DEP_1) | instskip(NEXT) | instid1(VALU_DEP_1)
	v_div_fmas_f64 v[13:14], v[13:14], v[15:16], v[21:22]
	v_div_fixup_f64 v[13:14], v[13:14], v[17:18], v[19:20]
	s_delay_alu instid0(VALU_DEP_1) | instskip(NEXT) | instid1(VALU_DEP_1)
	v_fma_f64 v[15:16], v[19:20], v[13:14], v[17:18]
	v_div_scale_f64 v[17:18], null, v[15:16], v[15:16], 1.0
	v_div_scale_f64 v[27:28], vcc_lo, 1.0, v[15:16], 1.0
	s_delay_alu instid0(VALU_DEP_2) | instskip(SKIP_2) | instid1(VALU_DEP_1)
	v_rcp_f64_e32 v[19:20], v[17:18]
	s_waitcnt_depctr 0xfff
	v_fma_f64 v[21:22], -v[17:18], v[19:20], 1.0
	v_fma_f64 v[19:20], v[19:20], v[21:22], v[19:20]
	s_delay_alu instid0(VALU_DEP_1) | instskip(NEXT) | instid1(VALU_DEP_1)
	v_fma_f64 v[21:22], -v[17:18], v[19:20], 1.0
	v_fma_f64 v[19:20], v[19:20], v[21:22], v[19:20]
	s_delay_alu instid0(VALU_DEP_1) | instskip(NEXT) | instid1(VALU_DEP_1)
	v_mul_f64 v[21:22], v[27:28], v[19:20]
	v_fma_f64 v[17:18], -v[17:18], v[21:22], v[27:28]
	s_delay_alu instid0(VALU_DEP_1) | instskip(SKIP_1) | instid1(VALU_DEP_2)
	v_div_fmas_f64 v[17:18], v[17:18], v[19:20], v[21:22]
	v_add_f64 v[19:20], v[13:14], 0
	v_div_fixup_f64 v[15:16], v[17:18], v[15:16], 1.0
	v_fma_f64 v[17:18], v[13:14], 0, -1.0
	s_delay_alu instid0(VALU_DEP_2) | instskip(NEXT) | instid1(VALU_DEP_2)
	v_mul_f64 v[13:14], v[19:20], v[15:16]
	v_mul_f64 v[15:16], v[17:18], v[15:16]
.LBB302_81:                             ;   in Loop: Header=BB302_4 Depth=1
	s_or_b32 exec_lo, exec_lo, s6
	v_cmp_neq_f64_e32 vcc_lo, 0, v[9:10]
	v_cmp_neq_f64_e64 s6, 0, v[11:12]
	v_mov_b32_e32 v21, 0
	v_mov_b32_e32 v22, 0
	s_delay_alu instid0(VALU_DEP_3) | instskip(NEXT) | instid1(SALU_CYCLE_1)
	s_or_b32 s6, vcc_lo, s6
	s_and_saveexec_b32 s26, s6
	s_cbranch_execz .LBB302_108
; %bb.82:                               ;   in Loop: Header=BB302_4 Depth=1
	v_mov_b32_e32 v21, s18
	v_mov_b32_e32 v22, s19
	s_mov_b32 s27, exec_lo
	v_cmpx_neq_f64_e64 0x7ff00000, |v[11:12]|
	s_cbranch_execz .LBB302_107
; %bb.83:                               ;   in Loop: Header=BB302_4 Depth=1
	s_mov_b32 s6, exec_lo
	v_cmpx_o_f64_e32 v[9:10], v[9:10]
	s_xor_b32 s28, exec_lo, s6
	s_cbranch_execz .LBB302_104
; %bb.84:                               ;   in Loop: Header=BB302_4 Depth=1
	s_mov_b32 s7, exec_lo
	v_cmpx_neq_f64_e64 0x7ff00000, |v[9:10]|
	s_xor_b32 s29, exec_lo, s7
	s_cbranch_execz .LBB302_97
; %bb.85:                               ;   in Loop: Header=BB302_4 Depth=1
	v_max_f64 v[17:18], |v[9:10]|, |v[9:10]|
	v_max_f64 v[19:20], |v[11:12]|, |v[11:12]|
                                        ; implicit-def: $sgpr30
	s_delay_alu instid0(VALU_DEP_1) | instskip(NEXT) | instid1(VALU_DEP_1)
	v_max_f64 v[17:18], v[19:20], v[17:18]
	v_cmp_nle_f64_e64 s6, s[14:15], v[17:18]
	s_delay_alu instid0(VALU_DEP_1) | instskip(NEXT) | instid1(SALU_CYCLE_1)
	s_and_saveexec_b32 s7, s6
	s_xor_b32 s7, exec_lo, s7
	s_cbranch_execz .LBB302_89
; %bb.86:                               ;   in Loop: Header=BB302_4 Depth=1
	v_cmp_ge_f64_e64 s30, 0x200000, |v[9:10]|
	v_cmp_ge_f64_e64 s31, 0x200000, |v[11:12]|
	s_delay_alu instid0(VALU_DEP_1)
	s_and_b32 s33, s31, s30
	s_mov_b32 s30, 0
	s_and_saveexec_b32 s31, s33
; %bb.87:                               ;   in Loop: Header=BB302_4 Depth=1
	v_mul_f64 v[9:10], v[9:10], 4.0
	v_mul_f64 v[11:12], v[11:12], 4.0
	s_mov_b32 s30, exec_lo
; %bb.88:                               ;   in Loop: Header=BB302_4 Depth=1
	s_or_b32 exec_lo, exec_lo, s31
	s_delay_alu instid0(SALU_CYCLE_1)
	s_and_b32 s30, s30, exec_lo
.LBB302_89:                             ;   in Loop: Header=BB302_4 Depth=1
	s_and_not1_saveexec_b32 s7, s7
; %bb.90:                               ;   in Loop: Header=BB302_4 Depth=1
	s_delay_alu instid0(VALU_DEP_2) | instskip(NEXT) | instid1(VALU_DEP_2)
	v_ldexp_f64 v[9:10], v[9:10], -2
	v_ldexp_f64 v[11:12], v[11:12], -2
	s_and_not1_b32 s30, s30, exec_lo
; %bb.91:                               ;   in Loop: Header=BB302_4 Depth=1
	s_or_b32 exec_lo, exec_lo, s7
	s_delay_alu instid0(VALU_DEP_1) | instskip(NEXT) | instid1(VALU_DEP_3)
	v_max_f64 v[17:18], |v[11:12]|, |v[11:12]|
	v_max_f64 v[19:20], |v[9:10]|, |v[9:10]|
	v_cmp_class_f64_e64 s31, v[9:10], 0x204
	v_cmp_class_f64_e64 s33, v[11:12], 0x204
	v_cmp_le_f64_e64 s7, 0, v[9:10]
	s_delay_alu instid0(VALU_DEP_4) | instskip(NEXT) | instid1(VALU_DEP_3)
	v_max_f64 v[17:18], v[19:20], v[17:18]
	s_or_b32 s31, s33, s31
	s_delay_alu instid0(VALU_DEP_1) | instskip(NEXT) | instid1(VALU_DEP_1)
	v_frexp_exp_i32_f64_e32 v37, v[17:18]
	v_sub_nc_u32_e32 v19, 0, v37
	s_delay_alu instid0(VALU_DEP_1) | instskip(SKIP_1) | instid1(VALU_DEP_2)
	v_ldexp_f64 v[17:18], |v[11:12]|, v19
	v_ldexp_f64 v[19:20], |v[9:10]|, v19
	v_mul_f64 v[17:18], v[17:18], v[17:18]
	s_delay_alu instid0(VALU_DEP_1) | instskip(NEXT) | instid1(VALU_DEP_1)
	v_fma_f64 v[17:18], v[19:20], v[19:20], v[17:18]
	v_rsq_f64_e32 v[19:20], v[17:18]
	v_cmp_eq_f64_e32 vcc_lo, 0, v[17:18]
	s_waitcnt_depctr 0xfff
	v_mul_f64 v[21:22], v[17:18], v[19:20]
	v_mul_f64 v[19:20], v[19:20], 0.5
	s_delay_alu instid0(VALU_DEP_1) | instskip(NEXT) | instid1(VALU_DEP_1)
	v_fma_f64 v[27:28], -v[19:20], v[21:22], 0.5
	v_fma_f64 v[21:22], v[21:22], v[27:28], v[21:22]
	v_fma_f64 v[19:20], v[19:20], v[27:28], v[19:20]
	s_delay_alu instid0(VALU_DEP_2) | instskip(NEXT) | instid1(VALU_DEP_1)
	v_fma_f64 v[27:28], -v[21:22], v[21:22], v[17:18]
	v_fma_f64 v[19:20], v[27:28], v[19:20], v[21:22]
	s_delay_alu instid0(VALU_DEP_1) | instskip(SKIP_1) | instid1(VALU_DEP_2)
	v_dual_cndmask_b32 v18, v20, v18 :: v_dual_cndmask_b32 v17, v19, v17
	v_cmp_o_f64_e32 vcc_lo, v[11:12], v[11:12]
	v_ldexp_f64 v[17:18], v[17:18], v37
	s_delay_alu instid0(VALU_DEP_1) | instskip(NEXT) | instid1(VALU_DEP_2)
	v_cndmask_b32_e32 v17, 0, v17, vcc_lo
	v_cndmask_b32_e32 v18, 0x7ff80000, v18, vcc_lo
	s_delay_alu instid0(VALU_DEP_2) | instskip(NEXT) | instid1(VALU_DEP_2)
	v_cndmask_b32_e64 v17, v17, 0, s31
	v_cndmask_b32_e64 v18, v18, 0x7ff00000, s31
	s_and_saveexec_b32 s31, s7
	s_delay_alu instid0(SALU_CYCLE_1)
	s_xor_b32 s7, exec_lo, s31
	s_cbranch_execnz .LBB302_170
; %bb.92:                               ;   in Loop: Header=BB302_4 Depth=1
	s_and_not1_saveexec_b32 s7, s7
	s_cbranch_execnz .LBB302_171
.LBB302_93:                             ;   in Loop: Header=BB302_4 Depth=1
	s_or_b32 exec_lo, exec_lo, s7
	s_and_saveexec_b32 s7, s6
	s_delay_alu instid0(SALU_CYCLE_1)
	s_xor_b32 s6, exec_lo, s7
	s_cbranch_execnz .LBB302_172
.LBB302_94:                             ;   in Loop: Header=BB302_4 Depth=1
	s_and_not1_saveexec_b32 s6, s6
.LBB302_95:                             ;   in Loop: Header=BB302_4 Depth=1
	s_delay_alu instid0(VALU_DEP_2) | instskip(NEXT) | instid1(VALU_DEP_2)
	v_add_f64 v[9:10], v[9:10], v[9:10]
	v_add_f64 v[11:12], v[11:12], v[11:12]
.LBB302_96:                             ;   in Loop: Header=BB302_4 Depth=1
	s_or_b32 exec_lo, exec_lo, s6
.LBB302_97:                             ;   in Loop: Header=BB302_4 Depth=1
	s_and_not1_saveexec_b32 s6, s29
	s_cbranch_execz .LBB302_103
; %bb.98:                               ;   in Loop: Header=BB302_4 Depth=1
	s_delay_alu instid0(VALU_DEP_1) | instskip(SKIP_1) | instid1(VALU_DEP_3)
	v_add_f64 v[17:18], v[11:12], -v[11:12]
	s_mov_b32 s7, exec_lo
	v_cmpx_lt_i64_e32 -1, v[9:10]
	s_xor_b32 s7, exec_lo, s7
; %bb.99:                               ;   in Loop: Header=BB302_4 Depth=1
	s_delay_alu instid0(VALU_DEP_2) | instskip(NEXT) | instid1(VALU_DEP_1)
	v_bfi_b32 v18, 0x7fffffff, v18, v12
	v_dual_mov_b32 v11, v17 :: v_dual_mov_b32 v12, v18
                                        ; implicit-def: $vgpr17_vgpr18
; %bb.100:                              ;   in Loop: Header=BB302_4 Depth=1
	s_and_not1_saveexec_b32 s7, s7
; %bb.101:                              ;   in Loop: Header=BB302_4 Depth=1
	s_delay_alu instid0(VALU_DEP_1) | instskip(SKIP_1) | instid1(VALU_DEP_2)
	v_bfi_b32 v10, 0x7fffffff, v10, v12
	v_and_b32_e32 v18, 0x7fffffff, v18
	v_dual_mov_b32 v12, v10 :: v_dual_mov_b32 v11, v9
	s_delay_alu instid0(VALU_DEP_2)
	v_dual_mov_b32 v9, v17 :: v_dual_mov_b32 v10, v18
; %bb.102:                              ;   in Loop: Header=BB302_4 Depth=1
	s_or_b32 exec_lo, exec_lo, s7
.LBB302_103:                            ;   in Loop: Header=BB302_4 Depth=1
	s_delay_alu instid0(SALU_CYCLE_1)
	s_or_b32 exec_lo, exec_lo, s6
.LBB302_104:                            ;   in Loop: Header=BB302_4 Depth=1
	s_and_not1_saveexec_b32 s6, s28
; %bb.105:                              ;   in Loop: Header=BB302_4 Depth=1
	s_delay_alu instid0(VALU_DEP_1) | instskip(NEXT) | instid1(VALU_DEP_1)
	v_add_f64 v[11:12], v[11:12], -v[11:12]
	v_div_scale_f64 v[17:18], vcc_lo, v[11:12], v[11:12], v[11:12]
	s_delay_alu instid0(VALU_DEP_1) | instskip(SKIP_2) | instid1(VALU_DEP_1)
	v_rcp_f64_e32 v[19:20], v[17:18]
	s_waitcnt_depctr 0xfff
	v_fma_f64 v[21:22], -v[17:18], v[19:20], 1.0
	v_fma_f64 v[19:20], v[19:20], v[21:22], v[19:20]
	s_delay_alu instid0(VALU_DEP_1) | instskip(NEXT) | instid1(VALU_DEP_1)
	v_fma_f64 v[21:22], -v[17:18], v[19:20], 1.0
	v_fma_f64 v[19:20], v[19:20], v[21:22], v[19:20]
	s_delay_alu instid0(VALU_DEP_1) | instskip(NEXT) | instid1(VALU_DEP_1)
	v_mul_f64 v[21:22], v[17:18], v[19:20]
	v_fma_f64 v[17:18], -v[17:18], v[21:22], v[17:18]
	s_delay_alu instid0(VALU_DEP_1) | instskip(NEXT) | instid1(VALU_DEP_1)
	v_div_fmas_f64 v[17:18], v[17:18], v[19:20], v[21:22]
	v_div_fixup_f64 v[11:12], v[17:18], v[11:12], v[11:12]
; %bb.106:                              ;   in Loop: Header=BB302_4 Depth=1
	s_or_b32 exec_lo, exec_lo, s6
	v_dual_mov_b32 v22, v10 :: v_dual_mov_b32 v21, v9
.LBB302_107:                            ;   in Loop: Header=BB302_4 Depth=1
	s_or_b32 exec_lo, exec_lo, s27
.LBB302_108:                            ;   in Loop: Header=BB302_4 Depth=1
	s_delay_alu instid0(SALU_CYCLE_1) | instskip(NEXT) | instid1(VALU_DEP_1)
	s_or_b32 exec_lo, exec_lo, s26
	v_cmp_gt_f64_e32 vcc_lo, 0, v[21:22]
	s_delay_alu instid0(VALU_DEP_3) | instskip(SKIP_2) | instid1(VALU_DEP_2)
	v_cmp_gt_f64_e64 s6, 0, v[11:12]
	v_xor_b32_e32 v9, 0x80000000, v22
	v_xor_b32_e32 v17, 0x80000000, v12
                                        ; implicit-def: $vgpr19_vgpr20
	v_cndmask_b32_e32 v10, v22, v9, vcc_lo
	s_delay_alu instid0(VALU_DEP_2) | instskip(SKIP_3) | instid1(VALU_DEP_1)
	v_cndmask_b32_e64 v28, v12, v17, s6
	v_cndmask_b32_e32 v9, v21, v21, vcc_lo
	v_cndmask_b32_e64 v27, v11, v11, s6
	s_mov_b32 s6, exec_lo
	v_cmpx_ge_f64_e32 v[9:10], v[27:28]
	s_xor_b32 s7, exec_lo, s6
	s_cbranch_execz .LBB302_114
; %bb.109:                              ;   in Loop: Header=BB302_4 Depth=1
	v_cmp_neq_f64_e32 vcc_lo, 0, v[21:22]
	v_cmp_neq_f64_e64 s6, 0, v[11:12]
                                        ; implicit-def: $vgpr19_vgpr20
	s_delay_alu instid0(VALU_DEP_1) | instskip(NEXT) | instid1(SALU_CYCLE_1)
	s_or_b32 s6, vcc_lo, s6
	s_and_saveexec_b32 s26, s6
	s_delay_alu instid0(SALU_CYCLE_1)
	s_xor_b32 s6, exec_lo, s26
	s_cbranch_execz .LBB302_111
; %bb.110:                              ;   in Loop: Header=BB302_4 Depth=1
	v_div_scale_f64 v[9:10], null, v[21:22], v[21:22], v[11:12]
	v_div_scale_f64 v[27:28], vcc_lo, v[11:12], v[21:22], v[11:12]
	s_delay_alu instid0(VALU_DEP_2) | instskip(SKIP_2) | instid1(VALU_DEP_1)
	v_rcp_f64_e32 v[17:18], v[9:10]
	s_waitcnt_depctr 0xfff
	v_fma_f64 v[19:20], -v[9:10], v[17:18], 1.0
	v_fma_f64 v[17:18], v[17:18], v[19:20], v[17:18]
	s_delay_alu instid0(VALU_DEP_1) | instskip(NEXT) | instid1(VALU_DEP_1)
	v_fma_f64 v[19:20], -v[9:10], v[17:18], 1.0
	v_fma_f64 v[17:18], v[17:18], v[19:20], v[17:18]
	s_delay_alu instid0(VALU_DEP_1) | instskip(NEXT) | instid1(VALU_DEP_1)
	v_mul_f64 v[19:20], v[27:28], v[17:18]
	v_fma_f64 v[9:10], -v[9:10], v[19:20], v[27:28]
	s_delay_alu instid0(VALU_DEP_1) | instskip(NEXT) | instid1(VALU_DEP_1)
	v_div_fmas_f64 v[9:10], v[9:10], v[17:18], v[19:20]
	v_div_fixup_f64 v[9:10], v[9:10], v[21:22], v[11:12]
	s_delay_alu instid0(VALU_DEP_1) | instskip(NEXT) | instid1(VALU_DEP_1)
	v_fma_f64 v[11:12], v[11:12], v[9:10], v[21:22]
	v_div_scale_f64 v[17:18], null, v[11:12], v[11:12], 1.0
	v_div_scale_f64 v[27:28], vcc_lo, 1.0, v[11:12], 1.0
	s_delay_alu instid0(VALU_DEP_2) | instskip(SKIP_2) | instid1(VALU_DEP_1)
	v_rcp_f64_e32 v[19:20], v[17:18]
	s_waitcnt_depctr 0xfff
	v_fma_f64 v[21:22], -v[17:18], v[19:20], 1.0
	v_fma_f64 v[19:20], v[19:20], v[21:22], v[19:20]
	s_delay_alu instid0(VALU_DEP_1) | instskip(NEXT) | instid1(VALU_DEP_1)
	v_fma_f64 v[21:22], -v[17:18], v[19:20], 1.0
	v_fma_f64 v[19:20], v[19:20], v[21:22], v[19:20]
	s_delay_alu instid0(VALU_DEP_1) | instskip(NEXT) | instid1(VALU_DEP_1)
	v_mul_f64 v[21:22], v[27:28], v[19:20]
	v_fma_f64 v[17:18], -v[17:18], v[21:22], v[27:28]
                                        ; implicit-def: $vgpr27_vgpr28
	s_delay_alu instid0(VALU_DEP_1) | instskip(SKIP_2) | instid1(VALU_DEP_3)
	v_div_fmas_f64 v[17:18], v[17:18], v[19:20], v[21:22]
	v_fma_f64 v[19:20], v[9:10], 0, 1.0
	v_add_f64 v[9:10], -v[9:10], 0
	v_div_fixup_f64 v[11:12], v[17:18], v[11:12], 1.0
	s_delay_alu instid0(VALU_DEP_1) | instskip(NEXT) | instid1(VALU_DEP_3)
	v_mul_f64 v[17:18], v[19:20], v[11:12]
	v_mul_f64 v[19:20], v[9:10], v[11:12]
                                        ; implicit-def: $vgpr9_vgpr10
.LBB302_111:                            ;   in Loop: Header=BB302_4 Depth=1
	s_and_not1_saveexec_b32 s26, s6
	s_cbranch_execz .LBB302_113
; %bb.112:                              ;   in Loop: Header=BB302_4 Depth=1
	v_div_scale_f64 v[11:12], null, v[9:10], v[9:10], 1.0
	v_div_scale_f64 v[17:18], null, v[27:28], v[27:28], 0
	v_div_scale_f64 v[41:42], vcc_lo, 1.0, v[9:10], 1.0
	s_delay_alu instid0(VALU_DEP_3) | instskip(NEXT) | instid1(VALU_DEP_2)
	v_rcp_f64_e32 v[19:20], v[11:12]
	v_rcp_f64_e32 v[21:22], v[17:18]
	s_waitcnt_depctr 0xfff
	v_fma_f64 v[37:38], -v[11:12], v[19:20], 1.0
	v_fma_f64 v[39:40], -v[17:18], v[21:22], 1.0
	s_delay_alu instid0(VALU_DEP_2) | instskip(NEXT) | instid1(VALU_DEP_2)
	v_fma_f64 v[19:20], v[19:20], v[37:38], v[19:20]
	v_fma_f64 v[21:22], v[21:22], v[39:40], v[21:22]
	s_delay_alu instid0(VALU_DEP_2) | instskip(NEXT) | instid1(VALU_DEP_2)
	v_fma_f64 v[37:38], -v[11:12], v[19:20], 1.0
	v_fma_f64 v[39:40], -v[17:18], v[21:22], 1.0
	s_delay_alu instid0(VALU_DEP_2) | instskip(SKIP_1) | instid1(VALU_DEP_3)
	v_fma_f64 v[19:20], v[19:20], v[37:38], v[19:20]
	v_div_scale_f64 v[37:38], s6, 0, v[27:28], 0
	v_fma_f64 v[21:22], v[21:22], v[39:40], v[21:22]
	s_delay_alu instid0(VALU_DEP_3) | instskip(NEXT) | instid1(VALU_DEP_2)
	v_mul_f64 v[39:40], v[41:42], v[19:20]
	v_mul_f64 v[43:44], v[37:38], v[21:22]
	s_delay_alu instid0(VALU_DEP_2) | instskip(NEXT) | instid1(VALU_DEP_2)
	v_fma_f64 v[11:12], -v[11:12], v[39:40], v[41:42]
	v_fma_f64 v[17:18], -v[17:18], v[43:44], v[37:38]
	s_delay_alu instid0(VALU_DEP_2) | instskip(SKIP_1) | instid1(VALU_DEP_2)
	v_div_fmas_f64 v[11:12], v[11:12], v[19:20], v[39:40]
	s_mov_b32 vcc_lo, s6
	v_div_fmas_f64 v[19:20], v[17:18], v[21:22], v[43:44]
	s_delay_alu instid0(VALU_DEP_2) | instskip(NEXT) | instid1(VALU_DEP_2)
	v_div_fixup_f64 v[17:18], v[11:12], v[9:10], 1.0
	v_div_fixup_f64 v[19:20], v[19:20], v[27:28], 0
.LBB302_113:                            ;   in Loop: Header=BB302_4 Depth=1
	s_or_b32 exec_lo, exec_lo, s26
                                        ; implicit-def: $vgpr11_vgpr12
                                        ; implicit-def: $vgpr21_vgpr22
.LBB302_114:                            ;   in Loop: Header=BB302_4 Depth=1
	s_and_not1_saveexec_b32 s6, s7
	s_cbranch_execz .LBB302_116
; %bb.115:                              ;   in Loop: Header=BB302_4 Depth=1
	v_div_scale_f64 v[9:10], null, v[11:12], v[11:12], v[21:22]
	v_div_scale_f64 v[27:28], vcc_lo, v[21:22], v[11:12], v[21:22]
	s_delay_alu instid0(VALU_DEP_2) | instskip(SKIP_2) | instid1(VALU_DEP_1)
	v_rcp_f64_e32 v[17:18], v[9:10]
	s_waitcnt_depctr 0xfff
	v_fma_f64 v[19:20], -v[9:10], v[17:18], 1.0
	v_fma_f64 v[17:18], v[17:18], v[19:20], v[17:18]
	s_delay_alu instid0(VALU_DEP_1) | instskip(NEXT) | instid1(VALU_DEP_1)
	v_fma_f64 v[19:20], -v[9:10], v[17:18], 1.0
	v_fma_f64 v[17:18], v[17:18], v[19:20], v[17:18]
	s_delay_alu instid0(VALU_DEP_1) | instskip(NEXT) | instid1(VALU_DEP_1)
	v_mul_f64 v[19:20], v[27:28], v[17:18]
	v_fma_f64 v[9:10], -v[9:10], v[19:20], v[27:28]
	s_delay_alu instid0(VALU_DEP_1) | instskip(NEXT) | instid1(VALU_DEP_1)
	v_div_fmas_f64 v[9:10], v[9:10], v[17:18], v[19:20]
	v_div_fixup_f64 v[9:10], v[9:10], v[11:12], v[21:22]
	s_delay_alu instid0(VALU_DEP_1) | instskip(NEXT) | instid1(VALU_DEP_1)
	v_fma_f64 v[11:12], v[21:22], v[9:10], v[11:12]
	v_div_scale_f64 v[17:18], null, v[11:12], v[11:12], 1.0
	v_div_scale_f64 v[27:28], vcc_lo, 1.0, v[11:12], 1.0
	s_delay_alu instid0(VALU_DEP_2) | instskip(SKIP_2) | instid1(VALU_DEP_1)
	v_rcp_f64_e32 v[19:20], v[17:18]
	s_waitcnt_depctr 0xfff
	v_fma_f64 v[21:22], -v[17:18], v[19:20], 1.0
	v_fma_f64 v[19:20], v[19:20], v[21:22], v[19:20]
	s_delay_alu instid0(VALU_DEP_1) | instskip(NEXT) | instid1(VALU_DEP_1)
	v_fma_f64 v[21:22], -v[17:18], v[19:20], 1.0
	v_fma_f64 v[19:20], v[19:20], v[21:22], v[19:20]
	s_delay_alu instid0(VALU_DEP_1) | instskip(NEXT) | instid1(VALU_DEP_1)
	v_mul_f64 v[21:22], v[27:28], v[19:20]
	v_fma_f64 v[17:18], -v[17:18], v[21:22], v[27:28]
	s_delay_alu instid0(VALU_DEP_1) | instskip(SKIP_2) | instid1(VALU_DEP_3)
	v_div_fmas_f64 v[17:18], v[17:18], v[19:20], v[21:22]
	v_add_f64 v[19:20], v[9:10], 0
	v_fma_f64 v[9:10], v[9:10], 0, -1.0
	v_div_fixup_f64 v[11:12], v[17:18], v[11:12], 1.0
	s_delay_alu instid0(VALU_DEP_1) | instskip(NEXT) | instid1(VALU_DEP_3)
	v_mul_f64 v[17:18], v[19:20], v[11:12]
	v_mul_f64 v[19:20], v[9:10], v[11:12]
.LBB302_116:                            ;   in Loop: Header=BB302_4 Depth=1
	s_or_b32 exec_lo, exec_lo, s6
	v_cmp_neq_f64_e32 vcc_lo, 0, v[1:2]
	v_cmp_neq_f64_e64 s6, 0, v[3:4]
	v_mov_b32_e32 v21, 0
	v_mov_b32_e32 v22, 0
	s_delay_alu instid0(VALU_DEP_3) | instskip(NEXT) | instid1(SALU_CYCLE_1)
	s_or_b32 s6, vcc_lo, s6
	s_and_saveexec_b32 s26, s6
	s_cbranch_execz .LBB302_143
; %bb.117:                              ;   in Loop: Header=BB302_4 Depth=1
	v_mov_b32_e32 v21, s18
	v_mov_b32_e32 v22, s19
	s_mov_b32 s27, exec_lo
	v_cmpx_neq_f64_e64 0x7ff00000, |v[3:4]|
	s_cbranch_execz .LBB302_142
; %bb.118:                              ;   in Loop: Header=BB302_4 Depth=1
	s_mov_b32 s6, exec_lo
	v_cmpx_o_f64_e32 v[1:2], v[1:2]
	s_xor_b32 s28, exec_lo, s6
	s_cbranch_execz .LBB302_139
; %bb.119:                              ;   in Loop: Header=BB302_4 Depth=1
	s_mov_b32 s7, exec_lo
	v_cmpx_neq_f64_e64 0x7ff00000, |v[1:2]|
	s_xor_b32 s29, exec_lo, s7
	s_cbranch_execz .LBB302_132
; %bb.120:                              ;   in Loop: Header=BB302_4 Depth=1
	v_max_f64 v[9:10], |v[1:2]|, |v[1:2]|
	v_max_f64 v[11:12], |v[3:4]|, |v[3:4]|
                                        ; implicit-def: $sgpr30
	s_delay_alu instid0(VALU_DEP_1) | instskip(NEXT) | instid1(VALU_DEP_1)
	v_max_f64 v[9:10], v[11:12], v[9:10]
	v_cmp_nle_f64_e64 s6, s[14:15], v[9:10]
	s_delay_alu instid0(VALU_DEP_1) | instskip(NEXT) | instid1(SALU_CYCLE_1)
	s_and_saveexec_b32 s7, s6
	s_xor_b32 s7, exec_lo, s7
	s_cbranch_execz .LBB302_124
; %bb.121:                              ;   in Loop: Header=BB302_4 Depth=1
	v_cmp_ge_f64_e64 s30, 0x200000, |v[1:2]|
	v_cmp_ge_f64_e64 s31, 0x200000, |v[3:4]|
	s_delay_alu instid0(VALU_DEP_1)
	s_and_b32 s33, s31, s30
	s_mov_b32 s30, 0
	s_and_saveexec_b32 s31, s33
; %bb.122:                              ;   in Loop: Header=BB302_4 Depth=1
	v_mul_f64 v[1:2], v[1:2], 4.0
	v_mul_f64 v[3:4], v[3:4], 4.0
	s_mov_b32 s30, exec_lo
; %bb.123:                              ;   in Loop: Header=BB302_4 Depth=1
	s_or_b32 exec_lo, exec_lo, s31
	s_delay_alu instid0(SALU_CYCLE_1)
	s_and_b32 s30, s30, exec_lo
.LBB302_124:                            ;   in Loop: Header=BB302_4 Depth=1
	s_and_not1_saveexec_b32 s7, s7
; %bb.125:                              ;   in Loop: Header=BB302_4 Depth=1
	s_delay_alu instid0(VALU_DEP_2) | instskip(NEXT) | instid1(VALU_DEP_2)
	v_ldexp_f64 v[1:2], v[1:2], -2
	v_ldexp_f64 v[3:4], v[3:4], -2
	s_and_not1_b32 s30, s30, exec_lo
; %bb.126:                              ;   in Loop: Header=BB302_4 Depth=1
	s_or_b32 exec_lo, exec_lo, s7
	s_delay_alu instid0(VALU_DEP_1) | instskip(NEXT) | instid1(VALU_DEP_3)
	v_max_f64 v[9:10], |v[3:4]|, |v[3:4]|
	v_max_f64 v[11:12], |v[1:2]|, |v[1:2]|
	v_cmp_class_f64_e64 s31, v[1:2], 0x204
	v_cmp_class_f64_e64 s33, v[3:4], 0x204
	v_cmp_le_f64_e64 s7, 0, v[1:2]
	s_delay_alu instid0(VALU_DEP_4) | instskip(NEXT) | instid1(VALU_DEP_3)
	v_max_f64 v[9:10], v[11:12], v[9:10]
	s_or_b32 s31, s33, s31
	s_delay_alu instid0(VALU_DEP_1) | instskip(NEXT) | instid1(VALU_DEP_1)
	v_frexp_exp_i32_f64_e32 v37, v[9:10]
	v_sub_nc_u32_e32 v11, 0, v37
	s_delay_alu instid0(VALU_DEP_1) | instskip(SKIP_1) | instid1(VALU_DEP_2)
	v_ldexp_f64 v[9:10], |v[3:4]|, v11
	v_ldexp_f64 v[11:12], |v[1:2]|, v11
	v_mul_f64 v[9:10], v[9:10], v[9:10]
	s_delay_alu instid0(VALU_DEP_1) | instskip(NEXT) | instid1(VALU_DEP_1)
	v_fma_f64 v[9:10], v[11:12], v[11:12], v[9:10]
	v_rsq_f64_e32 v[11:12], v[9:10]
	v_cmp_eq_f64_e32 vcc_lo, 0, v[9:10]
	s_waitcnt_depctr 0xfff
	v_mul_f64 v[21:22], v[9:10], v[11:12]
	v_mul_f64 v[11:12], v[11:12], 0.5
	s_delay_alu instid0(VALU_DEP_1) | instskip(NEXT) | instid1(VALU_DEP_1)
	v_fma_f64 v[27:28], -v[11:12], v[21:22], 0.5
	v_fma_f64 v[21:22], v[21:22], v[27:28], v[21:22]
	v_fma_f64 v[11:12], v[11:12], v[27:28], v[11:12]
	s_delay_alu instid0(VALU_DEP_2) | instskip(NEXT) | instid1(VALU_DEP_1)
	v_fma_f64 v[27:28], -v[21:22], v[21:22], v[9:10]
	v_fma_f64 v[11:12], v[27:28], v[11:12], v[21:22]
	s_delay_alu instid0(VALU_DEP_1) | instskip(SKIP_1) | instid1(VALU_DEP_2)
	v_dual_cndmask_b32 v10, v12, v10 :: v_dual_cndmask_b32 v9, v11, v9
	v_cmp_o_f64_e32 vcc_lo, v[3:4], v[3:4]
	v_ldexp_f64 v[9:10], v[9:10], v37
	s_delay_alu instid0(VALU_DEP_1) | instskip(NEXT) | instid1(VALU_DEP_2)
	v_cndmask_b32_e32 v9, 0, v9, vcc_lo
	v_cndmask_b32_e32 v10, 0x7ff80000, v10, vcc_lo
	s_delay_alu instid0(VALU_DEP_2) | instskip(NEXT) | instid1(VALU_DEP_2)
	v_cndmask_b32_e64 v9, v9, 0, s31
	v_cndmask_b32_e64 v10, v10, 0x7ff00000, s31
	s_and_saveexec_b32 s31, s7
	s_delay_alu instid0(SALU_CYCLE_1)
	s_xor_b32 s7, exec_lo, s31
	s_cbranch_execnz .LBB302_175
; %bb.127:                              ;   in Loop: Header=BB302_4 Depth=1
	s_and_not1_saveexec_b32 s7, s7
	s_cbranch_execnz .LBB302_176
.LBB302_128:                            ;   in Loop: Header=BB302_4 Depth=1
	s_or_b32 exec_lo, exec_lo, s7
	s_and_saveexec_b32 s7, s6
	s_delay_alu instid0(SALU_CYCLE_1)
	s_xor_b32 s6, exec_lo, s7
	s_cbranch_execnz .LBB302_177
.LBB302_129:                            ;   in Loop: Header=BB302_4 Depth=1
	s_and_not1_saveexec_b32 s6, s6
.LBB302_130:                            ;   in Loop: Header=BB302_4 Depth=1
	s_delay_alu instid0(VALU_DEP_2) | instskip(NEXT) | instid1(VALU_DEP_2)
	v_add_f64 v[1:2], v[1:2], v[1:2]
	v_add_f64 v[3:4], v[3:4], v[3:4]
.LBB302_131:                            ;   in Loop: Header=BB302_4 Depth=1
	s_or_b32 exec_lo, exec_lo, s6
.LBB302_132:                            ;   in Loop: Header=BB302_4 Depth=1
	s_and_not1_saveexec_b32 s6, s29
	s_cbranch_execz .LBB302_138
; %bb.133:                              ;   in Loop: Header=BB302_4 Depth=1
	s_delay_alu instid0(VALU_DEP_1) | instskip(SKIP_1) | instid1(VALU_DEP_3)
	v_add_f64 v[9:10], v[3:4], -v[3:4]
	s_mov_b32 s7, exec_lo
	v_cmpx_lt_i64_e32 -1, v[1:2]
	s_xor_b32 s7, exec_lo, s7
; %bb.134:                              ;   in Loop: Header=BB302_4 Depth=1
	s_delay_alu instid0(VALU_DEP_2) | instskip(NEXT) | instid1(VALU_DEP_1)
	v_bfi_b32 v10, 0x7fffffff, v10, v4
	v_dual_mov_b32 v3, v9 :: v_dual_mov_b32 v4, v10
                                        ; implicit-def: $vgpr9_vgpr10
; %bb.135:                              ;   in Loop: Header=BB302_4 Depth=1
	s_and_not1_saveexec_b32 s7, s7
; %bb.136:                              ;   in Loop: Header=BB302_4 Depth=1
	s_delay_alu instid0(VALU_DEP_1) | instskip(SKIP_1) | instid1(VALU_DEP_2)
	v_bfi_b32 v2, 0x7fffffff, v2, v4
	v_and_b32_e32 v10, 0x7fffffff, v10
	v_dual_mov_b32 v4, v2 :: v_dual_mov_b32 v3, v1
	s_delay_alu instid0(VALU_DEP_2)
	v_dual_mov_b32 v1, v9 :: v_dual_mov_b32 v2, v10
; %bb.137:                              ;   in Loop: Header=BB302_4 Depth=1
	s_or_b32 exec_lo, exec_lo, s7
.LBB302_138:                            ;   in Loop: Header=BB302_4 Depth=1
	s_delay_alu instid0(SALU_CYCLE_1)
	s_or_b32 exec_lo, exec_lo, s6
.LBB302_139:                            ;   in Loop: Header=BB302_4 Depth=1
	s_and_not1_saveexec_b32 s6, s28
; %bb.140:                              ;   in Loop: Header=BB302_4 Depth=1
	s_delay_alu instid0(VALU_DEP_1) | instskip(NEXT) | instid1(VALU_DEP_1)
	v_add_f64 v[3:4], v[3:4], -v[3:4]
	v_div_scale_f64 v[9:10], vcc_lo, v[3:4], v[3:4], v[3:4]
	s_delay_alu instid0(VALU_DEP_1) | instskip(SKIP_2) | instid1(VALU_DEP_1)
	v_rcp_f64_e32 v[11:12], v[9:10]
	s_waitcnt_depctr 0xfff
	v_fma_f64 v[21:22], -v[9:10], v[11:12], 1.0
	v_fma_f64 v[11:12], v[11:12], v[21:22], v[11:12]
	s_delay_alu instid0(VALU_DEP_1) | instskip(NEXT) | instid1(VALU_DEP_1)
	v_fma_f64 v[21:22], -v[9:10], v[11:12], 1.0
	v_fma_f64 v[11:12], v[11:12], v[21:22], v[11:12]
	s_delay_alu instid0(VALU_DEP_1) | instskip(NEXT) | instid1(VALU_DEP_1)
	v_mul_f64 v[21:22], v[9:10], v[11:12]
	v_fma_f64 v[9:10], -v[9:10], v[21:22], v[9:10]
	s_delay_alu instid0(VALU_DEP_1) | instskip(NEXT) | instid1(VALU_DEP_1)
	v_div_fmas_f64 v[9:10], v[9:10], v[11:12], v[21:22]
	v_div_fixup_f64 v[3:4], v[9:10], v[3:4], v[3:4]
; %bb.141:                              ;   in Loop: Header=BB302_4 Depth=1
	s_or_b32 exec_lo, exec_lo, s6
	v_dual_mov_b32 v22, v2 :: v_dual_mov_b32 v21, v1
.LBB302_142:                            ;   in Loop: Header=BB302_4 Depth=1
	s_or_b32 exec_lo, exec_lo, s27
.LBB302_143:                            ;   in Loop: Header=BB302_4 Depth=1
	s_delay_alu instid0(SALU_CYCLE_1) | instskip(NEXT) | instid1(VALU_DEP_1)
	s_or_b32 exec_lo, exec_lo, s26
	v_cmp_gt_f64_e32 vcc_lo, 0, v[21:22]
	s_delay_alu instid0(VALU_DEP_3) | instskip(SKIP_2) | instid1(VALU_DEP_2)
	v_cmp_gt_f64_e64 s6, 0, v[3:4]
	v_xor_b32_e32 v1, 0x80000000, v22
	v_xor_b32_e32 v9, 0x80000000, v4
                                        ; implicit-def: $vgpr11_vgpr12
	v_cndmask_b32_e32 v2, v22, v1, vcc_lo
	s_delay_alu instid0(VALU_DEP_2) | instskip(SKIP_3) | instid1(VALU_DEP_1)
	v_cndmask_b32_e64 v28, v4, v9, s6
	v_cndmask_b32_e32 v1, v21, v21, vcc_lo
	v_cndmask_b32_e64 v27, v3, v3, s6
	s_mov_b32 s6, exec_lo
	v_cmpx_ge_f64_e32 v[1:2], v[27:28]
	s_xor_b32 s7, exec_lo, s6
	s_cbranch_execnz .LBB302_149
; %bb.144:                              ;   in Loop: Header=BB302_4 Depth=1
	s_and_not1_saveexec_b32 s6, s7
	s_cbranch_execnz .LBB302_154
.LBB302_145:                            ;   in Loop: Header=BB302_4 Depth=1
	s_or_b32 exec_lo, exec_lo, s6
	s_and_saveexec_b32 s6, s2
	s_delay_alu instid0(SALU_CYCLE_1)
	s_xor_b32 s2, exec_lo, s6
	s_cbranch_execnz .LBB302_155
.LBB302_146:                            ;   in Loop: Header=BB302_4 Depth=1
	s_or_b32 exec_lo, exec_lo, s2
	s_and_saveexec_b32 s2, s3
	s_cbranch_execnz .LBB302_156
.LBB302_147:                            ;   in Loop: Header=BB302_4 Depth=1
	s_or_b32 exec_lo, exec_lo, s2
	s_and_saveexec_b32 s2, s4
	s_cbranch_execnz .LBB302_157
.LBB302_148:                            ;   in Loop: Header=BB302_4 Depth=1
	s_or_b32 exec_lo, exec_lo, s2
	s_and_saveexec_b32 s2, s5
	s_cbranch_execz .LBB302_3
	s_branch .LBB302_158
.LBB302_149:                            ;   in Loop: Header=BB302_4 Depth=1
	v_cmp_neq_f64_e32 vcc_lo, 0, v[21:22]
	v_cmp_neq_f64_e64 s6, 0, v[3:4]
                                        ; implicit-def: $vgpr11_vgpr12
	s_delay_alu instid0(VALU_DEP_1) | instskip(NEXT) | instid1(SALU_CYCLE_1)
	s_or_b32 s6, vcc_lo, s6
	s_and_saveexec_b32 s26, s6
	s_delay_alu instid0(SALU_CYCLE_1)
	s_xor_b32 s6, exec_lo, s26
	s_cbranch_execz .LBB302_151
; %bb.150:                              ;   in Loop: Header=BB302_4 Depth=1
	v_div_scale_f64 v[1:2], null, v[21:22], v[21:22], v[3:4]
	v_div_scale_f64 v[27:28], vcc_lo, v[3:4], v[21:22], v[3:4]
	s_delay_alu instid0(VALU_DEP_2) | instskip(SKIP_2) | instid1(VALU_DEP_1)
	v_rcp_f64_e32 v[9:10], v[1:2]
	s_waitcnt_depctr 0xfff
	v_fma_f64 v[11:12], -v[1:2], v[9:10], 1.0
	v_fma_f64 v[9:10], v[9:10], v[11:12], v[9:10]
	s_delay_alu instid0(VALU_DEP_1) | instskip(NEXT) | instid1(VALU_DEP_1)
	v_fma_f64 v[11:12], -v[1:2], v[9:10], 1.0
	v_fma_f64 v[9:10], v[9:10], v[11:12], v[9:10]
	s_delay_alu instid0(VALU_DEP_1) | instskip(NEXT) | instid1(VALU_DEP_1)
	v_mul_f64 v[11:12], v[27:28], v[9:10]
	v_fma_f64 v[1:2], -v[1:2], v[11:12], v[27:28]
	s_delay_alu instid0(VALU_DEP_1) | instskip(NEXT) | instid1(VALU_DEP_1)
	v_div_fmas_f64 v[1:2], v[1:2], v[9:10], v[11:12]
	v_div_fixup_f64 v[1:2], v[1:2], v[21:22], v[3:4]
	s_delay_alu instid0(VALU_DEP_1) | instskip(NEXT) | instid1(VALU_DEP_1)
	v_fma_f64 v[3:4], v[3:4], v[1:2], v[21:22]
	v_div_scale_f64 v[9:10], null, v[3:4], v[3:4], 1.0
	v_div_scale_f64 v[27:28], vcc_lo, 1.0, v[3:4], 1.0
	s_delay_alu instid0(VALU_DEP_2) | instskip(SKIP_2) | instid1(VALU_DEP_1)
	v_rcp_f64_e32 v[11:12], v[9:10]
	s_waitcnt_depctr 0xfff
	v_fma_f64 v[21:22], -v[9:10], v[11:12], 1.0
	v_fma_f64 v[11:12], v[11:12], v[21:22], v[11:12]
	s_delay_alu instid0(VALU_DEP_1) | instskip(NEXT) | instid1(VALU_DEP_1)
	v_fma_f64 v[21:22], -v[9:10], v[11:12], 1.0
	v_fma_f64 v[11:12], v[11:12], v[21:22], v[11:12]
	s_delay_alu instid0(VALU_DEP_1) | instskip(NEXT) | instid1(VALU_DEP_1)
	v_mul_f64 v[21:22], v[27:28], v[11:12]
	v_fma_f64 v[9:10], -v[9:10], v[21:22], v[27:28]
                                        ; implicit-def: $vgpr27_vgpr28
	s_delay_alu instid0(VALU_DEP_1) | instskip(SKIP_2) | instid1(VALU_DEP_3)
	v_div_fmas_f64 v[9:10], v[9:10], v[11:12], v[21:22]
	v_fma_f64 v[11:12], v[1:2], 0, 1.0
	v_add_f64 v[1:2], -v[1:2], 0
	v_div_fixup_f64 v[3:4], v[9:10], v[3:4], 1.0
	s_delay_alu instid0(VALU_DEP_1) | instskip(NEXT) | instid1(VALU_DEP_3)
	v_mul_f64 v[9:10], v[11:12], v[3:4]
	v_mul_f64 v[11:12], v[1:2], v[3:4]
                                        ; implicit-def: $vgpr1_vgpr2
.LBB302_151:                            ;   in Loop: Header=BB302_4 Depth=1
	s_and_not1_saveexec_b32 s26, s6
	s_cbranch_execz .LBB302_153
; %bb.152:                              ;   in Loop: Header=BB302_4 Depth=1
	v_div_scale_f64 v[3:4], null, v[1:2], v[1:2], 1.0
	v_div_scale_f64 v[9:10], null, v[27:28], v[27:28], 0
	v_div_scale_f64 v[41:42], vcc_lo, 1.0, v[1:2], 1.0
	s_delay_alu instid0(VALU_DEP_3) | instskip(NEXT) | instid1(VALU_DEP_2)
	v_rcp_f64_e32 v[11:12], v[3:4]
	v_rcp_f64_e32 v[21:22], v[9:10]
	s_waitcnt_depctr 0xfff
	v_fma_f64 v[37:38], -v[3:4], v[11:12], 1.0
	v_fma_f64 v[39:40], -v[9:10], v[21:22], 1.0
	s_delay_alu instid0(VALU_DEP_2) | instskip(NEXT) | instid1(VALU_DEP_2)
	v_fma_f64 v[11:12], v[11:12], v[37:38], v[11:12]
	v_fma_f64 v[21:22], v[21:22], v[39:40], v[21:22]
	s_delay_alu instid0(VALU_DEP_2) | instskip(NEXT) | instid1(VALU_DEP_2)
	v_fma_f64 v[37:38], -v[3:4], v[11:12], 1.0
	v_fma_f64 v[39:40], -v[9:10], v[21:22], 1.0
	s_delay_alu instid0(VALU_DEP_2) | instskip(SKIP_1) | instid1(VALU_DEP_3)
	v_fma_f64 v[11:12], v[11:12], v[37:38], v[11:12]
	v_div_scale_f64 v[37:38], s6, 0, v[27:28], 0
	v_fma_f64 v[21:22], v[21:22], v[39:40], v[21:22]
	s_delay_alu instid0(VALU_DEP_3) | instskip(NEXT) | instid1(VALU_DEP_2)
	v_mul_f64 v[39:40], v[41:42], v[11:12]
	v_mul_f64 v[43:44], v[37:38], v[21:22]
	s_delay_alu instid0(VALU_DEP_2) | instskip(NEXT) | instid1(VALU_DEP_2)
	v_fma_f64 v[3:4], -v[3:4], v[39:40], v[41:42]
	v_fma_f64 v[9:10], -v[9:10], v[43:44], v[37:38]
	s_delay_alu instid0(VALU_DEP_2) | instskip(SKIP_1) | instid1(VALU_DEP_2)
	v_div_fmas_f64 v[3:4], v[3:4], v[11:12], v[39:40]
	s_mov_b32 vcc_lo, s6
	v_div_fmas_f64 v[11:12], v[9:10], v[21:22], v[43:44]
	s_delay_alu instid0(VALU_DEP_2) | instskip(NEXT) | instid1(VALU_DEP_2)
	v_div_fixup_f64 v[9:10], v[3:4], v[1:2], 1.0
	v_div_fixup_f64 v[11:12], v[11:12], v[27:28], 0
.LBB302_153:                            ;   in Loop: Header=BB302_4 Depth=1
	s_or_b32 exec_lo, exec_lo, s26
                                        ; implicit-def: $vgpr3_vgpr4
                                        ; implicit-def: $vgpr21_vgpr22
	s_and_not1_saveexec_b32 s6, s7
	s_cbranch_execz .LBB302_145
.LBB302_154:                            ;   in Loop: Header=BB302_4 Depth=1
	v_div_scale_f64 v[1:2], null, v[3:4], v[3:4], v[21:22]
	v_div_scale_f64 v[27:28], vcc_lo, v[21:22], v[3:4], v[21:22]
	s_delay_alu instid0(VALU_DEP_2) | instskip(SKIP_2) | instid1(VALU_DEP_1)
	v_rcp_f64_e32 v[9:10], v[1:2]
	s_waitcnt_depctr 0xfff
	v_fma_f64 v[11:12], -v[1:2], v[9:10], 1.0
	v_fma_f64 v[9:10], v[9:10], v[11:12], v[9:10]
	s_delay_alu instid0(VALU_DEP_1) | instskip(NEXT) | instid1(VALU_DEP_1)
	v_fma_f64 v[11:12], -v[1:2], v[9:10], 1.0
	v_fma_f64 v[9:10], v[9:10], v[11:12], v[9:10]
	s_delay_alu instid0(VALU_DEP_1) | instskip(NEXT) | instid1(VALU_DEP_1)
	v_mul_f64 v[11:12], v[27:28], v[9:10]
	v_fma_f64 v[1:2], -v[1:2], v[11:12], v[27:28]
	s_delay_alu instid0(VALU_DEP_1) | instskip(NEXT) | instid1(VALU_DEP_1)
	v_div_fmas_f64 v[1:2], v[1:2], v[9:10], v[11:12]
	v_div_fixup_f64 v[1:2], v[1:2], v[3:4], v[21:22]
	s_delay_alu instid0(VALU_DEP_1) | instskip(NEXT) | instid1(VALU_DEP_1)
	v_fma_f64 v[3:4], v[21:22], v[1:2], v[3:4]
	v_div_scale_f64 v[9:10], null, v[3:4], v[3:4], 1.0
	v_div_scale_f64 v[27:28], vcc_lo, 1.0, v[3:4], 1.0
	s_delay_alu instid0(VALU_DEP_2) | instskip(SKIP_2) | instid1(VALU_DEP_1)
	v_rcp_f64_e32 v[11:12], v[9:10]
	s_waitcnt_depctr 0xfff
	v_fma_f64 v[21:22], -v[9:10], v[11:12], 1.0
	v_fma_f64 v[11:12], v[11:12], v[21:22], v[11:12]
	s_delay_alu instid0(VALU_DEP_1) | instskip(NEXT) | instid1(VALU_DEP_1)
	v_fma_f64 v[21:22], -v[9:10], v[11:12], 1.0
	v_fma_f64 v[11:12], v[11:12], v[21:22], v[11:12]
	s_delay_alu instid0(VALU_DEP_1) | instskip(NEXT) | instid1(VALU_DEP_1)
	v_mul_f64 v[21:22], v[27:28], v[11:12]
	v_fma_f64 v[9:10], -v[9:10], v[21:22], v[27:28]
	s_delay_alu instid0(VALU_DEP_1) | instskip(SKIP_2) | instid1(VALU_DEP_3)
	v_div_fmas_f64 v[9:10], v[9:10], v[11:12], v[21:22]
	v_add_f64 v[11:12], v[1:2], 0
	v_fma_f64 v[1:2], v[1:2], 0, -1.0
	v_div_fixup_f64 v[3:4], v[9:10], v[3:4], 1.0
	s_delay_alu instid0(VALU_DEP_1) | instskip(NEXT) | instid1(VALU_DEP_3)
	v_mul_f64 v[9:10], v[11:12], v[3:4]
	v_mul_f64 v[11:12], v[1:2], v[3:4]
	s_or_b32 exec_lo, exec_lo, s6
	s_and_saveexec_b32 s6, s2
	s_delay_alu instid0(SALU_CYCLE_1)
	s_xor_b32 s2, exec_lo, s6
	s_cbranch_execz .LBB302_146
.LBB302_155:                            ;   in Loop: Header=BB302_4 Depth=1
	v_add_co_u32 v1, s6, s22, v23
	s_delay_alu instid0(VALU_DEP_1)
	v_add_co_ci_u32_e64 v2, null, s23, 0, s6
	global_store_b128 v[1:2], v[5:8], off
	s_or_b32 exec_lo, exec_lo, s2
	s_and_saveexec_b32 s2, s3
	s_cbranch_execz .LBB302_147
.LBB302_156:                            ;   in Loop: Header=BB302_4 Depth=1
	v_add_co_u32 v1, s3, s22, v33
	s_delay_alu instid0(VALU_DEP_1)
	v_add_co_ci_u32_e64 v2, null, s23, 0, s3
	global_store_b128 v[1:2], v[13:16], off
	s_or_b32 exec_lo, exec_lo, s2
	s_and_saveexec_b32 s2, s4
	s_cbranch_execz .LBB302_148
.LBB302_157:                            ;   in Loop: Header=BB302_4 Depth=1
	v_add_co_u32 v1, vcc_lo, s22, v34
	v_add_co_ci_u32_e32 v2, vcc_lo, s23, v32, vcc_lo
	global_store_b128 v[1:2], v[17:20], off offset:-8
	s_or_b32 exec_lo, exec_lo, s2
	s_and_saveexec_b32 s2, s5
	s_cbranch_execz .LBB302_3
.LBB302_158:                            ;   in Loop: Header=BB302_4 Depth=1
	v_add_co_u32 v1, vcc_lo, s22, v25
	v_add_co_ci_u32_e32 v2, vcc_lo, s23, v26, vcc_lo
	global_store_b128 v[1:2], v[9:12], off offset:-8
	s_branch .LBB302_3
.LBB302_159:                            ;   in Loop: Header=BB302_4 Depth=1
	s_or_b32 exec_lo, exec_lo, s6
	s_and_not1_saveexec_b32 s6, s28
	s_cbranch_execnz .LBB302_35
	s_branch .LBB302_36
.LBB302_160:                            ;   in Loop: Header=BB302_4 Depth=1
	s_delay_alu instid0(VALU_DEP_1) | instskip(NEXT) | instid1(VALU_DEP_1)
	v_add_f64 v[5:6], v[19:20], v[5:6]
	v_mul_f64 v[5:6], v[5:6], 0.5
	s_delay_alu instid0(VALU_DEP_1) | instskip(SKIP_1) | instid1(VALU_DEP_1)
	v_cmp_gt_f64_e32 vcc_lo, 0x10000000, v[5:6]
	v_cndmask_b32_e64 v7, 0, 1, vcc_lo
	v_lshlrev_b32_e32 v7, 8, v7
	s_delay_alu instid0(VALU_DEP_1) | instskip(NEXT) | instid1(VALU_DEP_1)
	v_ldexp_f64 v[5:6], v[5:6], v7
	v_rsq_f64_e32 v[7:8], v[5:6]
	s_waitcnt_depctr 0xfff
	v_mul_f64 v[13:14], v[5:6], v[7:8]
	v_mul_f64 v[7:8], v[7:8], 0.5
	s_delay_alu instid0(VALU_DEP_1) | instskip(NEXT) | instid1(VALU_DEP_1)
	v_fma_f64 v[19:20], -v[7:8], v[13:14], 0.5
	v_fma_f64 v[13:14], v[13:14], v[19:20], v[13:14]
	v_fma_f64 v[7:8], v[7:8], v[19:20], v[7:8]
	s_delay_alu instid0(VALU_DEP_2) | instskip(NEXT) | instid1(VALU_DEP_1)
	v_fma_f64 v[19:20], -v[13:14], v[13:14], v[5:6]
	v_fma_f64 v[13:14], v[19:20], v[7:8], v[13:14]
	s_delay_alu instid0(VALU_DEP_1) | instskip(NEXT) | instid1(VALU_DEP_1)
	v_fma_f64 v[19:20], -v[13:14], v[13:14], v[5:6]
	v_fma_f64 v[7:8], v[19:20], v[7:8], v[13:14]
	v_cndmask_b32_e64 v13, 0, 0xffffff80, vcc_lo
	v_cmp_class_f64_e64 vcc_lo, v[5:6], 0x260
	s_delay_alu instid0(VALU_DEP_2) | instskip(NEXT) | instid1(VALU_DEP_1)
	v_ldexp_f64 v[7:8], v[7:8], v13
	v_dual_cndmask_b32 v20, v8, v6 :: v_dual_cndmask_b32 v19, v7, v5
	s_delay_alu instid0(VALU_DEP_1) | instskip(NEXT) | instid1(VALU_DEP_1)
	v_add_f64 v[5:6], v[19:20], v[19:20]
	v_div_scale_f64 v[7:8], null, v[5:6], v[5:6], v[21:22]
	s_delay_alu instid0(VALU_DEP_1) | instskip(SKIP_2) | instid1(VALU_DEP_1)
	v_rcp_f64_e32 v[13:14], v[7:8]
	s_waitcnt_depctr 0xfff
	v_fma_f64 v[27:28], -v[7:8], v[13:14], 1.0
	v_fma_f64 v[13:14], v[13:14], v[27:28], v[13:14]
	s_delay_alu instid0(VALU_DEP_1) | instskip(NEXT) | instid1(VALU_DEP_1)
	v_fma_f64 v[27:28], -v[7:8], v[13:14], 1.0
	v_fma_f64 v[13:14], v[13:14], v[27:28], v[13:14]
	v_div_scale_f64 v[27:28], vcc_lo, v[21:22], v[5:6], v[21:22]
	s_delay_alu instid0(VALU_DEP_1) | instskip(NEXT) | instid1(VALU_DEP_1)
	v_mul_f64 v[37:38], v[27:28], v[13:14]
	v_fma_f64 v[7:8], -v[7:8], v[37:38], v[27:28]
	s_delay_alu instid0(VALU_DEP_1) | instskip(NEXT) | instid1(VALU_DEP_1)
	v_div_fmas_f64 v[7:8], v[7:8], v[13:14], v[37:38]
	v_div_fixup_f64 v[21:22], v[7:8], v[5:6], v[21:22]
                                        ; implicit-def: $vgpr5_vgpr6
	s_and_not1_saveexec_b32 s7, s7
	s_cbranch_execz .LBB302_24
.LBB302_161:                            ;   in Loop: Header=BB302_4 Depth=1
	v_add_f64 v[5:6], v[5:6], -v[19:20]
	s_delay_alu instid0(VALU_DEP_1) | instskip(NEXT) | instid1(VALU_DEP_1)
	v_mul_f64 v[5:6], v[5:6], 0.5
	v_cmp_gt_f64_e32 vcc_lo, 0x10000000, v[5:6]
	v_cndmask_b32_e64 v7, 0, 1, vcc_lo
	s_delay_alu instid0(VALU_DEP_1) | instskip(NEXT) | instid1(VALU_DEP_1)
	v_lshlrev_b32_e32 v7, 8, v7
	v_ldexp_f64 v[5:6], v[5:6], v7
	s_delay_alu instid0(VALU_DEP_1) | instskip(SKIP_3) | instid1(VALU_DEP_1)
	v_rsq_f64_e32 v[7:8], v[5:6]
	s_waitcnt_depctr 0xfff
	v_mul_f64 v[13:14], v[5:6], v[7:8]
	v_mul_f64 v[7:8], v[7:8], 0.5
	v_fma_f64 v[19:20], -v[7:8], v[13:14], 0.5
	s_delay_alu instid0(VALU_DEP_1) | instskip(SKIP_1) | instid1(VALU_DEP_2)
	v_fma_f64 v[13:14], v[13:14], v[19:20], v[13:14]
	v_fma_f64 v[7:8], v[7:8], v[19:20], v[7:8]
	v_fma_f64 v[19:20], -v[13:14], v[13:14], v[5:6]
	s_delay_alu instid0(VALU_DEP_1) | instskip(NEXT) | instid1(VALU_DEP_1)
	v_fma_f64 v[13:14], v[19:20], v[7:8], v[13:14]
	v_fma_f64 v[19:20], -v[13:14], v[13:14], v[5:6]
	s_delay_alu instid0(VALU_DEP_1) | instskip(SKIP_3) | instid1(VALU_DEP_3)
	v_fma_f64 v[7:8], v[19:20], v[7:8], v[13:14]
	v_cndmask_b32_e64 v13, 0, 0xffffff80, vcc_lo
	v_cmp_class_f64_e64 vcc_lo, v[5:6], 0x260
	v_and_b32_e32 v14, 0x7fffffff, v22
	v_ldexp_f64 v[7:8], v[7:8], v13
	s_delay_alu instid0(VALU_DEP_1) | instskip(NEXT) | instid1(VALU_DEP_1)
	v_dual_cndmask_b32 v6, v8, v6 :: v_dual_cndmask_b32 v5, v7, v5
	v_add_f64 v[7:8], v[5:6], v[5:6]
	v_bfi_b32 v6, 0x7fffffff, v6, v22
	v_mov_b32_e32 v13, v21
	s_delay_alu instid0(VALU_DEP_1) | instskip(SKIP_1) | instid1(VALU_DEP_2)
	v_div_scale_f64 v[19:20], null, v[7:8], v[7:8], v[13:14]
	v_div_scale_f64 v[13:14], vcc_lo, v[13:14], v[7:8], v[13:14]
	v_rcp_f64_e32 v[27:28], v[19:20]
	s_waitcnt_depctr 0xfff
	v_fma_f64 v[37:38], -v[19:20], v[27:28], 1.0
	s_delay_alu instid0(VALU_DEP_1) | instskip(NEXT) | instid1(VALU_DEP_1)
	v_fma_f64 v[27:28], v[27:28], v[37:38], v[27:28]
	v_fma_f64 v[37:38], -v[19:20], v[27:28], 1.0
	s_delay_alu instid0(VALU_DEP_1) | instskip(NEXT) | instid1(VALU_DEP_1)
	v_fma_f64 v[27:28], v[27:28], v[37:38], v[27:28]
	v_mul_f64 v[37:38], v[13:14], v[27:28]
	s_delay_alu instid0(VALU_DEP_1) | instskip(NEXT) | instid1(VALU_DEP_1)
	v_fma_f64 v[13:14], -v[19:20], v[37:38], v[13:14]
	v_div_fmas_f64 v[13:14], v[13:14], v[27:28], v[37:38]
	s_delay_alu instid0(VALU_DEP_1) | instskip(SKIP_3) | instid1(SALU_CYCLE_1)
	v_div_fixup_f64 v[19:20], v[13:14], v[7:8], |v[21:22]|
	v_dual_mov_b32 v22, v6 :: v_dual_mov_b32 v21, v5
	s_or_b32 exec_lo, exec_lo, s7
	s_and_saveexec_b32 s7, s6
	s_xor_b32 s6, exec_lo, s7
	s_cbranch_execz .LBB302_25
.LBB302_162:                            ;   in Loop: Header=BB302_4 Depth=1
	s_and_saveexec_b32 s7, s30
; %bb.163:                              ;   in Loop: Header=BB302_4 Depth=1
	s_delay_alu instid0(VALU_DEP_2) | instskip(NEXT) | instid1(VALU_DEP_2)
	v_mul_f64 v[19:20], v[19:20], 0.5
	v_mul_f64 v[21:22], v[21:22], 0.5
; %bb.164:                              ;   in Loop: Header=BB302_4 Depth=1
	s_or_b32 exec_lo, exec_lo, s7
	s_and_not1_saveexec_b32 s6, s6
	s_cbranch_execnz .LBB302_26
	s_branch .LBB302_27
.LBB302_165:                            ;   in Loop: Header=BB302_4 Depth=1
	s_delay_alu instid0(VALU_DEP_1) | instskip(NEXT) | instid1(VALU_DEP_1)
	v_add_f64 v[13:14], v[15:16], v[13:14]
	v_mul_f64 v[13:14], v[13:14], 0.5
	s_delay_alu instid0(VALU_DEP_1) | instskip(SKIP_1) | instid1(VALU_DEP_1)
	v_cmp_gt_f64_e32 vcc_lo, 0x10000000, v[13:14]
	v_cndmask_b32_e64 v15, 0, 1, vcc_lo
	v_lshlrev_b32_e32 v15, 8, v15
	s_delay_alu instid0(VALU_DEP_1) | instskip(NEXT) | instid1(VALU_DEP_1)
	v_ldexp_f64 v[13:14], v[13:14], v15
	v_rsq_f64_e32 v[15:16], v[13:14]
	s_waitcnt_depctr 0xfff
	v_mul_f64 v[19:20], v[13:14], v[15:16]
	v_mul_f64 v[15:16], v[15:16], 0.5
	s_delay_alu instid0(VALU_DEP_1) | instskip(NEXT) | instid1(VALU_DEP_1)
	v_fma_f64 v[21:22], -v[15:16], v[19:20], 0.5
	v_fma_f64 v[19:20], v[19:20], v[21:22], v[19:20]
	v_fma_f64 v[15:16], v[15:16], v[21:22], v[15:16]
	s_delay_alu instid0(VALU_DEP_2) | instskip(NEXT) | instid1(VALU_DEP_1)
	v_fma_f64 v[21:22], -v[19:20], v[19:20], v[13:14]
	v_fma_f64 v[19:20], v[21:22], v[15:16], v[19:20]
	s_delay_alu instid0(VALU_DEP_1) | instskip(NEXT) | instid1(VALU_DEP_1)
	v_fma_f64 v[21:22], -v[19:20], v[19:20], v[13:14]
	v_fma_f64 v[15:16], v[21:22], v[15:16], v[19:20]
	v_cndmask_b32_e64 v19, 0, 0xffffff80, vcc_lo
	v_cmp_class_f64_e64 vcc_lo, v[13:14], 0x260
	s_delay_alu instid0(VALU_DEP_2) | instskip(NEXT) | instid1(VALU_DEP_1)
	v_ldexp_f64 v[15:16], v[15:16], v19
	v_dual_cndmask_b32 v16, v16, v14 :: v_dual_cndmask_b32 v15, v15, v13
	s_delay_alu instid0(VALU_DEP_1) | instskip(NEXT) | instid1(VALU_DEP_1)
	v_add_f64 v[13:14], v[15:16], v[15:16]
	v_div_scale_f64 v[19:20], null, v[13:14], v[13:14], v[17:18]
	s_delay_alu instid0(VALU_DEP_1) | instskip(SKIP_2) | instid1(VALU_DEP_1)
	v_rcp_f64_e32 v[21:22], v[19:20]
	s_waitcnt_depctr 0xfff
	v_fma_f64 v[27:28], -v[19:20], v[21:22], 1.0
	v_fma_f64 v[21:22], v[21:22], v[27:28], v[21:22]
	s_delay_alu instid0(VALU_DEP_1) | instskip(NEXT) | instid1(VALU_DEP_1)
	v_fma_f64 v[27:28], -v[19:20], v[21:22], 1.0
	v_fma_f64 v[21:22], v[21:22], v[27:28], v[21:22]
	v_div_scale_f64 v[27:28], vcc_lo, v[17:18], v[13:14], v[17:18]
	s_delay_alu instid0(VALU_DEP_1) | instskip(NEXT) | instid1(VALU_DEP_1)
	v_mul_f64 v[37:38], v[27:28], v[21:22]
	v_fma_f64 v[19:20], -v[19:20], v[37:38], v[27:28]
	s_delay_alu instid0(VALU_DEP_1) | instskip(NEXT) | instid1(VALU_DEP_1)
	v_div_fmas_f64 v[19:20], v[19:20], v[21:22], v[37:38]
	v_div_fixup_f64 v[17:18], v[19:20], v[13:14], v[17:18]
                                        ; implicit-def: $vgpr13_vgpr14
	s_and_not1_saveexec_b32 s7, s7
	s_cbranch_execz .LBB302_58
.LBB302_166:                            ;   in Loop: Header=BB302_4 Depth=1
	v_add_f64 v[13:14], v[13:14], -v[15:16]
	s_delay_alu instid0(VALU_DEP_1) | instskip(NEXT) | instid1(VALU_DEP_1)
	v_mul_f64 v[13:14], v[13:14], 0.5
	v_cmp_gt_f64_e32 vcc_lo, 0x10000000, v[13:14]
	v_cndmask_b32_e64 v15, 0, 1, vcc_lo
	s_delay_alu instid0(VALU_DEP_1) | instskip(NEXT) | instid1(VALU_DEP_1)
	v_lshlrev_b32_e32 v15, 8, v15
	v_ldexp_f64 v[13:14], v[13:14], v15
	s_delay_alu instid0(VALU_DEP_1) | instskip(SKIP_3) | instid1(VALU_DEP_1)
	v_rsq_f64_e32 v[15:16], v[13:14]
	s_waitcnt_depctr 0xfff
	v_mul_f64 v[19:20], v[13:14], v[15:16]
	v_mul_f64 v[15:16], v[15:16], 0.5
	v_fma_f64 v[21:22], -v[15:16], v[19:20], 0.5
	s_delay_alu instid0(VALU_DEP_1) | instskip(SKIP_1) | instid1(VALU_DEP_2)
	v_fma_f64 v[19:20], v[19:20], v[21:22], v[19:20]
	v_fma_f64 v[15:16], v[15:16], v[21:22], v[15:16]
	v_fma_f64 v[21:22], -v[19:20], v[19:20], v[13:14]
	s_delay_alu instid0(VALU_DEP_1) | instskip(NEXT) | instid1(VALU_DEP_1)
	v_fma_f64 v[19:20], v[21:22], v[15:16], v[19:20]
	v_fma_f64 v[21:22], -v[19:20], v[19:20], v[13:14]
	s_delay_alu instid0(VALU_DEP_1) | instskip(SKIP_3) | instid1(VALU_DEP_3)
	v_fma_f64 v[15:16], v[21:22], v[15:16], v[19:20]
	v_cndmask_b32_e64 v19, 0, 0xffffff80, vcc_lo
	v_cmp_class_f64_e64 vcc_lo, v[13:14], 0x260
	v_and_b32_e32 v20, 0x7fffffff, v18
	v_ldexp_f64 v[15:16], v[15:16], v19
	s_delay_alu instid0(VALU_DEP_1) | instskip(NEXT) | instid1(VALU_DEP_1)
	v_dual_cndmask_b32 v14, v16, v14 :: v_dual_cndmask_b32 v13, v15, v13
	v_add_f64 v[15:16], v[13:14], v[13:14]
	v_bfi_b32 v14, 0x7fffffff, v14, v18
	v_mov_b32_e32 v19, v17
	s_delay_alu instid0(VALU_DEP_1) | instskip(SKIP_1) | instid1(VALU_DEP_2)
	v_div_scale_f64 v[21:22], null, v[15:16], v[15:16], v[19:20]
	v_div_scale_f64 v[19:20], vcc_lo, v[19:20], v[15:16], v[19:20]
	v_rcp_f64_e32 v[27:28], v[21:22]
	s_waitcnt_depctr 0xfff
	v_fma_f64 v[37:38], -v[21:22], v[27:28], 1.0
	s_delay_alu instid0(VALU_DEP_1) | instskip(NEXT) | instid1(VALU_DEP_1)
	v_fma_f64 v[27:28], v[27:28], v[37:38], v[27:28]
	v_fma_f64 v[37:38], -v[21:22], v[27:28], 1.0
	s_delay_alu instid0(VALU_DEP_1) | instskip(NEXT) | instid1(VALU_DEP_1)
	v_fma_f64 v[27:28], v[27:28], v[37:38], v[27:28]
	v_mul_f64 v[37:38], v[19:20], v[27:28]
	s_delay_alu instid0(VALU_DEP_1) | instskip(NEXT) | instid1(VALU_DEP_1)
	v_fma_f64 v[19:20], -v[21:22], v[37:38], v[19:20]
	v_div_fmas_f64 v[19:20], v[19:20], v[27:28], v[37:38]
	s_delay_alu instid0(VALU_DEP_1) | instskip(SKIP_3) | instid1(SALU_CYCLE_1)
	v_div_fixup_f64 v[15:16], v[19:20], v[15:16], |v[17:18]|
	v_dual_mov_b32 v18, v14 :: v_dual_mov_b32 v17, v13
	s_or_b32 exec_lo, exec_lo, s7
	s_and_saveexec_b32 s7, s6
	s_xor_b32 s6, exec_lo, s7
	s_cbranch_execz .LBB302_59
.LBB302_167:                            ;   in Loop: Header=BB302_4 Depth=1
	s_and_saveexec_b32 s7, s30
; %bb.168:                              ;   in Loop: Header=BB302_4 Depth=1
	s_delay_alu instid0(VALU_DEP_2) | instskip(NEXT) | instid1(VALU_DEP_2)
	v_mul_f64 v[15:16], v[15:16], 0.5
	v_mul_f64 v[17:18], v[17:18], 0.5
; %bb.169:                              ;   in Loop: Header=BB302_4 Depth=1
	s_or_b32 exec_lo, exec_lo, s7
	s_and_not1_saveexec_b32 s6, s6
	s_cbranch_execnz .LBB302_60
	s_branch .LBB302_61
.LBB302_170:                            ;   in Loop: Header=BB302_4 Depth=1
	s_delay_alu instid0(VALU_DEP_1) | instskip(NEXT) | instid1(VALU_DEP_1)
	v_add_f64 v[9:10], v[9:10], v[17:18]
	v_mul_f64 v[9:10], v[9:10], 0.5
	s_delay_alu instid0(VALU_DEP_1) | instskip(SKIP_1) | instid1(VALU_DEP_1)
	v_cmp_gt_f64_e32 vcc_lo, 0x10000000, v[9:10]
	v_cndmask_b32_e64 v17, 0, 1, vcc_lo
	v_lshlrev_b32_e32 v17, 8, v17
	s_delay_alu instid0(VALU_DEP_1) | instskip(NEXT) | instid1(VALU_DEP_1)
	v_ldexp_f64 v[9:10], v[9:10], v17
	v_rsq_f64_e32 v[17:18], v[9:10]
	s_waitcnt_depctr 0xfff
	v_mul_f64 v[19:20], v[9:10], v[17:18]
	v_mul_f64 v[17:18], v[17:18], 0.5
	s_delay_alu instid0(VALU_DEP_1) | instskip(NEXT) | instid1(VALU_DEP_1)
	v_fma_f64 v[21:22], -v[17:18], v[19:20], 0.5
	v_fma_f64 v[19:20], v[19:20], v[21:22], v[19:20]
	v_fma_f64 v[17:18], v[17:18], v[21:22], v[17:18]
	s_delay_alu instid0(VALU_DEP_2) | instskip(NEXT) | instid1(VALU_DEP_1)
	v_fma_f64 v[21:22], -v[19:20], v[19:20], v[9:10]
	v_fma_f64 v[19:20], v[21:22], v[17:18], v[19:20]
	s_delay_alu instid0(VALU_DEP_1) | instskip(NEXT) | instid1(VALU_DEP_1)
	v_fma_f64 v[21:22], -v[19:20], v[19:20], v[9:10]
	v_fma_f64 v[17:18], v[21:22], v[17:18], v[19:20]
	v_cndmask_b32_e64 v19, 0, 0xffffff80, vcc_lo
	v_cmp_class_f64_e64 vcc_lo, v[9:10], 0x260
	s_delay_alu instid0(VALU_DEP_2) | instskip(NEXT) | instid1(VALU_DEP_1)
	v_ldexp_f64 v[17:18], v[17:18], v19
	v_dual_cndmask_b32 v10, v18, v10 :: v_dual_cndmask_b32 v9, v17, v9
	s_delay_alu instid0(VALU_DEP_1) | instskip(NEXT) | instid1(VALU_DEP_1)
	v_add_f64 v[17:18], v[9:10], v[9:10]
	v_div_scale_f64 v[19:20], null, v[17:18], v[17:18], v[11:12]
	s_delay_alu instid0(VALU_DEP_1) | instskip(SKIP_2) | instid1(VALU_DEP_1)
	v_rcp_f64_e32 v[21:22], v[19:20]
	s_waitcnt_depctr 0xfff
	v_fma_f64 v[27:28], -v[19:20], v[21:22], 1.0
	v_fma_f64 v[21:22], v[21:22], v[27:28], v[21:22]
	s_delay_alu instid0(VALU_DEP_1) | instskip(NEXT) | instid1(VALU_DEP_1)
	v_fma_f64 v[27:28], -v[19:20], v[21:22], 1.0
	v_fma_f64 v[21:22], v[21:22], v[27:28], v[21:22]
	v_div_scale_f64 v[27:28], vcc_lo, v[11:12], v[17:18], v[11:12]
	s_delay_alu instid0(VALU_DEP_1) | instskip(NEXT) | instid1(VALU_DEP_1)
	v_mul_f64 v[37:38], v[27:28], v[21:22]
	v_fma_f64 v[19:20], -v[19:20], v[37:38], v[27:28]
	s_delay_alu instid0(VALU_DEP_1) | instskip(NEXT) | instid1(VALU_DEP_1)
	v_div_fmas_f64 v[19:20], v[19:20], v[21:22], v[37:38]
	v_div_fixup_f64 v[11:12], v[19:20], v[17:18], v[11:12]
                                        ; implicit-def: $vgpr17_vgpr18
	s_and_not1_saveexec_b32 s7, s7
	s_cbranch_execz .LBB302_93
.LBB302_171:                            ;   in Loop: Header=BB302_4 Depth=1
	v_add_f64 v[9:10], v[17:18], -v[9:10]
	s_delay_alu instid0(VALU_DEP_1) | instskip(NEXT) | instid1(VALU_DEP_1)
	v_mul_f64 v[9:10], v[9:10], 0.5
	v_cmp_gt_f64_e32 vcc_lo, 0x10000000, v[9:10]
	v_cndmask_b32_e64 v17, 0, 1, vcc_lo
	s_delay_alu instid0(VALU_DEP_1) | instskip(NEXT) | instid1(VALU_DEP_1)
	v_lshlrev_b32_e32 v17, 8, v17
	v_ldexp_f64 v[9:10], v[9:10], v17
	s_delay_alu instid0(VALU_DEP_1) | instskip(SKIP_3) | instid1(VALU_DEP_1)
	v_rsq_f64_e32 v[17:18], v[9:10]
	s_waitcnt_depctr 0xfff
	v_mul_f64 v[19:20], v[9:10], v[17:18]
	v_mul_f64 v[17:18], v[17:18], 0.5
	v_fma_f64 v[21:22], -v[17:18], v[19:20], 0.5
	s_delay_alu instid0(VALU_DEP_1) | instskip(SKIP_1) | instid1(VALU_DEP_2)
	v_fma_f64 v[19:20], v[19:20], v[21:22], v[19:20]
	v_fma_f64 v[17:18], v[17:18], v[21:22], v[17:18]
	v_fma_f64 v[21:22], -v[19:20], v[19:20], v[9:10]
	s_delay_alu instid0(VALU_DEP_1) | instskip(NEXT) | instid1(VALU_DEP_1)
	v_fma_f64 v[19:20], v[21:22], v[17:18], v[19:20]
	v_fma_f64 v[21:22], -v[19:20], v[19:20], v[9:10]
	s_delay_alu instid0(VALU_DEP_1) | instskip(SKIP_3) | instid1(VALU_DEP_3)
	v_fma_f64 v[17:18], v[21:22], v[17:18], v[19:20]
	v_cndmask_b32_e64 v19, 0, 0xffffff80, vcc_lo
	v_cmp_class_f64_e64 vcc_lo, v[9:10], 0x260
	v_and_b32_e32 v20, 0x7fffffff, v12
	v_ldexp_f64 v[17:18], v[17:18], v19
	s_delay_alu instid0(VALU_DEP_1) | instskip(NEXT) | instid1(VALU_DEP_1)
	v_dual_cndmask_b32 v18, v18, v10 :: v_dual_cndmask_b32 v17, v17, v9
	v_add_f64 v[9:10], v[17:18], v[17:18]
	v_bfi_b32 v18, 0x7fffffff, v18, v12
	v_mov_b32_e32 v19, v11
	s_delay_alu instid0(VALU_DEP_1) | instskip(SKIP_1) | instid1(VALU_DEP_2)
	v_div_scale_f64 v[21:22], null, v[9:10], v[9:10], v[19:20]
	v_div_scale_f64 v[19:20], vcc_lo, v[19:20], v[9:10], v[19:20]
	v_rcp_f64_e32 v[27:28], v[21:22]
	s_waitcnt_depctr 0xfff
	v_fma_f64 v[37:38], -v[21:22], v[27:28], 1.0
	s_delay_alu instid0(VALU_DEP_1) | instskip(NEXT) | instid1(VALU_DEP_1)
	v_fma_f64 v[27:28], v[27:28], v[37:38], v[27:28]
	v_fma_f64 v[37:38], -v[21:22], v[27:28], 1.0
	s_delay_alu instid0(VALU_DEP_1) | instskip(NEXT) | instid1(VALU_DEP_1)
	v_fma_f64 v[27:28], v[27:28], v[37:38], v[27:28]
	v_mul_f64 v[37:38], v[19:20], v[27:28]
	s_delay_alu instid0(VALU_DEP_1) | instskip(NEXT) | instid1(VALU_DEP_1)
	v_fma_f64 v[19:20], -v[21:22], v[37:38], v[19:20]
	v_div_fmas_f64 v[19:20], v[19:20], v[27:28], v[37:38]
	s_delay_alu instid0(VALU_DEP_1) | instskip(SKIP_3) | instid1(SALU_CYCLE_1)
	v_div_fixup_f64 v[9:10], v[19:20], v[9:10], |v[11:12]|
	v_dual_mov_b32 v11, v17 :: v_dual_mov_b32 v12, v18
	s_or_b32 exec_lo, exec_lo, s7
	s_and_saveexec_b32 s7, s6
	s_xor_b32 s6, exec_lo, s7
	s_cbranch_execz .LBB302_94
.LBB302_172:                            ;   in Loop: Header=BB302_4 Depth=1
	s_and_saveexec_b32 s7, s30
; %bb.173:                              ;   in Loop: Header=BB302_4 Depth=1
	s_delay_alu instid0(VALU_DEP_2) | instskip(NEXT) | instid1(VALU_DEP_2)
	v_mul_f64 v[9:10], v[9:10], 0.5
	v_mul_f64 v[11:12], v[11:12], 0.5
; %bb.174:                              ;   in Loop: Header=BB302_4 Depth=1
	s_or_b32 exec_lo, exec_lo, s7
	s_and_not1_saveexec_b32 s6, s6
	s_cbranch_execnz .LBB302_95
	s_branch .LBB302_96
.LBB302_175:                            ;   in Loop: Header=BB302_4 Depth=1
	s_delay_alu instid0(VALU_DEP_1) | instskip(NEXT) | instid1(VALU_DEP_1)
	v_add_f64 v[1:2], v[1:2], v[9:10]
	v_mul_f64 v[1:2], v[1:2], 0.5
	s_delay_alu instid0(VALU_DEP_1) | instskip(SKIP_1) | instid1(VALU_DEP_1)
	v_cmp_gt_f64_e32 vcc_lo, 0x10000000, v[1:2]
	v_cndmask_b32_e64 v9, 0, 1, vcc_lo
	v_lshlrev_b32_e32 v9, 8, v9
	s_delay_alu instid0(VALU_DEP_1) | instskip(NEXT) | instid1(VALU_DEP_1)
	v_ldexp_f64 v[1:2], v[1:2], v9
	v_rsq_f64_e32 v[9:10], v[1:2]
	s_waitcnt_depctr 0xfff
	v_mul_f64 v[11:12], v[1:2], v[9:10]
	v_mul_f64 v[9:10], v[9:10], 0.5
	s_delay_alu instid0(VALU_DEP_1) | instskip(NEXT) | instid1(VALU_DEP_1)
	v_fma_f64 v[21:22], -v[9:10], v[11:12], 0.5
	v_fma_f64 v[11:12], v[11:12], v[21:22], v[11:12]
	v_fma_f64 v[9:10], v[9:10], v[21:22], v[9:10]
	s_delay_alu instid0(VALU_DEP_2) | instskip(NEXT) | instid1(VALU_DEP_1)
	v_fma_f64 v[21:22], -v[11:12], v[11:12], v[1:2]
	v_fma_f64 v[11:12], v[21:22], v[9:10], v[11:12]
	s_delay_alu instid0(VALU_DEP_1) | instskip(NEXT) | instid1(VALU_DEP_1)
	v_fma_f64 v[21:22], -v[11:12], v[11:12], v[1:2]
	v_fma_f64 v[9:10], v[21:22], v[9:10], v[11:12]
	v_cndmask_b32_e64 v11, 0, 0xffffff80, vcc_lo
	v_cmp_class_f64_e64 vcc_lo, v[1:2], 0x260
	s_delay_alu instid0(VALU_DEP_2) | instskip(NEXT) | instid1(VALU_DEP_1)
	v_ldexp_f64 v[9:10], v[9:10], v11
	v_dual_cndmask_b32 v2, v10, v2 :: v_dual_cndmask_b32 v1, v9, v1
	s_delay_alu instid0(VALU_DEP_1) | instskip(NEXT) | instid1(VALU_DEP_1)
	v_add_f64 v[9:10], v[1:2], v[1:2]
	v_div_scale_f64 v[11:12], null, v[9:10], v[9:10], v[3:4]
	s_delay_alu instid0(VALU_DEP_1) | instskip(SKIP_2) | instid1(VALU_DEP_1)
	v_rcp_f64_e32 v[21:22], v[11:12]
	s_waitcnt_depctr 0xfff
	v_fma_f64 v[27:28], -v[11:12], v[21:22], 1.0
	v_fma_f64 v[21:22], v[21:22], v[27:28], v[21:22]
	s_delay_alu instid0(VALU_DEP_1) | instskip(NEXT) | instid1(VALU_DEP_1)
	v_fma_f64 v[27:28], -v[11:12], v[21:22], 1.0
	v_fma_f64 v[21:22], v[21:22], v[27:28], v[21:22]
	v_div_scale_f64 v[27:28], vcc_lo, v[3:4], v[9:10], v[3:4]
	s_delay_alu instid0(VALU_DEP_1) | instskip(NEXT) | instid1(VALU_DEP_1)
	v_mul_f64 v[37:38], v[27:28], v[21:22]
	v_fma_f64 v[11:12], -v[11:12], v[37:38], v[27:28]
	s_delay_alu instid0(VALU_DEP_1) | instskip(NEXT) | instid1(VALU_DEP_1)
	v_div_fmas_f64 v[11:12], v[11:12], v[21:22], v[37:38]
	v_div_fixup_f64 v[3:4], v[11:12], v[9:10], v[3:4]
                                        ; implicit-def: $vgpr9_vgpr10
	s_and_not1_saveexec_b32 s7, s7
	s_cbranch_execz .LBB302_128
.LBB302_176:                            ;   in Loop: Header=BB302_4 Depth=1
	v_add_f64 v[1:2], v[9:10], -v[1:2]
	s_delay_alu instid0(VALU_DEP_1) | instskip(NEXT) | instid1(VALU_DEP_1)
	v_mul_f64 v[1:2], v[1:2], 0.5
	v_cmp_gt_f64_e32 vcc_lo, 0x10000000, v[1:2]
	v_cndmask_b32_e64 v9, 0, 1, vcc_lo
	s_delay_alu instid0(VALU_DEP_1) | instskip(NEXT) | instid1(VALU_DEP_1)
	v_lshlrev_b32_e32 v9, 8, v9
	v_ldexp_f64 v[1:2], v[1:2], v9
	s_delay_alu instid0(VALU_DEP_1) | instskip(SKIP_3) | instid1(VALU_DEP_1)
	v_rsq_f64_e32 v[9:10], v[1:2]
	s_waitcnt_depctr 0xfff
	v_mul_f64 v[11:12], v[1:2], v[9:10]
	v_mul_f64 v[9:10], v[9:10], 0.5
	v_fma_f64 v[21:22], -v[9:10], v[11:12], 0.5
	s_delay_alu instid0(VALU_DEP_1) | instskip(SKIP_1) | instid1(VALU_DEP_2)
	v_fma_f64 v[11:12], v[11:12], v[21:22], v[11:12]
	v_fma_f64 v[9:10], v[9:10], v[21:22], v[9:10]
	v_fma_f64 v[21:22], -v[11:12], v[11:12], v[1:2]
	s_delay_alu instid0(VALU_DEP_1) | instskip(NEXT) | instid1(VALU_DEP_1)
	v_fma_f64 v[11:12], v[21:22], v[9:10], v[11:12]
	v_fma_f64 v[21:22], -v[11:12], v[11:12], v[1:2]
	s_delay_alu instid0(VALU_DEP_1) | instskip(SKIP_3) | instid1(VALU_DEP_3)
	v_fma_f64 v[9:10], v[21:22], v[9:10], v[11:12]
	v_cndmask_b32_e64 v11, 0, 0xffffff80, vcc_lo
	v_cmp_class_f64_e64 vcc_lo, v[1:2], 0x260
	v_and_b32_e32 v12, 0x7fffffff, v4
	v_ldexp_f64 v[9:10], v[9:10], v11
	s_delay_alu instid0(VALU_DEP_1) | instskip(NEXT) | instid1(VALU_DEP_1)
	v_dual_cndmask_b32 v10, v10, v2 :: v_dual_cndmask_b32 v9, v9, v1
	v_add_f64 v[1:2], v[9:10], v[9:10]
	v_bfi_b32 v10, 0x7fffffff, v10, v4
	v_mov_b32_e32 v11, v3
	s_delay_alu instid0(VALU_DEP_1) | instskip(SKIP_1) | instid1(VALU_DEP_2)
	v_div_scale_f64 v[21:22], null, v[1:2], v[1:2], v[11:12]
	v_div_scale_f64 v[11:12], vcc_lo, v[11:12], v[1:2], v[11:12]
	v_rcp_f64_e32 v[27:28], v[21:22]
	s_waitcnt_depctr 0xfff
	v_fma_f64 v[37:38], -v[21:22], v[27:28], 1.0
	s_delay_alu instid0(VALU_DEP_1) | instskip(NEXT) | instid1(VALU_DEP_1)
	v_fma_f64 v[27:28], v[27:28], v[37:38], v[27:28]
	v_fma_f64 v[37:38], -v[21:22], v[27:28], 1.0
	s_delay_alu instid0(VALU_DEP_1) | instskip(NEXT) | instid1(VALU_DEP_1)
	v_fma_f64 v[27:28], v[27:28], v[37:38], v[27:28]
	v_mul_f64 v[37:38], v[11:12], v[27:28]
	s_delay_alu instid0(VALU_DEP_1) | instskip(NEXT) | instid1(VALU_DEP_1)
	v_fma_f64 v[11:12], -v[21:22], v[37:38], v[11:12]
	v_div_fmas_f64 v[11:12], v[11:12], v[27:28], v[37:38]
	s_delay_alu instid0(VALU_DEP_1) | instskip(SKIP_3) | instid1(SALU_CYCLE_1)
	v_div_fixup_f64 v[1:2], v[11:12], v[1:2], |v[3:4]|
	v_dual_mov_b32 v3, v9 :: v_dual_mov_b32 v4, v10
	s_or_b32 exec_lo, exec_lo, s7
	s_and_saveexec_b32 s7, s6
	s_xor_b32 s6, exec_lo, s7
	s_cbranch_execz .LBB302_129
.LBB302_177:                            ;   in Loop: Header=BB302_4 Depth=1
	s_and_saveexec_b32 s7, s30
; %bb.178:                              ;   in Loop: Header=BB302_4 Depth=1
	s_delay_alu instid0(VALU_DEP_2) | instskip(NEXT) | instid1(VALU_DEP_2)
	v_mul_f64 v[1:2], v[1:2], 0.5
	v_mul_f64 v[3:4], v[3:4], 0.5
; %bb.179:                              ;   in Loop: Header=BB302_4 Depth=1
	s_or_b32 exec_lo, exec_lo, s7
	s_and_not1_saveexec_b32 s6, s6
	s_cbranch_execnz .LBB302_130
	s_branch .LBB302_131
.LBB302_180:
	s_cbranch_execz .LBB302_182
	s_branch .LBB302_345
.LBB302_181:
.LBB302_182:
	v_dual_mov_b32 v23, 0 :: v_dual_lshlrev_b32 v22, 2, v0
	s_mov_b32 s6, 0
	s_mov_b32 s2, exec_lo
	s_delay_alu instid0(VALU_DEP_1)
	v_cmpx_gt_i64_e64 s[8:9], v[22:23]
	s_cbranch_execz .LBB302_345
; %bb.183:
	s_load_b32 s0, s[0:1], 0xd3c
	v_lshlrev_b32_e32 v1, 6, v0
	s_mov_b32 s2, 0x99fcef32
	s_mov_b32 s4, 0
	s_mov_b32 s3, 0x7fda8279
	s_mov_b32 s5, 0x7ff00000
	s_waitcnt lgkmcnt(0)
	s_and_b32 s0, s0, 0xffff
	s_delay_alu instid0(SALU_CYCLE_1)
	s_lshl_b32 s7, s0, 2
	s_add_u32 s1, s10, s12
	s_addc_u32 s10, s11, s13
	v_add_co_u32 v24, s1, s1, v1
	v_add_lshl_u32 v22, v0, s0, 2
	v_add_co_ci_u32_e64 v25, null, s10, 0, s1
	s_lshl_b32 s10, s0, 6
	s_branch .LBB302_185
.LBB302_184:                            ;   in Loop: Header=BB302_185 Depth=1
	s_or_b32 exec_lo, exec_lo, s0
	v_cmp_le_i64_e32 vcc_lo, s[8:9], v[22:23]
	v_cmp_lt_u64_e64 s0, 0xffff, v[22:23]
	s_clause 0x3
	global_store_b128 v[24:25], v[4:7], off
	global_store_b128 v[24:25], v[12:15], off offset:16
	global_store_b128 v[24:25], v[16:19], off offset:32
	;; [unrolled: 1-line block ×3, first 2 shown]
	s_or_b32 s0, vcc_lo, s0
	v_add_co_u32 v22, vcc_lo, v22, s7
	v_add_co_ci_u32_e32 v23, vcc_lo, 0, v23, vcc_lo
	v_add_co_u32 v24, vcc_lo, v24, s10
	v_add_co_ci_u32_e32 v25, vcc_lo, 0, v25, vcc_lo
	s_and_b32 s0, exec_lo, s0
	s_delay_alu instid0(SALU_CYCLE_1) | instskip(NEXT) | instid1(SALU_CYCLE_1)
	s_or_b32 s6, s0, s6
	s_and_not1_b32 exec_lo, exec_lo, s6
	s_cbranch_execz .LBB302_345
.LBB302_185:                            ; =>This Inner Loop Header: Depth=1
	s_clause 0x3
	global_load_b128 v[18:21], v[24:25], off
	global_load_b128 v[14:17], v[24:25], off offset:16
	global_load_b128 v[0:3], v[24:25], off offset:48
	global_load_b128 v[8:11], v[24:25], off offset:32
	v_mov_b32_e32 v12, 0
	v_mov_b32_e32 v13, 0
	s_waitcnt vmcnt(3)
	v_cmp_neq_f64_e32 vcc_lo, 0, v[18:19]
	v_cmp_neq_f64_e64 s0, 0, v[20:21]
	s_delay_alu instid0(VALU_DEP_1) | instskip(NEXT) | instid1(SALU_CYCLE_1)
	s_or_b32 s0, vcc_lo, s0
	s_and_saveexec_b32 s11, s0
	s_cbranch_execz .LBB302_211
; %bb.186:                              ;   in Loop: Header=BB302_185 Depth=1
	v_mov_b32_e32 v12, s4
	v_mov_b32_e32 v13, s5
	s_mov_b32 s12, exec_lo
	v_cmpx_neq_f64_e64 0x7ff00000, |v[20:21]|
	s_cbranch_execz .LBB302_210
; %bb.187:                              ;   in Loop: Header=BB302_185 Depth=1
	s_mov_b32 s0, exec_lo
	v_cmpx_o_f64_e32 v[18:19], v[18:19]
	s_xor_b32 s13, exec_lo, s0
	s_cbranch_execz .LBB302_207
; %bb.188:                              ;   in Loop: Header=BB302_185 Depth=1
	s_mov_b32 s1, exec_lo
	v_cmpx_neq_f64_e64 0x7ff00000, |v[18:19]|
	s_xor_b32 s14, exec_lo, s1
	s_cbranch_execz .LBB302_201
; %bb.189:                              ;   in Loop: Header=BB302_185 Depth=1
	v_max_f64 v[4:5], |v[20:21]|, |v[20:21]|
	v_max_f64 v[6:7], |v[18:19]|, |v[18:19]|
                                        ; implicit-def: $sgpr15
	s_delay_alu instid0(VALU_DEP_1) | instskip(NEXT) | instid1(VALU_DEP_1)
	v_max_f64 v[4:5], v[6:7], v[4:5]
	v_cmp_nle_f64_e64 s0, s[2:3], v[4:5]
	s_delay_alu instid0(VALU_DEP_1) | instskip(NEXT) | instid1(SALU_CYCLE_1)
	s_and_saveexec_b32 s1, s0
	s_xor_b32 s1, exec_lo, s1
	s_cbranch_execz .LBB302_193
; %bb.190:                              ;   in Loop: Header=BB302_185 Depth=1
	v_cmp_ge_f64_e64 s15, 0x200000, |v[18:19]|
	v_cmp_ge_f64_e64 s16, 0x200000, |v[20:21]|
	s_delay_alu instid0(VALU_DEP_1)
	s_and_b32 s17, s15, s16
	s_mov_b32 s15, 0
	s_and_saveexec_b32 s16, s17
; %bb.191:                              ;   in Loop: Header=BB302_185 Depth=1
	v_mul_f64 v[18:19], v[18:19], 4.0
	v_mul_f64 v[20:21], v[20:21], 4.0
	s_mov_b32 s15, exec_lo
; %bb.192:                              ;   in Loop: Header=BB302_185 Depth=1
	s_or_b32 exec_lo, exec_lo, s16
	s_delay_alu instid0(SALU_CYCLE_1)
	s_and_b32 s15, s15, exec_lo
.LBB302_193:                            ;   in Loop: Header=BB302_185 Depth=1
	s_and_not1_saveexec_b32 s1, s1
; %bb.194:                              ;   in Loop: Header=BB302_185 Depth=1
	s_delay_alu instid0(VALU_DEP_2) | instskip(NEXT) | instid1(VALU_DEP_2)
	v_ldexp_f64 v[18:19], v[18:19], -2
	v_ldexp_f64 v[20:21], v[20:21], -2
	s_and_not1_b32 s15, s15, exec_lo
; %bb.195:                              ;   in Loop: Header=BB302_185 Depth=1
	s_or_b32 exec_lo, exec_lo, s1
	s_delay_alu instid0(VALU_DEP_1) | instskip(NEXT) | instid1(VALU_DEP_3)
	v_max_f64 v[4:5], |v[20:21]|, |v[20:21]|
	v_max_f64 v[6:7], |v[18:19]|, |v[18:19]|
	v_cmp_class_f64_e64 s16, v[18:19], 0x204
	v_cmp_class_f64_e64 s17, v[20:21], 0x204
	v_cmp_le_f64_e64 s1, 0, v[18:19]
	s_delay_alu instid0(VALU_DEP_4) | instskip(NEXT) | instid1(VALU_DEP_3)
	v_max_f64 v[4:5], v[6:7], v[4:5]
	s_or_b32 s16, s17, s16
	s_delay_alu instid0(VALU_DEP_1) | instskip(NEXT) | instid1(VALU_DEP_1)
	v_frexp_exp_i32_f64_e32 v28, v[4:5]
	v_sub_nc_u32_e32 v6, 0, v28
	s_delay_alu instid0(VALU_DEP_1) | instskip(SKIP_1) | instid1(VALU_DEP_2)
	v_ldexp_f64 v[4:5], |v[20:21]|, v6
	v_ldexp_f64 v[6:7], |v[18:19]|, v6
	v_mul_f64 v[4:5], v[4:5], v[4:5]
	s_delay_alu instid0(VALU_DEP_1) | instskip(NEXT) | instid1(VALU_DEP_1)
	v_fma_f64 v[4:5], v[6:7], v[6:7], v[4:5]
	v_rsq_f64_e32 v[6:7], v[4:5]
	v_cmp_eq_f64_e32 vcc_lo, 0, v[4:5]
	s_waitcnt_depctr 0xfff
	v_mul_f64 v[12:13], v[4:5], v[6:7]
	v_mul_f64 v[6:7], v[6:7], 0.5
	s_delay_alu instid0(VALU_DEP_1) | instskip(NEXT) | instid1(VALU_DEP_1)
	v_fma_f64 v[26:27], -v[6:7], v[12:13], 0.5
	v_fma_f64 v[12:13], v[12:13], v[26:27], v[12:13]
	v_fma_f64 v[6:7], v[6:7], v[26:27], v[6:7]
	s_delay_alu instid0(VALU_DEP_2) | instskip(NEXT) | instid1(VALU_DEP_1)
	v_fma_f64 v[26:27], -v[12:13], v[12:13], v[4:5]
	v_fma_f64 v[6:7], v[26:27], v[6:7], v[12:13]
	s_delay_alu instid0(VALU_DEP_1) | instskip(SKIP_1) | instid1(VALU_DEP_2)
	v_dual_cndmask_b32 v5, v7, v5 :: v_dual_cndmask_b32 v4, v6, v4
	v_cmp_o_f64_e32 vcc_lo, v[20:21], v[20:21]
	v_ldexp_f64 v[4:5], v[4:5], v28
	s_delay_alu instid0(VALU_DEP_1) | instskip(NEXT) | instid1(VALU_DEP_2)
	v_cndmask_b32_e32 v4, 0, v4, vcc_lo
	v_cndmask_b32_e32 v5, 0x7ff80000, v5, vcc_lo
	s_delay_alu instid0(VALU_DEP_2) | instskip(NEXT) | instid1(VALU_DEP_2)
	v_cndmask_b32_e64 v4, v4, 0, s16
	v_cndmask_b32_e64 v5, v5, 0x7ff00000, s16
	s_and_saveexec_b32 s16, s1
	s_delay_alu instid0(SALU_CYCLE_1)
	s_xor_b32 s1, exec_lo, s16
	s_cbranch_execnz .LBB302_325
; %bb.196:                              ;   in Loop: Header=BB302_185 Depth=1
	s_and_not1_saveexec_b32 s1, s1
	s_cbranch_execnz .LBB302_326
.LBB302_197:                            ;   in Loop: Header=BB302_185 Depth=1
	s_or_b32 exec_lo, exec_lo, s1
	s_and_saveexec_b32 s1, s0
	s_delay_alu instid0(SALU_CYCLE_1)
	s_xor_b32 s0, exec_lo, s1
	s_cbranch_execnz .LBB302_327
.LBB302_198:                            ;   in Loop: Header=BB302_185 Depth=1
	s_and_not1_saveexec_b32 s0, s0
.LBB302_199:                            ;   in Loop: Header=BB302_185 Depth=1
	s_delay_alu instid0(VALU_DEP_2) | instskip(NEXT) | instid1(VALU_DEP_2)
	v_add_f64 v[18:19], v[18:19], v[18:19]
	v_add_f64 v[20:21], v[20:21], v[20:21]
.LBB302_200:                            ;   in Loop: Header=BB302_185 Depth=1
	s_or_b32 exec_lo, exec_lo, s0
.LBB302_201:                            ;   in Loop: Header=BB302_185 Depth=1
	s_and_not1_saveexec_b32 s0, s14
	s_cbranch_execz .LBB302_324
; %bb.202:                              ;   in Loop: Header=BB302_185 Depth=1
	s_delay_alu instid0(VALU_DEP_1) | instskip(SKIP_1) | instid1(VALU_DEP_3)
	v_add_f64 v[4:5], v[20:21], -v[20:21]
	s_mov_b32 s1, exec_lo
	v_cmpx_lt_i64_e32 -1, v[18:19]
	s_xor_b32 s1, exec_lo, s1
; %bb.203:                              ;   in Loop: Header=BB302_185 Depth=1
	s_delay_alu instid0(VALU_DEP_2) | instskip(NEXT) | instid1(VALU_DEP_1)
	v_bfi_b32 v5, 0x7fffffff, v5, v21
	v_dual_mov_b32 v21, v5 :: v_dual_mov_b32 v20, v4
                                        ; implicit-def: $vgpr4_vgpr5
; %bb.204:                              ;   in Loop: Header=BB302_185 Depth=1
	s_and_not1_saveexec_b32 s1, s1
; %bb.205:                              ;   in Loop: Header=BB302_185 Depth=1
	s_delay_alu instid0(VALU_DEP_1) | instskip(SKIP_1) | instid1(VALU_DEP_2)
	v_bfi_b32 v19, 0x7fffffff, v19, v21
	v_and_b32_e32 v5, 0x7fffffff, v5
	v_dual_mov_b32 v21, v19 :: v_dual_mov_b32 v20, v18
	s_delay_alu instid0(VALU_DEP_2)
	v_dual_mov_b32 v19, v5 :: v_dual_mov_b32 v18, v4
; %bb.206:                              ;   in Loop: Header=BB302_185 Depth=1
	s_or_b32 exec_lo, exec_lo, s1
	s_delay_alu instid0(SALU_CYCLE_1)
	s_or_b32 exec_lo, exec_lo, s0
.LBB302_207:                            ;   in Loop: Header=BB302_185 Depth=1
	s_and_not1_saveexec_b32 s0, s13
.LBB302_208:                            ;   in Loop: Header=BB302_185 Depth=1
	s_delay_alu instid0(VALU_DEP_1) | instskip(NEXT) | instid1(VALU_DEP_1)
	v_add_f64 v[4:5], v[20:21], -v[20:21]
	v_div_scale_f64 v[6:7], vcc_lo, v[4:5], v[4:5], v[4:5]
	s_delay_alu instid0(VALU_DEP_1) | instskip(SKIP_2) | instid1(VALU_DEP_1)
	v_rcp_f64_e32 v[12:13], v[6:7]
	s_waitcnt_depctr 0xfff
	v_fma_f64 v[20:21], -v[6:7], v[12:13], 1.0
	v_fma_f64 v[12:13], v[12:13], v[20:21], v[12:13]
	s_delay_alu instid0(VALU_DEP_1) | instskip(NEXT) | instid1(VALU_DEP_1)
	v_fma_f64 v[20:21], -v[6:7], v[12:13], 1.0
	v_fma_f64 v[12:13], v[12:13], v[20:21], v[12:13]
	s_delay_alu instid0(VALU_DEP_1) | instskip(NEXT) | instid1(VALU_DEP_1)
	v_mul_f64 v[20:21], v[6:7], v[12:13]
	v_fma_f64 v[6:7], -v[6:7], v[20:21], v[6:7]
	s_delay_alu instid0(VALU_DEP_1) | instskip(NEXT) | instid1(VALU_DEP_1)
	v_div_fmas_f64 v[6:7], v[6:7], v[12:13], v[20:21]
	v_div_fixup_f64 v[20:21], v[6:7], v[4:5], v[4:5]
.LBB302_209:                            ;   in Loop: Header=BB302_185 Depth=1
	s_or_b32 exec_lo, exec_lo, s0
	s_delay_alu instid0(VALU_DEP_2)
	v_dual_mov_b32 v12, v18 :: v_dual_mov_b32 v13, v19
.LBB302_210:                            ;   in Loop: Header=BB302_185 Depth=1
	s_or_b32 exec_lo, exec_lo, s12
.LBB302_211:                            ;   in Loop: Header=BB302_185 Depth=1
	s_delay_alu instid0(SALU_CYCLE_1) | instskip(NEXT) | instid1(VALU_DEP_1)
	s_or_b32 exec_lo, exec_lo, s11
	v_cmp_gt_f64_e32 vcc_lo, 0, v[12:13]
	s_delay_alu instid0(VALU_DEP_3) | instskip(SKIP_2) | instid1(VALU_DEP_2)
	v_cmp_gt_f64_e64 s0, 0, v[20:21]
	v_xor_b32_e32 v4, 0x80000000, v13
	v_xor_b32_e32 v5, 0x80000000, v21
                                        ; implicit-def: $vgpr6_vgpr7
	v_cndmask_b32_e32 v19, v13, v4, vcc_lo
	s_delay_alu instid0(VALU_DEP_2) | instskip(SKIP_3) | instid1(VALU_DEP_1)
	v_cndmask_b32_e64 v27, v21, v5, s0
	v_cndmask_b32_e32 v18, v12, v12, vcc_lo
	v_cndmask_b32_e64 v26, v20, v20, s0
	s_mov_b32 s0, exec_lo
	v_cmpx_ge_f64_e32 v[18:19], v[26:27]
	s_xor_b32 s1, exec_lo, s0
	s_cbranch_execz .LBB302_217
; %bb.212:                              ;   in Loop: Header=BB302_185 Depth=1
	v_cmp_neq_f64_e32 vcc_lo, 0, v[12:13]
	v_cmp_neq_f64_e64 s0, 0, v[20:21]
                                        ; implicit-def: $vgpr6_vgpr7
	s_delay_alu instid0(VALU_DEP_1) | instskip(NEXT) | instid1(SALU_CYCLE_1)
	s_or_b32 s0, vcc_lo, s0
	s_and_saveexec_b32 s11, s0
	s_delay_alu instid0(SALU_CYCLE_1)
	s_xor_b32 s0, exec_lo, s11
	s_cbranch_execz .LBB302_214
; %bb.213:                              ;   in Loop: Header=BB302_185 Depth=1
	v_div_scale_f64 v[4:5], null, v[12:13], v[12:13], v[20:21]
	v_div_scale_f64 v[26:27], vcc_lo, v[20:21], v[12:13], v[20:21]
	s_delay_alu instid0(VALU_DEP_2) | instskip(SKIP_2) | instid1(VALU_DEP_1)
	v_rcp_f64_e32 v[6:7], v[4:5]
	s_waitcnt_depctr 0xfff
	v_fma_f64 v[18:19], -v[4:5], v[6:7], 1.0
	v_fma_f64 v[6:7], v[6:7], v[18:19], v[6:7]
	s_delay_alu instid0(VALU_DEP_1) | instskip(NEXT) | instid1(VALU_DEP_1)
	v_fma_f64 v[18:19], -v[4:5], v[6:7], 1.0
	v_fma_f64 v[6:7], v[6:7], v[18:19], v[6:7]
	s_delay_alu instid0(VALU_DEP_1) | instskip(NEXT) | instid1(VALU_DEP_1)
	v_mul_f64 v[18:19], v[26:27], v[6:7]
	v_fma_f64 v[4:5], -v[4:5], v[18:19], v[26:27]
	s_delay_alu instid0(VALU_DEP_1) | instskip(NEXT) | instid1(VALU_DEP_1)
	v_div_fmas_f64 v[4:5], v[4:5], v[6:7], v[18:19]
	v_div_fixup_f64 v[4:5], v[4:5], v[12:13], v[20:21]
	s_delay_alu instid0(VALU_DEP_1) | instskip(NEXT) | instid1(VALU_DEP_1)
	v_fma_f64 v[6:7], v[20:21], v[4:5], v[12:13]
	v_div_scale_f64 v[12:13], null, v[6:7], v[6:7], 1.0
	v_div_scale_f64 v[26:27], vcc_lo, 1.0, v[6:7], 1.0
	s_delay_alu instid0(VALU_DEP_2) | instskip(SKIP_2) | instid1(VALU_DEP_1)
	v_rcp_f64_e32 v[18:19], v[12:13]
	s_waitcnt_depctr 0xfff
	v_fma_f64 v[20:21], -v[12:13], v[18:19], 1.0
	v_fma_f64 v[18:19], v[18:19], v[20:21], v[18:19]
	s_delay_alu instid0(VALU_DEP_1) | instskip(NEXT) | instid1(VALU_DEP_1)
	v_fma_f64 v[20:21], -v[12:13], v[18:19], 1.0
	v_fma_f64 v[18:19], v[18:19], v[20:21], v[18:19]
	s_delay_alu instid0(VALU_DEP_1) | instskip(NEXT) | instid1(VALU_DEP_1)
	v_mul_f64 v[20:21], v[26:27], v[18:19]
	v_fma_f64 v[12:13], -v[12:13], v[20:21], v[26:27]
                                        ; implicit-def: $vgpr26_vgpr27
	s_delay_alu instid0(VALU_DEP_1) | instskip(SKIP_1) | instid1(VALU_DEP_2)
	v_div_fmas_f64 v[12:13], v[12:13], v[18:19], v[20:21]
	v_fma_f64 v[18:19], v[4:5], 0, 1.0
	v_div_fixup_f64 v[6:7], v[12:13], v[6:7], 1.0
	v_add_f64 v[12:13], -v[4:5], 0
	s_delay_alu instid0(VALU_DEP_2) | instskip(NEXT) | instid1(VALU_DEP_2)
	v_mul_f64 v[4:5], v[18:19], v[6:7]
	v_mul_f64 v[6:7], v[12:13], v[6:7]
                                        ; implicit-def: $vgpr18_vgpr19
.LBB302_214:                            ;   in Loop: Header=BB302_185 Depth=1
	s_and_not1_saveexec_b32 s11, s0
	s_cbranch_execz .LBB302_216
; %bb.215:                              ;   in Loop: Header=BB302_185 Depth=1
	v_div_scale_f64 v[4:5], null, v[18:19], v[18:19], 1.0
	v_div_scale_f64 v[6:7], null, v[26:27], v[26:27], 0
	v_div_scale_f64 v[32:33], vcc_lo, 1.0, v[18:19], 1.0
	s_delay_alu instid0(VALU_DEP_3) | instskip(NEXT) | instid1(VALU_DEP_2)
	v_rcp_f64_e32 v[12:13], v[4:5]
	v_rcp_f64_e32 v[20:21], v[6:7]
	s_waitcnt_depctr 0xfff
	v_fma_f64 v[28:29], -v[4:5], v[12:13], 1.0
	v_fma_f64 v[30:31], -v[6:7], v[20:21], 1.0
	s_delay_alu instid0(VALU_DEP_2) | instskip(NEXT) | instid1(VALU_DEP_2)
	v_fma_f64 v[12:13], v[12:13], v[28:29], v[12:13]
	v_fma_f64 v[20:21], v[20:21], v[30:31], v[20:21]
	s_delay_alu instid0(VALU_DEP_2) | instskip(NEXT) | instid1(VALU_DEP_2)
	v_fma_f64 v[28:29], -v[4:5], v[12:13], 1.0
	v_fma_f64 v[30:31], -v[6:7], v[20:21], 1.0
	s_delay_alu instid0(VALU_DEP_2) | instskip(SKIP_1) | instid1(VALU_DEP_3)
	v_fma_f64 v[12:13], v[12:13], v[28:29], v[12:13]
	v_div_scale_f64 v[28:29], s0, 0, v[26:27], 0
	v_fma_f64 v[20:21], v[20:21], v[30:31], v[20:21]
	s_delay_alu instid0(VALU_DEP_3) | instskip(NEXT) | instid1(VALU_DEP_2)
	v_mul_f64 v[30:31], v[32:33], v[12:13]
	v_mul_f64 v[34:35], v[28:29], v[20:21]
	s_delay_alu instid0(VALU_DEP_2) | instskip(NEXT) | instid1(VALU_DEP_2)
	v_fma_f64 v[4:5], -v[4:5], v[30:31], v[32:33]
	v_fma_f64 v[6:7], -v[6:7], v[34:35], v[28:29]
	s_delay_alu instid0(VALU_DEP_2) | instskip(SKIP_1) | instid1(VALU_DEP_2)
	v_div_fmas_f64 v[4:5], v[4:5], v[12:13], v[30:31]
	s_mov_b32 vcc_lo, s0
	v_div_fmas_f64 v[6:7], v[6:7], v[20:21], v[34:35]
	s_delay_alu instid0(VALU_DEP_2) | instskip(NEXT) | instid1(VALU_DEP_2)
	v_div_fixup_f64 v[4:5], v[4:5], v[18:19], 1.0
	v_div_fixup_f64 v[6:7], v[6:7], v[26:27], 0
.LBB302_216:                            ;   in Loop: Header=BB302_185 Depth=1
	s_or_b32 exec_lo, exec_lo, s11
                                        ; implicit-def: $vgpr20_vgpr21
                                        ; implicit-def: $vgpr12_vgpr13
.LBB302_217:                            ;   in Loop: Header=BB302_185 Depth=1
	s_and_not1_saveexec_b32 s0, s1
	s_cbranch_execz .LBB302_219
; %bb.218:                              ;   in Loop: Header=BB302_185 Depth=1
	v_div_scale_f64 v[4:5], null, v[20:21], v[20:21], v[12:13]
	v_div_scale_f64 v[26:27], vcc_lo, v[12:13], v[20:21], v[12:13]
	s_delay_alu instid0(VALU_DEP_2) | instskip(SKIP_2) | instid1(VALU_DEP_1)
	v_rcp_f64_e32 v[6:7], v[4:5]
	s_waitcnt_depctr 0xfff
	v_fma_f64 v[18:19], -v[4:5], v[6:7], 1.0
	v_fma_f64 v[6:7], v[6:7], v[18:19], v[6:7]
	s_delay_alu instid0(VALU_DEP_1) | instskip(NEXT) | instid1(VALU_DEP_1)
	v_fma_f64 v[18:19], -v[4:5], v[6:7], 1.0
	v_fma_f64 v[6:7], v[6:7], v[18:19], v[6:7]
	s_delay_alu instid0(VALU_DEP_1) | instskip(NEXT) | instid1(VALU_DEP_1)
	v_mul_f64 v[18:19], v[26:27], v[6:7]
	v_fma_f64 v[4:5], -v[4:5], v[18:19], v[26:27]
	s_delay_alu instid0(VALU_DEP_1) | instskip(NEXT) | instid1(VALU_DEP_1)
	v_div_fmas_f64 v[4:5], v[4:5], v[6:7], v[18:19]
	v_div_fixup_f64 v[4:5], v[4:5], v[20:21], v[12:13]
	s_delay_alu instid0(VALU_DEP_1) | instskip(NEXT) | instid1(VALU_DEP_1)
	v_fma_f64 v[6:7], v[12:13], v[4:5], v[20:21]
	v_div_scale_f64 v[12:13], null, v[6:7], v[6:7], 1.0
	v_div_scale_f64 v[26:27], vcc_lo, 1.0, v[6:7], 1.0
	s_delay_alu instid0(VALU_DEP_2) | instskip(SKIP_2) | instid1(VALU_DEP_1)
	v_rcp_f64_e32 v[18:19], v[12:13]
	s_waitcnt_depctr 0xfff
	v_fma_f64 v[20:21], -v[12:13], v[18:19], 1.0
	v_fma_f64 v[18:19], v[18:19], v[20:21], v[18:19]
	s_delay_alu instid0(VALU_DEP_1) | instskip(NEXT) | instid1(VALU_DEP_1)
	v_fma_f64 v[20:21], -v[12:13], v[18:19], 1.0
	v_fma_f64 v[18:19], v[18:19], v[20:21], v[18:19]
	s_delay_alu instid0(VALU_DEP_1) | instskip(NEXT) | instid1(VALU_DEP_1)
	v_mul_f64 v[20:21], v[26:27], v[18:19]
	v_fma_f64 v[12:13], -v[12:13], v[20:21], v[26:27]
	s_delay_alu instid0(VALU_DEP_1) | instskip(SKIP_1) | instid1(VALU_DEP_2)
	v_div_fmas_f64 v[12:13], v[12:13], v[18:19], v[20:21]
	v_add_f64 v[18:19], v[4:5], 0
	v_div_fixup_f64 v[6:7], v[12:13], v[6:7], 1.0
	v_fma_f64 v[12:13], v[4:5], 0, -1.0
	s_delay_alu instid0(VALU_DEP_2) | instskip(NEXT) | instid1(VALU_DEP_2)
	v_mul_f64 v[4:5], v[18:19], v[6:7]
	v_mul_f64 v[6:7], v[12:13], v[6:7]
.LBB302_219:                            ;   in Loop: Header=BB302_185 Depth=1
	s_or_b32 exec_lo, exec_lo, s0
	s_waitcnt vmcnt(2)
	v_cmp_neq_f64_e32 vcc_lo, 0, v[14:15]
	v_cmp_neq_f64_e64 s0, 0, v[16:17]
	v_mov_b32_e32 v18, 0
	v_mov_b32_e32 v19, 0
	s_delay_alu instid0(VALU_DEP_3) | instskip(NEXT) | instid1(SALU_CYCLE_1)
	s_or_b32 s0, vcc_lo, s0
	s_and_saveexec_b32 s11, s0
	s_cbranch_execz .LBB302_246
; %bb.220:                              ;   in Loop: Header=BB302_185 Depth=1
	v_mov_b32_e32 v18, s4
	v_mov_b32_e32 v19, s5
	s_mov_b32 s12, exec_lo
	v_cmpx_neq_f64_e64 0x7ff00000, |v[16:17]|
	s_cbranch_execz .LBB302_245
; %bb.221:                              ;   in Loop: Header=BB302_185 Depth=1
	s_mov_b32 s0, exec_lo
	v_cmpx_o_f64_e32 v[14:15], v[14:15]
	s_xor_b32 s13, exec_lo, s0
	s_cbranch_execz .LBB302_242
; %bb.222:                              ;   in Loop: Header=BB302_185 Depth=1
	s_mov_b32 s1, exec_lo
	v_cmpx_neq_f64_e64 0x7ff00000, |v[14:15]|
	s_xor_b32 s14, exec_lo, s1
	s_cbranch_execz .LBB302_235
; %bb.223:                              ;   in Loop: Header=BB302_185 Depth=1
	v_max_f64 v[12:13], |v[16:17]|, |v[16:17]|
	v_max_f64 v[18:19], |v[14:15]|, |v[14:15]|
                                        ; implicit-def: $sgpr15
	s_delay_alu instid0(VALU_DEP_1) | instskip(NEXT) | instid1(VALU_DEP_1)
	v_max_f64 v[12:13], v[18:19], v[12:13]
	v_cmp_nle_f64_e64 s0, s[2:3], v[12:13]
	s_delay_alu instid0(VALU_DEP_1) | instskip(NEXT) | instid1(SALU_CYCLE_1)
	s_and_saveexec_b32 s1, s0
	s_xor_b32 s1, exec_lo, s1
	s_cbranch_execz .LBB302_227
; %bb.224:                              ;   in Loop: Header=BB302_185 Depth=1
	v_cmp_ge_f64_e64 s15, 0x200000, |v[14:15]|
	v_cmp_ge_f64_e64 s16, 0x200000, |v[16:17]|
	s_delay_alu instid0(VALU_DEP_1)
	s_and_b32 s17, s15, s16
	s_mov_b32 s15, 0
	s_and_saveexec_b32 s16, s17
; %bb.225:                              ;   in Loop: Header=BB302_185 Depth=1
	v_mul_f64 v[14:15], v[14:15], 4.0
	v_mul_f64 v[16:17], v[16:17], 4.0
	s_mov_b32 s15, exec_lo
; %bb.226:                              ;   in Loop: Header=BB302_185 Depth=1
	s_or_b32 exec_lo, exec_lo, s16
	s_delay_alu instid0(SALU_CYCLE_1)
	s_and_b32 s15, s15, exec_lo
.LBB302_227:                            ;   in Loop: Header=BB302_185 Depth=1
	s_and_not1_saveexec_b32 s1, s1
; %bb.228:                              ;   in Loop: Header=BB302_185 Depth=1
	s_delay_alu instid0(VALU_DEP_2) | instskip(NEXT) | instid1(VALU_DEP_2)
	v_ldexp_f64 v[14:15], v[14:15], -2
	v_ldexp_f64 v[16:17], v[16:17], -2
	s_and_not1_b32 s15, s15, exec_lo
; %bb.229:                              ;   in Loop: Header=BB302_185 Depth=1
	s_or_b32 exec_lo, exec_lo, s1
	s_delay_alu instid0(VALU_DEP_1) | instskip(NEXT) | instid1(VALU_DEP_3)
	v_max_f64 v[12:13], |v[16:17]|, |v[16:17]|
	v_max_f64 v[18:19], |v[14:15]|, |v[14:15]|
	v_cmp_class_f64_e64 s16, v[14:15], 0x204
	v_cmp_class_f64_e64 s17, v[16:17], 0x204
	v_cmp_le_f64_e64 s1, 0, v[14:15]
	s_delay_alu instid0(VALU_DEP_4) | instskip(NEXT) | instid1(VALU_DEP_3)
	v_max_f64 v[12:13], v[18:19], v[12:13]
	s_or_b32 s16, s17, s16
	s_delay_alu instid0(VALU_DEP_1) | instskip(NEXT) | instid1(VALU_DEP_1)
	v_frexp_exp_i32_f64_e32 v28, v[12:13]
	v_sub_nc_u32_e32 v18, 0, v28
	s_delay_alu instid0(VALU_DEP_1) | instskip(SKIP_1) | instid1(VALU_DEP_2)
	v_ldexp_f64 v[12:13], |v[16:17]|, v18
	v_ldexp_f64 v[18:19], |v[14:15]|, v18
	v_mul_f64 v[12:13], v[12:13], v[12:13]
	s_delay_alu instid0(VALU_DEP_1) | instskip(NEXT) | instid1(VALU_DEP_1)
	v_fma_f64 v[12:13], v[18:19], v[18:19], v[12:13]
	v_rsq_f64_e32 v[18:19], v[12:13]
	v_cmp_eq_f64_e32 vcc_lo, 0, v[12:13]
	s_waitcnt_depctr 0xfff
	v_mul_f64 v[20:21], v[12:13], v[18:19]
	v_mul_f64 v[18:19], v[18:19], 0.5
	s_delay_alu instid0(VALU_DEP_1) | instskip(NEXT) | instid1(VALU_DEP_1)
	v_fma_f64 v[26:27], -v[18:19], v[20:21], 0.5
	v_fma_f64 v[20:21], v[20:21], v[26:27], v[20:21]
	v_fma_f64 v[18:19], v[18:19], v[26:27], v[18:19]
	s_delay_alu instid0(VALU_DEP_2) | instskip(NEXT) | instid1(VALU_DEP_1)
	v_fma_f64 v[26:27], -v[20:21], v[20:21], v[12:13]
	v_fma_f64 v[18:19], v[26:27], v[18:19], v[20:21]
	s_delay_alu instid0(VALU_DEP_1) | instskip(SKIP_1) | instid1(VALU_DEP_2)
	v_dual_cndmask_b32 v13, v19, v13 :: v_dual_cndmask_b32 v12, v18, v12
	v_cmp_o_f64_e32 vcc_lo, v[16:17], v[16:17]
	v_ldexp_f64 v[12:13], v[12:13], v28
	s_delay_alu instid0(VALU_DEP_1) | instskip(NEXT) | instid1(VALU_DEP_2)
	v_cndmask_b32_e32 v12, 0, v12, vcc_lo
	v_cndmask_b32_e32 v13, 0x7ff80000, v13, vcc_lo
	s_delay_alu instid0(VALU_DEP_2) | instskip(NEXT) | instid1(VALU_DEP_2)
	v_cndmask_b32_e64 v12, v12, 0, s16
	v_cndmask_b32_e64 v13, v13, 0x7ff00000, s16
	s_and_saveexec_b32 s16, s1
	s_delay_alu instid0(SALU_CYCLE_1)
	s_xor_b32 s1, exec_lo, s16
	s_cbranch_execnz .LBB302_330
; %bb.230:                              ;   in Loop: Header=BB302_185 Depth=1
	s_and_not1_saveexec_b32 s1, s1
	s_cbranch_execnz .LBB302_331
.LBB302_231:                            ;   in Loop: Header=BB302_185 Depth=1
	s_or_b32 exec_lo, exec_lo, s1
	s_and_saveexec_b32 s1, s0
	s_delay_alu instid0(SALU_CYCLE_1)
	s_xor_b32 s0, exec_lo, s1
	s_cbranch_execnz .LBB302_332
.LBB302_232:                            ;   in Loop: Header=BB302_185 Depth=1
	s_and_not1_saveexec_b32 s0, s0
.LBB302_233:                            ;   in Loop: Header=BB302_185 Depth=1
	s_delay_alu instid0(VALU_DEP_2) | instskip(NEXT) | instid1(VALU_DEP_2)
	v_add_f64 v[14:15], v[14:15], v[14:15]
	v_add_f64 v[16:17], v[16:17], v[16:17]
.LBB302_234:                            ;   in Loop: Header=BB302_185 Depth=1
	s_or_b32 exec_lo, exec_lo, s0
.LBB302_235:                            ;   in Loop: Header=BB302_185 Depth=1
	s_and_not1_saveexec_b32 s0, s14
	s_cbranch_execz .LBB302_241
; %bb.236:                              ;   in Loop: Header=BB302_185 Depth=1
	s_delay_alu instid0(VALU_DEP_1) | instskip(SKIP_1) | instid1(VALU_DEP_3)
	v_add_f64 v[12:13], v[16:17], -v[16:17]
	s_mov_b32 s1, exec_lo
	v_cmpx_lt_i64_e32 -1, v[14:15]
	s_xor_b32 s1, exec_lo, s1
; %bb.237:                              ;   in Loop: Header=BB302_185 Depth=1
	s_delay_alu instid0(VALU_DEP_2) | instskip(NEXT) | instid1(VALU_DEP_1)
	v_bfi_b32 v13, 0x7fffffff, v13, v17
	v_dual_mov_b32 v17, v13 :: v_dual_mov_b32 v16, v12
                                        ; implicit-def: $vgpr12_vgpr13
; %bb.238:                              ;   in Loop: Header=BB302_185 Depth=1
	s_and_not1_saveexec_b32 s1, s1
; %bb.239:                              ;   in Loop: Header=BB302_185 Depth=1
	s_delay_alu instid0(VALU_DEP_1) | instskip(SKIP_1) | instid1(VALU_DEP_2)
	v_bfi_b32 v15, 0x7fffffff, v15, v17
	v_and_b32_e32 v13, 0x7fffffff, v13
	v_dual_mov_b32 v17, v15 :: v_dual_mov_b32 v16, v14
	s_delay_alu instid0(VALU_DEP_2)
	v_dual_mov_b32 v15, v13 :: v_dual_mov_b32 v14, v12
; %bb.240:                              ;   in Loop: Header=BB302_185 Depth=1
	s_or_b32 exec_lo, exec_lo, s1
.LBB302_241:                            ;   in Loop: Header=BB302_185 Depth=1
	s_delay_alu instid0(SALU_CYCLE_1)
	s_or_b32 exec_lo, exec_lo, s0
.LBB302_242:                            ;   in Loop: Header=BB302_185 Depth=1
	s_and_not1_saveexec_b32 s0, s13
; %bb.243:                              ;   in Loop: Header=BB302_185 Depth=1
	s_delay_alu instid0(VALU_DEP_1) | instskip(NEXT) | instid1(VALU_DEP_1)
	v_add_f64 v[12:13], v[16:17], -v[16:17]
	v_div_scale_f64 v[16:17], vcc_lo, v[12:13], v[12:13], v[12:13]
	s_delay_alu instid0(VALU_DEP_1) | instskip(SKIP_2) | instid1(VALU_DEP_1)
	v_rcp_f64_e32 v[18:19], v[16:17]
	s_waitcnt_depctr 0xfff
	v_fma_f64 v[20:21], -v[16:17], v[18:19], 1.0
	v_fma_f64 v[18:19], v[18:19], v[20:21], v[18:19]
	s_delay_alu instid0(VALU_DEP_1) | instskip(NEXT) | instid1(VALU_DEP_1)
	v_fma_f64 v[20:21], -v[16:17], v[18:19], 1.0
	v_fma_f64 v[18:19], v[18:19], v[20:21], v[18:19]
	s_delay_alu instid0(VALU_DEP_1) | instskip(NEXT) | instid1(VALU_DEP_1)
	v_mul_f64 v[20:21], v[16:17], v[18:19]
	v_fma_f64 v[16:17], -v[16:17], v[20:21], v[16:17]
	s_delay_alu instid0(VALU_DEP_1) | instskip(NEXT) | instid1(VALU_DEP_1)
	v_div_fmas_f64 v[16:17], v[16:17], v[18:19], v[20:21]
	v_div_fixup_f64 v[16:17], v[16:17], v[12:13], v[12:13]
; %bb.244:                              ;   in Loop: Header=BB302_185 Depth=1
	s_or_b32 exec_lo, exec_lo, s0
	v_dual_mov_b32 v19, v15 :: v_dual_mov_b32 v18, v14
.LBB302_245:                            ;   in Loop: Header=BB302_185 Depth=1
	s_or_b32 exec_lo, exec_lo, s12
.LBB302_246:                            ;   in Loop: Header=BB302_185 Depth=1
	s_delay_alu instid0(SALU_CYCLE_1) | instskip(NEXT) | instid1(VALU_DEP_1)
	s_or_b32 exec_lo, exec_lo, s11
	v_cmp_gt_f64_e32 vcc_lo, 0, v[18:19]
	s_delay_alu instid0(VALU_DEP_3) | instskip(SKIP_2) | instid1(VALU_DEP_2)
	v_cmp_gt_f64_e64 s0, 0, v[16:17]
	v_xor_b32_e32 v12, 0x80000000, v19
	v_xor_b32_e32 v13, 0x80000000, v17
                                        ; implicit-def: $vgpr14_vgpr15
	v_dual_cndmask_b32 v21, v19, v12 :: v_dual_cndmask_b32 v20, v18, v18
	s_delay_alu instid0(VALU_DEP_2) | instskip(SKIP_2) | instid1(VALU_DEP_1)
	v_cndmask_b32_e64 v27, v17, v13, s0
	v_cndmask_b32_e64 v26, v16, v16, s0
	s_mov_b32 s0, exec_lo
	v_cmpx_ge_f64_e32 v[20:21], v[26:27]
	s_xor_b32 s1, exec_lo, s0
	s_cbranch_execz .LBB302_252
; %bb.247:                              ;   in Loop: Header=BB302_185 Depth=1
	v_cmp_neq_f64_e32 vcc_lo, 0, v[18:19]
	v_cmp_neq_f64_e64 s0, 0, v[16:17]
                                        ; implicit-def: $vgpr14_vgpr15
	s_delay_alu instid0(VALU_DEP_1) | instskip(NEXT) | instid1(SALU_CYCLE_1)
	s_or_b32 s0, vcc_lo, s0
	s_and_saveexec_b32 s11, s0
	s_delay_alu instid0(SALU_CYCLE_1)
	s_xor_b32 s0, exec_lo, s11
	s_cbranch_execz .LBB302_249
; %bb.248:                              ;   in Loop: Header=BB302_185 Depth=1
	v_div_scale_f64 v[12:13], null, v[18:19], v[18:19], v[16:17]
	v_div_scale_f64 v[26:27], vcc_lo, v[16:17], v[18:19], v[16:17]
	s_delay_alu instid0(VALU_DEP_2) | instskip(SKIP_2) | instid1(VALU_DEP_1)
	v_rcp_f64_e32 v[14:15], v[12:13]
	s_waitcnt_depctr 0xfff
	v_fma_f64 v[20:21], -v[12:13], v[14:15], 1.0
	v_fma_f64 v[14:15], v[14:15], v[20:21], v[14:15]
	s_delay_alu instid0(VALU_DEP_1) | instskip(NEXT) | instid1(VALU_DEP_1)
	v_fma_f64 v[20:21], -v[12:13], v[14:15], 1.0
	v_fma_f64 v[14:15], v[14:15], v[20:21], v[14:15]
	s_delay_alu instid0(VALU_DEP_1) | instskip(NEXT) | instid1(VALU_DEP_1)
	v_mul_f64 v[20:21], v[26:27], v[14:15]
	v_fma_f64 v[12:13], -v[12:13], v[20:21], v[26:27]
	s_delay_alu instid0(VALU_DEP_1) | instskip(NEXT) | instid1(VALU_DEP_1)
	v_div_fmas_f64 v[12:13], v[12:13], v[14:15], v[20:21]
	v_div_fixup_f64 v[12:13], v[12:13], v[18:19], v[16:17]
	s_delay_alu instid0(VALU_DEP_1) | instskip(NEXT) | instid1(VALU_DEP_1)
	v_fma_f64 v[14:15], v[16:17], v[12:13], v[18:19]
	v_div_scale_f64 v[16:17], null, v[14:15], v[14:15], 1.0
	v_div_scale_f64 v[26:27], vcc_lo, 1.0, v[14:15], 1.0
	s_delay_alu instid0(VALU_DEP_2) | instskip(SKIP_2) | instid1(VALU_DEP_1)
	v_rcp_f64_e32 v[18:19], v[16:17]
	s_waitcnt_depctr 0xfff
	v_fma_f64 v[20:21], -v[16:17], v[18:19], 1.0
	v_fma_f64 v[18:19], v[18:19], v[20:21], v[18:19]
	s_delay_alu instid0(VALU_DEP_1) | instskip(NEXT) | instid1(VALU_DEP_1)
	v_fma_f64 v[20:21], -v[16:17], v[18:19], 1.0
	v_fma_f64 v[18:19], v[18:19], v[20:21], v[18:19]
	s_delay_alu instid0(VALU_DEP_1) | instskip(NEXT) | instid1(VALU_DEP_1)
	v_mul_f64 v[20:21], v[26:27], v[18:19]
	v_fma_f64 v[16:17], -v[16:17], v[20:21], v[26:27]
                                        ; implicit-def: $vgpr26_vgpr27
	s_delay_alu instid0(VALU_DEP_1) | instskip(SKIP_1) | instid1(VALU_DEP_2)
	v_div_fmas_f64 v[16:17], v[16:17], v[18:19], v[20:21]
	v_fma_f64 v[18:19], v[12:13], 0, 1.0
                                        ; implicit-def: $vgpr20_vgpr21
	v_div_fixup_f64 v[14:15], v[16:17], v[14:15], 1.0
	v_add_f64 v[16:17], -v[12:13], 0
	s_delay_alu instid0(VALU_DEP_2) | instskip(NEXT) | instid1(VALU_DEP_2)
	v_mul_f64 v[12:13], v[18:19], v[14:15]
	v_mul_f64 v[14:15], v[16:17], v[14:15]
.LBB302_249:                            ;   in Loop: Header=BB302_185 Depth=1
	s_and_not1_saveexec_b32 s11, s0
	s_cbranch_execz .LBB302_251
; %bb.250:                              ;   in Loop: Header=BB302_185 Depth=1
	v_div_scale_f64 v[12:13], null, v[20:21], v[20:21], 1.0
	v_div_scale_f64 v[14:15], null, v[26:27], v[26:27], 0
	v_div_scale_f64 v[32:33], vcc_lo, 1.0, v[20:21], 1.0
	s_delay_alu instid0(VALU_DEP_3) | instskip(NEXT) | instid1(VALU_DEP_2)
	v_rcp_f64_e32 v[16:17], v[12:13]
	v_rcp_f64_e32 v[18:19], v[14:15]
	s_waitcnt_depctr 0xfff
	v_fma_f64 v[28:29], -v[12:13], v[16:17], 1.0
	v_fma_f64 v[30:31], -v[14:15], v[18:19], 1.0
	s_delay_alu instid0(VALU_DEP_2) | instskip(NEXT) | instid1(VALU_DEP_2)
	v_fma_f64 v[16:17], v[16:17], v[28:29], v[16:17]
	v_fma_f64 v[18:19], v[18:19], v[30:31], v[18:19]
	s_delay_alu instid0(VALU_DEP_2) | instskip(NEXT) | instid1(VALU_DEP_2)
	v_fma_f64 v[28:29], -v[12:13], v[16:17], 1.0
	v_fma_f64 v[30:31], -v[14:15], v[18:19], 1.0
	s_delay_alu instid0(VALU_DEP_2) | instskip(SKIP_1) | instid1(VALU_DEP_3)
	v_fma_f64 v[16:17], v[16:17], v[28:29], v[16:17]
	v_div_scale_f64 v[28:29], s0, 0, v[26:27], 0
	v_fma_f64 v[18:19], v[18:19], v[30:31], v[18:19]
	s_delay_alu instid0(VALU_DEP_3) | instskip(NEXT) | instid1(VALU_DEP_2)
	v_mul_f64 v[30:31], v[32:33], v[16:17]
	v_mul_f64 v[34:35], v[28:29], v[18:19]
	s_delay_alu instid0(VALU_DEP_2) | instskip(NEXT) | instid1(VALU_DEP_2)
	v_fma_f64 v[12:13], -v[12:13], v[30:31], v[32:33]
	v_fma_f64 v[14:15], -v[14:15], v[34:35], v[28:29]
	s_delay_alu instid0(VALU_DEP_2) | instskip(SKIP_1) | instid1(VALU_DEP_2)
	v_div_fmas_f64 v[12:13], v[12:13], v[16:17], v[30:31]
	s_mov_b32 vcc_lo, s0
	v_div_fmas_f64 v[14:15], v[14:15], v[18:19], v[34:35]
	s_delay_alu instid0(VALU_DEP_2) | instskip(NEXT) | instid1(VALU_DEP_2)
	v_div_fixup_f64 v[12:13], v[12:13], v[20:21], 1.0
	v_div_fixup_f64 v[14:15], v[14:15], v[26:27], 0
.LBB302_251:                            ;   in Loop: Header=BB302_185 Depth=1
	s_or_b32 exec_lo, exec_lo, s11
                                        ; implicit-def: $vgpr16_vgpr17
                                        ; implicit-def: $vgpr18_vgpr19
.LBB302_252:                            ;   in Loop: Header=BB302_185 Depth=1
	s_and_not1_saveexec_b32 s0, s1
	s_cbranch_execz .LBB302_254
; %bb.253:                              ;   in Loop: Header=BB302_185 Depth=1
	v_div_scale_f64 v[12:13], null, v[16:17], v[16:17], v[18:19]
	v_div_scale_f64 v[26:27], vcc_lo, v[18:19], v[16:17], v[18:19]
	s_delay_alu instid0(VALU_DEP_2) | instskip(SKIP_2) | instid1(VALU_DEP_1)
	v_rcp_f64_e32 v[14:15], v[12:13]
	s_waitcnt_depctr 0xfff
	v_fma_f64 v[20:21], -v[12:13], v[14:15], 1.0
	v_fma_f64 v[14:15], v[14:15], v[20:21], v[14:15]
	s_delay_alu instid0(VALU_DEP_1) | instskip(NEXT) | instid1(VALU_DEP_1)
	v_fma_f64 v[20:21], -v[12:13], v[14:15], 1.0
	v_fma_f64 v[14:15], v[14:15], v[20:21], v[14:15]
	s_delay_alu instid0(VALU_DEP_1) | instskip(NEXT) | instid1(VALU_DEP_1)
	v_mul_f64 v[20:21], v[26:27], v[14:15]
	v_fma_f64 v[12:13], -v[12:13], v[20:21], v[26:27]
	s_delay_alu instid0(VALU_DEP_1) | instskip(NEXT) | instid1(VALU_DEP_1)
	v_div_fmas_f64 v[12:13], v[12:13], v[14:15], v[20:21]
	v_div_fixup_f64 v[12:13], v[12:13], v[16:17], v[18:19]
	s_delay_alu instid0(VALU_DEP_1) | instskip(NEXT) | instid1(VALU_DEP_1)
	v_fma_f64 v[14:15], v[18:19], v[12:13], v[16:17]
	v_div_scale_f64 v[16:17], null, v[14:15], v[14:15], 1.0
	v_div_scale_f64 v[26:27], vcc_lo, 1.0, v[14:15], 1.0
	s_delay_alu instid0(VALU_DEP_2) | instskip(SKIP_2) | instid1(VALU_DEP_1)
	v_rcp_f64_e32 v[18:19], v[16:17]
	s_waitcnt_depctr 0xfff
	v_fma_f64 v[20:21], -v[16:17], v[18:19], 1.0
	v_fma_f64 v[18:19], v[18:19], v[20:21], v[18:19]
	s_delay_alu instid0(VALU_DEP_1) | instskip(NEXT) | instid1(VALU_DEP_1)
	v_fma_f64 v[20:21], -v[16:17], v[18:19], 1.0
	v_fma_f64 v[18:19], v[18:19], v[20:21], v[18:19]
	s_delay_alu instid0(VALU_DEP_1) | instskip(NEXT) | instid1(VALU_DEP_1)
	v_mul_f64 v[20:21], v[26:27], v[18:19]
	v_fma_f64 v[16:17], -v[16:17], v[20:21], v[26:27]
	s_delay_alu instid0(VALU_DEP_1) | instskip(SKIP_1) | instid1(VALU_DEP_2)
	v_div_fmas_f64 v[16:17], v[16:17], v[18:19], v[20:21]
	v_add_f64 v[18:19], v[12:13], 0
	v_div_fixup_f64 v[14:15], v[16:17], v[14:15], 1.0
	v_fma_f64 v[16:17], v[12:13], 0, -1.0
	s_delay_alu instid0(VALU_DEP_2) | instskip(NEXT) | instid1(VALU_DEP_2)
	v_mul_f64 v[12:13], v[18:19], v[14:15]
	v_mul_f64 v[14:15], v[16:17], v[14:15]
.LBB302_254:                            ;   in Loop: Header=BB302_185 Depth=1
	s_or_b32 exec_lo, exec_lo, s0
	s_waitcnt vmcnt(0)
	v_cmp_neq_f64_e32 vcc_lo, 0, v[8:9]
	v_cmp_neq_f64_e64 s0, 0, v[10:11]
	v_mov_b32_e32 v20, 0
	v_mov_b32_e32 v21, 0
	s_delay_alu instid0(VALU_DEP_3) | instskip(NEXT) | instid1(SALU_CYCLE_1)
	s_or_b32 s0, vcc_lo, s0
	s_and_saveexec_b32 s11, s0
	s_cbranch_execz .LBB302_281
; %bb.255:                              ;   in Loop: Header=BB302_185 Depth=1
	v_mov_b32_e32 v20, s4
	v_mov_b32_e32 v21, s5
	s_mov_b32 s12, exec_lo
	v_cmpx_neq_f64_e64 0x7ff00000, |v[10:11]|
	s_cbranch_execz .LBB302_280
; %bb.256:                              ;   in Loop: Header=BB302_185 Depth=1
	s_mov_b32 s0, exec_lo
	v_cmpx_o_f64_e32 v[8:9], v[8:9]
	s_xor_b32 s13, exec_lo, s0
	s_cbranch_execz .LBB302_277
; %bb.257:                              ;   in Loop: Header=BB302_185 Depth=1
	s_mov_b32 s1, exec_lo
	v_cmpx_neq_f64_e64 0x7ff00000, |v[8:9]|
	s_xor_b32 s14, exec_lo, s1
	s_cbranch_execz .LBB302_270
; %bb.258:                              ;   in Loop: Header=BB302_185 Depth=1
	v_max_f64 v[16:17], |v[10:11]|, |v[10:11]|
	v_max_f64 v[18:19], |v[8:9]|, |v[8:9]|
                                        ; implicit-def: $sgpr15
	s_delay_alu instid0(VALU_DEP_1) | instskip(NEXT) | instid1(VALU_DEP_1)
	v_max_f64 v[16:17], v[18:19], v[16:17]
	v_cmp_nle_f64_e64 s0, s[2:3], v[16:17]
	s_delay_alu instid0(VALU_DEP_1) | instskip(NEXT) | instid1(SALU_CYCLE_1)
	s_and_saveexec_b32 s1, s0
	s_xor_b32 s1, exec_lo, s1
	s_cbranch_execz .LBB302_262
; %bb.259:                              ;   in Loop: Header=BB302_185 Depth=1
	v_cmp_ge_f64_e64 s15, 0x200000, |v[8:9]|
	v_cmp_ge_f64_e64 s16, 0x200000, |v[10:11]|
	s_delay_alu instid0(VALU_DEP_1)
	s_and_b32 s17, s15, s16
	s_mov_b32 s15, 0
	s_and_saveexec_b32 s16, s17
; %bb.260:                              ;   in Loop: Header=BB302_185 Depth=1
	v_mul_f64 v[8:9], v[8:9], 4.0
	v_mul_f64 v[10:11], v[10:11], 4.0
	s_mov_b32 s15, exec_lo
; %bb.261:                              ;   in Loop: Header=BB302_185 Depth=1
	s_or_b32 exec_lo, exec_lo, s16
	s_delay_alu instid0(SALU_CYCLE_1)
	s_and_b32 s15, s15, exec_lo
.LBB302_262:                            ;   in Loop: Header=BB302_185 Depth=1
	s_and_not1_saveexec_b32 s1, s1
; %bb.263:                              ;   in Loop: Header=BB302_185 Depth=1
	s_delay_alu instid0(VALU_DEP_2) | instskip(NEXT) | instid1(VALU_DEP_2)
	v_ldexp_f64 v[8:9], v[8:9], -2
	v_ldexp_f64 v[10:11], v[10:11], -2
	s_and_not1_b32 s15, s15, exec_lo
; %bb.264:                              ;   in Loop: Header=BB302_185 Depth=1
	s_or_b32 exec_lo, exec_lo, s1
	s_delay_alu instid0(VALU_DEP_1) | instskip(NEXT) | instid1(VALU_DEP_3)
	v_max_f64 v[16:17], |v[10:11]|, |v[10:11]|
	v_max_f64 v[18:19], |v[8:9]|, |v[8:9]|
	v_cmp_class_f64_e64 s16, v[8:9], 0x204
	v_cmp_class_f64_e64 s17, v[10:11], 0x204
	v_cmp_le_f64_e64 s1, 0, v[8:9]
	s_delay_alu instid0(VALU_DEP_4) | instskip(NEXT) | instid1(VALU_DEP_3)
	v_max_f64 v[16:17], v[18:19], v[16:17]
	s_or_b32 s16, s17, s16
	s_delay_alu instid0(VALU_DEP_1) | instskip(NEXT) | instid1(VALU_DEP_1)
	v_frexp_exp_i32_f64_e32 v28, v[16:17]
	v_sub_nc_u32_e32 v18, 0, v28
	s_delay_alu instid0(VALU_DEP_1) | instskip(SKIP_1) | instid1(VALU_DEP_2)
	v_ldexp_f64 v[16:17], |v[10:11]|, v18
	v_ldexp_f64 v[18:19], |v[8:9]|, v18
	v_mul_f64 v[16:17], v[16:17], v[16:17]
	s_delay_alu instid0(VALU_DEP_1) | instskip(NEXT) | instid1(VALU_DEP_1)
	v_fma_f64 v[16:17], v[18:19], v[18:19], v[16:17]
	v_rsq_f64_e32 v[18:19], v[16:17]
	v_cmp_eq_f64_e32 vcc_lo, 0, v[16:17]
	s_waitcnt_depctr 0xfff
	v_mul_f64 v[20:21], v[16:17], v[18:19]
	v_mul_f64 v[18:19], v[18:19], 0.5
	s_delay_alu instid0(VALU_DEP_1) | instskip(NEXT) | instid1(VALU_DEP_1)
	v_fma_f64 v[26:27], -v[18:19], v[20:21], 0.5
	v_fma_f64 v[20:21], v[20:21], v[26:27], v[20:21]
	v_fma_f64 v[18:19], v[18:19], v[26:27], v[18:19]
	s_delay_alu instid0(VALU_DEP_2) | instskip(NEXT) | instid1(VALU_DEP_1)
	v_fma_f64 v[26:27], -v[20:21], v[20:21], v[16:17]
	v_fma_f64 v[18:19], v[26:27], v[18:19], v[20:21]
	s_delay_alu instid0(VALU_DEP_1) | instskip(SKIP_1) | instid1(VALU_DEP_2)
	v_dual_cndmask_b32 v17, v19, v17 :: v_dual_cndmask_b32 v16, v18, v16
	v_cmp_o_f64_e32 vcc_lo, v[10:11], v[10:11]
	v_ldexp_f64 v[16:17], v[16:17], v28
	s_delay_alu instid0(VALU_DEP_1) | instskip(NEXT) | instid1(VALU_DEP_2)
	v_cndmask_b32_e32 v16, 0, v16, vcc_lo
	v_cndmask_b32_e32 v17, 0x7ff80000, v17, vcc_lo
	s_delay_alu instid0(VALU_DEP_2) | instskip(NEXT) | instid1(VALU_DEP_2)
	v_cndmask_b32_e64 v16, v16, 0, s16
	v_cndmask_b32_e64 v17, v17, 0x7ff00000, s16
	s_and_saveexec_b32 s16, s1
	s_delay_alu instid0(SALU_CYCLE_1)
	s_xor_b32 s1, exec_lo, s16
	s_cbranch_execnz .LBB302_335
; %bb.265:                              ;   in Loop: Header=BB302_185 Depth=1
	s_and_not1_saveexec_b32 s1, s1
	s_cbranch_execnz .LBB302_336
.LBB302_266:                            ;   in Loop: Header=BB302_185 Depth=1
	s_or_b32 exec_lo, exec_lo, s1
	s_and_saveexec_b32 s1, s0
	s_delay_alu instid0(SALU_CYCLE_1)
	s_xor_b32 s0, exec_lo, s1
	s_cbranch_execnz .LBB302_337
.LBB302_267:                            ;   in Loop: Header=BB302_185 Depth=1
	s_and_not1_saveexec_b32 s0, s0
.LBB302_268:                            ;   in Loop: Header=BB302_185 Depth=1
	s_delay_alu instid0(VALU_DEP_2) | instskip(NEXT) | instid1(VALU_DEP_2)
	v_add_f64 v[8:9], v[8:9], v[8:9]
	v_add_f64 v[10:11], v[10:11], v[10:11]
.LBB302_269:                            ;   in Loop: Header=BB302_185 Depth=1
	s_or_b32 exec_lo, exec_lo, s0
.LBB302_270:                            ;   in Loop: Header=BB302_185 Depth=1
	s_and_not1_saveexec_b32 s0, s14
	s_cbranch_execz .LBB302_276
; %bb.271:                              ;   in Loop: Header=BB302_185 Depth=1
	s_delay_alu instid0(VALU_DEP_1) | instskip(SKIP_1) | instid1(VALU_DEP_3)
	v_add_f64 v[16:17], v[10:11], -v[10:11]
	s_mov_b32 s1, exec_lo
	v_cmpx_lt_i64_e32 -1, v[8:9]
	s_xor_b32 s1, exec_lo, s1
; %bb.272:                              ;   in Loop: Header=BB302_185 Depth=1
	s_delay_alu instid0(VALU_DEP_2) | instskip(NEXT) | instid1(VALU_DEP_1)
	v_bfi_b32 v17, 0x7fffffff, v17, v11
	v_dual_mov_b32 v10, v16 :: v_dual_mov_b32 v11, v17
                                        ; implicit-def: $vgpr16_vgpr17
; %bb.273:                              ;   in Loop: Header=BB302_185 Depth=1
	s_and_not1_saveexec_b32 s1, s1
; %bb.274:                              ;   in Loop: Header=BB302_185 Depth=1
	s_delay_alu instid0(VALU_DEP_1) | instskip(SKIP_1) | instid1(VALU_DEP_2)
	v_bfi_b32 v9, 0x7fffffff, v9, v11
	v_and_b32_e32 v17, 0x7fffffff, v17
	v_dual_mov_b32 v11, v9 :: v_dual_mov_b32 v10, v8
	s_delay_alu instid0(VALU_DEP_2)
	v_dual_mov_b32 v8, v16 :: v_dual_mov_b32 v9, v17
; %bb.275:                              ;   in Loop: Header=BB302_185 Depth=1
	s_or_b32 exec_lo, exec_lo, s1
.LBB302_276:                            ;   in Loop: Header=BB302_185 Depth=1
	s_delay_alu instid0(SALU_CYCLE_1)
	s_or_b32 exec_lo, exec_lo, s0
.LBB302_277:                            ;   in Loop: Header=BB302_185 Depth=1
	s_and_not1_saveexec_b32 s0, s13
; %bb.278:                              ;   in Loop: Header=BB302_185 Depth=1
	s_delay_alu instid0(VALU_DEP_1) | instskip(NEXT) | instid1(VALU_DEP_1)
	v_add_f64 v[10:11], v[10:11], -v[10:11]
	v_div_scale_f64 v[16:17], vcc_lo, v[10:11], v[10:11], v[10:11]
	s_delay_alu instid0(VALU_DEP_1) | instskip(SKIP_2) | instid1(VALU_DEP_1)
	v_rcp_f64_e32 v[18:19], v[16:17]
	s_waitcnt_depctr 0xfff
	v_fma_f64 v[20:21], -v[16:17], v[18:19], 1.0
	v_fma_f64 v[18:19], v[18:19], v[20:21], v[18:19]
	s_delay_alu instid0(VALU_DEP_1) | instskip(NEXT) | instid1(VALU_DEP_1)
	v_fma_f64 v[20:21], -v[16:17], v[18:19], 1.0
	v_fma_f64 v[18:19], v[18:19], v[20:21], v[18:19]
	s_delay_alu instid0(VALU_DEP_1) | instskip(NEXT) | instid1(VALU_DEP_1)
	v_mul_f64 v[20:21], v[16:17], v[18:19]
	v_fma_f64 v[16:17], -v[16:17], v[20:21], v[16:17]
	s_delay_alu instid0(VALU_DEP_1) | instskip(NEXT) | instid1(VALU_DEP_1)
	v_div_fmas_f64 v[16:17], v[16:17], v[18:19], v[20:21]
	v_div_fixup_f64 v[10:11], v[16:17], v[10:11], v[10:11]
; %bb.279:                              ;   in Loop: Header=BB302_185 Depth=1
	s_or_b32 exec_lo, exec_lo, s0
	v_dual_mov_b32 v21, v9 :: v_dual_mov_b32 v20, v8
.LBB302_280:                            ;   in Loop: Header=BB302_185 Depth=1
	s_or_b32 exec_lo, exec_lo, s12
.LBB302_281:                            ;   in Loop: Header=BB302_185 Depth=1
	s_delay_alu instid0(SALU_CYCLE_1) | instskip(NEXT) | instid1(VALU_DEP_1)
	s_or_b32 exec_lo, exec_lo, s11
	v_cmp_gt_f64_e32 vcc_lo, 0, v[20:21]
	s_delay_alu instid0(VALU_DEP_3) | instskip(SKIP_2) | instid1(VALU_DEP_2)
	v_cmp_gt_f64_e64 s0, 0, v[10:11]
	v_xor_b32_e32 v8, 0x80000000, v21
	v_xor_b32_e32 v16, 0x80000000, v11
                                        ; implicit-def: $vgpr18_vgpr19
	v_cndmask_b32_e32 v9, v21, v8, vcc_lo
	s_delay_alu instid0(VALU_DEP_2) | instskip(SKIP_3) | instid1(VALU_DEP_1)
	v_cndmask_b32_e64 v27, v11, v16, s0
	v_cndmask_b32_e32 v8, v20, v20, vcc_lo
	v_cndmask_b32_e64 v26, v10, v10, s0
	s_mov_b32 s0, exec_lo
	v_cmpx_ge_f64_e32 v[8:9], v[26:27]
	s_xor_b32 s1, exec_lo, s0
	s_cbranch_execz .LBB302_287
; %bb.282:                              ;   in Loop: Header=BB302_185 Depth=1
	v_cmp_neq_f64_e32 vcc_lo, 0, v[20:21]
	v_cmp_neq_f64_e64 s0, 0, v[10:11]
                                        ; implicit-def: $vgpr18_vgpr19
	s_delay_alu instid0(VALU_DEP_1) | instskip(NEXT) | instid1(SALU_CYCLE_1)
	s_or_b32 s0, vcc_lo, s0
	s_and_saveexec_b32 s11, s0
	s_delay_alu instid0(SALU_CYCLE_1)
	s_xor_b32 s0, exec_lo, s11
	s_cbranch_execz .LBB302_284
; %bb.283:                              ;   in Loop: Header=BB302_185 Depth=1
	v_div_scale_f64 v[8:9], null, v[20:21], v[20:21], v[10:11]
	v_div_scale_f64 v[26:27], vcc_lo, v[10:11], v[20:21], v[10:11]
	s_delay_alu instid0(VALU_DEP_2) | instskip(SKIP_2) | instid1(VALU_DEP_1)
	v_rcp_f64_e32 v[16:17], v[8:9]
	s_waitcnt_depctr 0xfff
	v_fma_f64 v[18:19], -v[8:9], v[16:17], 1.0
	v_fma_f64 v[16:17], v[16:17], v[18:19], v[16:17]
	s_delay_alu instid0(VALU_DEP_1) | instskip(NEXT) | instid1(VALU_DEP_1)
	v_fma_f64 v[18:19], -v[8:9], v[16:17], 1.0
	v_fma_f64 v[16:17], v[16:17], v[18:19], v[16:17]
	s_delay_alu instid0(VALU_DEP_1) | instskip(NEXT) | instid1(VALU_DEP_1)
	v_mul_f64 v[18:19], v[26:27], v[16:17]
	v_fma_f64 v[8:9], -v[8:9], v[18:19], v[26:27]
	s_delay_alu instid0(VALU_DEP_1) | instskip(NEXT) | instid1(VALU_DEP_1)
	v_div_fmas_f64 v[8:9], v[8:9], v[16:17], v[18:19]
	v_div_fixup_f64 v[8:9], v[8:9], v[20:21], v[10:11]
	s_delay_alu instid0(VALU_DEP_1) | instskip(NEXT) | instid1(VALU_DEP_1)
	v_fma_f64 v[10:11], v[10:11], v[8:9], v[20:21]
	v_div_scale_f64 v[16:17], null, v[10:11], v[10:11], 1.0
	v_div_scale_f64 v[26:27], vcc_lo, 1.0, v[10:11], 1.0
	s_delay_alu instid0(VALU_DEP_2) | instskip(SKIP_2) | instid1(VALU_DEP_1)
	v_rcp_f64_e32 v[18:19], v[16:17]
	s_waitcnt_depctr 0xfff
	v_fma_f64 v[20:21], -v[16:17], v[18:19], 1.0
	v_fma_f64 v[18:19], v[18:19], v[20:21], v[18:19]
	s_delay_alu instid0(VALU_DEP_1) | instskip(NEXT) | instid1(VALU_DEP_1)
	v_fma_f64 v[20:21], -v[16:17], v[18:19], 1.0
	v_fma_f64 v[18:19], v[18:19], v[20:21], v[18:19]
	s_delay_alu instid0(VALU_DEP_1) | instskip(NEXT) | instid1(VALU_DEP_1)
	v_mul_f64 v[20:21], v[26:27], v[18:19]
	v_fma_f64 v[16:17], -v[16:17], v[20:21], v[26:27]
                                        ; implicit-def: $vgpr26_vgpr27
	s_delay_alu instid0(VALU_DEP_1) | instskip(SKIP_2) | instid1(VALU_DEP_3)
	v_div_fmas_f64 v[16:17], v[16:17], v[18:19], v[20:21]
	v_fma_f64 v[18:19], v[8:9], 0, 1.0
	v_add_f64 v[8:9], -v[8:9], 0
	v_div_fixup_f64 v[10:11], v[16:17], v[10:11], 1.0
	s_delay_alu instid0(VALU_DEP_1) | instskip(NEXT) | instid1(VALU_DEP_3)
	v_mul_f64 v[16:17], v[18:19], v[10:11]
	v_mul_f64 v[18:19], v[8:9], v[10:11]
                                        ; implicit-def: $vgpr8_vgpr9
.LBB302_284:                            ;   in Loop: Header=BB302_185 Depth=1
	s_and_not1_saveexec_b32 s11, s0
	s_cbranch_execz .LBB302_286
; %bb.285:                              ;   in Loop: Header=BB302_185 Depth=1
	v_div_scale_f64 v[10:11], null, v[8:9], v[8:9], 1.0
	v_div_scale_f64 v[16:17], null, v[26:27], v[26:27], 0
	v_div_scale_f64 v[32:33], vcc_lo, 1.0, v[8:9], 1.0
	s_delay_alu instid0(VALU_DEP_3) | instskip(NEXT) | instid1(VALU_DEP_2)
	v_rcp_f64_e32 v[18:19], v[10:11]
	v_rcp_f64_e32 v[20:21], v[16:17]
	s_waitcnt_depctr 0xfff
	v_fma_f64 v[28:29], -v[10:11], v[18:19], 1.0
	v_fma_f64 v[30:31], -v[16:17], v[20:21], 1.0
	s_delay_alu instid0(VALU_DEP_2) | instskip(NEXT) | instid1(VALU_DEP_2)
	v_fma_f64 v[18:19], v[18:19], v[28:29], v[18:19]
	v_fma_f64 v[20:21], v[20:21], v[30:31], v[20:21]
	s_delay_alu instid0(VALU_DEP_2) | instskip(NEXT) | instid1(VALU_DEP_2)
	v_fma_f64 v[28:29], -v[10:11], v[18:19], 1.0
	v_fma_f64 v[30:31], -v[16:17], v[20:21], 1.0
	s_delay_alu instid0(VALU_DEP_2) | instskip(SKIP_1) | instid1(VALU_DEP_3)
	v_fma_f64 v[18:19], v[18:19], v[28:29], v[18:19]
	v_div_scale_f64 v[28:29], s0, 0, v[26:27], 0
	v_fma_f64 v[20:21], v[20:21], v[30:31], v[20:21]
	s_delay_alu instid0(VALU_DEP_3) | instskip(NEXT) | instid1(VALU_DEP_2)
	v_mul_f64 v[30:31], v[32:33], v[18:19]
	v_mul_f64 v[34:35], v[28:29], v[20:21]
	s_delay_alu instid0(VALU_DEP_2) | instskip(NEXT) | instid1(VALU_DEP_2)
	v_fma_f64 v[10:11], -v[10:11], v[30:31], v[32:33]
	v_fma_f64 v[16:17], -v[16:17], v[34:35], v[28:29]
	s_delay_alu instid0(VALU_DEP_2) | instskip(SKIP_1) | instid1(VALU_DEP_2)
	v_div_fmas_f64 v[10:11], v[10:11], v[18:19], v[30:31]
	s_mov_b32 vcc_lo, s0
	v_div_fmas_f64 v[18:19], v[16:17], v[20:21], v[34:35]
	s_delay_alu instid0(VALU_DEP_2) | instskip(NEXT) | instid1(VALU_DEP_2)
	v_div_fixup_f64 v[16:17], v[10:11], v[8:9], 1.0
	v_div_fixup_f64 v[18:19], v[18:19], v[26:27], 0
.LBB302_286:                            ;   in Loop: Header=BB302_185 Depth=1
	s_or_b32 exec_lo, exec_lo, s11
                                        ; implicit-def: $vgpr10_vgpr11
                                        ; implicit-def: $vgpr20_vgpr21
.LBB302_287:                            ;   in Loop: Header=BB302_185 Depth=1
	s_and_not1_saveexec_b32 s0, s1
	s_cbranch_execz .LBB302_289
; %bb.288:                              ;   in Loop: Header=BB302_185 Depth=1
	v_div_scale_f64 v[8:9], null, v[10:11], v[10:11], v[20:21]
	v_div_scale_f64 v[26:27], vcc_lo, v[20:21], v[10:11], v[20:21]
	s_delay_alu instid0(VALU_DEP_2) | instskip(SKIP_2) | instid1(VALU_DEP_1)
	v_rcp_f64_e32 v[16:17], v[8:9]
	s_waitcnt_depctr 0xfff
	v_fma_f64 v[18:19], -v[8:9], v[16:17], 1.0
	v_fma_f64 v[16:17], v[16:17], v[18:19], v[16:17]
	s_delay_alu instid0(VALU_DEP_1) | instskip(NEXT) | instid1(VALU_DEP_1)
	v_fma_f64 v[18:19], -v[8:9], v[16:17], 1.0
	v_fma_f64 v[16:17], v[16:17], v[18:19], v[16:17]
	s_delay_alu instid0(VALU_DEP_1) | instskip(NEXT) | instid1(VALU_DEP_1)
	v_mul_f64 v[18:19], v[26:27], v[16:17]
	v_fma_f64 v[8:9], -v[8:9], v[18:19], v[26:27]
	s_delay_alu instid0(VALU_DEP_1) | instskip(NEXT) | instid1(VALU_DEP_1)
	v_div_fmas_f64 v[8:9], v[8:9], v[16:17], v[18:19]
	v_div_fixup_f64 v[8:9], v[8:9], v[10:11], v[20:21]
	s_delay_alu instid0(VALU_DEP_1) | instskip(NEXT) | instid1(VALU_DEP_1)
	v_fma_f64 v[10:11], v[20:21], v[8:9], v[10:11]
	v_div_scale_f64 v[16:17], null, v[10:11], v[10:11], 1.0
	v_div_scale_f64 v[26:27], vcc_lo, 1.0, v[10:11], 1.0
	s_delay_alu instid0(VALU_DEP_2) | instskip(SKIP_2) | instid1(VALU_DEP_1)
	v_rcp_f64_e32 v[18:19], v[16:17]
	s_waitcnt_depctr 0xfff
	v_fma_f64 v[20:21], -v[16:17], v[18:19], 1.0
	v_fma_f64 v[18:19], v[18:19], v[20:21], v[18:19]
	s_delay_alu instid0(VALU_DEP_1) | instskip(NEXT) | instid1(VALU_DEP_1)
	v_fma_f64 v[20:21], -v[16:17], v[18:19], 1.0
	v_fma_f64 v[18:19], v[18:19], v[20:21], v[18:19]
	s_delay_alu instid0(VALU_DEP_1) | instskip(NEXT) | instid1(VALU_DEP_1)
	v_mul_f64 v[20:21], v[26:27], v[18:19]
	v_fma_f64 v[16:17], -v[16:17], v[20:21], v[26:27]
	s_delay_alu instid0(VALU_DEP_1) | instskip(SKIP_2) | instid1(VALU_DEP_3)
	v_div_fmas_f64 v[16:17], v[16:17], v[18:19], v[20:21]
	v_add_f64 v[18:19], v[8:9], 0
	v_fma_f64 v[8:9], v[8:9], 0, -1.0
	v_div_fixup_f64 v[10:11], v[16:17], v[10:11], 1.0
	s_delay_alu instid0(VALU_DEP_1) | instskip(NEXT) | instid1(VALU_DEP_3)
	v_mul_f64 v[16:17], v[18:19], v[10:11]
	v_mul_f64 v[18:19], v[8:9], v[10:11]
.LBB302_289:                            ;   in Loop: Header=BB302_185 Depth=1
	s_or_b32 exec_lo, exec_lo, s0
	v_cmp_neq_f64_e32 vcc_lo, 0, v[0:1]
	v_cmp_neq_f64_e64 s0, 0, v[2:3]
	v_mov_b32_e32 v20, 0
	v_mov_b32_e32 v21, 0
	s_delay_alu instid0(VALU_DEP_3) | instskip(NEXT) | instid1(SALU_CYCLE_1)
	s_or_b32 s0, vcc_lo, s0
	s_and_saveexec_b32 s11, s0
	s_cbranch_execz .LBB302_316
; %bb.290:                              ;   in Loop: Header=BB302_185 Depth=1
	v_mov_b32_e32 v20, s4
	v_mov_b32_e32 v21, s5
	s_mov_b32 s12, exec_lo
	v_cmpx_neq_f64_e64 0x7ff00000, |v[2:3]|
	s_cbranch_execz .LBB302_315
; %bb.291:                              ;   in Loop: Header=BB302_185 Depth=1
	s_mov_b32 s0, exec_lo
	v_cmpx_o_f64_e32 v[0:1], v[0:1]
	s_xor_b32 s13, exec_lo, s0
	s_cbranch_execz .LBB302_312
; %bb.292:                              ;   in Loop: Header=BB302_185 Depth=1
	s_mov_b32 s1, exec_lo
	v_cmpx_neq_f64_e64 0x7ff00000, |v[0:1]|
	s_xor_b32 s14, exec_lo, s1
	s_cbranch_execz .LBB302_305
; %bb.293:                              ;   in Loop: Header=BB302_185 Depth=1
	v_max_f64 v[8:9], |v[2:3]|, |v[2:3]|
	v_max_f64 v[10:11], |v[0:1]|, |v[0:1]|
                                        ; implicit-def: $sgpr15
	s_delay_alu instid0(VALU_DEP_1) | instskip(NEXT) | instid1(VALU_DEP_1)
	v_max_f64 v[8:9], v[10:11], v[8:9]
	v_cmp_nle_f64_e64 s0, s[2:3], v[8:9]
	s_delay_alu instid0(VALU_DEP_1) | instskip(NEXT) | instid1(SALU_CYCLE_1)
	s_and_saveexec_b32 s1, s0
	s_xor_b32 s1, exec_lo, s1
	s_cbranch_execz .LBB302_297
; %bb.294:                              ;   in Loop: Header=BB302_185 Depth=1
	v_cmp_ge_f64_e64 s15, 0x200000, |v[0:1]|
	v_cmp_ge_f64_e64 s16, 0x200000, |v[2:3]|
	s_delay_alu instid0(VALU_DEP_1)
	s_and_b32 s17, s15, s16
	s_mov_b32 s15, 0
	s_and_saveexec_b32 s16, s17
; %bb.295:                              ;   in Loop: Header=BB302_185 Depth=1
	v_mul_f64 v[0:1], v[0:1], 4.0
	v_mul_f64 v[2:3], v[2:3], 4.0
	s_mov_b32 s15, exec_lo
; %bb.296:                              ;   in Loop: Header=BB302_185 Depth=1
	s_or_b32 exec_lo, exec_lo, s16
	s_delay_alu instid0(SALU_CYCLE_1)
	s_and_b32 s15, s15, exec_lo
.LBB302_297:                            ;   in Loop: Header=BB302_185 Depth=1
	s_and_not1_saveexec_b32 s1, s1
; %bb.298:                              ;   in Loop: Header=BB302_185 Depth=1
	s_delay_alu instid0(VALU_DEP_2) | instskip(NEXT) | instid1(VALU_DEP_2)
	v_ldexp_f64 v[0:1], v[0:1], -2
	v_ldexp_f64 v[2:3], v[2:3], -2
	s_and_not1_b32 s15, s15, exec_lo
; %bb.299:                              ;   in Loop: Header=BB302_185 Depth=1
	s_or_b32 exec_lo, exec_lo, s1
	s_delay_alu instid0(VALU_DEP_1) | instskip(NEXT) | instid1(VALU_DEP_3)
	v_max_f64 v[8:9], |v[2:3]|, |v[2:3]|
	v_max_f64 v[10:11], |v[0:1]|, |v[0:1]|
	v_cmp_class_f64_e64 s16, v[0:1], 0x204
	v_cmp_class_f64_e64 s17, v[2:3], 0x204
	v_cmp_le_f64_e64 s1, 0, v[0:1]
	s_delay_alu instid0(VALU_DEP_4) | instskip(NEXT) | instid1(VALU_DEP_3)
	v_max_f64 v[8:9], v[10:11], v[8:9]
	s_or_b32 s16, s17, s16
	s_delay_alu instid0(VALU_DEP_1) | instskip(NEXT) | instid1(VALU_DEP_1)
	v_frexp_exp_i32_f64_e32 v28, v[8:9]
	v_sub_nc_u32_e32 v10, 0, v28
	s_delay_alu instid0(VALU_DEP_1) | instskip(SKIP_1) | instid1(VALU_DEP_2)
	v_ldexp_f64 v[8:9], |v[2:3]|, v10
	v_ldexp_f64 v[10:11], |v[0:1]|, v10
	v_mul_f64 v[8:9], v[8:9], v[8:9]
	s_delay_alu instid0(VALU_DEP_1) | instskip(NEXT) | instid1(VALU_DEP_1)
	v_fma_f64 v[8:9], v[10:11], v[10:11], v[8:9]
	v_rsq_f64_e32 v[10:11], v[8:9]
	v_cmp_eq_f64_e32 vcc_lo, 0, v[8:9]
	s_waitcnt_depctr 0xfff
	v_mul_f64 v[20:21], v[8:9], v[10:11]
	v_mul_f64 v[10:11], v[10:11], 0.5
	s_delay_alu instid0(VALU_DEP_1) | instskip(NEXT) | instid1(VALU_DEP_1)
	v_fma_f64 v[26:27], -v[10:11], v[20:21], 0.5
	v_fma_f64 v[20:21], v[20:21], v[26:27], v[20:21]
	v_fma_f64 v[10:11], v[10:11], v[26:27], v[10:11]
	s_delay_alu instid0(VALU_DEP_2) | instskip(NEXT) | instid1(VALU_DEP_1)
	v_fma_f64 v[26:27], -v[20:21], v[20:21], v[8:9]
	v_fma_f64 v[10:11], v[26:27], v[10:11], v[20:21]
	s_delay_alu instid0(VALU_DEP_1) | instskip(SKIP_1) | instid1(VALU_DEP_2)
	v_dual_cndmask_b32 v9, v11, v9 :: v_dual_cndmask_b32 v8, v10, v8
	v_cmp_o_f64_e32 vcc_lo, v[2:3], v[2:3]
	v_ldexp_f64 v[8:9], v[8:9], v28
	s_delay_alu instid0(VALU_DEP_1) | instskip(NEXT) | instid1(VALU_DEP_2)
	v_cndmask_b32_e32 v8, 0, v8, vcc_lo
	v_cndmask_b32_e32 v9, 0x7ff80000, v9, vcc_lo
	s_delay_alu instid0(VALU_DEP_2) | instskip(NEXT) | instid1(VALU_DEP_2)
	v_cndmask_b32_e64 v8, v8, 0, s16
	v_cndmask_b32_e64 v9, v9, 0x7ff00000, s16
	s_and_saveexec_b32 s16, s1
	s_delay_alu instid0(SALU_CYCLE_1)
	s_xor_b32 s1, exec_lo, s16
	s_cbranch_execnz .LBB302_340
; %bb.300:                              ;   in Loop: Header=BB302_185 Depth=1
	s_and_not1_saveexec_b32 s1, s1
	s_cbranch_execnz .LBB302_341
.LBB302_301:                            ;   in Loop: Header=BB302_185 Depth=1
	s_or_b32 exec_lo, exec_lo, s1
	s_and_saveexec_b32 s1, s0
	s_delay_alu instid0(SALU_CYCLE_1)
	s_xor_b32 s0, exec_lo, s1
	s_cbranch_execnz .LBB302_342
.LBB302_302:                            ;   in Loop: Header=BB302_185 Depth=1
	s_and_not1_saveexec_b32 s0, s0
.LBB302_303:                            ;   in Loop: Header=BB302_185 Depth=1
	s_delay_alu instid0(VALU_DEP_2) | instskip(NEXT) | instid1(VALU_DEP_2)
	v_add_f64 v[0:1], v[0:1], v[0:1]
	v_add_f64 v[2:3], v[2:3], v[2:3]
.LBB302_304:                            ;   in Loop: Header=BB302_185 Depth=1
	s_or_b32 exec_lo, exec_lo, s0
.LBB302_305:                            ;   in Loop: Header=BB302_185 Depth=1
	s_and_not1_saveexec_b32 s0, s14
	s_cbranch_execz .LBB302_311
; %bb.306:                              ;   in Loop: Header=BB302_185 Depth=1
	s_delay_alu instid0(VALU_DEP_1) | instskip(SKIP_1) | instid1(VALU_DEP_3)
	v_add_f64 v[8:9], v[2:3], -v[2:3]
	s_mov_b32 s1, exec_lo
	v_cmpx_lt_i64_e32 -1, v[0:1]
	s_xor_b32 s1, exec_lo, s1
; %bb.307:                              ;   in Loop: Header=BB302_185 Depth=1
	s_delay_alu instid0(VALU_DEP_2) | instskip(NEXT) | instid1(VALU_DEP_1)
	v_bfi_b32 v9, 0x7fffffff, v9, v3
	v_dual_mov_b32 v2, v8 :: v_dual_mov_b32 v3, v9
                                        ; implicit-def: $vgpr8_vgpr9
; %bb.308:                              ;   in Loop: Header=BB302_185 Depth=1
	s_and_not1_saveexec_b32 s1, s1
; %bb.309:                              ;   in Loop: Header=BB302_185 Depth=1
	s_delay_alu instid0(VALU_DEP_1) | instskip(SKIP_1) | instid1(VALU_DEP_2)
	v_bfi_b32 v1, 0x7fffffff, v1, v3
	v_and_b32_e32 v9, 0x7fffffff, v9
	v_dual_mov_b32 v3, v1 :: v_dual_mov_b32 v2, v0
	s_delay_alu instid0(VALU_DEP_2)
	v_dual_mov_b32 v0, v8 :: v_dual_mov_b32 v1, v9
; %bb.310:                              ;   in Loop: Header=BB302_185 Depth=1
	s_or_b32 exec_lo, exec_lo, s1
.LBB302_311:                            ;   in Loop: Header=BB302_185 Depth=1
	s_delay_alu instid0(SALU_CYCLE_1)
	s_or_b32 exec_lo, exec_lo, s0
.LBB302_312:                            ;   in Loop: Header=BB302_185 Depth=1
	s_and_not1_saveexec_b32 s0, s13
; %bb.313:                              ;   in Loop: Header=BB302_185 Depth=1
	s_delay_alu instid0(VALU_DEP_1) | instskip(NEXT) | instid1(VALU_DEP_1)
	v_add_f64 v[2:3], v[2:3], -v[2:3]
	v_div_scale_f64 v[8:9], vcc_lo, v[2:3], v[2:3], v[2:3]
	s_delay_alu instid0(VALU_DEP_1) | instskip(SKIP_2) | instid1(VALU_DEP_1)
	v_rcp_f64_e32 v[10:11], v[8:9]
	s_waitcnt_depctr 0xfff
	v_fma_f64 v[20:21], -v[8:9], v[10:11], 1.0
	v_fma_f64 v[10:11], v[10:11], v[20:21], v[10:11]
	s_delay_alu instid0(VALU_DEP_1) | instskip(NEXT) | instid1(VALU_DEP_1)
	v_fma_f64 v[20:21], -v[8:9], v[10:11], 1.0
	v_fma_f64 v[10:11], v[10:11], v[20:21], v[10:11]
	s_delay_alu instid0(VALU_DEP_1) | instskip(NEXT) | instid1(VALU_DEP_1)
	v_mul_f64 v[20:21], v[8:9], v[10:11]
	v_fma_f64 v[8:9], -v[8:9], v[20:21], v[8:9]
	s_delay_alu instid0(VALU_DEP_1) | instskip(NEXT) | instid1(VALU_DEP_1)
	v_div_fmas_f64 v[8:9], v[8:9], v[10:11], v[20:21]
	v_div_fixup_f64 v[2:3], v[8:9], v[2:3], v[2:3]
; %bb.314:                              ;   in Loop: Header=BB302_185 Depth=1
	s_or_b32 exec_lo, exec_lo, s0
	v_dual_mov_b32 v21, v1 :: v_dual_mov_b32 v20, v0
.LBB302_315:                            ;   in Loop: Header=BB302_185 Depth=1
	s_or_b32 exec_lo, exec_lo, s12
.LBB302_316:                            ;   in Loop: Header=BB302_185 Depth=1
	s_delay_alu instid0(SALU_CYCLE_1) | instskip(NEXT) | instid1(VALU_DEP_1)
	s_or_b32 exec_lo, exec_lo, s11
	v_cmp_gt_f64_e32 vcc_lo, 0, v[20:21]
	s_delay_alu instid0(VALU_DEP_3) | instskip(SKIP_2) | instid1(VALU_DEP_2)
	v_cmp_gt_f64_e64 s0, 0, v[2:3]
	v_xor_b32_e32 v0, 0x80000000, v21
	v_xor_b32_e32 v8, 0x80000000, v3
                                        ; implicit-def: $vgpr10_vgpr11
	v_cndmask_b32_e32 v1, v21, v0, vcc_lo
	s_delay_alu instid0(VALU_DEP_2) | instskip(SKIP_3) | instid1(VALU_DEP_1)
	v_cndmask_b32_e64 v27, v3, v8, s0
	v_cndmask_b32_e32 v0, v20, v20, vcc_lo
	v_cndmask_b32_e64 v26, v2, v2, s0
	s_mov_b32 s0, exec_lo
	v_cmpx_ge_f64_e32 v[0:1], v[26:27]
	s_xor_b32 s1, exec_lo, s0
	s_cbranch_execz .LBB302_322
; %bb.317:                              ;   in Loop: Header=BB302_185 Depth=1
	v_cmp_neq_f64_e32 vcc_lo, 0, v[20:21]
	v_cmp_neq_f64_e64 s0, 0, v[2:3]
                                        ; implicit-def: $vgpr10_vgpr11
	s_delay_alu instid0(VALU_DEP_1) | instskip(NEXT) | instid1(SALU_CYCLE_1)
	s_or_b32 s0, vcc_lo, s0
	s_and_saveexec_b32 s11, s0
	s_delay_alu instid0(SALU_CYCLE_1)
	s_xor_b32 s0, exec_lo, s11
	s_cbranch_execz .LBB302_319
; %bb.318:                              ;   in Loop: Header=BB302_185 Depth=1
	v_div_scale_f64 v[0:1], null, v[20:21], v[20:21], v[2:3]
	v_div_scale_f64 v[26:27], vcc_lo, v[2:3], v[20:21], v[2:3]
	s_delay_alu instid0(VALU_DEP_2) | instskip(SKIP_2) | instid1(VALU_DEP_1)
	v_rcp_f64_e32 v[8:9], v[0:1]
	s_waitcnt_depctr 0xfff
	v_fma_f64 v[10:11], -v[0:1], v[8:9], 1.0
	v_fma_f64 v[8:9], v[8:9], v[10:11], v[8:9]
	s_delay_alu instid0(VALU_DEP_1) | instskip(NEXT) | instid1(VALU_DEP_1)
	v_fma_f64 v[10:11], -v[0:1], v[8:9], 1.0
	v_fma_f64 v[8:9], v[8:9], v[10:11], v[8:9]
	s_delay_alu instid0(VALU_DEP_1) | instskip(NEXT) | instid1(VALU_DEP_1)
	v_mul_f64 v[10:11], v[26:27], v[8:9]
	v_fma_f64 v[0:1], -v[0:1], v[10:11], v[26:27]
	s_delay_alu instid0(VALU_DEP_1) | instskip(NEXT) | instid1(VALU_DEP_1)
	v_div_fmas_f64 v[0:1], v[0:1], v[8:9], v[10:11]
	v_div_fixup_f64 v[0:1], v[0:1], v[20:21], v[2:3]
	s_delay_alu instid0(VALU_DEP_1) | instskip(NEXT) | instid1(VALU_DEP_1)
	v_fma_f64 v[2:3], v[2:3], v[0:1], v[20:21]
	v_div_scale_f64 v[8:9], null, v[2:3], v[2:3], 1.0
	v_div_scale_f64 v[26:27], vcc_lo, 1.0, v[2:3], 1.0
	s_delay_alu instid0(VALU_DEP_2) | instskip(SKIP_2) | instid1(VALU_DEP_1)
	v_rcp_f64_e32 v[10:11], v[8:9]
	s_waitcnt_depctr 0xfff
	v_fma_f64 v[20:21], -v[8:9], v[10:11], 1.0
	v_fma_f64 v[10:11], v[10:11], v[20:21], v[10:11]
	s_delay_alu instid0(VALU_DEP_1) | instskip(NEXT) | instid1(VALU_DEP_1)
	v_fma_f64 v[20:21], -v[8:9], v[10:11], 1.0
	v_fma_f64 v[10:11], v[10:11], v[20:21], v[10:11]
	s_delay_alu instid0(VALU_DEP_1) | instskip(NEXT) | instid1(VALU_DEP_1)
	v_mul_f64 v[20:21], v[26:27], v[10:11]
	v_fma_f64 v[8:9], -v[8:9], v[20:21], v[26:27]
                                        ; implicit-def: $vgpr26_vgpr27
	s_delay_alu instid0(VALU_DEP_1) | instskip(SKIP_2) | instid1(VALU_DEP_3)
	v_div_fmas_f64 v[8:9], v[8:9], v[10:11], v[20:21]
	v_fma_f64 v[10:11], v[0:1], 0, 1.0
	v_add_f64 v[0:1], -v[0:1], 0
	v_div_fixup_f64 v[2:3], v[8:9], v[2:3], 1.0
	s_delay_alu instid0(VALU_DEP_1) | instskip(NEXT) | instid1(VALU_DEP_3)
	v_mul_f64 v[8:9], v[10:11], v[2:3]
	v_mul_f64 v[10:11], v[0:1], v[2:3]
                                        ; implicit-def: $vgpr0_vgpr1
.LBB302_319:                            ;   in Loop: Header=BB302_185 Depth=1
	s_and_not1_saveexec_b32 s11, s0
	s_cbranch_execz .LBB302_321
; %bb.320:                              ;   in Loop: Header=BB302_185 Depth=1
	v_div_scale_f64 v[2:3], null, v[0:1], v[0:1], 1.0
	v_div_scale_f64 v[8:9], null, v[26:27], v[26:27], 0
	v_div_scale_f64 v[32:33], vcc_lo, 1.0, v[0:1], 1.0
	s_delay_alu instid0(VALU_DEP_3) | instskip(NEXT) | instid1(VALU_DEP_2)
	v_rcp_f64_e32 v[10:11], v[2:3]
	v_rcp_f64_e32 v[20:21], v[8:9]
	s_waitcnt_depctr 0xfff
	v_fma_f64 v[28:29], -v[2:3], v[10:11], 1.0
	v_fma_f64 v[30:31], -v[8:9], v[20:21], 1.0
	s_delay_alu instid0(VALU_DEP_2) | instskip(NEXT) | instid1(VALU_DEP_2)
	v_fma_f64 v[10:11], v[10:11], v[28:29], v[10:11]
	v_fma_f64 v[20:21], v[20:21], v[30:31], v[20:21]
	s_delay_alu instid0(VALU_DEP_2) | instskip(NEXT) | instid1(VALU_DEP_2)
	v_fma_f64 v[28:29], -v[2:3], v[10:11], 1.0
	v_fma_f64 v[30:31], -v[8:9], v[20:21], 1.0
	s_delay_alu instid0(VALU_DEP_2) | instskip(SKIP_1) | instid1(VALU_DEP_3)
	v_fma_f64 v[10:11], v[10:11], v[28:29], v[10:11]
	v_div_scale_f64 v[28:29], s0, 0, v[26:27], 0
	v_fma_f64 v[20:21], v[20:21], v[30:31], v[20:21]
	s_delay_alu instid0(VALU_DEP_3) | instskip(NEXT) | instid1(VALU_DEP_2)
	v_mul_f64 v[30:31], v[32:33], v[10:11]
	v_mul_f64 v[34:35], v[28:29], v[20:21]
	s_delay_alu instid0(VALU_DEP_2) | instskip(NEXT) | instid1(VALU_DEP_2)
	v_fma_f64 v[2:3], -v[2:3], v[30:31], v[32:33]
	v_fma_f64 v[8:9], -v[8:9], v[34:35], v[28:29]
	s_delay_alu instid0(VALU_DEP_2) | instskip(SKIP_1) | instid1(VALU_DEP_2)
	v_div_fmas_f64 v[2:3], v[2:3], v[10:11], v[30:31]
	s_mov_b32 vcc_lo, s0
	v_div_fmas_f64 v[10:11], v[8:9], v[20:21], v[34:35]
	s_delay_alu instid0(VALU_DEP_2) | instskip(NEXT) | instid1(VALU_DEP_2)
	v_div_fixup_f64 v[8:9], v[2:3], v[0:1], 1.0
	v_div_fixup_f64 v[10:11], v[10:11], v[26:27], 0
.LBB302_321:                            ;   in Loop: Header=BB302_185 Depth=1
	s_or_b32 exec_lo, exec_lo, s11
                                        ; implicit-def: $vgpr2_vgpr3
                                        ; implicit-def: $vgpr20_vgpr21
.LBB302_322:                            ;   in Loop: Header=BB302_185 Depth=1
	s_and_not1_saveexec_b32 s0, s1
	s_cbranch_execz .LBB302_184
; %bb.323:                              ;   in Loop: Header=BB302_185 Depth=1
	v_div_scale_f64 v[0:1], null, v[2:3], v[2:3], v[20:21]
	v_div_scale_f64 v[26:27], vcc_lo, v[20:21], v[2:3], v[20:21]
	s_delay_alu instid0(VALU_DEP_2) | instskip(SKIP_2) | instid1(VALU_DEP_1)
	v_rcp_f64_e32 v[8:9], v[0:1]
	s_waitcnt_depctr 0xfff
	v_fma_f64 v[10:11], -v[0:1], v[8:9], 1.0
	v_fma_f64 v[8:9], v[8:9], v[10:11], v[8:9]
	s_delay_alu instid0(VALU_DEP_1) | instskip(NEXT) | instid1(VALU_DEP_1)
	v_fma_f64 v[10:11], -v[0:1], v[8:9], 1.0
	v_fma_f64 v[8:9], v[8:9], v[10:11], v[8:9]
	s_delay_alu instid0(VALU_DEP_1) | instskip(NEXT) | instid1(VALU_DEP_1)
	v_mul_f64 v[10:11], v[26:27], v[8:9]
	v_fma_f64 v[0:1], -v[0:1], v[10:11], v[26:27]
	s_delay_alu instid0(VALU_DEP_1) | instskip(NEXT) | instid1(VALU_DEP_1)
	v_div_fmas_f64 v[0:1], v[0:1], v[8:9], v[10:11]
	v_div_fixup_f64 v[0:1], v[0:1], v[2:3], v[20:21]
	s_delay_alu instid0(VALU_DEP_1) | instskip(NEXT) | instid1(VALU_DEP_1)
	v_fma_f64 v[2:3], v[20:21], v[0:1], v[2:3]
	v_div_scale_f64 v[8:9], null, v[2:3], v[2:3], 1.0
	v_div_scale_f64 v[26:27], vcc_lo, 1.0, v[2:3], 1.0
	s_delay_alu instid0(VALU_DEP_2) | instskip(SKIP_2) | instid1(VALU_DEP_1)
	v_rcp_f64_e32 v[10:11], v[8:9]
	s_waitcnt_depctr 0xfff
	v_fma_f64 v[20:21], -v[8:9], v[10:11], 1.0
	v_fma_f64 v[10:11], v[10:11], v[20:21], v[10:11]
	s_delay_alu instid0(VALU_DEP_1) | instskip(NEXT) | instid1(VALU_DEP_1)
	v_fma_f64 v[20:21], -v[8:9], v[10:11], 1.0
	v_fma_f64 v[10:11], v[10:11], v[20:21], v[10:11]
	s_delay_alu instid0(VALU_DEP_1) | instskip(NEXT) | instid1(VALU_DEP_1)
	v_mul_f64 v[20:21], v[26:27], v[10:11]
	v_fma_f64 v[8:9], -v[8:9], v[20:21], v[26:27]
	s_delay_alu instid0(VALU_DEP_1) | instskip(SKIP_2) | instid1(VALU_DEP_3)
	v_div_fmas_f64 v[8:9], v[8:9], v[10:11], v[20:21]
	v_add_f64 v[10:11], v[0:1], 0
	v_fma_f64 v[0:1], v[0:1], 0, -1.0
	v_div_fixup_f64 v[2:3], v[8:9], v[2:3], 1.0
	s_delay_alu instid0(VALU_DEP_1) | instskip(NEXT) | instid1(VALU_DEP_3)
	v_mul_f64 v[8:9], v[10:11], v[2:3]
	v_mul_f64 v[10:11], v[0:1], v[2:3]
	s_branch .LBB302_184
.LBB302_324:                            ;   in Loop: Header=BB302_185 Depth=1
	s_or_b32 exec_lo, exec_lo, s0
	s_and_not1_saveexec_b32 s0, s13
	s_cbranch_execnz .LBB302_208
	s_branch .LBB302_209
.LBB302_325:                            ;   in Loop: Header=BB302_185 Depth=1
	s_delay_alu instid0(VALU_DEP_1) | instskip(NEXT) | instid1(VALU_DEP_1)
	v_add_f64 v[4:5], v[18:19], v[4:5]
	v_mul_f64 v[4:5], v[4:5], 0.5
	s_delay_alu instid0(VALU_DEP_1) | instskip(SKIP_1) | instid1(VALU_DEP_1)
	v_cmp_gt_f64_e32 vcc_lo, 0x10000000, v[4:5]
	v_cndmask_b32_e64 v6, 0, 1, vcc_lo
	v_lshlrev_b32_e32 v6, 8, v6
	s_delay_alu instid0(VALU_DEP_1) | instskip(NEXT) | instid1(VALU_DEP_1)
	v_ldexp_f64 v[4:5], v[4:5], v6
	v_rsq_f64_e32 v[6:7], v[4:5]
	s_waitcnt_depctr 0xfff
	v_mul_f64 v[12:13], v[4:5], v[6:7]
	v_mul_f64 v[6:7], v[6:7], 0.5
	s_delay_alu instid0(VALU_DEP_1) | instskip(NEXT) | instid1(VALU_DEP_1)
	v_fma_f64 v[18:19], -v[6:7], v[12:13], 0.5
	v_fma_f64 v[12:13], v[12:13], v[18:19], v[12:13]
	v_fma_f64 v[6:7], v[6:7], v[18:19], v[6:7]
	s_delay_alu instid0(VALU_DEP_2) | instskip(NEXT) | instid1(VALU_DEP_1)
	v_fma_f64 v[18:19], -v[12:13], v[12:13], v[4:5]
	v_fma_f64 v[12:13], v[18:19], v[6:7], v[12:13]
	s_delay_alu instid0(VALU_DEP_1) | instskip(NEXT) | instid1(VALU_DEP_1)
	v_fma_f64 v[18:19], -v[12:13], v[12:13], v[4:5]
	v_fma_f64 v[6:7], v[18:19], v[6:7], v[12:13]
	v_cndmask_b32_e64 v12, 0, 0xffffff80, vcc_lo
	v_cmp_class_f64_e64 vcc_lo, v[4:5], 0x260
	s_delay_alu instid0(VALU_DEP_2) | instskip(NEXT) | instid1(VALU_DEP_1)
	v_ldexp_f64 v[6:7], v[6:7], v12
	v_dual_cndmask_b32 v19, v7, v5 :: v_dual_cndmask_b32 v18, v6, v4
	s_delay_alu instid0(VALU_DEP_1) | instskip(NEXT) | instid1(VALU_DEP_1)
	v_add_f64 v[4:5], v[18:19], v[18:19]
	v_div_scale_f64 v[6:7], null, v[4:5], v[4:5], v[20:21]
	s_delay_alu instid0(VALU_DEP_1) | instskip(SKIP_2) | instid1(VALU_DEP_1)
	v_rcp_f64_e32 v[12:13], v[6:7]
	s_waitcnt_depctr 0xfff
	v_fma_f64 v[26:27], -v[6:7], v[12:13], 1.0
	v_fma_f64 v[12:13], v[12:13], v[26:27], v[12:13]
	s_delay_alu instid0(VALU_DEP_1) | instskip(NEXT) | instid1(VALU_DEP_1)
	v_fma_f64 v[26:27], -v[6:7], v[12:13], 1.0
	v_fma_f64 v[12:13], v[12:13], v[26:27], v[12:13]
	v_div_scale_f64 v[26:27], vcc_lo, v[20:21], v[4:5], v[20:21]
	s_delay_alu instid0(VALU_DEP_1) | instskip(NEXT) | instid1(VALU_DEP_1)
	v_mul_f64 v[28:29], v[26:27], v[12:13]
	v_fma_f64 v[6:7], -v[6:7], v[28:29], v[26:27]
	s_delay_alu instid0(VALU_DEP_1) | instskip(NEXT) | instid1(VALU_DEP_1)
	v_div_fmas_f64 v[6:7], v[6:7], v[12:13], v[28:29]
	v_div_fixup_f64 v[20:21], v[6:7], v[4:5], v[20:21]
                                        ; implicit-def: $vgpr4_vgpr5
	s_and_not1_saveexec_b32 s1, s1
	s_cbranch_execz .LBB302_197
.LBB302_326:                            ;   in Loop: Header=BB302_185 Depth=1
	v_add_f64 v[4:5], v[4:5], -v[18:19]
	s_delay_alu instid0(VALU_DEP_1) | instskip(NEXT) | instid1(VALU_DEP_1)
	v_mul_f64 v[4:5], v[4:5], 0.5
	v_cmp_gt_f64_e32 vcc_lo, 0x10000000, v[4:5]
	v_cndmask_b32_e64 v6, 0, 1, vcc_lo
	s_delay_alu instid0(VALU_DEP_1) | instskip(NEXT) | instid1(VALU_DEP_1)
	v_lshlrev_b32_e32 v6, 8, v6
	v_ldexp_f64 v[4:5], v[4:5], v6
	s_delay_alu instid0(VALU_DEP_1) | instskip(SKIP_3) | instid1(VALU_DEP_1)
	v_rsq_f64_e32 v[6:7], v[4:5]
	s_waitcnt_depctr 0xfff
	v_mul_f64 v[12:13], v[4:5], v[6:7]
	v_mul_f64 v[6:7], v[6:7], 0.5
	v_fma_f64 v[18:19], -v[6:7], v[12:13], 0.5
	s_delay_alu instid0(VALU_DEP_1) | instskip(SKIP_1) | instid1(VALU_DEP_2)
	v_fma_f64 v[12:13], v[12:13], v[18:19], v[12:13]
	v_fma_f64 v[6:7], v[6:7], v[18:19], v[6:7]
	v_fma_f64 v[18:19], -v[12:13], v[12:13], v[4:5]
	s_delay_alu instid0(VALU_DEP_1) | instskip(NEXT) | instid1(VALU_DEP_1)
	v_fma_f64 v[12:13], v[18:19], v[6:7], v[12:13]
	v_fma_f64 v[18:19], -v[12:13], v[12:13], v[4:5]
	s_delay_alu instid0(VALU_DEP_1) | instskip(SKIP_3) | instid1(VALU_DEP_3)
	v_fma_f64 v[6:7], v[18:19], v[6:7], v[12:13]
	v_cndmask_b32_e64 v12, 0, 0xffffff80, vcc_lo
	v_cmp_class_f64_e64 vcc_lo, v[4:5], 0x260
	v_and_b32_e32 v13, 0x7fffffff, v21
	v_ldexp_f64 v[6:7], v[6:7], v12
	s_delay_alu instid0(VALU_DEP_1) | instskip(NEXT) | instid1(VALU_DEP_1)
	v_dual_cndmask_b32 v5, v7, v5 :: v_dual_cndmask_b32 v4, v6, v4
	v_add_f64 v[6:7], v[4:5], v[4:5]
	v_bfi_b32 v5, 0x7fffffff, v5, v21
	v_mov_b32_e32 v12, v20
	s_delay_alu instid0(VALU_DEP_1) | instskip(SKIP_1) | instid1(VALU_DEP_2)
	v_div_scale_f64 v[18:19], null, v[6:7], v[6:7], v[12:13]
	v_div_scale_f64 v[12:13], vcc_lo, v[12:13], v[6:7], v[12:13]
	v_rcp_f64_e32 v[26:27], v[18:19]
	s_waitcnt_depctr 0xfff
	v_fma_f64 v[28:29], -v[18:19], v[26:27], 1.0
	s_delay_alu instid0(VALU_DEP_1) | instskip(NEXT) | instid1(VALU_DEP_1)
	v_fma_f64 v[26:27], v[26:27], v[28:29], v[26:27]
	v_fma_f64 v[28:29], -v[18:19], v[26:27], 1.0
	s_delay_alu instid0(VALU_DEP_1) | instskip(NEXT) | instid1(VALU_DEP_1)
	v_fma_f64 v[26:27], v[26:27], v[28:29], v[26:27]
	v_mul_f64 v[28:29], v[12:13], v[26:27]
	s_delay_alu instid0(VALU_DEP_1) | instskip(NEXT) | instid1(VALU_DEP_1)
	v_fma_f64 v[12:13], -v[18:19], v[28:29], v[12:13]
	v_div_fmas_f64 v[12:13], v[12:13], v[26:27], v[28:29]
	s_delay_alu instid0(VALU_DEP_1) | instskip(SKIP_3) | instid1(SALU_CYCLE_1)
	v_div_fixup_f64 v[18:19], v[12:13], v[6:7], |v[20:21]|
	v_dual_mov_b32 v21, v5 :: v_dual_mov_b32 v20, v4
	s_or_b32 exec_lo, exec_lo, s1
	s_and_saveexec_b32 s1, s0
	s_xor_b32 s0, exec_lo, s1
	s_cbranch_execz .LBB302_198
.LBB302_327:                            ;   in Loop: Header=BB302_185 Depth=1
	s_and_saveexec_b32 s1, s15
; %bb.328:                              ;   in Loop: Header=BB302_185 Depth=1
	s_delay_alu instid0(VALU_DEP_2) | instskip(NEXT) | instid1(VALU_DEP_2)
	v_mul_f64 v[18:19], v[18:19], 0.5
	v_mul_f64 v[20:21], v[20:21], 0.5
; %bb.329:                              ;   in Loop: Header=BB302_185 Depth=1
	s_or_b32 exec_lo, exec_lo, s1
	s_and_not1_saveexec_b32 s0, s0
	s_cbranch_execnz .LBB302_199
	s_branch .LBB302_200
.LBB302_330:                            ;   in Loop: Header=BB302_185 Depth=1
	s_delay_alu instid0(VALU_DEP_1) | instskip(NEXT) | instid1(VALU_DEP_1)
	v_add_f64 v[12:13], v[14:15], v[12:13]
	v_mul_f64 v[12:13], v[12:13], 0.5
	s_delay_alu instid0(VALU_DEP_1) | instskip(SKIP_1) | instid1(VALU_DEP_1)
	v_cmp_gt_f64_e32 vcc_lo, 0x10000000, v[12:13]
	v_cndmask_b32_e64 v14, 0, 1, vcc_lo
	v_lshlrev_b32_e32 v14, 8, v14
	s_delay_alu instid0(VALU_DEP_1) | instskip(NEXT) | instid1(VALU_DEP_1)
	v_ldexp_f64 v[12:13], v[12:13], v14
	v_rsq_f64_e32 v[14:15], v[12:13]
	s_waitcnt_depctr 0xfff
	v_mul_f64 v[18:19], v[12:13], v[14:15]
	v_mul_f64 v[14:15], v[14:15], 0.5
	s_delay_alu instid0(VALU_DEP_1) | instskip(NEXT) | instid1(VALU_DEP_1)
	v_fma_f64 v[20:21], -v[14:15], v[18:19], 0.5
	v_fma_f64 v[18:19], v[18:19], v[20:21], v[18:19]
	v_fma_f64 v[14:15], v[14:15], v[20:21], v[14:15]
	s_delay_alu instid0(VALU_DEP_2) | instskip(NEXT) | instid1(VALU_DEP_1)
	v_fma_f64 v[20:21], -v[18:19], v[18:19], v[12:13]
	v_fma_f64 v[18:19], v[20:21], v[14:15], v[18:19]
	s_delay_alu instid0(VALU_DEP_1) | instskip(NEXT) | instid1(VALU_DEP_1)
	v_fma_f64 v[20:21], -v[18:19], v[18:19], v[12:13]
	v_fma_f64 v[14:15], v[20:21], v[14:15], v[18:19]
	v_cndmask_b32_e64 v18, 0, 0xffffff80, vcc_lo
	v_cmp_class_f64_e64 vcc_lo, v[12:13], 0x260
	s_delay_alu instid0(VALU_DEP_2) | instskip(NEXT) | instid1(VALU_DEP_1)
	v_ldexp_f64 v[14:15], v[14:15], v18
	v_dual_cndmask_b32 v15, v15, v13 :: v_dual_cndmask_b32 v14, v14, v12
	s_delay_alu instid0(VALU_DEP_1) | instskip(NEXT) | instid1(VALU_DEP_1)
	v_add_f64 v[12:13], v[14:15], v[14:15]
	v_div_scale_f64 v[18:19], null, v[12:13], v[12:13], v[16:17]
	s_delay_alu instid0(VALU_DEP_1) | instskip(SKIP_2) | instid1(VALU_DEP_1)
	v_rcp_f64_e32 v[20:21], v[18:19]
	s_waitcnt_depctr 0xfff
	v_fma_f64 v[26:27], -v[18:19], v[20:21], 1.0
	v_fma_f64 v[20:21], v[20:21], v[26:27], v[20:21]
	s_delay_alu instid0(VALU_DEP_1) | instskip(NEXT) | instid1(VALU_DEP_1)
	v_fma_f64 v[26:27], -v[18:19], v[20:21], 1.0
	v_fma_f64 v[20:21], v[20:21], v[26:27], v[20:21]
	v_div_scale_f64 v[26:27], vcc_lo, v[16:17], v[12:13], v[16:17]
	s_delay_alu instid0(VALU_DEP_1) | instskip(NEXT) | instid1(VALU_DEP_1)
	v_mul_f64 v[28:29], v[26:27], v[20:21]
	v_fma_f64 v[18:19], -v[18:19], v[28:29], v[26:27]
	s_delay_alu instid0(VALU_DEP_1) | instskip(NEXT) | instid1(VALU_DEP_1)
	v_div_fmas_f64 v[18:19], v[18:19], v[20:21], v[28:29]
	v_div_fixup_f64 v[16:17], v[18:19], v[12:13], v[16:17]
                                        ; implicit-def: $vgpr12_vgpr13
	s_and_not1_saveexec_b32 s1, s1
	s_cbranch_execz .LBB302_231
.LBB302_331:                            ;   in Loop: Header=BB302_185 Depth=1
	v_add_f64 v[12:13], v[12:13], -v[14:15]
	s_delay_alu instid0(VALU_DEP_1) | instskip(NEXT) | instid1(VALU_DEP_1)
	v_mul_f64 v[12:13], v[12:13], 0.5
	v_cmp_gt_f64_e32 vcc_lo, 0x10000000, v[12:13]
	v_cndmask_b32_e64 v14, 0, 1, vcc_lo
	s_delay_alu instid0(VALU_DEP_1) | instskip(NEXT) | instid1(VALU_DEP_1)
	v_lshlrev_b32_e32 v14, 8, v14
	v_ldexp_f64 v[12:13], v[12:13], v14
	s_delay_alu instid0(VALU_DEP_1) | instskip(SKIP_3) | instid1(VALU_DEP_1)
	v_rsq_f64_e32 v[14:15], v[12:13]
	s_waitcnt_depctr 0xfff
	v_mul_f64 v[18:19], v[12:13], v[14:15]
	v_mul_f64 v[14:15], v[14:15], 0.5
	v_fma_f64 v[20:21], -v[14:15], v[18:19], 0.5
	s_delay_alu instid0(VALU_DEP_1) | instskip(SKIP_1) | instid1(VALU_DEP_2)
	v_fma_f64 v[18:19], v[18:19], v[20:21], v[18:19]
	v_fma_f64 v[14:15], v[14:15], v[20:21], v[14:15]
	v_fma_f64 v[20:21], -v[18:19], v[18:19], v[12:13]
	s_delay_alu instid0(VALU_DEP_1) | instskip(NEXT) | instid1(VALU_DEP_1)
	v_fma_f64 v[18:19], v[20:21], v[14:15], v[18:19]
	v_fma_f64 v[20:21], -v[18:19], v[18:19], v[12:13]
	s_delay_alu instid0(VALU_DEP_1) | instskip(SKIP_3) | instid1(VALU_DEP_3)
	v_fma_f64 v[14:15], v[20:21], v[14:15], v[18:19]
	v_cndmask_b32_e64 v18, 0, 0xffffff80, vcc_lo
	v_cmp_class_f64_e64 vcc_lo, v[12:13], 0x260
	v_and_b32_e32 v19, 0x7fffffff, v17
	v_ldexp_f64 v[14:15], v[14:15], v18
	s_delay_alu instid0(VALU_DEP_1) | instskip(NEXT) | instid1(VALU_DEP_1)
	v_dual_cndmask_b32 v13, v15, v13 :: v_dual_cndmask_b32 v12, v14, v12
	v_add_f64 v[14:15], v[12:13], v[12:13]
	v_bfi_b32 v13, 0x7fffffff, v13, v17
	v_mov_b32_e32 v18, v16
	s_delay_alu instid0(VALU_DEP_1) | instskip(SKIP_1) | instid1(VALU_DEP_2)
	v_div_scale_f64 v[20:21], null, v[14:15], v[14:15], v[18:19]
	v_div_scale_f64 v[18:19], vcc_lo, v[18:19], v[14:15], v[18:19]
	v_rcp_f64_e32 v[26:27], v[20:21]
	s_waitcnt_depctr 0xfff
	v_fma_f64 v[28:29], -v[20:21], v[26:27], 1.0
	s_delay_alu instid0(VALU_DEP_1) | instskip(NEXT) | instid1(VALU_DEP_1)
	v_fma_f64 v[26:27], v[26:27], v[28:29], v[26:27]
	v_fma_f64 v[28:29], -v[20:21], v[26:27], 1.0
	s_delay_alu instid0(VALU_DEP_1) | instskip(NEXT) | instid1(VALU_DEP_1)
	v_fma_f64 v[26:27], v[26:27], v[28:29], v[26:27]
	v_mul_f64 v[28:29], v[18:19], v[26:27]
	s_delay_alu instid0(VALU_DEP_1) | instskip(NEXT) | instid1(VALU_DEP_1)
	v_fma_f64 v[18:19], -v[20:21], v[28:29], v[18:19]
	v_div_fmas_f64 v[18:19], v[18:19], v[26:27], v[28:29]
	s_delay_alu instid0(VALU_DEP_1) | instskip(SKIP_3) | instid1(SALU_CYCLE_1)
	v_div_fixup_f64 v[14:15], v[18:19], v[14:15], |v[16:17]|
	v_dual_mov_b32 v17, v13 :: v_dual_mov_b32 v16, v12
	s_or_b32 exec_lo, exec_lo, s1
	s_and_saveexec_b32 s1, s0
	s_xor_b32 s0, exec_lo, s1
	s_cbranch_execz .LBB302_232
.LBB302_332:                            ;   in Loop: Header=BB302_185 Depth=1
	s_and_saveexec_b32 s1, s15
; %bb.333:                              ;   in Loop: Header=BB302_185 Depth=1
	s_delay_alu instid0(VALU_DEP_2) | instskip(NEXT) | instid1(VALU_DEP_2)
	v_mul_f64 v[14:15], v[14:15], 0.5
	v_mul_f64 v[16:17], v[16:17], 0.5
; %bb.334:                              ;   in Loop: Header=BB302_185 Depth=1
	s_or_b32 exec_lo, exec_lo, s1
	s_and_not1_saveexec_b32 s0, s0
	s_cbranch_execnz .LBB302_233
	s_branch .LBB302_234
.LBB302_335:                            ;   in Loop: Header=BB302_185 Depth=1
	s_delay_alu instid0(VALU_DEP_1) | instskip(NEXT) | instid1(VALU_DEP_1)
	v_add_f64 v[8:9], v[8:9], v[16:17]
	v_mul_f64 v[8:9], v[8:9], 0.5
	s_delay_alu instid0(VALU_DEP_1) | instskip(SKIP_1) | instid1(VALU_DEP_1)
	v_cmp_gt_f64_e32 vcc_lo, 0x10000000, v[8:9]
	v_cndmask_b32_e64 v16, 0, 1, vcc_lo
	v_lshlrev_b32_e32 v16, 8, v16
	s_delay_alu instid0(VALU_DEP_1) | instskip(NEXT) | instid1(VALU_DEP_1)
	v_ldexp_f64 v[8:9], v[8:9], v16
	v_rsq_f64_e32 v[16:17], v[8:9]
	s_waitcnt_depctr 0xfff
	v_mul_f64 v[18:19], v[8:9], v[16:17]
	v_mul_f64 v[16:17], v[16:17], 0.5
	s_delay_alu instid0(VALU_DEP_1) | instskip(NEXT) | instid1(VALU_DEP_1)
	v_fma_f64 v[20:21], -v[16:17], v[18:19], 0.5
	v_fma_f64 v[18:19], v[18:19], v[20:21], v[18:19]
	v_fma_f64 v[16:17], v[16:17], v[20:21], v[16:17]
	s_delay_alu instid0(VALU_DEP_2) | instskip(NEXT) | instid1(VALU_DEP_1)
	v_fma_f64 v[20:21], -v[18:19], v[18:19], v[8:9]
	v_fma_f64 v[18:19], v[20:21], v[16:17], v[18:19]
	s_delay_alu instid0(VALU_DEP_1) | instskip(NEXT) | instid1(VALU_DEP_1)
	v_fma_f64 v[20:21], -v[18:19], v[18:19], v[8:9]
	v_fma_f64 v[16:17], v[20:21], v[16:17], v[18:19]
	v_cndmask_b32_e64 v18, 0, 0xffffff80, vcc_lo
	v_cmp_class_f64_e64 vcc_lo, v[8:9], 0x260
	s_delay_alu instid0(VALU_DEP_2) | instskip(NEXT) | instid1(VALU_DEP_1)
	v_ldexp_f64 v[16:17], v[16:17], v18
	v_dual_cndmask_b32 v9, v17, v9 :: v_dual_cndmask_b32 v8, v16, v8
	s_delay_alu instid0(VALU_DEP_1) | instskip(NEXT) | instid1(VALU_DEP_1)
	v_add_f64 v[16:17], v[8:9], v[8:9]
	v_div_scale_f64 v[18:19], null, v[16:17], v[16:17], v[10:11]
	s_delay_alu instid0(VALU_DEP_1) | instskip(SKIP_2) | instid1(VALU_DEP_1)
	v_rcp_f64_e32 v[20:21], v[18:19]
	s_waitcnt_depctr 0xfff
	v_fma_f64 v[26:27], -v[18:19], v[20:21], 1.0
	v_fma_f64 v[20:21], v[20:21], v[26:27], v[20:21]
	s_delay_alu instid0(VALU_DEP_1) | instskip(NEXT) | instid1(VALU_DEP_1)
	v_fma_f64 v[26:27], -v[18:19], v[20:21], 1.0
	v_fma_f64 v[20:21], v[20:21], v[26:27], v[20:21]
	v_div_scale_f64 v[26:27], vcc_lo, v[10:11], v[16:17], v[10:11]
	s_delay_alu instid0(VALU_DEP_1) | instskip(NEXT) | instid1(VALU_DEP_1)
	v_mul_f64 v[28:29], v[26:27], v[20:21]
	v_fma_f64 v[18:19], -v[18:19], v[28:29], v[26:27]
	s_delay_alu instid0(VALU_DEP_1) | instskip(NEXT) | instid1(VALU_DEP_1)
	v_div_fmas_f64 v[18:19], v[18:19], v[20:21], v[28:29]
	v_div_fixup_f64 v[10:11], v[18:19], v[16:17], v[10:11]
                                        ; implicit-def: $vgpr16_vgpr17
	s_and_not1_saveexec_b32 s1, s1
	s_cbranch_execz .LBB302_266
.LBB302_336:                            ;   in Loop: Header=BB302_185 Depth=1
	v_add_f64 v[8:9], v[16:17], -v[8:9]
	s_delay_alu instid0(VALU_DEP_1) | instskip(NEXT) | instid1(VALU_DEP_1)
	v_mul_f64 v[8:9], v[8:9], 0.5
	v_cmp_gt_f64_e32 vcc_lo, 0x10000000, v[8:9]
	v_cndmask_b32_e64 v16, 0, 1, vcc_lo
	s_delay_alu instid0(VALU_DEP_1) | instskip(NEXT) | instid1(VALU_DEP_1)
	v_lshlrev_b32_e32 v16, 8, v16
	v_ldexp_f64 v[8:9], v[8:9], v16
	s_delay_alu instid0(VALU_DEP_1) | instskip(SKIP_3) | instid1(VALU_DEP_1)
	v_rsq_f64_e32 v[16:17], v[8:9]
	s_waitcnt_depctr 0xfff
	v_mul_f64 v[18:19], v[8:9], v[16:17]
	v_mul_f64 v[16:17], v[16:17], 0.5
	v_fma_f64 v[20:21], -v[16:17], v[18:19], 0.5
	s_delay_alu instid0(VALU_DEP_1) | instskip(SKIP_1) | instid1(VALU_DEP_2)
	v_fma_f64 v[18:19], v[18:19], v[20:21], v[18:19]
	v_fma_f64 v[16:17], v[16:17], v[20:21], v[16:17]
	v_fma_f64 v[20:21], -v[18:19], v[18:19], v[8:9]
	s_delay_alu instid0(VALU_DEP_1) | instskip(NEXT) | instid1(VALU_DEP_1)
	v_fma_f64 v[18:19], v[20:21], v[16:17], v[18:19]
	v_fma_f64 v[20:21], -v[18:19], v[18:19], v[8:9]
	s_delay_alu instid0(VALU_DEP_1) | instskip(SKIP_3) | instid1(VALU_DEP_3)
	v_fma_f64 v[16:17], v[20:21], v[16:17], v[18:19]
	v_cndmask_b32_e64 v18, 0, 0xffffff80, vcc_lo
	v_cmp_class_f64_e64 vcc_lo, v[8:9], 0x260
	v_and_b32_e32 v19, 0x7fffffff, v11
	v_ldexp_f64 v[16:17], v[16:17], v18
	s_delay_alu instid0(VALU_DEP_1) | instskip(NEXT) | instid1(VALU_DEP_1)
	v_dual_cndmask_b32 v17, v17, v9 :: v_dual_cndmask_b32 v16, v16, v8
	v_add_f64 v[8:9], v[16:17], v[16:17]
	v_bfi_b32 v17, 0x7fffffff, v17, v11
	v_mov_b32_e32 v18, v10
	s_delay_alu instid0(VALU_DEP_1) | instskip(SKIP_1) | instid1(VALU_DEP_2)
	v_div_scale_f64 v[20:21], null, v[8:9], v[8:9], v[18:19]
	v_div_scale_f64 v[18:19], vcc_lo, v[18:19], v[8:9], v[18:19]
	v_rcp_f64_e32 v[26:27], v[20:21]
	s_waitcnt_depctr 0xfff
	v_fma_f64 v[28:29], -v[20:21], v[26:27], 1.0
	s_delay_alu instid0(VALU_DEP_1) | instskip(NEXT) | instid1(VALU_DEP_1)
	v_fma_f64 v[26:27], v[26:27], v[28:29], v[26:27]
	v_fma_f64 v[28:29], -v[20:21], v[26:27], 1.0
	s_delay_alu instid0(VALU_DEP_1) | instskip(NEXT) | instid1(VALU_DEP_1)
	v_fma_f64 v[26:27], v[26:27], v[28:29], v[26:27]
	v_mul_f64 v[28:29], v[18:19], v[26:27]
	s_delay_alu instid0(VALU_DEP_1) | instskip(NEXT) | instid1(VALU_DEP_1)
	v_fma_f64 v[18:19], -v[20:21], v[28:29], v[18:19]
	v_div_fmas_f64 v[18:19], v[18:19], v[26:27], v[28:29]
	s_delay_alu instid0(VALU_DEP_1) | instskip(SKIP_3) | instid1(SALU_CYCLE_1)
	v_div_fixup_f64 v[8:9], v[18:19], v[8:9], |v[10:11]|
	v_dual_mov_b32 v10, v16 :: v_dual_mov_b32 v11, v17
	s_or_b32 exec_lo, exec_lo, s1
	s_and_saveexec_b32 s1, s0
	s_xor_b32 s0, exec_lo, s1
	s_cbranch_execz .LBB302_267
.LBB302_337:                            ;   in Loop: Header=BB302_185 Depth=1
	s_and_saveexec_b32 s1, s15
; %bb.338:                              ;   in Loop: Header=BB302_185 Depth=1
	s_delay_alu instid0(VALU_DEP_2) | instskip(NEXT) | instid1(VALU_DEP_2)
	v_mul_f64 v[8:9], v[8:9], 0.5
	v_mul_f64 v[10:11], v[10:11], 0.5
; %bb.339:                              ;   in Loop: Header=BB302_185 Depth=1
	s_or_b32 exec_lo, exec_lo, s1
	s_and_not1_saveexec_b32 s0, s0
	s_cbranch_execnz .LBB302_268
	s_branch .LBB302_269
.LBB302_340:                            ;   in Loop: Header=BB302_185 Depth=1
	s_delay_alu instid0(VALU_DEP_1) | instskip(NEXT) | instid1(VALU_DEP_1)
	v_add_f64 v[0:1], v[0:1], v[8:9]
	v_mul_f64 v[0:1], v[0:1], 0.5
	s_delay_alu instid0(VALU_DEP_1) | instskip(SKIP_1) | instid1(VALU_DEP_1)
	v_cmp_gt_f64_e32 vcc_lo, 0x10000000, v[0:1]
	v_cndmask_b32_e64 v8, 0, 1, vcc_lo
	v_lshlrev_b32_e32 v8, 8, v8
	s_delay_alu instid0(VALU_DEP_1) | instskip(NEXT) | instid1(VALU_DEP_1)
	v_ldexp_f64 v[0:1], v[0:1], v8
	v_rsq_f64_e32 v[8:9], v[0:1]
	s_waitcnt_depctr 0xfff
	v_mul_f64 v[10:11], v[0:1], v[8:9]
	v_mul_f64 v[8:9], v[8:9], 0.5
	s_delay_alu instid0(VALU_DEP_1) | instskip(NEXT) | instid1(VALU_DEP_1)
	v_fma_f64 v[20:21], -v[8:9], v[10:11], 0.5
	v_fma_f64 v[10:11], v[10:11], v[20:21], v[10:11]
	v_fma_f64 v[8:9], v[8:9], v[20:21], v[8:9]
	s_delay_alu instid0(VALU_DEP_2) | instskip(NEXT) | instid1(VALU_DEP_1)
	v_fma_f64 v[20:21], -v[10:11], v[10:11], v[0:1]
	v_fma_f64 v[10:11], v[20:21], v[8:9], v[10:11]
	s_delay_alu instid0(VALU_DEP_1) | instskip(NEXT) | instid1(VALU_DEP_1)
	v_fma_f64 v[20:21], -v[10:11], v[10:11], v[0:1]
	v_fma_f64 v[8:9], v[20:21], v[8:9], v[10:11]
	v_cndmask_b32_e64 v10, 0, 0xffffff80, vcc_lo
	v_cmp_class_f64_e64 vcc_lo, v[0:1], 0x260
	s_delay_alu instid0(VALU_DEP_2) | instskip(NEXT) | instid1(VALU_DEP_1)
	v_ldexp_f64 v[8:9], v[8:9], v10
	v_dual_cndmask_b32 v1, v9, v1 :: v_dual_cndmask_b32 v0, v8, v0
	s_delay_alu instid0(VALU_DEP_1) | instskip(NEXT) | instid1(VALU_DEP_1)
	v_add_f64 v[8:9], v[0:1], v[0:1]
	v_div_scale_f64 v[10:11], null, v[8:9], v[8:9], v[2:3]
	s_delay_alu instid0(VALU_DEP_1) | instskip(SKIP_2) | instid1(VALU_DEP_1)
	v_rcp_f64_e32 v[20:21], v[10:11]
	s_waitcnt_depctr 0xfff
	v_fma_f64 v[26:27], -v[10:11], v[20:21], 1.0
	v_fma_f64 v[20:21], v[20:21], v[26:27], v[20:21]
	s_delay_alu instid0(VALU_DEP_1) | instskip(NEXT) | instid1(VALU_DEP_1)
	v_fma_f64 v[26:27], -v[10:11], v[20:21], 1.0
	v_fma_f64 v[20:21], v[20:21], v[26:27], v[20:21]
	v_div_scale_f64 v[26:27], vcc_lo, v[2:3], v[8:9], v[2:3]
	s_delay_alu instid0(VALU_DEP_1) | instskip(NEXT) | instid1(VALU_DEP_1)
	v_mul_f64 v[28:29], v[26:27], v[20:21]
	v_fma_f64 v[10:11], -v[10:11], v[28:29], v[26:27]
	s_delay_alu instid0(VALU_DEP_1) | instskip(NEXT) | instid1(VALU_DEP_1)
	v_div_fmas_f64 v[10:11], v[10:11], v[20:21], v[28:29]
	v_div_fixup_f64 v[2:3], v[10:11], v[8:9], v[2:3]
                                        ; implicit-def: $vgpr8_vgpr9
	s_and_not1_saveexec_b32 s1, s1
	s_cbranch_execz .LBB302_301
.LBB302_341:                            ;   in Loop: Header=BB302_185 Depth=1
	v_add_f64 v[0:1], v[8:9], -v[0:1]
	s_delay_alu instid0(VALU_DEP_1) | instskip(NEXT) | instid1(VALU_DEP_1)
	v_mul_f64 v[0:1], v[0:1], 0.5
	v_cmp_gt_f64_e32 vcc_lo, 0x10000000, v[0:1]
	v_cndmask_b32_e64 v8, 0, 1, vcc_lo
	s_delay_alu instid0(VALU_DEP_1) | instskip(NEXT) | instid1(VALU_DEP_1)
	v_lshlrev_b32_e32 v8, 8, v8
	v_ldexp_f64 v[0:1], v[0:1], v8
	s_delay_alu instid0(VALU_DEP_1) | instskip(SKIP_3) | instid1(VALU_DEP_1)
	v_rsq_f64_e32 v[8:9], v[0:1]
	s_waitcnt_depctr 0xfff
	v_mul_f64 v[10:11], v[0:1], v[8:9]
	v_mul_f64 v[8:9], v[8:9], 0.5
	v_fma_f64 v[20:21], -v[8:9], v[10:11], 0.5
	s_delay_alu instid0(VALU_DEP_1) | instskip(SKIP_1) | instid1(VALU_DEP_2)
	v_fma_f64 v[10:11], v[10:11], v[20:21], v[10:11]
	v_fma_f64 v[8:9], v[8:9], v[20:21], v[8:9]
	v_fma_f64 v[20:21], -v[10:11], v[10:11], v[0:1]
	s_delay_alu instid0(VALU_DEP_1) | instskip(NEXT) | instid1(VALU_DEP_1)
	v_fma_f64 v[10:11], v[20:21], v[8:9], v[10:11]
	v_fma_f64 v[20:21], -v[10:11], v[10:11], v[0:1]
	s_delay_alu instid0(VALU_DEP_1) | instskip(SKIP_3) | instid1(VALU_DEP_3)
	v_fma_f64 v[8:9], v[20:21], v[8:9], v[10:11]
	v_cndmask_b32_e64 v10, 0, 0xffffff80, vcc_lo
	v_cmp_class_f64_e64 vcc_lo, v[0:1], 0x260
	v_and_b32_e32 v11, 0x7fffffff, v3
	v_ldexp_f64 v[8:9], v[8:9], v10
	s_delay_alu instid0(VALU_DEP_1) | instskip(NEXT) | instid1(VALU_DEP_1)
	v_dual_cndmask_b32 v9, v9, v1 :: v_dual_cndmask_b32 v8, v8, v0
	v_add_f64 v[0:1], v[8:9], v[8:9]
	v_bfi_b32 v9, 0x7fffffff, v9, v3
	v_mov_b32_e32 v10, v2
	s_delay_alu instid0(VALU_DEP_1) | instskip(SKIP_1) | instid1(VALU_DEP_2)
	v_div_scale_f64 v[20:21], null, v[0:1], v[0:1], v[10:11]
	v_div_scale_f64 v[10:11], vcc_lo, v[10:11], v[0:1], v[10:11]
	v_rcp_f64_e32 v[26:27], v[20:21]
	s_waitcnt_depctr 0xfff
	v_fma_f64 v[28:29], -v[20:21], v[26:27], 1.0
	s_delay_alu instid0(VALU_DEP_1) | instskip(NEXT) | instid1(VALU_DEP_1)
	v_fma_f64 v[26:27], v[26:27], v[28:29], v[26:27]
	v_fma_f64 v[28:29], -v[20:21], v[26:27], 1.0
	s_delay_alu instid0(VALU_DEP_1) | instskip(NEXT) | instid1(VALU_DEP_1)
	v_fma_f64 v[26:27], v[26:27], v[28:29], v[26:27]
	v_mul_f64 v[28:29], v[10:11], v[26:27]
	s_delay_alu instid0(VALU_DEP_1) | instskip(NEXT) | instid1(VALU_DEP_1)
	v_fma_f64 v[10:11], -v[20:21], v[28:29], v[10:11]
	v_div_fmas_f64 v[10:11], v[10:11], v[26:27], v[28:29]
	s_delay_alu instid0(VALU_DEP_1) | instskip(SKIP_3) | instid1(SALU_CYCLE_1)
	v_div_fixup_f64 v[0:1], v[10:11], v[0:1], |v[2:3]|
	v_dual_mov_b32 v2, v8 :: v_dual_mov_b32 v3, v9
	s_or_b32 exec_lo, exec_lo, s1
	s_and_saveexec_b32 s1, s0
	s_xor_b32 s0, exec_lo, s1
	s_cbranch_execz .LBB302_302
.LBB302_342:                            ;   in Loop: Header=BB302_185 Depth=1
	s_and_saveexec_b32 s1, s15
; %bb.343:                              ;   in Loop: Header=BB302_185 Depth=1
	s_delay_alu instid0(VALU_DEP_2) | instskip(NEXT) | instid1(VALU_DEP_2)
	v_mul_f64 v[0:1], v[0:1], 0.5
	v_mul_f64 v[2:3], v[2:3], 0.5
; %bb.344:                              ;   in Loop: Header=BB302_185 Depth=1
	s_or_b32 exec_lo, exec_lo, s1
	s_and_not1_saveexec_b32 s0, s0
	s_cbranch_execnz .LBB302_303
	s_branch .LBB302_304
.LBB302_345:
	s_nop 0
	s_sendmsg sendmsg(MSG_DEALLOC_VGPRS)
	s_endpgm
	.section	.rodata,"a",@progbits
	.p2align	6, 0x0
	.amdhsa_kernel _ZN2at6native12_GLOBAL__N_125multi_tensor_apply_kernelINS1_18TensorListMetadataILi1EEENS1_14UnaryOpFunctorIN3c107complexIdEELi1ELi1ELi0EEEJNS0_5RsqrtIS8_EEEEEvT_T0_DpT1_
		.amdhsa_group_segment_fixed_size 0
		.amdhsa_private_segment_fixed_size 0
		.amdhsa_kernarg_size 3632
		.amdhsa_user_sgpr_count 15
		.amdhsa_user_sgpr_dispatch_ptr 0
		.amdhsa_user_sgpr_queue_ptr 0
		.amdhsa_user_sgpr_kernarg_segment_ptr 1
		.amdhsa_user_sgpr_dispatch_id 0
		.amdhsa_user_sgpr_private_segment_size 0
		.amdhsa_wavefront_size32 1
		.amdhsa_uses_dynamic_stack 0
		.amdhsa_enable_private_segment 0
		.amdhsa_system_sgpr_workgroup_id_x 1
		.amdhsa_system_sgpr_workgroup_id_y 0
		.amdhsa_system_sgpr_workgroup_id_z 0
		.amdhsa_system_sgpr_workgroup_info 0
		.amdhsa_system_vgpr_workitem_id 0
		.amdhsa_next_free_vgpr 45
		.amdhsa_next_free_sgpr 34
		.amdhsa_reserve_vcc 1
		.amdhsa_float_round_mode_32 0
		.amdhsa_float_round_mode_16_64 0
		.amdhsa_float_denorm_mode_32 3
		.amdhsa_float_denorm_mode_16_64 3
		.amdhsa_dx10_clamp 1
		.amdhsa_ieee_mode 1
		.amdhsa_fp16_overflow 0
		.amdhsa_workgroup_processor_mode 1
		.amdhsa_memory_ordered 1
		.amdhsa_forward_progress 0
		.amdhsa_shared_vgpr_count 0
		.amdhsa_exception_fp_ieee_invalid_op 0
		.amdhsa_exception_fp_denorm_src 0
		.amdhsa_exception_fp_ieee_div_zero 0
		.amdhsa_exception_fp_ieee_overflow 0
		.amdhsa_exception_fp_ieee_underflow 0
		.amdhsa_exception_fp_ieee_inexact 0
		.amdhsa_exception_int_div_zero 0
	.end_amdhsa_kernel
	.section	.text._ZN2at6native12_GLOBAL__N_125multi_tensor_apply_kernelINS1_18TensorListMetadataILi1EEENS1_14UnaryOpFunctorIN3c107complexIdEELi1ELi1ELi0EEEJNS0_5RsqrtIS8_EEEEEvT_T0_DpT1_,"axG",@progbits,_ZN2at6native12_GLOBAL__N_125multi_tensor_apply_kernelINS1_18TensorListMetadataILi1EEENS1_14UnaryOpFunctorIN3c107complexIdEELi1ELi1ELi0EEEJNS0_5RsqrtIS8_EEEEEvT_T0_DpT1_,comdat
.Lfunc_end302:
	.size	_ZN2at6native12_GLOBAL__N_125multi_tensor_apply_kernelINS1_18TensorListMetadataILi1EEENS1_14UnaryOpFunctorIN3c107complexIdEELi1ELi1ELi0EEEJNS0_5RsqrtIS8_EEEEEvT_T0_DpT1_, .Lfunc_end302-_ZN2at6native12_GLOBAL__N_125multi_tensor_apply_kernelINS1_18TensorListMetadataILi1EEENS1_14UnaryOpFunctorIN3c107complexIdEELi1ELi1ELi0EEEJNS0_5RsqrtIS8_EEEEEvT_T0_DpT1_
                                        ; -- End function
	.section	.AMDGPU.csdata,"",@progbits
; Kernel info:
; codeLenInByte = 20604
; NumSgprs: 36
; NumVgprs: 45
; ScratchSize: 0
; MemoryBound: 1
; FloatMode: 240
; IeeeMode: 1
; LDSByteSize: 0 bytes/workgroup (compile time only)
; SGPRBlocks: 4
; VGPRBlocks: 5
; NumSGPRsForWavesPerEU: 36
; NumVGPRsForWavesPerEU: 45
; Occupancy: 16
; WaveLimiterHint : 0
; COMPUTE_PGM_RSRC2:SCRATCH_EN: 0
; COMPUTE_PGM_RSRC2:USER_SGPR: 15
; COMPUTE_PGM_RSRC2:TRAP_HANDLER: 0
; COMPUTE_PGM_RSRC2:TGID_X_EN: 1
; COMPUTE_PGM_RSRC2:TGID_Y_EN: 0
; COMPUTE_PGM_RSRC2:TGID_Z_EN: 0
; COMPUTE_PGM_RSRC2:TIDIG_COMP_CNT: 0
	.section	.text._ZN2at6native12_GLOBAL__N_125multi_tensor_apply_kernelINS1_18TensorListMetadataILi1EEENS1_14UnaryOpFunctorIN3c107complexIfEELi1ELi1ELi0EEEJNS0_5RsqrtIS8_EEEEEvT_T0_DpT1_,"axG",@progbits,_ZN2at6native12_GLOBAL__N_125multi_tensor_apply_kernelINS1_18TensorListMetadataILi1EEENS1_14UnaryOpFunctorIN3c107complexIfEELi1ELi1ELi0EEEJNS0_5RsqrtIS8_EEEEEvT_T0_DpT1_,comdat
	.globl	_ZN2at6native12_GLOBAL__N_125multi_tensor_apply_kernelINS1_18TensorListMetadataILi1EEENS1_14UnaryOpFunctorIN3c107complexIfEELi1ELi1ELi0EEEJNS0_5RsqrtIS8_EEEEEvT_T0_DpT1_ ; -- Begin function _ZN2at6native12_GLOBAL__N_125multi_tensor_apply_kernelINS1_18TensorListMetadataILi1EEENS1_14UnaryOpFunctorIN3c107complexIfEELi1ELi1ELi0EEEJNS0_5RsqrtIS8_EEEEEvT_T0_DpT1_
	.p2align	8
	.type	_ZN2at6native12_GLOBAL__N_125multi_tensor_apply_kernelINS1_18TensorListMetadataILi1EEENS1_14UnaryOpFunctorIN3c107complexIfEELi1ELi1ELi0EEEJNS0_5RsqrtIS8_EEEEEvT_T0_DpT1_,@function
_ZN2at6native12_GLOBAL__N_125multi_tensor_apply_kernelINS1_18TensorListMetadataILi1EEENS1_14UnaryOpFunctorIN3c107complexIfEELi1ELi1ELi0EEEJNS0_5RsqrtIS8_EEEEEvT_T0_DpT1_: ; @_ZN2at6native12_GLOBAL__N_125multi_tensor_apply_kernelINS1_18TensorListMetadataILi1EEENS1_14UnaryOpFunctorIN3c107complexIfEELi1ELi1ELi0EEEJNS0_5RsqrtIS8_EEEEEvT_T0_DpT1_
; %bb.0:
	v_mov_b32_e32 v1, s15
	s_add_u32 s2, s0, s15
	s_mul_hi_u32 s3, s15, 3
	s_mul_i32 s15, s15, 3
	s_addc_u32 s4, s1, 0
	global_load_u8 v1, v1, s[0:1] offset:1760
	s_add_u32 s2, s2, s15
	s_addc_u32 s3, s4, s3
	s_mov_b32 s7, 0
	s_load_b32 s2, s[2:3], 0x820
	s_waitcnt vmcnt(0)
	v_readfirstlane_b32 s5, v1
	s_delay_alu instid0(VALU_DEP_1)
	s_lshl_b32 s3, s5, 3
	s_clause 0x1
	s_load_b64 s[10:11], s[0:1], s3 offset:0x0
	s_load_b64 s[4:5], s[0:1], s3 offset:0x370
	s_waitcnt lgkmcnt(0)
	s_ashr_i32 s3, s2, 31
	s_delay_alu instid0(SALU_CYCLE_1) | instskip(NEXT) | instid1(SALU_CYCLE_1)
	s_lshl_b64 s[12:13], s[2:3], 19
	s_add_u32 s18, s10, s12
	s_addc_u32 s19, s11, s13
	s_lshl_b64 s[2:3], s[2:3], 16
	s_and_b32 s6, s18, 31
	s_sub_u32 s8, s4, s2
	s_subb_u32 s9, s5, s3
	s_and_b32 s2, s4, 3
	s_mov_b32 s3, s7
	s_delay_alu instid0(SALU_CYCLE_1) | instskip(NEXT) | instid1(SALU_CYCLE_1)
	s_or_b64 s[2:3], s[6:7], s[2:3]
	s_cmp_eq_u64 s[2:3], 0
	s_cbranch_scc1 .LBB303_173
; %bb.1:
	v_cmp_lt_i64_e64 s2, s[8:9], 1
	s_delay_alu instid0(VALU_DEP_1)
	s_and_b32 vcc_lo, exec_lo, s2
	s_cbranch_vccnz .LBB303_172
; %bb.2:
	s_load_b32 s2, s[0:1], 0xd3c
	v_cmp_gt_u64_e64 s3, 0x10000, s[8:9]
	v_dual_mov_b32 v2, 0 :: v_dual_lshlrev_b32 v1, 3, v0
	s_mov_b64 s[16:17], 0
	s_waitcnt lgkmcnt(0)
	s_and_b32 s2, s2, 0xffff
	s_delay_alu instid0(VALU_DEP_2)
	s_and_b32 s3, s3, exec_lo
	v_add_co_u32 v16, s5, v0, s2
	v_mad_u64_u32 v[3:4], null, s2, 24, v[1:2]
	s_cselect_b32 s15, s9, 0
	s_cselect_b32 s14, s8, 0x10000
	v_add_co_ci_u32_e64 v17, null, 0, 0, s5
	s_lshl_b32 s5, s2, 4
	s_lshl_b32 s3, s2, 1
	v_add_co_u32 v5, s5, s5, v1
	s_mul_i32 s4, s2, 3
	v_add_co_u32 v22, s3, s3, v0
	v_add_co_u32 v2, s4, s4, v0
	s_delay_alu instid0(VALU_DEP_1)
	v_add_co_ci_u32_e64 v18, null, 0, 0, s4
	v_add_co_ci_u32_e64 v19, null, 0, 0, s5
	v_lshlrev_b32_e32 v20, 3, v16
	v_or_b32_e32 v21, 4, v5
	v_or_b32_e32 v3, 4, v3
	v_add_co_ci_u32_e64 v23, null, 0, 0, s3
	s_lshl_b32 s20, s2, 2
	s_lshl_b32 s21, s2, 5
	s_branch .LBB303_4
.LBB303_3:                              ;   in Loop: Header=BB303_4 Depth=1
	s_or_b32 exec_lo, exec_lo, s2
	s_add_u32 s16, s16, s20
	s_addc_u32 s17, s17, 0
	s_delay_alu instid0(SALU_CYCLE_1) | instskip(SKIP_1) | instid1(VALU_DEP_1)
	v_cmp_ge_i64_e64 s2, s[16:17], s[8:9]
	v_cmp_lt_u64_e64 s3, 0xffff, s[16:17]
	s_or_b32 s2, s2, s3
	s_add_u32 s18, s18, s21
	s_addc_u32 s19, s19, 0
	s_and_b32 vcc_lo, exec_lo, s2
	s_cbranch_vccnz .LBB303_172
.LBB303_4:                              ; =>This Inner Loop Header: Depth=1
	v_add_co_u32 v5, s2, v0, s16
	s_delay_alu instid0(VALU_DEP_1) | instskip(SKIP_1) | instid1(VALU_DEP_2)
	v_add_co_ci_u32_e64 v6, null, 0, s17, s2
	v_dual_mov_b32 v15, 0 :: v_dual_mov_b32 v14, 0
	v_cmp_gt_u64_e64 s2, s[14:15], v[5:6]
	s_delay_alu instid0(VALU_DEP_1)
	s_and_saveexec_b32 s3, s2
	s_cbranch_execz .LBB303_6
; %bb.5:                                ;   in Loop: Header=BB303_4 Depth=1
	v_add_co_u32 v5, s4, s18, v1
	s_delay_alu instid0(VALU_DEP_1)
	v_add_co_ci_u32_e64 v6, null, s19, 0, s4
	global_load_b64 v[14:15], v[5:6], off
.LBB303_6:                              ;   in Loop: Header=BB303_4 Depth=1
	s_or_b32 exec_lo, exec_lo, s3
	v_add_co_u32 v5, vcc_lo, v16, s16
	v_add_co_ci_u32_e32 v6, vcc_lo, s17, v17, vcc_lo
	v_dual_mov_b32 v10, 0 :: v_dual_mov_b32 v13, 0
	v_mov_b32_e32 v12, 0
	s_delay_alu instid0(VALU_DEP_3) | instskip(NEXT) | instid1(VALU_DEP_1)
	v_cmp_gt_u64_e64 s3, s[14:15], v[5:6]
	s_and_saveexec_b32 s4, s3
	s_cbranch_execz .LBB303_8
; %bb.7:                                ;   in Loop: Header=BB303_4 Depth=1
	v_add_co_u32 v5, s5, s18, v20
	s_delay_alu instid0(VALU_DEP_1)
	v_add_co_ci_u32_e64 v6, null, s19, 0, s5
	global_load_b64 v[12:13], v[5:6], off
.LBB303_8:                              ;   in Loop: Header=BB303_4 Depth=1
	s_or_b32 exec_lo, exec_lo, s4
	v_add_co_u32 v5, vcc_lo, v22, s16
	v_add_co_ci_u32_e32 v6, vcc_lo, s17, v23, vcc_lo
	v_mov_b32_e32 v9, 0
	s_delay_alu instid0(VALU_DEP_2) | instskip(NEXT) | instid1(VALU_DEP_1)
	v_cmp_gt_u64_e64 s4, s[14:15], v[5:6]
	s_and_saveexec_b32 s5, s4
	s_cbranch_execz .LBB303_10
; %bb.9:                                ;   in Loop: Header=BB303_4 Depth=1
	v_add_co_u32 v5, vcc_lo, s18, v21
	v_add_co_ci_u32_e32 v6, vcc_lo, s19, v19, vcc_lo
	global_load_b64 v[9:10], v[5:6], off offset:-4
.LBB303_10:                             ;   in Loop: Header=BB303_4 Depth=1
	s_or_b32 exec_lo, exec_lo, s5
	v_add_co_u32 v5, vcc_lo, v2, s16
	v_add_co_ci_u32_e32 v6, vcc_lo, s17, v18, vcc_lo
	v_mov_b32_e32 v11, 0
	s_delay_alu instid0(VALU_DEP_2) | instskip(SKIP_1) | instid1(VALU_DEP_2)
	v_cmp_gt_u64_e64 s5, s[14:15], v[5:6]
	v_dual_mov_b32 v6, 0 :: v_dual_mov_b32 v5, 0
	s_and_saveexec_b32 s6, s5
	s_cbranch_execz .LBB303_12
; %bb.11:                               ;   in Loop: Header=BB303_4 Depth=1
	v_add_co_u32 v5, vcc_lo, s18, v3
	v_add_co_ci_u32_e32 v6, vcc_lo, s19, v4, vcc_lo
	global_load_b64 v[5:6], v[5:6], off offset:-4
.LBB303_12:                             ;   in Loop: Header=BB303_4 Depth=1
	s_or_b32 exec_lo, exec_lo, s6
	s_waitcnt vmcnt(0)
	v_cmp_neq_f32_e32 vcc_lo, 0, v14
	v_cmp_neq_f32_e64 s6, 0, v15
	s_delay_alu instid0(VALU_DEP_1) | instskip(NEXT) | instid1(SALU_CYCLE_1)
	s_or_b32 s6, vcc_lo, s6
	s_and_saveexec_b32 s22, s6
	s_cbranch_execz .LBB303_41
; %bb.13:                               ;   in Loop: Header=BB303_4 Depth=1
	v_mov_b32_e32 v11, 0x7f800000
	s_mov_b32 s23, exec_lo
	v_cmpx_neq_f32_e64 0x7f800000, |v15|
	s_cbranch_execz .LBB303_40
; %bb.14:                               ;   in Loop: Header=BB303_4 Depth=1
	s_mov_b32 s6, exec_lo
	v_cmpx_o_f32_e32 v14, v14
	s_xor_b32 s24, exec_lo, s6
	s_cbranch_execz .LBB303_37
; %bb.15:                               ;   in Loop: Header=BB303_4 Depth=1
	s_mov_b32 s7, exec_lo
	v_cmpx_neq_f32_e64 0x7f800000, |v14|
	s_xor_b32 s25, exec_lo, s7
	s_cbranch_execz .LBB303_31
; %bb.16:                               ;   in Loop: Header=BB303_4 Depth=1
	v_max_f32_e64 v7, |v14|, |v14|
	v_max_f32_e64 v8, |v15|, |v15|
                                        ; implicit-def: $sgpr26
	s_delay_alu instid0(VALU_DEP_1) | instskip(NEXT) | instid1(VALU_DEP_1)
	v_max_f32_e32 v7, v8, v7
	v_cmp_nle_f32_e64 s6, 0x7ed413cb, v7
	s_delay_alu instid0(VALU_DEP_1) | instskip(NEXT) | instid1(SALU_CYCLE_1)
	s_and_saveexec_b32 s7, s6
	s_xor_b32 s7, exec_lo, s7
	s_cbranch_execz .LBB303_20
; %bb.17:                               ;   in Loop: Header=BB303_4 Depth=1
	v_cmp_ge_f32_e64 s26, 0x1000000, |v14|
	v_cmp_ge_f32_e64 s27, 0x1000000, |v15|
	s_delay_alu instid0(VALU_DEP_1)
	s_and_b32 s28, s27, s26
	s_mov_b32 s26, 0
	s_and_saveexec_b32 s27, s28
; %bb.18:                               ;   in Loop: Header=BB303_4 Depth=1
	v_dual_mul_f32 v14, 4.0, v14 :: v_dual_mul_f32 v15, 4.0, v15
	s_mov_b32 s26, exec_lo
; %bb.19:                               ;   in Loop: Header=BB303_4 Depth=1
	s_or_b32 exec_lo, exec_lo, s27
	s_delay_alu instid0(SALU_CYCLE_1)
	s_and_b32 s26, s26, exec_lo
.LBB303_20:                             ;   in Loop: Header=BB303_4 Depth=1
	s_and_not1_saveexec_b32 s7, s7
; %bb.21:                               ;   in Loop: Header=BB303_4 Depth=1
	v_dual_mul_f32 v14, 0x3e800000, v14 :: v_dual_mul_f32 v15, 0x3e800000, v15
	s_and_not1_b32 s26, s26, exec_lo
; %bb.22:                               ;   in Loop: Header=BB303_4 Depth=1
	s_or_b32 exec_lo, exec_lo, s7
	s_delay_alu instid0(VALU_DEP_1) | instskip(NEXT) | instid1(VALU_DEP_2)
	v_max_f32_e64 v7, |v15|, |v15|
	v_max_f32_e64 v8, |v14|, |v14|
	s_delay_alu instid0(VALU_DEP_1) | instskip(NEXT) | instid1(VALU_DEP_1)
	v_max_f32_e32 v11, v8, v7
	v_cvt_f64_f32_e32 v[7:8], v11
	v_cmp_neq_f32_e64 s7, 0x7f800000, v11
	s_delay_alu instid0(VALU_DEP_2) | instskip(NEXT) | instid1(VALU_DEP_1)
	v_frexp_exp_i32_f64_e32 v7, v[7:8]
	v_sub_nc_u32_e32 v8, 0, v7
	s_delay_alu instid0(VALU_DEP_1) | instskip(SKIP_1) | instid1(VALU_DEP_2)
	v_ldexp_f32 v24, |v15|, v8
	v_ldexp_f32 v8, |v14|, v8
	v_mul_f32_e32 v24, v24, v24
	s_delay_alu instid0(VALU_DEP_1) | instskip(NEXT) | instid1(VALU_DEP_1)
	v_fmac_f32_e32 v24, v8, v8
	v_sqrt_f32_e32 v8, v24
	s_waitcnt_depctr 0xfff
	v_ldexp_f32 v7, v8, v7
                                        ; implicit-def: $vgpr8
	s_delay_alu instid0(VALU_DEP_1)
	v_cndmask_b32_e64 v11, 0x7f800000, v7, s7
                                        ; implicit-def: $vgpr7
	s_mov_b32 s7, exec_lo
	v_cmpx_le_f32_e32 0, v14
	s_xor_b32 s27, exec_lo, s7
	s_cbranch_execz .LBB303_24
; %bb.23:                               ;   in Loop: Header=BB303_4 Depth=1
	v_add_f32_e32 v7, v14, v11
	s_delay_alu instid0(VALU_DEP_1) | instskip(NEXT) | instid1(VALU_DEP_1)
	v_mul_f32_e32 v7, 0.5, v7
	v_mul_f32_e32 v8, 0x4f800000, v7
	v_cmp_gt_f32_e32 vcc_lo, 0xf800000, v7
	s_delay_alu instid0(VALU_DEP_2) | instskip(NEXT) | instid1(VALU_DEP_1)
	v_cndmask_b32_e32 v7, v7, v8, vcc_lo
	v_sqrt_f32_e32 v8, v7
	s_waitcnt_depctr 0xfff
	v_add_nc_u32_e32 v11, -1, v8
	v_add_nc_u32_e32 v14, 1, v8
	s_delay_alu instid0(VALU_DEP_2) | instskip(NEXT) | instid1(VALU_DEP_2)
	v_fma_f32 v24, -v11, v8, v7
	v_fma_f32 v25, -v14, v8, v7
	s_delay_alu instid0(VALU_DEP_2) | instskip(NEXT) | instid1(VALU_DEP_1)
	v_cmp_ge_f32_e64 s7, 0, v24
	v_cndmask_b32_e64 v8, v8, v11, s7
	s_delay_alu instid0(VALU_DEP_3) | instskip(NEXT) | instid1(VALU_DEP_1)
	v_cmp_lt_f32_e64 s7, 0, v25
	v_cndmask_b32_e64 v8, v8, v14, s7
	s_delay_alu instid0(VALU_DEP_1) | instskip(NEXT) | instid1(VALU_DEP_1)
	v_mul_f32_e32 v11, 0x37800000, v8
	v_cndmask_b32_e32 v8, v8, v11, vcc_lo
	v_cmp_class_f32_e64 vcc_lo, v7, 0x260
	s_delay_alu instid0(VALU_DEP_2) | instskip(NEXT) | instid1(VALU_DEP_1)
	v_cndmask_b32_e32 v7, v8, v7, vcc_lo
	v_add_f32_e32 v8, v7, v7
	s_delay_alu instid0(VALU_DEP_1) | instskip(NEXT) | instid1(VALU_DEP_1)
	v_div_scale_f32 v11, null, v8, v8, v15
	v_rcp_f32_e32 v14, v11
	s_waitcnt_depctr 0xfff
	v_fma_f32 v24, -v11, v14, 1.0
	s_delay_alu instid0(VALU_DEP_1) | instskip(SKIP_1) | instid1(VALU_DEP_1)
	v_fmac_f32_e32 v14, v24, v14
	v_div_scale_f32 v24, vcc_lo, v15, v8, v15
	v_mul_f32_e32 v25, v24, v14
	s_delay_alu instid0(VALU_DEP_1) | instskip(NEXT) | instid1(VALU_DEP_1)
	v_fma_f32 v26, -v11, v25, v24
	v_fmac_f32_e32 v25, v26, v14
	s_delay_alu instid0(VALU_DEP_1) | instskip(NEXT) | instid1(VALU_DEP_1)
	v_fma_f32 v11, -v11, v25, v24
	v_div_fmas_f32 v11, v11, v14, v25
                                        ; implicit-def: $vgpr14
	s_delay_alu instid0(VALU_DEP_1)
	v_div_fixup_f32 v8, v11, v8, v15
                                        ; implicit-def: $vgpr11
	s_and_not1_saveexec_b32 s27, s27
	s_cbranch_execz .LBB303_26
	s_branch .LBB303_25
.LBB303_24:                             ;   in Loop: Header=BB303_4 Depth=1
	s_and_not1_saveexec_b32 s27, s27
	s_cbranch_execz .LBB303_26
.LBB303_25:                             ;   in Loop: Header=BB303_4 Depth=1
	v_sub_f32_e32 v7, v11, v14
	s_delay_alu instid0(VALU_DEP_1) | instskip(NEXT) | instid1(VALU_DEP_1)
	v_mul_f32_e32 v7, 0.5, v7
	v_mul_f32_e32 v8, 0x4f800000, v7
	v_cmp_gt_f32_e32 vcc_lo, 0xf800000, v7
	s_delay_alu instid0(VALU_DEP_2) | instskip(NEXT) | instid1(VALU_DEP_1)
	v_cndmask_b32_e32 v7, v7, v8, vcc_lo
	v_sqrt_f32_e32 v8, v7
	s_waitcnt_depctr 0xfff
	v_add_nc_u32_e32 v11, -1, v8
	v_add_nc_u32_e32 v14, 1, v8
	s_delay_alu instid0(VALU_DEP_2) | instskip(NEXT) | instid1(VALU_DEP_2)
	v_fma_f32 v24, -v11, v8, v7
	v_fma_f32 v25, -v14, v8, v7
	s_delay_alu instid0(VALU_DEP_2) | instskip(NEXT) | instid1(VALU_DEP_1)
	v_cmp_ge_f32_e64 s7, 0, v24
	v_cndmask_b32_e64 v8, v8, v11, s7
	s_delay_alu instid0(VALU_DEP_3) | instskip(NEXT) | instid1(VALU_DEP_1)
	v_cmp_lt_f32_e64 s7, 0, v25
	v_cndmask_b32_e64 v8, v8, v14, s7
	s_delay_alu instid0(VALU_DEP_1) | instskip(NEXT) | instid1(VALU_DEP_1)
	v_mul_f32_e32 v11, 0x37800000, v8
	v_cndmask_b32_e32 v8, v8, v11, vcc_lo
	v_cmp_class_f32_e64 vcc_lo, v7, 0x260
	s_delay_alu instid0(VALU_DEP_2) | instskip(SKIP_1) | instid1(VALU_DEP_2)
	v_cndmask_b32_e32 v8, v8, v7, vcc_lo
	v_and_b32_e32 v7, 0x7fffffff, v15
	v_add_f32_e32 v11, v8, v8
	v_bfi_b32 v8, 0x7fffffff, v8, v15
	s_delay_alu instid0(VALU_DEP_2) | instskip(SKIP_1) | instid1(VALU_DEP_2)
	v_div_scale_f32 v14, null, v11, v11, v7
	v_div_scale_f32 v7, vcc_lo, v7, v11, v7
	v_rcp_f32_e32 v24, v14
	s_waitcnt_depctr 0xfff
	v_fma_f32 v25, -v14, v24, 1.0
	s_delay_alu instid0(VALU_DEP_1) | instskip(NEXT) | instid1(VALU_DEP_1)
	v_fmac_f32_e32 v24, v25, v24
	v_mul_f32_e32 v25, v7, v24
	s_delay_alu instid0(VALU_DEP_1) | instskip(NEXT) | instid1(VALU_DEP_1)
	v_fma_f32 v26, -v14, v25, v7
	v_fmac_f32_e32 v25, v26, v24
	s_delay_alu instid0(VALU_DEP_1) | instskip(NEXT) | instid1(VALU_DEP_1)
	v_fma_f32 v7, -v14, v25, v7
	v_div_fmas_f32 v7, v7, v24, v25
	s_delay_alu instid0(VALU_DEP_1)
	v_div_fixup_f32 v7, v7, v11, |v15|
.LBB303_26:                             ;   in Loop: Header=BB303_4 Depth=1
	s_or_b32 exec_lo, exec_lo, s27
                                        ; implicit-def: $vgpr15
	s_and_saveexec_b32 s7, s6
	s_delay_alu instid0(SALU_CYCLE_1)
	s_xor_b32 s6, exec_lo, s7
	s_cbranch_execz .LBB303_28
; %bb.27:                               ;   in Loop: Header=BB303_4 Depth=1
	v_mul_f32_e32 v11, 0.5, v7
	v_mul_f32_e32 v15, 0.5, v8
	s_delay_alu instid0(VALU_DEP_2) | instskip(NEXT) | instid1(VALU_DEP_2)
	v_cndmask_b32_e64 v14, v7, v11, s26
	v_cndmask_b32_e64 v15, v8, v15, s26
                                        ; implicit-def: $vgpr7
                                        ; implicit-def: $vgpr8
	s_and_not1_saveexec_b32 s6, s6
	s_cbranch_execnz .LBB303_29
	s_branch .LBB303_30
.LBB303_28:                             ;   in Loop: Header=BB303_4 Depth=1
	s_and_not1_saveexec_b32 s6, s6
.LBB303_29:                             ;   in Loop: Header=BB303_4 Depth=1
	v_dual_add_f32 v14, v7, v7 :: v_dual_add_f32 v15, v8, v8
.LBB303_30:                             ;   in Loop: Header=BB303_4 Depth=1
	s_or_b32 exec_lo, exec_lo, s6
.LBB303_31:                             ;   in Loop: Header=BB303_4 Depth=1
	s_and_not1_saveexec_b32 s6, s25
	s_cbranch_execz .LBB303_61
; %bb.32:                               ;   in Loop: Header=BB303_4 Depth=1
	s_delay_alu instid0(VALU_DEP_1)
	v_sub_f32_e32 v7, v15, v15
	s_mov_b32 s7, exec_lo
	v_cmpx_lt_i32_e32 -1, v14
	s_xor_b32 s7, exec_lo, s7
; %bb.33:                               ;   in Loop: Header=BB303_4 Depth=1
	s_delay_alu instid0(VALU_DEP_2)
	v_bfi_b32 v15, 0x7fffffff, v7, v15
                                        ; implicit-def: $vgpr7
; %bb.34:                               ;   in Loop: Header=BB303_4 Depth=1
	s_and_not1_saveexec_b32 s7, s7
; %bb.35:                               ;   in Loop: Header=BB303_4 Depth=1
	v_and_b32_e32 v7, 0x7fffffff, v7
	s_delay_alu instid0(VALU_DEP_2) | instskip(NEXT) | instid1(VALU_DEP_2)
	v_bfi_b32 v15, 0x7fffffff, v14, v15
	v_mov_b32_e32 v14, v7
; %bb.36:                               ;   in Loop: Header=BB303_4 Depth=1
	s_or_b32 exec_lo, exec_lo, s7
	s_delay_alu instid0(SALU_CYCLE_1)
	s_or_b32 exec_lo, exec_lo, s6
.LBB303_37:                             ;   in Loop: Header=BB303_4 Depth=1
	s_and_not1_saveexec_b32 s6, s24
.LBB303_38:                             ;   in Loop: Header=BB303_4 Depth=1
	v_sub_f32_e32 v7, v15, v15
	s_delay_alu instid0(VALU_DEP_1) | instskip(NEXT) | instid1(VALU_DEP_1)
	v_div_scale_f32 v8, vcc_lo, v7, v7, v7
	v_rcp_f32_e32 v11, v8
	s_waitcnt_depctr 0xfff
	v_fma_f32 v15, -v8, v11, 1.0
	s_delay_alu instid0(VALU_DEP_1) | instskip(NEXT) | instid1(VALU_DEP_1)
	v_fmac_f32_e32 v11, v15, v11
	v_mul_f32_e32 v15, v8, v11
	s_delay_alu instid0(VALU_DEP_1) | instskip(NEXT) | instid1(VALU_DEP_1)
	v_fma_f32 v24, -v8, v15, v8
	v_fmac_f32_e32 v15, v24, v11
	s_delay_alu instid0(VALU_DEP_1) | instskip(NEXT) | instid1(VALU_DEP_1)
	v_fma_f32 v8, -v8, v15, v8
	v_div_fmas_f32 v8, v8, v11, v15
	s_delay_alu instid0(VALU_DEP_1)
	v_div_fixup_f32 v15, v8, v7, v7
.LBB303_39:                             ;   in Loop: Header=BB303_4 Depth=1
	s_or_b32 exec_lo, exec_lo, s6
	v_mov_b32_e32 v11, v14
.LBB303_40:                             ;   in Loop: Header=BB303_4 Depth=1
	s_or_b32 exec_lo, exec_lo, s23
.LBB303_41:                             ;   in Loop: Header=BB303_4 Depth=1
	s_delay_alu instid0(SALU_CYCLE_1) | instskip(NEXT) | instid1(VALU_DEP_1)
	s_or_b32 exec_lo, exec_lo, s22
	v_cmp_gt_f32_e32 vcc_lo, 0, v11
                                        ; implicit-def: $vgpr8
	s_mov_b32 s6, exec_lo
	v_cndmask_b32_e64 v14, v11, -v11, vcc_lo
	v_cmp_gt_f32_e32 vcc_lo, 0, v15
	v_cndmask_b32_e64 v24, v15, -v15, vcc_lo
	s_delay_alu instid0(VALU_DEP_1)
	v_cmpx_ge_f32_e32 v14, v24
	s_xor_b32 s7, exec_lo, s6
	s_cbranch_execz .LBB303_47
; %bb.42:                               ;   in Loop: Header=BB303_4 Depth=1
	v_cmp_neq_f32_e32 vcc_lo, 0, v11
	v_cmp_neq_f32_e64 s6, 0, v15
                                        ; implicit-def: $vgpr8
	s_delay_alu instid0(VALU_DEP_1) | instskip(NEXT) | instid1(SALU_CYCLE_1)
	s_or_b32 s6, vcc_lo, s6
	s_and_saveexec_b32 s22, s6
	s_delay_alu instid0(SALU_CYCLE_1)
	s_xor_b32 s6, exec_lo, s22
	s_cbranch_execz .LBB303_44
; %bb.43:                               ;   in Loop: Header=BB303_4 Depth=1
	v_div_scale_f32 v7, null, v11, v11, v15
	v_div_scale_f32 v24, vcc_lo, v15, v11, v15
	s_delay_alu instid0(VALU_DEP_2) | instskip(SKIP_2) | instid1(VALU_DEP_1)
	v_rcp_f32_e32 v8, v7
	s_waitcnt_depctr 0xfff
	v_fma_f32 v14, -v7, v8, 1.0
	v_fmac_f32_e32 v8, v14, v8
	s_delay_alu instid0(VALU_DEP_1) | instskip(NEXT) | instid1(VALU_DEP_1)
	v_mul_f32_e32 v14, v24, v8
	v_fma_f32 v25, -v7, v14, v24
	s_delay_alu instid0(VALU_DEP_1) | instskip(NEXT) | instid1(VALU_DEP_1)
	v_fmac_f32_e32 v14, v25, v8
	v_fma_f32 v7, -v7, v14, v24
	s_delay_alu instid0(VALU_DEP_1) | instskip(NEXT) | instid1(VALU_DEP_1)
	v_div_fmas_f32 v7, v7, v8, v14
	v_div_fixup_f32 v8, v7, v11, v15
	s_delay_alu instid0(VALU_DEP_1) | instskip(NEXT) | instid1(VALU_DEP_1)
	v_fmac_f32_e32 v11, v15, v8
	v_div_scale_f32 v7, null, v11, v11, 1.0
	v_div_scale_f32 v24, vcc_lo, 1.0, v11, 1.0
	s_delay_alu instid0(VALU_DEP_2) | instskip(SKIP_2) | instid1(VALU_DEP_1)
	v_rcp_f32_e32 v14, v7
	s_waitcnt_depctr 0xfff
	v_fma_f32 v15, -v7, v14, 1.0
	v_fmac_f32_e32 v14, v15, v14
	s_delay_alu instid0(VALU_DEP_1) | instskip(NEXT) | instid1(VALU_DEP_1)
	v_mul_f32_e32 v15, v24, v14
	v_fma_f32 v25, -v7, v15, v24
	s_delay_alu instid0(VALU_DEP_1) | instskip(NEXT) | instid1(VALU_DEP_1)
	v_fmac_f32_e32 v15, v25, v14
	v_fma_f32 v7, -v7, v15, v24
                                        ; implicit-def: $vgpr24
	s_delay_alu instid0(VALU_DEP_1) | instskip(SKIP_1) | instid1(VALU_DEP_2)
	v_div_fmas_f32 v7, v7, v14, v15
	v_fma_f32 v14, v8, 0, 1.0
	v_div_fixup_f32 v11, v7, v11, 1.0
	s_delay_alu instid0(VALU_DEP_1)
	v_mul_f32_e32 v7, v14, v11
	v_mul_f32_e64 v8, -v8, v11
                                        ; implicit-def: $vgpr14
.LBB303_44:                             ;   in Loop: Header=BB303_4 Depth=1
	s_and_not1_saveexec_b32 s22, s6
	s_cbranch_execz .LBB303_46
; %bb.45:                               ;   in Loop: Header=BB303_4 Depth=1
	v_div_scale_f32 v7, null, v14, v14, 1.0
	v_div_scale_f32 v8, null, v24, v24, 0
	v_div_scale_f32 v27, vcc_lo, 1.0, v14, 1.0
	s_delay_alu instid0(VALU_DEP_3) | instskip(NEXT) | instid1(VALU_DEP_2)
	v_rcp_f32_e32 v11, v7
	v_rcp_f32_e32 v15, v8
	s_waitcnt_depctr 0xfff
	v_fma_f32 v25, -v7, v11, 1.0
	v_fma_f32 v26, -v8, v15, 1.0
	s_delay_alu instid0(VALU_DEP_2) | instskip(SKIP_1) | instid1(VALU_DEP_3)
	v_fmac_f32_e32 v11, v25, v11
	v_div_scale_f32 v25, s6, 0, v24, 0
	v_fmac_f32_e32 v15, v26, v15
	s_delay_alu instid0(VALU_DEP_3) | instskip(NEXT) | instid1(VALU_DEP_2)
	v_mul_f32_e32 v26, v27, v11
	v_mul_f32_e32 v28, v25, v15
	s_delay_alu instid0(VALU_DEP_2) | instskip(NEXT) | instid1(VALU_DEP_2)
	v_fma_f32 v29, -v7, v26, v27
	v_fma_f32 v30, -v8, v28, v25
	s_delay_alu instid0(VALU_DEP_2) | instskip(NEXT) | instid1(VALU_DEP_2)
	v_fmac_f32_e32 v26, v29, v11
	v_fmac_f32_e32 v28, v30, v15
	s_delay_alu instid0(VALU_DEP_2) | instskip(NEXT) | instid1(VALU_DEP_2)
	v_fma_f32 v7, -v7, v26, v27
	v_fma_f32 v8, -v8, v28, v25
	s_delay_alu instid0(VALU_DEP_2) | instskip(SKIP_1) | instid1(VALU_DEP_2)
	v_div_fmas_f32 v7, v7, v11, v26
	s_mov_b32 vcc_lo, s6
	v_div_fmas_f32 v8, v8, v15, v28
	s_delay_alu instid0(VALU_DEP_2) | instskip(NEXT) | instid1(VALU_DEP_2)
	v_div_fixup_f32 v7, v7, v14, 1.0
	v_div_fixup_f32 v8, v8, v24, 0
.LBB303_46:                             ;   in Loop: Header=BB303_4 Depth=1
	s_or_b32 exec_lo, exec_lo, s22
                                        ; implicit-def: $vgpr15
                                        ; implicit-def: $vgpr11
.LBB303_47:                             ;   in Loop: Header=BB303_4 Depth=1
	s_and_not1_saveexec_b32 s6, s7
	s_cbranch_execz .LBB303_49
; %bb.48:                               ;   in Loop: Header=BB303_4 Depth=1
	v_div_scale_f32 v7, null, v15, v15, v11
	v_div_scale_f32 v24, vcc_lo, v11, v15, v11
	s_delay_alu instid0(VALU_DEP_2) | instskip(SKIP_2) | instid1(VALU_DEP_1)
	v_rcp_f32_e32 v8, v7
	s_waitcnt_depctr 0xfff
	v_fma_f32 v14, -v7, v8, 1.0
	v_fmac_f32_e32 v8, v14, v8
	s_delay_alu instid0(VALU_DEP_1) | instskip(NEXT) | instid1(VALU_DEP_1)
	v_mul_f32_e32 v14, v24, v8
	v_fma_f32 v25, -v7, v14, v24
	s_delay_alu instid0(VALU_DEP_1) | instskip(NEXT) | instid1(VALU_DEP_1)
	v_fmac_f32_e32 v14, v25, v8
	v_fma_f32 v7, -v7, v14, v24
	s_delay_alu instid0(VALU_DEP_1) | instskip(NEXT) | instid1(VALU_DEP_1)
	v_div_fmas_f32 v7, v7, v8, v14
	v_div_fixup_f32 v7, v7, v15, v11
	s_delay_alu instid0(VALU_DEP_1) | instskip(NEXT) | instid1(VALU_DEP_1)
	v_fmac_f32_e32 v15, v11, v7
	v_div_scale_f32 v8, null, v15, v15, 1.0
	v_div_scale_f32 v24, vcc_lo, 1.0, v15, 1.0
	s_delay_alu instid0(VALU_DEP_2) | instskip(SKIP_2) | instid1(VALU_DEP_1)
	v_rcp_f32_e32 v11, v8
	s_waitcnt_depctr 0xfff
	v_fma_f32 v14, -v8, v11, 1.0
	v_fmac_f32_e32 v11, v14, v11
	s_delay_alu instid0(VALU_DEP_1) | instskip(NEXT) | instid1(VALU_DEP_1)
	v_mul_f32_e32 v14, v24, v11
	v_fma_f32 v25, -v8, v14, v24
	s_delay_alu instid0(VALU_DEP_1) | instskip(NEXT) | instid1(VALU_DEP_1)
	v_fmac_f32_e32 v14, v25, v11
	v_fma_f32 v8, -v8, v14, v24
	s_delay_alu instid0(VALU_DEP_1) | instskip(SKIP_2) | instid1(VALU_DEP_3)
	v_div_fmas_f32 v8, v8, v11, v14
	v_add_f32_e32 v11, 0, v7
	v_fma_f32 v14, v7, 0, -1.0
	v_div_fixup_f32 v8, v8, v15, 1.0
	s_delay_alu instid0(VALU_DEP_1) | instskip(NEXT) | instid1(VALU_DEP_3)
	v_mul_f32_e32 v7, v11, v8
	v_mul_f32_e32 v8, v14, v8
.LBB303_49:                             ;   in Loop: Header=BB303_4 Depth=1
	s_or_b32 exec_lo, exec_lo, s6
	v_cmp_neq_f32_e32 vcc_lo, 0, v12
	v_cmp_neq_f32_e64 s6, 0, v13
	v_mov_b32_e32 v14, 0
	s_delay_alu instid0(VALU_DEP_2) | instskip(NEXT) | instid1(SALU_CYCLE_1)
	s_or_b32 s6, vcc_lo, s6
	s_and_saveexec_b32 s22, s6
	s_cbranch_execz .LBB303_80
; %bb.50:                               ;   in Loop: Header=BB303_4 Depth=1
	v_mov_b32_e32 v14, 0x7f800000
	s_mov_b32 s23, exec_lo
	v_cmpx_neq_f32_e64 0x7f800000, |v13|
	s_cbranch_execz .LBB303_79
; %bb.51:                               ;   in Loop: Header=BB303_4 Depth=1
	s_mov_b32 s6, exec_lo
	v_cmpx_o_f32_e32 v12, v12
	s_xor_b32 s24, exec_lo, s6
	s_cbranch_execz .LBB303_76
; %bb.52:                               ;   in Loop: Header=BB303_4 Depth=1
	s_mov_b32 s7, exec_lo
	v_cmpx_neq_f32_e64 0x7f800000, |v12|
	s_xor_b32 s25, exec_lo, s7
	s_cbranch_execz .LBB303_69
; %bb.53:                               ;   in Loop: Header=BB303_4 Depth=1
	v_max_f32_e64 v11, |v12|, |v12|
	v_max_f32_e64 v14, |v13|, |v13|
                                        ; implicit-def: $sgpr26
	s_delay_alu instid0(VALU_DEP_1) | instskip(NEXT) | instid1(VALU_DEP_1)
	v_max_f32_e32 v11, v14, v11
	v_cmp_nle_f32_e64 s6, 0x7ed413cb, v11
	s_delay_alu instid0(VALU_DEP_1) | instskip(NEXT) | instid1(SALU_CYCLE_1)
	s_and_saveexec_b32 s7, s6
	s_xor_b32 s7, exec_lo, s7
	s_cbranch_execz .LBB303_57
; %bb.54:                               ;   in Loop: Header=BB303_4 Depth=1
	v_cmp_ge_f32_e64 s26, 0x1000000, |v12|
	v_cmp_ge_f32_e64 s27, 0x1000000, |v13|
	s_delay_alu instid0(VALU_DEP_1)
	s_and_b32 s28, s27, s26
	s_mov_b32 s26, 0
	s_and_saveexec_b32 s27, s28
; %bb.55:                               ;   in Loop: Header=BB303_4 Depth=1
	v_dual_mul_f32 v12, 4.0, v12 :: v_dual_mul_f32 v13, 4.0, v13
	s_mov_b32 s26, exec_lo
; %bb.56:                               ;   in Loop: Header=BB303_4 Depth=1
	s_or_b32 exec_lo, exec_lo, s27
	s_delay_alu instid0(SALU_CYCLE_1)
	s_and_b32 s26, s26, exec_lo
.LBB303_57:                             ;   in Loop: Header=BB303_4 Depth=1
	s_and_not1_saveexec_b32 s7, s7
; %bb.58:                               ;   in Loop: Header=BB303_4 Depth=1
	v_dual_mul_f32 v12, 0x3e800000, v12 :: v_dual_mul_f32 v13, 0x3e800000, v13
	s_and_not1_b32 s26, s26, exec_lo
; %bb.59:                               ;   in Loop: Header=BB303_4 Depth=1
	s_or_b32 exec_lo, exec_lo, s7
	s_delay_alu instid0(VALU_DEP_1) | instskip(NEXT) | instid1(VALU_DEP_2)
	v_max_f32_e64 v11, |v13|, |v13|
	v_max_f32_e64 v14, |v12|, |v12|
	s_delay_alu instid0(VALU_DEP_1) | instskip(NEXT) | instid1(VALU_DEP_1)
	v_max_f32_e32 v11, v14, v11
	v_cvt_f64_f32_e32 v[14:15], v11
	s_delay_alu instid0(VALU_DEP_1) | instskip(NEXT) | instid1(VALU_DEP_1)
	v_frexp_exp_i32_f64_e32 v14, v[14:15]
	v_sub_nc_u32_e32 v15, 0, v14
	s_delay_alu instid0(VALU_DEP_1) | instskip(SKIP_1) | instid1(VALU_DEP_2)
	v_ldexp_f32 v24, |v13|, v15
	v_ldexp_f32 v15, |v12|, v15
	v_mul_f32_e32 v24, v24, v24
	v_cmp_neq_f32_e64 s7, 0x7f800000, v11
                                        ; implicit-def: $vgpr11
	s_delay_alu instid0(VALU_DEP_2) | instskip(NEXT) | instid1(VALU_DEP_1)
	v_fmac_f32_e32 v24, v15, v15
	v_sqrt_f32_e32 v15, v24
	s_waitcnt_depctr 0xfff
	v_ldexp_f32 v14, v15, v14
	s_delay_alu instid0(VALU_DEP_1)
	v_cndmask_b32_e64 v15, 0x7f800000, v14, s7
                                        ; implicit-def: $vgpr14
	s_mov_b32 s7, exec_lo
	v_cmpx_le_f32_e32 0, v12
	s_xor_b32 s27, exec_lo, s7
	s_cbranch_execz .LBB303_62
; %bb.60:                               ;   in Loop: Header=BB303_4 Depth=1
	v_add_f32_e32 v11, v12, v15
	s_delay_alu instid0(VALU_DEP_1) | instskip(NEXT) | instid1(VALU_DEP_1)
	v_mul_f32_e32 v11, 0.5, v11
	v_mul_f32_e32 v12, 0x4f800000, v11
	v_cmp_gt_f32_e32 vcc_lo, 0xf800000, v11
	s_delay_alu instid0(VALU_DEP_2) | instskip(NEXT) | instid1(VALU_DEP_1)
	v_cndmask_b32_e32 v11, v11, v12, vcc_lo
	v_sqrt_f32_e32 v12, v11
	s_waitcnt_depctr 0xfff
	v_add_nc_u32_e32 v14, -1, v12
	v_add_nc_u32_e32 v15, 1, v12
	s_delay_alu instid0(VALU_DEP_2) | instskip(NEXT) | instid1(VALU_DEP_2)
	v_fma_f32 v24, -v14, v12, v11
	v_fma_f32 v25, -v15, v12, v11
	s_delay_alu instid0(VALU_DEP_2) | instskip(NEXT) | instid1(VALU_DEP_1)
	v_cmp_ge_f32_e64 s7, 0, v24
	v_cndmask_b32_e64 v12, v12, v14, s7
	s_delay_alu instid0(VALU_DEP_3) | instskip(NEXT) | instid1(VALU_DEP_1)
	v_cmp_lt_f32_e64 s7, 0, v25
	v_cndmask_b32_e64 v12, v12, v15, s7
	s_delay_alu instid0(VALU_DEP_1) | instskip(NEXT) | instid1(VALU_DEP_1)
	v_mul_f32_e32 v14, 0x37800000, v12
	v_cndmask_b32_e32 v12, v12, v14, vcc_lo
	v_cmp_class_f32_e64 vcc_lo, v11, 0x260
	s_delay_alu instid0(VALU_DEP_2) | instskip(NEXT) | instid1(VALU_DEP_1)
	v_cndmask_b32_e32 v11, v12, v11, vcc_lo
	v_add_f32_e32 v12, v11, v11
	s_delay_alu instid0(VALU_DEP_1) | instskip(NEXT) | instid1(VALU_DEP_1)
	v_div_scale_f32 v14, null, v12, v12, v13
	v_rcp_f32_e32 v15, v14
	s_waitcnt_depctr 0xfff
	v_fma_f32 v24, -v14, v15, 1.0
	s_delay_alu instid0(VALU_DEP_1) | instskip(SKIP_1) | instid1(VALU_DEP_1)
	v_fmac_f32_e32 v15, v24, v15
	v_div_scale_f32 v24, vcc_lo, v13, v12, v13
	v_mul_f32_e32 v25, v24, v15
	s_delay_alu instid0(VALU_DEP_1) | instskip(NEXT) | instid1(VALU_DEP_1)
	v_fma_f32 v26, -v14, v25, v24
	v_fmac_f32_e32 v25, v26, v15
	s_delay_alu instid0(VALU_DEP_1) | instskip(NEXT) | instid1(VALU_DEP_1)
	v_fma_f32 v14, -v14, v25, v24
	v_div_fmas_f32 v14, v14, v15, v25
                                        ; implicit-def: $vgpr15
	s_delay_alu instid0(VALU_DEP_1)
	v_div_fixup_f32 v14, v14, v12, v13
                                        ; implicit-def: $vgpr12
	s_and_not1_saveexec_b32 s27, s27
	s_cbranch_execz .LBB303_64
	s_branch .LBB303_63
.LBB303_61:                             ;   in Loop: Header=BB303_4 Depth=1
	s_or_b32 exec_lo, exec_lo, s6
	s_and_not1_saveexec_b32 s6, s24
	s_cbranch_execnz .LBB303_38
	s_branch .LBB303_39
.LBB303_62:                             ;   in Loop: Header=BB303_4 Depth=1
	s_and_not1_saveexec_b32 s27, s27
	s_cbranch_execz .LBB303_64
.LBB303_63:                             ;   in Loop: Header=BB303_4 Depth=1
	v_sub_f32_e32 v11, v15, v12
	s_delay_alu instid0(VALU_DEP_1) | instskip(NEXT) | instid1(VALU_DEP_1)
	v_mul_f32_e32 v11, 0.5, v11
	v_mul_f32_e32 v12, 0x4f800000, v11
	v_cmp_gt_f32_e32 vcc_lo, 0xf800000, v11
	s_delay_alu instid0(VALU_DEP_2) | instskip(NEXT) | instid1(VALU_DEP_1)
	v_cndmask_b32_e32 v11, v11, v12, vcc_lo
	v_sqrt_f32_e32 v12, v11
	s_waitcnt_depctr 0xfff
	v_add_nc_u32_e32 v14, -1, v12
	v_add_nc_u32_e32 v15, 1, v12
	s_delay_alu instid0(VALU_DEP_2) | instskip(NEXT) | instid1(VALU_DEP_2)
	v_fma_f32 v24, -v14, v12, v11
	v_fma_f32 v25, -v15, v12, v11
	s_delay_alu instid0(VALU_DEP_2) | instskip(NEXT) | instid1(VALU_DEP_1)
	v_cmp_ge_f32_e64 s7, 0, v24
	v_cndmask_b32_e64 v12, v12, v14, s7
	s_delay_alu instid0(VALU_DEP_3) | instskip(NEXT) | instid1(VALU_DEP_1)
	v_cmp_lt_f32_e64 s7, 0, v25
	v_cndmask_b32_e64 v12, v12, v15, s7
	s_delay_alu instid0(VALU_DEP_1) | instskip(NEXT) | instid1(VALU_DEP_1)
	v_mul_f32_e32 v14, 0x37800000, v12
	v_cndmask_b32_e32 v12, v12, v14, vcc_lo
	v_cmp_class_f32_e64 vcc_lo, v11, 0x260
	s_delay_alu instid0(VALU_DEP_2) | instskip(NEXT) | instid1(VALU_DEP_1)
	v_dual_cndmask_b32 v12, v12, v11 :: v_dual_and_b32 v11, 0x7fffffff, v13
	v_add_f32_e32 v14, v12, v12
	s_delay_alu instid0(VALU_DEP_1) | instskip(SKIP_1) | instid1(VALU_DEP_2)
	v_div_scale_f32 v15, null, v14, v14, v11
	v_div_scale_f32 v11, vcc_lo, v11, v14, v11
	v_rcp_f32_e32 v24, v15
	s_waitcnt_depctr 0xfff
	v_fma_f32 v25, -v15, v24, 1.0
	s_delay_alu instid0(VALU_DEP_1) | instskip(NEXT) | instid1(VALU_DEP_1)
	v_fmac_f32_e32 v24, v25, v24
	v_mul_f32_e32 v25, v11, v24
	s_delay_alu instid0(VALU_DEP_1) | instskip(NEXT) | instid1(VALU_DEP_1)
	v_fma_f32 v26, -v15, v25, v11
	v_fmac_f32_e32 v25, v26, v24
	s_delay_alu instid0(VALU_DEP_1) | instskip(NEXT) | instid1(VALU_DEP_1)
	v_fma_f32 v11, -v15, v25, v11
	v_div_fmas_f32 v11, v11, v24, v25
	s_delay_alu instid0(VALU_DEP_1)
	v_div_fixup_f32 v11, v11, v14, |v13|
	v_bfi_b32 v14, 0x7fffffff, v12, v13
.LBB303_64:                             ;   in Loop: Header=BB303_4 Depth=1
	s_or_b32 exec_lo, exec_lo, s27
                                        ; implicit-def: $vgpr13
	s_and_saveexec_b32 s7, s6
	s_delay_alu instid0(SALU_CYCLE_1)
	s_xor_b32 s6, exec_lo, s7
	s_cbranch_execz .LBB303_66
; %bb.65:                               ;   in Loop: Header=BB303_4 Depth=1
	v_dual_mul_f32 v12, 0.5, v11 :: v_dual_mul_f32 v13, 0.5, v14
	s_delay_alu instid0(VALU_DEP_1) | instskip(NEXT) | instid1(VALU_DEP_2)
	v_cndmask_b32_e64 v12, v11, v12, s26
	v_cndmask_b32_e64 v13, v14, v13, s26
                                        ; implicit-def: $vgpr11
                                        ; implicit-def: $vgpr14
	s_and_not1_saveexec_b32 s6, s6
	s_cbranch_execnz .LBB303_67
	s_branch .LBB303_68
.LBB303_66:                             ;   in Loop: Header=BB303_4 Depth=1
	s_and_not1_saveexec_b32 s6, s6
.LBB303_67:                             ;   in Loop: Header=BB303_4 Depth=1
	v_dual_add_f32 v12, v11, v11 :: v_dual_add_f32 v13, v14, v14
.LBB303_68:                             ;   in Loop: Header=BB303_4 Depth=1
	s_or_b32 exec_lo, exec_lo, s6
.LBB303_69:                             ;   in Loop: Header=BB303_4 Depth=1
	s_and_not1_saveexec_b32 s6, s25
	s_cbranch_execz .LBB303_75
; %bb.70:                               ;   in Loop: Header=BB303_4 Depth=1
	s_delay_alu instid0(VALU_DEP_1)
	v_sub_f32_e32 v11, v13, v13
	s_mov_b32 s7, exec_lo
	v_cmpx_lt_i32_e32 -1, v12
	s_xor_b32 s7, exec_lo, s7
; %bb.71:                               ;   in Loop: Header=BB303_4 Depth=1
	s_delay_alu instid0(VALU_DEP_2)
	v_bfi_b32 v13, 0x7fffffff, v11, v13
                                        ; implicit-def: $vgpr11
; %bb.72:                               ;   in Loop: Header=BB303_4 Depth=1
	s_and_not1_saveexec_b32 s7, s7
; %bb.73:                               ;   in Loop: Header=BB303_4 Depth=1
	v_and_b32_e32 v11, 0x7fffffff, v11
	s_delay_alu instid0(VALU_DEP_2) | instskip(NEXT) | instid1(VALU_DEP_2)
	v_bfi_b32 v13, 0x7fffffff, v12, v13
	v_mov_b32_e32 v12, v11
; %bb.74:                               ;   in Loop: Header=BB303_4 Depth=1
	s_or_b32 exec_lo, exec_lo, s7
.LBB303_75:                             ;   in Loop: Header=BB303_4 Depth=1
	s_delay_alu instid0(SALU_CYCLE_1)
	s_or_b32 exec_lo, exec_lo, s6
.LBB303_76:                             ;   in Loop: Header=BB303_4 Depth=1
	s_and_not1_saveexec_b32 s6, s24
; %bb.77:                               ;   in Loop: Header=BB303_4 Depth=1
	v_sub_f32_e32 v11, v13, v13
	s_delay_alu instid0(VALU_DEP_1) | instskip(NEXT) | instid1(VALU_DEP_1)
	v_div_scale_f32 v13, vcc_lo, v11, v11, v11
	v_rcp_f32_e32 v14, v13
	s_waitcnt_depctr 0xfff
	v_fma_f32 v15, -v13, v14, 1.0
	s_delay_alu instid0(VALU_DEP_1) | instskip(NEXT) | instid1(VALU_DEP_1)
	v_fmac_f32_e32 v14, v15, v14
	v_mul_f32_e32 v15, v13, v14
	s_delay_alu instid0(VALU_DEP_1) | instskip(NEXT) | instid1(VALU_DEP_1)
	v_fma_f32 v24, -v13, v15, v13
	v_fmac_f32_e32 v15, v24, v14
	s_delay_alu instid0(VALU_DEP_1) | instskip(NEXT) | instid1(VALU_DEP_1)
	v_fma_f32 v13, -v13, v15, v13
	v_div_fmas_f32 v13, v13, v14, v15
	s_delay_alu instid0(VALU_DEP_1)
	v_div_fixup_f32 v13, v13, v11, v11
; %bb.78:                               ;   in Loop: Header=BB303_4 Depth=1
	s_or_b32 exec_lo, exec_lo, s6
	v_mov_b32_e32 v14, v12
.LBB303_79:                             ;   in Loop: Header=BB303_4 Depth=1
	s_or_b32 exec_lo, exec_lo, s23
.LBB303_80:                             ;   in Loop: Header=BB303_4 Depth=1
	s_delay_alu instid0(SALU_CYCLE_1) | instskip(NEXT) | instid1(VALU_DEP_1)
	s_or_b32 exec_lo, exec_lo, s22
	v_cmp_gt_f32_e32 vcc_lo, 0, v14
                                        ; implicit-def: $vgpr12
	s_mov_b32 s6, exec_lo
	v_cndmask_b32_e64 v15, v14, -v14, vcc_lo
	v_cmp_gt_f32_e32 vcc_lo, 0, v13
	v_cndmask_b32_e64 v24, v13, -v13, vcc_lo
	s_delay_alu instid0(VALU_DEP_1)
	v_cmpx_ge_f32_e32 v15, v24
	s_xor_b32 s7, exec_lo, s6
	s_cbranch_execz .LBB303_86
; %bb.81:                               ;   in Loop: Header=BB303_4 Depth=1
	v_cmp_neq_f32_e32 vcc_lo, 0, v14
	v_cmp_neq_f32_e64 s6, 0, v13
                                        ; implicit-def: $vgpr12
	s_delay_alu instid0(VALU_DEP_1) | instskip(NEXT) | instid1(SALU_CYCLE_1)
	s_or_b32 s6, vcc_lo, s6
	s_and_saveexec_b32 s22, s6
	s_delay_alu instid0(SALU_CYCLE_1)
	s_xor_b32 s6, exec_lo, s22
	s_cbranch_execz .LBB303_83
; %bb.82:                               ;   in Loop: Header=BB303_4 Depth=1
	v_div_scale_f32 v11, null, v14, v14, v13
	v_div_scale_f32 v24, vcc_lo, v13, v14, v13
	s_delay_alu instid0(VALU_DEP_2) | instskip(SKIP_2) | instid1(VALU_DEP_1)
	v_rcp_f32_e32 v12, v11
	s_waitcnt_depctr 0xfff
	v_fma_f32 v15, -v11, v12, 1.0
	v_fmac_f32_e32 v12, v15, v12
	s_delay_alu instid0(VALU_DEP_1) | instskip(NEXT) | instid1(VALU_DEP_1)
	v_mul_f32_e32 v15, v24, v12
	v_fma_f32 v25, -v11, v15, v24
	s_delay_alu instid0(VALU_DEP_1) | instskip(NEXT) | instid1(VALU_DEP_1)
	v_fmac_f32_e32 v15, v25, v12
	v_fma_f32 v11, -v11, v15, v24
	s_delay_alu instid0(VALU_DEP_1) | instskip(NEXT) | instid1(VALU_DEP_1)
	v_div_fmas_f32 v11, v11, v12, v15
	v_div_fixup_f32 v12, v11, v14, v13
	s_delay_alu instid0(VALU_DEP_1) | instskip(NEXT) | instid1(VALU_DEP_1)
	v_fmac_f32_e32 v14, v13, v12
	v_div_scale_f32 v11, null, v14, v14, 1.0
	s_delay_alu instid0(VALU_DEP_1) | instskip(SKIP_2) | instid1(VALU_DEP_1)
	v_rcp_f32_e32 v13, v11
	s_waitcnt_depctr 0xfff
	v_fma_f32 v15, -v11, v13, 1.0
	v_fmac_f32_e32 v13, v15, v13
	v_div_scale_f32 v24, vcc_lo, 1.0, v14, 1.0
	s_delay_alu instid0(VALU_DEP_1) | instskip(NEXT) | instid1(VALU_DEP_1)
	v_mul_f32_e32 v15, v24, v13
	v_fma_f32 v25, -v11, v15, v24
	s_delay_alu instid0(VALU_DEP_1) | instskip(NEXT) | instid1(VALU_DEP_1)
	v_fmac_f32_e32 v15, v25, v13
	v_fma_f32 v11, -v11, v15, v24
                                        ; implicit-def: $vgpr24
	s_delay_alu instid0(VALU_DEP_1) | instskip(SKIP_1) | instid1(VALU_DEP_2)
	v_div_fmas_f32 v11, v11, v13, v15
	v_fma_f32 v13, v12, 0, 1.0
                                        ; implicit-def: $vgpr15
	v_div_fixup_f32 v14, v11, v14, 1.0
	s_delay_alu instid0(VALU_DEP_1)
	v_mul_f32_e32 v11, v13, v14
	v_mul_f32_e64 v12, -v12, v14
.LBB303_83:                             ;   in Loop: Header=BB303_4 Depth=1
	s_and_not1_saveexec_b32 s22, s6
	s_cbranch_execz .LBB303_85
; %bb.84:                               ;   in Loop: Header=BB303_4 Depth=1
	v_div_scale_f32 v11, null, v15, v15, 1.0
	v_div_scale_f32 v12, null, v24, v24, 0
	v_div_scale_f32 v27, vcc_lo, 1.0, v15, 1.0
	s_delay_alu instid0(VALU_DEP_3) | instskip(NEXT) | instid1(VALU_DEP_2)
	v_rcp_f32_e32 v13, v11
	v_rcp_f32_e32 v14, v12
	s_waitcnt_depctr 0xfff
	v_fma_f32 v25, -v11, v13, 1.0
	v_fma_f32 v26, -v12, v14, 1.0
	s_delay_alu instid0(VALU_DEP_1) | instskip(SKIP_1) | instid1(VALU_DEP_2)
	v_dual_fmac_f32 v13, v25, v13 :: v_dual_fmac_f32 v14, v26, v14
	v_div_scale_f32 v25, s6, 0, v24, 0
	v_mul_f32_e32 v26, v27, v13
	s_delay_alu instid0(VALU_DEP_2) | instskip(NEXT) | instid1(VALU_DEP_2)
	v_mul_f32_e32 v28, v25, v14
	v_fma_f32 v29, -v11, v26, v27
	s_delay_alu instid0(VALU_DEP_2) | instskip(NEXT) | instid1(VALU_DEP_2)
	v_fma_f32 v30, -v12, v28, v25
	v_fmac_f32_e32 v26, v29, v13
	s_delay_alu instid0(VALU_DEP_2) | instskip(NEXT) | instid1(VALU_DEP_2)
	v_fmac_f32_e32 v28, v30, v14
	v_fma_f32 v11, -v11, v26, v27
	s_delay_alu instid0(VALU_DEP_2) | instskip(NEXT) | instid1(VALU_DEP_2)
	v_fma_f32 v12, -v12, v28, v25
	v_div_fmas_f32 v11, v11, v13, v26
	s_mov_b32 vcc_lo, s6
	s_delay_alu instid0(VALU_DEP_2) | instskip(NEXT) | instid1(VALU_DEP_2)
	v_div_fmas_f32 v12, v12, v14, v28
	v_div_fixup_f32 v11, v11, v15, 1.0
	s_delay_alu instid0(VALU_DEP_2)
	v_div_fixup_f32 v12, v12, v24, 0
.LBB303_85:                             ;   in Loop: Header=BB303_4 Depth=1
	s_or_b32 exec_lo, exec_lo, s22
                                        ; implicit-def: $vgpr13
                                        ; implicit-def: $vgpr14
.LBB303_86:                             ;   in Loop: Header=BB303_4 Depth=1
	s_and_not1_saveexec_b32 s6, s7
	s_cbranch_execz .LBB303_88
; %bb.87:                               ;   in Loop: Header=BB303_4 Depth=1
	v_div_scale_f32 v11, null, v13, v13, v14
	v_div_scale_f32 v24, vcc_lo, v14, v13, v14
	s_delay_alu instid0(VALU_DEP_2) | instskip(SKIP_2) | instid1(VALU_DEP_1)
	v_rcp_f32_e32 v12, v11
	s_waitcnt_depctr 0xfff
	v_fma_f32 v15, -v11, v12, 1.0
	v_fmac_f32_e32 v12, v15, v12
	s_delay_alu instid0(VALU_DEP_1) | instskip(NEXT) | instid1(VALU_DEP_1)
	v_mul_f32_e32 v15, v24, v12
	v_fma_f32 v25, -v11, v15, v24
	s_delay_alu instid0(VALU_DEP_1) | instskip(NEXT) | instid1(VALU_DEP_1)
	v_fmac_f32_e32 v15, v25, v12
	v_fma_f32 v11, -v11, v15, v24
	s_delay_alu instid0(VALU_DEP_1) | instskip(NEXT) | instid1(VALU_DEP_1)
	v_div_fmas_f32 v11, v11, v12, v15
	v_div_fixup_f32 v11, v11, v13, v14
	s_delay_alu instid0(VALU_DEP_1) | instskip(NEXT) | instid1(VALU_DEP_1)
	v_fmac_f32_e32 v13, v14, v11
	v_div_scale_f32 v12, null, v13, v13, 1.0
	v_div_scale_f32 v24, vcc_lo, 1.0, v13, 1.0
	s_delay_alu instid0(VALU_DEP_2) | instskip(SKIP_2) | instid1(VALU_DEP_1)
	v_rcp_f32_e32 v14, v12
	s_waitcnt_depctr 0xfff
	v_fma_f32 v15, -v12, v14, 1.0
	v_fmac_f32_e32 v14, v15, v14
	s_delay_alu instid0(VALU_DEP_1) | instskip(NEXT) | instid1(VALU_DEP_1)
	v_mul_f32_e32 v15, v24, v14
	v_fma_f32 v25, -v12, v15, v24
	s_delay_alu instid0(VALU_DEP_1) | instskip(NEXT) | instid1(VALU_DEP_1)
	v_fmac_f32_e32 v15, v25, v14
	v_fma_f32 v12, -v12, v15, v24
	s_delay_alu instid0(VALU_DEP_1) | instskip(SKIP_1) | instid1(VALU_DEP_2)
	v_div_fmas_f32 v12, v12, v14, v15
	v_add_f32_e32 v14, 0, v11
	v_div_fixup_f32 v12, v12, v13, 1.0
	v_fma_f32 v13, v11, 0, -1.0
	s_delay_alu instid0(VALU_DEP_2) | instskip(NEXT) | instid1(VALU_DEP_2)
	v_mul_f32_e32 v11, v14, v12
	v_mul_f32_e32 v12, v13, v12
.LBB303_88:                             ;   in Loop: Header=BB303_4 Depth=1
	s_or_b32 exec_lo, exec_lo, s6
	v_cmp_neq_f32_e32 vcc_lo, 0, v9
	v_cmp_neq_f32_e64 s6, 0, v10
	v_mov_b32_e32 v15, 0
	s_delay_alu instid0(VALU_DEP_2) | instskip(NEXT) | instid1(SALU_CYCLE_1)
	s_or_b32 s6, vcc_lo, s6
	s_and_saveexec_b32 s22, s6
	s_cbranch_execz .LBB303_118
; %bb.89:                               ;   in Loop: Header=BB303_4 Depth=1
	v_mov_b32_e32 v15, 0x7f800000
	s_mov_b32 s23, exec_lo
	v_cmpx_neq_f32_e64 0x7f800000, |v10|
	s_cbranch_execz .LBB303_117
; %bb.90:                               ;   in Loop: Header=BB303_4 Depth=1
	s_mov_b32 s6, exec_lo
	v_cmpx_o_f32_e32 v9, v9
	s_xor_b32 s24, exec_lo, s6
	s_cbranch_execz .LBB303_114
; %bb.91:                               ;   in Loop: Header=BB303_4 Depth=1
	s_mov_b32 s7, exec_lo
	v_cmpx_neq_f32_e64 0x7f800000, |v9|
	s_xor_b32 s25, exec_lo, s7
	s_cbranch_execz .LBB303_107
; %bb.92:                               ;   in Loop: Header=BB303_4 Depth=1
	v_max_f32_e64 v13, |v9|, |v9|
	v_max_f32_e64 v14, |v10|, |v10|
                                        ; implicit-def: $sgpr26
	s_delay_alu instid0(VALU_DEP_1) | instskip(NEXT) | instid1(VALU_DEP_1)
	v_max_f32_e32 v13, v14, v13
	v_cmp_nle_f32_e64 s6, 0x7ed413cb, v13
	s_delay_alu instid0(VALU_DEP_1) | instskip(NEXT) | instid1(SALU_CYCLE_1)
	s_and_saveexec_b32 s7, s6
	s_xor_b32 s7, exec_lo, s7
	s_cbranch_execz .LBB303_96
; %bb.93:                               ;   in Loop: Header=BB303_4 Depth=1
	v_cmp_ge_f32_e64 s26, 0x1000000, |v9|
	v_cmp_ge_f32_e64 s27, 0x1000000, |v10|
	s_delay_alu instid0(VALU_DEP_1)
	s_and_b32 s28, s27, s26
	s_mov_b32 s26, 0
	s_and_saveexec_b32 s27, s28
; %bb.94:                               ;   in Loop: Header=BB303_4 Depth=1
	v_dual_mul_f32 v9, 4.0, v9 :: v_dual_mul_f32 v10, 4.0, v10
	s_mov_b32 s26, exec_lo
; %bb.95:                               ;   in Loop: Header=BB303_4 Depth=1
	s_or_b32 exec_lo, exec_lo, s27
	s_delay_alu instid0(SALU_CYCLE_1)
	s_and_b32 s26, s26, exec_lo
.LBB303_96:                             ;   in Loop: Header=BB303_4 Depth=1
	s_and_not1_saveexec_b32 s7, s7
; %bb.97:                               ;   in Loop: Header=BB303_4 Depth=1
	v_dual_mul_f32 v9, 0x3e800000, v9 :: v_dual_mul_f32 v10, 0x3e800000, v10
	s_and_not1_b32 s26, s26, exec_lo
; %bb.98:                               ;   in Loop: Header=BB303_4 Depth=1
	s_or_b32 exec_lo, exec_lo, s7
	s_delay_alu instid0(VALU_DEP_1) | instskip(NEXT) | instid1(VALU_DEP_2)
	v_max_f32_e64 v13, |v10|, |v10|
	v_max_f32_e64 v14, |v9|, |v9|
	s_delay_alu instid0(VALU_DEP_1) | instskip(NEXT) | instid1(VALU_DEP_1)
	v_max_f32_e32 v15, v14, v13
	v_cvt_f64_f32_e32 v[13:14], v15
	s_delay_alu instid0(VALU_DEP_1) | instskip(NEXT) | instid1(VALU_DEP_1)
	v_frexp_exp_i32_f64_e32 v13, v[13:14]
	v_sub_nc_u32_e32 v14, 0, v13
	s_delay_alu instid0(VALU_DEP_1) | instskip(SKIP_1) | instid1(VALU_DEP_2)
	v_ldexp_f32 v24, |v10|, v14
	v_ldexp_f32 v14, |v9|, v14
	v_mul_f32_e32 v24, v24, v24
	v_cmp_neq_f32_e64 s7, 0x7f800000, v15
	s_delay_alu instid0(VALU_DEP_2) | instskip(NEXT) | instid1(VALU_DEP_1)
	v_fmac_f32_e32 v24, v14, v14
	v_sqrt_f32_e32 v14, v24
	s_waitcnt_depctr 0xfff
	v_ldexp_f32 v13, v14, v13
                                        ; implicit-def: $vgpr14
	s_delay_alu instid0(VALU_DEP_1)
	v_cndmask_b32_e64 v15, 0x7f800000, v13, s7
                                        ; implicit-def: $vgpr13
	s_mov_b32 s7, exec_lo
	v_cmpx_le_f32_e32 0, v9
	s_xor_b32 s27, exec_lo, s7
	s_cbranch_execz .LBB303_100
; %bb.99:                               ;   in Loop: Header=BB303_4 Depth=1
	v_add_f32_e32 v9, v9, v15
	s_delay_alu instid0(VALU_DEP_1) | instskip(NEXT) | instid1(VALU_DEP_1)
	v_mul_f32_e32 v9, 0.5, v9
	v_mul_f32_e32 v13, 0x4f800000, v9
	v_cmp_gt_f32_e32 vcc_lo, 0xf800000, v9
	s_delay_alu instid0(VALU_DEP_2) | instskip(NEXT) | instid1(VALU_DEP_1)
	v_cndmask_b32_e32 v9, v9, v13, vcc_lo
	v_sqrt_f32_e32 v13, v9
	s_waitcnt_depctr 0xfff
	v_add_nc_u32_e32 v14, -1, v13
	v_add_nc_u32_e32 v15, 1, v13
	s_delay_alu instid0(VALU_DEP_2) | instskip(NEXT) | instid1(VALU_DEP_2)
	v_fma_f32 v24, -v14, v13, v9
	v_fma_f32 v25, -v15, v13, v9
	s_delay_alu instid0(VALU_DEP_2) | instskip(NEXT) | instid1(VALU_DEP_1)
	v_cmp_ge_f32_e64 s7, 0, v24
	v_cndmask_b32_e64 v13, v13, v14, s7
	s_delay_alu instid0(VALU_DEP_3) | instskip(NEXT) | instid1(VALU_DEP_1)
	v_cmp_lt_f32_e64 s7, 0, v25
	v_cndmask_b32_e64 v13, v13, v15, s7
	s_delay_alu instid0(VALU_DEP_1) | instskip(NEXT) | instid1(VALU_DEP_1)
	v_mul_f32_e32 v14, 0x37800000, v13
	v_cndmask_b32_e32 v13, v13, v14, vcc_lo
	v_cmp_class_f32_e64 vcc_lo, v9, 0x260
	s_delay_alu instid0(VALU_DEP_2) | instskip(NEXT) | instid1(VALU_DEP_1)
	v_cndmask_b32_e32 v13, v13, v9, vcc_lo
	v_add_f32_e32 v9, v13, v13
	s_delay_alu instid0(VALU_DEP_1) | instskip(NEXT) | instid1(VALU_DEP_1)
	v_div_scale_f32 v14, null, v9, v9, v10
	v_rcp_f32_e32 v15, v14
	s_waitcnt_depctr 0xfff
	v_fma_f32 v24, -v14, v15, 1.0
	s_delay_alu instid0(VALU_DEP_1) | instskip(SKIP_1) | instid1(VALU_DEP_1)
	v_fmac_f32_e32 v15, v24, v15
	v_div_scale_f32 v24, vcc_lo, v10, v9, v10
	v_mul_f32_e32 v25, v24, v15
	s_delay_alu instid0(VALU_DEP_1) | instskip(NEXT) | instid1(VALU_DEP_1)
	v_fma_f32 v26, -v14, v25, v24
	v_fmac_f32_e32 v25, v26, v15
	s_delay_alu instid0(VALU_DEP_1) | instskip(NEXT) | instid1(VALU_DEP_1)
	v_fma_f32 v14, -v14, v25, v24
	v_div_fmas_f32 v14, v14, v15, v25
                                        ; implicit-def: $vgpr15
	s_delay_alu instid0(VALU_DEP_1)
	v_div_fixup_f32 v14, v14, v9, v10
                                        ; implicit-def: $vgpr9
	s_and_not1_saveexec_b32 s27, s27
	s_cbranch_execz .LBB303_102
	s_branch .LBB303_101
.LBB303_100:                            ;   in Loop: Header=BB303_4 Depth=1
	s_and_not1_saveexec_b32 s27, s27
	s_cbranch_execz .LBB303_102
.LBB303_101:                            ;   in Loop: Header=BB303_4 Depth=1
	v_sub_f32_e32 v9, v15, v9
	s_delay_alu instid0(VALU_DEP_1) | instskip(NEXT) | instid1(VALU_DEP_1)
	v_mul_f32_e32 v9, 0.5, v9
	v_mul_f32_e32 v13, 0x4f800000, v9
	v_cmp_gt_f32_e32 vcc_lo, 0xf800000, v9
	s_delay_alu instid0(VALU_DEP_2) | instskip(NEXT) | instid1(VALU_DEP_1)
	v_cndmask_b32_e32 v9, v9, v13, vcc_lo
	v_sqrt_f32_e32 v13, v9
	s_waitcnt_depctr 0xfff
	v_add_nc_u32_e32 v14, -1, v13
	v_add_nc_u32_e32 v15, 1, v13
	s_delay_alu instid0(VALU_DEP_2) | instskip(NEXT) | instid1(VALU_DEP_2)
	v_fma_f32 v24, -v14, v13, v9
	v_fma_f32 v25, -v15, v13, v9
	s_delay_alu instid0(VALU_DEP_2) | instskip(NEXT) | instid1(VALU_DEP_1)
	v_cmp_ge_f32_e64 s7, 0, v24
	v_cndmask_b32_e64 v13, v13, v14, s7
	s_delay_alu instid0(VALU_DEP_3) | instskip(NEXT) | instid1(VALU_DEP_1)
	v_cmp_lt_f32_e64 s7, 0, v25
	v_cndmask_b32_e64 v13, v13, v15, s7
	s_delay_alu instid0(VALU_DEP_1) | instskip(NEXT) | instid1(VALU_DEP_1)
	v_mul_f32_e32 v14, 0x37800000, v13
	v_cndmask_b32_e32 v13, v13, v14, vcc_lo
	v_cmp_class_f32_e64 vcc_lo, v9, 0x260
	s_delay_alu instid0(VALU_DEP_2) | instskip(NEXT) | instid1(VALU_DEP_1)
	v_cndmask_b32_e32 v9, v13, v9, vcc_lo
	v_dual_add_f32 v14, v9, v9 :: v_dual_and_b32 v13, 0x7fffffff, v10
	s_delay_alu instid0(VALU_DEP_1) | instskip(SKIP_1) | instid1(VALU_DEP_2)
	v_div_scale_f32 v15, null, v14, v14, v13
	v_div_scale_f32 v13, vcc_lo, v13, v14, v13
	v_rcp_f32_e32 v24, v15
	s_waitcnt_depctr 0xfff
	v_fma_f32 v25, -v15, v24, 1.0
	s_delay_alu instid0(VALU_DEP_1) | instskip(NEXT) | instid1(VALU_DEP_1)
	v_fmac_f32_e32 v24, v25, v24
	v_mul_f32_e32 v25, v13, v24
	s_delay_alu instid0(VALU_DEP_1) | instskip(NEXT) | instid1(VALU_DEP_1)
	v_fma_f32 v26, -v15, v25, v13
	v_fmac_f32_e32 v25, v26, v24
	s_delay_alu instid0(VALU_DEP_1) | instskip(NEXT) | instid1(VALU_DEP_1)
	v_fma_f32 v13, -v15, v25, v13
	v_div_fmas_f32 v13, v13, v24, v25
	s_delay_alu instid0(VALU_DEP_1)
	v_div_fixup_f32 v13, v13, v14, |v10|
	v_bfi_b32 v14, 0x7fffffff, v9, v10
.LBB303_102:                            ;   in Loop: Header=BB303_4 Depth=1
	s_or_b32 exec_lo, exec_lo, s27
                                        ; implicit-def: $vgpr10
	s_and_saveexec_b32 s7, s6
	s_delay_alu instid0(SALU_CYCLE_1)
	s_xor_b32 s6, exec_lo, s7
	s_cbranch_execz .LBB303_104
; %bb.103:                              ;   in Loop: Header=BB303_4 Depth=1
	v_dual_mul_f32 v9, 0.5, v13 :: v_dual_mul_f32 v10, 0.5, v14
	s_delay_alu instid0(VALU_DEP_1) | instskip(NEXT) | instid1(VALU_DEP_2)
	v_cndmask_b32_e64 v9, v13, v9, s26
	v_cndmask_b32_e64 v10, v14, v10, s26
                                        ; implicit-def: $vgpr13
                                        ; implicit-def: $vgpr14
	s_and_not1_saveexec_b32 s6, s6
	s_cbranch_execnz .LBB303_105
	s_branch .LBB303_106
.LBB303_104:                            ;   in Loop: Header=BB303_4 Depth=1
	s_and_not1_saveexec_b32 s6, s6
.LBB303_105:                            ;   in Loop: Header=BB303_4 Depth=1
	v_dual_add_f32 v9, v13, v13 :: v_dual_add_f32 v10, v14, v14
.LBB303_106:                            ;   in Loop: Header=BB303_4 Depth=1
	s_or_b32 exec_lo, exec_lo, s6
.LBB303_107:                            ;   in Loop: Header=BB303_4 Depth=1
	s_and_not1_saveexec_b32 s6, s25
	s_cbranch_execz .LBB303_113
; %bb.108:                              ;   in Loop: Header=BB303_4 Depth=1
	s_delay_alu instid0(VALU_DEP_1)
	v_sub_f32_e32 v13, v10, v10
	s_mov_b32 s7, exec_lo
	v_cmpx_lt_i32_e32 -1, v9
	s_xor_b32 s7, exec_lo, s7
; %bb.109:                              ;   in Loop: Header=BB303_4 Depth=1
	s_delay_alu instid0(VALU_DEP_2)
	v_bfi_b32 v10, 0x7fffffff, v13, v10
                                        ; implicit-def: $vgpr13
; %bb.110:                              ;   in Loop: Header=BB303_4 Depth=1
	s_and_not1_saveexec_b32 s7, s7
; %bb.111:                              ;   in Loop: Header=BB303_4 Depth=1
	v_and_b32_e32 v13, 0x7fffffff, v13
	s_delay_alu instid0(VALU_DEP_2) | instskip(NEXT) | instid1(VALU_DEP_2)
	v_bfi_b32 v10, 0x7fffffff, v9, v10
	v_mov_b32_e32 v9, v13
; %bb.112:                              ;   in Loop: Header=BB303_4 Depth=1
	s_or_b32 exec_lo, exec_lo, s7
.LBB303_113:                            ;   in Loop: Header=BB303_4 Depth=1
	s_delay_alu instid0(SALU_CYCLE_1)
	s_or_b32 exec_lo, exec_lo, s6
.LBB303_114:                            ;   in Loop: Header=BB303_4 Depth=1
	s_and_not1_saveexec_b32 s6, s24
; %bb.115:                              ;   in Loop: Header=BB303_4 Depth=1
	v_sub_f32_e32 v10, v10, v10
	s_delay_alu instid0(VALU_DEP_1) | instskip(NEXT) | instid1(VALU_DEP_1)
	v_div_scale_f32 v13, vcc_lo, v10, v10, v10
	v_rcp_f32_e32 v14, v13
	s_waitcnt_depctr 0xfff
	v_fma_f32 v15, -v13, v14, 1.0
	s_delay_alu instid0(VALU_DEP_1) | instskip(NEXT) | instid1(VALU_DEP_1)
	v_fmac_f32_e32 v14, v15, v14
	v_mul_f32_e32 v15, v13, v14
	s_delay_alu instid0(VALU_DEP_1) | instskip(NEXT) | instid1(VALU_DEP_1)
	v_fma_f32 v24, -v13, v15, v13
	v_fmac_f32_e32 v15, v24, v14
	s_delay_alu instid0(VALU_DEP_1) | instskip(NEXT) | instid1(VALU_DEP_1)
	v_fma_f32 v13, -v13, v15, v13
	v_div_fmas_f32 v13, v13, v14, v15
	s_delay_alu instid0(VALU_DEP_1)
	v_div_fixup_f32 v10, v13, v10, v10
; %bb.116:                              ;   in Loop: Header=BB303_4 Depth=1
	s_or_b32 exec_lo, exec_lo, s6
	v_mov_b32_e32 v15, v9
.LBB303_117:                            ;   in Loop: Header=BB303_4 Depth=1
	s_or_b32 exec_lo, exec_lo, s23
.LBB303_118:                            ;   in Loop: Header=BB303_4 Depth=1
	s_delay_alu instid0(SALU_CYCLE_1) | instskip(NEXT) | instid1(VALU_DEP_1)
	s_or_b32 exec_lo, exec_lo, s22
	v_cmp_gt_f32_e32 vcc_lo, 0, v15
                                        ; implicit-def: $vgpr14
	s_mov_b32 s6, exec_lo
	v_cndmask_b32_e64 v9, v15, -v15, vcc_lo
	v_cmp_gt_f32_e32 vcc_lo, 0, v10
	v_cndmask_b32_e64 v24, v10, -v10, vcc_lo
	s_delay_alu instid0(VALU_DEP_1)
	v_cmpx_ge_f32_e32 v9, v24
	s_xor_b32 s7, exec_lo, s6
	s_cbranch_execz .LBB303_124
; %bb.119:                              ;   in Loop: Header=BB303_4 Depth=1
	v_cmp_neq_f32_e32 vcc_lo, 0, v15
	v_cmp_neq_f32_e64 s6, 0, v10
                                        ; implicit-def: $vgpr14
	s_delay_alu instid0(VALU_DEP_1) | instskip(NEXT) | instid1(SALU_CYCLE_1)
	s_or_b32 s6, vcc_lo, s6
	s_and_saveexec_b32 s22, s6
	s_delay_alu instid0(SALU_CYCLE_1)
	s_xor_b32 s6, exec_lo, s22
	s_cbranch_execz .LBB303_121
; %bb.120:                              ;   in Loop: Header=BB303_4 Depth=1
	v_div_scale_f32 v9, null, v15, v15, v10
	v_div_scale_f32 v24, vcc_lo, v10, v15, v10
	s_delay_alu instid0(VALU_DEP_2) | instskip(SKIP_2) | instid1(VALU_DEP_1)
	v_rcp_f32_e32 v13, v9
	s_waitcnt_depctr 0xfff
	v_fma_f32 v14, -v9, v13, 1.0
	v_fmac_f32_e32 v13, v14, v13
	s_delay_alu instid0(VALU_DEP_1) | instskip(NEXT) | instid1(VALU_DEP_1)
	v_mul_f32_e32 v14, v24, v13
	v_fma_f32 v25, -v9, v14, v24
	s_delay_alu instid0(VALU_DEP_1) | instskip(NEXT) | instid1(VALU_DEP_1)
	v_fmac_f32_e32 v14, v25, v13
	v_fma_f32 v9, -v9, v14, v24
	s_delay_alu instid0(VALU_DEP_1) | instskip(NEXT) | instid1(VALU_DEP_1)
	v_div_fmas_f32 v9, v9, v13, v14
	v_div_fixup_f32 v9, v9, v15, v10
	s_delay_alu instid0(VALU_DEP_1) | instskip(NEXT) | instid1(VALU_DEP_1)
	v_fmac_f32_e32 v15, v10, v9
	v_div_scale_f32 v10, null, v15, v15, 1.0
	v_div_scale_f32 v24, vcc_lo, 1.0, v15, 1.0
	s_delay_alu instid0(VALU_DEP_2) | instskip(SKIP_2) | instid1(VALU_DEP_1)
	v_rcp_f32_e32 v13, v10
	s_waitcnt_depctr 0xfff
	v_fma_f32 v14, -v10, v13, 1.0
	v_fmac_f32_e32 v13, v14, v13
	s_delay_alu instid0(VALU_DEP_1) | instskip(NEXT) | instid1(VALU_DEP_1)
	v_mul_f32_e32 v14, v24, v13
	v_fma_f32 v25, -v10, v14, v24
	s_delay_alu instid0(VALU_DEP_1) | instskip(NEXT) | instid1(VALU_DEP_1)
	v_fmac_f32_e32 v14, v25, v13
	v_fma_f32 v10, -v10, v14, v24
                                        ; implicit-def: $vgpr24
	s_delay_alu instid0(VALU_DEP_1) | instskip(SKIP_1) | instid1(VALU_DEP_2)
	v_div_fmas_f32 v10, v10, v13, v14
	v_fma_f32 v13, v9, 0, 1.0
	v_div_fixup_f32 v10, v10, v15, 1.0
	s_delay_alu instid0(VALU_DEP_1)
	v_mul_f32_e32 v13, v13, v10
	v_mul_f32_e64 v14, -v9, v10
                                        ; implicit-def: $vgpr9
.LBB303_121:                            ;   in Loop: Header=BB303_4 Depth=1
	s_and_not1_saveexec_b32 s22, s6
	s_cbranch_execz .LBB303_123
; %bb.122:                              ;   in Loop: Header=BB303_4 Depth=1
	v_div_scale_f32 v10, null, v9, v9, 1.0
	v_div_scale_f32 v13, null, v24, v24, 0
	v_div_scale_f32 v27, vcc_lo, 1.0, v9, 1.0
	s_delay_alu instid0(VALU_DEP_3) | instskip(NEXT) | instid1(VALU_DEP_2)
	v_rcp_f32_e32 v14, v10
	v_rcp_f32_e32 v15, v13
	s_waitcnt_depctr 0xfff
	v_fma_f32 v25, -v10, v14, 1.0
	v_fma_f32 v26, -v13, v15, 1.0
	s_delay_alu instid0(VALU_DEP_1) | instskip(SKIP_1) | instid1(VALU_DEP_2)
	v_dual_fmac_f32 v14, v25, v14 :: v_dual_fmac_f32 v15, v26, v15
	v_div_scale_f32 v25, s6, 0, v24, 0
	v_mul_f32_e32 v26, v27, v14
	s_delay_alu instid0(VALU_DEP_2) | instskip(NEXT) | instid1(VALU_DEP_2)
	v_mul_f32_e32 v28, v25, v15
	v_fma_f32 v29, -v10, v26, v27
	s_delay_alu instid0(VALU_DEP_2) | instskip(NEXT) | instid1(VALU_DEP_2)
	v_fma_f32 v30, -v13, v28, v25
	v_fmac_f32_e32 v26, v29, v14
	s_delay_alu instid0(VALU_DEP_2) | instskip(NEXT) | instid1(VALU_DEP_2)
	v_fmac_f32_e32 v28, v30, v15
	v_fma_f32 v10, -v10, v26, v27
	s_delay_alu instid0(VALU_DEP_2) | instskip(NEXT) | instid1(VALU_DEP_2)
	v_fma_f32 v13, -v13, v28, v25
	v_div_fmas_f32 v10, v10, v14, v26
	s_mov_b32 vcc_lo, s6
	s_delay_alu instid0(VALU_DEP_2) | instskip(NEXT) | instid1(VALU_DEP_2)
	v_div_fmas_f32 v14, v13, v15, v28
	v_div_fixup_f32 v13, v10, v9, 1.0
	s_delay_alu instid0(VALU_DEP_2)
	v_div_fixup_f32 v14, v14, v24, 0
.LBB303_123:                            ;   in Loop: Header=BB303_4 Depth=1
	s_or_b32 exec_lo, exec_lo, s22
                                        ; implicit-def: $vgpr10
                                        ; implicit-def: $vgpr15
.LBB303_124:                            ;   in Loop: Header=BB303_4 Depth=1
	s_and_not1_saveexec_b32 s6, s7
	s_cbranch_execz .LBB303_126
; %bb.125:                              ;   in Loop: Header=BB303_4 Depth=1
	v_div_scale_f32 v9, null, v10, v10, v15
	v_div_scale_f32 v24, vcc_lo, v15, v10, v15
	s_delay_alu instid0(VALU_DEP_2) | instskip(SKIP_2) | instid1(VALU_DEP_1)
	v_rcp_f32_e32 v13, v9
	s_waitcnt_depctr 0xfff
	v_fma_f32 v14, -v9, v13, 1.0
	v_fmac_f32_e32 v13, v14, v13
	s_delay_alu instid0(VALU_DEP_1) | instskip(NEXT) | instid1(VALU_DEP_1)
	v_mul_f32_e32 v14, v24, v13
	v_fma_f32 v25, -v9, v14, v24
	s_delay_alu instid0(VALU_DEP_1) | instskip(NEXT) | instid1(VALU_DEP_1)
	v_fmac_f32_e32 v14, v25, v13
	v_fma_f32 v9, -v9, v14, v24
	s_delay_alu instid0(VALU_DEP_1) | instskip(NEXT) | instid1(VALU_DEP_1)
	v_div_fmas_f32 v9, v9, v13, v14
	v_div_fixup_f32 v9, v9, v10, v15
	s_delay_alu instid0(VALU_DEP_1) | instskip(NEXT) | instid1(VALU_DEP_1)
	v_fmac_f32_e32 v10, v15, v9
	v_div_scale_f32 v13, null, v10, v10, 1.0
	v_div_scale_f32 v24, vcc_lo, 1.0, v10, 1.0
	s_delay_alu instid0(VALU_DEP_2) | instskip(SKIP_2) | instid1(VALU_DEP_1)
	v_rcp_f32_e32 v14, v13
	s_waitcnt_depctr 0xfff
	v_fma_f32 v15, -v13, v14, 1.0
	v_fmac_f32_e32 v14, v15, v14
	s_delay_alu instid0(VALU_DEP_1) | instskip(NEXT) | instid1(VALU_DEP_1)
	v_mul_f32_e32 v15, v24, v14
	v_fma_f32 v25, -v13, v15, v24
	s_delay_alu instid0(VALU_DEP_1) | instskip(NEXT) | instid1(VALU_DEP_1)
	v_fmac_f32_e32 v15, v25, v14
	v_fma_f32 v13, -v13, v15, v24
	s_delay_alu instid0(VALU_DEP_1) | instskip(SKIP_2) | instid1(VALU_DEP_3)
	v_div_fmas_f32 v13, v13, v14, v15
	v_add_f32_e32 v14, 0, v9
	v_fma_f32 v9, v9, 0, -1.0
	v_div_fixup_f32 v10, v13, v10, 1.0
	s_delay_alu instid0(VALU_DEP_1) | instskip(NEXT) | instid1(VALU_DEP_3)
	v_mul_f32_e32 v13, v14, v10
	v_mul_f32_e32 v14, v9, v10
.LBB303_126:                            ;   in Loop: Header=BB303_4 Depth=1
	s_or_b32 exec_lo, exec_lo, s6
	v_cmp_neq_f32_e32 vcc_lo, 0, v5
	v_cmp_neq_f32_e64 s6, 0, v6
	v_mov_b32_e32 v15, 0
	s_delay_alu instid0(VALU_DEP_2) | instskip(NEXT) | instid1(SALU_CYCLE_1)
	s_or_b32 s6, vcc_lo, s6
	s_and_saveexec_b32 s22, s6
	s_cbranch_execz .LBB303_156
; %bb.127:                              ;   in Loop: Header=BB303_4 Depth=1
	v_mov_b32_e32 v15, 0x7f800000
	s_mov_b32 s23, exec_lo
	v_cmpx_neq_f32_e64 0x7f800000, |v6|
	s_cbranch_execz .LBB303_155
; %bb.128:                              ;   in Loop: Header=BB303_4 Depth=1
	s_mov_b32 s6, exec_lo
	v_cmpx_o_f32_e32 v5, v5
	s_xor_b32 s24, exec_lo, s6
	s_cbranch_execz .LBB303_152
; %bb.129:                              ;   in Loop: Header=BB303_4 Depth=1
	s_mov_b32 s7, exec_lo
	v_cmpx_neq_f32_e64 0x7f800000, |v5|
	s_xor_b32 s25, exec_lo, s7
	s_cbranch_execz .LBB303_145
; %bb.130:                              ;   in Loop: Header=BB303_4 Depth=1
	v_max_f32_e64 v9, |v5|, |v5|
	v_max_f32_e64 v10, |v6|, |v6|
                                        ; implicit-def: $sgpr26
	s_delay_alu instid0(VALU_DEP_1) | instskip(NEXT) | instid1(VALU_DEP_1)
	v_max_f32_e32 v9, v10, v9
	v_cmp_nle_f32_e64 s6, 0x7ed413cb, v9
	s_delay_alu instid0(VALU_DEP_1) | instskip(NEXT) | instid1(SALU_CYCLE_1)
	s_and_saveexec_b32 s7, s6
	s_xor_b32 s7, exec_lo, s7
	s_cbranch_execz .LBB303_134
; %bb.131:                              ;   in Loop: Header=BB303_4 Depth=1
	v_cmp_ge_f32_e64 s26, 0x1000000, |v5|
	v_cmp_ge_f32_e64 s27, 0x1000000, |v6|
	s_delay_alu instid0(VALU_DEP_1)
	s_and_b32 s28, s27, s26
	s_mov_b32 s26, 0
	s_and_saveexec_b32 s27, s28
; %bb.132:                              ;   in Loop: Header=BB303_4 Depth=1
	v_dual_mul_f32 v5, 4.0, v5 :: v_dual_mul_f32 v6, 4.0, v6
	s_mov_b32 s26, exec_lo
; %bb.133:                              ;   in Loop: Header=BB303_4 Depth=1
	s_or_b32 exec_lo, exec_lo, s27
	s_delay_alu instid0(SALU_CYCLE_1)
	s_and_b32 s26, s26, exec_lo
.LBB303_134:                            ;   in Loop: Header=BB303_4 Depth=1
	s_and_not1_saveexec_b32 s7, s7
; %bb.135:                              ;   in Loop: Header=BB303_4 Depth=1
	v_dual_mul_f32 v5, 0x3e800000, v5 :: v_dual_mul_f32 v6, 0x3e800000, v6
	s_and_not1_b32 s26, s26, exec_lo
; %bb.136:                              ;   in Loop: Header=BB303_4 Depth=1
	s_or_b32 exec_lo, exec_lo, s7
	s_delay_alu instid0(VALU_DEP_1) | instskip(NEXT) | instid1(VALU_DEP_2)
	v_max_f32_e64 v9, |v6|, |v6|
	v_max_f32_e64 v10, |v5|, |v5|
	s_delay_alu instid0(VALU_DEP_1) | instskip(NEXT) | instid1(VALU_DEP_1)
	v_max_f32_e32 v15, v10, v9
	v_cvt_f64_f32_e32 v[9:10], v15
	s_delay_alu instid0(VALU_DEP_1) | instskip(NEXT) | instid1(VALU_DEP_1)
	v_frexp_exp_i32_f64_e32 v9, v[9:10]
	v_sub_nc_u32_e32 v10, 0, v9
	s_delay_alu instid0(VALU_DEP_1) | instskip(SKIP_1) | instid1(VALU_DEP_2)
	v_ldexp_f32 v24, |v6|, v10
	v_ldexp_f32 v10, |v5|, v10
	v_mul_f32_e32 v24, v24, v24
	v_cmp_neq_f32_e64 s7, 0x7f800000, v15
	s_delay_alu instid0(VALU_DEP_2) | instskip(NEXT) | instid1(VALU_DEP_1)
	v_fmac_f32_e32 v24, v10, v10
	v_sqrt_f32_e32 v10, v24
	s_waitcnt_depctr 0xfff
	v_ldexp_f32 v9, v10, v9
                                        ; implicit-def: $vgpr10
	s_delay_alu instid0(VALU_DEP_1)
	v_cndmask_b32_e64 v15, 0x7f800000, v9, s7
                                        ; implicit-def: $vgpr9
	s_mov_b32 s7, exec_lo
	v_cmpx_le_f32_e32 0, v5
	s_xor_b32 s27, exec_lo, s7
	s_cbranch_execz .LBB303_138
; %bb.137:                              ;   in Loop: Header=BB303_4 Depth=1
	v_add_f32_e32 v5, v5, v15
	s_delay_alu instid0(VALU_DEP_1) | instskip(NEXT) | instid1(VALU_DEP_1)
	v_mul_f32_e32 v5, 0.5, v5
	v_mul_f32_e32 v9, 0x4f800000, v5
	v_cmp_gt_f32_e32 vcc_lo, 0xf800000, v5
	s_delay_alu instid0(VALU_DEP_2) | instskip(NEXT) | instid1(VALU_DEP_1)
	v_cndmask_b32_e32 v5, v5, v9, vcc_lo
	v_sqrt_f32_e32 v9, v5
	s_waitcnt_depctr 0xfff
	v_add_nc_u32_e32 v10, -1, v9
	v_add_nc_u32_e32 v15, 1, v9
	s_delay_alu instid0(VALU_DEP_2) | instskip(NEXT) | instid1(VALU_DEP_2)
	v_fma_f32 v24, -v10, v9, v5
	v_fma_f32 v25, -v15, v9, v5
	s_delay_alu instid0(VALU_DEP_2) | instskip(NEXT) | instid1(VALU_DEP_1)
	v_cmp_ge_f32_e64 s7, 0, v24
	v_cndmask_b32_e64 v9, v9, v10, s7
	s_delay_alu instid0(VALU_DEP_3) | instskip(NEXT) | instid1(VALU_DEP_1)
	v_cmp_lt_f32_e64 s7, 0, v25
	v_cndmask_b32_e64 v9, v9, v15, s7
	s_delay_alu instid0(VALU_DEP_1) | instskip(NEXT) | instid1(VALU_DEP_1)
	v_mul_f32_e32 v10, 0x37800000, v9
	v_cndmask_b32_e32 v9, v9, v10, vcc_lo
	v_cmp_class_f32_e64 vcc_lo, v5, 0x260
	s_delay_alu instid0(VALU_DEP_2) | instskip(NEXT) | instid1(VALU_DEP_1)
	v_cndmask_b32_e32 v9, v9, v5, vcc_lo
	v_add_f32_e32 v5, v9, v9
	s_delay_alu instid0(VALU_DEP_1) | instskip(NEXT) | instid1(VALU_DEP_1)
	v_div_scale_f32 v10, null, v5, v5, v6
	v_rcp_f32_e32 v15, v10
	s_waitcnt_depctr 0xfff
	v_fma_f32 v24, -v10, v15, 1.0
	s_delay_alu instid0(VALU_DEP_1) | instskip(SKIP_1) | instid1(VALU_DEP_1)
	v_fmac_f32_e32 v15, v24, v15
	v_div_scale_f32 v24, vcc_lo, v6, v5, v6
	v_mul_f32_e32 v25, v24, v15
	s_delay_alu instid0(VALU_DEP_1) | instskip(NEXT) | instid1(VALU_DEP_1)
	v_fma_f32 v26, -v10, v25, v24
	v_fmac_f32_e32 v25, v26, v15
	s_delay_alu instid0(VALU_DEP_1) | instskip(NEXT) | instid1(VALU_DEP_1)
	v_fma_f32 v10, -v10, v25, v24
	v_div_fmas_f32 v10, v10, v15, v25
                                        ; implicit-def: $vgpr15
	s_delay_alu instid0(VALU_DEP_1)
	v_div_fixup_f32 v10, v10, v5, v6
                                        ; implicit-def: $vgpr5
	s_and_not1_saveexec_b32 s27, s27
	s_cbranch_execz .LBB303_140
	s_branch .LBB303_139
.LBB303_138:                            ;   in Loop: Header=BB303_4 Depth=1
	s_and_not1_saveexec_b32 s27, s27
	s_cbranch_execz .LBB303_140
.LBB303_139:                            ;   in Loop: Header=BB303_4 Depth=1
	v_sub_f32_e32 v5, v15, v5
	s_delay_alu instid0(VALU_DEP_1) | instskip(NEXT) | instid1(VALU_DEP_1)
	v_mul_f32_e32 v5, 0.5, v5
	v_mul_f32_e32 v9, 0x4f800000, v5
	v_cmp_gt_f32_e32 vcc_lo, 0xf800000, v5
	s_delay_alu instid0(VALU_DEP_2) | instskip(NEXT) | instid1(VALU_DEP_1)
	v_cndmask_b32_e32 v5, v5, v9, vcc_lo
	v_sqrt_f32_e32 v9, v5
	s_waitcnt_depctr 0xfff
	v_add_nc_u32_e32 v10, -1, v9
	v_add_nc_u32_e32 v15, 1, v9
	s_delay_alu instid0(VALU_DEP_2) | instskip(NEXT) | instid1(VALU_DEP_2)
	v_fma_f32 v24, -v10, v9, v5
	v_fma_f32 v25, -v15, v9, v5
	s_delay_alu instid0(VALU_DEP_2) | instskip(NEXT) | instid1(VALU_DEP_1)
	v_cmp_ge_f32_e64 s7, 0, v24
	v_cndmask_b32_e64 v9, v9, v10, s7
	s_delay_alu instid0(VALU_DEP_3) | instskip(NEXT) | instid1(VALU_DEP_1)
	v_cmp_lt_f32_e64 s7, 0, v25
	v_cndmask_b32_e64 v9, v9, v15, s7
	s_delay_alu instid0(VALU_DEP_1) | instskip(NEXT) | instid1(VALU_DEP_1)
	v_mul_f32_e32 v10, 0x37800000, v9
	v_cndmask_b32_e32 v9, v9, v10, vcc_lo
	v_cmp_class_f32_e64 vcc_lo, v5, 0x260
	s_delay_alu instid0(VALU_DEP_2) | instskip(NEXT) | instid1(VALU_DEP_1)
	v_cndmask_b32_e32 v5, v9, v5, vcc_lo
	v_dual_add_f32 v10, v5, v5 :: v_dual_and_b32 v9, 0x7fffffff, v6
	s_delay_alu instid0(VALU_DEP_1) | instskip(SKIP_1) | instid1(VALU_DEP_2)
	v_div_scale_f32 v15, null, v10, v10, v9
	v_div_scale_f32 v9, vcc_lo, v9, v10, v9
	v_rcp_f32_e32 v24, v15
	s_waitcnt_depctr 0xfff
	v_fma_f32 v25, -v15, v24, 1.0
	s_delay_alu instid0(VALU_DEP_1) | instskip(NEXT) | instid1(VALU_DEP_1)
	v_fmac_f32_e32 v24, v25, v24
	v_mul_f32_e32 v25, v9, v24
	s_delay_alu instid0(VALU_DEP_1) | instskip(NEXT) | instid1(VALU_DEP_1)
	v_fma_f32 v26, -v15, v25, v9
	v_fmac_f32_e32 v25, v26, v24
	s_delay_alu instid0(VALU_DEP_1) | instskip(NEXT) | instid1(VALU_DEP_1)
	v_fma_f32 v9, -v15, v25, v9
	v_div_fmas_f32 v9, v9, v24, v25
	s_delay_alu instid0(VALU_DEP_1)
	v_div_fixup_f32 v9, v9, v10, |v6|
	v_bfi_b32 v10, 0x7fffffff, v5, v6
.LBB303_140:                            ;   in Loop: Header=BB303_4 Depth=1
	s_or_b32 exec_lo, exec_lo, s27
                                        ; implicit-def: $vgpr6
	s_and_saveexec_b32 s7, s6
	s_delay_alu instid0(SALU_CYCLE_1)
	s_xor_b32 s6, exec_lo, s7
	s_cbranch_execz .LBB303_142
; %bb.141:                              ;   in Loop: Header=BB303_4 Depth=1
	v_dual_mul_f32 v5, 0.5, v9 :: v_dual_mul_f32 v6, 0.5, v10
	s_delay_alu instid0(VALU_DEP_1) | instskip(NEXT) | instid1(VALU_DEP_2)
	v_cndmask_b32_e64 v5, v9, v5, s26
	v_cndmask_b32_e64 v6, v10, v6, s26
                                        ; implicit-def: $vgpr9
                                        ; implicit-def: $vgpr10
	s_and_not1_saveexec_b32 s6, s6
	s_cbranch_execnz .LBB303_143
	s_branch .LBB303_144
.LBB303_142:                            ;   in Loop: Header=BB303_4 Depth=1
	s_and_not1_saveexec_b32 s6, s6
.LBB303_143:                            ;   in Loop: Header=BB303_4 Depth=1
	v_dual_add_f32 v5, v9, v9 :: v_dual_add_f32 v6, v10, v10
.LBB303_144:                            ;   in Loop: Header=BB303_4 Depth=1
	s_or_b32 exec_lo, exec_lo, s6
.LBB303_145:                            ;   in Loop: Header=BB303_4 Depth=1
	s_and_not1_saveexec_b32 s6, s25
	s_cbranch_execz .LBB303_151
; %bb.146:                              ;   in Loop: Header=BB303_4 Depth=1
	s_delay_alu instid0(VALU_DEP_1)
	v_sub_f32_e32 v9, v6, v6
	s_mov_b32 s7, exec_lo
	v_cmpx_lt_i32_e32 -1, v5
	s_xor_b32 s7, exec_lo, s7
; %bb.147:                              ;   in Loop: Header=BB303_4 Depth=1
	s_delay_alu instid0(VALU_DEP_2)
	v_bfi_b32 v6, 0x7fffffff, v9, v6
                                        ; implicit-def: $vgpr9
; %bb.148:                              ;   in Loop: Header=BB303_4 Depth=1
	s_and_not1_saveexec_b32 s7, s7
; %bb.149:                              ;   in Loop: Header=BB303_4 Depth=1
	v_and_b32_e32 v9, 0x7fffffff, v9
	s_delay_alu instid0(VALU_DEP_2) | instskip(NEXT) | instid1(VALU_DEP_2)
	v_bfi_b32 v6, 0x7fffffff, v5, v6
	v_mov_b32_e32 v5, v9
; %bb.150:                              ;   in Loop: Header=BB303_4 Depth=1
	s_or_b32 exec_lo, exec_lo, s7
.LBB303_151:                            ;   in Loop: Header=BB303_4 Depth=1
	s_delay_alu instid0(SALU_CYCLE_1)
	s_or_b32 exec_lo, exec_lo, s6
.LBB303_152:                            ;   in Loop: Header=BB303_4 Depth=1
	s_and_not1_saveexec_b32 s6, s24
; %bb.153:                              ;   in Loop: Header=BB303_4 Depth=1
	v_sub_f32_e32 v6, v6, v6
	s_delay_alu instid0(VALU_DEP_1) | instskip(NEXT) | instid1(VALU_DEP_1)
	v_div_scale_f32 v9, vcc_lo, v6, v6, v6
	v_rcp_f32_e32 v10, v9
	s_waitcnt_depctr 0xfff
	v_fma_f32 v15, -v9, v10, 1.0
	s_delay_alu instid0(VALU_DEP_1) | instskip(NEXT) | instid1(VALU_DEP_1)
	v_fmac_f32_e32 v10, v15, v10
	v_mul_f32_e32 v15, v9, v10
	s_delay_alu instid0(VALU_DEP_1) | instskip(NEXT) | instid1(VALU_DEP_1)
	v_fma_f32 v24, -v9, v15, v9
	v_fmac_f32_e32 v15, v24, v10
	s_delay_alu instid0(VALU_DEP_1) | instskip(NEXT) | instid1(VALU_DEP_1)
	v_fma_f32 v9, -v9, v15, v9
	v_div_fmas_f32 v9, v9, v10, v15
	s_delay_alu instid0(VALU_DEP_1)
	v_div_fixup_f32 v6, v9, v6, v6
; %bb.154:                              ;   in Loop: Header=BB303_4 Depth=1
	s_or_b32 exec_lo, exec_lo, s6
	v_mov_b32_e32 v15, v5
.LBB303_155:                            ;   in Loop: Header=BB303_4 Depth=1
	s_or_b32 exec_lo, exec_lo, s23
.LBB303_156:                            ;   in Loop: Header=BB303_4 Depth=1
	s_delay_alu instid0(SALU_CYCLE_1) | instskip(NEXT) | instid1(VALU_DEP_1)
	s_or_b32 exec_lo, exec_lo, s22
	v_cmp_gt_f32_e32 vcc_lo, 0, v15
                                        ; implicit-def: $vgpr10
	s_mov_b32 s6, exec_lo
	v_cndmask_b32_e64 v5, v15, -v15, vcc_lo
	v_cmp_gt_f32_e32 vcc_lo, 0, v6
	v_cndmask_b32_e64 v24, v6, -v6, vcc_lo
	s_delay_alu instid0(VALU_DEP_1)
	v_cmpx_ge_f32_e32 v5, v24
	s_xor_b32 s7, exec_lo, s6
	s_cbranch_execz .LBB303_166
; %bb.157:                              ;   in Loop: Header=BB303_4 Depth=1
	v_cmp_neq_f32_e32 vcc_lo, 0, v15
	v_cmp_neq_f32_e64 s6, 0, v6
                                        ; implicit-def: $vgpr10
	s_delay_alu instid0(VALU_DEP_1) | instskip(NEXT) | instid1(SALU_CYCLE_1)
	s_or_b32 s6, vcc_lo, s6
	s_and_saveexec_b32 s22, s6
	s_delay_alu instid0(SALU_CYCLE_1)
	s_xor_b32 s6, exec_lo, s22
	s_cbranch_execz .LBB303_159
; %bb.158:                              ;   in Loop: Header=BB303_4 Depth=1
	v_div_scale_f32 v5, null, v15, v15, v6
	v_div_scale_f32 v24, vcc_lo, v6, v15, v6
	s_delay_alu instid0(VALU_DEP_2) | instskip(SKIP_2) | instid1(VALU_DEP_1)
	v_rcp_f32_e32 v9, v5
	s_waitcnt_depctr 0xfff
	v_fma_f32 v10, -v5, v9, 1.0
	v_fmac_f32_e32 v9, v10, v9
	s_delay_alu instid0(VALU_DEP_1) | instskip(NEXT) | instid1(VALU_DEP_1)
	v_mul_f32_e32 v10, v24, v9
	v_fma_f32 v25, -v5, v10, v24
	s_delay_alu instid0(VALU_DEP_1) | instskip(NEXT) | instid1(VALU_DEP_1)
	v_fmac_f32_e32 v10, v25, v9
	v_fma_f32 v5, -v5, v10, v24
	s_delay_alu instid0(VALU_DEP_1) | instskip(NEXT) | instid1(VALU_DEP_1)
	v_div_fmas_f32 v5, v5, v9, v10
	v_div_fixup_f32 v5, v5, v15, v6
	s_delay_alu instid0(VALU_DEP_1) | instskip(NEXT) | instid1(VALU_DEP_1)
	v_fmac_f32_e32 v15, v6, v5
	v_div_scale_f32 v6, null, v15, v15, 1.0
	v_div_scale_f32 v24, vcc_lo, 1.0, v15, 1.0
	s_delay_alu instid0(VALU_DEP_2) | instskip(SKIP_2) | instid1(VALU_DEP_1)
	v_rcp_f32_e32 v9, v6
	s_waitcnt_depctr 0xfff
	v_fma_f32 v10, -v6, v9, 1.0
	v_fmac_f32_e32 v9, v10, v9
	s_delay_alu instid0(VALU_DEP_1) | instskip(NEXT) | instid1(VALU_DEP_1)
	v_mul_f32_e32 v10, v24, v9
	v_fma_f32 v25, -v6, v10, v24
	s_delay_alu instid0(VALU_DEP_1) | instskip(NEXT) | instid1(VALU_DEP_1)
	v_fmac_f32_e32 v10, v25, v9
	v_fma_f32 v6, -v6, v10, v24
                                        ; implicit-def: $vgpr24
	s_delay_alu instid0(VALU_DEP_1) | instskip(SKIP_1) | instid1(VALU_DEP_2)
	v_div_fmas_f32 v6, v6, v9, v10
	v_fma_f32 v9, v5, 0, 1.0
	v_div_fixup_f32 v6, v6, v15, 1.0
	s_delay_alu instid0(VALU_DEP_1)
	v_mul_f32_e32 v9, v9, v6
	v_mul_f32_e64 v10, -v5, v6
                                        ; implicit-def: $vgpr5
.LBB303_159:                            ;   in Loop: Header=BB303_4 Depth=1
	s_and_not1_saveexec_b32 s22, s6
	s_cbranch_execz .LBB303_161
; %bb.160:                              ;   in Loop: Header=BB303_4 Depth=1
	v_div_scale_f32 v6, null, v5, v5, 1.0
	v_div_scale_f32 v9, null, v24, v24, 0
	v_div_scale_f32 v27, vcc_lo, 1.0, v5, 1.0
	s_delay_alu instid0(VALU_DEP_3) | instskip(NEXT) | instid1(VALU_DEP_2)
	v_rcp_f32_e32 v10, v6
	v_rcp_f32_e32 v15, v9
	s_waitcnt_depctr 0xfff
	v_fma_f32 v25, -v6, v10, 1.0
	v_fma_f32 v26, -v9, v15, 1.0
	s_delay_alu instid0(VALU_DEP_1) | instskip(SKIP_1) | instid1(VALU_DEP_2)
	v_dual_fmac_f32 v10, v25, v10 :: v_dual_fmac_f32 v15, v26, v15
	v_div_scale_f32 v25, s6, 0, v24, 0
	v_mul_f32_e32 v26, v27, v10
	s_delay_alu instid0(VALU_DEP_2) | instskip(NEXT) | instid1(VALU_DEP_2)
	v_mul_f32_e32 v28, v25, v15
	v_fma_f32 v29, -v6, v26, v27
	s_delay_alu instid0(VALU_DEP_2) | instskip(NEXT) | instid1(VALU_DEP_2)
	v_fma_f32 v30, -v9, v28, v25
	v_fmac_f32_e32 v26, v29, v10
	s_delay_alu instid0(VALU_DEP_2) | instskip(NEXT) | instid1(VALU_DEP_2)
	v_fmac_f32_e32 v28, v30, v15
	v_fma_f32 v6, -v6, v26, v27
	s_delay_alu instid0(VALU_DEP_2) | instskip(NEXT) | instid1(VALU_DEP_2)
	v_fma_f32 v9, -v9, v28, v25
	v_div_fmas_f32 v6, v6, v10, v26
	s_mov_b32 vcc_lo, s6
	s_delay_alu instid0(VALU_DEP_2) | instskip(NEXT) | instid1(VALU_DEP_2)
	v_div_fmas_f32 v10, v9, v15, v28
	v_div_fixup_f32 v9, v6, v5, 1.0
	s_delay_alu instid0(VALU_DEP_2)
	v_div_fixup_f32 v10, v10, v24, 0
.LBB303_161:                            ;   in Loop: Header=BB303_4 Depth=1
	s_or_b32 exec_lo, exec_lo, s22
                                        ; implicit-def: $vgpr6
                                        ; implicit-def: $vgpr15
	s_and_not1_saveexec_b32 s6, s7
	s_cbranch_execnz .LBB303_167
.LBB303_162:                            ;   in Loop: Header=BB303_4 Depth=1
	s_or_b32 exec_lo, exec_lo, s6
	s_and_saveexec_b32 s6, s2
	s_delay_alu instid0(SALU_CYCLE_1)
	s_xor_b32 s2, exec_lo, s6
	s_cbranch_execz .LBB303_168
.LBB303_163:                            ;   in Loop: Header=BB303_4 Depth=1
	v_add_co_u32 v5, s6, s18, v1
	s_delay_alu instid0(VALU_DEP_1)
	v_add_co_ci_u32_e64 v6, null, s19, 0, s6
	global_store_b64 v[5:6], v[7:8], off
	s_or_b32 exec_lo, exec_lo, s2
	s_and_saveexec_b32 s2, s3
	s_cbranch_execnz .LBB303_169
.LBB303_164:                            ;   in Loop: Header=BB303_4 Depth=1
	s_or_b32 exec_lo, exec_lo, s2
	s_and_saveexec_b32 s2, s4
	s_cbranch_execz .LBB303_170
.LBB303_165:                            ;   in Loop: Header=BB303_4 Depth=1
	v_add_co_u32 v5, vcc_lo, s18, v21
	v_add_co_ci_u32_e32 v6, vcc_lo, s19, v19, vcc_lo
	global_store_b64 v[5:6], v[13:14], off offset:-4
	s_or_b32 exec_lo, exec_lo, s2
	s_and_saveexec_b32 s2, s5
	s_cbranch_execz .LBB303_3
	s_branch .LBB303_171
.LBB303_166:                            ;   in Loop: Header=BB303_4 Depth=1
	s_and_not1_saveexec_b32 s6, s7
	s_cbranch_execz .LBB303_162
.LBB303_167:                            ;   in Loop: Header=BB303_4 Depth=1
	v_div_scale_f32 v5, null, v6, v6, v15
	v_div_scale_f32 v24, vcc_lo, v15, v6, v15
	s_delay_alu instid0(VALU_DEP_2) | instskip(SKIP_2) | instid1(VALU_DEP_1)
	v_rcp_f32_e32 v9, v5
	s_waitcnt_depctr 0xfff
	v_fma_f32 v10, -v5, v9, 1.0
	v_fmac_f32_e32 v9, v10, v9
	s_delay_alu instid0(VALU_DEP_1) | instskip(NEXT) | instid1(VALU_DEP_1)
	v_mul_f32_e32 v10, v24, v9
	v_fma_f32 v25, -v5, v10, v24
	s_delay_alu instid0(VALU_DEP_1) | instskip(NEXT) | instid1(VALU_DEP_1)
	v_fmac_f32_e32 v10, v25, v9
	v_fma_f32 v5, -v5, v10, v24
	s_delay_alu instid0(VALU_DEP_1) | instskip(NEXT) | instid1(VALU_DEP_1)
	v_div_fmas_f32 v5, v5, v9, v10
	v_div_fixup_f32 v5, v5, v6, v15
	s_delay_alu instid0(VALU_DEP_1) | instskip(NEXT) | instid1(VALU_DEP_1)
	v_fmac_f32_e32 v6, v15, v5
	v_div_scale_f32 v9, null, v6, v6, 1.0
	v_div_scale_f32 v24, vcc_lo, 1.0, v6, 1.0
	s_delay_alu instid0(VALU_DEP_2) | instskip(SKIP_2) | instid1(VALU_DEP_1)
	v_rcp_f32_e32 v10, v9
	s_waitcnt_depctr 0xfff
	v_fma_f32 v15, -v9, v10, 1.0
	v_fmac_f32_e32 v10, v15, v10
	s_delay_alu instid0(VALU_DEP_1) | instskip(NEXT) | instid1(VALU_DEP_1)
	v_mul_f32_e32 v15, v24, v10
	v_fma_f32 v25, -v9, v15, v24
	s_delay_alu instid0(VALU_DEP_1) | instskip(NEXT) | instid1(VALU_DEP_1)
	v_fmac_f32_e32 v15, v25, v10
	v_fma_f32 v9, -v9, v15, v24
	s_delay_alu instid0(VALU_DEP_1) | instskip(SKIP_2) | instid1(VALU_DEP_3)
	v_div_fmas_f32 v9, v9, v10, v15
	v_add_f32_e32 v10, 0, v5
	v_fma_f32 v5, v5, 0, -1.0
	v_div_fixup_f32 v6, v9, v6, 1.0
	s_delay_alu instid0(VALU_DEP_1) | instskip(NEXT) | instid1(VALU_DEP_3)
	v_mul_f32_e32 v9, v10, v6
	v_mul_f32_e32 v10, v5, v6
	s_or_b32 exec_lo, exec_lo, s6
	s_and_saveexec_b32 s6, s2
	s_delay_alu instid0(SALU_CYCLE_1)
	s_xor_b32 s2, exec_lo, s6
	s_cbranch_execnz .LBB303_163
.LBB303_168:                            ;   in Loop: Header=BB303_4 Depth=1
	s_or_b32 exec_lo, exec_lo, s2
	s_and_saveexec_b32 s2, s3
	s_cbranch_execz .LBB303_164
.LBB303_169:                            ;   in Loop: Header=BB303_4 Depth=1
	v_add_co_u32 v5, s3, s18, v20
	s_delay_alu instid0(VALU_DEP_1)
	v_add_co_ci_u32_e64 v6, null, s19, 0, s3
	global_store_b64 v[5:6], v[11:12], off
	s_or_b32 exec_lo, exec_lo, s2
	s_and_saveexec_b32 s2, s4
	s_cbranch_execnz .LBB303_165
.LBB303_170:                            ;   in Loop: Header=BB303_4 Depth=1
	s_or_b32 exec_lo, exec_lo, s2
	s_and_saveexec_b32 s2, s5
	s_cbranch_execz .LBB303_3
.LBB303_171:                            ;   in Loop: Header=BB303_4 Depth=1
	v_add_co_u32 v5, vcc_lo, s18, v3
	v_add_co_ci_u32_e32 v6, vcc_lo, s19, v4, vcc_lo
	global_store_b64 v[5:6], v[9:10], off offset:-4
	s_branch .LBB303_3
.LBB303_172:
	s_cbranch_execz .LBB303_174
	s_branch .LBB303_329
.LBB303_173:
.LBB303_174:
	v_dual_mov_b32 v13, 0 :: v_dual_lshlrev_b32 v12, 2, v0
	s_mov_b32 s2, 0
	s_mov_b32 s3, exec_lo
	s_delay_alu instid0(VALU_DEP_1)
	v_cmpx_gt_i64_e64 s[8:9], v[12:13]
	s_cbranch_execz .LBB303_329
; %bb.175:
	s_load_b32 s0, s[0:1], 0xd3c
	v_lshlrev_b32_e32 v1, 5, v0
	s_waitcnt lgkmcnt(0)
	s_and_b32 s0, s0, 0xffff
	s_delay_alu instid0(SALU_CYCLE_1)
	s_lshl_b32 s3, s0, 2
	s_add_u32 s1, s10, s12
	s_addc_u32 s4, s11, s13
	v_add_co_u32 v14, s1, s1, v1
	v_add_lshl_u32 v12, v0, s0, 2
	v_add_co_ci_u32_e64 v15, null, s4, 0, s1
	s_lshl_b32 s4, s0, 5
	s_branch .LBB303_177
.LBB303_176:                            ;   in Loop: Header=BB303_177 Depth=1
	s_or_b32 exec_lo, exec_lo, s0
	v_cmp_le_i64_e32 vcc_lo, s[8:9], v[12:13]
	v_cmp_lt_u64_e64 s0, 0xffff, v[12:13]
	s_clause 0x1
	global_store_b128 v[14:15], v[4:7], off
	global_store_b128 v[14:15], v[8:11], off offset:16
	s_or_b32 s0, vcc_lo, s0
	v_add_co_u32 v12, vcc_lo, v12, s3
	v_add_co_ci_u32_e32 v13, vcc_lo, 0, v13, vcc_lo
	v_add_co_u32 v14, vcc_lo, v14, s4
	v_add_co_ci_u32_e32 v15, vcc_lo, 0, v15, vcc_lo
	s_and_b32 s0, exec_lo, s0
	s_delay_alu instid0(SALU_CYCLE_1) | instskip(NEXT) | instid1(SALU_CYCLE_1)
	s_or_b32 s2, s0, s2
	s_and_not1_b32 exec_lo, exec_lo, s2
	s_cbranch_execz .LBB303_329
.LBB303_177:                            ; =>This Inner Loop Header: Depth=1
	s_clause 0x1
	global_load_b128 v[5:8], v[14:15], off
	global_load_b128 v[0:3], v[14:15], off offset:16
	s_waitcnt vmcnt(1)
	v_dual_mov_b32 v10, 0 :: v_dual_mov_b32 v9, v6
	v_cmp_neq_f32_e32 vcc_lo, 0, v5
	v_cmp_neq_f32_e64 s0, 0, v6
	s_delay_alu instid0(VALU_DEP_1) | instskip(NEXT) | instid1(SALU_CYCLE_1)
	s_or_b32 s0, vcc_lo, s0
	s_and_saveexec_b32 s5, s0
	s_cbranch_execz .LBB303_206
; %bb.178:                              ;   in Loop: Header=BB303_177 Depth=1
	v_dual_mov_b32 v10, 0x7f800000 :: v_dual_mov_b32 v9, v6
	s_mov_b32 s6, exec_lo
	v_cmpx_neq_f32_e64 0x7f800000, |v6|
	s_cbranch_execz .LBB303_205
; %bb.179:                              ;   in Loop: Header=BB303_177 Depth=1
                                        ; implicit-def: $vgpr9
                                        ; implicit-def: $vgpr10
	s_mov_b32 s0, exec_lo
	v_cmpx_o_f32_e32 v5, v5
	s_xor_b32 s7, exec_lo, s0
	s_cbranch_execz .LBB303_202
; %bb.180:                              ;   in Loop: Header=BB303_177 Depth=1
                                        ; implicit-def: $vgpr9
                                        ; implicit-def: $vgpr10
	s_mov_b32 s1, exec_lo
	v_cmpx_neq_f32_e64 0x7f800000, |v5|
	s_xor_b32 s10, exec_lo, s1
	s_cbranch_execz .LBB303_196
; %bb.181:                              ;   in Loop: Header=BB303_177 Depth=1
	v_max_f32_e64 v4, |v6|, |v6|
	v_max_f32_e64 v9, |v5|, |v5|
                                        ; implicit-def: $sgpr11
	s_delay_alu instid0(VALU_DEP_1) | instskip(NEXT) | instid1(VALU_DEP_1)
	v_max_f32_e32 v4, v9, v4
                                        ; implicit-def: $vgpr9
	v_cmp_nle_f32_e64 s0, 0x7ed413cb, v4
                                        ; implicit-def: $vgpr4
	s_delay_alu instid0(VALU_DEP_1) | instskip(NEXT) | instid1(SALU_CYCLE_1)
	s_and_saveexec_b32 s1, s0
	s_xor_b32 s1, exec_lo, s1
	s_cbranch_execz .LBB303_185
; %bb.182:                              ;   in Loop: Header=BB303_177 Depth=1
	v_cmp_ge_f32_e64 s11, 0x1000000, |v5|
	v_cmp_ge_f32_e64 s12, 0x1000000, |v6|
	v_dual_mov_b32 v9, v5 :: v_dual_mov_b32 v4, v6
	s_delay_alu instid0(VALU_DEP_2)
	s_and_b32 s13, s11, s12
	s_mov_b32 s11, 0
	s_and_saveexec_b32 s12, s13
; %bb.183:                              ;   in Loop: Header=BB303_177 Depth=1
	v_dual_mul_f32 v9, 4.0, v5 :: v_dual_mul_f32 v4, 4.0, v6
	s_mov_b32 s11, exec_lo
; %bb.184:                              ;   in Loop: Header=BB303_177 Depth=1
	s_or_b32 exec_lo, exec_lo, s12
	s_delay_alu instid0(SALU_CYCLE_1)
	s_and_b32 s11, s11, exec_lo
.LBB303_185:                            ;   in Loop: Header=BB303_177 Depth=1
	s_and_not1_saveexec_b32 s1, s1
; %bb.186:                              ;   in Loop: Header=BB303_177 Depth=1
	v_dual_mul_f32 v9, 0x3e800000, v5 :: v_dual_mul_f32 v4, 0x3e800000, v6
	s_and_not1_b32 s11, s11, exec_lo
; %bb.187:                              ;   in Loop: Header=BB303_177 Depth=1
	s_or_b32 exec_lo, exec_lo, s1
	s_delay_alu instid0(VALU_DEP_1) | instskip(NEXT) | instid1(VALU_DEP_2)
	v_max_f32_e64 v10, |v4|, |v4|
	v_max_f32_e64 v11, |v9|, |v9|
	s_delay_alu instid0(VALU_DEP_1) | instskip(NEXT) | instid1(VALU_DEP_1)
	v_max_f32_e32 v16, v11, v10
	v_cvt_f64_f32_e32 v[10:11], v16
	s_delay_alu instid0(VALU_DEP_1) | instskip(NEXT) | instid1(VALU_DEP_1)
	v_frexp_exp_i32_f64_e32 v10, v[10:11]
	v_sub_nc_u32_e32 v11, 0, v10
	s_delay_alu instid0(VALU_DEP_1) | instskip(SKIP_1) | instid1(VALU_DEP_2)
	v_ldexp_f32 v17, |v4|, v11
	v_ldexp_f32 v11, |v9|, v11
	v_mul_f32_e32 v17, v17, v17
	v_cmp_neq_f32_e64 s1, 0x7f800000, v16
                                        ; implicit-def: $vgpr16
	s_delay_alu instid0(VALU_DEP_2) | instskip(NEXT) | instid1(VALU_DEP_1)
	v_fmac_f32_e32 v17, v11, v11
	v_sqrt_f32_e32 v11, v17
	s_waitcnt_depctr 0xfff
	v_ldexp_f32 v10, v11, v10
                                        ; implicit-def: $vgpr11
	s_delay_alu instid0(VALU_DEP_1)
	v_cndmask_b32_e64 v10, 0x7f800000, v10, s1
	s_mov_b32 s1, exec_lo
	v_cmpx_le_f32_e32 0, v9
	s_xor_b32 s12, exec_lo, s1
	s_cbranch_execz .LBB303_189
; %bb.188:                              ;   in Loop: Header=BB303_177 Depth=1
	v_add_f32_e32 v9, v9, v10
	s_delay_alu instid0(VALU_DEP_1) | instskip(NEXT) | instid1(VALU_DEP_1)
	v_mul_f32_e32 v9, 0.5, v9
	v_mul_f32_e32 v10, 0x4f800000, v9
	v_cmp_gt_f32_e32 vcc_lo, 0xf800000, v9
	s_delay_alu instid0(VALU_DEP_2) | instskip(NEXT) | instid1(VALU_DEP_1)
	v_cndmask_b32_e32 v9, v9, v10, vcc_lo
	v_sqrt_f32_e32 v10, v9
	s_waitcnt_depctr 0xfff
	v_add_nc_u32_e32 v11, -1, v10
	v_add_nc_u32_e32 v16, 1, v10
	s_delay_alu instid0(VALU_DEP_2) | instskip(NEXT) | instid1(VALU_DEP_2)
	v_fma_f32 v17, -v11, v10, v9
	v_fma_f32 v18, -v16, v10, v9
	s_delay_alu instid0(VALU_DEP_2) | instskip(NEXT) | instid1(VALU_DEP_1)
	v_cmp_ge_f32_e64 s1, 0, v17
	v_cndmask_b32_e64 v10, v10, v11, s1
	s_delay_alu instid0(VALU_DEP_3) | instskip(NEXT) | instid1(VALU_DEP_1)
	v_cmp_lt_f32_e64 s1, 0, v18
	v_cndmask_b32_e64 v10, v10, v16, s1
	s_delay_alu instid0(VALU_DEP_1) | instskip(NEXT) | instid1(VALU_DEP_1)
	v_mul_f32_e32 v11, 0x37800000, v10
	v_cndmask_b32_e32 v10, v10, v11, vcc_lo
	v_cmp_class_f32_e64 vcc_lo, v9, 0x260
	s_delay_alu instid0(VALU_DEP_2) | instskip(NEXT) | instid1(VALU_DEP_1)
	v_cndmask_b32_e32 v11, v10, v9, vcc_lo
	v_add_f32_e32 v9, v11, v11
	s_delay_alu instid0(VALU_DEP_1) | instskip(NEXT) | instid1(VALU_DEP_1)
	v_div_scale_f32 v10, null, v9, v9, v4
	v_rcp_f32_e32 v16, v10
	s_waitcnt_depctr 0xfff
	v_fma_f32 v17, -v10, v16, 1.0
	s_delay_alu instid0(VALU_DEP_1) | instskip(SKIP_1) | instid1(VALU_DEP_1)
	v_fmac_f32_e32 v16, v17, v16
	v_div_scale_f32 v17, vcc_lo, v4, v9, v4
	v_mul_f32_e32 v18, v17, v16
	s_delay_alu instid0(VALU_DEP_1) | instskip(NEXT) | instid1(VALU_DEP_1)
	v_fma_f32 v19, -v10, v18, v17
	v_fmac_f32_e32 v18, v19, v16
	s_delay_alu instid0(VALU_DEP_1) | instskip(NEXT) | instid1(VALU_DEP_1)
	v_fma_f32 v10, -v10, v18, v17
	v_div_fmas_f32 v10, v10, v16, v18
	s_delay_alu instid0(VALU_DEP_1)
	v_div_fixup_f32 v16, v10, v9, v4
                                        ; implicit-def: $vgpr10
                                        ; implicit-def: $vgpr9
                                        ; implicit-def: $vgpr4
	s_and_not1_saveexec_b32 s12, s12
	s_cbranch_execz .LBB303_191
	s_branch .LBB303_190
.LBB303_189:                            ;   in Loop: Header=BB303_177 Depth=1
	s_and_not1_saveexec_b32 s12, s12
	s_cbranch_execz .LBB303_191
.LBB303_190:                            ;   in Loop: Header=BB303_177 Depth=1
	v_sub_f32_e32 v9, v10, v9
	s_delay_alu instid0(VALU_DEP_1) | instskip(NEXT) | instid1(VALU_DEP_1)
	v_mul_f32_e32 v9, 0.5, v9
	v_mul_f32_e32 v10, 0x4f800000, v9
	v_cmp_gt_f32_e32 vcc_lo, 0xf800000, v9
	s_delay_alu instid0(VALU_DEP_2) | instskip(NEXT) | instid1(VALU_DEP_1)
	v_cndmask_b32_e32 v9, v9, v10, vcc_lo
	v_sqrt_f32_e32 v10, v9
	s_waitcnt_depctr 0xfff
	v_add_nc_u32_e32 v11, -1, v10
	v_add_nc_u32_e32 v16, 1, v10
	s_delay_alu instid0(VALU_DEP_2) | instskip(NEXT) | instid1(VALU_DEP_2)
	v_fma_f32 v17, -v11, v10, v9
	v_fma_f32 v18, -v16, v10, v9
	s_delay_alu instid0(VALU_DEP_2) | instskip(NEXT) | instid1(VALU_DEP_1)
	v_cmp_ge_f32_e64 s1, 0, v17
	v_cndmask_b32_e64 v10, v10, v11, s1
	s_delay_alu instid0(VALU_DEP_3) | instskip(NEXT) | instid1(VALU_DEP_1)
	v_cmp_lt_f32_e64 s1, 0, v18
	v_cndmask_b32_e64 v10, v10, v16, s1
	s_delay_alu instid0(VALU_DEP_1) | instskip(NEXT) | instid1(VALU_DEP_1)
	v_mul_f32_e32 v11, 0x37800000, v10
	v_cndmask_b32_e32 v10, v10, v11, vcc_lo
	v_cmp_class_f32_e64 vcc_lo, v9, 0x260
	s_delay_alu instid0(VALU_DEP_2) | instskip(NEXT) | instid1(VALU_DEP_1)
	v_dual_cndmask_b32 v9, v10, v9 :: v_dual_and_b32 v10, 0x7fffffff, v4
	v_add_f32_e32 v11, v9, v9
	s_delay_alu instid0(VALU_DEP_1) | instskip(SKIP_1) | instid1(VALU_DEP_2)
	v_div_scale_f32 v16, null, v11, v11, v10
	v_div_scale_f32 v10, vcc_lo, v10, v11, v10
	v_rcp_f32_e32 v17, v16
	s_waitcnt_depctr 0xfff
	v_fma_f32 v18, -v16, v17, 1.0
	s_delay_alu instid0(VALU_DEP_1) | instskip(NEXT) | instid1(VALU_DEP_1)
	v_fmac_f32_e32 v17, v18, v17
	v_mul_f32_e32 v18, v10, v17
	s_delay_alu instid0(VALU_DEP_1) | instskip(NEXT) | instid1(VALU_DEP_1)
	v_fma_f32 v19, -v16, v18, v10
	v_fmac_f32_e32 v18, v19, v17
	s_delay_alu instid0(VALU_DEP_1) | instskip(SKIP_1) | instid1(VALU_DEP_2)
	v_fma_f32 v10, -v16, v18, v10
	v_bfi_b32 v16, 0x7fffffff, v9, v4
	v_div_fmas_f32 v10, v10, v17, v18
	s_delay_alu instid0(VALU_DEP_1)
	v_div_fixup_f32 v11, v10, v11, |v4|
.LBB303_191:                            ;   in Loop: Header=BB303_177 Depth=1
	s_or_b32 exec_lo, exec_lo, s12
                                        ; implicit-def: $vgpr9
                                        ; implicit-def: $vgpr10
	s_and_saveexec_b32 s1, s0
	s_delay_alu instid0(SALU_CYCLE_1)
	s_xor_b32 s0, exec_lo, s1
	s_cbranch_execz .LBB303_193
; %bb.192:                              ;   in Loop: Header=BB303_177 Depth=1
	v_dual_mul_f32 v4, 0.5, v11 :: v_dual_mul_f32 v9, 0.5, v16
	s_delay_alu instid0(VALU_DEP_1) | instskip(NEXT) | instid1(VALU_DEP_2)
	v_cndmask_b32_e64 v10, v11, v4, s11
	v_cndmask_b32_e64 v9, v16, v9, s11
                                        ; implicit-def: $vgpr11
                                        ; implicit-def: $vgpr16
	s_and_not1_saveexec_b32 s0, s0
	s_cbranch_execnz .LBB303_194
	s_branch .LBB303_195
.LBB303_193:                            ;   in Loop: Header=BB303_177 Depth=1
	s_and_not1_saveexec_b32 s0, s0
.LBB303_194:                            ;   in Loop: Header=BB303_177 Depth=1
	v_dual_add_f32 v10, v11, v11 :: v_dual_add_f32 v9, v16, v16
.LBB303_195:                            ;   in Loop: Header=BB303_177 Depth=1
	s_or_b32 exec_lo, exec_lo, s0
.LBB303_196:                            ;   in Loop: Header=BB303_177 Depth=1
	s_and_not1_saveexec_b32 s0, s10
	s_cbranch_execz .LBB303_226
; %bb.197:                              ;   in Loop: Header=BB303_177 Depth=1
	v_sub_f32_e32 v4, v6, v6
	s_mov_b32 s1, exec_lo
                                        ; implicit-def: $vgpr9
	v_cmpx_lt_i32_e32 -1, v5
	s_xor_b32 s1, exec_lo, s1
; %bb.198:                              ;   in Loop: Header=BB303_177 Depth=1
	s_delay_alu instid0(VALU_DEP_2)
	v_bfi_b32 v9, 0x7fffffff, v4, v6
                                        ; implicit-def: $vgpr4
; %bb.199:                              ;   in Loop: Header=BB303_177 Depth=1
	s_or_saveexec_b32 s1, s1
	v_mov_b32_e32 v10, v5
	s_xor_b32 exec_lo, exec_lo, s1
; %bb.200:                              ;   in Loop: Header=BB303_177 Depth=1
	v_and_b32_e32 v10, 0x7fffffff, v4
	v_bfi_b32 v9, 0x7fffffff, v5, v6
; %bb.201:                              ;   in Loop: Header=BB303_177 Depth=1
	s_or_b32 exec_lo, exec_lo, s1
	s_delay_alu instid0(SALU_CYCLE_1)
	s_or_b32 exec_lo, exec_lo, s0
.LBB303_202:                            ;   in Loop: Header=BB303_177 Depth=1
	s_and_not1_saveexec_b32 s0, s7
	s_cbranch_execz .LBB303_204
.LBB303_203:                            ;   in Loop: Header=BB303_177 Depth=1
	v_sub_f32_e32 v4, v6, v6
	s_delay_alu instid0(VALU_DEP_1) | instskip(NEXT) | instid1(VALU_DEP_1)
	v_div_scale_f32 v6, vcc_lo, v4, v4, v4
	v_rcp_f32_e32 v9, v6
	s_waitcnt_depctr 0xfff
	v_fma_f32 v10, -v6, v9, 1.0
	s_delay_alu instid0(VALU_DEP_1) | instskip(NEXT) | instid1(VALU_DEP_1)
	v_fmac_f32_e32 v9, v10, v9
	v_mul_f32_e32 v10, v6, v9
	s_delay_alu instid0(VALU_DEP_1) | instskip(NEXT) | instid1(VALU_DEP_1)
	v_fma_f32 v11, -v6, v10, v6
	v_fmac_f32_e32 v10, v11, v9
	s_delay_alu instid0(VALU_DEP_1) | instskip(NEXT) | instid1(VALU_DEP_1)
	v_fma_f32 v6, -v6, v10, v6
	v_div_fmas_f32 v6, v6, v9, v10
	v_mov_b32_e32 v10, v5
	s_delay_alu instid0(VALU_DEP_2)
	v_div_fixup_f32 v9, v6, v4, v4
.LBB303_204:                            ;   in Loop: Header=BB303_177 Depth=1
	s_or_b32 exec_lo, exec_lo, s0
.LBB303_205:                            ;   in Loop: Header=BB303_177 Depth=1
	s_delay_alu instid0(SALU_CYCLE_1)
	s_or_b32 exec_lo, exec_lo, s6
.LBB303_206:                            ;   in Loop: Header=BB303_177 Depth=1
	s_delay_alu instid0(SALU_CYCLE_1)
	s_or_b32 exec_lo, exec_lo, s5
	v_cmp_gt_f32_e32 vcc_lo, 0, v10
                                        ; implicit-def: $vgpr5
	s_mov_b32 s0, exec_lo
	v_cndmask_b32_e64 v6, v10, -v10, vcc_lo
	v_cmp_gt_f32_e32 vcc_lo, 0, v9
	v_cndmask_b32_e64 v11, v9, -v9, vcc_lo
	s_delay_alu instid0(VALU_DEP_1)
	v_cmpx_ge_f32_e32 v6, v11
	s_xor_b32 s1, exec_lo, s0
	s_cbranch_execz .LBB303_212
; %bb.207:                              ;   in Loop: Header=BB303_177 Depth=1
	v_cmp_neq_f32_e32 vcc_lo, 0, v10
	v_cmp_neq_f32_e64 s0, 0, v9
                                        ; implicit-def: $vgpr5
	s_delay_alu instid0(VALU_DEP_1) | instskip(NEXT) | instid1(SALU_CYCLE_1)
	s_or_b32 s0, vcc_lo, s0
	s_and_saveexec_b32 s5, s0
	s_delay_alu instid0(SALU_CYCLE_1)
	s_xor_b32 s0, exec_lo, s5
	s_cbranch_execz .LBB303_209
; %bb.208:                              ;   in Loop: Header=BB303_177 Depth=1
	v_div_scale_f32 v4, null, v10, v10, v9
	v_div_scale_f32 v11, vcc_lo, v9, v10, v9
	s_delay_alu instid0(VALU_DEP_2) | instskip(SKIP_2) | instid1(VALU_DEP_1)
	v_rcp_f32_e32 v5, v4
	s_waitcnt_depctr 0xfff
	v_fma_f32 v6, -v4, v5, 1.0
	v_fmac_f32_e32 v5, v6, v5
	s_delay_alu instid0(VALU_DEP_1) | instskip(NEXT) | instid1(VALU_DEP_1)
	v_mul_f32_e32 v6, v11, v5
	v_fma_f32 v16, -v4, v6, v11
	s_delay_alu instid0(VALU_DEP_1) | instskip(NEXT) | instid1(VALU_DEP_1)
	v_fmac_f32_e32 v6, v16, v5
	v_fma_f32 v4, -v4, v6, v11
	s_delay_alu instid0(VALU_DEP_1) | instskip(NEXT) | instid1(VALU_DEP_1)
	v_div_fmas_f32 v4, v4, v5, v6
	v_div_fixup_f32 v5, v4, v10, v9
	s_delay_alu instid0(VALU_DEP_1) | instskip(NEXT) | instid1(VALU_DEP_1)
	v_fmac_f32_e32 v10, v9, v5
	v_div_scale_f32 v4, null, v10, v10, 1.0
	v_div_scale_f32 v11, vcc_lo, 1.0, v10, 1.0
	s_delay_alu instid0(VALU_DEP_2) | instskip(SKIP_2) | instid1(VALU_DEP_1)
	v_rcp_f32_e32 v6, v4
	s_waitcnt_depctr 0xfff
	v_fma_f32 v9, -v4, v6, 1.0
	v_fmac_f32_e32 v6, v9, v6
	s_delay_alu instid0(VALU_DEP_1) | instskip(NEXT) | instid1(VALU_DEP_1)
	v_mul_f32_e32 v9, v11, v6
	v_fma_f32 v16, -v4, v9, v11
	s_delay_alu instid0(VALU_DEP_1) | instskip(NEXT) | instid1(VALU_DEP_1)
	v_fmac_f32_e32 v9, v16, v6
	v_fma_f32 v4, -v4, v9, v11
                                        ; implicit-def: $vgpr11
	s_delay_alu instid0(VALU_DEP_1) | instskip(SKIP_1) | instid1(VALU_DEP_2)
	v_div_fmas_f32 v4, v4, v6, v9
	v_fma_f32 v6, v5, 0, 1.0
	v_div_fixup_f32 v9, v4, v10, 1.0
	s_delay_alu instid0(VALU_DEP_1)
	v_mul_f32_e32 v4, v6, v9
	v_mul_f32_e64 v5, -v5, v9
                                        ; implicit-def: $vgpr6
.LBB303_209:                            ;   in Loop: Header=BB303_177 Depth=1
	s_and_not1_saveexec_b32 s5, s0
	s_cbranch_execz .LBB303_211
; %bb.210:                              ;   in Loop: Header=BB303_177 Depth=1
	v_div_scale_f32 v4, null, v6, v6, 1.0
	v_div_scale_f32 v5, null, v11, v11, 0
	v_div_scale_f32 v18, vcc_lo, 1.0, v6, 1.0
	s_delay_alu instid0(VALU_DEP_3) | instskip(NEXT) | instid1(VALU_DEP_2)
	v_rcp_f32_e32 v9, v4
	v_rcp_f32_e32 v10, v5
	s_waitcnt_depctr 0xfff
	v_fma_f32 v16, -v4, v9, 1.0
	v_fma_f32 v17, -v5, v10, 1.0
	s_delay_alu instid0(VALU_DEP_1) | instskip(SKIP_1) | instid1(VALU_DEP_2)
	v_dual_fmac_f32 v9, v16, v9 :: v_dual_fmac_f32 v10, v17, v10
	v_div_scale_f32 v16, s0, 0, v11, 0
	v_mul_f32_e32 v17, v18, v9
	s_delay_alu instid0(VALU_DEP_2) | instskip(NEXT) | instid1(VALU_DEP_2)
	v_mul_f32_e32 v19, v16, v10
	v_fma_f32 v20, -v4, v17, v18
	s_delay_alu instid0(VALU_DEP_2) | instskip(NEXT) | instid1(VALU_DEP_2)
	v_fma_f32 v21, -v5, v19, v16
	v_fmac_f32_e32 v17, v20, v9
	s_delay_alu instid0(VALU_DEP_2) | instskip(NEXT) | instid1(VALU_DEP_2)
	v_fmac_f32_e32 v19, v21, v10
	v_fma_f32 v4, -v4, v17, v18
	s_delay_alu instid0(VALU_DEP_2) | instskip(NEXT) | instid1(VALU_DEP_2)
	v_fma_f32 v5, -v5, v19, v16
	v_div_fmas_f32 v4, v4, v9, v17
	s_mov_b32 vcc_lo, s0
	s_delay_alu instid0(VALU_DEP_2) | instskip(NEXT) | instid1(VALU_DEP_2)
	v_div_fmas_f32 v5, v5, v10, v19
	v_div_fixup_f32 v4, v4, v6, 1.0
	s_delay_alu instid0(VALU_DEP_2)
	v_div_fixup_f32 v5, v5, v11, 0
.LBB303_211:                            ;   in Loop: Header=BB303_177 Depth=1
	s_or_b32 exec_lo, exec_lo, s5
                                        ; implicit-def: $vgpr9
                                        ; implicit-def: $vgpr10
.LBB303_212:                            ;   in Loop: Header=BB303_177 Depth=1
	s_and_not1_saveexec_b32 s0, s1
	s_cbranch_execz .LBB303_214
; %bb.213:                              ;   in Loop: Header=BB303_177 Depth=1
	v_div_scale_f32 v4, null, v9, v9, v10
	v_div_scale_f32 v11, vcc_lo, v10, v9, v10
	s_delay_alu instid0(VALU_DEP_2) | instskip(SKIP_2) | instid1(VALU_DEP_1)
	v_rcp_f32_e32 v5, v4
	s_waitcnt_depctr 0xfff
	v_fma_f32 v6, -v4, v5, 1.0
	v_fmac_f32_e32 v5, v6, v5
	s_delay_alu instid0(VALU_DEP_1) | instskip(NEXT) | instid1(VALU_DEP_1)
	v_mul_f32_e32 v6, v11, v5
	v_fma_f32 v16, -v4, v6, v11
	s_delay_alu instid0(VALU_DEP_1) | instskip(NEXT) | instid1(VALU_DEP_1)
	v_fmac_f32_e32 v6, v16, v5
	v_fma_f32 v4, -v4, v6, v11
	s_delay_alu instid0(VALU_DEP_1) | instskip(NEXT) | instid1(VALU_DEP_1)
	v_div_fmas_f32 v4, v4, v5, v6
	v_div_fixup_f32 v4, v4, v9, v10
	s_delay_alu instid0(VALU_DEP_1) | instskip(NEXT) | instid1(VALU_DEP_1)
	v_fmac_f32_e32 v9, v10, v4
	v_div_scale_f32 v5, null, v9, v9, 1.0
	v_div_scale_f32 v11, vcc_lo, 1.0, v9, 1.0
	s_delay_alu instid0(VALU_DEP_2) | instskip(SKIP_2) | instid1(VALU_DEP_1)
	v_rcp_f32_e32 v6, v5
	s_waitcnt_depctr 0xfff
	v_fma_f32 v10, -v5, v6, 1.0
	v_fmac_f32_e32 v6, v10, v6
	s_delay_alu instid0(VALU_DEP_1) | instskip(NEXT) | instid1(VALU_DEP_1)
	v_mul_f32_e32 v10, v11, v6
	v_fma_f32 v16, -v5, v10, v11
	s_delay_alu instid0(VALU_DEP_1) | instskip(NEXT) | instid1(VALU_DEP_1)
	v_fmac_f32_e32 v10, v16, v6
	v_fma_f32 v5, -v5, v10, v11
	s_delay_alu instid0(VALU_DEP_1) | instskip(SKIP_1) | instid1(VALU_DEP_2)
	v_div_fmas_f32 v5, v5, v6, v10
	v_add_f32_e32 v6, 0, v4
	v_div_fixup_f32 v5, v5, v9, 1.0
	v_fma_f32 v9, v4, 0, -1.0
	s_delay_alu instid0(VALU_DEP_2) | instskip(NEXT) | instid1(VALU_DEP_2)
	v_mul_f32_e32 v4, v6, v5
	v_mul_f32_e32 v5, v9, v5
.LBB303_214:                            ;   in Loop: Header=BB303_177 Depth=1
	s_or_b32 exec_lo, exec_lo, s0
	v_cmp_neq_f32_e32 vcc_lo, 0, v7
	v_cmp_neq_f32_e64 s0, 0, v8
	v_mov_b32_e32 v9, 0
	s_delay_alu instid0(VALU_DEP_2) | instskip(NEXT) | instid1(SALU_CYCLE_1)
	s_or_b32 s0, vcc_lo, s0
	s_and_saveexec_b32 s5, s0
	s_cbranch_execz .LBB303_245
; %bb.215:                              ;   in Loop: Header=BB303_177 Depth=1
	v_mov_b32_e32 v9, 0x7f800000
	s_mov_b32 s6, exec_lo
	v_cmpx_neq_f32_e64 0x7f800000, |v8|
	s_cbranch_execz .LBB303_244
; %bb.216:                              ;   in Loop: Header=BB303_177 Depth=1
	s_mov_b32 s0, exec_lo
	v_cmpx_o_f32_e32 v7, v7
	s_xor_b32 s7, exec_lo, s0
	s_cbranch_execz .LBB303_241
; %bb.217:                              ;   in Loop: Header=BB303_177 Depth=1
	s_mov_b32 s1, exec_lo
	v_cmpx_neq_f32_e64 0x7f800000, |v7|
	s_xor_b32 s10, exec_lo, s1
	s_cbranch_execz .LBB303_234
; %bb.218:                              ;   in Loop: Header=BB303_177 Depth=1
	v_max_f32_e64 v6, |v8|, |v8|
	v_max_f32_e64 v9, |v7|, |v7|
                                        ; implicit-def: $sgpr11
	s_delay_alu instid0(VALU_DEP_1) | instskip(NEXT) | instid1(VALU_DEP_1)
	v_max_f32_e32 v6, v9, v6
	v_cmp_nle_f32_e64 s0, 0x7ed413cb, v6
	s_delay_alu instid0(VALU_DEP_1) | instskip(NEXT) | instid1(SALU_CYCLE_1)
	s_and_saveexec_b32 s1, s0
	s_xor_b32 s1, exec_lo, s1
	s_cbranch_execz .LBB303_222
; %bb.219:                              ;   in Loop: Header=BB303_177 Depth=1
	v_cmp_ge_f32_e64 s11, 0x1000000, |v7|
	v_cmp_ge_f32_e64 s12, 0x1000000, |v8|
	s_delay_alu instid0(VALU_DEP_1)
	s_and_b32 s13, s11, s12
	s_mov_b32 s11, 0
	s_and_saveexec_b32 s12, s13
; %bb.220:                              ;   in Loop: Header=BB303_177 Depth=1
	v_dual_mul_f32 v7, 4.0, v7 :: v_dual_mul_f32 v8, 4.0, v8
	s_mov_b32 s11, exec_lo
; %bb.221:                              ;   in Loop: Header=BB303_177 Depth=1
	s_or_b32 exec_lo, exec_lo, s12
	s_delay_alu instid0(SALU_CYCLE_1)
	s_and_b32 s11, s11, exec_lo
.LBB303_222:                            ;   in Loop: Header=BB303_177 Depth=1
	s_and_not1_saveexec_b32 s1, s1
; %bb.223:                              ;   in Loop: Header=BB303_177 Depth=1
	v_dual_mul_f32 v7, 0x3e800000, v7 :: v_dual_mul_f32 v8, 0x3e800000, v8
	s_and_not1_b32 s11, s11, exec_lo
; %bb.224:                              ;   in Loop: Header=BB303_177 Depth=1
	s_or_b32 exec_lo, exec_lo, s1
	s_delay_alu instid0(VALU_DEP_1) | instskip(NEXT) | instid1(VALU_DEP_2)
	v_max_f32_e64 v6, |v8|, |v8|
	v_max_f32_e64 v9, |v7|, |v7|
	s_delay_alu instid0(VALU_DEP_1) | instskip(NEXT) | instid1(VALU_DEP_1)
	v_max_f32_e32 v6, v9, v6
	v_cvt_f64_f32_e32 v[9:10], v6
	s_delay_alu instid0(VALU_DEP_1) | instskip(NEXT) | instid1(VALU_DEP_1)
	v_frexp_exp_i32_f64_e32 v9, v[9:10]
	v_sub_nc_u32_e32 v10, 0, v9
	s_delay_alu instid0(VALU_DEP_1) | instskip(SKIP_1) | instid1(VALU_DEP_2)
	v_ldexp_f32 v11, |v8|, v10
	v_ldexp_f32 v10, |v7|, v10
	v_mul_f32_e32 v11, v11, v11
	v_cmp_neq_f32_e64 s1, 0x7f800000, v6
                                        ; implicit-def: $vgpr6
	s_delay_alu instid0(VALU_DEP_2) | instskip(NEXT) | instid1(VALU_DEP_1)
	v_fmac_f32_e32 v11, v10, v10
	v_sqrt_f32_e32 v10, v11
	s_waitcnt_depctr 0xfff
	v_ldexp_f32 v9, v10, v9
	s_delay_alu instid0(VALU_DEP_1)
	v_cndmask_b32_e64 v10, 0x7f800000, v9, s1
                                        ; implicit-def: $vgpr9
	s_mov_b32 s1, exec_lo
	v_cmpx_le_f32_e32 0, v7
	s_xor_b32 s12, exec_lo, s1
	s_cbranch_execz .LBB303_227
; %bb.225:                              ;   in Loop: Header=BB303_177 Depth=1
	v_add_f32_e32 v6, v7, v10
	s_delay_alu instid0(VALU_DEP_1) | instskip(NEXT) | instid1(VALU_DEP_1)
	v_mul_f32_e32 v6, 0.5, v6
	v_mul_f32_e32 v7, 0x4f800000, v6
	v_cmp_gt_f32_e32 vcc_lo, 0xf800000, v6
	s_delay_alu instid0(VALU_DEP_2) | instskip(NEXT) | instid1(VALU_DEP_1)
	v_cndmask_b32_e32 v6, v6, v7, vcc_lo
	v_sqrt_f32_e32 v7, v6
	s_waitcnt_depctr 0xfff
	v_add_nc_u32_e32 v9, -1, v7
	v_add_nc_u32_e32 v10, 1, v7
	s_delay_alu instid0(VALU_DEP_2) | instskip(NEXT) | instid1(VALU_DEP_2)
	v_fma_f32 v11, -v9, v7, v6
	v_fma_f32 v16, -v10, v7, v6
	s_delay_alu instid0(VALU_DEP_2) | instskip(NEXT) | instid1(VALU_DEP_1)
	v_cmp_ge_f32_e64 s1, 0, v11
	v_cndmask_b32_e64 v7, v7, v9, s1
	s_delay_alu instid0(VALU_DEP_3) | instskip(NEXT) | instid1(VALU_DEP_1)
	v_cmp_lt_f32_e64 s1, 0, v16
	v_cndmask_b32_e64 v7, v7, v10, s1
	s_delay_alu instid0(VALU_DEP_1) | instskip(NEXT) | instid1(VALU_DEP_1)
	v_mul_f32_e32 v9, 0x37800000, v7
	v_cndmask_b32_e32 v7, v7, v9, vcc_lo
	v_cmp_class_f32_e64 vcc_lo, v6, 0x260
	s_delay_alu instid0(VALU_DEP_2) | instskip(NEXT) | instid1(VALU_DEP_1)
	v_cndmask_b32_e32 v6, v7, v6, vcc_lo
	v_add_f32_e32 v7, v6, v6
	s_delay_alu instid0(VALU_DEP_1) | instskip(NEXT) | instid1(VALU_DEP_1)
	v_div_scale_f32 v9, null, v7, v7, v8
	v_rcp_f32_e32 v10, v9
	s_waitcnt_depctr 0xfff
	v_fma_f32 v11, -v9, v10, 1.0
	s_delay_alu instid0(VALU_DEP_1) | instskip(SKIP_1) | instid1(VALU_DEP_1)
	v_fmac_f32_e32 v10, v11, v10
	v_div_scale_f32 v11, vcc_lo, v8, v7, v8
	v_mul_f32_e32 v16, v11, v10
	s_delay_alu instid0(VALU_DEP_1) | instskip(NEXT) | instid1(VALU_DEP_1)
	v_fma_f32 v17, -v9, v16, v11
	v_fmac_f32_e32 v16, v17, v10
	s_delay_alu instid0(VALU_DEP_1) | instskip(NEXT) | instid1(VALU_DEP_1)
	v_fma_f32 v9, -v9, v16, v11
	v_div_fmas_f32 v9, v9, v10, v16
                                        ; implicit-def: $vgpr10
	s_delay_alu instid0(VALU_DEP_1)
	v_div_fixup_f32 v9, v9, v7, v8
                                        ; implicit-def: $vgpr7
	s_and_not1_saveexec_b32 s12, s12
	s_cbranch_execz .LBB303_229
	s_branch .LBB303_228
.LBB303_226:                            ;   in Loop: Header=BB303_177 Depth=1
	s_or_b32 exec_lo, exec_lo, s0
	s_and_not1_saveexec_b32 s0, s7
	s_cbranch_execnz .LBB303_203
	s_branch .LBB303_204
.LBB303_227:                            ;   in Loop: Header=BB303_177 Depth=1
	s_and_not1_saveexec_b32 s12, s12
	s_cbranch_execz .LBB303_229
.LBB303_228:                            ;   in Loop: Header=BB303_177 Depth=1
	v_sub_f32_e32 v6, v10, v7
	s_delay_alu instid0(VALU_DEP_1) | instskip(NEXT) | instid1(VALU_DEP_1)
	v_mul_f32_e32 v6, 0.5, v6
	v_mul_f32_e32 v7, 0x4f800000, v6
	v_cmp_gt_f32_e32 vcc_lo, 0xf800000, v6
	s_delay_alu instid0(VALU_DEP_2) | instskip(NEXT) | instid1(VALU_DEP_1)
	v_cndmask_b32_e32 v6, v6, v7, vcc_lo
	v_sqrt_f32_e32 v7, v6
	s_waitcnt_depctr 0xfff
	v_add_nc_u32_e32 v9, -1, v7
	v_add_nc_u32_e32 v10, 1, v7
	s_delay_alu instid0(VALU_DEP_2) | instskip(NEXT) | instid1(VALU_DEP_2)
	v_fma_f32 v11, -v9, v7, v6
	v_fma_f32 v16, -v10, v7, v6
	s_delay_alu instid0(VALU_DEP_2) | instskip(NEXT) | instid1(VALU_DEP_1)
	v_cmp_ge_f32_e64 s1, 0, v11
	v_cndmask_b32_e64 v7, v7, v9, s1
	s_delay_alu instid0(VALU_DEP_3) | instskip(NEXT) | instid1(VALU_DEP_1)
	v_cmp_lt_f32_e64 s1, 0, v16
	v_cndmask_b32_e64 v7, v7, v10, s1
	s_delay_alu instid0(VALU_DEP_1) | instskip(NEXT) | instid1(VALU_DEP_1)
	v_mul_f32_e32 v9, 0x37800000, v7
	v_cndmask_b32_e32 v7, v7, v9, vcc_lo
	v_cmp_class_f32_e64 vcc_lo, v6, 0x260
	s_delay_alu instid0(VALU_DEP_2) | instskip(NEXT) | instid1(VALU_DEP_1)
	v_dual_cndmask_b32 v7, v7, v6 :: v_dual_and_b32 v6, 0x7fffffff, v8
	v_add_f32_e32 v9, v7, v7
	s_delay_alu instid0(VALU_DEP_1) | instskip(SKIP_1) | instid1(VALU_DEP_2)
	v_div_scale_f32 v10, null, v9, v9, v6
	v_div_scale_f32 v6, vcc_lo, v6, v9, v6
	v_rcp_f32_e32 v11, v10
	s_waitcnt_depctr 0xfff
	v_fma_f32 v16, -v10, v11, 1.0
	s_delay_alu instid0(VALU_DEP_1) | instskip(NEXT) | instid1(VALU_DEP_1)
	v_fmac_f32_e32 v11, v16, v11
	v_mul_f32_e32 v16, v6, v11
	s_delay_alu instid0(VALU_DEP_1) | instskip(NEXT) | instid1(VALU_DEP_1)
	v_fma_f32 v17, -v10, v16, v6
	v_fmac_f32_e32 v16, v17, v11
	s_delay_alu instid0(VALU_DEP_1) | instskip(NEXT) | instid1(VALU_DEP_1)
	v_fma_f32 v6, -v10, v16, v6
	v_div_fmas_f32 v6, v6, v11, v16
	s_delay_alu instid0(VALU_DEP_1)
	v_div_fixup_f32 v6, v6, v9, |v8|
	v_bfi_b32 v9, 0x7fffffff, v7, v8
.LBB303_229:                            ;   in Loop: Header=BB303_177 Depth=1
	s_or_b32 exec_lo, exec_lo, s12
                                        ; implicit-def: $vgpr8
	s_and_saveexec_b32 s1, s0
	s_delay_alu instid0(SALU_CYCLE_1)
	s_xor_b32 s0, exec_lo, s1
	s_cbranch_execz .LBB303_231
; %bb.230:                              ;   in Loop: Header=BB303_177 Depth=1
	v_dual_mul_f32 v7, 0.5, v6 :: v_dual_mul_f32 v8, 0.5, v9
	s_delay_alu instid0(VALU_DEP_1) | instskip(NEXT) | instid1(VALU_DEP_2)
	v_cndmask_b32_e64 v7, v6, v7, s11
	v_cndmask_b32_e64 v8, v9, v8, s11
                                        ; implicit-def: $vgpr6
                                        ; implicit-def: $vgpr9
	s_and_not1_saveexec_b32 s0, s0
	s_cbranch_execnz .LBB303_232
	s_branch .LBB303_233
.LBB303_231:                            ;   in Loop: Header=BB303_177 Depth=1
	s_and_not1_saveexec_b32 s0, s0
.LBB303_232:                            ;   in Loop: Header=BB303_177 Depth=1
	v_dual_add_f32 v7, v6, v6 :: v_dual_add_f32 v8, v9, v9
.LBB303_233:                            ;   in Loop: Header=BB303_177 Depth=1
	s_or_b32 exec_lo, exec_lo, s0
.LBB303_234:                            ;   in Loop: Header=BB303_177 Depth=1
	s_and_not1_saveexec_b32 s0, s10
	s_cbranch_execz .LBB303_240
; %bb.235:                              ;   in Loop: Header=BB303_177 Depth=1
	s_delay_alu instid0(VALU_DEP_1)
	v_sub_f32_e32 v6, v8, v8
	s_mov_b32 s1, exec_lo
	v_cmpx_lt_i32_e32 -1, v7
	s_xor_b32 s1, exec_lo, s1
; %bb.236:                              ;   in Loop: Header=BB303_177 Depth=1
	s_delay_alu instid0(VALU_DEP_2)
	v_bfi_b32 v8, 0x7fffffff, v6, v8
                                        ; implicit-def: $vgpr6
; %bb.237:                              ;   in Loop: Header=BB303_177 Depth=1
	s_and_not1_saveexec_b32 s1, s1
; %bb.238:                              ;   in Loop: Header=BB303_177 Depth=1
	v_and_b32_e32 v6, 0x7fffffff, v6
	s_delay_alu instid0(VALU_DEP_2) | instskip(NEXT) | instid1(VALU_DEP_2)
	v_bfi_b32 v8, 0x7fffffff, v7, v8
	v_mov_b32_e32 v7, v6
; %bb.239:                              ;   in Loop: Header=BB303_177 Depth=1
	s_or_b32 exec_lo, exec_lo, s1
.LBB303_240:                            ;   in Loop: Header=BB303_177 Depth=1
	s_delay_alu instid0(SALU_CYCLE_1)
	s_or_b32 exec_lo, exec_lo, s0
.LBB303_241:                            ;   in Loop: Header=BB303_177 Depth=1
	s_and_not1_saveexec_b32 s0, s7
; %bb.242:                              ;   in Loop: Header=BB303_177 Depth=1
	v_sub_f32_e32 v6, v8, v8
	s_delay_alu instid0(VALU_DEP_1) | instskip(NEXT) | instid1(VALU_DEP_1)
	v_div_scale_f32 v8, vcc_lo, v6, v6, v6
	v_rcp_f32_e32 v9, v8
	s_waitcnt_depctr 0xfff
	v_fma_f32 v10, -v8, v9, 1.0
	s_delay_alu instid0(VALU_DEP_1) | instskip(NEXT) | instid1(VALU_DEP_1)
	v_fmac_f32_e32 v9, v10, v9
	v_mul_f32_e32 v10, v8, v9
	s_delay_alu instid0(VALU_DEP_1) | instskip(NEXT) | instid1(VALU_DEP_1)
	v_fma_f32 v11, -v8, v10, v8
	v_fmac_f32_e32 v10, v11, v9
	s_delay_alu instid0(VALU_DEP_1) | instskip(NEXT) | instid1(VALU_DEP_1)
	v_fma_f32 v8, -v8, v10, v8
	v_div_fmas_f32 v8, v8, v9, v10
	s_delay_alu instid0(VALU_DEP_1)
	v_div_fixup_f32 v8, v8, v6, v6
; %bb.243:                              ;   in Loop: Header=BB303_177 Depth=1
	s_or_b32 exec_lo, exec_lo, s0
	v_mov_b32_e32 v9, v7
.LBB303_244:                            ;   in Loop: Header=BB303_177 Depth=1
	s_or_b32 exec_lo, exec_lo, s6
.LBB303_245:                            ;   in Loop: Header=BB303_177 Depth=1
	s_delay_alu instid0(SALU_CYCLE_1) | instskip(NEXT) | instid1(VALU_DEP_1)
	s_or_b32 exec_lo, exec_lo, s5
	v_cmp_gt_f32_e32 vcc_lo, 0, v9
	s_mov_b32 s0, exec_lo
	v_cndmask_b32_e64 v10, v9, -v9, vcc_lo
	v_cmp_gt_f32_e32 vcc_lo, 0, v8
	v_cndmask_b32_e64 v11, v8, -v8, vcc_lo
	s_delay_alu instid0(VALU_DEP_1)
	v_cmpx_ge_f32_e32 v10, v11
	s_xor_b32 s1, exec_lo, s0
	s_cbranch_execz .LBB303_251
; %bb.246:                              ;   in Loop: Header=BB303_177 Depth=1
	v_cmp_neq_f32_e32 vcc_lo, 0, v9
	v_cmp_neq_f32_e64 s0, 0, v8
	s_delay_alu instid0(VALU_DEP_1) | instskip(NEXT) | instid1(SALU_CYCLE_1)
	s_or_b32 s0, vcc_lo, s0
	s_and_saveexec_b32 s5, s0
	s_delay_alu instid0(SALU_CYCLE_1)
	s_xor_b32 s0, exec_lo, s5
	s_cbranch_execz .LBB303_248
; %bb.247:                              ;   in Loop: Header=BB303_177 Depth=1
	v_div_scale_f32 v6, null, v9, v9, v8
	v_div_scale_f32 v11, vcc_lo, v8, v9, v8
	s_delay_alu instid0(VALU_DEP_2) | instskip(SKIP_2) | instid1(VALU_DEP_1)
	v_rcp_f32_e32 v7, v6
	s_waitcnt_depctr 0xfff
	v_fma_f32 v10, -v6, v7, 1.0
	v_fmac_f32_e32 v7, v10, v7
	s_delay_alu instid0(VALU_DEP_1) | instskip(NEXT) | instid1(VALU_DEP_1)
	v_mul_f32_e32 v10, v11, v7
	v_fma_f32 v16, -v6, v10, v11
	s_delay_alu instid0(VALU_DEP_1) | instskip(NEXT) | instid1(VALU_DEP_1)
	v_fmac_f32_e32 v10, v16, v7
	v_fma_f32 v6, -v6, v10, v11
	s_delay_alu instid0(VALU_DEP_1) | instskip(NEXT) | instid1(VALU_DEP_1)
	v_div_fmas_f32 v6, v6, v7, v10
	v_div_fixup_f32 v7, v6, v9, v8
	s_delay_alu instid0(VALU_DEP_1) | instskip(NEXT) | instid1(VALU_DEP_1)
	v_fmac_f32_e32 v9, v8, v7
	v_div_scale_f32 v6, null, v9, v9, 1.0
	s_delay_alu instid0(VALU_DEP_1) | instskip(SKIP_2) | instid1(VALU_DEP_1)
	v_rcp_f32_e32 v8, v6
	s_waitcnt_depctr 0xfff
	v_fma_f32 v10, -v6, v8, 1.0
	v_fmac_f32_e32 v8, v10, v8
	v_div_scale_f32 v11, vcc_lo, 1.0, v9, 1.0
	s_delay_alu instid0(VALU_DEP_1) | instskip(NEXT) | instid1(VALU_DEP_1)
	v_mul_f32_e32 v10, v11, v8
	v_fma_f32 v16, -v6, v10, v11
	s_delay_alu instid0(VALU_DEP_1) | instskip(NEXT) | instid1(VALU_DEP_1)
	v_fmac_f32_e32 v10, v16, v8
	v_fma_f32 v6, -v6, v10, v11
                                        ; implicit-def: $vgpr11
	s_delay_alu instid0(VALU_DEP_1) | instskip(SKIP_1) | instid1(VALU_DEP_2)
	v_div_fmas_f32 v6, v6, v8, v10
	v_fma_f32 v8, v7, 0, 1.0
                                        ; implicit-def: $vgpr10
	v_div_fixup_f32 v9, v6, v9, 1.0
	s_delay_alu instid0(VALU_DEP_1)
	v_mul_f32_e32 v6, v8, v9
	v_mul_f32_e64 v7, -v7, v9
.LBB303_248:                            ;   in Loop: Header=BB303_177 Depth=1
	s_and_not1_saveexec_b32 s5, s0
	s_cbranch_execz .LBB303_250
; %bb.249:                              ;   in Loop: Header=BB303_177 Depth=1
	v_div_scale_f32 v6, null, v10, v10, 1.0
	v_div_scale_f32 v7, null, v11, v11, 0
	v_div_scale_f32 v18, vcc_lo, 1.0, v10, 1.0
	s_delay_alu instid0(VALU_DEP_3) | instskip(NEXT) | instid1(VALU_DEP_2)
	v_rcp_f32_e32 v8, v6
	v_rcp_f32_e32 v9, v7
	s_waitcnt_depctr 0xfff
	v_fma_f32 v16, -v6, v8, 1.0
	v_fma_f32 v17, -v7, v9, 1.0
	s_delay_alu instid0(VALU_DEP_1) | instskip(SKIP_1) | instid1(VALU_DEP_2)
	v_dual_fmac_f32 v8, v16, v8 :: v_dual_fmac_f32 v9, v17, v9
	v_div_scale_f32 v16, s0, 0, v11, 0
	v_mul_f32_e32 v17, v18, v8
	s_delay_alu instid0(VALU_DEP_2) | instskip(NEXT) | instid1(VALU_DEP_2)
	v_mul_f32_e32 v19, v16, v9
	v_fma_f32 v20, -v6, v17, v18
	s_delay_alu instid0(VALU_DEP_2) | instskip(NEXT) | instid1(VALU_DEP_2)
	v_fma_f32 v21, -v7, v19, v16
	v_fmac_f32_e32 v17, v20, v8
	s_delay_alu instid0(VALU_DEP_2) | instskip(NEXT) | instid1(VALU_DEP_2)
	v_fmac_f32_e32 v19, v21, v9
	v_fma_f32 v6, -v6, v17, v18
	s_delay_alu instid0(VALU_DEP_2) | instskip(NEXT) | instid1(VALU_DEP_2)
	v_fma_f32 v7, -v7, v19, v16
	v_div_fmas_f32 v6, v6, v8, v17
	s_mov_b32 vcc_lo, s0
	s_delay_alu instid0(VALU_DEP_2) | instskip(NEXT) | instid1(VALU_DEP_2)
	v_div_fmas_f32 v7, v7, v9, v19
	v_div_fixup_f32 v6, v6, v10, 1.0
	s_delay_alu instid0(VALU_DEP_2)
	v_div_fixup_f32 v7, v7, v11, 0
.LBB303_250:                            ;   in Loop: Header=BB303_177 Depth=1
	s_or_b32 exec_lo, exec_lo, s5
                                        ; implicit-def: $vgpr8
                                        ; implicit-def: $vgpr9
.LBB303_251:                            ;   in Loop: Header=BB303_177 Depth=1
	s_and_not1_saveexec_b32 s0, s1
	s_cbranch_execz .LBB303_253
; %bb.252:                              ;   in Loop: Header=BB303_177 Depth=1
	v_div_scale_f32 v6, null, v8, v8, v9
	v_div_scale_f32 v11, vcc_lo, v9, v8, v9
	s_delay_alu instid0(VALU_DEP_2) | instskip(SKIP_2) | instid1(VALU_DEP_1)
	v_rcp_f32_e32 v7, v6
	s_waitcnt_depctr 0xfff
	v_fma_f32 v10, -v6, v7, 1.0
	v_fmac_f32_e32 v7, v10, v7
	s_delay_alu instid0(VALU_DEP_1) | instskip(NEXT) | instid1(VALU_DEP_1)
	v_mul_f32_e32 v10, v11, v7
	v_fma_f32 v16, -v6, v10, v11
	s_delay_alu instid0(VALU_DEP_1) | instskip(NEXT) | instid1(VALU_DEP_1)
	v_fmac_f32_e32 v10, v16, v7
	v_fma_f32 v6, -v6, v10, v11
	s_delay_alu instid0(VALU_DEP_1) | instskip(NEXT) | instid1(VALU_DEP_1)
	v_div_fmas_f32 v6, v6, v7, v10
	v_div_fixup_f32 v6, v6, v8, v9
	s_delay_alu instid0(VALU_DEP_1) | instskip(NEXT) | instid1(VALU_DEP_1)
	v_fmac_f32_e32 v8, v9, v6
	v_div_scale_f32 v7, null, v8, v8, 1.0
	v_div_scale_f32 v11, vcc_lo, 1.0, v8, 1.0
	s_delay_alu instid0(VALU_DEP_2) | instskip(SKIP_2) | instid1(VALU_DEP_1)
	v_rcp_f32_e32 v9, v7
	s_waitcnt_depctr 0xfff
	v_fma_f32 v10, -v7, v9, 1.0
	v_fmac_f32_e32 v9, v10, v9
	s_delay_alu instid0(VALU_DEP_1) | instskip(NEXT) | instid1(VALU_DEP_1)
	v_mul_f32_e32 v10, v11, v9
	v_fma_f32 v16, -v7, v10, v11
	s_delay_alu instid0(VALU_DEP_1) | instskip(NEXT) | instid1(VALU_DEP_1)
	v_fmac_f32_e32 v10, v16, v9
	v_fma_f32 v7, -v7, v10, v11
	s_delay_alu instid0(VALU_DEP_1) | instskip(SKIP_1) | instid1(VALU_DEP_2)
	v_div_fmas_f32 v7, v7, v9, v10
	v_add_f32_e32 v9, 0, v6
	v_div_fixup_f32 v7, v7, v8, 1.0
	v_fma_f32 v8, v6, 0, -1.0
	s_delay_alu instid0(VALU_DEP_2) | instskip(NEXT) | instid1(VALU_DEP_2)
	v_mul_f32_e32 v6, v9, v7
	v_mul_f32_e32 v7, v8, v7
.LBB303_253:                            ;   in Loop: Header=BB303_177 Depth=1
	s_or_b32 exec_lo, exec_lo, s0
	s_waitcnt vmcnt(0)
	v_cmp_neq_f32_e32 vcc_lo, 0, v0
	v_cmp_neq_f32_e64 s0, 0, v1
	v_dual_mov_b32 v11, 0 :: v_dual_mov_b32 v10, v1
	s_delay_alu instid0(VALU_DEP_2) | instskip(NEXT) | instid1(SALU_CYCLE_1)
	s_or_b32 s0, vcc_lo, s0
	s_and_saveexec_b32 s5, s0
	s_cbranch_execz .LBB303_283
; %bb.254:                              ;   in Loop: Header=BB303_177 Depth=1
	v_dual_mov_b32 v11, 0x7f800000 :: v_dual_mov_b32 v10, v1
	s_mov_b32 s6, exec_lo
	v_cmpx_neq_f32_e64 0x7f800000, |v1|
	s_cbranch_execz .LBB303_282
; %bb.255:                              ;   in Loop: Header=BB303_177 Depth=1
                                        ; implicit-def: $vgpr10
                                        ; implicit-def: $vgpr11
	s_mov_b32 s0, exec_lo
	v_cmpx_o_f32_e32 v0, v0
	s_xor_b32 s7, exec_lo, s0
	s_cbranch_execz .LBB303_279
; %bb.256:                              ;   in Loop: Header=BB303_177 Depth=1
                                        ; implicit-def: $vgpr10
                                        ; implicit-def: $vgpr11
	s_mov_b32 s1, exec_lo
	v_cmpx_neq_f32_e64 0x7f800000, |v0|
	s_xor_b32 s10, exec_lo, s1
	s_cbranch_execz .LBB303_272
; %bb.257:                              ;   in Loop: Header=BB303_177 Depth=1
	v_max_f32_e64 v8, |v1|, |v1|
	v_max_f32_e64 v9, |v0|, |v0|
                                        ; implicit-def: $sgpr11
	s_delay_alu instid0(VALU_DEP_1) | instskip(NEXT) | instid1(VALU_DEP_1)
	v_max_f32_e32 v8, v9, v8
                                        ; implicit-def: $vgpr9
	v_cmp_nle_f32_e64 s0, 0x7ed413cb, v8
                                        ; implicit-def: $vgpr8
	s_delay_alu instid0(VALU_DEP_1) | instskip(NEXT) | instid1(SALU_CYCLE_1)
	s_and_saveexec_b32 s1, s0
	s_xor_b32 s1, exec_lo, s1
	s_cbranch_execz .LBB303_261
; %bb.258:                              ;   in Loop: Header=BB303_177 Depth=1
	v_cmp_ge_f32_e64 s11, 0x1000000, |v0|
	v_cmp_ge_f32_e64 s12, 0x1000000, |v1|
	v_dual_mov_b32 v9, v0 :: v_dual_mov_b32 v8, v1
	s_delay_alu instid0(VALU_DEP_2)
	s_and_b32 s13, s11, s12
	s_mov_b32 s11, 0
	s_and_saveexec_b32 s12, s13
; %bb.259:                              ;   in Loop: Header=BB303_177 Depth=1
	v_dual_mul_f32 v9, 4.0, v0 :: v_dual_mul_f32 v8, 4.0, v1
	s_mov_b32 s11, exec_lo
; %bb.260:                              ;   in Loop: Header=BB303_177 Depth=1
	s_or_b32 exec_lo, exec_lo, s12
	s_delay_alu instid0(SALU_CYCLE_1)
	s_and_b32 s11, s11, exec_lo
.LBB303_261:                            ;   in Loop: Header=BB303_177 Depth=1
	s_and_not1_saveexec_b32 s1, s1
; %bb.262:                              ;   in Loop: Header=BB303_177 Depth=1
	v_dual_mul_f32 v9, 0x3e800000, v0 :: v_dual_mul_f32 v8, 0x3e800000, v1
	s_and_not1_b32 s11, s11, exec_lo
; %bb.263:                              ;   in Loop: Header=BB303_177 Depth=1
	s_or_b32 exec_lo, exec_lo, s1
	s_delay_alu instid0(VALU_DEP_1) | instskip(NEXT) | instid1(VALU_DEP_2)
	v_max_f32_e64 v10, |v8|, |v8|
	v_max_f32_e64 v11, |v9|, |v9|
	s_delay_alu instid0(VALU_DEP_1) | instskip(NEXT) | instid1(VALU_DEP_1)
	v_max_f32_e32 v16, v11, v10
	v_cvt_f64_f32_e32 v[10:11], v16
	s_delay_alu instid0(VALU_DEP_1) | instskip(NEXT) | instid1(VALU_DEP_1)
	v_frexp_exp_i32_f64_e32 v10, v[10:11]
	v_sub_nc_u32_e32 v11, 0, v10
	s_delay_alu instid0(VALU_DEP_1) | instskip(SKIP_1) | instid1(VALU_DEP_2)
	v_ldexp_f32 v17, |v8|, v11
	v_ldexp_f32 v11, |v9|, v11
	v_mul_f32_e32 v17, v17, v17
	v_cmp_neq_f32_e64 s1, 0x7f800000, v16
                                        ; implicit-def: $vgpr16
	s_delay_alu instid0(VALU_DEP_2) | instskip(NEXT) | instid1(VALU_DEP_1)
	v_fmac_f32_e32 v17, v11, v11
	v_sqrt_f32_e32 v11, v17
                                        ; implicit-def: $vgpr17
	s_waitcnt_depctr 0xfff
	v_ldexp_f32 v10, v11, v10
	s_delay_alu instid0(VALU_DEP_1)
	v_cndmask_b32_e64 v10, 0x7f800000, v10, s1
	s_mov_b32 s1, exec_lo
	v_cmpx_le_f32_e32 0, v9
	s_xor_b32 s12, exec_lo, s1
	s_cbranch_execz .LBB303_265
; %bb.264:                              ;   in Loop: Header=BB303_177 Depth=1
	v_add_f32_e32 v9, v9, v10
	s_delay_alu instid0(VALU_DEP_1) | instskip(NEXT) | instid1(VALU_DEP_1)
	v_mul_f32_e32 v9, 0.5, v9
	v_mul_f32_e32 v10, 0x4f800000, v9
	v_cmp_gt_f32_e32 vcc_lo, 0xf800000, v9
	s_delay_alu instid0(VALU_DEP_2) | instskip(NEXT) | instid1(VALU_DEP_1)
	v_cndmask_b32_e32 v9, v9, v10, vcc_lo
	v_sqrt_f32_e32 v10, v9
	s_waitcnt_depctr 0xfff
	v_add_nc_u32_e32 v11, -1, v10
	v_add_nc_u32_e32 v16, 1, v10
	s_delay_alu instid0(VALU_DEP_2) | instskip(NEXT) | instid1(VALU_DEP_2)
	v_fma_f32 v17, -v11, v10, v9
	v_fma_f32 v18, -v16, v10, v9
	s_delay_alu instid0(VALU_DEP_2) | instskip(NEXT) | instid1(VALU_DEP_1)
	v_cmp_ge_f32_e64 s1, 0, v17
	v_cndmask_b32_e64 v10, v10, v11, s1
	s_delay_alu instid0(VALU_DEP_3) | instskip(NEXT) | instid1(VALU_DEP_1)
	v_cmp_lt_f32_e64 s1, 0, v18
	v_cndmask_b32_e64 v10, v10, v16, s1
	s_delay_alu instid0(VALU_DEP_1) | instskip(NEXT) | instid1(VALU_DEP_1)
	v_mul_f32_e32 v11, 0x37800000, v10
	v_cndmask_b32_e32 v10, v10, v11, vcc_lo
	v_cmp_class_f32_e64 vcc_lo, v9, 0x260
	s_delay_alu instid0(VALU_DEP_2) | instskip(NEXT) | instid1(VALU_DEP_1)
	v_cndmask_b32_e32 v16, v10, v9, vcc_lo
	v_add_f32_e32 v9, v16, v16
	s_delay_alu instid0(VALU_DEP_1) | instskip(NEXT) | instid1(VALU_DEP_1)
	v_div_scale_f32 v10, null, v9, v9, v8
	v_rcp_f32_e32 v11, v10
	s_waitcnt_depctr 0xfff
	v_fma_f32 v17, -v10, v11, 1.0
	s_delay_alu instid0(VALU_DEP_1) | instskip(SKIP_1) | instid1(VALU_DEP_1)
	v_fmac_f32_e32 v11, v17, v11
	v_div_scale_f32 v17, vcc_lo, v8, v9, v8
	v_mul_f32_e32 v18, v17, v11
	s_delay_alu instid0(VALU_DEP_1) | instskip(NEXT) | instid1(VALU_DEP_1)
	v_fma_f32 v19, -v10, v18, v17
	v_fmac_f32_e32 v18, v19, v11
	s_delay_alu instid0(VALU_DEP_1) | instskip(NEXT) | instid1(VALU_DEP_1)
	v_fma_f32 v10, -v10, v18, v17
	v_div_fmas_f32 v10, v10, v11, v18
	s_delay_alu instid0(VALU_DEP_1)
	v_div_fixup_f32 v17, v10, v9, v8
                                        ; implicit-def: $vgpr10
                                        ; implicit-def: $vgpr9
                                        ; implicit-def: $vgpr8
	s_and_not1_saveexec_b32 s12, s12
	s_cbranch_execz .LBB303_267
	s_branch .LBB303_266
.LBB303_265:                            ;   in Loop: Header=BB303_177 Depth=1
	s_and_not1_saveexec_b32 s12, s12
	s_cbranch_execz .LBB303_267
.LBB303_266:                            ;   in Loop: Header=BB303_177 Depth=1
	v_sub_f32_e32 v9, v10, v9
	s_delay_alu instid0(VALU_DEP_1) | instskip(NEXT) | instid1(VALU_DEP_1)
	v_mul_f32_e32 v9, 0.5, v9
	v_mul_f32_e32 v10, 0x4f800000, v9
	v_cmp_gt_f32_e32 vcc_lo, 0xf800000, v9
	s_delay_alu instid0(VALU_DEP_2) | instskip(NEXT) | instid1(VALU_DEP_1)
	v_cndmask_b32_e32 v9, v9, v10, vcc_lo
	v_sqrt_f32_e32 v10, v9
	s_waitcnt_depctr 0xfff
	v_add_nc_u32_e32 v11, -1, v10
	v_add_nc_u32_e32 v16, 1, v10
	s_delay_alu instid0(VALU_DEP_2) | instskip(NEXT) | instid1(VALU_DEP_2)
	v_fma_f32 v17, -v11, v10, v9
	v_fma_f32 v18, -v16, v10, v9
	s_delay_alu instid0(VALU_DEP_2) | instskip(NEXT) | instid1(VALU_DEP_1)
	v_cmp_ge_f32_e64 s1, 0, v17
	v_cndmask_b32_e64 v10, v10, v11, s1
	s_delay_alu instid0(VALU_DEP_3) | instskip(NEXT) | instid1(VALU_DEP_1)
	v_cmp_lt_f32_e64 s1, 0, v18
	v_cndmask_b32_e64 v10, v10, v16, s1
	s_delay_alu instid0(VALU_DEP_1) | instskip(NEXT) | instid1(VALU_DEP_1)
	v_mul_f32_e32 v11, 0x37800000, v10
	v_cndmask_b32_e32 v10, v10, v11, vcc_lo
	v_cmp_class_f32_e64 vcc_lo, v9, 0x260
	s_delay_alu instid0(VALU_DEP_2) | instskip(NEXT) | instid1(VALU_DEP_1)
	v_dual_cndmask_b32 v9, v10, v9 :: v_dual_and_b32 v10, 0x7fffffff, v8
	v_add_f32_e32 v11, v9, v9
	s_delay_alu instid0(VALU_DEP_1) | instskip(SKIP_1) | instid1(VALU_DEP_2)
	v_div_scale_f32 v16, null, v11, v11, v10
	v_div_scale_f32 v10, vcc_lo, v10, v11, v10
	v_rcp_f32_e32 v17, v16
	s_waitcnt_depctr 0xfff
	v_fma_f32 v18, -v16, v17, 1.0
	s_delay_alu instid0(VALU_DEP_1) | instskip(NEXT) | instid1(VALU_DEP_1)
	v_fmac_f32_e32 v17, v18, v17
	v_mul_f32_e32 v18, v10, v17
	s_delay_alu instid0(VALU_DEP_1) | instskip(NEXT) | instid1(VALU_DEP_1)
	v_fma_f32 v19, -v16, v18, v10
	v_fmac_f32_e32 v18, v19, v17
	s_delay_alu instid0(VALU_DEP_1) | instskip(NEXT) | instid1(VALU_DEP_1)
	v_fma_f32 v10, -v16, v18, v10
	v_div_fmas_f32 v10, v10, v17, v18
	v_bfi_b32 v17, 0x7fffffff, v9, v8
	s_delay_alu instid0(VALU_DEP_2)
	v_div_fixup_f32 v16, v10, v11, |v8|
.LBB303_267:                            ;   in Loop: Header=BB303_177 Depth=1
	s_or_b32 exec_lo, exec_lo, s12
                                        ; implicit-def: $vgpr10
                                        ; implicit-def: $vgpr11
	s_and_saveexec_b32 s1, s0
	s_delay_alu instid0(SALU_CYCLE_1)
	s_xor_b32 s0, exec_lo, s1
	s_cbranch_execz .LBB303_269
; %bb.268:                              ;   in Loop: Header=BB303_177 Depth=1
	v_dual_mul_f32 v8, 0.5, v16 :: v_dual_mul_f32 v9, 0.5, v17
	s_delay_alu instid0(VALU_DEP_1) | instskip(NEXT) | instid1(VALU_DEP_2)
	v_cndmask_b32_e64 v11, v16, v8, s11
	v_cndmask_b32_e64 v10, v17, v9, s11
                                        ; implicit-def: $vgpr16
                                        ; implicit-def: $vgpr17
	s_and_not1_saveexec_b32 s0, s0
	s_cbranch_execnz .LBB303_270
	s_branch .LBB303_271
.LBB303_269:                            ;   in Loop: Header=BB303_177 Depth=1
	s_and_not1_saveexec_b32 s0, s0
.LBB303_270:                            ;   in Loop: Header=BB303_177 Depth=1
	v_dual_add_f32 v11, v16, v16 :: v_dual_add_f32 v10, v17, v17
.LBB303_271:                            ;   in Loop: Header=BB303_177 Depth=1
	s_or_b32 exec_lo, exec_lo, s0
.LBB303_272:                            ;   in Loop: Header=BB303_177 Depth=1
	s_and_not1_saveexec_b32 s0, s10
	s_cbranch_execz .LBB303_278
; %bb.273:                              ;   in Loop: Header=BB303_177 Depth=1
	v_sub_f32_e32 v8, v1, v1
	s_mov_b32 s1, exec_lo
                                        ; implicit-def: $vgpr10
	v_cmpx_lt_i32_e32 -1, v0
	s_xor_b32 s1, exec_lo, s1
; %bb.274:                              ;   in Loop: Header=BB303_177 Depth=1
	s_delay_alu instid0(VALU_DEP_2)
	v_bfi_b32 v10, 0x7fffffff, v8, v1
                                        ; implicit-def: $vgpr8
; %bb.275:                              ;   in Loop: Header=BB303_177 Depth=1
	s_or_saveexec_b32 s1, s1
	v_mov_b32_e32 v11, v0
	s_xor_b32 exec_lo, exec_lo, s1
; %bb.276:                              ;   in Loop: Header=BB303_177 Depth=1
	v_and_b32_e32 v11, 0x7fffffff, v8
	v_bfi_b32 v10, 0x7fffffff, v0, v1
; %bb.277:                              ;   in Loop: Header=BB303_177 Depth=1
	s_or_b32 exec_lo, exec_lo, s1
.LBB303_278:                            ;   in Loop: Header=BB303_177 Depth=1
	s_delay_alu instid0(SALU_CYCLE_1)
	s_or_b32 exec_lo, exec_lo, s0
.LBB303_279:                            ;   in Loop: Header=BB303_177 Depth=1
	s_and_not1_saveexec_b32 s0, s7
; %bb.280:                              ;   in Loop: Header=BB303_177 Depth=1
	v_sub_f32_e32 v1, v1, v1
	s_delay_alu instid0(VALU_DEP_1) | instskip(NEXT) | instid1(VALU_DEP_1)
	v_div_scale_f32 v8, vcc_lo, v1, v1, v1
	v_rcp_f32_e32 v9, v8
	s_waitcnt_depctr 0xfff
	v_fma_f32 v10, -v8, v9, 1.0
	s_delay_alu instid0(VALU_DEP_1) | instskip(NEXT) | instid1(VALU_DEP_1)
	v_fmac_f32_e32 v9, v10, v9
	v_mul_f32_e32 v10, v8, v9
	s_delay_alu instid0(VALU_DEP_1) | instskip(NEXT) | instid1(VALU_DEP_1)
	v_fma_f32 v11, -v8, v10, v8
	v_dual_fmac_f32 v10, v11, v9 :: v_dual_mov_b32 v11, v0
	s_delay_alu instid0(VALU_DEP_1) | instskip(NEXT) | instid1(VALU_DEP_1)
	v_fma_f32 v8, -v8, v10, v8
	v_div_fmas_f32 v8, v8, v9, v10
	s_delay_alu instid0(VALU_DEP_1)
	v_div_fixup_f32 v10, v8, v1, v1
; %bb.281:                              ;   in Loop: Header=BB303_177 Depth=1
	s_or_b32 exec_lo, exec_lo, s0
.LBB303_282:                            ;   in Loop: Header=BB303_177 Depth=1
	s_delay_alu instid0(SALU_CYCLE_1)
	s_or_b32 exec_lo, exec_lo, s6
.LBB303_283:                            ;   in Loop: Header=BB303_177 Depth=1
	s_delay_alu instid0(SALU_CYCLE_1)
	s_or_b32 exec_lo, exec_lo, s5
	v_cmp_gt_f32_e32 vcc_lo, 0, v11
                                        ; implicit-def: $vgpr9
	s_mov_b32 s0, exec_lo
	v_cndmask_b32_e64 v0, v11, -v11, vcc_lo
	v_cmp_gt_f32_e32 vcc_lo, 0, v10
	v_cndmask_b32_e64 v1, v10, -v10, vcc_lo
	s_delay_alu instid0(VALU_DEP_1)
	v_cmpx_ge_f32_e32 v0, v1
	s_xor_b32 s1, exec_lo, s0
	s_cbranch_execz .LBB303_289
; %bb.284:                              ;   in Loop: Header=BB303_177 Depth=1
	v_cmp_neq_f32_e32 vcc_lo, 0, v11
	v_cmp_neq_f32_e64 s0, 0, v10
                                        ; implicit-def: $vgpr9
	s_delay_alu instid0(VALU_DEP_1) | instskip(NEXT) | instid1(SALU_CYCLE_1)
	s_or_b32 s0, vcc_lo, s0
	s_and_saveexec_b32 s5, s0
	s_delay_alu instid0(SALU_CYCLE_1)
	s_xor_b32 s0, exec_lo, s5
	s_cbranch_execz .LBB303_286
; %bb.285:                              ;   in Loop: Header=BB303_177 Depth=1
	v_div_scale_f32 v0, null, v11, v11, v10
	v_div_scale_f32 v9, vcc_lo, v10, v11, v10
	s_delay_alu instid0(VALU_DEP_2) | instskip(SKIP_2) | instid1(VALU_DEP_1)
	v_rcp_f32_e32 v1, v0
	s_waitcnt_depctr 0xfff
	v_fma_f32 v8, -v0, v1, 1.0
	v_fmac_f32_e32 v1, v8, v1
	s_delay_alu instid0(VALU_DEP_1) | instskip(NEXT) | instid1(VALU_DEP_1)
	v_mul_f32_e32 v8, v9, v1
	v_fma_f32 v16, -v0, v8, v9
	s_delay_alu instid0(VALU_DEP_1) | instskip(NEXT) | instid1(VALU_DEP_1)
	v_fmac_f32_e32 v8, v16, v1
	v_fma_f32 v0, -v0, v8, v9
	s_delay_alu instid0(VALU_DEP_1) | instskip(NEXT) | instid1(VALU_DEP_1)
	v_div_fmas_f32 v0, v0, v1, v8
	v_div_fixup_f32 v0, v0, v11, v10
	s_delay_alu instid0(VALU_DEP_1) | instskip(NEXT) | instid1(VALU_DEP_1)
	v_fmac_f32_e32 v11, v10, v0
	v_div_scale_f32 v1, null, v11, v11, 1.0
	v_div_scale_f32 v10, vcc_lo, 1.0, v11, 1.0
	s_delay_alu instid0(VALU_DEP_2) | instskip(SKIP_2) | instid1(VALU_DEP_1)
	v_rcp_f32_e32 v8, v1
	s_waitcnt_depctr 0xfff
	v_fma_f32 v9, -v1, v8, 1.0
	v_fmac_f32_e32 v8, v9, v8
	s_delay_alu instid0(VALU_DEP_1) | instskip(NEXT) | instid1(VALU_DEP_1)
	v_mul_f32_e32 v9, v10, v8
	v_fma_f32 v16, -v1, v9, v10
	s_delay_alu instid0(VALU_DEP_1) | instskip(NEXT) | instid1(VALU_DEP_1)
	v_fmac_f32_e32 v9, v16, v8
	v_fma_f32 v1, -v1, v9, v10
	s_delay_alu instid0(VALU_DEP_1) | instskip(SKIP_1) | instid1(VALU_DEP_2)
	v_div_fmas_f32 v1, v1, v8, v9
	v_fma_f32 v8, v0, 0, 1.0
	v_div_fixup_f32 v1, v1, v11, 1.0
	s_delay_alu instid0(VALU_DEP_1)
	v_mul_f32_e32 v8, v8, v1
	v_mul_f32_e64 v9, -v0, v1
                                        ; implicit-def: $vgpr0
                                        ; implicit-def: $vgpr1
.LBB303_286:                            ;   in Loop: Header=BB303_177 Depth=1
	s_and_not1_saveexec_b32 s5, s0
	s_cbranch_execz .LBB303_288
; %bb.287:                              ;   in Loop: Header=BB303_177 Depth=1
	v_div_scale_f32 v8, null, v0, v0, 1.0
	v_div_scale_f32 v9, null, v1, v1, 0
	v_div_scale_f32 v18, vcc_lo, 1.0, v0, 1.0
	s_delay_alu instid0(VALU_DEP_3) | instskip(NEXT) | instid1(VALU_DEP_2)
	v_rcp_f32_e32 v10, v8
	v_rcp_f32_e32 v11, v9
	s_waitcnt_depctr 0xfff
	v_fma_f32 v16, -v8, v10, 1.0
	v_fma_f32 v17, -v9, v11, 1.0
	s_delay_alu instid0(VALU_DEP_1) | instskip(SKIP_1) | instid1(VALU_DEP_2)
	v_dual_fmac_f32 v10, v16, v10 :: v_dual_fmac_f32 v11, v17, v11
	v_div_scale_f32 v16, s0, 0, v1, 0
	v_mul_f32_e32 v17, v18, v10
	s_delay_alu instid0(VALU_DEP_2) | instskip(NEXT) | instid1(VALU_DEP_2)
	v_mul_f32_e32 v19, v16, v11
	v_fma_f32 v20, -v8, v17, v18
	s_delay_alu instid0(VALU_DEP_2) | instskip(NEXT) | instid1(VALU_DEP_2)
	v_fma_f32 v21, -v9, v19, v16
	v_fmac_f32_e32 v17, v20, v10
	s_delay_alu instid0(VALU_DEP_2) | instskip(NEXT) | instid1(VALU_DEP_2)
	v_fmac_f32_e32 v19, v21, v11
	v_fma_f32 v8, -v8, v17, v18
	s_delay_alu instid0(VALU_DEP_2) | instskip(NEXT) | instid1(VALU_DEP_2)
	v_fma_f32 v9, -v9, v19, v16
	v_div_fmas_f32 v8, v8, v10, v17
	s_mov_b32 vcc_lo, s0
	s_delay_alu instid0(VALU_DEP_2) | instskip(NEXT) | instid1(VALU_DEP_2)
	v_div_fmas_f32 v9, v9, v11, v19
	v_div_fixup_f32 v8, v8, v0, 1.0
	s_delay_alu instid0(VALU_DEP_2)
	v_div_fixup_f32 v9, v9, v1, 0
.LBB303_288:                            ;   in Loop: Header=BB303_177 Depth=1
	s_or_b32 exec_lo, exec_lo, s5
                                        ; implicit-def: $vgpr10
                                        ; implicit-def: $vgpr11
.LBB303_289:                            ;   in Loop: Header=BB303_177 Depth=1
	s_and_not1_saveexec_b32 s0, s1
	s_cbranch_execz .LBB303_291
; %bb.290:                              ;   in Loop: Header=BB303_177 Depth=1
	v_div_scale_f32 v0, null, v10, v10, v11
	v_div_scale_f32 v9, vcc_lo, v11, v10, v11
	s_delay_alu instid0(VALU_DEP_2) | instskip(SKIP_2) | instid1(VALU_DEP_1)
	v_rcp_f32_e32 v1, v0
	s_waitcnt_depctr 0xfff
	v_fma_f32 v8, -v0, v1, 1.0
	v_fmac_f32_e32 v1, v8, v1
	s_delay_alu instid0(VALU_DEP_1) | instskip(NEXT) | instid1(VALU_DEP_1)
	v_mul_f32_e32 v8, v9, v1
	v_fma_f32 v16, -v0, v8, v9
	s_delay_alu instid0(VALU_DEP_1) | instskip(NEXT) | instid1(VALU_DEP_1)
	v_fmac_f32_e32 v8, v16, v1
	v_fma_f32 v0, -v0, v8, v9
	s_delay_alu instid0(VALU_DEP_1) | instskip(NEXT) | instid1(VALU_DEP_1)
	v_div_fmas_f32 v0, v0, v1, v8
	v_div_fixup_f32 v0, v0, v10, v11
	s_delay_alu instid0(VALU_DEP_1) | instskip(NEXT) | instid1(VALU_DEP_1)
	v_fmac_f32_e32 v10, v11, v0
	v_div_scale_f32 v1, null, v10, v10, 1.0
	v_div_scale_f32 v11, vcc_lo, 1.0, v10, 1.0
	s_delay_alu instid0(VALU_DEP_2) | instskip(SKIP_2) | instid1(VALU_DEP_1)
	v_rcp_f32_e32 v8, v1
	s_waitcnt_depctr 0xfff
	v_fma_f32 v9, -v1, v8, 1.0
	v_fmac_f32_e32 v8, v9, v8
	s_delay_alu instid0(VALU_DEP_1) | instskip(NEXT) | instid1(VALU_DEP_1)
	v_mul_f32_e32 v9, v11, v8
	v_fma_f32 v16, -v1, v9, v11
	s_delay_alu instid0(VALU_DEP_1) | instskip(NEXT) | instid1(VALU_DEP_1)
	v_fmac_f32_e32 v9, v16, v8
	v_fma_f32 v1, -v1, v9, v11
	s_delay_alu instid0(VALU_DEP_1) | instskip(SKIP_2) | instid1(VALU_DEP_3)
	v_div_fmas_f32 v1, v1, v8, v9
	v_add_f32_e32 v8, 0, v0
	v_fma_f32 v0, v0, 0, -1.0
	v_div_fixup_f32 v1, v1, v10, 1.0
	s_delay_alu instid0(VALU_DEP_1) | instskip(NEXT) | instid1(VALU_DEP_3)
	v_mul_f32_e32 v8, v8, v1
	v_mul_f32_e32 v9, v0, v1
.LBB303_291:                            ;   in Loop: Header=BB303_177 Depth=1
	s_or_b32 exec_lo, exec_lo, s0
	v_cmp_neq_f32_e32 vcc_lo, 0, v2
	v_cmp_neq_f32_e64 s0, 0, v3
	v_mov_b32_e32 v0, 0
	s_delay_alu instid0(VALU_DEP_2) | instskip(NEXT) | instid1(SALU_CYCLE_1)
	s_or_b32 s0, vcc_lo, s0
	s_and_saveexec_b32 s5, s0
	s_cbranch_execz .LBB303_321
; %bb.292:                              ;   in Loop: Header=BB303_177 Depth=1
	v_mov_b32_e32 v0, 0x7f800000
	s_mov_b32 s6, exec_lo
	v_cmpx_neq_f32_e64 0x7f800000, |v3|
	s_cbranch_execz .LBB303_320
; %bb.293:                              ;   in Loop: Header=BB303_177 Depth=1
	s_mov_b32 s0, exec_lo
	v_cmpx_o_f32_e32 v2, v2
	s_xor_b32 s7, exec_lo, s0
	s_cbranch_execz .LBB303_317
; %bb.294:                              ;   in Loop: Header=BB303_177 Depth=1
	s_mov_b32 s1, exec_lo
	v_cmpx_neq_f32_e64 0x7f800000, |v2|
	s_xor_b32 s10, exec_lo, s1
	s_cbranch_execz .LBB303_310
; %bb.295:                              ;   in Loop: Header=BB303_177 Depth=1
	v_max_f32_e64 v0, |v3|, |v3|
	v_max_f32_e64 v1, |v2|, |v2|
                                        ; implicit-def: $sgpr11
	s_delay_alu instid0(VALU_DEP_1) | instskip(NEXT) | instid1(VALU_DEP_1)
	v_max_f32_e32 v0, v1, v0
	v_cmp_nle_f32_e64 s0, 0x7ed413cb, v0
	s_delay_alu instid0(VALU_DEP_1) | instskip(NEXT) | instid1(SALU_CYCLE_1)
	s_and_saveexec_b32 s1, s0
	s_xor_b32 s1, exec_lo, s1
	s_cbranch_execz .LBB303_299
; %bb.296:                              ;   in Loop: Header=BB303_177 Depth=1
	v_cmp_ge_f32_e64 s11, 0x1000000, |v2|
	v_cmp_ge_f32_e64 s12, 0x1000000, |v3|
	s_delay_alu instid0(VALU_DEP_1)
	s_and_b32 s13, s11, s12
	s_mov_b32 s11, 0
	s_and_saveexec_b32 s12, s13
; %bb.297:                              ;   in Loop: Header=BB303_177 Depth=1
	v_dual_mul_f32 v2, 4.0, v2 :: v_dual_mul_f32 v3, 4.0, v3
	s_mov_b32 s11, exec_lo
; %bb.298:                              ;   in Loop: Header=BB303_177 Depth=1
	s_or_b32 exec_lo, exec_lo, s12
	s_delay_alu instid0(SALU_CYCLE_1)
	s_and_b32 s11, s11, exec_lo
.LBB303_299:                            ;   in Loop: Header=BB303_177 Depth=1
	s_and_not1_saveexec_b32 s1, s1
; %bb.300:                              ;   in Loop: Header=BB303_177 Depth=1
	v_dual_mul_f32 v2, 0x3e800000, v2 :: v_dual_mul_f32 v3, 0x3e800000, v3
	s_and_not1_b32 s11, s11, exec_lo
; %bb.301:                              ;   in Loop: Header=BB303_177 Depth=1
	s_or_b32 exec_lo, exec_lo, s1
	s_delay_alu instid0(VALU_DEP_1) | instskip(NEXT) | instid1(VALU_DEP_2)
	v_max_f32_e64 v0, |v3|, |v3|
	v_max_f32_e64 v1, |v2|, |v2|
	s_delay_alu instid0(VALU_DEP_1) | instskip(NEXT) | instid1(VALU_DEP_1)
	v_max_f32_e32 v10, v1, v0
	v_cvt_f64_f32_e32 v[0:1], v10
	s_delay_alu instid0(VALU_DEP_1) | instskip(NEXT) | instid1(VALU_DEP_1)
	v_frexp_exp_i32_f64_e32 v0, v[0:1]
	v_sub_nc_u32_e32 v1, 0, v0
	s_delay_alu instid0(VALU_DEP_1) | instskip(SKIP_1) | instid1(VALU_DEP_2)
	v_ldexp_f32 v11, |v3|, v1
	v_ldexp_f32 v1, |v2|, v1
	v_mul_f32_e32 v11, v11, v11
	v_cmp_neq_f32_e64 s1, 0x7f800000, v10
	s_delay_alu instid0(VALU_DEP_2) | instskip(NEXT) | instid1(VALU_DEP_1)
	v_fmac_f32_e32 v11, v1, v1
	v_sqrt_f32_e32 v1, v11
	s_waitcnt_depctr 0xfff
	v_ldexp_f32 v0, v1, v0
                                        ; implicit-def: $vgpr1
	s_delay_alu instid0(VALU_DEP_1)
	v_cndmask_b32_e64 v10, 0x7f800000, v0, s1
                                        ; implicit-def: $vgpr0
	s_mov_b32 s1, exec_lo
	v_cmpx_le_f32_e32 0, v2
	s_xor_b32 s12, exec_lo, s1
	s_cbranch_execz .LBB303_303
; %bb.302:                              ;   in Loop: Header=BB303_177 Depth=1
	v_add_f32_e32 v0, v2, v10
	s_delay_alu instid0(VALU_DEP_1) | instskip(NEXT) | instid1(VALU_DEP_1)
	v_mul_f32_e32 v0, 0.5, v0
	v_mul_f32_e32 v1, 0x4f800000, v0
	v_cmp_gt_f32_e32 vcc_lo, 0xf800000, v0
	s_delay_alu instid0(VALU_DEP_2) | instskip(NEXT) | instid1(VALU_DEP_1)
	v_cndmask_b32_e32 v0, v0, v1, vcc_lo
	v_sqrt_f32_e32 v1, v0
	s_waitcnt_depctr 0xfff
	v_add_nc_u32_e32 v2, -1, v1
	v_add_nc_u32_e32 v10, 1, v1
	s_delay_alu instid0(VALU_DEP_2) | instskip(NEXT) | instid1(VALU_DEP_2)
	v_fma_f32 v11, -v2, v1, v0
	v_fma_f32 v16, -v10, v1, v0
	s_delay_alu instid0(VALU_DEP_2) | instskip(NEXT) | instid1(VALU_DEP_1)
	v_cmp_ge_f32_e64 s1, 0, v11
	v_cndmask_b32_e64 v1, v1, v2, s1
	s_delay_alu instid0(VALU_DEP_3) | instskip(NEXT) | instid1(VALU_DEP_1)
	v_cmp_lt_f32_e64 s1, 0, v16
	v_cndmask_b32_e64 v1, v1, v10, s1
	s_delay_alu instid0(VALU_DEP_1) | instskip(NEXT) | instid1(VALU_DEP_1)
	v_mul_f32_e32 v2, 0x37800000, v1
	v_cndmask_b32_e32 v1, v1, v2, vcc_lo
	v_cmp_class_f32_e64 vcc_lo, v0, 0x260
	s_delay_alu instid0(VALU_DEP_2) | instskip(NEXT) | instid1(VALU_DEP_1)
	v_cndmask_b32_e32 v0, v1, v0, vcc_lo
	v_add_f32_e32 v1, v0, v0
	s_delay_alu instid0(VALU_DEP_1) | instskip(NEXT) | instid1(VALU_DEP_1)
	v_div_scale_f32 v2, null, v1, v1, v3
	v_rcp_f32_e32 v10, v2
	s_waitcnt_depctr 0xfff
	v_fma_f32 v11, -v2, v10, 1.0
	s_delay_alu instid0(VALU_DEP_1) | instskip(SKIP_1) | instid1(VALU_DEP_1)
	v_fmac_f32_e32 v10, v11, v10
	v_div_scale_f32 v11, vcc_lo, v3, v1, v3
	v_mul_f32_e32 v16, v11, v10
	s_delay_alu instid0(VALU_DEP_1) | instskip(NEXT) | instid1(VALU_DEP_1)
	v_fma_f32 v17, -v2, v16, v11
	v_fmac_f32_e32 v16, v17, v10
	s_delay_alu instid0(VALU_DEP_1) | instskip(NEXT) | instid1(VALU_DEP_1)
	v_fma_f32 v2, -v2, v16, v11
	v_div_fmas_f32 v2, v2, v10, v16
                                        ; implicit-def: $vgpr10
	s_delay_alu instid0(VALU_DEP_1)
	v_div_fixup_f32 v1, v2, v1, v3
                                        ; implicit-def: $vgpr2
	s_and_not1_saveexec_b32 s12, s12
	s_cbranch_execz .LBB303_305
	s_branch .LBB303_304
.LBB303_303:                            ;   in Loop: Header=BB303_177 Depth=1
	s_and_not1_saveexec_b32 s12, s12
	s_cbranch_execz .LBB303_305
.LBB303_304:                            ;   in Loop: Header=BB303_177 Depth=1
	v_sub_f32_e32 v0, v10, v2
	s_delay_alu instid0(VALU_DEP_1) | instskip(NEXT) | instid1(VALU_DEP_1)
	v_mul_f32_e32 v0, 0.5, v0
	v_mul_f32_e32 v1, 0x4f800000, v0
	v_cmp_gt_f32_e32 vcc_lo, 0xf800000, v0
	s_delay_alu instid0(VALU_DEP_2) | instskip(NEXT) | instid1(VALU_DEP_1)
	v_cndmask_b32_e32 v0, v0, v1, vcc_lo
	v_sqrt_f32_e32 v1, v0
	s_waitcnt_depctr 0xfff
	v_add_nc_u32_e32 v2, -1, v1
	v_add_nc_u32_e32 v10, 1, v1
	s_delay_alu instid0(VALU_DEP_2) | instskip(NEXT) | instid1(VALU_DEP_2)
	v_fma_f32 v11, -v2, v1, v0
	v_fma_f32 v16, -v10, v1, v0
	s_delay_alu instid0(VALU_DEP_2) | instskip(NEXT) | instid1(VALU_DEP_1)
	v_cmp_ge_f32_e64 s1, 0, v11
	v_cndmask_b32_e64 v1, v1, v2, s1
	s_delay_alu instid0(VALU_DEP_3) | instskip(NEXT) | instid1(VALU_DEP_1)
	v_cmp_lt_f32_e64 s1, 0, v16
	v_cndmask_b32_e64 v1, v1, v10, s1
	s_delay_alu instid0(VALU_DEP_1) | instskip(NEXT) | instid1(VALU_DEP_1)
	v_mul_f32_e32 v2, 0x37800000, v1
	v_cndmask_b32_e32 v1, v1, v2, vcc_lo
	v_cmp_class_f32_e64 vcc_lo, v0, 0x260
	s_delay_alu instid0(VALU_DEP_2) | instskip(NEXT) | instid1(VALU_DEP_1)
	v_dual_cndmask_b32 v1, v1, v0 :: v_dual_and_b32 v0, 0x7fffffff, v3
	v_add_f32_e32 v2, v1, v1
	v_bfi_b32 v1, 0x7fffffff, v1, v3
	s_delay_alu instid0(VALU_DEP_2) | instskip(SKIP_1) | instid1(VALU_DEP_2)
	v_div_scale_f32 v10, null, v2, v2, v0
	v_div_scale_f32 v0, vcc_lo, v0, v2, v0
	v_rcp_f32_e32 v11, v10
	s_waitcnt_depctr 0xfff
	v_fma_f32 v16, -v10, v11, 1.0
	s_delay_alu instid0(VALU_DEP_1) | instskip(NEXT) | instid1(VALU_DEP_1)
	v_fmac_f32_e32 v11, v16, v11
	v_mul_f32_e32 v16, v0, v11
	s_delay_alu instid0(VALU_DEP_1) | instskip(NEXT) | instid1(VALU_DEP_1)
	v_fma_f32 v17, -v10, v16, v0
	v_fmac_f32_e32 v16, v17, v11
	s_delay_alu instid0(VALU_DEP_1) | instskip(NEXT) | instid1(VALU_DEP_1)
	v_fma_f32 v0, -v10, v16, v0
	v_div_fmas_f32 v0, v0, v11, v16
	s_delay_alu instid0(VALU_DEP_1)
	v_div_fixup_f32 v0, v0, v2, |v3|
.LBB303_305:                            ;   in Loop: Header=BB303_177 Depth=1
	s_or_b32 exec_lo, exec_lo, s12
                                        ; implicit-def: $vgpr3
	s_and_saveexec_b32 s1, s0
	s_delay_alu instid0(SALU_CYCLE_1)
	s_xor_b32 s0, exec_lo, s1
	s_cbranch_execz .LBB303_307
; %bb.306:                              ;   in Loop: Header=BB303_177 Depth=1
	v_dual_mul_f32 v2, 0.5, v0 :: v_dual_mul_f32 v3, 0.5, v1
	s_delay_alu instid0(VALU_DEP_1) | instskip(NEXT) | instid1(VALU_DEP_2)
	v_cndmask_b32_e64 v2, v0, v2, s11
	v_cndmask_b32_e64 v3, v1, v3, s11
                                        ; implicit-def: $vgpr0
                                        ; implicit-def: $vgpr1
	s_and_not1_saveexec_b32 s0, s0
	s_cbranch_execnz .LBB303_308
	s_branch .LBB303_309
.LBB303_307:                            ;   in Loop: Header=BB303_177 Depth=1
	s_and_not1_saveexec_b32 s0, s0
.LBB303_308:                            ;   in Loop: Header=BB303_177 Depth=1
	v_dual_add_f32 v2, v0, v0 :: v_dual_add_f32 v3, v1, v1
.LBB303_309:                            ;   in Loop: Header=BB303_177 Depth=1
	s_or_b32 exec_lo, exec_lo, s0
.LBB303_310:                            ;   in Loop: Header=BB303_177 Depth=1
	s_and_not1_saveexec_b32 s0, s10
	s_cbranch_execz .LBB303_316
; %bb.311:                              ;   in Loop: Header=BB303_177 Depth=1
	s_delay_alu instid0(VALU_DEP_1)
	v_sub_f32_e32 v0, v3, v3
	s_mov_b32 s1, exec_lo
	v_cmpx_lt_i32_e32 -1, v2
	s_xor_b32 s1, exec_lo, s1
; %bb.312:                              ;   in Loop: Header=BB303_177 Depth=1
	s_delay_alu instid0(VALU_DEP_2)
	v_bfi_b32 v3, 0x7fffffff, v0, v3
                                        ; implicit-def: $vgpr0
; %bb.313:                              ;   in Loop: Header=BB303_177 Depth=1
	s_and_not1_saveexec_b32 s1, s1
; %bb.314:                              ;   in Loop: Header=BB303_177 Depth=1
	v_and_b32_e32 v0, 0x7fffffff, v0
	s_delay_alu instid0(VALU_DEP_2) | instskip(NEXT) | instid1(VALU_DEP_2)
	v_bfi_b32 v3, 0x7fffffff, v2, v3
	v_mov_b32_e32 v2, v0
; %bb.315:                              ;   in Loop: Header=BB303_177 Depth=1
	s_or_b32 exec_lo, exec_lo, s1
.LBB303_316:                            ;   in Loop: Header=BB303_177 Depth=1
	s_delay_alu instid0(SALU_CYCLE_1)
	s_or_b32 exec_lo, exec_lo, s0
.LBB303_317:                            ;   in Loop: Header=BB303_177 Depth=1
	s_and_not1_saveexec_b32 s0, s7
; %bb.318:                              ;   in Loop: Header=BB303_177 Depth=1
	v_sub_f32_e32 v0, v3, v3
	s_delay_alu instid0(VALU_DEP_1) | instskip(NEXT) | instid1(VALU_DEP_1)
	v_div_scale_f32 v1, vcc_lo, v0, v0, v0
	v_rcp_f32_e32 v3, v1
	s_waitcnt_depctr 0xfff
	v_fma_f32 v10, -v1, v3, 1.0
	s_delay_alu instid0(VALU_DEP_1) | instskip(NEXT) | instid1(VALU_DEP_1)
	v_fmac_f32_e32 v3, v10, v3
	v_mul_f32_e32 v10, v1, v3
	s_delay_alu instid0(VALU_DEP_1) | instskip(NEXT) | instid1(VALU_DEP_1)
	v_fma_f32 v11, -v1, v10, v1
	v_fmac_f32_e32 v10, v11, v3
	s_delay_alu instid0(VALU_DEP_1) | instskip(NEXT) | instid1(VALU_DEP_1)
	v_fma_f32 v1, -v1, v10, v1
	v_div_fmas_f32 v1, v1, v3, v10
	s_delay_alu instid0(VALU_DEP_1)
	v_div_fixup_f32 v3, v1, v0, v0
; %bb.319:                              ;   in Loop: Header=BB303_177 Depth=1
	s_or_b32 exec_lo, exec_lo, s0
	v_mov_b32_e32 v0, v2
.LBB303_320:                            ;   in Loop: Header=BB303_177 Depth=1
	s_or_b32 exec_lo, exec_lo, s6
.LBB303_321:                            ;   in Loop: Header=BB303_177 Depth=1
	s_delay_alu instid0(SALU_CYCLE_1) | instskip(NEXT) | instid1(VALU_DEP_1)
	s_or_b32 exec_lo, exec_lo, s5
	v_cmp_gt_f32_e32 vcc_lo, 0, v0
	s_mov_b32 s0, exec_lo
	v_cndmask_b32_e64 v1, v0, -v0, vcc_lo
	v_cmp_gt_f32_e32 vcc_lo, 0, v3
	v_cndmask_b32_e64 v2, v3, -v3, vcc_lo
	s_delay_alu instid0(VALU_DEP_1)
	v_cmpx_ge_f32_e32 v1, v2
	s_xor_b32 s1, exec_lo, s0
	s_cbranch_execz .LBB303_327
; %bb.322:                              ;   in Loop: Header=BB303_177 Depth=1
	v_cmp_neq_f32_e32 vcc_lo, 0, v0
	v_cmp_neq_f32_e64 s0, 0, v3
	s_delay_alu instid0(VALU_DEP_1) | instskip(NEXT) | instid1(SALU_CYCLE_1)
	s_or_b32 s0, vcc_lo, s0
	s_and_saveexec_b32 s5, s0
	s_delay_alu instid0(SALU_CYCLE_1)
	s_xor_b32 s0, exec_lo, s5
	s_cbranch_execz .LBB303_324
; %bb.323:                              ;   in Loop: Header=BB303_177 Depth=1
	v_div_scale_f32 v1, null, v0, v0, v3
	v_div_scale_f32 v11, vcc_lo, v3, v0, v3
	s_delay_alu instid0(VALU_DEP_2) | instskip(SKIP_2) | instid1(VALU_DEP_1)
	v_rcp_f32_e32 v2, v1
	s_waitcnt_depctr 0xfff
	v_fma_f32 v10, -v1, v2, 1.0
	v_fmac_f32_e32 v2, v10, v2
	s_delay_alu instid0(VALU_DEP_1) | instskip(NEXT) | instid1(VALU_DEP_1)
	v_mul_f32_e32 v10, v11, v2
	v_fma_f32 v16, -v1, v10, v11
	s_delay_alu instid0(VALU_DEP_1) | instskip(NEXT) | instid1(VALU_DEP_1)
	v_fmac_f32_e32 v10, v16, v2
	v_fma_f32 v1, -v1, v10, v11
	s_delay_alu instid0(VALU_DEP_1) | instskip(NEXT) | instid1(VALU_DEP_1)
	v_div_fmas_f32 v1, v1, v2, v10
	v_div_fixup_f32 v1, v1, v0, v3
	s_delay_alu instid0(VALU_DEP_1) | instskip(NEXT) | instid1(VALU_DEP_1)
	v_fmac_f32_e32 v0, v3, v1
	v_div_scale_f32 v2, null, v0, v0, 1.0
	s_delay_alu instid0(VALU_DEP_1) | instskip(SKIP_2) | instid1(VALU_DEP_1)
	v_rcp_f32_e32 v3, v2
	s_waitcnt_depctr 0xfff
	v_fma_f32 v10, -v2, v3, 1.0
	v_fmac_f32_e32 v3, v10, v3
	v_div_scale_f32 v11, vcc_lo, 1.0, v0, 1.0
	s_delay_alu instid0(VALU_DEP_1) | instskip(NEXT) | instid1(VALU_DEP_1)
	v_mul_f32_e32 v10, v11, v3
	v_fma_f32 v16, -v2, v10, v11
	s_delay_alu instid0(VALU_DEP_1) | instskip(NEXT) | instid1(VALU_DEP_1)
	v_fmac_f32_e32 v10, v16, v3
	v_fma_f32 v2, -v2, v10, v11
	s_delay_alu instid0(VALU_DEP_1) | instskip(SKIP_1) | instid1(VALU_DEP_2)
	v_div_fmas_f32 v2, v2, v3, v10
	v_fma_f32 v3, v1, 0, 1.0
	v_div_fixup_f32 v0, v2, v0, 1.0
                                        ; implicit-def: $vgpr2
	s_delay_alu instid0(VALU_DEP_1)
	v_mul_f32_e32 v10, v3, v0
	v_mul_f32_e64 v11, -v1, v0
                                        ; implicit-def: $vgpr1
.LBB303_324:                            ;   in Loop: Header=BB303_177 Depth=1
	s_and_not1_saveexec_b32 s5, s0
	s_cbranch_execz .LBB303_326
; %bb.325:                              ;   in Loop: Header=BB303_177 Depth=1
	v_div_scale_f32 v0, null, v1, v1, 1.0
	v_div_scale_f32 v3, null, v2, v2, 0
	v_div_scale_f32 v18, vcc_lo, 1.0, v1, 1.0
	s_delay_alu instid0(VALU_DEP_3) | instskip(NEXT) | instid1(VALU_DEP_2)
	v_rcp_f32_e32 v10, v0
	v_rcp_f32_e32 v11, v3
	s_waitcnt_depctr 0xfff
	v_fma_f32 v16, -v0, v10, 1.0
	v_fma_f32 v17, -v3, v11, 1.0
	s_delay_alu instid0(VALU_DEP_1) | instskip(SKIP_1) | instid1(VALU_DEP_2)
	v_dual_fmac_f32 v10, v16, v10 :: v_dual_fmac_f32 v11, v17, v11
	v_div_scale_f32 v16, s0, 0, v2, 0
	v_mul_f32_e32 v17, v18, v10
	s_delay_alu instid0(VALU_DEP_2) | instskip(NEXT) | instid1(VALU_DEP_2)
	v_mul_f32_e32 v19, v16, v11
	v_fma_f32 v20, -v0, v17, v18
	s_delay_alu instid0(VALU_DEP_2) | instskip(NEXT) | instid1(VALU_DEP_2)
	v_fma_f32 v21, -v3, v19, v16
	v_fmac_f32_e32 v17, v20, v10
	s_delay_alu instid0(VALU_DEP_2) | instskip(NEXT) | instid1(VALU_DEP_2)
	v_fmac_f32_e32 v19, v21, v11
	v_fma_f32 v0, -v0, v17, v18
	s_delay_alu instid0(VALU_DEP_2) | instskip(NEXT) | instid1(VALU_DEP_2)
	v_fma_f32 v3, -v3, v19, v16
	v_div_fmas_f32 v0, v0, v10, v17
	s_mov_b32 vcc_lo, s0
	s_delay_alu instid0(VALU_DEP_2) | instskip(NEXT) | instid1(VALU_DEP_2)
	v_div_fmas_f32 v3, v3, v11, v19
	v_div_fixup_f32 v10, v0, v1, 1.0
	s_delay_alu instid0(VALU_DEP_2)
	v_div_fixup_f32 v11, v3, v2, 0
.LBB303_326:                            ;   in Loop: Header=BB303_177 Depth=1
	s_or_b32 exec_lo, exec_lo, s5
                                        ; implicit-def: $vgpr3
                                        ; implicit-def: $vgpr0
.LBB303_327:                            ;   in Loop: Header=BB303_177 Depth=1
	s_and_not1_saveexec_b32 s0, s1
	s_cbranch_execz .LBB303_176
; %bb.328:                              ;   in Loop: Header=BB303_177 Depth=1
	v_div_scale_f32 v1, null, v3, v3, v0
	v_div_scale_f32 v11, vcc_lo, v0, v3, v0
	s_delay_alu instid0(VALU_DEP_2) | instskip(SKIP_2) | instid1(VALU_DEP_1)
	v_rcp_f32_e32 v2, v1
	s_waitcnt_depctr 0xfff
	v_fma_f32 v10, -v1, v2, 1.0
	v_fmac_f32_e32 v2, v10, v2
	s_delay_alu instid0(VALU_DEP_1) | instskip(NEXT) | instid1(VALU_DEP_1)
	v_mul_f32_e32 v10, v11, v2
	v_fma_f32 v16, -v1, v10, v11
	s_delay_alu instid0(VALU_DEP_1) | instskip(NEXT) | instid1(VALU_DEP_1)
	v_fmac_f32_e32 v10, v16, v2
	v_fma_f32 v1, -v1, v10, v11
	s_delay_alu instid0(VALU_DEP_1) | instskip(NEXT) | instid1(VALU_DEP_1)
	v_div_fmas_f32 v1, v1, v2, v10
	v_div_fixup_f32 v1, v1, v3, v0
	s_delay_alu instid0(VALU_DEP_1) | instskip(NEXT) | instid1(VALU_DEP_1)
	v_fmac_f32_e32 v3, v0, v1
	v_div_scale_f32 v0, null, v3, v3, 1.0
	v_div_scale_f32 v11, vcc_lo, 1.0, v3, 1.0
	s_delay_alu instid0(VALU_DEP_2) | instskip(SKIP_2) | instid1(VALU_DEP_1)
	v_rcp_f32_e32 v2, v0
	s_waitcnt_depctr 0xfff
	v_fma_f32 v10, -v0, v2, 1.0
	v_fmac_f32_e32 v2, v10, v2
	s_delay_alu instid0(VALU_DEP_1) | instskip(NEXT) | instid1(VALU_DEP_1)
	v_mul_f32_e32 v10, v11, v2
	v_fma_f32 v16, -v0, v10, v11
	s_delay_alu instid0(VALU_DEP_1) | instskip(NEXT) | instid1(VALU_DEP_1)
	v_fmac_f32_e32 v10, v16, v2
	v_fma_f32 v0, -v0, v10, v11
	s_delay_alu instid0(VALU_DEP_1) | instskip(SKIP_2) | instid1(VALU_DEP_3)
	v_div_fmas_f32 v0, v0, v2, v10
	v_add_f32_e32 v2, 0, v1
	v_fma_f32 v1, v1, 0, -1.0
	v_div_fixup_f32 v0, v0, v3, 1.0
	s_delay_alu instid0(VALU_DEP_1) | instskip(NEXT) | instid1(VALU_DEP_4)
	v_mul_f32_e32 v11, v1, v0
	v_mul_f32_e32 v10, v2, v0
	s_branch .LBB303_176
.LBB303_329:
	s_nop 0
	s_sendmsg sendmsg(MSG_DEALLOC_VGPRS)
	s_endpgm
	.section	.rodata,"a",@progbits
	.p2align	6, 0x0
	.amdhsa_kernel _ZN2at6native12_GLOBAL__N_125multi_tensor_apply_kernelINS1_18TensorListMetadataILi1EEENS1_14UnaryOpFunctorIN3c107complexIfEELi1ELi1ELi0EEEJNS0_5RsqrtIS8_EEEEEvT_T0_DpT1_
		.amdhsa_group_segment_fixed_size 0
		.amdhsa_private_segment_fixed_size 0
		.amdhsa_kernarg_size 3632
		.amdhsa_user_sgpr_count 15
		.amdhsa_user_sgpr_dispatch_ptr 0
		.amdhsa_user_sgpr_queue_ptr 0
		.amdhsa_user_sgpr_kernarg_segment_ptr 1
		.amdhsa_user_sgpr_dispatch_id 0
		.amdhsa_user_sgpr_private_segment_size 0
		.amdhsa_wavefront_size32 1
		.amdhsa_uses_dynamic_stack 0
		.amdhsa_enable_private_segment 0
		.amdhsa_system_sgpr_workgroup_id_x 1
		.amdhsa_system_sgpr_workgroup_id_y 0
		.amdhsa_system_sgpr_workgroup_id_z 0
		.amdhsa_system_sgpr_workgroup_info 0
		.amdhsa_system_vgpr_workitem_id 0
		.amdhsa_next_free_vgpr 31
		.amdhsa_next_free_sgpr 29
		.amdhsa_reserve_vcc 1
		.amdhsa_float_round_mode_32 0
		.amdhsa_float_round_mode_16_64 0
		.amdhsa_float_denorm_mode_32 3
		.amdhsa_float_denorm_mode_16_64 3
		.amdhsa_dx10_clamp 1
		.amdhsa_ieee_mode 1
		.amdhsa_fp16_overflow 0
		.amdhsa_workgroup_processor_mode 1
		.amdhsa_memory_ordered 1
		.amdhsa_forward_progress 0
		.amdhsa_shared_vgpr_count 0
		.amdhsa_exception_fp_ieee_invalid_op 0
		.amdhsa_exception_fp_denorm_src 0
		.amdhsa_exception_fp_ieee_div_zero 0
		.amdhsa_exception_fp_ieee_overflow 0
		.amdhsa_exception_fp_ieee_underflow 0
		.amdhsa_exception_fp_ieee_inexact 0
		.amdhsa_exception_int_div_zero 0
	.end_amdhsa_kernel
	.section	.text._ZN2at6native12_GLOBAL__N_125multi_tensor_apply_kernelINS1_18TensorListMetadataILi1EEENS1_14UnaryOpFunctorIN3c107complexIfEELi1ELi1ELi0EEEJNS0_5RsqrtIS8_EEEEEvT_T0_DpT1_,"axG",@progbits,_ZN2at6native12_GLOBAL__N_125multi_tensor_apply_kernelINS1_18TensorListMetadataILi1EEENS1_14UnaryOpFunctorIN3c107complexIfEELi1ELi1ELi0EEEJNS0_5RsqrtIS8_EEEEEvT_T0_DpT1_,comdat
.Lfunc_end303:
	.size	_ZN2at6native12_GLOBAL__N_125multi_tensor_apply_kernelINS1_18TensorListMetadataILi1EEENS1_14UnaryOpFunctorIN3c107complexIfEELi1ELi1ELi0EEEJNS0_5RsqrtIS8_EEEEEvT_T0_DpT1_, .Lfunc_end303-_ZN2at6native12_GLOBAL__N_125multi_tensor_apply_kernelINS1_18TensorListMetadataILi1EEENS1_14UnaryOpFunctorIN3c107complexIfEELi1ELi1ELi0EEEJNS0_5RsqrtIS8_EEEEEvT_T0_DpT1_
                                        ; -- End function
	.section	.AMDGPU.csdata,"",@progbits
; Kernel info:
; codeLenInByte = 16508
; NumSgprs: 31
; NumVgprs: 31
; ScratchSize: 0
; MemoryBound: 1
; FloatMode: 240
; IeeeMode: 1
; LDSByteSize: 0 bytes/workgroup (compile time only)
; SGPRBlocks: 3
; VGPRBlocks: 3
; NumSGPRsForWavesPerEU: 31
; NumVGPRsForWavesPerEU: 31
; Occupancy: 16
; WaveLimiterHint : 0
; COMPUTE_PGM_RSRC2:SCRATCH_EN: 0
; COMPUTE_PGM_RSRC2:USER_SGPR: 15
; COMPUTE_PGM_RSRC2:TRAP_HANDLER: 0
; COMPUTE_PGM_RSRC2:TGID_X_EN: 1
; COMPUTE_PGM_RSRC2:TGID_Y_EN: 0
; COMPUTE_PGM_RSRC2:TGID_Z_EN: 0
; COMPUTE_PGM_RSRC2:TIDIG_COMP_CNT: 0
	.section	.text._ZN2at6native12_GLOBAL__N_125multi_tensor_apply_kernelINS1_18TensorListMetadataILi1EEENS1_14UnaryOpFunctorIN3c104HalfELi1ELi1ELi0EEEJNS0_5RsqrtIfEEEEEvT_T0_DpT1_,"axG",@progbits,_ZN2at6native12_GLOBAL__N_125multi_tensor_apply_kernelINS1_18TensorListMetadataILi1EEENS1_14UnaryOpFunctorIN3c104HalfELi1ELi1ELi0EEEJNS0_5RsqrtIfEEEEEvT_T0_DpT1_,comdat
	.globl	_ZN2at6native12_GLOBAL__N_125multi_tensor_apply_kernelINS1_18TensorListMetadataILi1EEENS1_14UnaryOpFunctorIN3c104HalfELi1ELi1ELi0EEEJNS0_5RsqrtIfEEEEEvT_T0_DpT1_ ; -- Begin function _ZN2at6native12_GLOBAL__N_125multi_tensor_apply_kernelINS1_18TensorListMetadataILi1EEENS1_14UnaryOpFunctorIN3c104HalfELi1ELi1ELi0EEEJNS0_5RsqrtIfEEEEEvT_T0_DpT1_
	.p2align	8
	.type	_ZN2at6native12_GLOBAL__N_125multi_tensor_apply_kernelINS1_18TensorListMetadataILi1EEENS1_14UnaryOpFunctorIN3c104HalfELi1ELi1ELi0EEEJNS0_5RsqrtIfEEEEEvT_T0_DpT1_,@function
_ZN2at6native12_GLOBAL__N_125multi_tensor_apply_kernelINS1_18TensorListMetadataILi1EEENS1_14UnaryOpFunctorIN3c104HalfELi1ELi1ELi0EEEJNS0_5RsqrtIfEEEEEvT_T0_DpT1_: ; @_ZN2at6native12_GLOBAL__N_125multi_tensor_apply_kernelINS1_18TensorListMetadataILi1EEENS1_14UnaryOpFunctorIN3c104HalfELi1ELi1ELi0EEEJNS0_5RsqrtIfEEEEEvT_T0_DpT1_
; %bb.0:
	v_mov_b32_e32 v1, s15
	s_add_u32 s2, s0, s15
	s_mul_hi_u32 s3, s15, 3
	s_mul_i32 s15, s15, 3
	s_addc_u32 s4, s1, 0
	global_load_u8 v1, v1, s[0:1] offset:1760
	s_add_u32 s2, s2, s15
	s_addc_u32 s3, s4, s3
	s_mov_b32 s13, 0
	s_load_b32 s2, s[2:3], 0x820
	s_waitcnt vmcnt(0)
	v_readfirstlane_b32 s5, v1
	s_delay_alu instid0(VALU_DEP_1)
	s_lshl_b32 s3, s5, 3
	s_clause 0x1
	s_load_b64 s[8:9], s[0:1], s3 offset:0x0
	s_load_b64 s[4:5], s[0:1], s3 offset:0x370
	s_waitcnt lgkmcnt(0)
	s_ashr_i32 s3, s2, 31
	s_delay_alu instid0(SALU_CYCLE_1)
	s_lshl_b64 s[10:11], s[2:3], 17
	s_lshl_b64 s[2:3], s[2:3], 16
	s_and_b32 s12, s8, 7
	s_sub_u32 s6, s4, s2
	s_subb_u32 s7, s5, s3
	s_and_b32 s2, s4, 3
	s_mov_b32 s3, s13
	s_delay_alu instid0(SALU_CYCLE_1) | instskip(NEXT) | instid1(SALU_CYCLE_1)
	s_or_b64 s[2:3], s[12:13], s[2:3]
	s_cmp_eq_u64 s[2:3], 0
	s_cbranch_scc1 .LBB304_21
; %bb.1:
	v_cmp_lt_i64_e64 s2, s[6:7], 1
	s_delay_alu instid0(VALU_DEP_1)
	s_and_b32 vcc_lo, exec_lo, s2
	s_cbranch_vccnz .LBB304_20
; %bb.2:
	s_load_b32 s2, s[0:1], 0xd3c
	v_cmp_gt_u64_e64 s3, 0x10000, s[6:7]
	v_lshlrev_b32_e32 v1, 1, v0
	s_waitcnt lgkmcnt(0)
	s_and_b32 s2, s2, 0xffff
	s_delay_alu instid0(VALU_DEP_2)
	s_and_b32 s3, s3, exec_lo
	v_add_co_u32 v5, s5, v0, s2
	s_cselect_b32 s13, s7, 0
	s_cselect_b32 s12, s6, 0x10000
	s_lshl_b32 s3, s2, 1
	s_lshl_b32 s16, s2, 2
	v_lshlrev_b32_e32 v3, 1, v5
	v_add_co_ci_u32_e64 v6, null, 0, 0, s5
	s_add_u32 s5, s8, s10
	v_add_co_u32 v9, s3, s3, v0
	s_mul_i32 s4, s2, 3
	s_addc_u32 s14, s9, s11
	v_add_co_ci_u32_e64 v10, null, 0, 0, s3
	v_add_co_u32 v1, s3, s5, v1
	v_add_co_u32 v7, s4, s4, v0
	v_add_co_ci_u32_e64 v2, null, s14, 0, s3
	v_add_co_u32 v3, s3, s5, v3
	v_add_co_ci_u32_e64 v8, null, 0, 0, s4
	v_add_co_ci_u32_e64 v4, null, s14, 0, s3
	s_lshl_b32 s17, s2, 3
	s_mul_i32 s18, s2, 6
	s_mov_b64 s[14:15], 0
	s_branch .LBB304_4
.LBB304_3:                              ;   in Loop: Header=BB304_4 Depth=1
	s_or_b32 exec_lo, exec_lo, s3
	s_add_u32 s14, s14, s16
	s_addc_u32 s15, s15, 0
	v_add_co_u32 v1, vcc_lo, v1, s17
	v_cmp_lt_i64_e64 s2, s[14:15], s[6:7]
	v_cmp_gt_u64_e64 s3, 0x10000, s[14:15]
	v_add_co_ci_u32_e32 v2, vcc_lo, 0, v2, vcc_lo
	v_add_co_u32 v3, vcc_lo, v3, s17
	v_add_co_ci_u32_e32 v4, vcc_lo, 0, v4, vcc_lo
	s_delay_alu instid0(VALU_DEP_4) | instskip(NEXT) | instid1(SALU_CYCLE_1)
	s_and_b32 s2, s2, s3
	s_and_b32 vcc_lo, exec_lo, s2
	s_cbranch_vccz .LBB304_20
.LBB304_4:                              ; =>This Inner Loop Header: Depth=1
	s_waitcnt vmcnt(0)
	v_add_co_u32 v11, s2, v0, s14
	s_delay_alu instid0(VALU_DEP_1) | instskip(SKIP_1) | instid1(VALU_DEP_2)
	v_add_co_ci_u32_e64 v12, null, 0, s15, s2
	v_mov_b32_e32 v13, 0
	v_cmp_gt_u64_e64 s4, s[12:13], v[11:12]
	s_delay_alu instid0(VALU_DEP_1)
	s_and_saveexec_b32 s2, s4
	s_cbranch_execz .LBB304_6
; %bb.5:                                ;   in Loop: Header=BB304_4 Depth=1
	global_load_u16 v13, v[1:2], off
.LBB304_6:                              ;   in Loop: Header=BB304_4 Depth=1
	s_or_b32 exec_lo, exec_lo, s2
	v_add_co_u32 v11, vcc_lo, v5, s14
	v_add_co_ci_u32_e32 v12, vcc_lo, s15, v6, vcc_lo
	s_delay_alu instid0(VALU_DEP_1) | instskip(SKIP_1) | instid1(VALU_DEP_2)
	v_cmp_gt_u64_e64 s3, s[12:13], v[11:12]
	v_mov_b32_e32 v12, 0
	s_and_saveexec_b32 s2, s3
	s_cbranch_execz .LBB304_8
; %bb.7:                                ;   in Loop: Header=BB304_4 Depth=1
	global_load_u16 v12, v[3:4], off
.LBB304_8:                              ;   in Loop: Header=BB304_4 Depth=1
	s_or_b32 exec_lo, exec_lo, s2
	v_add_co_u32 v14, vcc_lo, v9, s14
	v_add_co_ci_u32_e32 v15, vcc_lo, s15, v10, vcc_lo
	v_mov_b32_e32 v11, 0
	s_delay_alu instid0(VALU_DEP_2)
	v_cmp_gt_u64_e32 vcc_lo, s[12:13], v[14:15]
	v_mov_b32_e32 v14, 0
	s_and_saveexec_b32 s5, vcc_lo
	s_cbranch_execz .LBB304_10
; %bb.9:                                ;   in Loop: Header=BB304_4 Depth=1
	v_add_co_u32 v14, s2, v1, s16
	s_delay_alu instid0(VALU_DEP_1)
	v_add_co_ci_u32_e64 v15, s2, 0, v2, s2
	global_load_u16 v14, v[14:15], off
.LBB304_10:                             ;   in Loop: Header=BB304_4 Depth=1
	s_or_b32 exec_lo, exec_lo, s5
	v_add_co_u32 v15, s2, v7, s14
	s_delay_alu instid0(VALU_DEP_1) | instskip(NEXT) | instid1(VALU_DEP_1)
	v_add_co_ci_u32_e64 v16, s2, s15, v8, s2
	v_cmp_gt_u64_e64 s2, s[12:13], v[15:16]
	s_delay_alu instid0(VALU_DEP_1)
	s_and_saveexec_b32 s19, s2
	s_cbranch_execnz .LBB304_15
; %bb.11:                               ;   in Loop: Header=BB304_4 Depth=1
	s_or_b32 exec_lo, exec_lo, s19
	s_and_saveexec_b32 s5, s4
	s_cbranch_execnz .LBB304_16
.LBB304_12:                             ;   in Loop: Header=BB304_4 Depth=1
	s_or_b32 exec_lo, exec_lo, s5
	s_and_saveexec_b32 s4, s3
	s_cbranch_execnz .LBB304_17
.LBB304_13:                             ;   in Loop: Header=BB304_4 Depth=1
	s_or_b32 exec_lo, exec_lo, s4
	s_and_saveexec_b32 s3, vcc_lo
	s_cbranch_execnz .LBB304_18
.LBB304_14:                             ;   in Loop: Header=BB304_4 Depth=1
	s_or_b32 exec_lo, exec_lo, s3
	s_and_saveexec_b32 s3, s2
	s_cbranch_execz .LBB304_3
	s_branch .LBB304_19
.LBB304_15:                             ;   in Loop: Header=BB304_4 Depth=1
	v_add_co_u32 v15, s5, v1, s18
	s_delay_alu instid0(VALU_DEP_1)
	v_add_co_ci_u32_e64 v16, s5, 0, v2, s5
	global_load_u16 v11, v[15:16], off
	s_or_b32 exec_lo, exec_lo, s19
	s_and_saveexec_b32 s5, s4
	s_cbranch_execz .LBB304_12
.LBB304_16:                             ;   in Loop: Header=BB304_4 Depth=1
	s_waitcnt vmcnt(0)
	v_cvt_f32_f16_e32 v13, v13
	s_delay_alu instid0(VALU_DEP_1) | instskip(SKIP_1) | instid1(VALU_DEP_1)
	v_mul_f32_e32 v15, 0x4b800000, v13
	v_cmp_gt_f32_e64 s4, 0x800000, v13
	v_cndmask_b32_e64 v13, v13, v15, s4
	s_delay_alu instid0(VALU_DEP_1) | instskip(SKIP_2) | instid1(VALU_DEP_1)
	v_rsq_f32_e32 v13, v13
	s_waitcnt_depctr 0xfff
	v_mul_f32_e32 v15, 0x45800000, v13
	v_cndmask_b32_e64 v13, v13, v15, s4
	s_delay_alu instid0(VALU_DEP_1)
	v_cvt_f16_f32_e32 v13, v13
	global_store_b16 v[1:2], v13, off
	s_or_b32 exec_lo, exec_lo, s5
	s_and_saveexec_b32 s4, s3
	s_cbranch_execz .LBB304_13
.LBB304_17:                             ;   in Loop: Header=BB304_4 Depth=1
	s_waitcnt vmcnt(0)
	v_cvt_f32_f16_e32 v12, v12
	s_delay_alu instid0(VALU_DEP_1) | instskip(SKIP_1) | instid1(VALU_DEP_1)
	v_mul_f32_e32 v13, 0x4b800000, v12
	v_cmp_gt_f32_e64 s3, 0x800000, v12
	v_cndmask_b32_e64 v12, v12, v13, s3
	s_delay_alu instid0(VALU_DEP_1) | instskip(SKIP_2) | instid1(VALU_DEP_1)
	v_rsq_f32_e32 v12, v12
	s_waitcnt_depctr 0xfff
	v_mul_f32_e32 v13, 0x45800000, v12
	v_cndmask_b32_e64 v12, v12, v13, s3
	s_delay_alu instid0(VALU_DEP_1)
	v_cvt_f16_f32_e32 v12, v12
	global_store_b16 v[3:4], v12, off
	s_or_b32 exec_lo, exec_lo, s4
	s_and_saveexec_b32 s3, vcc_lo
	s_cbranch_execz .LBB304_14
.LBB304_18:                             ;   in Loop: Header=BB304_4 Depth=1
	s_waitcnt vmcnt(0)
	v_cvt_f32_f16_e32 v12, v14
	s_delay_alu instid0(VALU_DEP_1) | instskip(SKIP_1) | instid1(VALU_DEP_2)
	v_mul_f32_e32 v13, 0x4b800000, v12
	v_cmp_gt_f32_e32 vcc_lo, 0x800000, v12
	v_cndmask_b32_e32 v12, v12, v13, vcc_lo
	s_delay_alu instid0(VALU_DEP_1) | instskip(SKIP_2) | instid1(VALU_DEP_1)
	v_rsq_f32_e32 v12, v12
	s_waitcnt_depctr 0xfff
	v_mul_f32_e32 v13, 0x45800000, v12
	v_cndmask_b32_e32 v12, v12, v13, vcc_lo
	s_delay_alu instid0(VALU_DEP_1)
	v_cvt_f16_f32_e32 v14, v12
	v_add_co_u32 v12, vcc_lo, v1, s16
	v_add_co_ci_u32_e32 v13, vcc_lo, 0, v2, vcc_lo
	global_store_b16 v[12:13], v14, off
	s_or_b32 exec_lo, exec_lo, s3
	s_and_saveexec_b32 s3, s2
	s_cbranch_execz .LBB304_3
.LBB304_19:                             ;   in Loop: Header=BB304_4 Depth=1
	s_waitcnt vmcnt(0)
	v_cvt_f32_f16_e32 v11, v11
	s_delay_alu instid0(VALU_DEP_1) | instskip(SKIP_1) | instid1(VALU_DEP_2)
	v_mul_f32_e32 v12, 0x4b800000, v11
	v_cmp_gt_f32_e32 vcc_lo, 0x800000, v11
	v_cndmask_b32_e32 v11, v11, v12, vcc_lo
	s_delay_alu instid0(VALU_DEP_1) | instskip(SKIP_2) | instid1(VALU_DEP_1)
	v_rsq_f32_e32 v11, v11
	s_waitcnt_depctr 0xfff
	v_mul_f32_e32 v12, 0x45800000, v11
	v_cndmask_b32_e32 v11, v11, v12, vcc_lo
	s_delay_alu instid0(VALU_DEP_1)
	v_cvt_f16_f32_e32 v13, v11
	v_add_co_u32 v11, vcc_lo, v1, s18
	v_add_co_ci_u32_e32 v12, vcc_lo, 0, v2, vcc_lo
	global_store_b16 v[11:12], v13, off
	s_branch .LBB304_3
.LBB304_20:
	s_cbranch_execz .LBB304_22
	s_branch .LBB304_25
.LBB304_21:
.LBB304_22:
	v_dual_mov_b32 v2, 0 :: v_dual_lshlrev_b32 v1, 2, v0
	s_mov_b32 s3, 0
	s_mov_b32 s2, exec_lo
	s_delay_alu instid0(VALU_DEP_1)
	v_cmpx_gt_i64_e64 s[6:7], v[1:2]
	s_cbranch_execz .LBB304_25
; %bb.23:
	s_load_b32 s0, s[0:1], 0xd3c
	v_lshlrev_b32_e32 v1, 3, v0
	s_waitcnt lgkmcnt(0)
	s_and_b32 s0, s0, 0xffff
	s_delay_alu instid0(SALU_CYCLE_1) | instskip(SKIP_3) | instid1(VALU_DEP_1)
	s_lshl_b32 s4, s0, 2
	s_add_u32 s1, s8, s10
	s_addc_u32 s2, s9, s11
	v_add_co_u32 v3, s1, s1, v1
	v_add_co_ci_u32_e64 v4, null, s2, 0, s1
	v_add_lshl_u32 v1, v0, s0, 2
	s_delay_alu instid0(VALU_DEP_3) | instskip(NEXT) | instid1(VALU_DEP_3)
	v_add_co_u32 v3, vcc_lo, v3, 4
	v_add_co_ci_u32_e32 v4, vcc_lo, 0, v4, vcc_lo
	s_lshl_b32 s5, s0, 3
.LBB304_24:                             ; =>This Inner Loop Header: Depth=1
	global_load_b64 v[5:6], v[3:4], off offset:-4
	s_waitcnt vmcnt(0)
	v_cvt_f32_f16_e32 v0, v5
	v_lshrrev_b32_e32 v7, 16, v6
	v_cvt_f32_f16_e32 v6, v6
	v_lshrrev_b32_e32 v5, 16, v5
	s_delay_alu instid0(VALU_DEP_4) | instskip(NEXT) | instid1(VALU_DEP_4)
	v_mul_f32_e32 v8, 0x4b800000, v0
	v_cvt_f32_f16_e32 v7, v7
	s_delay_alu instid0(VALU_DEP_4) | instskip(SKIP_4) | instid1(VALU_DEP_4)
	v_mul_f32_e32 v9, 0x4b800000, v6
	v_cmp_gt_f32_e64 s0, 0x800000, v6
	v_cvt_f32_f16_e32 v5, v5
	v_cmp_gt_f32_e32 vcc_lo, 0x800000, v0
	v_cmp_gt_f32_e64 s1, 0x800000, v7
	v_cndmask_b32_e64 v6, v6, v9, s0
	s_delay_alu instid0(VALU_DEP_4) | instskip(SKIP_1) | instid1(VALU_DEP_3)
	v_mul_f32_e32 v10, 0x4b800000, v5
	v_cmp_gt_f32_e64 s2, 0x800000, v5
	v_rsq_f32_e32 v6, v6
	v_cndmask_b32_e32 v0, v0, v8, vcc_lo
	v_mul_f32_e32 v8, 0x4b800000, v7
	s_delay_alu instid0(VALU_DEP_3) | instskip(NEXT) | instid1(VALU_DEP_2)
	v_cndmask_b32_e64 v5, v5, v10, s2
	v_cndmask_b32_e64 v7, v7, v8, s1
	s_delay_alu instid0(VALU_DEP_2) | instskip(SKIP_4) | instid1(VALU_DEP_1)
	v_rsq_f32_e32 v5, v5
	s_waitcnt_depctr 0xfff
	v_mul_f32_e32 v9, 0x45800000, v6
	v_rsq_f32_e32 v0, v0
	v_rsq_f32_e32 v7, v7
	v_cndmask_b32_e64 v6, v6, v9, s0
	v_cmp_lt_u64_e64 s0, 0xffff, v[1:2]
	v_mul_f32_e32 v11, 0x45800000, v5
	s_delay_alu instid0(VALU_DEP_3) | instskip(SKIP_4) | instid1(VALU_DEP_3)
	v_cvt_f16_f32_e32 v6, v6
	s_waitcnt_depctr 0xfff
	v_mul_f32_e32 v8, 0x45800000, v0
	v_mul_f32_e32 v10, 0x45800000, v7
	v_cndmask_b32_e64 v5, v5, v11, s2
	v_cndmask_b32_e32 v0, v0, v8, vcc_lo
	s_delay_alu instid0(VALU_DEP_3) | instskip(NEXT) | instid1(VALU_DEP_3)
	v_cndmask_b32_e64 v7, v7, v10, s1
	v_cvt_f16_f32_e32 v5, v5
	v_cmp_le_i64_e32 vcc_lo, s[6:7], v[1:2]
	v_add_co_u32 v1, s1, v1, s4
	v_cvt_f16_f32_e32 v0, v0
	v_cvt_f16_f32_e32 v7, v7
	v_add_co_ci_u32_e64 v2, s1, 0, v2, s1
	s_or_b32 s0, vcc_lo, s0
	s_delay_alu instid0(VALU_DEP_3) | instskip(NEXT) | instid1(VALU_DEP_3)
	v_pack_b32_f16 v5, v0, v5
	v_pack_b32_f16 v6, v6, v7
	s_and_b32 s0, exec_lo, s0
	s_delay_alu instid0(SALU_CYCLE_1)
	s_or_b32 s3, s0, s3
	global_store_b64 v[3:4], v[5:6], off offset:-4
	v_add_co_u32 v3, vcc_lo, v3, s5
	v_add_co_ci_u32_e32 v4, vcc_lo, 0, v4, vcc_lo
	s_and_not1_b32 exec_lo, exec_lo, s3
	s_cbranch_execnz .LBB304_24
.LBB304_25:
	s_nop 0
	s_sendmsg sendmsg(MSG_DEALLOC_VGPRS)
	s_endpgm
	.section	.rodata,"a",@progbits
	.p2align	6, 0x0
	.amdhsa_kernel _ZN2at6native12_GLOBAL__N_125multi_tensor_apply_kernelINS1_18TensorListMetadataILi1EEENS1_14UnaryOpFunctorIN3c104HalfELi1ELi1ELi0EEEJNS0_5RsqrtIfEEEEEvT_T0_DpT1_
		.amdhsa_group_segment_fixed_size 0
		.amdhsa_private_segment_fixed_size 0
		.amdhsa_kernarg_size 3632
		.amdhsa_user_sgpr_count 15
		.amdhsa_user_sgpr_dispatch_ptr 0
		.amdhsa_user_sgpr_queue_ptr 0
		.amdhsa_user_sgpr_kernarg_segment_ptr 1
		.amdhsa_user_sgpr_dispatch_id 0
		.amdhsa_user_sgpr_private_segment_size 0
		.amdhsa_wavefront_size32 1
		.amdhsa_uses_dynamic_stack 0
		.amdhsa_enable_private_segment 0
		.amdhsa_system_sgpr_workgroup_id_x 1
		.amdhsa_system_sgpr_workgroup_id_y 0
		.amdhsa_system_sgpr_workgroup_id_z 0
		.amdhsa_system_sgpr_workgroup_info 0
		.amdhsa_system_vgpr_workitem_id 0
		.amdhsa_next_free_vgpr 17
		.amdhsa_next_free_sgpr 20
		.amdhsa_reserve_vcc 1
		.amdhsa_float_round_mode_32 0
		.amdhsa_float_round_mode_16_64 0
		.amdhsa_float_denorm_mode_32 3
		.amdhsa_float_denorm_mode_16_64 3
		.amdhsa_dx10_clamp 1
		.amdhsa_ieee_mode 1
		.amdhsa_fp16_overflow 0
		.amdhsa_workgroup_processor_mode 1
		.amdhsa_memory_ordered 1
		.amdhsa_forward_progress 0
		.amdhsa_shared_vgpr_count 0
		.amdhsa_exception_fp_ieee_invalid_op 0
		.amdhsa_exception_fp_denorm_src 0
		.amdhsa_exception_fp_ieee_div_zero 0
		.amdhsa_exception_fp_ieee_overflow 0
		.amdhsa_exception_fp_ieee_underflow 0
		.amdhsa_exception_fp_ieee_inexact 0
		.amdhsa_exception_int_div_zero 0
	.end_amdhsa_kernel
	.section	.text._ZN2at6native12_GLOBAL__N_125multi_tensor_apply_kernelINS1_18TensorListMetadataILi1EEENS1_14UnaryOpFunctorIN3c104HalfELi1ELi1ELi0EEEJNS0_5RsqrtIfEEEEEvT_T0_DpT1_,"axG",@progbits,_ZN2at6native12_GLOBAL__N_125multi_tensor_apply_kernelINS1_18TensorListMetadataILi1EEENS1_14UnaryOpFunctorIN3c104HalfELi1ELi1ELi0EEEJNS0_5RsqrtIfEEEEEvT_T0_DpT1_,comdat
.Lfunc_end304:
	.size	_ZN2at6native12_GLOBAL__N_125multi_tensor_apply_kernelINS1_18TensorListMetadataILi1EEENS1_14UnaryOpFunctorIN3c104HalfELi1ELi1ELi0EEEJNS0_5RsqrtIfEEEEEvT_T0_DpT1_, .Lfunc_end304-_ZN2at6native12_GLOBAL__N_125multi_tensor_apply_kernelINS1_18TensorListMetadataILi1EEENS1_14UnaryOpFunctorIN3c104HalfELi1ELi1ELi0EEEJNS0_5RsqrtIfEEEEEvT_T0_DpT1_
                                        ; -- End function
	.section	.AMDGPU.csdata,"",@progbits
; Kernel info:
; codeLenInByte = 1592
; NumSgprs: 22
; NumVgprs: 17
; ScratchSize: 0
; MemoryBound: 0
; FloatMode: 240
; IeeeMode: 1
; LDSByteSize: 0 bytes/workgroup (compile time only)
; SGPRBlocks: 2
; VGPRBlocks: 2
; NumSGPRsForWavesPerEU: 22
; NumVGPRsForWavesPerEU: 17
; Occupancy: 16
; WaveLimiterHint : 0
; COMPUTE_PGM_RSRC2:SCRATCH_EN: 0
; COMPUTE_PGM_RSRC2:USER_SGPR: 15
; COMPUTE_PGM_RSRC2:TRAP_HANDLER: 0
; COMPUTE_PGM_RSRC2:TGID_X_EN: 1
; COMPUTE_PGM_RSRC2:TGID_Y_EN: 0
; COMPUTE_PGM_RSRC2:TGID_Z_EN: 0
; COMPUTE_PGM_RSRC2:TIDIG_COMP_CNT: 0
	.section	.text._ZN2at6native12_GLOBAL__N_125multi_tensor_apply_kernelINS1_18TensorListMetadataILi1EEENS1_14UnaryOpFunctorIN3c108BFloat16ELi1ELi1ELi0EEEJNS0_5RsqrtIfEEEEEvT_T0_DpT1_,"axG",@progbits,_ZN2at6native12_GLOBAL__N_125multi_tensor_apply_kernelINS1_18TensorListMetadataILi1EEENS1_14UnaryOpFunctorIN3c108BFloat16ELi1ELi1ELi0EEEJNS0_5RsqrtIfEEEEEvT_T0_DpT1_,comdat
	.globl	_ZN2at6native12_GLOBAL__N_125multi_tensor_apply_kernelINS1_18TensorListMetadataILi1EEENS1_14UnaryOpFunctorIN3c108BFloat16ELi1ELi1ELi0EEEJNS0_5RsqrtIfEEEEEvT_T0_DpT1_ ; -- Begin function _ZN2at6native12_GLOBAL__N_125multi_tensor_apply_kernelINS1_18TensorListMetadataILi1EEENS1_14UnaryOpFunctorIN3c108BFloat16ELi1ELi1ELi0EEEJNS0_5RsqrtIfEEEEEvT_T0_DpT1_
	.p2align	8
	.type	_ZN2at6native12_GLOBAL__N_125multi_tensor_apply_kernelINS1_18TensorListMetadataILi1EEENS1_14UnaryOpFunctorIN3c108BFloat16ELi1ELi1ELi0EEEJNS0_5RsqrtIfEEEEEvT_T0_DpT1_,@function
_ZN2at6native12_GLOBAL__N_125multi_tensor_apply_kernelINS1_18TensorListMetadataILi1EEENS1_14UnaryOpFunctorIN3c108BFloat16ELi1ELi1ELi0EEEJNS0_5RsqrtIfEEEEEvT_T0_DpT1_: ; @_ZN2at6native12_GLOBAL__N_125multi_tensor_apply_kernelINS1_18TensorListMetadataILi1EEENS1_14UnaryOpFunctorIN3c108BFloat16ELi1ELi1ELi0EEEJNS0_5RsqrtIfEEEEEvT_T0_DpT1_
; %bb.0:
	v_mov_b32_e32 v1, s15
	s_add_u32 s2, s0, s15
	s_mul_hi_u32 s3, s15, 3
	s_mul_i32 s15, s15, 3
	s_addc_u32 s4, s1, 0
	global_load_u8 v1, v1, s[0:1] offset:1760
	s_add_u32 s2, s2, s15
	s_addc_u32 s3, s4, s3
	s_mov_b32 s13, 0
	s_load_b32 s2, s[2:3], 0x820
	s_waitcnt vmcnt(0)
	v_readfirstlane_b32 s5, v1
	s_delay_alu instid0(VALU_DEP_1)
	s_lshl_b32 s3, s5, 3
	s_clause 0x1
	s_load_b64 s[8:9], s[0:1], s3 offset:0x0
	s_load_b64 s[4:5], s[0:1], s3 offset:0x370
	s_waitcnt lgkmcnt(0)
	s_ashr_i32 s3, s2, 31
	s_delay_alu instid0(SALU_CYCLE_1)
	s_lshl_b64 s[10:11], s[2:3], 17
	s_lshl_b64 s[2:3], s[2:3], 16
	s_and_b32 s12, s8, 7
	s_sub_u32 s6, s4, s2
	s_subb_u32 s7, s5, s3
	s_and_b32 s2, s4, 3
	s_mov_b32 s3, s13
	s_delay_alu instid0(SALU_CYCLE_1) | instskip(NEXT) | instid1(SALU_CYCLE_1)
	s_or_b64 s[2:3], s[12:13], s[2:3]
	s_cmp_eq_u64 s[2:3], 0
	s_cbranch_scc1 .LBB305_21
; %bb.1:
	v_cmp_lt_i64_e64 s2, s[6:7], 1
	s_delay_alu instid0(VALU_DEP_1)
	s_and_b32 vcc_lo, exec_lo, s2
	s_cbranch_vccnz .LBB305_20
; %bb.2:
	s_load_b32 s2, s[0:1], 0xd3c
	v_cmp_gt_u64_e64 s3, 0x10000, s[6:7]
	v_lshlrev_b32_e32 v1, 1, v0
	s_waitcnt lgkmcnt(0)
	s_and_b32 s2, s2, 0xffff
	s_delay_alu instid0(VALU_DEP_2)
	s_and_b32 s3, s3, exec_lo
	v_add_co_u32 v5, s5, v0, s2
	s_cselect_b32 s13, s7, 0
	s_cselect_b32 s12, s6, 0x10000
	s_lshl_b32 s3, s2, 1
	s_lshl_b32 s16, s2, 2
	v_lshlrev_b32_e32 v3, 1, v5
	v_add_co_ci_u32_e64 v6, null, 0, 0, s5
	s_add_u32 s5, s8, s10
	v_add_co_u32 v9, s3, s3, v0
	s_mul_i32 s4, s2, 3
	s_addc_u32 s14, s9, s11
	v_add_co_ci_u32_e64 v10, null, 0, 0, s3
	v_add_co_u32 v1, s3, s5, v1
	v_add_co_u32 v7, s4, s4, v0
	v_add_co_ci_u32_e64 v2, null, s14, 0, s3
	v_add_co_u32 v3, s3, s5, v3
	v_add_co_ci_u32_e64 v8, null, 0, 0, s4
	v_add_co_ci_u32_e64 v4, null, s14, 0, s3
	s_lshl_b32 s17, s2, 3
	s_mul_i32 s18, s2, 6
	s_mov_b64 s[14:15], 0
	s_branch .LBB305_4
.LBB305_3:                              ;   in Loop: Header=BB305_4 Depth=1
	s_or_b32 exec_lo, exec_lo, s2
	s_add_u32 s14, s14, s16
	s_addc_u32 s15, s15, 0
	v_add_co_u32 v1, vcc_lo, v1, s17
	v_cmp_lt_i64_e64 s2, s[14:15], s[6:7]
	v_cmp_gt_u64_e64 s3, 0x10000, s[14:15]
	v_add_co_ci_u32_e32 v2, vcc_lo, 0, v2, vcc_lo
	v_add_co_u32 v3, vcc_lo, v3, s17
	v_add_co_ci_u32_e32 v4, vcc_lo, 0, v4, vcc_lo
	s_delay_alu instid0(VALU_DEP_4) | instskip(NEXT) | instid1(SALU_CYCLE_1)
	s_and_b32 s2, s2, s3
	s_and_b32 vcc_lo, exec_lo, s2
	s_cbranch_vccz .LBB305_20
.LBB305_4:                              ; =>This Inner Loop Header: Depth=1
	s_waitcnt vmcnt(0)
	v_add_co_u32 v11, s2, v0, s14
	s_delay_alu instid0(VALU_DEP_1) | instskip(SKIP_1) | instid1(VALU_DEP_2)
	v_add_co_ci_u32_e64 v12, null, 0, s15, s2
	v_mov_b32_e32 v14, 0
	v_cmp_gt_u64_e64 s4, s[12:13], v[11:12]
	s_delay_alu instid0(VALU_DEP_1)
	s_and_saveexec_b32 s2, s4
	s_cbranch_execz .LBB305_6
; %bb.5:                                ;   in Loop: Header=BB305_4 Depth=1
	global_load_u16 v14, v[1:2], off
.LBB305_6:                              ;   in Loop: Header=BB305_4 Depth=1
	s_or_b32 exec_lo, exec_lo, s2
	v_add_co_u32 v11, vcc_lo, v5, s14
	v_add_co_ci_u32_e32 v12, vcc_lo, s15, v6, vcc_lo
	s_delay_alu instid0(VALU_DEP_1) | instskip(SKIP_1) | instid1(VALU_DEP_2)
	v_cmp_gt_u64_e64 s3, s[12:13], v[11:12]
	v_mov_b32_e32 v12, 0
	s_and_saveexec_b32 s2, s3
	s_cbranch_execz .LBB305_8
; %bb.7:                                ;   in Loop: Header=BB305_4 Depth=1
	global_load_u16 v12, v[3:4], off
.LBB305_8:                              ;   in Loop: Header=BB305_4 Depth=1
	s_or_b32 exec_lo, exec_lo, s2
	v_add_co_u32 v15, vcc_lo, v9, s14
	v_add_co_ci_u32_e32 v16, vcc_lo, s15, v10, vcc_lo
	v_mov_b32_e32 v11, 0
	v_mov_b32_e32 v13, 0
	s_delay_alu instid0(VALU_DEP_3) | instskip(NEXT) | instid1(VALU_DEP_1)
	v_cmp_gt_u64_e64 s2, s[12:13], v[15:16]
	s_and_saveexec_b32 s5, s2
	s_cbranch_execz .LBB305_10
; %bb.9:                                ;   in Loop: Header=BB305_4 Depth=1
	v_add_co_u32 v15, vcc_lo, v1, s16
	v_add_co_ci_u32_e32 v16, vcc_lo, 0, v2, vcc_lo
	global_load_u16 v13, v[15:16], off
.LBB305_10:                             ;   in Loop: Header=BB305_4 Depth=1
	s_or_b32 exec_lo, exec_lo, s5
	v_add_co_u32 v15, vcc_lo, v7, s14
	v_add_co_ci_u32_e32 v16, vcc_lo, s15, v8, vcc_lo
	s_delay_alu instid0(VALU_DEP_1)
	v_cmp_gt_u64_e32 vcc_lo, s[12:13], v[15:16]
	s_and_saveexec_b32 s19, vcc_lo
	s_cbranch_execnz .LBB305_15
; %bb.11:                               ;   in Loop: Header=BB305_4 Depth=1
	s_or_b32 exec_lo, exec_lo, s19
	s_and_saveexec_b32 s5, s4
	s_cbranch_execnz .LBB305_16
.LBB305_12:                             ;   in Loop: Header=BB305_4 Depth=1
	s_or_b32 exec_lo, exec_lo, s5
	s_and_saveexec_b32 s4, s3
	s_cbranch_execnz .LBB305_17
.LBB305_13:                             ;   in Loop: Header=BB305_4 Depth=1
	s_or_b32 exec_lo, exec_lo, s4
	s_and_saveexec_b32 s3, s2
	s_cbranch_execnz .LBB305_18
.LBB305_14:                             ;   in Loop: Header=BB305_4 Depth=1
	s_or_b32 exec_lo, exec_lo, s3
	s_and_saveexec_b32 s2, vcc_lo
	s_cbranch_execz .LBB305_3
	s_branch .LBB305_19
.LBB305_15:                             ;   in Loop: Header=BB305_4 Depth=1
	v_add_co_u32 v15, s5, v1, s18
	s_delay_alu instid0(VALU_DEP_1)
	v_add_co_ci_u32_e64 v16, s5, 0, v2, s5
	global_load_u16 v11, v[15:16], off
	s_or_b32 exec_lo, exec_lo, s19
	s_and_saveexec_b32 s5, s4
	s_cbranch_execz .LBB305_12
.LBB305_16:                             ;   in Loop: Header=BB305_4 Depth=1
	s_waitcnt vmcnt(0)
	v_lshlrev_b32_e32 v14, 16, v14
	s_delay_alu instid0(VALU_DEP_1) | instskip(SKIP_1) | instid1(VALU_DEP_1)
	v_mul_f32_e32 v15, 0x4b800000, v14
	v_cmp_gt_f32_e64 s4, 0x800000, v14
	v_cndmask_b32_e64 v14, v14, v15, s4
	s_delay_alu instid0(VALU_DEP_1) | instskip(SKIP_2) | instid1(VALU_DEP_1)
	v_rsq_f32_e32 v14, v14
	s_waitcnt_depctr 0xfff
	v_mul_f32_e32 v15, 0x45800000, v14
	v_cndmask_b32_e64 v14, v14, v15, s4
	s_delay_alu instid0(VALU_DEP_1) | instskip(SKIP_1) | instid1(VALU_DEP_2)
	v_bfe_u32 v15, v14, 16, 1
	v_cmp_o_f32_e64 s4, v14, v14
	v_add3_u32 v15, v14, v15, 0x7fff
	s_delay_alu instid0(VALU_DEP_1) | instskip(NEXT) | instid1(VALU_DEP_1)
	v_lshrrev_b32_e32 v15, 16, v15
	v_cndmask_b32_e64 v14, 0x7fc0, v15, s4
	global_store_b16 v[1:2], v14, off
	s_or_b32 exec_lo, exec_lo, s5
	s_and_saveexec_b32 s4, s3
	s_cbranch_execz .LBB305_13
.LBB305_17:                             ;   in Loop: Header=BB305_4 Depth=1
	s_waitcnt vmcnt(0)
	v_lshlrev_b32_e32 v12, 16, v12
	s_delay_alu instid0(VALU_DEP_1) | instskip(SKIP_1) | instid1(VALU_DEP_1)
	v_mul_f32_e32 v14, 0x4b800000, v12
	v_cmp_gt_f32_e64 s3, 0x800000, v12
	v_cndmask_b32_e64 v12, v12, v14, s3
	s_delay_alu instid0(VALU_DEP_1) | instskip(SKIP_2) | instid1(VALU_DEP_1)
	v_rsq_f32_e32 v12, v12
	s_waitcnt_depctr 0xfff
	v_mul_f32_e32 v14, 0x45800000, v12
	v_cndmask_b32_e64 v12, v12, v14, s3
	s_delay_alu instid0(VALU_DEP_1) | instskip(SKIP_1) | instid1(VALU_DEP_2)
	v_bfe_u32 v14, v12, 16, 1
	v_cmp_o_f32_e64 s3, v12, v12
	v_add3_u32 v14, v12, v14, 0x7fff
	s_delay_alu instid0(VALU_DEP_1) | instskip(NEXT) | instid1(VALU_DEP_1)
	v_lshrrev_b32_e32 v14, 16, v14
	v_cndmask_b32_e64 v12, 0x7fc0, v14, s3
	global_store_b16 v[3:4], v12, off
	s_or_b32 exec_lo, exec_lo, s4
	s_and_saveexec_b32 s3, s2
	s_cbranch_execz .LBB305_14
.LBB305_18:                             ;   in Loop: Header=BB305_4 Depth=1
	s_waitcnt vmcnt(0)
	v_lshlrev_b32_e32 v12, 16, v13
	s_delay_alu instid0(VALU_DEP_1) | instskip(SKIP_1) | instid1(VALU_DEP_1)
	v_mul_f32_e32 v13, 0x4b800000, v12
	v_cmp_gt_f32_e64 s2, 0x800000, v12
	v_cndmask_b32_e64 v12, v12, v13, s2
	s_delay_alu instid0(VALU_DEP_1) | instskip(SKIP_2) | instid1(VALU_DEP_1)
	v_rsq_f32_e32 v12, v12
	s_waitcnt_depctr 0xfff
	v_mul_f32_e32 v13, 0x45800000, v12
	v_cndmask_b32_e64 v12, v12, v13, s2
	s_delay_alu instid0(VALU_DEP_1) | instskip(SKIP_1) | instid1(VALU_DEP_2)
	v_bfe_u32 v13, v12, 16, 1
	v_cmp_o_f32_e64 s2, v12, v12
	v_add3_u32 v13, v12, v13, 0x7fff
	s_delay_alu instid0(VALU_DEP_1) | instskip(NEXT) | instid1(VALU_DEP_1)
	v_lshrrev_b32_e32 v13, 16, v13
	v_cndmask_b32_e64 v14, 0x7fc0, v13, s2
	v_add_co_u32 v12, s2, v1, s16
	s_delay_alu instid0(VALU_DEP_1)
	v_add_co_ci_u32_e64 v13, s2, 0, v2, s2
	global_store_b16 v[12:13], v14, off
	s_or_b32 exec_lo, exec_lo, s3
	s_and_saveexec_b32 s2, vcc_lo
	s_cbranch_execz .LBB305_3
.LBB305_19:                             ;   in Loop: Header=BB305_4 Depth=1
	s_waitcnt vmcnt(0)
	v_lshlrev_b32_e32 v11, 16, v11
	s_delay_alu instid0(VALU_DEP_1) | instskip(SKIP_1) | instid1(VALU_DEP_2)
	v_mul_f32_e32 v12, 0x4b800000, v11
	v_cmp_gt_f32_e32 vcc_lo, 0x800000, v11
	v_cndmask_b32_e32 v11, v11, v12, vcc_lo
	s_delay_alu instid0(VALU_DEP_1) | instskip(SKIP_2) | instid1(VALU_DEP_1)
	v_rsq_f32_e32 v11, v11
	s_waitcnt_depctr 0xfff
	v_mul_f32_e32 v12, 0x45800000, v11
	v_cndmask_b32_e32 v11, v11, v12, vcc_lo
	s_delay_alu instid0(VALU_DEP_1) | instskip(SKIP_1) | instid1(VALU_DEP_2)
	v_bfe_u32 v12, v11, 16, 1
	v_cmp_o_f32_e32 vcc_lo, v11, v11
	v_add3_u32 v12, v11, v12, 0x7fff
	s_delay_alu instid0(VALU_DEP_1) | instskip(NEXT) | instid1(VALU_DEP_1)
	v_lshrrev_b32_e32 v12, 16, v12
	v_cndmask_b32_e32 v13, 0x7fc0, v12, vcc_lo
	v_add_co_u32 v11, vcc_lo, v1, s18
	v_add_co_ci_u32_e32 v12, vcc_lo, 0, v2, vcc_lo
	global_store_b16 v[11:12], v13, off
	s_branch .LBB305_3
.LBB305_20:
	s_cbranch_execz .LBB305_22
	s_branch .LBB305_25
.LBB305_21:
.LBB305_22:
	v_dual_mov_b32 v2, 0 :: v_dual_lshlrev_b32 v1, 2, v0
	s_mov_b32 s3, 0
	s_mov_b32 s2, exec_lo
	s_delay_alu instid0(VALU_DEP_1)
	v_cmpx_gt_i64_e64 s[6:7], v[1:2]
	s_cbranch_execz .LBB305_25
; %bb.23:
	s_load_b32 s0, s[0:1], 0xd3c
	v_lshlrev_b32_e32 v1, 3, v0
	s_waitcnt lgkmcnt(0)
	s_and_b32 s0, s0, 0xffff
	s_add_u32 s1, s8, s10
	s_addc_u32 s2, s9, s11
	v_add_co_u32 v3, s1, s1, v1
	s_delay_alu instid0(VALU_DEP_1)
	v_add_co_ci_u32_e64 v4, null, s2, 0, s1
	v_add_lshl_u32 v1, v0, s0, 2
	s_lshl_b32 s4, s0, 3
	s_lshl_b32 s5, s0, 2
.LBB305_24:                             ; =>This Inner Loop Header: Depth=1
	global_load_b64 v[5:6], v[3:4], off
	s_waitcnt vmcnt(0)
	v_lshlrev_b32_e32 v0, 16, v5
	v_alignbit_b32 v7, v6, v5, 16
	v_and_b32_e32 v6, 0xffff0000, v6
	s_delay_alu instid0(VALU_DEP_3) | instskip(SKIP_1) | instid1(VALU_DEP_3)
	v_mul_f32_e32 v8, 0x4b800000, v0
	v_cmp_gt_f32_e32 vcc_lo, 0x800000, v0
	v_mul_f32_e32 v10, 0x4b800000, v6
	v_cmp_gt_f32_e64 s1, 0x800000, v6
	s_delay_alu instid0(VALU_DEP_4) | instskip(NEXT) | instid1(VALU_DEP_2)
	v_dual_cndmask_b32 v0, v0, v8 :: v_dual_and_b32 v5, 0xffff0000, v5
	v_cndmask_b32_e64 v6, v6, v10, s1
	s_delay_alu instid0(VALU_DEP_2) | instskip(SKIP_1) | instid1(VALU_DEP_4)
	v_mul_f32_e32 v9, 0x4b800000, v5
	v_cmp_gt_f32_e64 s0, 0x800000, v5
	v_rsq_f32_e32 v0, v0
	s_delay_alu instid0(VALU_DEP_3) | instskip(NEXT) | instid1(VALU_DEP_1)
	v_rsq_f32_e32 v6, v6
	v_cndmask_b32_e64 v5, v5, v9, s0
	s_delay_alu instid0(VALU_DEP_1) | instskip(SKIP_2) | instid1(VALU_DEP_1)
	v_rsq_f32_e32 v5, v5
	s_waitcnt_depctr 0xfff
	v_dual_mul_f32 v9, 0x45800000, v0 :: v_dual_mul_f32 v10, 0x45800000, v6
	v_dual_cndmask_b32 v0, v0, v9 :: v_dual_and_b32 v7, 0xffff0000, v7
	s_delay_alu instid0(VALU_DEP_2) | instskip(NEXT) | instid1(VALU_DEP_2)
	v_cndmask_b32_e64 v6, v6, v10, s1
	v_mul_f32_e32 v8, 0x4b800000, v7
	v_cmp_gt_f32_e64 s2, 0x800000, v7
	s_delay_alu instid0(VALU_DEP_4) | instskip(NEXT) | instid1(VALU_DEP_4)
	v_bfe_u32 v9, v0, 16, 1
	v_bfe_u32 v10, v6, 16, 1
	s_delay_alu instid0(VALU_DEP_3) | instskip(SKIP_1) | instid1(VALU_DEP_4)
	v_cndmask_b32_e64 v7, v7, v8, s2
	v_mul_f32_e32 v8, 0x45800000, v5
	v_add3_u32 v9, v0, v9, 0x7fff
	s_delay_alu instid0(VALU_DEP_4) | instskip(NEXT) | instid1(VALU_DEP_4)
	v_add3_u32 v10, v6, v10, 0x7fff
	v_rsq_f32_e32 v7, v7
	s_delay_alu instid0(VALU_DEP_3) | instskip(NEXT) | instid1(VALU_DEP_3)
	v_cndmask_b32_e64 v5, v5, v8, s0
	v_lshrrev_b32_e32 v9, 16, v9
	s_delay_alu instid0(VALU_DEP_3) | instskip(SKIP_1) | instid1(VALU_DEP_4)
	v_and_b32_e32 v10, 0xffff0000, v10
	v_cmp_lt_u64_e64 s0, 0xffff, v[1:2]
	v_bfe_u32 v8, v5, 16, 1
	v_cmp_o_f32_e32 vcc_lo, v5, v5
	s_delay_alu instid0(TRANS32_DEP_1) | instskip(NEXT) | instid1(VALU_DEP_3)
	v_mul_f32_e32 v11, 0x45800000, v7
	v_add3_u32 v8, v5, v8, 0x7fff
	s_delay_alu instid0(VALU_DEP_2) | instskip(NEXT) | instid1(VALU_DEP_2)
	v_cndmask_b32_e64 v7, v7, v11, s2
	v_and_b32_e32 v8, 0xffff0000, v8
	s_delay_alu instid0(VALU_DEP_2) | instskip(NEXT) | instid1(VALU_DEP_2)
	v_bfe_u32 v11, v7, 16, 1
	v_cndmask_b32_e32 v5, 0x7fc00000, v8, vcc_lo
	v_cmp_o_f32_e32 vcc_lo, v0, v0
	s_delay_alu instid0(VALU_DEP_3) | instskip(SKIP_2) | instid1(VALU_DEP_3)
	v_add3_u32 v11, v7, v11, 0x7fff
	v_cndmask_b32_e32 v0, 0x7fc0, v9, vcc_lo
	v_cmp_o_f32_e32 vcc_lo, v6, v6
	v_lshrrev_b32_e32 v11, 16, v11
	s_delay_alu instid0(VALU_DEP_3) | instskip(SKIP_2) | instid1(VALU_DEP_3)
	v_or_b32_e32 v0, v0, v5
	v_cndmask_b32_e32 v6, 0x7fc00000, v10, vcc_lo
	v_cmp_o_f32_e32 vcc_lo, v7, v7
	v_or3_b32 v5, v0, 0, 0
	v_cndmask_b32_e32 v7, 0x7fc0, v11, vcc_lo
	v_cmp_le_i64_e32 vcc_lo, s[6:7], v[1:2]
	v_add_co_u32 v1, s1, v1, s5
	s_delay_alu instid0(VALU_DEP_1) | instskip(NEXT) | instid1(VALU_DEP_4)
	v_add_co_ci_u32_e64 v2, s1, 0, v2, s1
	v_or3_b32 v6, 0, v7, v6
	s_or_b32 s0, vcc_lo, s0
	s_delay_alu instid0(SALU_CYCLE_1) | instskip(SKIP_4) | instid1(SALU_CYCLE_1)
	s_and_b32 s0, exec_lo, s0
	global_store_b64 v[3:4], v[5:6], off
	v_add_co_u32 v3, vcc_lo, v3, s4
	v_add_co_ci_u32_e32 v4, vcc_lo, 0, v4, vcc_lo
	s_or_b32 s3, s0, s3
	s_and_not1_b32 exec_lo, exec_lo, s3
	s_cbranch_execnz .LBB305_24
.LBB305_25:
	s_nop 0
	s_sendmsg sendmsg(MSG_DEALLOC_VGPRS)
	s_endpgm
	.section	.rodata,"a",@progbits
	.p2align	6, 0x0
	.amdhsa_kernel _ZN2at6native12_GLOBAL__N_125multi_tensor_apply_kernelINS1_18TensorListMetadataILi1EEENS1_14UnaryOpFunctorIN3c108BFloat16ELi1ELi1ELi0EEEJNS0_5RsqrtIfEEEEEvT_T0_DpT1_
		.amdhsa_group_segment_fixed_size 0
		.amdhsa_private_segment_fixed_size 0
		.amdhsa_kernarg_size 3632
		.amdhsa_user_sgpr_count 15
		.amdhsa_user_sgpr_dispatch_ptr 0
		.amdhsa_user_sgpr_queue_ptr 0
		.amdhsa_user_sgpr_kernarg_segment_ptr 1
		.amdhsa_user_sgpr_dispatch_id 0
		.amdhsa_user_sgpr_private_segment_size 0
		.amdhsa_wavefront_size32 1
		.amdhsa_uses_dynamic_stack 0
		.amdhsa_enable_private_segment 0
		.amdhsa_system_sgpr_workgroup_id_x 1
		.amdhsa_system_sgpr_workgroup_id_y 0
		.amdhsa_system_sgpr_workgroup_id_z 0
		.amdhsa_system_sgpr_workgroup_info 0
		.amdhsa_system_vgpr_workitem_id 0
		.amdhsa_next_free_vgpr 17
		.amdhsa_next_free_sgpr 20
		.amdhsa_reserve_vcc 1
		.amdhsa_float_round_mode_32 0
		.amdhsa_float_round_mode_16_64 0
		.amdhsa_float_denorm_mode_32 3
		.amdhsa_float_denorm_mode_16_64 3
		.amdhsa_dx10_clamp 1
		.amdhsa_ieee_mode 1
		.amdhsa_fp16_overflow 0
		.amdhsa_workgroup_processor_mode 1
		.amdhsa_memory_ordered 1
		.amdhsa_forward_progress 0
		.amdhsa_shared_vgpr_count 0
		.amdhsa_exception_fp_ieee_invalid_op 0
		.amdhsa_exception_fp_denorm_src 0
		.amdhsa_exception_fp_ieee_div_zero 0
		.amdhsa_exception_fp_ieee_overflow 0
		.amdhsa_exception_fp_ieee_underflow 0
		.amdhsa_exception_fp_ieee_inexact 0
		.amdhsa_exception_int_div_zero 0
	.end_amdhsa_kernel
	.section	.text._ZN2at6native12_GLOBAL__N_125multi_tensor_apply_kernelINS1_18TensorListMetadataILi1EEENS1_14UnaryOpFunctorIN3c108BFloat16ELi1ELi1ELi0EEEJNS0_5RsqrtIfEEEEEvT_T0_DpT1_,"axG",@progbits,_ZN2at6native12_GLOBAL__N_125multi_tensor_apply_kernelINS1_18TensorListMetadataILi1EEENS1_14UnaryOpFunctorIN3c108BFloat16ELi1ELi1ELi0EEEJNS0_5RsqrtIfEEEEEvT_T0_DpT1_,comdat
.Lfunc_end305:
	.size	_ZN2at6native12_GLOBAL__N_125multi_tensor_apply_kernelINS1_18TensorListMetadataILi1EEENS1_14UnaryOpFunctorIN3c108BFloat16ELi1ELi1ELi0EEEJNS0_5RsqrtIfEEEEEvT_T0_DpT1_, .Lfunc_end305-_ZN2at6native12_GLOBAL__N_125multi_tensor_apply_kernelINS1_18TensorListMetadataILi1EEENS1_14UnaryOpFunctorIN3c108BFloat16ELi1ELi1ELi0EEEJNS0_5RsqrtIfEEEEEvT_T0_DpT1_
                                        ; -- End function
	.section	.AMDGPU.csdata,"",@progbits
; Kernel info:
; codeLenInByte = 1928
; NumSgprs: 22
; NumVgprs: 17
; ScratchSize: 0
; MemoryBound: 0
; FloatMode: 240
; IeeeMode: 1
; LDSByteSize: 0 bytes/workgroup (compile time only)
; SGPRBlocks: 2
; VGPRBlocks: 2
; NumSGPRsForWavesPerEU: 22
; NumVGPRsForWavesPerEU: 17
; Occupancy: 16
; WaveLimiterHint : 0
; COMPUTE_PGM_RSRC2:SCRATCH_EN: 0
; COMPUTE_PGM_RSRC2:USER_SGPR: 15
; COMPUTE_PGM_RSRC2:TRAP_HANDLER: 0
; COMPUTE_PGM_RSRC2:TGID_X_EN: 1
; COMPUTE_PGM_RSRC2:TGID_Y_EN: 0
; COMPUTE_PGM_RSRC2:TGID_Z_EN: 0
; COMPUTE_PGM_RSRC2:TIDIG_COMP_CNT: 0
	.section	.text._ZN2at6native12_GLOBAL__N_125multi_tensor_apply_kernelINS1_18TensorListMetadataILi2EEENS1_14UnaryOpFunctorIhLi2ELi1ELi1EEEJSt6negateIhEEEEvT_T0_DpT1_,"axG",@progbits,_ZN2at6native12_GLOBAL__N_125multi_tensor_apply_kernelINS1_18TensorListMetadataILi2EEENS1_14UnaryOpFunctorIhLi2ELi1ELi1EEEJSt6negateIhEEEEvT_T0_DpT1_,comdat
	.globl	_ZN2at6native12_GLOBAL__N_125multi_tensor_apply_kernelINS1_18TensorListMetadataILi2EEENS1_14UnaryOpFunctorIhLi2ELi1ELi1EEEJSt6negateIhEEEEvT_T0_DpT1_ ; -- Begin function _ZN2at6native12_GLOBAL__N_125multi_tensor_apply_kernelINS1_18TensorListMetadataILi2EEENS1_14UnaryOpFunctorIhLi2ELi1ELi1EEEJSt6negateIhEEEEvT_T0_DpT1_
	.p2align	8
	.type	_ZN2at6native12_GLOBAL__N_125multi_tensor_apply_kernelINS1_18TensorListMetadataILi2EEENS1_14UnaryOpFunctorIhLi2ELi1ELi1EEEJSt6negateIhEEEEvT_T0_DpT1_,@function
_ZN2at6native12_GLOBAL__N_125multi_tensor_apply_kernelINS1_18TensorListMetadataILi2EEENS1_14UnaryOpFunctorIhLi2ELi1ELi1EEEJSt6negateIhEEEEvT_T0_DpT1_: ; @_ZN2at6native12_GLOBAL__N_125multi_tensor_apply_kernelINS1_18TensorListMetadataILi2EEENS1_14UnaryOpFunctorIhLi2ELi1ELi1EEEJSt6negateIhEEEEvT_T0_DpT1_
; %bb.0:
	v_mov_b32_e32 v1, s15
	s_add_u32 s2, s0, s15
	s_mul_hi_u32 s3, s15, 3
	s_mul_i32 s15, s15, 3
	s_addc_u32 s4, s1, 0
	global_load_u8 v1, v1, s[0:1] offset:1536
	s_add_u32 s2, s2, s15
	s_addc_u32 s3, s4, s3
	s_load_b32 s2, s[2:3], 0x740
	s_waitcnt vmcnt(0)
	v_readfirstlane_b32 s5, v1
	s_delay_alu instid0(VALU_DEP_1)
	s_lshl_b32 s3, s5, 3
	s_clause 0x2
	s_load_b64 s[8:9], s[0:1], s3 offset:0x0
	s_load_b64 s[10:11], s[0:1], s3 offset:0x200
	s_load_b64 s[4:5], s[0:1], s3 offset:0x400
	s_waitcnt lgkmcnt(0)
	s_ashr_i32 s3, s2, 31
	s_delay_alu instid0(SALU_CYCLE_1) | instskip(NEXT) | instid1(SALU_CYCLE_1)
	s_lshl_b64 s[12:13], s[2:3], 16
	s_add_u32 s6, s8, s12
	s_addc_u32 s7, s9, s13
	s_add_u32 s3, s10, s12
	s_addc_u32 s14, s11, s13
	s_or_b64 s[16:17], s[4:5], s[6:7]
	s_delay_alu instid0(SALU_CYCLE_1) | instskip(NEXT) | instid1(SALU_CYCLE_1)
	s_or_b32 s2, s3, s16
	s_and_b32 s2, s2, 3
	s_sub_u32 s4, s4, s12
	s_subb_u32 s5, s5, s13
	s_cmp_eq_u32 s2, 0
	s_mov_b32 s2, -1
	s_cbranch_scc0 .LBB306_5
; %bb.1:
	v_dual_mov_b32 v2, 0 :: v_dual_lshlrev_b32 v1, 2, v0
	s_mov_b32 s15, exec_lo
	s_delay_alu instid0(VALU_DEP_1)
	v_cmpx_gt_i64_e64 s[4:5], v[1:2]
	s_cbranch_execz .LBB306_4
; %bb.2:
	s_load_b32 s2, s[0:1], 0xc5c
	s_mov_b32 s17, 0
	s_waitcnt lgkmcnt(0)
	s_and_b32 s2, s2, 0xffff
	s_delay_alu instid0(SALU_CYCLE_1)
	s_lshl_b32 s16, s2, 2
	s_set_inst_prefetch_distance 0x1
	.p2align	6
.LBB306_3:                              ; =>This Inner Loop Header: Depth=1
	v_add_co_u32 v3, vcc_lo, s6, v1
	v_add_co_ci_u32_e32 v4, vcc_lo, s7, v2, vcc_lo
	global_load_b32 v5, v[3:4], off
	v_add_co_u32 v3, vcc_lo, s3, v1
	v_add_co_ci_u32_e32 v4, vcc_lo, s14, v2, vcc_lo
	v_add_co_u32 v1, vcc_lo, s16, v1
	v_add_co_ci_u32_e32 v2, vcc_lo, 0, v2, vcc_lo
	s_delay_alu instid0(VALU_DEP_1) | instskip(SKIP_1) | instid1(VALU_DEP_1)
	v_cmp_le_i64_e32 vcc_lo, s[4:5], v[1:2]
	v_cmp_lt_u64_e64 s2, 0xffff, v[1:2]
	s_or_b32 s2, vcc_lo, s2
	s_delay_alu instid0(SALU_CYCLE_1) | instskip(NEXT) | instid1(SALU_CYCLE_1)
	s_and_b32 s2, exec_lo, s2
	s_or_b32 s17, s2, s17
	s_waitcnt vmcnt(0)
	v_and_b32_e32 v6, 0xff0000, v5
	v_and_b32_e32 v7, 0xff00, v5
	;; [unrolled: 1-line block ×3, first 2 shown]
	v_sub_nc_u32_e32 v5, 0, v5
	s_delay_alu instid0(VALU_DEP_4) | instskip(NEXT) | instid1(VALU_DEP_4)
	v_sub_nc_u32_e32 v6, 0, v6
	v_sub_nc_u32_e32 v7, 0, v7
	s_delay_alu instid0(VALU_DEP_3) | instskip(NEXT) | instid1(VALU_DEP_3)
	v_and_b32_e32 v5, 0xff, v5
	v_and_b32_e32 v6, 0xff0000, v6
	s_delay_alu instid0(VALU_DEP_3) | instskip(NEXT) | instid1(VALU_DEP_2)
	v_and_b32_e32 v7, 0xff00, v7
	v_sub_nc_u32_e32 v6, v6, v8
	s_delay_alu instid0(VALU_DEP_1)
	v_or3_b32 v5, v6, v7, v5
	global_store_b32 v[3:4], v5, off
	s_and_not1_b32 exec_lo, exec_lo, s17
	s_cbranch_execnz .LBB306_3
.LBB306_4:
	s_set_inst_prefetch_distance 0x2
	s_or_b32 exec_lo, exec_lo, s15
	s_mov_b32 s2, 0
.LBB306_5:
	s_delay_alu instid0(SALU_CYCLE_1)
	s_and_not1_b32 vcc_lo, exec_lo, s2
	s_cbranch_vccnz .LBB306_25
; %bb.6:
	v_cmp_lt_i64_e64 s2, s[4:5], 1
	s_delay_alu instid0(VALU_DEP_1)
	s_and_b32 vcc_lo, exec_lo, s2
	s_cbranch_vccnz .LBB306_25
; %bb.7:
	s_load_b32 s0, s[0:1], 0xc5c
	v_add_co_u32 v15, s1, s12, v0
	s_delay_alu instid0(VALU_DEP_1) | instskip(SKIP_1) | instid1(VALU_DEP_3)
	v_add_co_ci_u32_e64 v16, null, s13, 0, s1
	v_cmp_gt_u64_e64 s1, 0x10000, s[4:5]
	v_add_co_u32 v1, vcc_lo, s8, v15
	s_delay_alu instid0(VALU_DEP_3)
	v_add_co_ci_u32_e32 v2, vcc_lo, s9, v16, vcc_lo
	v_add_co_u32 v3, vcc_lo, s10, v15
	v_add_co_ci_u32_e32 v4, vcc_lo, s11, v16, vcc_lo
	s_waitcnt lgkmcnt(0)
	s_and_b32 s0, s0, 0xffff
	s_and_b32 s1, s1, exec_lo
	s_mul_i32 s2, s0, 3
	s_cselect_b32 s7, s5, 0
	s_cselect_b32 s6, s4, 0x10000
	s_lshl_b32 s1, s0, 1
	s_lshl_b32 s14, s0, 2
	s_add_u32 s3, s12, s2
	s_addc_u32 s15, s13, 0
	v_add_co_u32 v7, s3, s3, v0
	s_delay_alu instid0(VALU_DEP_1) | instskip(SKIP_1) | instid1(VALU_DEP_2)
	v_add_co_ci_u32_e64 v8, null, s15, 0, s3
	s_add_u32 s3, s12, s1
	v_add_co_u32 v5, vcc_lo, s8, v7
	s_addc_u32 s12, s13, 0
	v_add_co_u32 v13, s3, s3, v0
	v_add_co_ci_u32_e32 v6, vcc_lo, s9, v8, vcc_lo
	v_add_co_u32 v7, vcc_lo, s10, v7
	v_add_co_ci_u32_e64 v14, null, s12, 0, s3
	v_add_co_ci_u32_e32 v8, vcc_lo, s11, v8, vcc_lo
	v_add_co_u32 v11, vcc_lo, s8, v13
	s_delay_alu instid0(VALU_DEP_3)
	v_add_co_ci_u32_e32 v12, vcc_lo, s9, v14, vcc_lo
	v_add_co_u32 v13, vcc_lo, s10, v13
	v_add_co_ci_u32_e32 v14, vcc_lo, s11, v14, vcc_lo
	v_add_co_u32 v19, vcc_lo, v15, s0
	v_add_co_ci_u32_e32 v20, vcc_lo, 0, v16, vcc_lo
	v_add_co_u32 v9, s2, s2, v0
	s_delay_alu instid0(VALU_DEP_3) | instskip(NEXT) | instid1(VALU_DEP_3)
	v_add_co_u32 v17, vcc_lo, s8, v19
	v_add_co_ci_u32_e32 v18, vcc_lo, s9, v20, vcc_lo
	v_add_co_u32 v15, s1, s1, v0
	v_add_co_u32 v19, vcc_lo, s10, v19
	v_add_co_u32 v21, s0, v0, s0
	v_add_co_ci_u32_e64 v10, null, 0, 0, s2
	v_add_co_ci_u32_e64 v16, null, 0, 0, s1
	v_add_co_ci_u32_e32 v20, vcc_lo, s11, v20, vcc_lo
	v_add_co_ci_u32_e64 v22, null, 0, 0, s0
	s_mov_b64 s[8:9], 0
	s_branch .LBB306_9
.LBB306_8:                              ;   in Loop: Header=BB306_9 Depth=1
	s_or_b32 exec_lo, exec_lo, s0
	s_add_u32 s8, s8, s14
	s_addc_u32 s9, s9, 0
	s_delay_alu instid0(SALU_CYCLE_1) | instskip(SKIP_1) | instid1(VALU_DEP_1)
	v_cmp_ge_i64_e64 s0, s[8:9], s[4:5]
	v_cmp_lt_u64_e64 s1, 0xffff, s[8:9]
	s_or_b32 s0, s0, s1
	s_delay_alu instid0(SALU_CYCLE_1)
	s_and_b32 vcc_lo, exec_lo, s0
	s_cbranch_vccnz .LBB306_25
.LBB306_9:                              ; =>This Inner Loop Header: Depth=1
	s_waitcnt vmcnt(0)
	v_add_co_u32 v23, s0, v0, s8
	s_delay_alu instid0(VALU_DEP_1) | instskip(NEXT) | instid1(VALU_DEP_1)
	v_add_co_ci_u32_e64 v24, null, 0, s9, s0
	v_cmp_gt_u64_e32 vcc_lo, s[6:7], v[23:24]
	v_mov_b32_e32 v23, 0
	s_and_saveexec_b32 s1, vcc_lo
	s_cbranch_execz .LBB306_11
; %bb.10:                               ;   in Loop: Header=BB306_9 Depth=1
	v_add_co_u32 v23, s0, v1, s8
	s_delay_alu instid0(VALU_DEP_1)
	v_add_co_ci_u32_e64 v24, s0, s9, v2, s0
	global_load_u8 v23, v[23:24], off
.LBB306_11:                             ;   in Loop: Header=BB306_9 Depth=1
	s_or_b32 exec_lo, exec_lo, s1
	v_add_co_u32 v24, s0, v21, s8
	s_delay_alu instid0(VALU_DEP_1) | instskip(NEXT) | instid1(VALU_DEP_1)
	v_add_co_ci_u32_e64 v25, s0, s9, v22, s0
	v_cmp_gt_u64_e64 s0, s[6:7], v[24:25]
	v_mov_b32_e32 v25, 0
	s_delay_alu instid0(VALU_DEP_2)
	s_and_saveexec_b32 s2, s0
	s_cbranch_execz .LBB306_13
; %bb.12:                               ;   in Loop: Header=BB306_9 Depth=1
	v_add_co_u32 v24, s1, v17, s8
	s_delay_alu instid0(VALU_DEP_1)
	v_add_co_ci_u32_e64 v25, s1, s9, v18, s1
	global_load_u8 v25, v[24:25], off
.LBB306_13:                             ;   in Loop: Header=BB306_9 Depth=1
	s_or_b32 exec_lo, exec_lo, s2
	v_add_co_u32 v26, s1, v15, s8
	s_delay_alu instid0(VALU_DEP_1) | instskip(SKIP_1) | instid1(VALU_DEP_2)
	v_add_co_ci_u32_e64 v27, s1, s9, v16, s1
	v_mov_b32_e32 v24, 0
	v_cmp_gt_u64_e64 s1, s[6:7], v[26:27]
	v_mov_b32_e32 v26, 0
	s_delay_alu instid0(VALU_DEP_2)
	s_and_saveexec_b32 s3, s1
	s_cbranch_execz .LBB306_15
; %bb.14:                               ;   in Loop: Header=BB306_9 Depth=1
	v_add_co_u32 v26, s2, v11, s8
	s_delay_alu instid0(VALU_DEP_1)
	v_add_co_ci_u32_e64 v27, s2, s9, v12, s2
	global_load_u8 v26, v[26:27], off
.LBB306_15:                             ;   in Loop: Header=BB306_9 Depth=1
	s_or_b32 exec_lo, exec_lo, s3
	v_add_co_u32 v27, s2, v9, s8
	s_delay_alu instid0(VALU_DEP_1) | instskip(NEXT) | instid1(VALU_DEP_1)
	v_add_co_ci_u32_e64 v28, s2, s9, v10, s2
	v_cmp_gt_u64_e64 s2, s[6:7], v[27:28]
	s_delay_alu instid0(VALU_DEP_1)
	s_and_saveexec_b32 s10, s2
	s_cbranch_execnz .LBB306_20
; %bb.16:                               ;   in Loop: Header=BB306_9 Depth=1
	s_or_b32 exec_lo, exec_lo, s10
	s_and_saveexec_b32 s3, vcc_lo
	s_cbranch_execnz .LBB306_21
.LBB306_17:                             ;   in Loop: Header=BB306_9 Depth=1
	s_or_b32 exec_lo, exec_lo, s3
	s_and_saveexec_b32 s3, s0
	s_cbranch_execnz .LBB306_22
.LBB306_18:                             ;   in Loop: Header=BB306_9 Depth=1
	s_or_b32 exec_lo, exec_lo, s3
	s_and_saveexec_b32 s0, s1
	s_cbranch_execnz .LBB306_23
.LBB306_19:                             ;   in Loop: Header=BB306_9 Depth=1
	s_or_b32 exec_lo, exec_lo, s0
	s_and_saveexec_b32 s0, s2
	s_cbranch_execz .LBB306_8
	s_branch .LBB306_24
.LBB306_20:                             ;   in Loop: Header=BB306_9 Depth=1
	v_add_co_u32 v27, s3, v5, s8
	s_delay_alu instid0(VALU_DEP_1)
	v_add_co_ci_u32_e64 v28, s3, s9, v6, s3
	global_load_u8 v24, v[27:28], off
	s_or_b32 exec_lo, exec_lo, s10
	s_and_saveexec_b32 s3, vcc_lo
	s_cbranch_execz .LBB306_17
.LBB306_21:                             ;   in Loop: Header=BB306_9 Depth=1
	v_add_co_u32 v27, vcc_lo, v3, s8
	v_add_co_ci_u32_e32 v28, vcc_lo, s9, v4, vcc_lo
	s_waitcnt vmcnt(0)
	v_sub_nc_u16 v23, 0, v23
	global_store_b8 v[27:28], v23, off
	s_or_b32 exec_lo, exec_lo, s3
	s_and_saveexec_b32 s3, s0
	s_cbranch_execz .LBB306_18
.LBB306_22:                             ;   in Loop: Header=BB306_9 Depth=1
	v_add_co_u32 v27, vcc_lo, v19, s8
	s_waitcnt vmcnt(0)
	v_sub_nc_u16 v23, 0, v25
	v_add_co_ci_u32_e32 v28, vcc_lo, s9, v20, vcc_lo
	global_store_b8 v[27:28], v23, off
	s_or_b32 exec_lo, exec_lo, s3
	s_and_saveexec_b32 s0, s1
	s_cbranch_execz .LBB306_19
.LBB306_23:                             ;   in Loop: Header=BB306_9 Depth=1
	s_waitcnt vmcnt(0)
	v_add_co_u32 v25, vcc_lo, v13, s8
	v_sub_nc_u16 v23, 0, v26
	v_add_co_ci_u32_e32 v26, vcc_lo, s9, v14, vcc_lo
	global_store_b8 v[25:26], v23, off
	s_or_b32 exec_lo, exec_lo, s0
	s_and_saveexec_b32 s0, s2
	s_cbranch_execz .LBB306_8
.LBB306_24:                             ;   in Loop: Header=BB306_9 Depth=1
	s_waitcnt vmcnt(0)
	v_add_co_u32 v23, vcc_lo, v7, s8
	v_sub_nc_u16 v25, 0, v24
	v_add_co_ci_u32_e32 v24, vcc_lo, s9, v8, vcc_lo
	global_store_b8 v[23:24], v25, off
	s_branch .LBB306_8
.LBB306_25:
	s_nop 0
	s_sendmsg sendmsg(MSG_DEALLOC_VGPRS)
	s_endpgm
	.section	.rodata,"a",@progbits
	.p2align	6, 0x0
	.amdhsa_kernel _ZN2at6native12_GLOBAL__N_125multi_tensor_apply_kernelINS1_18TensorListMetadataILi2EEENS1_14UnaryOpFunctorIhLi2ELi1ELi1EEEJSt6negateIhEEEEvT_T0_DpT1_
		.amdhsa_group_segment_fixed_size 0
		.amdhsa_private_segment_fixed_size 0
		.amdhsa_kernarg_size 3408
		.amdhsa_user_sgpr_count 15
		.amdhsa_user_sgpr_dispatch_ptr 0
		.amdhsa_user_sgpr_queue_ptr 0
		.amdhsa_user_sgpr_kernarg_segment_ptr 1
		.amdhsa_user_sgpr_dispatch_id 0
		.amdhsa_user_sgpr_private_segment_size 0
		.amdhsa_wavefront_size32 1
		.amdhsa_uses_dynamic_stack 0
		.amdhsa_enable_private_segment 0
		.amdhsa_system_sgpr_workgroup_id_x 1
		.amdhsa_system_sgpr_workgroup_id_y 0
		.amdhsa_system_sgpr_workgroup_id_z 0
		.amdhsa_system_sgpr_workgroup_info 0
		.amdhsa_system_vgpr_workitem_id 0
		.amdhsa_next_free_vgpr 29
		.amdhsa_next_free_sgpr 18
		.amdhsa_reserve_vcc 1
		.amdhsa_float_round_mode_32 0
		.amdhsa_float_round_mode_16_64 0
		.amdhsa_float_denorm_mode_32 3
		.amdhsa_float_denorm_mode_16_64 3
		.amdhsa_dx10_clamp 1
		.amdhsa_ieee_mode 1
		.amdhsa_fp16_overflow 0
		.amdhsa_workgroup_processor_mode 1
		.amdhsa_memory_ordered 1
		.amdhsa_forward_progress 0
		.amdhsa_shared_vgpr_count 0
		.amdhsa_exception_fp_ieee_invalid_op 0
		.amdhsa_exception_fp_denorm_src 0
		.amdhsa_exception_fp_ieee_div_zero 0
		.amdhsa_exception_fp_ieee_overflow 0
		.amdhsa_exception_fp_ieee_underflow 0
		.amdhsa_exception_fp_ieee_inexact 0
		.amdhsa_exception_int_div_zero 0
	.end_amdhsa_kernel
	.section	.text._ZN2at6native12_GLOBAL__N_125multi_tensor_apply_kernelINS1_18TensorListMetadataILi2EEENS1_14UnaryOpFunctorIhLi2ELi1ELi1EEEJSt6negateIhEEEEvT_T0_DpT1_,"axG",@progbits,_ZN2at6native12_GLOBAL__N_125multi_tensor_apply_kernelINS1_18TensorListMetadataILi2EEENS1_14UnaryOpFunctorIhLi2ELi1ELi1EEEJSt6negateIhEEEEvT_T0_DpT1_,comdat
.Lfunc_end306:
	.size	_ZN2at6native12_GLOBAL__N_125multi_tensor_apply_kernelINS1_18TensorListMetadataILi2EEENS1_14UnaryOpFunctorIhLi2ELi1ELi1EEEJSt6negateIhEEEEvT_T0_DpT1_, .Lfunc_end306-_ZN2at6native12_GLOBAL__N_125multi_tensor_apply_kernelINS1_18TensorListMetadataILi2EEENS1_14UnaryOpFunctorIhLi2ELi1ELi1EEEJSt6negateIhEEEEvT_T0_DpT1_
                                        ; -- End function
	.section	.AMDGPU.csdata,"",@progbits
; Kernel info:
; codeLenInByte = 1352
; NumSgprs: 20
; NumVgprs: 29
; ScratchSize: 0
; MemoryBound: 0
; FloatMode: 240
; IeeeMode: 1
; LDSByteSize: 0 bytes/workgroup (compile time only)
; SGPRBlocks: 2
; VGPRBlocks: 3
; NumSGPRsForWavesPerEU: 20
; NumVGPRsForWavesPerEU: 29
; Occupancy: 16
; WaveLimiterHint : 0
; COMPUTE_PGM_RSRC2:SCRATCH_EN: 0
; COMPUTE_PGM_RSRC2:USER_SGPR: 15
; COMPUTE_PGM_RSRC2:TRAP_HANDLER: 0
; COMPUTE_PGM_RSRC2:TGID_X_EN: 1
; COMPUTE_PGM_RSRC2:TGID_Y_EN: 0
; COMPUTE_PGM_RSRC2:TGID_Z_EN: 0
; COMPUTE_PGM_RSRC2:TIDIG_COMP_CNT: 0
	.section	.text._ZN2at6native12_GLOBAL__N_125multi_tensor_apply_kernelINS1_18TensorListMetadataILi2EEENS1_14UnaryOpFunctorIaLi2ELi1ELi1EEEJSt6negateIaEEEEvT_T0_DpT1_,"axG",@progbits,_ZN2at6native12_GLOBAL__N_125multi_tensor_apply_kernelINS1_18TensorListMetadataILi2EEENS1_14UnaryOpFunctorIaLi2ELi1ELi1EEEJSt6negateIaEEEEvT_T0_DpT1_,comdat
	.globl	_ZN2at6native12_GLOBAL__N_125multi_tensor_apply_kernelINS1_18TensorListMetadataILi2EEENS1_14UnaryOpFunctorIaLi2ELi1ELi1EEEJSt6negateIaEEEEvT_T0_DpT1_ ; -- Begin function _ZN2at6native12_GLOBAL__N_125multi_tensor_apply_kernelINS1_18TensorListMetadataILi2EEENS1_14UnaryOpFunctorIaLi2ELi1ELi1EEEJSt6negateIaEEEEvT_T0_DpT1_
	.p2align	8
	.type	_ZN2at6native12_GLOBAL__N_125multi_tensor_apply_kernelINS1_18TensorListMetadataILi2EEENS1_14UnaryOpFunctorIaLi2ELi1ELi1EEEJSt6negateIaEEEEvT_T0_DpT1_,@function
_ZN2at6native12_GLOBAL__N_125multi_tensor_apply_kernelINS1_18TensorListMetadataILi2EEENS1_14UnaryOpFunctorIaLi2ELi1ELi1EEEJSt6negateIaEEEEvT_T0_DpT1_: ; @_ZN2at6native12_GLOBAL__N_125multi_tensor_apply_kernelINS1_18TensorListMetadataILi2EEENS1_14UnaryOpFunctorIaLi2ELi1ELi1EEEJSt6negateIaEEEEvT_T0_DpT1_
; %bb.0:
	v_mov_b32_e32 v1, s15
	s_add_u32 s2, s0, s15
	s_mul_hi_u32 s3, s15, 3
	s_mul_i32 s15, s15, 3
	s_addc_u32 s4, s1, 0
	global_load_u8 v1, v1, s[0:1] offset:1536
	s_add_u32 s2, s2, s15
	s_addc_u32 s3, s4, s3
	s_load_b32 s2, s[2:3], 0x740
	s_waitcnt vmcnt(0)
	v_readfirstlane_b32 s5, v1
	s_delay_alu instid0(VALU_DEP_1)
	s_lshl_b32 s3, s5, 3
	s_clause 0x2
	s_load_b64 s[8:9], s[0:1], s3 offset:0x0
	s_load_b64 s[10:11], s[0:1], s3 offset:0x200
	;; [unrolled: 1-line block ×3, first 2 shown]
	s_waitcnt lgkmcnt(0)
	s_ashr_i32 s3, s2, 31
	s_delay_alu instid0(SALU_CYCLE_1) | instskip(NEXT) | instid1(SALU_CYCLE_1)
	s_lshl_b64 s[12:13], s[2:3], 16
	s_add_u32 s6, s8, s12
	s_addc_u32 s7, s9, s13
	s_add_u32 s3, s10, s12
	s_addc_u32 s14, s11, s13
	s_or_b64 s[16:17], s[4:5], s[6:7]
	s_delay_alu instid0(SALU_CYCLE_1) | instskip(NEXT) | instid1(SALU_CYCLE_1)
	s_or_b32 s2, s3, s16
	s_and_b32 s2, s2, 3
	s_sub_u32 s4, s4, s12
	s_subb_u32 s5, s5, s13
	s_cmp_eq_u32 s2, 0
	s_mov_b32 s2, -1
	s_cbranch_scc0 .LBB307_5
; %bb.1:
	v_dual_mov_b32 v2, 0 :: v_dual_lshlrev_b32 v1, 2, v0
	s_mov_b32 s15, exec_lo
	s_delay_alu instid0(VALU_DEP_1)
	v_cmpx_gt_i64_e64 s[4:5], v[1:2]
	s_cbranch_execz .LBB307_4
; %bb.2:
	s_load_b32 s2, s[0:1], 0xc5c
	s_mov_b32 s17, 0
	s_waitcnt lgkmcnt(0)
	s_and_b32 s2, s2, 0xffff
	s_delay_alu instid0(SALU_CYCLE_1)
	s_lshl_b32 s16, s2, 2
	s_set_inst_prefetch_distance 0x1
	.p2align	6
.LBB307_3:                              ; =>This Inner Loop Header: Depth=1
	v_add_co_u32 v3, vcc_lo, s6, v1
	v_add_co_ci_u32_e32 v4, vcc_lo, s7, v2, vcc_lo
	global_load_b32 v5, v[3:4], off
	v_add_co_u32 v3, vcc_lo, s3, v1
	v_add_co_ci_u32_e32 v4, vcc_lo, s14, v2, vcc_lo
	v_add_co_u32 v1, vcc_lo, s16, v1
	v_add_co_ci_u32_e32 v2, vcc_lo, 0, v2, vcc_lo
	s_delay_alu instid0(VALU_DEP_1) | instskip(SKIP_1) | instid1(VALU_DEP_1)
	v_cmp_le_i64_e32 vcc_lo, s[4:5], v[1:2]
	v_cmp_lt_u64_e64 s2, 0xffff, v[1:2]
	s_or_b32 s2, vcc_lo, s2
	s_delay_alu instid0(SALU_CYCLE_1) | instskip(NEXT) | instid1(SALU_CYCLE_1)
	s_and_b32 s2, exec_lo, s2
	s_or_b32 s17, s2, s17
	s_waitcnt vmcnt(0)
	v_and_b32_e32 v6, 0xff0000, v5
	v_and_b32_e32 v7, 0xff00, v5
	;; [unrolled: 1-line block ×3, first 2 shown]
	v_sub_nc_u32_e32 v5, 0, v5
	s_delay_alu instid0(VALU_DEP_4) | instskip(NEXT) | instid1(VALU_DEP_4)
	v_sub_nc_u32_e32 v6, 0, v6
	v_sub_nc_u32_e32 v7, 0, v7
	s_delay_alu instid0(VALU_DEP_3) | instskip(NEXT) | instid1(VALU_DEP_3)
	v_and_b32_e32 v5, 0xff, v5
	v_and_b32_e32 v6, 0xff0000, v6
	s_delay_alu instid0(VALU_DEP_3) | instskip(NEXT) | instid1(VALU_DEP_2)
	v_and_b32_e32 v7, 0xff00, v7
	v_sub_nc_u32_e32 v6, v6, v8
	s_delay_alu instid0(VALU_DEP_1)
	v_or3_b32 v5, v6, v7, v5
	global_store_b32 v[3:4], v5, off
	s_and_not1_b32 exec_lo, exec_lo, s17
	s_cbranch_execnz .LBB307_3
.LBB307_4:
	s_set_inst_prefetch_distance 0x2
	s_or_b32 exec_lo, exec_lo, s15
	s_mov_b32 s2, 0
.LBB307_5:
	s_delay_alu instid0(SALU_CYCLE_1)
	s_and_not1_b32 vcc_lo, exec_lo, s2
	s_cbranch_vccnz .LBB307_25
; %bb.6:
	v_cmp_lt_i64_e64 s2, s[4:5], 1
	s_delay_alu instid0(VALU_DEP_1)
	s_and_b32 vcc_lo, exec_lo, s2
	s_cbranch_vccnz .LBB307_25
; %bb.7:
	s_load_b32 s0, s[0:1], 0xc5c
	v_add_co_u32 v15, s1, s12, v0
	s_delay_alu instid0(VALU_DEP_1) | instskip(SKIP_1) | instid1(VALU_DEP_3)
	v_add_co_ci_u32_e64 v16, null, s13, 0, s1
	v_cmp_gt_u64_e64 s1, 0x10000, s[4:5]
	v_add_co_u32 v1, vcc_lo, s8, v15
	s_delay_alu instid0(VALU_DEP_3)
	v_add_co_ci_u32_e32 v2, vcc_lo, s9, v16, vcc_lo
	v_add_co_u32 v3, vcc_lo, s10, v15
	v_add_co_ci_u32_e32 v4, vcc_lo, s11, v16, vcc_lo
	s_waitcnt lgkmcnt(0)
	s_and_b32 s0, s0, 0xffff
	s_and_b32 s1, s1, exec_lo
	s_mul_i32 s2, s0, 3
	s_cselect_b32 s7, s5, 0
	s_cselect_b32 s6, s4, 0x10000
	s_lshl_b32 s1, s0, 1
	s_lshl_b32 s14, s0, 2
	s_add_u32 s3, s12, s2
	s_addc_u32 s15, s13, 0
	v_add_co_u32 v7, s3, s3, v0
	s_delay_alu instid0(VALU_DEP_1) | instskip(SKIP_1) | instid1(VALU_DEP_2)
	v_add_co_ci_u32_e64 v8, null, s15, 0, s3
	s_add_u32 s3, s12, s1
	v_add_co_u32 v5, vcc_lo, s8, v7
	s_addc_u32 s12, s13, 0
	v_add_co_u32 v13, s3, s3, v0
	v_add_co_ci_u32_e32 v6, vcc_lo, s9, v8, vcc_lo
	v_add_co_u32 v7, vcc_lo, s10, v7
	v_add_co_ci_u32_e64 v14, null, s12, 0, s3
	v_add_co_ci_u32_e32 v8, vcc_lo, s11, v8, vcc_lo
	v_add_co_u32 v11, vcc_lo, s8, v13
	s_delay_alu instid0(VALU_DEP_3)
	v_add_co_ci_u32_e32 v12, vcc_lo, s9, v14, vcc_lo
	v_add_co_u32 v13, vcc_lo, s10, v13
	v_add_co_ci_u32_e32 v14, vcc_lo, s11, v14, vcc_lo
	v_add_co_u32 v19, vcc_lo, v15, s0
	v_add_co_ci_u32_e32 v20, vcc_lo, 0, v16, vcc_lo
	v_add_co_u32 v9, s2, s2, v0
	s_delay_alu instid0(VALU_DEP_3) | instskip(NEXT) | instid1(VALU_DEP_3)
	v_add_co_u32 v17, vcc_lo, s8, v19
	v_add_co_ci_u32_e32 v18, vcc_lo, s9, v20, vcc_lo
	v_add_co_u32 v15, s1, s1, v0
	v_add_co_u32 v19, vcc_lo, s10, v19
	v_add_co_u32 v21, s0, v0, s0
	v_add_co_ci_u32_e64 v10, null, 0, 0, s2
	v_add_co_ci_u32_e64 v16, null, 0, 0, s1
	v_add_co_ci_u32_e32 v20, vcc_lo, s11, v20, vcc_lo
	v_add_co_ci_u32_e64 v22, null, 0, 0, s0
	s_mov_b64 s[8:9], 0
	s_branch .LBB307_9
.LBB307_8:                              ;   in Loop: Header=BB307_9 Depth=1
	s_or_b32 exec_lo, exec_lo, s0
	s_add_u32 s8, s8, s14
	s_addc_u32 s9, s9, 0
	s_delay_alu instid0(SALU_CYCLE_1) | instskip(SKIP_1) | instid1(VALU_DEP_1)
	v_cmp_ge_i64_e64 s0, s[8:9], s[4:5]
	v_cmp_lt_u64_e64 s1, 0xffff, s[8:9]
	s_or_b32 s0, s0, s1
	s_delay_alu instid0(SALU_CYCLE_1)
	s_and_b32 vcc_lo, exec_lo, s0
	s_cbranch_vccnz .LBB307_25
.LBB307_9:                              ; =>This Inner Loop Header: Depth=1
	s_waitcnt vmcnt(0)
	v_add_co_u32 v23, s0, v0, s8
	s_delay_alu instid0(VALU_DEP_1) | instskip(NEXT) | instid1(VALU_DEP_1)
	v_add_co_ci_u32_e64 v24, null, 0, s9, s0
	v_cmp_gt_u64_e32 vcc_lo, s[6:7], v[23:24]
	v_mov_b32_e32 v23, 0
	s_and_saveexec_b32 s1, vcc_lo
	s_cbranch_execz .LBB307_11
; %bb.10:                               ;   in Loop: Header=BB307_9 Depth=1
	v_add_co_u32 v23, s0, v1, s8
	s_delay_alu instid0(VALU_DEP_1)
	v_add_co_ci_u32_e64 v24, s0, s9, v2, s0
	global_load_u8 v23, v[23:24], off
.LBB307_11:                             ;   in Loop: Header=BB307_9 Depth=1
	s_or_b32 exec_lo, exec_lo, s1
	v_add_co_u32 v24, s0, v21, s8
	s_delay_alu instid0(VALU_DEP_1) | instskip(NEXT) | instid1(VALU_DEP_1)
	v_add_co_ci_u32_e64 v25, s0, s9, v22, s0
	v_cmp_gt_u64_e64 s0, s[6:7], v[24:25]
	v_mov_b32_e32 v25, 0
	s_delay_alu instid0(VALU_DEP_2)
	s_and_saveexec_b32 s2, s0
	s_cbranch_execz .LBB307_13
; %bb.12:                               ;   in Loop: Header=BB307_9 Depth=1
	v_add_co_u32 v24, s1, v17, s8
	s_delay_alu instid0(VALU_DEP_1)
	v_add_co_ci_u32_e64 v25, s1, s9, v18, s1
	global_load_u8 v25, v[24:25], off
.LBB307_13:                             ;   in Loop: Header=BB307_9 Depth=1
	s_or_b32 exec_lo, exec_lo, s2
	v_add_co_u32 v26, s1, v15, s8
	s_delay_alu instid0(VALU_DEP_1) | instskip(SKIP_1) | instid1(VALU_DEP_2)
	v_add_co_ci_u32_e64 v27, s1, s9, v16, s1
	v_mov_b32_e32 v24, 0
	v_cmp_gt_u64_e64 s1, s[6:7], v[26:27]
	v_mov_b32_e32 v26, 0
	s_delay_alu instid0(VALU_DEP_2)
	s_and_saveexec_b32 s3, s1
	s_cbranch_execz .LBB307_15
; %bb.14:                               ;   in Loop: Header=BB307_9 Depth=1
	v_add_co_u32 v26, s2, v11, s8
	s_delay_alu instid0(VALU_DEP_1)
	v_add_co_ci_u32_e64 v27, s2, s9, v12, s2
	global_load_u8 v26, v[26:27], off
.LBB307_15:                             ;   in Loop: Header=BB307_9 Depth=1
	s_or_b32 exec_lo, exec_lo, s3
	v_add_co_u32 v27, s2, v9, s8
	s_delay_alu instid0(VALU_DEP_1) | instskip(NEXT) | instid1(VALU_DEP_1)
	v_add_co_ci_u32_e64 v28, s2, s9, v10, s2
	v_cmp_gt_u64_e64 s2, s[6:7], v[27:28]
	s_delay_alu instid0(VALU_DEP_1)
	s_and_saveexec_b32 s10, s2
	s_cbranch_execnz .LBB307_20
; %bb.16:                               ;   in Loop: Header=BB307_9 Depth=1
	s_or_b32 exec_lo, exec_lo, s10
	s_and_saveexec_b32 s3, vcc_lo
	s_cbranch_execnz .LBB307_21
.LBB307_17:                             ;   in Loop: Header=BB307_9 Depth=1
	s_or_b32 exec_lo, exec_lo, s3
	s_and_saveexec_b32 s3, s0
	s_cbranch_execnz .LBB307_22
.LBB307_18:                             ;   in Loop: Header=BB307_9 Depth=1
	s_or_b32 exec_lo, exec_lo, s3
	s_and_saveexec_b32 s0, s1
	s_cbranch_execnz .LBB307_23
.LBB307_19:                             ;   in Loop: Header=BB307_9 Depth=1
	s_or_b32 exec_lo, exec_lo, s0
	s_and_saveexec_b32 s0, s2
	s_cbranch_execz .LBB307_8
	s_branch .LBB307_24
.LBB307_20:                             ;   in Loop: Header=BB307_9 Depth=1
	v_add_co_u32 v27, s3, v5, s8
	s_delay_alu instid0(VALU_DEP_1)
	v_add_co_ci_u32_e64 v28, s3, s9, v6, s3
	global_load_u8 v24, v[27:28], off
	s_or_b32 exec_lo, exec_lo, s10
	s_and_saveexec_b32 s3, vcc_lo
	s_cbranch_execz .LBB307_17
.LBB307_21:                             ;   in Loop: Header=BB307_9 Depth=1
	v_add_co_u32 v27, vcc_lo, v3, s8
	v_add_co_ci_u32_e32 v28, vcc_lo, s9, v4, vcc_lo
	s_waitcnt vmcnt(0)
	v_sub_nc_u16 v23, 0, v23
	global_store_b8 v[27:28], v23, off
	s_or_b32 exec_lo, exec_lo, s3
	s_and_saveexec_b32 s3, s0
	s_cbranch_execz .LBB307_18
.LBB307_22:                             ;   in Loop: Header=BB307_9 Depth=1
	v_add_co_u32 v27, vcc_lo, v19, s8
	s_waitcnt vmcnt(0)
	v_sub_nc_u16 v23, 0, v25
	v_add_co_ci_u32_e32 v28, vcc_lo, s9, v20, vcc_lo
	global_store_b8 v[27:28], v23, off
	s_or_b32 exec_lo, exec_lo, s3
	s_and_saveexec_b32 s0, s1
	s_cbranch_execz .LBB307_19
.LBB307_23:                             ;   in Loop: Header=BB307_9 Depth=1
	s_waitcnt vmcnt(0)
	v_add_co_u32 v25, vcc_lo, v13, s8
	v_sub_nc_u16 v23, 0, v26
	v_add_co_ci_u32_e32 v26, vcc_lo, s9, v14, vcc_lo
	global_store_b8 v[25:26], v23, off
	s_or_b32 exec_lo, exec_lo, s0
	s_and_saveexec_b32 s0, s2
	s_cbranch_execz .LBB307_8
.LBB307_24:                             ;   in Loop: Header=BB307_9 Depth=1
	s_waitcnt vmcnt(0)
	v_add_co_u32 v23, vcc_lo, v7, s8
	v_sub_nc_u16 v25, 0, v24
	v_add_co_ci_u32_e32 v24, vcc_lo, s9, v8, vcc_lo
	global_store_b8 v[23:24], v25, off
	s_branch .LBB307_8
.LBB307_25:
	s_nop 0
	s_sendmsg sendmsg(MSG_DEALLOC_VGPRS)
	s_endpgm
	.section	.rodata,"a",@progbits
	.p2align	6, 0x0
	.amdhsa_kernel _ZN2at6native12_GLOBAL__N_125multi_tensor_apply_kernelINS1_18TensorListMetadataILi2EEENS1_14UnaryOpFunctorIaLi2ELi1ELi1EEEJSt6negateIaEEEEvT_T0_DpT1_
		.amdhsa_group_segment_fixed_size 0
		.amdhsa_private_segment_fixed_size 0
		.amdhsa_kernarg_size 3408
		.amdhsa_user_sgpr_count 15
		.amdhsa_user_sgpr_dispatch_ptr 0
		.amdhsa_user_sgpr_queue_ptr 0
		.amdhsa_user_sgpr_kernarg_segment_ptr 1
		.amdhsa_user_sgpr_dispatch_id 0
		.amdhsa_user_sgpr_private_segment_size 0
		.amdhsa_wavefront_size32 1
		.amdhsa_uses_dynamic_stack 0
		.amdhsa_enable_private_segment 0
		.amdhsa_system_sgpr_workgroup_id_x 1
		.amdhsa_system_sgpr_workgroup_id_y 0
		.amdhsa_system_sgpr_workgroup_id_z 0
		.amdhsa_system_sgpr_workgroup_info 0
		.amdhsa_system_vgpr_workitem_id 0
		.amdhsa_next_free_vgpr 29
		.amdhsa_next_free_sgpr 18
		.amdhsa_reserve_vcc 1
		.amdhsa_float_round_mode_32 0
		.amdhsa_float_round_mode_16_64 0
		.amdhsa_float_denorm_mode_32 3
		.amdhsa_float_denorm_mode_16_64 3
		.amdhsa_dx10_clamp 1
		.amdhsa_ieee_mode 1
		.amdhsa_fp16_overflow 0
		.amdhsa_workgroup_processor_mode 1
		.amdhsa_memory_ordered 1
		.amdhsa_forward_progress 0
		.amdhsa_shared_vgpr_count 0
		.amdhsa_exception_fp_ieee_invalid_op 0
		.amdhsa_exception_fp_denorm_src 0
		.amdhsa_exception_fp_ieee_div_zero 0
		.amdhsa_exception_fp_ieee_overflow 0
		.amdhsa_exception_fp_ieee_underflow 0
		.amdhsa_exception_fp_ieee_inexact 0
		.amdhsa_exception_int_div_zero 0
	.end_amdhsa_kernel
	.section	.text._ZN2at6native12_GLOBAL__N_125multi_tensor_apply_kernelINS1_18TensorListMetadataILi2EEENS1_14UnaryOpFunctorIaLi2ELi1ELi1EEEJSt6negateIaEEEEvT_T0_DpT1_,"axG",@progbits,_ZN2at6native12_GLOBAL__N_125multi_tensor_apply_kernelINS1_18TensorListMetadataILi2EEENS1_14UnaryOpFunctorIaLi2ELi1ELi1EEEJSt6negateIaEEEEvT_T0_DpT1_,comdat
.Lfunc_end307:
	.size	_ZN2at6native12_GLOBAL__N_125multi_tensor_apply_kernelINS1_18TensorListMetadataILi2EEENS1_14UnaryOpFunctorIaLi2ELi1ELi1EEEJSt6negateIaEEEEvT_T0_DpT1_, .Lfunc_end307-_ZN2at6native12_GLOBAL__N_125multi_tensor_apply_kernelINS1_18TensorListMetadataILi2EEENS1_14UnaryOpFunctorIaLi2ELi1ELi1EEEJSt6negateIaEEEEvT_T0_DpT1_
                                        ; -- End function
	.section	.AMDGPU.csdata,"",@progbits
; Kernel info:
; codeLenInByte = 1352
; NumSgprs: 20
; NumVgprs: 29
; ScratchSize: 0
; MemoryBound: 0
; FloatMode: 240
; IeeeMode: 1
; LDSByteSize: 0 bytes/workgroup (compile time only)
; SGPRBlocks: 2
; VGPRBlocks: 3
; NumSGPRsForWavesPerEU: 20
; NumVGPRsForWavesPerEU: 29
; Occupancy: 16
; WaveLimiterHint : 0
; COMPUTE_PGM_RSRC2:SCRATCH_EN: 0
; COMPUTE_PGM_RSRC2:USER_SGPR: 15
; COMPUTE_PGM_RSRC2:TRAP_HANDLER: 0
; COMPUTE_PGM_RSRC2:TGID_X_EN: 1
; COMPUTE_PGM_RSRC2:TGID_Y_EN: 0
; COMPUTE_PGM_RSRC2:TGID_Z_EN: 0
; COMPUTE_PGM_RSRC2:TIDIG_COMP_CNT: 0
	.section	.text._ZN2at6native12_GLOBAL__N_125multi_tensor_apply_kernelINS1_18TensorListMetadataILi2EEENS1_14UnaryOpFunctorIiLi2ELi1ELi1EEEJSt6negateIiEEEEvT_T0_DpT1_,"axG",@progbits,_ZN2at6native12_GLOBAL__N_125multi_tensor_apply_kernelINS1_18TensorListMetadataILi2EEENS1_14UnaryOpFunctorIiLi2ELi1ELi1EEEJSt6negateIiEEEEvT_T0_DpT1_,comdat
	.globl	_ZN2at6native12_GLOBAL__N_125multi_tensor_apply_kernelINS1_18TensorListMetadataILi2EEENS1_14UnaryOpFunctorIiLi2ELi1ELi1EEEJSt6negateIiEEEEvT_T0_DpT1_ ; -- Begin function _ZN2at6native12_GLOBAL__N_125multi_tensor_apply_kernelINS1_18TensorListMetadataILi2EEENS1_14UnaryOpFunctorIiLi2ELi1ELi1EEEJSt6negateIiEEEEvT_T0_DpT1_
	.p2align	8
	.type	_ZN2at6native12_GLOBAL__N_125multi_tensor_apply_kernelINS1_18TensorListMetadataILi2EEENS1_14UnaryOpFunctorIiLi2ELi1ELi1EEEJSt6negateIiEEEEvT_T0_DpT1_,@function
_ZN2at6native12_GLOBAL__N_125multi_tensor_apply_kernelINS1_18TensorListMetadataILi2EEENS1_14UnaryOpFunctorIiLi2ELi1ELi1EEEJSt6negateIiEEEEvT_T0_DpT1_: ; @_ZN2at6native12_GLOBAL__N_125multi_tensor_apply_kernelINS1_18TensorListMetadataILi2EEENS1_14UnaryOpFunctorIiLi2ELi1ELi1EEEJSt6negateIiEEEEvT_T0_DpT1_
; %bb.0:
	v_mov_b32_e32 v1, s15
	s_add_u32 s2, s0, s15
	s_mul_hi_u32 s3, s15, 3
	s_mul_i32 s15, s15, 3
	s_addc_u32 s4, s1, 0
	global_load_u8 v1, v1, s[0:1] offset:1536
	s_add_u32 s2, s2, s15
	s_addc_u32 s3, s4, s3
	s_mov_b32 s17, 0
	s_load_b32 s2, s[2:3], 0x740
	s_mov_b32 s19, s17
	s_mov_b32 s21, s17
	s_waitcnt vmcnt(0)
	v_readfirstlane_b32 s5, v1
	s_delay_alu instid0(VALU_DEP_1)
	s_lshl_b32 s3, s5, 3
	s_clause 0x2
	s_load_b64 s[10:11], s[0:1], s3 offset:0x0
	s_load_b64 s[12:13], s[0:1], s3 offset:0x200
	;; [unrolled: 1-line block ×3, first 2 shown]
	s_waitcnt lgkmcnt(0)
	s_ashr_i32 s3, s2, 31
	s_delay_alu instid0(SALU_CYCLE_1) | instskip(NEXT) | instid1(SALU_CYCLE_1)
	s_lshl_b64 s[4:5], s[2:3], 18
	s_add_u32 s8, s10, s4
	s_addc_u32 s9, s11, s5
	s_and_b32 s16, s8, 15
	s_add_u32 s14, s12, s4
	s_addc_u32 s15, s13, s5
	s_and_b32 s18, s6, 3
	s_and_b32 s20, s14, 15
	s_or_b64 s[16:17], s[16:17], s[18:19]
	s_lshl_b64 s[2:3], s[2:3], 16
	s_or_b64 s[16:17], s[20:21], s[16:17]
	s_sub_u32 s6, s6, s2
	s_subb_u32 s7, s7, s3
	s_cmp_eq_u64 s[16:17], 0
	s_mov_b32 s2, -1
	s_cbranch_scc0 .LBB308_5
; %bb.1:
	v_dual_mov_b32 v2, 0 :: v_dual_lshlrev_b32 v1, 2, v0
	s_mov_b32 s16, exec_lo
	s_delay_alu instid0(VALU_DEP_1)
	v_cmpx_gt_i64_e64 s[6:7], v[1:2]
	s_cbranch_execz .LBB308_4
; %bb.2:
	s_load_b32 s2, s[0:1], 0xc5c
	v_lshlrev_b32_e32 v3, 4, v0
	s_mov_b32 s17, 0
	s_waitcnt lgkmcnt(0)
	s_and_b32 s2, s2, 0xffff
	s_delay_alu instid0(SALU_CYCLE_1)
	v_add_lshl_u32 v1, v0, s2, 2
	s_lshl_b32 s18, s2, 2
	s_lshl_b32 s19, s2, 4
	s_set_inst_prefetch_distance 0x1
	.p2align	6
.LBB308_3:                              ; =>This Inner Loop Header: Depth=1
	v_add_co_u32 v4, s2, s8, v3
	s_delay_alu instid0(VALU_DEP_1)
	v_add_co_ci_u32_e64 v5, null, s9, 0, s2
	v_cmp_le_i64_e32 vcc_lo, s[6:7], v[1:2]
	v_cmp_lt_u64_e64 s2, 0xffff, v[1:2]
	v_add_co_u32 v8, s3, s14, v3
	global_load_b128 v[4:7], v[4:5], off
	v_add_co_ci_u32_e64 v9, null, s15, 0, s3
	s_or_b32 s2, vcc_lo, s2
	s_add_u32 s8, s8, s19
	v_add_co_u32 v1, s3, v1, s18
	s_addc_u32 s9, s9, 0
	s_add_u32 s14, s14, s19
	v_add_co_ci_u32_e64 v2, s3, 0, v2, s3
	s_addc_u32 s15, s15, 0
	s_and_b32 s2, exec_lo, s2
	s_delay_alu instid0(SALU_CYCLE_1)
	s_or_b32 s17, s2, s17
	s_waitcnt vmcnt(0)
	v_sub_nc_u32_e32 v4, 0, v4
	v_sub_nc_u32_e32 v5, 0, v5
	;; [unrolled: 1-line block ×4, first 2 shown]
	global_store_b128 v[8:9], v[4:7], off
	s_and_not1_b32 exec_lo, exec_lo, s17
	s_cbranch_execnz .LBB308_3
.LBB308_4:
	s_set_inst_prefetch_distance 0x2
	s_or_b32 exec_lo, exec_lo, s16
	s_mov_b32 s2, 0
.LBB308_5:
	s_delay_alu instid0(SALU_CYCLE_1)
	s_and_not1_b32 vcc_lo, exec_lo, s2
	s_cbranch_vccnz .LBB308_25
; %bb.6:
	v_cmp_lt_i64_e64 s2, s[6:7], 1
	s_delay_alu instid0(VALU_DEP_1)
	s_and_b32 vcc_lo, exec_lo, s2
	s_cbranch_vccnz .LBB308_25
; %bb.7:
	s_load_b32 s0, s[0:1], 0xc5c
	v_dual_mov_b32 v10, 0 :: v_dual_lshlrev_b32 v9, 2, v0
	v_cmp_gt_u64_e64 s1, 0x10000, s[6:7]
	s_delay_alu instid0(VALU_DEP_2) | instskip(NEXT) | instid1(VALU_DEP_1)
	v_add_co_u32 v1, s2, s10, v9
	v_add_co_ci_u32_e64 v2, null, s11, 0, s2
	v_add_co_u32 v3, s2, s12, v9
	s_delay_alu instid0(VALU_DEP_1)
	v_add_co_ci_u32_e64 v4, null, s13, 0, s2
	s_waitcnt lgkmcnt(0)
	s_and_b32 s0, s0, 0xffff
	s_and_b32 s1, s1, exec_lo
	v_mad_u64_u32 v[7:8], null, s0, 12, v[9:10]
	s_cselect_b32 s9, s7, 0
	s_cselect_b32 s8, s6, 0x10000
	s_mul_i32 s2, s0, 3
	s_lshl_b32 s3, s0, 3
	s_lshl_b32 s1, s0, 1
	v_add_co_u32 v14, s3, s3, v9
	v_add_co_u32 v9, s2, s2, v0
	s_delay_alu instid0(VALU_DEP_1) | instskip(SKIP_3) | instid1(VALU_DEP_3)
	v_add_co_ci_u32_e64 v10, null, 0, 0, s2
	v_add_co_u32 v13, s2, v0, s0
	v_add_co_u32 v5, vcc_lo, s10, v7
	v_add_co_ci_u32_e32 v6, vcc_lo, s11, v8, vcc_lo
	v_lshlrev_b32_e32 v21, 2, v13
	v_add_co_u32 v7, vcc_lo, s12, v7
	v_add_co_ci_u32_e64 v15, null, 0, 0, s3
	v_add_co_ci_u32_e32 v8, vcc_lo, s13, v8, vcc_lo
	v_add_co_u32 v17, s1, s1, v0
	v_add_co_u32 v11, vcc_lo, s10, v14
	v_add_co_ci_u32_e64 v18, null, 0, 0, s1
	v_add_co_u32 v19, s1, s10, v21
	v_add_co_ci_u32_e32 v12, vcc_lo, s11, v15, vcc_lo
	v_add_co_u32 v14, vcc_lo, s12, v14
	v_add_co_ci_u32_e64 v20, null, s11, 0, s1
	v_add_co_u32 v21, s1, s12, v21
	v_add_co_ci_u32_e32 v15, vcc_lo, s13, v15, vcc_lo
	v_add_co_ci_u32_e64 v16, null, 0, 0, s2
	v_add_co_ci_u32_e64 v22, null, s13, 0, s1
	s_lshl_b32 s12, s0, 2
	s_lshl_b32 s13, s0, 4
	s_mov_b64 s[10:11], 0
	s_branch .LBB308_9
.LBB308_8:                              ;   in Loop: Header=BB308_9 Depth=1
	s_or_b32 exec_lo, exec_lo, s0
	v_add_co_u32 v1, vcc_lo, v1, s13
	v_add_co_ci_u32_e32 v2, vcc_lo, 0, v2, vcc_lo
	v_add_co_u32 v3, vcc_lo, v3, s13
	v_add_co_ci_u32_e32 v4, vcc_lo, 0, v4, vcc_lo
	;; [unrolled: 2-line block ×5, first 2 shown]
	s_add_u32 s10, s10, s12
	v_add_co_u32 v14, vcc_lo, v14, s13
	s_addc_u32 s11, s11, 0
	v_add_co_ci_u32_e32 v15, vcc_lo, 0, v15, vcc_lo
	v_cmp_ge_i64_e64 s0, s[10:11], s[6:7]
	v_cmp_lt_u64_e64 s1, 0xffff, s[10:11]
	v_add_co_u32 v19, vcc_lo, v19, s13
	v_add_co_ci_u32_e32 v20, vcc_lo, 0, v20, vcc_lo
	v_add_co_u32 v21, vcc_lo, v21, s13
	v_add_co_ci_u32_e32 v22, vcc_lo, 0, v22, vcc_lo
	s_or_b32 s0, s0, s1
	s_delay_alu instid0(SALU_CYCLE_1)
	s_and_b32 vcc_lo, exec_lo, s0
	s_cbranch_vccnz .LBB308_25
.LBB308_9:                              ; =>This Inner Loop Header: Depth=1
	s_waitcnt vmcnt(0)
	v_add_co_u32 v23, s0, v0, s10
	s_delay_alu instid0(VALU_DEP_1) | instskip(NEXT) | instid1(VALU_DEP_1)
	v_add_co_ci_u32_e64 v24, null, 0, s11, s0
	v_cmp_gt_u64_e32 vcc_lo, s[8:9], v[23:24]
	v_mov_b32_e32 v23, 0
	s_and_saveexec_b32 s1, vcc_lo
	s_cbranch_execz .LBB308_11
; %bb.10:                               ;   in Loop: Header=BB308_9 Depth=1
	v_add_co_u32 v23, s0, v1, s4
	s_delay_alu instid0(VALU_DEP_1)
	v_add_co_ci_u32_e64 v24, s0, s5, v2, s0
	global_load_b32 v23, v[23:24], off
.LBB308_11:                             ;   in Loop: Header=BB308_9 Depth=1
	s_or_b32 exec_lo, exec_lo, s1
	v_add_co_u32 v24, s0, v13, s10
	s_delay_alu instid0(VALU_DEP_1) | instskip(NEXT) | instid1(VALU_DEP_1)
	v_add_co_ci_u32_e64 v25, s0, s11, v16, s0
	v_cmp_gt_u64_e64 s0, s[8:9], v[24:25]
	v_mov_b32_e32 v25, 0
	s_delay_alu instid0(VALU_DEP_2)
	s_and_saveexec_b32 s2, s0
	s_cbranch_execz .LBB308_13
; %bb.12:                               ;   in Loop: Header=BB308_9 Depth=1
	v_add_co_u32 v24, s1, v19, s4
	s_delay_alu instid0(VALU_DEP_1)
	v_add_co_ci_u32_e64 v25, s1, s5, v20, s1
	global_load_b32 v25, v[24:25], off
.LBB308_13:                             ;   in Loop: Header=BB308_9 Depth=1
	s_or_b32 exec_lo, exec_lo, s2
	v_add_co_u32 v26, s1, v17, s10
	s_delay_alu instid0(VALU_DEP_1) | instskip(SKIP_1) | instid1(VALU_DEP_2)
	v_add_co_ci_u32_e64 v27, s1, s11, v18, s1
	v_mov_b32_e32 v24, 0
	v_cmp_gt_u64_e64 s1, s[8:9], v[26:27]
	v_mov_b32_e32 v26, 0
	s_delay_alu instid0(VALU_DEP_2)
	s_and_saveexec_b32 s3, s1
	s_cbranch_execz .LBB308_15
; %bb.14:                               ;   in Loop: Header=BB308_9 Depth=1
	v_add_co_u32 v26, s2, v11, s4
	s_delay_alu instid0(VALU_DEP_1)
	v_add_co_ci_u32_e64 v27, s2, s5, v12, s2
	global_load_b32 v26, v[26:27], off
.LBB308_15:                             ;   in Loop: Header=BB308_9 Depth=1
	s_or_b32 exec_lo, exec_lo, s3
	v_add_co_u32 v27, s2, v9, s10
	s_delay_alu instid0(VALU_DEP_1) | instskip(NEXT) | instid1(VALU_DEP_1)
	v_add_co_ci_u32_e64 v28, s2, s11, v10, s2
	v_cmp_gt_u64_e64 s2, s[8:9], v[27:28]
	s_delay_alu instid0(VALU_DEP_1)
	s_and_saveexec_b32 s14, s2
	s_cbranch_execnz .LBB308_20
; %bb.16:                               ;   in Loop: Header=BB308_9 Depth=1
	s_or_b32 exec_lo, exec_lo, s14
	s_and_saveexec_b32 s3, vcc_lo
	s_cbranch_execnz .LBB308_21
.LBB308_17:                             ;   in Loop: Header=BB308_9 Depth=1
	s_or_b32 exec_lo, exec_lo, s3
	s_and_saveexec_b32 s3, s0
	s_cbranch_execnz .LBB308_22
.LBB308_18:                             ;   in Loop: Header=BB308_9 Depth=1
	s_or_b32 exec_lo, exec_lo, s3
	s_and_saveexec_b32 s0, s1
	s_cbranch_execnz .LBB308_23
.LBB308_19:                             ;   in Loop: Header=BB308_9 Depth=1
	s_or_b32 exec_lo, exec_lo, s0
	s_and_saveexec_b32 s0, s2
	s_cbranch_execz .LBB308_8
	s_branch .LBB308_24
.LBB308_20:                             ;   in Loop: Header=BB308_9 Depth=1
	v_add_co_u32 v27, s3, v5, s4
	s_delay_alu instid0(VALU_DEP_1)
	v_add_co_ci_u32_e64 v28, s3, s5, v6, s3
	global_load_b32 v24, v[27:28], off
	s_or_b32 exec_lo, exec_lo, s14
	s_and_saveexec_b32 s3, vcc_lo
	s_cbranch_execz .LBB308_17
.LBB308_21:                             ;   in Loop: Header=BB308_9 Depth=1
	v_add_co_u32 v27, vcc_lo, v3, s4
	v_add_co_ci_u32_e32 v28, vcc_lo, s5, v4, vcc_lo
	s_waitcnt vmcnt(0)
	v_sub_nc_u32_e32 v23, 0, v23
	global_store_b32 v[27:28], v23, off
	s_or_b32 exec_lo, exec_lo, s3
	s_and_saveexec_b32 s3, s0
	s_cbranch_execz .LBB308_18
.LBB308_22:                             ;   in Loop: Header=BB308_9 Depth=1
	v_add_co_u32 v27, vcc_lo, v21, s4
	s_waitcnt vmcnt(0)
	v_sub_nc_u32_e32 v23, 0, v25
	v_add_co_ci_u32_e32 v28, vcc_lo, s5, v22, vcc_lo
	global_store_b32 v[27:28], v23, off
	s_or_b32 exec_lo, exec_lo, s3
	s_and_saveexec_b32 s0, s1
	s_cbranch_execz .LBB308_19
.LBB308_23:                             ;   in Loop: Header=BB308_9 Depth=1
	s_waitcnt vmcnt(0)
	v_add_co_u32 v25, vcc_lo, v14, s4
	v_sub_nc_u32_e32 v23, 0, v26
	v_add_co_ci_u32_e32 v26, vcc_lo, s5, v15, vcc_lo
	global_store_b32 v[25:26], v23, off
	s_or_b32 exec_lo, exec_lo, s0
	s_and_saveexec_b32 s0, s2
	s_cbranch_execz .LBB308_8
.LBB308_24:                             ;   in Loop: Header=BB308_9 Depth=1
	s_waitcnt vmcnt(0)
	v_add_co_u32 v23, vcc_lo, v7, s4
	v_sub_nc_u32_e32 v25, 0, v24
	v_add_co_ci_u32_e32 v24, vcc_lo, s5, v8, vcc_lo
	global_store_b32 v[23:24], v25, off
	s_branch .LBB308_8
.LBB308_25:
	s_nop 0
	s_sendmsg sendmsg(MSG_DEALLOC_VGPRS)
	s_endpgm
	.section	.rodata,"a",@progbits
	.p2align	6, 0x0
	.amdhsa_kernel _ZN2at6native12_GLOBAL__N_125multi_tensor_apply_kernelINS1_18TensorListMetadataILi2EEENS1_14UnaryOpFunctorIiLi2ELi1ELi1EEEJSt6negateIiEEEEvT_T0_DpT1_
		.amdhsa_group_segment_fixed_size 0
		.amdhsa_private_segment_fixed_size 0
		.amdhsa_kernarg_size 3408
		.amdhsa_user_sgpr_count 15
		.amdhsa_user_sgpr_dispatch_ptr 0
		.amdhsa_user_sgpr_queue_ptr 0
		.amdhsa_user_sgpr_kernarg_segment_ptr 1
		.amdhsa_user_sgpr_dispatch_id 0
		.amdhsa_user_sgpr_private_segment_size 0
		.amdhsa_wavefront_size32 1
		.amdhsa_uses_dynamic_stack 0
		.amdhsa_enable_private_segment 0
		.amdhsa_system_sgpr_workgroup_id_x 1
		.amdhsa_system_sgpr_workgroup_id_y 0
		.amdhsa_system_sgpr_workgroup_id_z 0
		.amdhsa_system_sgpr_workgroup_info 0
		.amdhsa_system_vgpr_workitem_id 0
		.amdhsa_next_free_vgpr 29
		.amdhsa_next_free_sgpr 22
		.amdhsa_reserve_vcc 1
		.amdhsa_float_round_mode_32 0
		.amdhsa_float_round_mode_16_64 0
		.amdhsa_float_denorm_mode_32 3
		.amdhsa_float_denorm_mode_16_64 3
		.amdhsa_dx10_clamp 1
		.amdhsa_ieee_mode 1
		.amdhsa_fp16_overflow 0
		.amdhsa_workgroup_processor_mode 1
		.amdhsa_memory_ordered 1
		.amdhsa_forward_progress 0
		.amdhsa_shared_vgpr_count 0
		.amdhsa_exception_fp_ieee_invalid_op 0
		.amdhsa_exception_fp_denorm_src 0
		.amdhsa_exception_fp_ieee_div_zero 0
		.amdhsa_exception_fp_ieee_overflow 0
		.amdhsa_exception_fp_ieee_underflow 0
		.amdhsa_exception_fp_ieee_inexact 0
		.amdhsa_exception_int_div_zero 0
	.end_amdhsa_kernel
	.section	.text._ZN2at6native12_GLOBAL__N_125multi_tensor_apply_kernelINS1_18TensorListMetadataILi2EEENS1_14UnaryOpFunctorIiLi2ELi1ELi1EEEJSt6negateIiEEEEvT_T0_DpT1_,"axG",@progbits,_ZN2at6native12_GLOBAL__N_125multi_tensor_apply_kernelINS1_18TensorListMetadataILi2EEENS1_14UnaryOpFunctorIiLi2ELi1ELi1EEEJSt6negateIiEEEEvT_T0_DpT1_,comdat
.Lfunc_end308:
	.size	_ZN2at6native12_GLOBAL__N_125multi_tensor_apply_kernelINS1_18TensorListMetadataILi2EEENS1_14UnaryOpFunctorIiLi2ELi1ELi1EEEJSt6negateIiEEEEvT_T0_DpT1_, .Lfunc_end308-_ZN2at6native12_GLOBAL__N_125multi_tensor_apply_kernelINS1_18TensorListMetadataILi2EEENS1_14UnaryOpFunctorIiLi2ELi1ELi1EEEJSt6negateIiEEEEvT_T0_DpT1_
                                        ; -- End function
	.section	.AMDGPU.csdata,"",@progbits
; Kernel info:
; codeLenInByte = 1396
; NumSgprs: 24
; NumVgprs: 29
; ScratchSize: 0
; MemoryBound: 0
; FloatMode: 240
; IeeeMode: 1
; LDSByteSize: 0 bytes/workgroup (compile time only)
; SGPRBlocks: 2
; VGPRBlocks: 3
; NumSGPRsForWavesPerEU: 24
; NumVGPRsForWavesPerEU: 29
; Occupancy: 16
; WaveLimiterHint : 0
; COMPUTE_PGM_RSRC2:SCRATCH_EN: 0
; COMPUTE_PGM_RSRC2:USER_SGPR: 15
; COMPUTE_PGM_RSRC2:TRAP_HANDLER: 0
; COMPUTE_PGM_RSRC2:TGID_X_EN: 1
; COMPUTE_PGM_RSRC2:TGID_Y_EN: 0
; COMPUTE_PGM_RSRC2:TGID_Z_EN: 0
; COMPUTE_PGM_RSRC2:TIDIG_COMP_CNT: 0
	.section	.text._ZN2at6native12_GLOBAL__N_125multi_tensor_apply_kernelINS1_18TensorListMetadataILi2EEENS1_14UnaryOpFunctorIlLi2ELi1ELi1EEEJSt6negateIlEEEEvT_T0_DpT1_,"axG",@progbits,_ZN2at6native12_GLOBAL__N_125multi_tensor_apply_kernelINS1_18TensorListMetadataILi2EEENS1_14UnaryOpFunctorIlLi2ELi1ELi1EEEJSt6negateIlEEEEvT_T0_DpT1_,comdat
	.globl	_ZN2at6native12_GLOBAL__N_125multi_tensor_apply_kernelINS1_18TensorListMetadataILi2EEENS1_14UnaryOpFunctorIlLi2ELi1ELi1EEEJSt6negateIlEEEEvT_T0_DpT1_ ; -- Begin function _ZN2at6native12_GLOBAL__N_125multi_tensor_apply_kernelINS1_18TensorListMetadataILi2EEENS1_14UnaryOpFunctorIlLi2ELi1ELi1EEEJSt6negateIlEEEEvT_T0_DpT1_
	.p2align	8
	.type	_ZN2at6native12_GLOBAL__N_125multi_tensor_apply_kernelINS1_18TensorListMetadataILi2EEENS1_14UnaryOpFunctorIlLi2ELi1ELi1EEEJSt6negateIlEEEEvT_T0_DpT1_,@function
_ZN2at6native12_GLOBAL__N_125multi_tensor_apply_kernelINS1_18TensorListMetadataILi2EEENS1_14UnaryOpFunctorIlLi2ELi1ELi1EEEJSt6negateIlEEEEvT_T0_DpT1_: ; @_ZN2at6native12_GLOBAL__N_125multi_tensor_apply_kernelINS1_18TensorListMetadataILi2EEENS1_14UnaryOpFunctorIlLi2ELi1ELi1EEEJSt6negateIlEEEEvT_T0_DpT1_
; %bb.0:
	v_mov_b32_e32 v1, s15
	s_add_u32 s2, s0, s15
	s_mul_hi_u32 s3, s15, 3
	s_mul_i32 s15, s15, 3
	s_addc_u32 s4, s1, 0
	global_load_u8 v1, v1, s[0:1] offset:1536
	s_add_u32 s2, s2, s15
	s_addc_u32 s3, s4, s3
	s_mov_b32 s17, 0
	s_load_b32 s2, s[2:3], 0x740
	s_mov_b32 s19, s17
	s_mov_b32 s21, s17
	s_waitcnt vmcnt(0)
	v_readfirstlane_b32 s5, v1
	s_delay_alu instid0(VALU_DEP_1)
	s_lshl_b32 s3, s5, 3
	s_clause 0x2
	s_load_b64 s[10:11], s[0:1], s3 offset:0x0
	s_load_b64 s[12:13], s[0:1], s3 offset:0x200
	;; [unrolled: 1-line block ×3, first 2 shown]
	s_waitcnt lgkmcnt(0)
	s_ashr_i32 s3, s2, 31
	s_delay_alu instid0(SALU_CYCLE_1) | instskip(NEXT) | instid1(SALU_CYCLE_1)
	s_lshl_b64 s[4:5], s[2:3], 19
	s_add_u32 s8, s10, s4
	s_addc_u32 s9, s11, s5
	s_and_b32 s16, s8, 31
	s_add_u32 s14, s12, s4
	s_addc_u32 s15, s13, s5
	s_and_b32 s18, s6, 3
	s_and_b32 s20, s14, 31
	s_or_b64 s[16:17], s[16:17], s[18:19]
	s_lshl_b64 s[2:3], s[2:3], 16
	s_or_b64 s[16:17], s[20:21], s[16:17]
	s_sub_u32 s6, s6, s2
	s_subb_u32 s7, s7, s3
	s_cmp_eq_u64 s[16:17], 0
	s_mov_b32 s2, -1
	s_cbranch_scc0 .LBB309_5
; %bb.1:
	v_dual_mov_b32 v2, 0 :: v_dual_lshlrev_b32 v1, 2, v0
	s_mov_b32 s16, exec_lo
	s_delay_alu instid0(VALU_DEP_1)
	v_cmpx_gt_i64_e64 s[6:7], v[1:2]
	s_cbranch_execz .LBB309_4
; %bb.2:
	s_load_b32 s2, s[0:1], 0xc5c
	v_lshlrev_b32_e32 v3, 5, v0
	s_mov_b32 s17, 0
	s_waitcnt lgkmcnt(0)
	s_and_b32 s2, s2, 0xffff
	s_delay_alu instid0(SALU_CYCLE_1)
	v_add_lshl_u32 v1, v0, s2, 2
	s_lshl_b32 s18, s2, 2
	s_lshl_b32 s19, s2, 5
	s_set_inst_prefetch_distance 0x1
	.p2align	6
.LBB309_3:                              ; =>This Inner Loop Header: Depth=1
	v_add_co_u32 v8, s2, s8, v3
	s_delay_alu instid0(VALU_DEP_1)
	v_add_co_ci_u32_e64 v9, null, s9, 0, s2
	v_cmp_le_i64_e32 vcc_lo, s[6:7], v[1:2]
	v_cmp_lt_u64_e64 s2, 0xffff, v[1:2]
	v_add_co_u32 v12, s3, s14, v3
	s_clause 0x1
	global_load_b128 v[4:7], v[8:9], off
	global_load_b128 v[8:11], v[8:9], off offset:16
	v_add_co_ci_u32_e64 v13, null, s15, 0, s3
	s_or_b32 s2, vcc_lo, s2
	s_add_u32 s8, s8, s19
	v_add_co_u32 v1, s3, v1, s18
	s_addc_u32 s9, s9, 0
	s_add_u32 s14, s14, s19
	v_add_co_ci_u32_e64 v2, s3, 0, v2, s3
	s_addc_u32 s15, s15, 0
	s_and_b32 s2, exec_lo, s2
	s_delay_alu instid0(SALU_CYCLE_1)
	s_or_b32 s17, s2, s17
	s_waitcnt vmcnt(1)
	v_sub_co_u32 v4, vcc_lo, 0, v4
	v_sub_co_ci_u32_e32 v5, vcc_lo, 0, v5, vcc_lo
	v_sub_co_u32 v6, vcc_lo, 0, v6
	v_sub_co_ci_u32_e32 v7, vcc_lo, 0, v7, vcc_lo
	s_waitcnt vmcnt(0)
	v_sub_co_u32 v8, vcc_lo, 0, v8
	v_sub_co_ci_u32_e32 v9, vcc_lo, 0, v9, vcc_lo
	v_sub_co_u32 v10, vcc_lo, 0, v10
	v_sub_co_ci_u32_e32 v11, vcc_lo, 0, v11, vcc_lo
	s_clause 0x1
	global_store_b128 v[12:13], v[4:7], off
	global_store_b128 v[12:13], v[8:11], off offset:16
	s_and_not1_b32 exec_lo, exec_lo, s17
	s_cbranch_execnz .LBB309_3
.LBB309_4:
	s_set_inst_prefetch_distance 0x2
	s_or_b32 exec_lo, exec_lo, s16
	s_mov_b32 s2, 0
.LBB309_5:
	s_delay_alu instid0(SALU_CYCLE_1)
	s_and_not1_b32 vcc_lo, exec_lo, s2
	s_cbranch_vccnz .LBB309_25
; %bb.6:
	v_cmp_lt_i64_e64 s2, s[6:7], 1
	s_delay_alu instid0(VALU_DEP_1)
	s_and_b32 vcc_lo, exec_lo, s2
	s_cbranch_vccnz .LBB309_25
; %bb.7:
	s_load_b32 s0, s[0:1], 0xc5c
	v_dual_mov_b32 v2, 0 :: v_dual_lshlrev_b32 v1, 3, v0
	v_cmp_gt_u64_e64 s1, 0x10000, s[6:7]
	s_delay_alu instid0(VALU_DEP_2) | instskip(NEXT) | instid1(VALU_DEP_1)
	v_add_co_u32 v9, s2, s10, v1
	v_add_co_ci_u32_e64 v10, null, s11, 0, s2
	v_add_co_u32 v11, s2, s12, v1
	s_delay_alu instid0(VALU_DEP_1)
	v_add_co_ci_u32_e64 v12, null, s13, 0, s2
	s_waitcnt lgkmcnt(0)
	s_and_b32 s0, s0, 0xffff
	s_and_b32 s1, s1, exec_lo
	v_mad_u64_u32 v[3:4], null, s0, 24, v[1:2]
	s_cselect_b32 s9, s7, 0
	s_cselect_b32 s8, s6, 0x10000
	s_lshl_b32 s3, s0, 4
	s_mul_i32 s2, s0, 3
	v_add_co_u32 v1, s3, s3, v1
	s_delay_alu instid0(VALU_DEP_2) | instskip(NEXT) | instid1(VALU_DEP_3)
	v_add_co_u32 v13, vcc_lo, s10, v3
	v_add_co_ci_u32_e32 v14, vcc_lo, s11, v4, vcc_lo
	v_add_co_u32 v17, s2, s2, v0
	v_add_co_u32 v15, vcc_lo, s12, v3
	v_add_co_ci_u32_e64 v2, null, 0, 0, s3
	v_add_co_ci_u32_e64 v18, null, 0, 0, s2
	v_add_co_u32 v21, s2, v0, s0
	v_add_co_ci_u32_e32 v16, vcc_lo, s13, v4, vcc_lo
	v_add_co_u32 v19, vcc_lo, s10, v1
	v_add_co_ci_u32_e32 v20, vcc_lo, s11, v2, vcc_lo
	v_add_co_u32 v22, vcc_lo, s12, v1
	v_lshlrev_b32_e32 v1, 3, v21
	s_lshl_b32 s1, s0, 1
	v_add_co_ci_u32_e32 v23, vcc_lo, s13, v2, vcc_lo
	v_add_co_u32 v25, s1, s1, v0
	s_delay_alu instid0(VALU_DEP_1) | instskip(SKIP_1) | instid1(VALU_DEP_1)
	v_add_co_ci_u32_e64 v26, null, 0, 0, s1
	v_add_co_u32 v27, s1, s10, v1
	v_add_co_ci_u32_e64 v28, null, s11, 0, s1
	v_add_co_u32 v29, s1, s12, v1
	v_add_co_ci_u32_e64 v24, null, 0, 0, s2
	v_add_co_ci_u32_e64 v30, null, s13, 0, s1
	s_lshl_b32 s12, s0, 2
	s_lshl_b32 s13, s0, 5
	s_mov_b64 s[10:11], 0
	s_branch .LBB309_9
.LBB309_8:                              ;   in Loop: Header=BB309_9 Depth=1
	s_or_b32 exec_lo, exec_lo, s0
	v_add_co_u32 v9, vcc_lo, v9, s13
	v_add_co_ci_u32_e32 v10, vcc_lo, 0, v10, vcc_lo
	v_add_co_u32 v11, vcc_lo, v11, s13
	v_add_co_ci_u32_e32 v12, vcc_lo, 0, v12, vcc_lo
	;; [unrolled: 2-line block ×5, first 2 shown]
	s_add_u32 s10, s10, s12
	v_add_co_u32 v22, vcc_lo, v22, s13
	s_addc_u32 s11, s11, 0
	v_add_co_ci_u32_e32 v23, vcc_lo, 0, v23, vcc_lo
	v_cmp_ge_i64_e64 s0, s[10:11], s[6:7]
	v_cmp_lt_u64_e64 s1, 0xffff, s[10:11]
	v_add_co_u32 v27, vcc_lo, v27, s13
	v_add_co_ci_u32_e32 v28, vcc_lo, 0, v28, vcc_lo
	v_add_co_u32 v29, vcc_lo, v29, s13
	v_add_co_ci_u32_e32 v30, vcc_lo, 0, v30, vcc_lo
	s_or_b32 s0, s0, s1
	s_delay_alu instid0(SALU_CYCLE_1)
	s_and_b32 vcc_lo, exec_lo, s0
	s_cbranch_vccnz .LBB309_25
.LBB309_9:                              ; =>This Inner Loop Header: Depth=1
	s_waitcnt vmcnt(0)
	v_add_co_u32 v3, s0, v0, s10
	s_delay_alu instid0(VALU_DEP_1) | instskip(SKIP_2) | instid1(VALU_DEP_3)
	v_add_co_ci_u32_e64 v4, null, 0, s11, s0
	v_mov_b32_e32 v1, 0
	v_mov_b32_e32 v2, 0
	v_cmp_gt_u64_e32 vcc_lo, s[8:9], v[3:4]
	s_delay_alu instid0(VALU_DEP_2)
	v_dual_mov_b32 v6, v2 :: v_dual_mov_b32 v5, v1
	s_and_saveexec_b32 s1, vcc_lo
	s_cbranch_execz .LBB309_11
; %bb.10:                               ;   in Loop: Header=BB309_9 Depth=1
	v_add_co_u32 v3, s0, v9, s4
	s_delay_alu instid0(VALU_DEP_1)
	v_add_co_ci_u32_e64 v4, s0, s5, v10, s0
	global_load_b64 v[5:6], v[3:4], off
.LBB309_11:                             ;   in Loop: Header=BB309_9 Depth=1
	s_or_b32 exec_lo, exec_lo, s1
	v_add_co_u32 v3, s0, v21, s10
	s_delay_alu instid0(VALU_DEP_1) | instskip(NEXT) | instid1(VALU_DEP_1)
	v_add_co_ci_u32_e64 v4, s0, s11, v24, s0
	v_cmp_gt_u64_e64 s0, s[8:9], v[3:4]
	s_delay_alu instid0(VALU_DEP_1)
	s_and_saveexec_b32 s2, s0
	s_cbranch_execz .LBB309_13
; %bb.12:                               ;   in Loop: Header=BB309_9 Depth=1
	v_add_co_u32 v1, s1, v27, s4
	s_delay_alu instid0(VALU_DEP_1)
	v_add_co_ci_u32_e64 v2, s1, s5, v28, s1
	global_load_b64 v[1:2], v[1:2], off
.LBB309_13:                             ;   in Loop: Header=BB309_9 Depth=1
	s_or_b32 exec_lo, exec_lo, s2
	v_add_co_u32 v7, s1, v25, s10
	s_delay_alu instid0(VALU_DEP_1) | instskip(SKIP_2) | instid1(VALU_DEP_3)
	v_add_co_ci_u32_e64 v8, s1, s11, v26, s1
	v_mov_b32_e32 v3, 0
	v_mov_b32_e32 v4, 0
	v_cmp_gt_u64_e64 s1, s[8:9], v[7:8]
	s_delay_alu instid0(VALU_DEP_2) | instskip(NEXT) | instid1(VALU_DEP_2)
	v_dual_mov_b32 v8, v4 :: v_dual_mov_b32 v7, v3
	s_and_saveexec_b32 s3, s1
	s_cbranch_execz .LBB309_15
; %bb.14:                               ;   in Loop: Header=BB309_9 Depth=1
	v_add_co_u32 v7, s2, v19, s4
	s_delay_alu instid0(VALU_DEP_1)
	v_add_co_ci_u32_e64 v8, s2, s5, v20, s2
	global_load_b64 v[7:8], v[7:8], off
.LBB309_15:                             ;   in Loop: Header=BB309_9 Depth=1
	s_or_b32 exec_lo, exec_lo, s3
	v_add_co_u32 v31, s2, v17, s10
	s_delay_alu instid0(VALU_DEP_1) | instskip(NEXT) | instid1(VALU_DEP_1)
	v_add_co_ci_u32_e64 v32, s2, s11, v18, s2
	v_cmp_gt_u64_e64 s2, s[8:9], v[31:32]
	s_delay_alu instid0(VALU_DEP_1)
	s_and_saveexec_b32 s14, s2
	s_cbranch_execnz .LBB309_20
; %bb.16:                               ;   in Loop: Header=BB309_9 Depth=1
	s_or_b32 exec_lo, exec_lo, s14
	s_and_saveexec_b32 s3, vcc_lo
	s_cbranch_execnz .LBB309_21
.LBB309_17:                             ;   in Loop: Header=BB309_9 Depth=1
	s_or_b32 exec_lo, exec_lo, s3
	s_and_saveexec_b32 s3, s0
	s_cbranch_execnz .LBB309_22
.LBB309_18:                             ;   in Loop: Header=BB309_9 Depth=1
	s_or_b32 exec_lo, exec_lo, s3
	s_and_saveexec_b32 s0, s1
	s_cbranch_execnz .LBB309_23
.LBB309_19:                             ;   in Loop: Header=BB309_9 Depth=1
	s_or_b32 exec_lo, exec_lo, s0
	s_and_saveexec_b32 s0, s2
	s_cbranch_execz .LBB309_8
	s_branch .LBB309_24
.LBB309_20:                             ;   in Loop: Header=BB309_9 Depth=1
	v_add_co_u32 v3, s3, v13, s4
	s_delay_alu instid0(VALU_DEP_1)
	v_add_co_ci_u32_e64 v4, s3, s5, v14, s3
	global_load_b64 v[3:4], v[3:4], off
	s_or_b32 exec_lo, exec_lo, s14
	s_and_saveexec_b32 s3, vcc_lo
	s_cbranch_execz .LBB309_17
.LBB309_21:                             ;   in Loop: Header=BB309_9 Depth=1
	v_add_co_u32 v31, vcc_lo, v11, s4
	v_add_co_ci_u32_e32 v32, vcc_lo, s5, v12, vcc_lo
	s_waitcnt vmcnt(0)
	v_sub_co_u32 v5, vcc_lo, 0, v5
	v_sub_co_ci_u32_e32 v6, vcc_lo, 0, v6, vcc_lo
	global_store_b64 v[31:32], v[5:6], off
	s_or_b32 exec_lo, exec_lo, s3
	s_and_saveexec_b32 s3, s0
	s_cbranch_execz .LBB309_18
.LBB309_22:                             ;   in Loop: Header=BB309_9 Depth=1
	s_waitcnt vmcnt(0)
	v_sub_co_u32 v1, vcc_lo, 0, v1
	v_sub_co_ci_u32_e32 v2, vcc_lo, 0, v2, vcc_lo
	v_add_co_u32 v5, vcc_lo, v29, s4
	v_add_co_ci_u32_e32 v6, vcc_lo, s5, v30, vcc_lo
	global_store_b64 v[5:6], v[1:2], off
	s_or_b32 exec_lo, exec_lo, s3
	s_and_saveexec_b32 s0, s1
	s_cbranch_execz .LBB309_19
.LBB309_23:                             ;   in Loop: Header=BB309_9 Depth=1
	s_waitcnt vmcnt(0)
	v_sub_co_u32 v1, vcc_lo, 0, v7
	v_sub_co_ci_u32_e32 v2, vcc_lo, 0, v8, vcc_lo
	v_add_co_u32 v5, vcc_lo, v22, s4
	v_add_co_ci_u32_e32 v6, vcc_lo, s5, v23, vcc_lo
	global_store_b64 v[5:6], v[1:2], off
	s_or_b32 exec_lo, exec_lo, s0
	s_and_saveexec_b32 s0, s2
	s_cbranch_execz .LBB309_8
.LBB309_24:                             ;   in Loop: Header=BB309_9 Depth=1
	s_waitcnt vmcnt(0)
	v_sub_co_u32 v1, vcc_lo, 0, v3
	v_sub_co_ci_u32_e32 v2, vcc_lo, 0, v4, vcc_lo
	v_add_co_u32 v3, vcc_lo, v15, s4
	v_add_co_ci_u32_e32 v4, vcc_lo, s5, v16, vcc_lo
	global_store_b64 v[3:4], v[1:2], off
	s_branch .LBB309_8
.LBB309_25:
	s_nop 0
	s_sendmsg sendmsg(MSG_DEALLOC_VGPRS)
	s_endpgm
	.section	.rodata,"a",@progbits
	.p2align	6, 0x0
	.amdhsa_kernel _ZN2at6native12_GLOBAL__N_125multi_tensor_apply_kernelINS1_18TensorListMetadataILi2EEENS1_14UnaryOpFunctorIlLi2ELi1ELi1EEEJSt6negateIlEEEEvT_T0_DpT1_
		.amdhsa_group_segment_fixed_size 0
		.amdhsa_private_segment_fixed_size 0
		.amdhsa_kernarg_size 3408
		.amdhsa_user_sgpr_count 15
		.amdhsa_user_sgpr_dispatch_ptr 0
		.amdhsa_user_sgpr_queue_ptr 0
		.amdhsa_user_sgpr_kernarg_segment_ptr 1
		.amdhsa_user_sgpr_dispatch_id 0
		.amdhsa_user_sgpr_private_segment_size 0
		.amdhsa_wavefront_size32 1
		.amdhsa_uses_dynamic_stack 0
		.amdhsa_enable_private_segment 0
		.amdhsa_system_sgpr_workgroup_id_x 1
		.amdhsa_system_sgpr_workgroup_id_y 0
		.amdhsa_system_sgpr_workgroup_id_z 0
		.amdhsa_system_sgpr_workgroup_info 0
		.amdhsa_system_vgpr_workitem_id 0
		.amdhsa_next_free_vgpr 33
		.amdhsa_next_free_sgpr 22
		.amdhsa_reserve_vcc 1
		.amdhsa_float_round_mode_32 0
		.amdhsa_float_round_mode_16_64 0
		.amdhsa_float_denorm_mode_32 3
		.amdhsa_float_denorm_mode_16_64 3
		.amdhsa_dx10_clamp 1
		.amdhsa_ieee_mode 1
		.amdhsa_fp16_overflow 0
		.amdhsa_workgroup_processor_mode 1
		.amdhsa_memory_ordered 1
		.amdhsa_forward_progress 0
		.amdhsa_shared_vgpr_count 0
		.amdhsa_exception_fp_ieee_invalid_op 0
		.amdhsa_exception_fp_denorm_src 0
		.amdhsa_exception_fp_ieee_div_zero 0
		.amdhsa_exception_fp_ieee_overflow 0
		.amdhsa_exception_fp_ieee_underflow 0
		.amdhsa_exception_fp_ieee_inexact 0
		.amdhsa_exception_int_div_zero 0
	.end_amdhsa_kernel
	.section	.text._ZN2at6native12_GLOBAL__N_125multi_tensor_apply_kernelINS1_18TensorListMetadataILi2EEENS1_14UnaryOpFunctorIlLi2ELi1ELi1EEEJSt6negateIlEEEEvT_T0_DpT1_,"axG",@progbits,_ZN2at6native12_GLOBAL__N_125multi_tensor_apply_kernelINS1_18TensorListMetadataILi2EEENS1_14UnaryOpFunctorIlLi2ELi1ELi1EEEJSt6negateIlEEEEvT_T0_DpT1_,comdat
.Lfunc_end309:
	.size	_ZN2at6native12_GLOBAL__N_125multi_tensor_apply_kernelINS1_18TensorListMetadataILi2EEENS1_14UnaryOpFunctorIlLi2ELi1ELi1EEEJSt6negateIlEEEEvT_T0_DpT1_, .Lfunc_end309-_ZN2at6native12_GLOBAL__N_125multi_tensor_apply_kernelINS1_18TensorListMetadataILi2EEENS1_14UnaryOpFunctorIlLi2ELi1ELi1EEEJSt6negateIlEEEEvT_T0_DpT1_
                                        ; -- End function
	.section	.AMDGPU.csdata,"",@progbits
; Kernel info:
; codeLenInByte = 1512
; NumSgprs: 24
; NumVgprs: 33
; ScratchSize: 0
; MemoryBound: 0
; FloatMode: 240
; IeeeMode: 1
; LDSByteSize: 0 bytes/workgroup (compile time only)
; SGPRBlocks: 2
; VGPRBlocks: 4
; NumSGPRsForWavesPerEU: 24
; NumVGPRsForWavesPerEU: 33
; Occupancy: 16
; WaveLimiterHint : 0
; COMPUTE_PGM_RSRC2:SCRATCH_EN: 0
; COMPUTE_PGM_RSRC2:USER_SGPR: 15
; COMPUTE_PGM_RSRC2:TRAP_HANDLER: 0
; COMPUTE_PGM_RSRC2:TGID_X_EN: 1
; COMPUTE_PGM_RSRC2:TGID_Y_EN: 0
; COMPUTE_PGM_RSRC2:TGID_Z_EN: 0
; COMPUTE_PGM_RSRC2:TIDIG_COMP_CNT: 0
	.section	.text._ZN2at6native12_GLOBAL__N_125multi_tensor_apply_kernelINS1_18TensorListMetadataILi2EEENS1_14UnaryOpFunctorIsLi2ELi1ELi1EEEJSt6negateIsEEEEvT_T0_DpT1_,"axG",@progbits,_ZN2at6native12_GLOBAL__N_125multi_tensor_apply_kernelINS1_18TensorListMetadataILi2EEENS1_14UnaryOpFunctorIsLi2ELi1ELi1EEEJSt6negateIsEEEEvT_T0_DpT1_,comdat
	.globl	_ZN2at6native12_GLOBAL__N_125multi_tensor_apply_kernelINS1_18TensorListMetadataILi2EEENS1_14UnaryOpFunctorIsLi2ELi1ELi1EEEJSt6negateIsEEEEvT_T0_DpT1_ ; -- Begin function _ZN2at6native12_GLOBAL__N_125multi_tensor_apply_kernelINS1_18TensorListMetadataILi2EEENS1_14UnaryOpFunctorIsLi2ELi1ELi1EEEJSt6negateIsEEEEvT_T0_DpT1_
	.p2align	8
	.type	_ZN2at6native12_GLOBAL__N_125multi_tensor_apply_kernelINS1_18TensorListMetadataILi2EEENS1_14UnaryOpFunctorIsLi2ELi1ELi1EEEJSt6negateIsEEEEvT_T0_DpT1_,@function
_ZN2at6native12_GLOBAL__N_125multi_tensor_apply_kernelINS1_18TensorListMetadataILi2EEENS1_14UnaryOpFunctorIsLi2ELi1ELi1EEEJSt6negateIsEEEEvT_T0_DpT1_: ; @_ZN2at6native12_GLOBAL__N_125multi_tensor_apply_kernelINS1_18TensorListMetadataILi2EEENS1_14UnaryOpFunctorIsLi2ELi1ELi1EEEJSt6negateIsEEEEvT_T0_DpT1_
; %bb.0:
	v_mov_b32_e32 v1, s15
	s_add_u32 s2, s0, s15
	s_mul_hi_u32 s3, s15, 3
	s_mul_i32 s15, s15, 3
	s_addc_u32 s4, s1, 0
	global_load_u8 v1, v1, s[0:1] offset:1536
	s_add_u32 s2, s2, s15
	s_addc_u32 s3, s4, s3
	s_mov_b32 s9, 0
	s_load_b32 s2, s[2:3], 0x740
	s_mov_b32 s17, s9
	s_mov_b32 s15, s9
	s_waitcnt vmcnt(0)
	v_readfirstlane_b32 s5, v1
	s_delay_alu instid0(VALU_DEP_1)
	s_lshl_b32 s3, s5, 3
	s_clause 0x2
	s_load_b64 s[10:11], s[0:1], s3 offset:0x0
	s_load_b64 s[12:13], s[0:1], s3 offset:0x200
	;; [unrolled: 1-line block ×3, first 2 shown]
	s_waitcnt lgkmcnt(0)
	s_ashr_i32 s3, s2, 31
	s_delay_alu instid0(SALU_CYCLE_1) | instskip(SKIP_4) | instid1(SALU_CYCLE_1)
	s_lshl_b64 s[6:7], s[2:3], 17
	s_lshl_b64 s[2:3], s[2:3], 16
	s_and_b32 s8, s10, 7
	s_and_b32 s14, s12, 7
	s_and_b32 s16, s4, 3
	s_or_b64 s[8:9], s[8:9], s[16:17]
	s_delay_alu instid0(SALU_CYCLE_1)
	s_or_b64 s[14:15], s[14:15], s[8:9]
	s_sub_u32 s8, s4, s2
	s_subb_u32 s9, s5, s3
	s_cmp_eq_u64 s[14:15], 0
	s_mov_b32 s2, -1
	s_cbranch_scc0 .LBB310_5
; %bb.1:
	v_dual_mov_b32 v2, 0 :: v_dual_lshlrev_b32 v1, 2, v0
	s_mov_b32 s14, exec_lo
	s_delay_alu instid0(VALU_DEP_1)
	v_cmpx_gt_i64_e64 s[8:9], v[1:2]
	s_cbranch_execz .LBB310_4
; %bb.2:
	s_load_b32 s2, s[0:1], 0xc5c
	v_lshlrev_b32_e32 v1, 3, v0
	v_sub_co_u32 v5, vcc_lo, 0, 0
	s_mov_b32 s15, 0
	s_delay_alu instid0(VALU_DEP_2) | instskip(NEXT) | instid1(VALU_DEP_1)
	v_add_co_u32 v3, s3, s6, v1
	v_add_co_ci_u32_e64 v4, null, s7, 0, s3
	s_waitcnt lgkmcnt(0)
	s_and_b32 s2, s2, 0xffff
	s_delay_alu instid0(SALU_CYCLE_1)
	v_add_lshl_u32 v1, v0, s2, 2
	s_lshl_b32 s16, s2, 3
	s_lshl_b32 s17, s2, 2
	s_set_inst_prefetch_distance 0x1
	.p2align	6
.LBB310_3:                              ; =>This Inner Loop Header: Depth=1
	v_add_co_u32 v5, s2, s10, v3
	s_delay_alu instid0(VALU_DEP_1) | instskip(SKIP_1) | instid1(VALU_DEP_1)
	v_add_co_ci_u32_e64 v6, s2, s11, v4, s2
	v_add_co_u32 v7, s2, s12, v3
	v_add_co_ci_u32_e64 v8, s2, s13, v4, s2
	global_load_b64 v[5:6], v[5:6], off
	v_cmp_le_i64_e64 s2, s[8:9], v[1:2]
	v_cmp_lt_u64_e64 s3, 0xffff, v[1:2]
	v_add_co_u32 v3, s4, v3, s16
	s_delay_alu instid0(VALU_DEP_1) | instskip(SKIP_1) | instid1(VALU_DEP_4)
	v_add_co_ci_u32_e64 v4, s4, 0, v4, s4
	v_add_co_u32 v1, s4, v1, s17
	s_or_b32 s3, s2, s3
	v_add_co_ci_u32_e64 v2, s4, 0, v2, s4
	s_waitcnt vmcnt(0)
	v_and_b32_e32 v9, 0xffff, v6
	v_sub_nc_u32_e32 v10, 0, v5
	v_and_b32_e32 v5, 0xffff0000, v5
	v_and_b32_e32 v6, 0xffff0000, v6
	s_delay_alu instid0(VALU_DEP_4) | instskip(NEXT) | instid1(VALU_DEP_4)
	v_sub_co_ci_u32_e64 v9, s5, 0, v9, vcc_lo
	v_and_b32_e32 v10, 0xffff, v10
	s_delay_alu instid0(VALU_DEP_2) | instskip(NEXT) | instid1(VALU_DEP_2)
	v_and_b32_e32 v9, 0xffff, v9
	v_sub_nc_u32_e32 v5, v10, v5
	s_delay_alu instid0(VALU_DEP_2) | instskip(SKIP_1) | instid1(SALU_CYCLE_1)
	v_sub_co_ci_u32_e64 v6, s2, v9, v6, vcc_lo
	s_and_b32 s2, exec_lo, s3
	s_or_b32 s15, s2, s15
	global_store_b64 v[7:8], v[5:6], off
	s_and_not1_b32 exec_lo, exec_lo, s15
	s_cbranch_execnz .LBB310_3
.LBB310_4:
	s_set_inst_prefetch_distance 0x2
	s_or_b32 exec_lo, exec_lo, s14
	s_mov_b32 s2, 0
.LBB310_5:
	s_delay_alu instid0(SALU_CYCLE_1)
	s_and_not1_b32 vcc_lo, exec_lo, s2
	s_cbranch_vccnz .LBB310_25
; %bb.6:
	v_cmp_lt_i64_e64 s2, s[8:9], 1
	s_delay_alu instid0(VALU_DEP_1)
	s_and_b32 vcc_lo, exec_lo, s2
	s_cbranch_vccnz .LBB310_25
; %bb.7:
	s_load_b32 s0, s[0:1], 0xc5c
	v_dual_mov_b32 v10, 0 :: v_dual_lshlrev_b32 v9, 1, v0
	v_cmp_gt_u64_e64 s1, 0x10000, s[8:9]
	s_delay_alu instid0(VALU_DEP_2) | instskip(NEXT) | instid1(VALU_DEP_1)
	v_add_co_u32 v1, s2, s10, v9
	v_add_co_ci_u32_e64 v2, null, s11, 0, s2
	v_add_co_u32 v3, s2, s12, v9
	s_delay_alu instid0(VALU_DEP_1)
	v_add_co_ci_u32_e64 v4, null, s13, 0, s2
	s_waitcnt lgkmcnt(0)
	s_and_b32 s0, s0, 0xffff
	s_and_b32 s1, s1, exec_lo
	v_mad_u64_u32 v[7:8], null, s0, 6, v[9:10]
	s_cselect_b32 s5, s9, 0
	s_cselect_b32 s4, s8, 0x10000
	s_mul_i32 s2, s0, 3
	s_lshl_b32 s14, s0, 2
	s_lshl_b32 s1, s0, 1
	v_add_co_u32 v14, s3, s14, v9
	v_add_co_u32 v9, s2, s2, v0
	s_delay_alu instid0(VALU_DEP_1) | instskip(SKIP_3) | instid1(VALU_DEP_3)
	v_add_co_ci_u32_e64 v10, null, 0, 0, s2
	v_add_co_u32 v13, s2, v0, s0
	v_add_co_u32 v5, vcc_lo, s10, v7
	v_add_co_ci_u32_e32 v6, vcc_lo, s11, v8, vcc_lo
	v_lshlrev_b32_e32 v21, 1, v13
	v_add_co_u32 v7, vcc_lo, s12, v7
	v_add_co_ci_u32_e64 v15, null, 0, 0, s3
	v_add_co_ci_u32_e32 v8, vcc_lo, s13, v8, vcc_lo
	v_add_co_u32 v17, s1, s1, v0
	v_add_co_u32 v11, vcc_lo, s10, v14
	v_add_co_ci_u32_e64 v18, null, 0, 0, s1
	v_add_co_u32 v19, s1, s10, v21
	v_add_co_ci_u32_e32 v12, vcc_lo, s11, v15, vcc_lo
	v_add_co_u32 v14, vcc_lo, s12, v14
	v_add_co_ci_u32_e64 v20, null, s11, 0, s1
	v_add_co_u32 v21, s1, s12, v21
	v_add_co_ci_u32_e32 v15, vcc_lo, s13, v15, vcc_lo
	v_add_co_ci_u32_e64 v16, null, 0, 0, s2
	v_add_co_ci_u32_e64 v22, null, s13, 0, s1
	s_lshl_b32 s12, s0, 3
	s_mov_b64 s[10:11], 0
	s_branch .LBB310_9
.LBB310_8:                              ;   in Loop: Header=BB310_9 Depth=1
	s_or_b32 exec_lo, exec_lo, s0
	v_add_co_u32 v1, vcc_lo, v1, s12
	v_add_co_ci_u32_e32 v2, vcc_lo, 0, v2, vcc_lo
	v_add_co_u32 v3, vcc_lo, v3, s12
	v_add_co_ci_u32_e32 v4, vcc_lo, 0, v4, vcc_lo
	;; [unrolled: 2-line block ×5, first 2 shown]
	s_add_u32 s10, s10, s14
	v_add_co_u32 v14, vcc_lo, v14, s12
	s_addc_u32 s11, s11, 0
	v_add_co_ci_u32_e32 v15, vcc_lo, 0, v15, vcc_lo
	v_cmp_ge_i64_e64 s0, s[10:11], s[8:9]
	v_cmp_lt_u64_e64 s1, 0xffff, s[10:11]
	v_add_co_u32 v19, vcc_lo, v19, s12
	v_add_co_ci_u32_e32 v20, vcc_lo, 0, v20, vcc_lo
	v_add_co_u32 v21, vcc_lo, v21, s12
	v_add_co_ci_u32_e32 v22, vcc_lo, 0, v22, vcc_lo
	s_or_b32 s0, s0, s1
	s_delay_alu instid0(SALU_CYCLE_1)
	s_and_b32 vcc_lo, exec_lo, s0
	s_cbranch_vccnz .LBB310_25
.LBB310_9:                              ; =>This Inner Loop Header: Depth=1
	s_waitcnt vmcnt(0)
	v_add_co_u32 v23, s0, v0, s10
	s_delay_alu instid0(VALU_DEP_1) | instskip(NEXT) | instid1(VALU_DEP_1)
	v_add_co_ci_u32_e64 v24, null, 0, s11, s0
	v_cmp_gt_u64_e32 vcc_lo, s[4:5], v[23:24]
	v_mov_b32_e32 v23, 0
	s_and_saveexec_b32 s1, vcc_lo
	s_cbranch_execz .LBB310_11
; %bb.10:                               ;   in Loop: Header=BB310_9 Depth=1
	v_add_co_u32 v23, s0, v1, s6
	s_delay_alu instid0(VALU_DEP_1)
	v_add_co_ci_u32_e64 v24, s0, s7, v2, s0
	global_load_u16 v23, v[23:24], off
.LBB310_11:                             ;   in Loop: Header=BB310_9 Depth=1
	s_or_b32 exec_lo, exec_lo, s1
	v_add_co_u32 v24, s0, v13, s10
	s_delay_alu instid0(VALU_DEP_1) | instskip(NEXT) | instid1(VALU_DEP_1)
	v_add_co_ci_u32_e64 v25, s0, s11, v16, s0
	v_cmp_gt_u64_e64 s0, s[4:5], v[24:25]
	v_mov_b32_e32 v25, 0
	s_delay_alu instid0(VALU_DEP_2)
	s_and_saveexec_b32 s2, s0
	s_cbranch_execz .LBB310_13
; %bb.12:                               ;   in Loop: Header=BB310_9 Depth=1
	v_add_co_u32 v24, s1, v19, s6
	s_delay_alu instid0(VALU_DEP_1)
	v_add_co_ci_u32_e64 v25, s1, s7, v20, s1
	global_load_u16 v25, v[24:25], off
.LBB310_13:                             ;   in Loop: Header=BB310_9 Depth=1
	s_or_b32 exec_lo, exec_lo, s2
	v_add_co_u32 v26, s1, v17, s10
	s_delay_alu instid0(VALU_DEP_1) | instskip(SKIP_1) | instid1(VALU_DEP_2)
	v_add_co_ci_u32_e64 v27, s1, s11, v18, s1
	v_mov_b32_e32 v24, 0
	v_cmp_gt_u64_e64 s1, s[4:5], v[26:27]
	v_mov_b32_e32 v26, 0
	s_delay_alu instid0(VALU_DEP_2)
	s_and_saveexec_b32 s3, s1
	s_cbranch_execz .LBB310_15
; %bb.14:                               ;   in Loop: Header=BB310_9 Depth=1
	v_add_co_u32 v26, s2, v11, s6
	s_delay_alu instid0(VALU_DEP_1)
	v_add_co_ci_u32_e64 v27, s2, s7, v12, s2
	global_load_u16 v26, v[26:27], off
.LBB310_15:                             ;   in Loop: Header=BB310_9 Depth=1
	s_or_b32 exec_lo, exec_lo, s3
	v_add_co_u32 v27, s2, v9, s10
	s_delay_alu instid0(VALU_DEP_1) | instskip(NEXT) | instid1(VALU_DEP_1)
	v_add_co_ci_u32_e64 v28, s2, s11, v10, s2
	v_cmp_gt_u64_e64 s2, s[4:5], v[27:28]
	s_delay_alu instid0(VALU_DEP_1)
	s_and_saveexec_b32 s13, s2
	s_cbranch_execnz .LBB310_20
; %bb.16:                               ;   in Loop: Header=BB310_9 Depth=1
	s_or_b32 exec_lo, exec_lo, s13
	s_and_saveexec_b32 s3, vcc_lo
	s_cbranch_execnz .LBB310_21
.LBB310_17:                             ;   in Loop: Header=BB310_9 Depth=1
	s_or_b32 exec_lo, exec_lo, s3
	s_and_saveexec_b32 s3, s0
	s_cbranch_execnz .LBB310_22
.LBB310_18:                             ;   in Loop: Header=BB310_9 Depth=1
	s_or_b32 exec_lo, exec_lo, s3
	s_and_saveexec_b32 s0, s1
	s_cbranch_execnz .LBB310_23
.LBB310_19:                             ;   in Loop: Header=BB310_9 Depth=1
	s_or_b32 exec_lo, exec_lo, s0
	s_and_saveexec_b32 s0, s2
	s_cbranch_execz .LBB310_8
	s_branch .LBB310_24
.LBB310_20:                             ;   in Loop: Header=BB310_9 Depth=1
	v_add_co_u32 v27, s3, v5, s6
	s_delay_alu instid0(VALU_DEP_1)
	v_add_co_ci_u32_e64 v28, s3, s7, v6, s3
	global_load_u16 v24, v[27:28], off
	s_or_b32 exec_lo, exec_lo, s13
	s_and_saveexec_b32 s3, vcc_lo
	s_cbranch_execz .LBB310_17
.LBB310_21:                             ;   in Loop: Header=BB310_9 Depth=1
	v_add_co_u32 v27, vcc_lo, v3, s6
	v_add_co_ci_u32_e32 v28, vcc_lo, s7, v4, vcc_lo
	s_waitcnt vmcnt(0)
	v_sub_nc_u16 v23, 0, v23
	global_store_b16 v[27:28], v23, off
	s_or_b32 exec_lo, exec_lo, s3
	s_and_saveexec_b32 s3, s0
	s_cbranch_execz .LBB310_18
.LBB310_22:                             ;   in Loop: Header=BB310_9 Depth=1
	v_add_co_u32 v27, vcc_lo, v21, s6
	s_waitcnt vmcnt(0)
	v_sub_nc_u16 v23, 0, v25
	v_add_co_ci_u32_e32 v28, vcc_lo, s7, v22, vcc_lo
	global_store_b16 v[27:28], v23, off
	s_or_b32 exec_lo, exec_lo, s3
	s_and_saveexec_b32 s0, s1
	s_cbranch_execz .LBB310_19
.LBB310_23:                             ;   in Loop: Header=BB310_9 Depth=1
	s_waitcnt vmcnt(0)
	v_add_co_u32 v25, vcc_lo, v14, s6
	v_sub_nc_u16 v23, 0, v26
	v_add_co_ci_u32_e32 v26, vcc_lo, s7, v15, vcc_lo
	global_store_b16 v[25:26], v23, off
	s_or_b32 exec_lo, exec_lo, s0
	s_and_saveexec_b32 s0, s2
	s_cbranch_execz .LBB310_8
.LBB310_24:                             ;   in Loop: Header=BB310_9 Depth=1
	s_waitcnt vmcnt(0)
	v_add_co_u32 v23, vcc_lo, v7, s6
	v_sub_nc_u16 v25, 0, v24
	v_add_co_ci_u32_e32 v24, vcc_lo, s7, v8, vcc_lo
	global_store_b16 v[23:24], v25, off
	s_branch .LBB310_8
.LBB310_25:
	s_nop 0
	s_sendmsg sendmsg(MSG_DEALLOC_VGPRS)
	s_endpgm
	.section	.rodata,"a",@progbits
	.p2align	6, 0x0
	.amdhsa_kernel _ZN2at6native12_GLOBAL__N_125multi_tensor_apply_kernelINS1_18TensorListMetadataILi2EEENS1_14UnaryOpFunctorIsLi2ELi1ELi1EEEJSt6negateIsEEEEvT_T0_DpT1_
		.amdhsa_group_segment_fixed_size 0
		.amdhsa_private_segment_fixed_size 0
		.amdhsa_kernarg_size 3408
		.amdhsa_user_sgpr_count 15
		.amdhsa_user_sgpr_dispatch_ptr 0
		.amdhsa_user_sgpr_queue_ptr 0
		.amdhsa_user_sgpr_kernarg_segment_ptr 1
		.amdhsa_user_sgpr_dispatch_id 0
		.amdhsa_user_sgpr_private_segment_size 0
		.amdhsa_wavefront_size32 1
		.amdhsa_uses_dynamic_stack 0
		.amdhsa_enable_private_segment 0
		.amdhsa_system_sgpr_workgroup_id_x 1
		.amdhsa_system_sgpr_workgroup_id_y 0
		.amdhsa_system_sgpr_workgroup_id_z 0
		.amdhsa_system_sgpr_workgroup_info 0
		.amdhsa_system_vgpr_workitem_id 0
		.amdhsa_next_free_vgpr 29
		.amdhsa_next_free_sgpr 18
		.amdhsa_reserve_vcc 1
		.amdhsa_float_round_mode_32 0
		.amdhsa_float_round_mode_16_64 0
		.amdhsa_float_denorm_mode_32 3
		.amdhsa_float_denorm_mode_16_64 3
		.amdhsa_dx10_clamp 1
		.amdhsa_ieee_mode 1
		.amdhsa_fp16_overflow 0
		.amdhsa_workgroup_processor_mode 1
		.amdhsa_memory_ordered 1
		.amdhsa_forward_progress 0
		.amdhsa_shared_vgpr_count 0
		.amdhsa_exception_fp_ieee_invalid_op 0
		.amdhsa_exception_fp_denorm_src 0
		.amdhsa_exception_fp_ieee_div_zero 0
		.amdhsa_exception_fp_ieee_overflow 0
		.amdhsa_exception_fp_ieee_underflow 0
		.amdhsa_exception_fp_ieee_inexact 0
		.amdhsa_exception_int_div_zero 0
	.end_amdhsa_kernel
	.section	.text._ZN2at6native12_GLOBAL__N_125multi_tensor_apply_kernelINS1_18TensorListMetadataILi2EEENS1_14UnaryOpFunctorIsLi2ELi1ELi1EEEJSt6negateIsEEEEvT_T0_DpT1_,"axG",@progbits,_ZN2at6native12_GLOBAL__N_125multi_tensor_apply_kernelINS1_18TensorListMetadataILi2EEENS1_14UnaryOpFunctorIsLi2ELi1ELi1EEEJSt6negateIsEEEEvT_T0_DpT1_,comdat
.Lfunc_end310:
	.size	_ZN2at6native12_GLOBAL__N_125multi_tensor_apply_kernelINS1_18TensorListMetadataILi2EEENS1_14UnaryOpFunctorIsLi2ELi1ELi1EEEJSt6negateIsEEEEvT_T0_DpT1_, .Lfunc_end310-_ZN2at6native12_GLOBAL__N_125multi_tensor_apply_kernelINS1_18TensorListMetadataILi2EEENS1_14UnaryOpFunctorIsLi2ELi1ELi1EEEJSt6negateIsEEEEvT_T0_DpT1_
                                        ; -- End function
	.section	.AMDGPU.csdata,"",@progbits
; Kernel info:
; codeLenInByte = 1488
; NumSgprs: 20
; NumVgprs: 29
; ScratchSize: 0
; MemoryBound: 0
; FloatMode: 240
; IeeeMode: 1
; LDSByteSize: 0 bytes/workgroup (compile time only)
; SGPRBlocks: 2
; VGPRBlocks: 3
; NumSGPRsForWavesPerEU: 20
; NumVGPRsForWavesPerEU: 29
; Occupancy: 16
; WaveLimiterHint : 0
; COMPUTE_PGM_RSRC2:SCRATCH_EN: 0
; COMPUTE_PGM_RSRC2:USER_SGPR: 15
; COMPUTE_PGM_RSRC2:TRAP_HANDLER: 0
; COMPUTE_PGM_RSRC2:TGID_X_EN: 1
; COMPUTE_PGM_RSRC2:TGID_Y_EN: 0
; COMPUTE_PGM_RSRC2:TGID_Z_EN: 0
; COMPUTE_PGM_RSRC2:TIDIG_COMP_CNT: 0
	.section	.text._ZN2at6native12_GLOBAL__N_125multi_tensor_apply_kernelINS1_18TensorListMetadataILi2EEENS1_14UnaryOpFunctorIdLi2ELi1ELi1EEEJSt6negateIdEEEEvT_T0_DpT1_,"axG",@progbits,_ZN2at6native12_GLOBAL__N_125multi_tensor_apply_kernelINS1_18TensorListMetadataILi2EEENS1_14UnaryOpFunctorIdLi2ELi1ELi1EEEJSt6negateIdEEEEvT_T0_DpT1_,comdat
	.globl	_ZN2at6native12_GLOBAL__N_125multi_tensor_apply_kernelINS1_18TensorListMetadataILi2EEENS1_14UnaryOpFunctorIdLi2ELi1ELi1EEEJSt6negateIdEEEEvT_T0_DpT1_ ; -- Begin function _ZN2at6native12_GLOBAL__N_125multi_tensor_apply_kernelINS1_18TensorListMetadataILi2EEENS1_14UnaryOpFunctorIdLi2ELi1ELi1EEEJSt6negateIdEEEEvT_T0_DpT1_
	.p2align	8
	.type	_ZN2at6native12_GLOBAL__N_125multi_tensor_apply_kernelINS1_18TensorListMetadataILi2EEENS1_14UnaryOpFunctorIdLi2ELi1ELi1EEEJSt6negateIdEEEEvT_T0_DpT1_,@function
_ZN2at6native12_GLOBAL__N_125multi_tensor_apply_kernelINS1_18TensorListMetadataILi2EEENS1_14UnaryOpFunctorIdLi2ELi1ELi1EEEJSt6negateIdEEEEvT_T0_DpT1_: ; @_ZN2at6native12_GLOBAL__N_125multi_tensor_apply_kernelINS1_18TensorListMetadataILi2EEENS1_14UnaryOpFunctorIdLi2ELi1ELi1EEEJSt6negateIdEEEEvT_T0_DpT1_
; %bb.0:
	v_mov_b32_e32 v1, s15
	s_add_u32 s2, s0, s15
	s_mul_hi_u32 s3, s15, 3
	s_mul_i32 s15, s15, 3
	s_addc_u32 s4, s1, 0
	global_load_u8 v1, v1, s[0:1] offset:1536
	s_add_u32 s2, s2, s15
	s_addc_u32 s3, s4, s3
	s_mov_b32 s17, 0
	s_load_b32 s2, s[2:3], 0x740
	s_mov_b32 s19, s17
	s_mov_b32 s21, s17
	s_waitcnt vmcnt(0)
	v_readfirstlane_b32 s5, v1
	s_delay_alu instid0(VALU_DEP_1)
	s_lshl_b32 s3, s5, 3
	s_clause 0x2
	s_load_b64 s[10:11], s[0:1], s3 offset:0x0
	s_load_b64 s[12:13], s[0:1], s3 offset:0x200
	;; [unrolled: 1-line block ×3, first 2 shown]
	s_waitcnt lgkmcnt(0)
	s_ashr_i32 s3, s2, 31
	s_delay_alu instid0(SALU_CYCLE_1) | instskip(NEXT) | instid1(SALU_CYCLE_1)
	s_lshl_b64 s[4:5], s[2:3], 19
	s_add_u32 s8, s10, s4
	s_addc_u32 s9, s11, s5
	s_and_b32 s16, s8, 31
	s_add_u32 s14, s12, s4
	s_addc_u32 s15, s13, s5
	s_and_b32 s18, s6, 3
	s_and_b32 s20, s14, 31
	s_or_b64 s[16:17], s[16:17], s[18:19]
	s_lshl_b64 s[2:3], s[2:3], 16
	s_or_b64 s[16:17], s[20:21], s[16:17]
	s_sub_u32 s6, s6, s2
	s_subb_u32 s7, s7, s3
	s_cmp_eq_u64 s[16:17], 0
	s_mov_b32 s2, -1
	s_cbranch_scc0 .LBB311_5
; %bb.1:
	v_dual_mov_b32 v2, 0 :: v_dual_lshlrev_b32 v1, 2, v0
	s_mov_b32 s16, exec_lo
	s_delay_alu instid0(VALU_DEP_1)
	v_cmpx_gt_i64_e64 s[6:7], v[1:2]
	s_cbranch_execz .LBB311_4
; %bb.2:
	s_load_b32 s2, s[0:1], 0xc5c
	v_lshlrev_b32_e32 v3, 5, v0
	s_mov_b32 s17, 0
	s_waitcnt lgkmcnt(0)
	s_and_b32 s2, s2, 0xffff
	s_delay_alu instid0(SALU_CYCLE_1)
	v_add_lshl_u32 v1, v0, s2, 2
	s_lshl_b32 s18, s2, 2
	s_lshl_b32 s19, s2, 5
	s_set_inst_prefetch_distance 0x1
	.p2align	6
.LBB311_3:                              ; =>This Inner Loop Header: Depth=1
	v_add_co_u32 v8, s2, s8, v3
	s_delay_alu instid0(VALU_DEP_1)
	v_add_co_ci_u32_e64 v9, null, s9, 0, s2
	v_cmp_le_i64_e32 vcc_lo, s[6:7], v[1:2]
	v_cmp_lt_u64_e64 s2, 0xffff, v[1:2]
	v_add_co_u32 v12, s3, s14, v3
	s_clause 0x1
	global_load_b128 v[4:7], v[8:9], off
	global_load_b128 v[8:11], v[8:9], off offset:16
	v_add_co_ci_u32_e64 v13, null, s15, 0, s3
	s_or_b32 s2, vcc_lo, s2
	s_add_u32 s8, s8, s19
	v_add_co_u32 v1, s3, v1, s18
	s_addc_u32 s9, s9, 0
	s_add_u32 s14, s14, s19
	v_add_co_ci_u32_e64 v2, s3, 0, v2, s3
	s_addc_u32 s15, s15, 0
	s_and_b32 s2, exec_lo, s2
	s_delay_alu instid0(SALU_CYCLE_1)
	s_or_b32 s17, s2, s17
	s_waitcnt vmcnt(1)
	v_xor_b32_e32 v5, 0x80000000, v5
	v_xor_b32_e32 v7, 0x80000000, v7
	s_waitcnt vmcnt(0)
	v_xor_b32_e32 v9, 0x80000000, v9
	v_xor_b32_e32 v11, 0x80000000, v11
	s_clause 0x1
	global_store_b128 v[12:13], v[4:7], off
	global_store_b128 v[12:13], v[8:11], off offset:16
	s_and_not1_b32 exec_lo, exec_lo, s17
	s_cbranch_execnz .LBB311_3
.LBB311_4:
	s_set_inst_prefetch_distance 0x2
	s_or_b32 exec_lo, exec_lo, s16
	s_mov_b32 s2, 0
.LBB311_5:
	s_delay_alu instid0(SALU_CYCLE_1)
	s_and_not1_b32 vcc_lo, exec_lo, s2
	s_cbranch_vccnz .LBB311_25
; %bb.6:
	v_cmp_lt_i64_e64 s2, s[6:7], 1
	s_delay_alu instid0(VALU_DEP_1)
	s_and_b32 vcc_lo, exec_lo, s2
	s_cbranch_vccnz .LBB311_25
; %bb.7:
	s_load_b32 s0, s[0:1], 0xc5c
	v_dual_mov_b32 v2, 0 :: v_dual_lshlrev_b32 v1, 3, v0
	v_cmp_gt_u64_e64 s1, 0x10000, s[6:7]
	s_delay_alu instid0(VALU_DEP_2) | instskip(NEXT) | instid1(VALU_DEP_1)
	v_add_co_u32 v9, s2, s10, v1
	v_add_co_ci_u32_e64 v10, null, s11, 0, s2
	v_add_co_u32 v11, s2, s12, v1
	s_delay_alu instid0(VALU_DEP_1)
	v_add_co_ci_u32_e64 v12, null, s13, 0, s2
	s_waitcnt lgkmcnt(0)
	s_and_b32 s0, s0, 0xffff
	s_and_b32 s1, s1, exec_lo
	v_mad_u64_u32 v[3:4], null, s0, 24, v[1:2]
	s_cselect_b32 s9, s7, 0
	s_cselect_b32 s8, s6, 0x10000
	s_lshl_b32 s3, s0, 4
	s_mul_i32 s2, s0, 3
	v_add_co_u32 v1, s3, s3, v1
	s_delay_alu instid0(VALU_DEP_2) | instskip(NEXT) | instid1(VALU_DEP_3)
	v_add_co_u32 v13, vcc_lo, s10, v3
	v_add_co_ci_u32_e32 v14, vcc_lo, s11, v4, vcc_lo
	v_add_co_u32 v17, s2, s2, v0
	v_add_co_u32 v15, vcc_lo, s12, v3
	v_add_co_ci_u32_e64 v2, null, 0, 0, s3
	v_add_co_ci_u32_e64 v18, null, 0, 0, s2
	v_add_co_u32 v21, s2, v0, s0
	v_add_co_ci_u32_e32 v16, vcc_lo, s13, v4, vcc_lo
	v_add_co_u32 v19, vcc_lo, s10, v1
	v_add_co_ci_u32_e32 v20, vcc_lo, s11, v2, vcc_lo
	v_add_co_u32 v22, vcc_lo, s12, v1
	v_lshlrev_b32_e32 v1, 3, v21
	s_lshl_b32 s1, s0, 1
	v_add_co_ci_u32_e32 v23, vcc_lo, s13, v2, vcc_lo
	v_add_co_u32 v25, s1, s1, v0
	s_delay_alu instid0(VALU_DEP_1) | instskip(SKIP_1) | instid1(VALU_DEP_1)
	v_add_co_ci_u32_e64 v26, null, 0, 0, s1
	v_add_co_u32 v27, s1, s10, v1
	v_add_co_ci_u32_e64 v28, null, s11, 0, s1
	v_add_co_u32 v29, s1, s12, v1
	v_add_co_ci_u32_e64 v24, null, 0, 0, s2
	v_add_co_ci_u32_e64 v30, null, s13, 0, s1
	s_lshl_b32 s12, s0, 2
	s_lshl_b32 s13, s0, 5
	s_mov_b64 s[10:11], 0
	s_branch .LBB311_9
.LBB311_8:                              ;   in Loop: Header=BB311_9 Depth=1
	s_or_b32 exec_lo, exec_lo, s0
	v_add_co_u32 v9, vcc_lo, v9, s13
	v_add_co_ci_u32_e32 v10, vcc_lo, 0, v10, vcc_lo
	v_add_co_u32 v11, vcc_lo, v11, s13
	v_add_co_ci_u32_e32 v12, vcc_lo, 0, v12, vcc_lo
	;; [unrolled: 2-line block ×5, first 2 shown]
	s_add_u32 s10, s10, s12
	v_add_co_u32 v22, vcc_lo, v22, s13
	s_addc_u32 s11, s11, 0
	v_add_co_ci_u32_e32 v23, vcc_lo, 0, v23, vcc_lo
	v_cmp_ge_i64_e64 s0, s[10:11], s[6:7]
	v_cmp_lt_u64_e64 s1, 0xffff, s[10:11]
	v_add_co_u32 v27, vcc_lo, v27, s13
	v_add_co_ci_u32_e32 v28, vcc_lo, 0, v28, vcc_lo
	v_add_co_u32 v29, vcc_lo, v29, s13
	v_add_co_ci_u32_e32 v30, vcc_lo, 0, v30, vcc_lo
	s_or_b32 s0, s0, s1
	s_delay_alu instid0(SALU_CYCLE_1)
	s_and_b32 vcc_lo, exec_lo, s0
	s_cbranch_vccnz .LBB311_25
.LBB311_9:                              ; =>This Inner Loop Header: Depth=1
	s_waitcnt vmcnt(0)
	v_add_co_u32 v3, s0, v0, s10
	s_delay_alu instid0(VALU_DEP_1) | instskip(SKIP_2) | instid1(VALU_DEP_3)
	v_add_co_ci_u32_e64 v4, null, 0, s11, s0
	v_mov_b32_e32 v1, 0
	v_mov_b32_e32 v2, 0
	v_cmp_gt_u64_e32 vcc_lo, s[8:9], v[3:4]
	s_delay_alu instid0(VALU_DEP_2)
	v_dual_mov_b32 v6, v2 :: v_dual_mov_b32 v5, v1
	s_and_saveexec_b32 s1, vcc_lo
	s_cbranch_execz .LBB311_11
; %bb.10:                               ;   in Loop: Header=BB311_9 Depth=1
	v_add_co_u32 v3, s0, v9, s4
	s_delay_alu instid0(VALU_DEP_1)
	v_add_co_ci_u32_e64 v4, s0, s5, v10, s0
	global_load_b64 v[5:6], v[3:4], off
.LBB311_11:                             ;   in Loop: Header=BB311_9 Depth=1
	s_or_b32 exec_lo, exec_lo, s1
	v_add_co_u32 v3, s0, v21, s10
	s_delay_alu instid0(VALU_DEP_1) | instskip(NEXT) | instid1(VALU_DEP_1)
	v_add_co_ci_u32_e64 v4, s0, s11, v24, s0
	v_cmp_gt_u64_e64 s0, s[8:9], v[3:4]
	s_delay_alu instid0(VALU_DEP_1)
	s_and_saveexec_b32 s2, s0
	s_cbranch_execz .LBB311_13
; %bb.12:                               ;   in Loop: Header=BB311_9 Depth=1
	v_add_co_u32 v1, s1, v27, s4
	s_delay_alu instid0(VALU_DEP_1)
	v_add_co_ci_u32_e64 v2, s1, s5, v28, s1
	global_load_b64 v[1:2], v[1:2], off
.LBB311_13:                             ;   in Loop: Header=BB311_9 Depth=1
	s_or_b32 exec_lo, exec_lo, s2
	v_add_co_u32 v7, s1, v25, s10
	s_delay_alu instid0(VALU_DEP_1) | instskip(SKIP_2) | instid1(VALU_DEP_3)
	v_add_co_ci_u32_e64 v8, s1, s11, v26, s1
	v_mov_b32_e32 v3, 0
	v_mov_b32_e32 v4, 0
	v_cmp_gt_u64_e64 s1, s[8:9], v[7:8]
	s_delay_alu instid0(VALU_DEP_2) | instskip(NEXT) | instid1(VALU_DEP_2)
	v_dual_mov_b32 v8, v4 :: v_dual_mov_b32 v7, v3
	s_and_saveexec_b32 s3, s1
	s_cbranch_execz .LBB311_15
; %bb.14:                               ;   in Loop: Header=BB311_9 Depth=1
	v_add_co_u32 v7, s2, v19, s4
	s_delay_alu instid0(VALU_DEP_1)
	v_add_co_ci_u32_e64 v8, s2, s5, v20, s2
	global_load_b64 v[7:8], v[7:8], off
.LBB311_15:                             ;   in Loop: Header=BB311_9 Depth=1
	s_or_b32 exec_lo, exec_lo, s3
	v_add_co_u32 v31, s2, v17, s10
	s_delay_alu instid0(VALU_DEP_1) | instskip(NEXT) | instid1(VALU_DEP_1)
	v_add_co_ci_u32_e64 v32, s2, s11, v18, s2
	v_cmp_gt_u64_e64 s2, s[8:9], v[31:32]
	s_delay_alu instid0(VALU_DEP_1)
	s_and_saveexec_b32 s14, s2
	s_cbranch_execnz .LBB311_20
; %bb.16:                               ;   in Loop: Header=BB311_9 Depth=1
	s_or_b32 exec_lo, exec_lo, s14
	s_and_saveexec_b32 s3, vcc_lo
	s_cbranch_execnz .LBB311_21
.LBB311_17:                             ;   in Loop: Header=BB311_9 Depth=1
	s_or_b32 exec_lo, exec_lo, s3
	s_and_saveexec_b32 s3, s0
	s_cbranch_execnz .LBB311_22
.LBB311_18:                             ;   in Loop: Header=BB311_9 Depth=1
	s_or_b32 exec_lo, exec_lo, s3
	s_and_saveexec_b32 s0, s1
	s_cbranch_execnz .LBB311_23
.LBB311_19:                             ;   in Loop: Header=BB311_9 Depth=1
	s_or_b32 exec_lo, exec_lo, s0
	s_and_saveexec_b32 s0, s2
	s_cbranch_execz .LBB311_8
	s_branch .LBB311_24
.LBB311_20:                             ;   in Loop: Header=BB311_9 Depth=1
	v_add_co_u32 v3, s3, v13, s4
	s_delay_alu instid0(VALU_DEP_1)
	v_add_co_ci_u32_e64 v4, s3, s5, v14, s3
	global_load_b64 v[3:4], v[3:4], off
	s_or_b32 exec_lo, exec_lo, s14
	s_and_saveexec_b32 s3, vcc_lo
	s_cbranch_execz .LBB311_17
.LBB311_21:                             ;   in Loop: Header=BB311_9 Depth=1
	v_add_co_u32 v31, vcc_lo, v11, s4
	v_add_co_ci_u32_e32 v32, vcc_lo, s5, v12, vcc_lo
	s_waitcnt vmcnt(0)
	v_xor_b32_e32 v6, 0x80000000, v6
	global_store_b64 v[31:32], v[5:6], off
	s_or_b32 exec_lo, exec_lo, s3
	s_and_saveexec_b32 s3, s0
	s_cbranch_execz .LBB311_18
.LBB311_22:                             ;   in Loop: Header=BB311_9 Depth=1
	s_waitcnt vmcnt(0)
	v_add_co_u32 v5, vcc_lo, v29, s4
	v_xor_b32_e32 v2, 0x80000000, v2
	v_add_co_ci_u32_e32 v6, vcc_lo, s5, v30, vcc_lo
	global_store_b64 v[5:6], v[1:2], off
	s_or_b32 exec_lo, exec_lo, s3
	s_and_saveexec_b32 s0, s1
	s_cbranch_execz .LBB311_19
.LBB311_23:                             ;   in Loop: Header=BB311_9 Depth=1
	s_waitcnt vmcnt(0)
	v_add_co_u32 v1, vcc_lo, v22, s4
	v_xor_b32_e32 v8, 0x80000000, v8
	v_add_co_ci_u32_e32 v2, vcc_lo, s5, v23, vcc_lo
	global_store_b64 v[1:2], v[7:8], off
	s_or_b32 exec_lo, exec_lo, s0
	s_and_saveexec_b32 s0, s2
	s_cbranch_execz .LBB311_8
.LBB311_24:                             ;   in Loop: Header=BB311_9 Depth=1
	s_waitcnt vmcnt(0)
	v_add_co_u32 v1, vcc_lo, v15, s4
	v_xor_b32_e32 v4, 0x80000000, v4
	v_add_co_ci_u32_e32 v2, vcc_lo, s5, v16, vcc_lo
	global_store_b64 v[1:2], v[3:4], off
	s_branch .LBB311_8
.LBB311_25:
	s_nop 0
	s_sendmsg sendmsg(MSG_DEALLOC_VGPRS)
	s_endpgm
	.section	.rodata,"a",@progbits
	.p2align	6, 0x0
	.amdhsa_kernel _ZN2at6native12_GLOBAL__N_125multi_tensor_apply_kernelINS1_18TensorListMetadataILi2EEENS1_14UnaryOpFunctorIdLi2ELi1ELi1EEEJSt6negateIdEEEEvT_T0_DpT1_
		.amdhsa_group_segment_fixed_size 0
		.amdhsa_private_segment_fixed_size 0
		.amdhsa_kernarg_size 3408
		.amdhsa_user_sgpr_count 15
		.amdhsa_user_sgpr_dispatch_ptr 0
		.amdhsa_user_sgpr_queue_ptr 0
		.amdhsa_user_sgpr_kernarg_segment_ptr 1
		.amdhsa_user_sgpr_dispatch_id 0
		.amdhsa_user_sgpr_private_segment_size 0
		.amdhsa_wavefront_size32 1
		.amdhsa_uses_dynamic_stack 0
		.amdhsa_enable_private_segment 0
		.amdhsa_system_sgpr_workgroup_id_x 1
		.amdhsa_system_sgpr_workgroup_id_y 0
		.amdhsa_system_sgpr_workgroup_id_z 0
		.amdhsa_system_sgpr_workgroup_info 0
		.amdhsa_system_vgpr_workitem_id 0
		.amdhsa_next_free_vgpr 33
		.amdhsa_next_free_sgpr 22
		.amdhsa_reserve_vcc 1
		.amdhsa_float_round_mode_32 0
		.amdhsa_float_round_mode_16_64 0
		.amdhsa_float_denorm_mode_32 3
		.amdhsa_float_denorm_mode_16_64 3
		.amdhsa_dx10_clamp 1
		.amdhsa_ieee_mode 1
		.amdhsa_fp16_overflow 0
		.amdhsa_workgroup_processor_mode 1
		.amdhsa_memory_ordered 1
		.amdhsa_forward_progress 0
		.amdhsa_shared_vgpr_count 0
		.amdhsa_exception_fp_ieee_invalid_op 0
		.amdhsa_exception_fp_denorm_src 0
		.amdhsa_exception_fp_ieee_div_zero 0
		.amdhsa_exception_fp_ieee_overflow 0
		.amdhsa_exception_fp_ieee_underflow 0
		.amdhsa_exception_fp_ieee_inexact 0
		.amdhsa_exception_int_div_zero 0
	.end_amdhsa_kernel
	.section	.text._ZN2at6native12_GLOBAL__N_125multi_tensor_apply_kernelINS1_18TensorListMetadataILi2EEENS1_14UnaryOpFunctorIdLi2ELi1ELi1EEEJSt6negateIdEEEEvT_T0_DpT1_,"axG",@progbits,_ZN2at6native12_GLOBAL__N_125multi_tensor_apply_kernelINS1_18TensorListMetadataILi2EEENS1_14UnaryOpFunctorIdLi2ELi1ELi1EEEJSt6negateIdEEEEvT_T0_DpT1_,comdat
.Lfunc_end311:
	.size	_ZN2at6native12_GLOBAL__N_125multi_tensor_apply_kernelINS1_18TensorListMetadataILi2EEENS1_14UnaryOpFunctorIdLi2ELi1ELi1EEEJSt6negateIdEEEEvT_T0_DpT1_, .Lfunc_end311-_ZN2at6native12_GLOBAL__N_125multi_tensor_apply_kernelINS1_18TensorListMetadataILi2EEENS1_14UnaryOpFunctorIdLi2ELi1ELi1EEEJSt6negateIdEEEEvT_T0_DpT1_
                                        ; -- End function
	.section	.AMDGPU.csdata,"",@progbits
; Kernel info:
; codeLenInByte = 1480
; NumSgprs: 24
; NumVgprs: 33
; ScratchSize: 0
; MemoryBound: 0
; FloatMode: 240
; IeeeMode: 1
; LDSByteSize: 0 bytes/workgroup (compile time only)
; SGPRBlocks: 2
; VGPRBlocks: 4
; NumSGPRsForWavesPerEU: 24
; NumVGPRsForWavesPerEU: 33
; Occupancy: 16
; WaveLimiterHint : 0
; COMPUTE_PGM_RSRC2:SCRATCH_EN: 0
; COMPUTE_PGM_RSRC2:USER_SGPR: 15
; COMPUTE_PGM_RSRC2:TRAP_HANDLER: 0
; COMPUTE_PGM_RSRC2:TGID_X_EN: 1
; COMPUTE_PGM_RSRC2:TGID_Y_EN: 0
; COMPUTE_PGM_RSRC2:TGID_Z_EN: 0
; COMPUTE_PGM_RSRC2:TIDIG_COMP_CNT: 0
	.section	.text._ZN2at6native12_GLOBAL__N_125multi_tensor_apply_kernelINS1_18TensorListMetadataILi2EEENS1_14UnaryOpFunctorIfLi2ELi1ELi1EEEJSt6negateIfEEEEvT_T0_DpT1_,"axG",@progbits,_ZN2at6native12_GLOBAL__N_125multi_tensor_apply_kernelINS1_18TensorListMetadataILi2EEENS1_14UnaryOpFunctorIfLi2ELi1ELi1EEEJSt6negateIfEEEEvT_T0_DpT1_,comdat
	.globl	_ZN2at6native12_GLOBAL__N_125multi_tensor_apply_kernelINS1_18TensorListMetadataILi2EEENS1_14UnaryOpFunctorIfLi2ELi1ELi1EEEJSt6negateIfEEEEvT_T0_DpT1_ ; -- Begin function _ZN2at6native12_GLOBAL__N_125multi_tensor_apply_kernelINS1_18TensorListMetadataILi2EEENS1_14UnaryOpFunctorIfLi2ELi1ELi1EEEJSt6negateIfEEEEvT_T0_DpT1_
	.p2align	8
	.type	_ZN2at6native12_GLOBAL__N_125multi_tensor_apply_kernelINS1_18TensorListMetadataILi2EEENS1_14UnaryOpFunctorIfLi2ELi1ELi1EEEJSt6negateIfEEEEvT_T0_DpT1_,@function
_ZN2at6native12_GLOBAL__N_125multi_tensor_apply_kernelINS1_18TensorListMetadataILi2EEENS1_14UnaryOpFunctorIfLi2ELi1ELi1EEEJSt6negateIfEEEEvT_T0_DpT1_: ; @_ZN2at6native12_GLOBAL__N_125multi_tensor_apply_kernelINS1_18TensorListMetadataILi2EEENS1_14UnaryOpFunctorIfLi2ELi1ELi1EEEJSt6negateIfEEEEvT_T0_DpT1_
; %bb.0:
	v_mov_b32_e32 v1, s15
	s_add_u32 s2, s0, s15
	s_mul_hi_u32 s3, s15, 3
	s_mul_i32 s15, s15, 3
	s_addc_u32 s4, s1, 0
	global_load_u8 v1, v1, s[0:1] offset:1536
	s_add_u32 s2, s2, s15
	s_addc_u32 s3, s4, s3
	s_mov_b32 s17, 0
	s_load_b32 s2, s[2:3], 0x740
	s_mov_b32 s19, s17
	s_mov_b32 s21, s17
	s_waitcnt vmcnt(0)
	v_readfirstlane_b32 s5, v1
	s_delay_alu instid0(VALU_DEP_1)
	s_lshl_b32 s3, s5, 3
	s_clause 0x2
	s_load_b64 s[10:11], s[0:1], s3 offset:0x0
	s_load_b64 s[12:13], s[0:1], s3 offset:0x200
	;; [unrolled: 1-line block ×3, first 2 shown]
	s_waitcnt lgkmcnt(0)
	s_ashr_i32 s3, s2, 31
	s_delay_alu instid0(SALU_CYCLE_1) | instskip(NEXT) | instid1(SALU_CYCLE_1)
	s_lshl_b64 s[4:5], s[2:3], 18
	s_add_u32 s8, s10, s4
	s_addc_u32 s9, s11, s5
	s_and_b32 s16, s8, 15
	s_add_u32 s14, s12, s4
	s_addc_u32 s15, s13, s5
	s_and_b32 s18, s6, 3
	s_and_b32 s20, s14, 15
	s_or_b64 s[16:17], s[16:17], s[18:19]
	s_lshl_b64 s[2:3], s[2:3], 16
	s_or_b64 s[16:17], s[20:21], s[16:17]
	s_sub_u32 s6, s6, s2
	s_subb_u32 s7, s7, s3
	s_cmp_eq_u64 s[16:17], 0
	s_mov_b32 s2, -1
	s_cbranch_scc0 .LBB312_5
; %bb.1:
	v_dual_mov_b32 v2, 0 :: v_dual_lshlrev_b32 v1, 2, v0
	s_mov_b32 s16, exec_lo
	s_delay_alu instid0(VALU_DEP_1)
	v_cmpx_gt_i64_e64 s[6:7], v[1:2]
	s_cbranch_execz .LBB312_4
; %bb.2:
	s_load_b32 s2, s[0:1], 0xc5c
	v_lshlrev_b32_e32 v3, 4, v0
	s_mov_b32 s17, 0
	s_waitcnt lgkmcnt(0)
	s_and_b32 s2, s2, 0xffff
	s_delay_alu instid0(SALU_CYCLE_1)
	v_add_lshl_u32 v1, v0, s2, 2
	s_lshl_b32 s18, s2, 2
	s_lshl_b32 s19, s2, 4
	s_set_inst_prefetch_distance 0x1
	.p2align	6
.LBB312_3:                              ; =>This Inner Loop Header: Depth=1
	v_add_co_u32 v4, s2, s8, v3
	s_delay_alu instid0(VALU_DEP_1)
	v_add_co_ci_u32_e64 v5, null, s9, 0, s2
	v_cmp_le_i64_e32 vcc_lo, s[6:7], v[1:2]
	v_cmp_lt_u64_e64 s2, 0xffff, v[1:2]
	v_add_co_u32 v8, s3, s14, v3
	global_load_b128 v[4:7], v[4:5], off
	v_add_co_ci_u32_e64 v9, null, s15, 0, s3
	s_or_b32 s2, vcc_lo, s2
	s_add_u32 s8, s8, s19
	v_add_co_u32 v1, s3, v1, s18
	s_addc_u32 s9, s9, 0
	s_add_u32 s14, s14, s19
	v_add_co_ci_u32_e64 v2, s3, 0, v2, s3
	s_addc_u32 s15, s15, 0
	s_and_b32 s2, exec_lo, s2
	s_delay_alu instid0(SALU_CYCLE_1)
	s_or_b32 s17, s2, s17
	s_waitcnt vmcnt(0)
	v_xor_b32_e32 v4, 0x80000000, v4
	v_xor_b32_e32 v5, 0x80000000, v5
	;; [unrolled: 1-line block ×4, first 2 shown]
	global_store_b128 v[8:9], v[4:7], off
	s_and_not1_b32 exec_lo, exec_lo, s17
	s_cbranch_execnz .LBB312_3
.LBB312_4:
	s_set_inst_prefetch_distance 0x2
	s_or_b32 exec_lo, exec_lo, s16
	s_mov_b32 s2, 0
.LBB312_5:
	s_delay_alu instid0(SALU_CYCLE_1)
	s_and_not1_b32 vcc_lo, exec_lo, s2
	s_cbranch_vccnz .LBB312_25
; %bb.6:
	v_cmp_lt_i64_e64 s2, s[6:7], 1
	s_delay_alu instid0(VALU_DEP_1)
	s_and_b32 vcc_lo, exec_lo, s2
	s_cbranch_vccnz .LBB312_25
; %bb.7:
	s_load_b32 s0, s[0:1], 0xc5c
	v_dual_mov_b32 v10, 0 :: v_dual_lshlrev_b32 v9, 2, v0
	v_cmp_gt_u64_e64 s1, 0x10000, s[6:7]
	s_delay_alu instid0(VALU_DEP_2) | instskip(NEXT) | instid1(VALU_DEP_1)
	v_add_co_u32 v1, s2, s10, v9
	v_add_co_ci_u32_e64 v2, null, s11, 0, s2
	v_add_co_u32 v3, s2, s12, v9
	s_delay_alu instid0(VALU_DEP_1)
	v_add_co_ci_u32_e64 v4, null, s13, 0, s2
	s_waitcnt lgkmcnt(0)
	s_and_b32 s0, s0, 0xffff
	s_and_b32 s1, s1, exec_lo
	v_mad_u64_u32 v[7:8], null, s0, 12, v[9:10]
	s_cselect_b32 s9, s7, 0
	s_cselect_b32 s8, s6, 0x10000
	s_mul_i32 s2, s0, 3
	s_lshl_b32 s3, s0, 3
	s_lshl_b32 s1, s0, 1
	v_add_co_u32 v14, s3, s3, v9
	v_add_co_u32 v9, s2, s2, v0
	s_delay_alu instid0(VALU_DEP_1) | instskip(SKIP_3) | instid1(VALU_DEP_3)
	v_add_co_ci_u32_e64 v10, null, 0, 0, s2
	v_add_co_u32 v13, s2, v0, s0
	v_add_co_u32 v5, vcc_lo, s10, v7
	v_add_co_ci_u32_e32 v6, vcc_lo, s11, v8, vcc_lo
	v_lshlrev_b32_e32 v21, 2, v13
	v_add_co_u32 v7, vcc_lo, s12, v7
	v_add_co_ci_u32_e64 v15, null, 0, 0, s3
	v_add_co_ci_u32_e32 v8, vcc_lo, s13, v8, vcc_lo
	v_add_co_u32 v17, s1, s1, v0
	v_add_co_u32 v11, vcc_lo, s10, v14
	v_add_co_ci_u32_e64 v18, null, 0, 0, s1
	v_add_co_u32 v19, s1, s10, v21
	v_add_co_ci_u32_e32 v12, vcc_lo, s11, v15, vcc_lo
	v_add_co_u32 v14, vcc_lo, s12, v14
	v_add_co_ci_u32_e64 v20, null, s11, 0, s1
	v_add_co_u32 v21, s1, s12, v21
	v_add_co_ci_u32_e32 v15, vcc_lo, s13, v15, vcc_lo
	v_add_co_ci_u32_e64 v16, null, 0, 0, s2
	v_add_co_ci_u32_e64 v22, null, s13, 0, s1
	s_lshl_b32 s12, s0, 2
	s_lshl_b32 s13, s0, 4
	s_mov_b64 s[10:11], 0
	s_branch .LBB312_9
.LBB312_8:                              ;   in Loop: Header=BB312_9 Depth=1
	s_or_b32 exec_lo, exec_lo, s0
	v_add_co_u32 v1, vcc_lo, v1, s13
	v_add_co_ci_u32_e32 v2, vcc_lo, 0, v2, vcc_lo
	v_add_co_u32 v3, vcc_lo, v3, s13
	v_add_co_ci_u32_e32 v4, vcc_lo, 0, v4, vcc_lo
	;; [unrolled: 2-line block ×5, first 2 shown]
	s_add_u32 s10, s10, s12
	v_add_co_u32 v14, vcc_lo, v14, s13
	s_addc_u32 s11, s11, 0
	v_add_co_ci_u32_e32 v15, vcc_lo, 0, v15, vcc_lo
	v_cmp_ge_i64_e64 s0, s[10:11], s[6:7]
	v_cmp_lt_u64_e64 s1, 0xffff, s[10:11]
	v_add_co_u32 v19, vcc_lo, v19, s13
	v_add_co_ci_u32_e32 v20, vcc_lo, 0, v20, vcc_lo
	v_add_co_u32 v21, vcc_lo, v21, s13
	v_add_co_ci_u32_e32 v22, vcc_lo, 0, v22, vcc_lo
	s_or_b32 s0, s0, s1
	s_delay_alu instid0(SALU_CYCLE_1)
	s_and_b32 vcc_lo, exec_lo, s0
	s_cbranch_vccnz .LBB312_25
.LBB312_9:                              ; =>This Inner Loop Header: Depth=1
	s_waitcnt vmcnt(0)
	v_add_co_u32 v23, s0, v0, s10
	s_delay_alu instid0(VALU_DEP_1) | instskip(NEXT) | instid1(VALU_DEP_1)
	v_add_co_ci_u32_e64 v24, null, 0, s11, s0
	v_cmp_gt_u64_e32 vcc_lo, s[8:9], v[23:24]
	v_mov_b32_e32 v23, 0
	s_and_saveexec_b32 s1, vcc_lo
	s_cbranch_execz .LBB312_11
; %bb.10:                               ;   in Loop: Header=BB312_9 Depth=1
	v_add_co_u32 v23, s0, v1, s4
	s_delay_alu instid0(VALU_DEP_1)
	v_add_co_ci_u32_e64 v24, s0, s5, v2, s0
	global_load_b32 v23, v[23:24], off
.LBB312_11:                             ;   in Loop: Header=BB312_9 Depth=1
	s_or_b32 exec_lo, exec_lo, s1
	v_add_co_u32 v24, s0, v13, s10
	s_delay_alu instid0(VALU_DEP_1) | instskip(NEXT) | instid1(VALU_DEP_1)
	v_add_co_ci_u32_e64 v25, s0, s11, v16, s0
	v_cmp_gt_u64_e64 s0, s[8:9], v[24:25]
	v_mov_b32_e32 v25, 0
	s_delay_alu instid0(VALU_DEP_2)
	s_and_saveexec_b32 s2, s0
	s_cbranch_execz .LBB312_13
; %bb.12:                               ;   in Loop: Header=BB312_9 Depth=1
	v_add_co_u32 v24, s1, v19, s4
	s_delay_alu instid0(VALU_DEP_1)
	v_add_co_ci_u32_e64 v25, s1, s5, v20, s1
	global_load_b32 v25, v[24:25], off
.LBB312_13:                             ;   in Loop: Header=BB312_9 Depth=1
	s_or_b32 exec_lo, exec_lo, s2
	v_add_co_u32 v26, s1, v17, s10
	s_delay_alu instid0(VALU_DEP_1) | instskip(SKIP_1) | instid1(VALU_DEP_2)
	v_add_co_ci_u32_e64 v27, s1, s11, v18, s1
	v_mov_b32_e32 v24, 0
	v_cmp_gt_u64_e64 s1, s[8:9], v[26:27]
	v_mov_b32_e32 v26, 0
	s_delay_alu instid0(VALU_DEP_2)
	s_and_saveexec_b32 s3, s1
	s_cbranch_execz .LBB312_15
; %bb.14:                               ;   in Loop: Header=BB312_9 Depth=1
	v_add_co_u32 v26, s2, v11, s4
	s_delay_alu instid0(VALU_DEP_1)
	v_add_co_ci_u32_e64 v27, s2, s5, v12, s2
	global_load_b32 v26, v[26:27], off
.LBB312_15:                             ;   in Loop: Header=BB312_9 Depth=1
	s_or_b32 exec_lo, exec_lo, s3
	v_add_co_u32 v27, s2, v9, s10
	s_delay_alu instid0(VALU_DEP_1) | instskip(NEXT) | instid1(VALU_DEP_1)
	v_add_co_ci_u32_e64 v28, s2, s11, v10, s2
	v_cmp_gt_u64_e64 s2, s[8:9], v[27:28]
	s_delay_alu instid0(VALU_DEP_1)
	s_and_saveexec_b32 s14, s2
	s_cbranch_execnz .LBB312_20
; %bb.16:                               ;   in Loop: Header=BB312_9 Depth=1
	s_or_b32 exec_lo, exec_lo, s14
	s_and_saveexec_b32 s3, vcc_lo
	s_cbranch_execnz .LBB312_21
.LBB312_17:                             ;   in Loop: Header=BB312_9 Depth=1
	s_or_b32 exec_lo, exec_lo, s3
	s_and_saveexec_b32 s3, s0
	s_cbranch_execnz .LBB312_22
.LBB312_18:                             ;   in Loop: Header=BB312_9 Depth=1
	s_or_b32 exec_lo, exec_lo, s3
	s_and_saveexec_b32 s0, s1
	s_cbranch_execnz .LBB312_23
.LBB312_19:                             ;   in Loop: Header=BB312_9 Depth=1
	s_or_b32 exec_lo, exec_lo, s0
	s_and_saveexec_b32 s0, s2
	s_cbranch_execz .LBB312_8
	s_branch .LBB312_24
.LBB312_20:                             ;   in Loop: Header=BB312_9 Depth=1
	v_add_co_u32 v27, s3, v5, s4
	s_delay_alu instid0(VALU_DEP_1)
	v_add_co_ci_u32_e64 v28, s3, s5, v6, s3
	global_load_b32 v24, v[27:28], off
	s_or_b32 exec_lo, exec_lo, s14
	s_and_saveexec_b32 s3, vcc_lo
	s_cbranch_execz .LBB312_17
.LBB312_21:                             ;   in Loop: Header=BB312_9 Depth=1
	v_add_co_u32 v27, vcc_lo, v3, s4
	v_add_co_ci_u32_e32 v28, vcc_lo, s5, v4, vcc_lo
	s_waitcnt vmcnt(0)
	v_xor_b32_e32 v23, 0x80000000, v23
	global_store_b32 v[27:28], v23, off
	s_or_b32 exec_lo, exec_lo, s3
	s_and_saveexec_b32 s3, s0
	s_cbranch_execz .LBB312_18
.LBB312_22:                             ;   in Loop: Header=BB312_9 Depth=1
	v_add_co_u32 v27, vcc_lo, v21, s4
	s_waitcnt vmcnt(0)
	v_xor_b32_e32 v23, 0x80000000, v25
	v_add_co_ci_u32_e32 v28, vcc_lo, s5, v22, vcc_lo
	global_store_b32 v[27:28], v23, off
	s_or_b32 exec_lo, exec_lo, s3
	s_and_saveexec_b32 s0, s1
	s_cbranch_execz .LBB312_19
.LBB312_23:                             ;   in Loop: Header=BB312_9 Depth=1
	s_waitcnt vmcnt(0)
	v_add_co_u32 v25, vcc_lo, v14, s4
	v_xor_b32_e32 v23, 0x80000000, v26
	v_add_co_ci_u32_e32 v26, vcc_lo, s5, v15, vcc_lo
	global_store_b32 v[25:26], v23, off
	s_or_b32 exec_lo, exec_lo, s0
	s_and_saveexec_b32 s0, s2
	s_cbranch_execz .LBB312_8
.LBB312_24:                             ;   in Loop: Header=BB312_9 Depth=1
	s_waitcnt vmcnt(0)
	v_add_co_u32 v23, vcc_lo, v7, s4
	v_xor_b32_e32 v25, 0x80000000, v24
	v_add_co_ci_u32_e32 v24, vcc_lo, s5, v8, vcc_lo
	global_store_b32 v[23:24], v25, off
	s_branch .LBB312_8
.LBB312_25:
	s_nop 0
	s_sendmsg sendmsg(MSG_DEALLOC_VGPRS)
	s_endpgm
	.section	.rodata,"a",@progbits
	.p2align	6, 0x0
	.amdhsa_kernel _ZN2at6native12_GLOBAL__N_125multi_tensor_apply_kernelINS1_18TensorListMetadataILi2EEENS1_14UnaryOpFunctorIfLi2ELi1ELi1EEEJSt6negateIfEEEEvT_T0_DpT1_
		.amdhsa_group_segment_fixed_size 0
		.amdhsa_private_segment_fixed_size 0
		.amdhsa_kernarg_size 3408
		.amdhsa_user_sgpr_count 15
		.amdhsa_user_sgpr_dispatch_ptr 0
		.amdhsa_user_sgpr_queue_ptr 0
		.amdhsa_user_sgpr_kernarg_segment_ptr 1
		.amdhsa_user_sgpr_dispatch_id 0
		.amdhsa_user_sgpr_private_segment_size 0
		.amdhsa_wavefront_size32 1
		.amdhsa_uses_dynamic_stack 0
		.amdhsa_enable_private_segment 0
		.amdhsa_system_sgpr_workgroup_id_x 1
		.amdhsa_system_sgpr_workgroup_id_y 0
		.amdhsa_system_sgpr_workgroup_id_z 0
		.amdhsa_system_sgpr_workgroup_info 0
		.amdhsa_system_vgpr_workitem_id 0
		.amdhsa_next_free_vgpr 29
		.amdhsa_next_free_sgpr 22
		.amdhsa_reserve_vcc 1
		.amdhsa_float_round_mode_32 0
		.amdhsa_float_round_mode_16_64 0
		.amdhsa_float_denorm_mode_32 3
		.amdhsa_float_denorm_mode_16_64 3
		.amdhsa_dx10_clamp 1
		.amdhsa_ieee_mode 1
		.amdhsa_fp16_overflow 0
		.amdhsa_workgroup_processor_mode 1
		.amdhsa_memory_ordered 1
		.amdhsa_forward_progress 0
		.amdhsa_shared_vgpr_count 0
		.amdhsa_exception_fp_ieee_invalid_op 0
		.amdhsa_exception_fp_denorm_src 0
		.amdhsa_exception_fp_ieee_div_zero 0
		.amdhsa_exception_fp_ieee_overflow 0
		.amdhsa_exception_fp_ieee_underflow 0
		.amdhsa_exception_fp_ieee_inexact 0
		.amdhsa_exception_int_div_zero 0
	.end_amdhsa_kernel
	.section	.text._ZN2at6native12_GLOBAL__N_125multi_tensor_apply_kernelINS1_18TensorListMetadataILi2EEENS1_14UnaryOpFunctorIfLi2ELi1ELi1EEEJSt6negateIfEEEEvT_T0_DpT1_,"axG",@progbits,_ZN2at6native12_GLOBAL__N_125multi_tensor_apply_kernelINS1_18TensorListMetadataILi2EEENS1_14UnaryOpFunctorIfLi2ELi1ELi1EEEJSt6negateIfEEEEvT_T0_DpT1_,comdat
.Lfunc_end312:
	.size	_ZN2at6native12_GLOBAL__N_125multi_tensor_apply_kernelINS1_18TensorListMetadataILi2EEENS1_14UnaryOpFunctorIfLi2ELi1ELi1EEEJSt6negateIfEEEEvT_T0_DpT1_, .Lfunc_end312-_ZN2at6native12_GLOBAL__N_125multi_tensor_apply_kernelINS1_18TensorListMetadataILi2EEENS1_14UnaryOpFunctorIfLi2ELi1ELi1EEEJSt6negateIfEEEEvT_T0_DpT1_
                                        ; -- End function
	.section	.AMDGPU.csdata,"",@progbits
; Kernel info:
; codeLenInByte = 1428
; NumSgprs: 24
; NumVgprs: 29
; ScratchSize: 0
; MemoryBound: 0
; FloatMode: 240
; IeeeMode: 1
; LDSByteSize: 0 bytes/workgroup (compile time only)
; SGPRBlocks: 2
; VGPRBlocks: 3
; NumSGPRsForWavesPerEU: 24
; NumVGPRsForWavesPerEU: 29
; Occupancy: 16
; WaveLimiterHint : 0
; COMPUTE_PGM_RSRC2:SCRATCH_EN: 0
; COMPUTE_PGM_RSRC2:USER_SGPR: 15
; COMPUTE_PGM_RSRC2:TRAP_HANDLER: 0
; COMPUTE_PGM_RSRC2:TGID_X_EN: 1
; COMPUTE_PGM_RSRC2:TGID_Y_EN: 0
; COMPUTE_PGM_RSRC2:TGID_Z_EN: 0
; COMPUTE_PGM_RSRC2:TIDIG_COMP_CNT: 0
	.section	.text._ZN2at6native12_GLOBAL__N_125multi_tensor_apply_kernelINS1_18TensorListMetadataILi2EEENS1_14UnaryOpFunctorIN3c107complexIdEELi2ELi1ELi1EEEJSt6negateIS8_EEEEvT_T0_DpT1_,"axG",@progbits,_ZN2at6native12_GLOBAL__N_125multi_tensor_apply_kernelINS1_18TensorListMetadataILi2EEENS1_14UnaryOpFunctorIN3c107complexIdEELi2ELi1ELi1EEEJSt6negateIS8_EEEEvT_T0_DpT1_,comdat
	.globl	_ZN2at6native12_GLOBAL__N_125multi_tensor_apply_kernelINS1_18TensorListMetadataILi2EEENS1_14UnaryOpFunctorIN3c107complexIdEELi2ELi1ELi1EEEJSt6negateIS8_EEEEvT_T0_DpT1_ ; -- Begin function _ZN2at6native12_GLOBAL__N_125multi_tensor_apply_kernelINS1_18TensorListMetadataILi2EEENS1_14UnaryOpFunctorIN3c107complexIdEELi2ELi1ELi1EEEJSt6negateIS8_EEEEvT_T0_DpT1_
	.p2align	8
	.type	_ZN2at6native12_GLOBAL__N_125multi_tensor_apply_kernelINS1_18TensorListMetadataILi2EEENS1_14UnaryOpFunctorIN3c107complexIdEELi2ELi1ELi1EEEJSt6negateIS8_EEEEvT_T0_DpT1_,@function
_ZN2at6native12_GLOBAL__N_125multi_tensor_apply_kernelINS1_18TensorListMetadataILi2EEENS1_14UnaryOpFunctorIN3c107complexIdEELi2ELi1ELi1EEEJSt6negateIS8_EEEEvT_T0_DpT1_: ; @_ZN2at6native12_GLOBAL__N_125multi_tensor_apply_kernelINS1_18TensorListMetadataILi2EEENS1_14UnaryOpFunctorIN3c107complexIdEELi2ELi1ELi1EEEJSt6negateIS8_EEEEvT_T0_DpT1_
; %bb.0:
	v_mov_b32_e32 v1, s15
	s_add_u32 s2, s0, s15
	s_mul_hi_u32 s3, s15, 3
	s_mul_i32 s15, s15, 3
	s_addc_u32 s4, s1, 0
	global_load_u8 v1, v1, s[0:1] offset:1536
	s_add_u32 s2, s2, s15
	s_addc_u32 s3, s4, s3
	s_mov_b32 s17, 0
	s_load_b32 s2, s[2:3], 0x740
	s_mov_b32 s19, s17
	s_mov_b32 s21, s17
	s_waitcnt vmcnt(0)
	v_readfirstlane_b32 s5, v1
	s_delay_alu instid0(VALU_DEP_1)
	s_lshl_b32 s3, s5, 3
	s_clause 0x2
	s_load_b64 s[12:13], s[0:1], s3 offset:0x0
	s_load_b64 s[14:15], s[0:1], s3 offset:0x200
	;; [unrolled: 1-line block ×3, first 2 shown]
	s_waitcnt lgkmcnt(0)
	s_ashr_i32 s3, s2, 31
	s_delay_alu instid0(SALU_CYCLE_1) | instskip(NEXT) | instid1(SALU_CYCLE_1)
	s_lshl_b64 s[4:5], s[2:3], 20
	s_add_u32 s8, s12, s4
	s_addc_u32 s9, s13, s5
	s_add_u32 s10, s14, s4
	s_addc_u32 s11, s15, s5
	s_and_b32 s18, s8, 63
	s_and_b32 s20, s6, 3
	;; [unrolled: 1-line block ×3, first 2 shown]
	s_or_b64 s[18:19], s[18:19], s[20:21]
	s_lshl_b64 s[2:3], s[2:3], 16
	s_or_b64 s[16:17], s[16:17], s[18:19]
	s_sub_u32 s6, s6, s2
	s_subb_u32 s7, s7, s3
	s_cmp_eq_u64 s[16:17], 0
	s_mov_b32 s2, -1
	s_cbranch_scc0 .LBB313_5
; %bb.1:
	v_dual_mov_b32 v2, 0 :: v_dual_lshlrev_b32 v1, 2, v0
	s_mov_b32 s16, exec_lo
	s_delay_alu instid0(VALU_DEP_1)
	v_cmpx_gt_i64_e64 s[6:7], v[1:2]
	s_cbranch_execz .LBB313_4
; %bb.2:
	s_load_b32 s2, s[0:1], 0xc5c
	v_lshlrev_b32_e32 v3, 6, v0
	s_mov_b32 s17, 0
	s_waitcnt lgkmcnt(0)
	s_and_b32 s2, s2, 0xffff
	s_delay_alu instid0(SALU_CYCLE_1)
	v_add_lshl_u32 v1, v0, s2, 2
	s_lshl_b32 s18, s2, 2
	s_lshl_b32 s19, s2, 6
.LBB313_3:                              ; =>This Inner Loop Header: Depth=1
	v_add_co_u32 v16, s2, s8, v3
	s_delay_alu instid0(VALU_DEP_1)
	v_add_co_ci_u32_e64 v17, null, s9, 0, s2
	v_cmp_le_i64_e32 vcc_lo, s[6:7], v[1:2]
	v_cmp_lt_u64_e64 s2, 0xffff, v[1:2]
	v_add_co_u32 v20, s3, s10, v3
	s_clause 0x3
	global_load_b128 v[4:7], v[16:17], off
	global_load_b128 v[8:11], v[16:17], off offset:16
	global_load_b128 v[12:15], v[16:17], off offset:32
	;; [unrolled: 1-line block ×3, first 2 shown]
	v_add_co_ci_u32_e64 v21, null, s11, 0, s3
	s_or_b32 s2, vcc_lo, s2
	s_add_u32 s8, s8, s19
	v_add_co_u32 v1, s3, v1, s18
	s_addc_u32 s9, s9, 0
	s_add_u32 s10, s10, s19
	v_add_co_ci_u32_e64 v2, s3, 0, v2, s3
	s_addc_u32 s11, s11, 0
	s_and_b32 s2, exec_lo, s2
	s_delay_alu instid0(SALU_CYCLE_1)
	s_or_b32 s17, s2, s17
	s_waitcnt vmcnt(3)
	v_xor_b32_e32 v5, 0x80000000, v5
	v_xor_b32_e32 v7, 0x80000000, v7
	s_waitcnt vmcnt(2)
	v_xor_b32_e32 v9, 0x80000000, v9
	v_xor_b32_e32 v11, 0x80000000, v11
	;; [unrolled: 3-line block ×4, first 2 shown]
	s_clause 0x3
	global_store_b128 v[20:21], v[4:7], off
	global_store_b128 v[20:21], v[8:11], off offset:16
	global_store_b128 v[20:21], v[12:15], off offset:32
	;; [unrolled: 1-line block ×3, first 2 shown]
	s_and_not1_b32 exec_lo, exec_lo, s17
	s_cbranch_execnz .LBB313_3
.LBB313_4:
	s_or_b32 exec_lo, exec_lo, s16
	s_mov_b32 s2, 0
.LBB313_5:
	s_delay_alu instid0(SALU_CYCLE_1)
	s_and_not1_b32 vcc_lo, exec_lo, s2
	s_cbranch_vccnz .LBB313_25
; %bb.6:
	v_cmp_lt_i64_e64 s2, s[6:7], 1
	s_delay_alu instid0(VALU_DEP_1)
	s_and_b32 vcc_lo, exec_lo, s2
	s_cbranch_vccnz .LBB313_25
; %bb.7:
	s_load_b32 s0, s[0:1], 0xc5c
	v_mov_b32_e32 v1, 0
	v_lshl_or_b32 v2, v0, 4, 8
	v_cmp_gt_u64_e64 s1, 0x10000, s[6:7]
	s_mov_b32 s9, 0
	s_delay_alu instid0(VALU_DEP_3) | instskip(NEXT) | instid1(VALU_DEP_3)
	v_mov_b32_e32 v3, v1
	v_add_co_u32 v18, s2, s12, v2
	s_delay_alu instid0(VALU_DEP_1) | instskip(SKIP_1) | instid1(VALU_DEP_1)
	v_add_co_ci_u32_e64 v19, null, s13, 0, s2
	v_add_co_u32 v20, s2, s14, v2
	v_add_co_ci_u32_e64 v21, null, s15, 0, s2
	s_waitcnt lgkmcnt(0)
	s_and_b32 s16, s0, 0xffff
	s_and_b32 s0, s1, exec_lo
	v_add_lshl_u32 v6, v0, s16, 4
	v_mad_u64_u32 v[4:5], null, s16, 48, v[2:3]
	s_cselect_b32 s11, s7, 0
	s_cselect_b32 s10, s6, 0x10000
	s_delay_alu instid0(VALU_DEP_2) | instskip(NEXT) | instid1(VALU_DEP_1)
	v_add_co_u32 v22, s0, s14, v6
	v_add_co_ci_u32_e64 v23, null, s15, 0, s0
	v_add_co_u32 v26, s0, s12, v6
	s_delay_alu instid0(VALU_DEP_1)
	v_add_co_ci_u32_e64 v27, null, s13, 0, s0
	s_lshl_b32 s0, s16, 5
	v_add_co_u32 v24, vcc_lo, s12, v4
	v_add_co_u32 v2, s0, v2, s0
	v_add_co_ci_u32_e32 v25, vcc_lo, s13, v5, vcc_lo
	v_add_co_ci_u32_e64 v3, null, 0, 0, s0
	v_add_co_u32 v28, vcc_lo, s14, v4
	v_add_co_ci_u32_e32 v29, vcc_lo, s15, v5, vcc_lo
	v_add_co_u32 v30, vcc_lo, s12, v2
	s_delay_alu instid0(VALU_DEP_4)
	v_add_co_ci_u32_e32 v31, vcc_lo, s13, v3, vcc_lo
	v_add_co_u32 v32, vcc_lo, s14, v2
	v_add_co_ci_u32_e32 v33, vcc_lo, s15, v3, vcc_lo
	s_lshl_b32 s8, s16, 2
	s_lshl_b32 s17, s16, 1
	s_mul_i32 s18, s16, 3
	s_lshl_b32 s14, s16, 6
	s_mov_b64 s[12:13], s[8:9]
	s_branch .LBB313_9
.LBB313_8:                              ;   in Loop: Header=BB313_9 Depth=1
	s_or_b32 exec_lo, exec_lo, s0
	v_add_co_u32 v0, vcc_lo, v0, s8
	v_add_co_ci_u32_e32 v1, vcc_lo, 0, v1, vcc_lo
	v_add_co_u32 v18, vcc_lo, v18, s14
	v_add_co_ci_u32_e32 v19, vcc_lo, 0, v19, vcc_lo
	;; [unrolled: 2-line block ×7, first 2 shown]
	v_cmp_ge_i64_e64 s0, s[12:13], s[6:7]
	v_cmp_lt_u64_e64 s1, 0xffff, s[12:13]
	v_add_co_u32 v30, vcc_lo, v30, s14
	v_add_co_ci_u32_e32 v31, vcc_lo, 0, v31, vcc_lo
	v_add_co_u32 v32, vcc_lo, v32, s14
	v_add_co_ci_u32_e32 v33, vcc_lo, 0, v33, vcc_lo
	s_or_b32 s0, s0, s1
	s_add_u32 s12, s12, s8
	s_addc_u32 s13, s13, 0
	s_and_b32 vcc_lo, exec_lo, s0
	s_cbranch_vccnz .LBB313_25
.LBB313_9:                              ; =>This Inner Loop Header: Depth=1
	s_waitcnt vmcnt(0)
	v_mov_b32_e32 v4, 0
	v_mov_b32_e32 v5, 0
	v_cmp_gt_u64_e32 vcc_lo, s[10:11], v[0:1]
	s_delay_alu instid0(VALU_DEP_2)
	v_dual_mov_b32 v13, v5 :: v_dual_mov_b32 v12, v4
	v_dual_mov_b32 v11, v5 :: v_dual_mov_b32 v10, v4
	s_and_saveexec_b32 s1, vcc_lo
	s_cbranch_execz .LBB313_11
; %bb.10:                               ;   in Loop: Header=BB313_9 Depth=1
	v_add_co_u32 v2, s0, v18, s4
	s_delay_alu instid0(VALU_DEP_1)
	v_add_co_ci_u32_e64 v3, s0, s5, v19, s0
	global_load_b128 v[10:13], v[2:3], off offset:-8
.LBB313_11:                             ;   in Loop: Header=BB313_9 Depth=1
	s_or_b32 exec_lo, exec_lo, s1
	v_add_co_u32 v2, s0, s16, v0
	s_delay_alu instid0(VALU_DEP_1) | instskip(NEXT) | instid1(VALU_DEP_1)
	v_add_co_ci_u32_e64 v3, s0, 0, v1, s0
	v_cmp_gt_u64_e64 s0, s[10:11], v[2:3]
	v_dual_mov_b32 v2, v4 :: v_dual_mov_b32 v3, v5
	s_delay_alu instid0(VALU_DEP_2)
	s_and_saveexec_b32 s2, s0
	s_cbranch_execz .LBB313_13
; %bb.12:                               ;   in Loop: Header=BB313_9 Depth=1
	v_add_co_u32 v2, s1, v26, s4
	s_delay_alu instid0(VALU_DEP_1)
	v_add_co_ci_u32_e64 v3, s1, s5, v27, s1
	global_load_b128 v[2:5], v[2:3], off
.LBB313_13:                             ;   in Loop: Header=BB313_9 Depth=1
	s_or_b32 exec_lo, exec_lo, s2
	v_add_co_u32 v6, s1, s17, v0
	s_delay_alu instid0(VALU_DEP_1) | instskip(SKIP_2) | instid1(VALU_DEP_3)
	v_add_co_ci_u32_e64 v7, s1, 0, v1, s1
	v_mov_b32_e32 v8, 0
	v_mov_b32_e32 v9, 0
	v_cmp_gt_u64_e64 s1, s[10:11], v[6:7]
	s_delay_alu instid0(VALU_DEP_2) | instskip(SKIP_1) | instid1(VALU_DEP_3)
	v_dual_mov_b32 v17, v9 :: v_dual_mov_b32 v16, v8
	v_dual_mov_b32 v15, v9 :: v_dual_mov_b32 v14, v8
	s_and_saveexec_b32 s3, s1
	s_cbranch_execz .LBB313_15
; %bb.14:                               ;   in Loop: Header=BB313_9 Depth=1
	v_add_co_u32 v6, s2, v30, s4
	s_delay_alu instid0(VALU_DEP_1)
	v_add_co_ci_u32_e64 v7, s2, s5, v31, s2
	global_load_b128 v[14:17], v[6:7], off offset:-8
.LBB313_15:                             ;   in Loop: Header=BB313_9 Depth=1
	s_or_b32 exec_lo, exec_lo, s3
	v_add_co_u32 v6, s2, s18, v0
	s_delay_alu instid0(VALU_DEP_1) | instskip(NEXT) | instid1(VALU_DEP_1)
	v_add_co_ci_u32_e64 v7, s2, 0, v1, s2
	v_cmp_gt_u64_e64 s2, s[10:11], v[6:7]
	v_dual_mov_b32 v6, v8 :: v_dual_mov_b32 v7, v9
	s_delay_alu instid0(VALU_DEP_2)
	s_and_saveexec_b32 s9, s2
	s_cbranch_execnz .LBB313_20
; %bb.16:                               ;   in Loop: Header=BB313_9 Depth=1
	s_or_b32 exec_lo, exec_lo, s9
	s_and_saveexec_b32 s3, vcc_lo
	s_cbranch_execnz .LBB313_21
.LBB313_17:                             ;   in Loop: Header=BB313_9 Depth=1
	s_or_b32 exec_lo, exec_lo, s3
	s_and_saveexec_b32 s3, s0
	s_cbranch_execnz .LBB313_22
.LBB313_18:                             ;   in Loop: Header=BB313_9 Depth=1
	s_or_b32 exec_lo, exec_lo, s3
	s_and_saveexec_b32 s0, s1
	s_cbranch_execnz .LBB313_23
.LBB313_19:                             ;   in Loop: Header=BB313_9 Depth=1
	s_or_b32 exec_lo, exec_lo, s0
	s_and_saveexec_b32 s0, s2
	s_cbranch_execz .LBB313_8
	s_branch .LBB313_24
.LBB313_20:                             ;   in Loop: Header=BB313_9 Depth=1
	v_add_co_u32 v6, s3, v24, s4
	s_delay_alu instid0(VALU_DEP_1)
	v_add_co_ci_u32_e64 v7, s3, s5, v25, s3
	global_load_b128 v[6:9], v[6:7], off offset:-8
	s_or_b32 exec_lo, exec_lo, s9
	s_and_saveexec_b32 s3, vcc_lo
	s_cbranch_execz .LBB313_17
.LBB313_21:                             ;   in Loop: Header=BB313_9 Depth=1
	v_add_co_u32 v34, vcc_lo, v20, s4
	v_add_co_ci_u32_e32 v35, vcc_lo, s5, v21, vcc_lo
	s_waitcnt vmcnt(0)
	v_xor_b32_e32 v11, 0x80000000, v11
	v_xor_b32_e32 v13, 0x80000000, v13
	global_store_b128 v[34:35], v[10:13], off offset:-8
	s_or_b32 exec_lo, exec_lo, s3
	s_and_saveexec_b32 s3, s0
	s_cbranch_execz .LBB313_18
.LBB313_22:                             ;   in Loop: Header=BB313_9 Depth=1
	s_waitcnt vmcnt(0)
	v_add_co_u32 v10, vcc_lo, v22, s4
	v_xor_b32_e32 v3, 0x80000000, v3
	v_xor_b32_e32 v5, 0x80000000, v5
	v_add_co_ci_u32_e32 v11, vcc_lo, s5, v23, vcc_lo
	global_store_b128 v[10:11], v[2:5], off
	s_or_b32 exec_lo, exec_lo, s3
	s_and_saveexec_b32 s0, s1
	s_cbranch_execz .LBB313_19
.LBB313_23:                             ;   in Loop: Header=BB313_9 Depth=1
	s_waitcnt vmcnt(0)
	v_add_co_u32 v2, vcc_lo, v32, s4
	v_xor_b32_e32 v15, 0x80000000, v15
	v_xor_b32_e32 v17, 0x80000000, v17
	v_add_co_ci_u32_e32 v3, vcc_lo, s5, v33, vcc_lo
	global_store_b128 v[2:3], v[14:17], off offset:-8
	s_or_b32 exec_lo, exec_lo, s0
	s_and_saveexec_b32 s0, s2
	s_cbranch_execz .LBB313_8
.LBB313_24:                             ;   in Loop: Header=BB313_9 Depth=1
	s_waitcnt vmcnt(0)
	v_add_co_u32 v2, vcc_lo, v28, s4
	v_xor_b32_e32 v7, 0x80000000, v7
	v_xor_b32_e32 v9, 0x80000000, v9
	v_add_co_ci_u32_e32 v3, vcc_lo, s5, v29, vcc_lo
	global_store_b128 v[2:3], v[6:9], off offset:-8
	s_branch .LBB313_8
.LBB313_25:
	s_nop 0
	s_sendmsg sendmsg(MSG_DEALLOC_VGPRS)
	s_endpgm
	.section	.rodata,"a",@progbits
	.p2align	6, 0x0
	.amdhsa_kernel _ZN2at6native12_GLOBAL__N_125multi_tensor_apply_kernelINS1_18TensorListMetadataILi2EEENS1_14UnaryOpFunctorIN3c107complexIdEELi2ELi1ELi1EEEJSt6negateIS8_EEEEvT_T0_DpT1_
		.amdhsa_group_segment_fixed_size 0
		.amdhsa_private_segment_fixed_size 0
		.amdhsa_kernarg_size 3408
		.amdhsa_user_sgpr_count 15
		.amdhsa_user_sgpr_dispatch_ptr 0
		.amdhsa_user_sgpr_queue_ptr 0
		.amdhsa_user_sgpr_kernarg_segment_ptr 1
		.amdhsa_user_sgpr_dispatch_id 0
		.amdhsa_user_sgpr_private_segment_size 0
		.amdhsa_wavefront_size32 1
		.amdhsa_uses_dynamic_stack 0
		.amdhsa_enable_private_segment 0
		.amdhsa_system_sgpr_workgroup_id_x 1
		.amdhsa_system_sgpr_workgroup_id_y 0
		.amdhsa_system_sgpr_workgroup_id_z 0
		.amdhsa_system_sgpr_workgroup_info 0
		.amdhsa_system_vgpr_workitem_id 0
		.amdhsa_next_free_vgpr 36
		.amdhsa_next_free_sgpr 22
		.amdhsa_reserve_vcc 1
		.amdhsa_float_round_mode_32 0
		.amdhsa_float_round_mode_16_64 0
		.amdhsa_float_denorm_mode_32 3
		.amdhsa_float_denorm_mode_16_64 3
		.amdhsa_dx10_clamp 1
		.amdhsa_ieee_mode 1
		.amdhsa_fp16_overflow 0
		.amdhsa_workgroup_processor_mode 1
		.amdhsa_memory_ordered 1
		.amdhsa_forward_progress 0
		.amdhsa_shared_vgpr_count 0
		.amdhsa_exception_fp_ieee_invalid_op 0
		.amdhsa_exception_fp_denorm_src 0
		.amdhsa_exception_fp_ieee_div_zero 0
		.amdhsa_exception_fp_ieee_overflow 0
		.amdhsa_exception_fp_ieee_underflow 0
		.amdhsa_exception_fp_ieee_inexact 0
		.amdhsa_exception_int_div_zero 0
	.end_amdhsa_kernel
	.section	.text._ZN2at6native12_GLOBAL__N_125multi_tensor_apply_kernelINS1_18TensorListMetadataILi2EEENS1_14UnaryOpFunctorIN3c107complexIdEELi2ELi1ELi1EEEJSt6negateIS8_EEEEvT_T0_DpT1_,"axG",@progbits,_ZN2at6native12_GLOBAL__N_125multi_tensor_apply_kernelINS1_18TensorListMetadataILi2EEENS1_14UnaryOpFunctorIN3c107complexIdEELi2ELi1ELi1EEEJSt6negateIS8_EEEEvT_T0_DpT1_,comdat
.Lfunc_end313:
	.size	_ZN2at6native12_GLOBAL__N_125multi_tensor_apply_kernelINS1_18TensorListMetadataILi2EEENS1_14UnaryOpFunctorIN3c107complexIdEELi2ELi1ELi1EEEJSt6negateIS8_EEEEvT_T0_DpT1_, .Lfunc_end313-_ZN2at6native12_GLOBAL__N_125multi_tensor_apply_kernelINS1_18TensorListMetadataILi2EEENS1_14UnaryOpFunctorIN3c107complexIdEELi2ELi1ELi1EEEJSt6negateIS8_EEEEvT_T0_DpT1_
                                        ; -- End function
	.section	.AMDGPU.csdata,"",@progbits
; Kernel info:
; codeLenInByte = 1568
; NumSgprs: 24
; NumVgprs: 36
; ScratchSize: 0
; MemoryBound: 1
; FloatMode: 240
; IeeeMode: 1
; LDSByteSize: 0 bytes/workgroup (compile time only)
; SGPRBlocks: 2
; VGPRBlocks: 4
; NumSGPRsForWavesPerEU: 24
; NumVGPRsForWavesPerEU: 36
; Occupancy: 16
; WaveLimiterHint : 0
; COMPUTE_PGM_RSRC2:SCRATCH_EN: 0
; COMPUTE_PGM_RSRC2:USER_SGPR: 15
; COMPUTE_PGM_RSRC2:TRAP_HANDLER: 0
; COMPUTE_PGM_RSRC2:TGID_X_EN: 1
; COMPUTE_PGM_RSRC2:TGID_Y_EN: 0
; COMPUTE_PGM_RSRC2:TGID_Z_EN: 0
; COMPUTE_PGM_RSRC2:TIDIG_COMP_CNT: 0
	.section	.text._ZN2at6native12_GLOBAL__N_125multi_tensor_apply_kernelINS1_18TensorListMetadataILi2EEENS1_14UnaryOpFunctorIN3c107complexIfEELi2ELi1ELi1EEEJSt6negateIS8_EEEEvT_T0_DpT1_,"axG",@progbits,_ZN2at6native12_GLOBAL__N_125multi_tensor_apply_kernelINS1_18TensorListMetadataILi2EEENS1_14UnaryOpFunctorIN3c107complexIfEELi2ELi1ELi1EEEJSt6negateIS8_EEEEvT_T0_DpT1_,comdat
	.globl	_ZN2at6native12_GLOBAL__N_125multi_tensor_apply_kernelINS1_18TensorListMetadataILi2EEENS1_14UnaryOpFunctorIN3c107complexIfEELi2ELi1ELi1EEEJSt6negateIS8_EEEEvT_T0_DpT1_ ; -- Begin function _ZN2at6native12_GLOBAL__N_125multi_tensor_apply_kernelINS1_18TensorListMetadataILi2EEENS1_14UnaryOpFunctorIN3c107complexIfEELi2ELi1ELi1EEEJSt6negateIS8_EEEEvT_T0_DpT1_
	.p2align	8
	.type	_ZN2at6native12_GLOBAL__N_125multi_tensor_apply_kernelINS1_18TensorListMetadataILi2EEENS1_14UnaryOpFunctorIN3c107complexIfEELi2ELi1ELi1EEEJSt6negateIS8_EEEEvT_T0_DpT1_,@function
_ZN2at6native12_GLOBAL__N_125multi_tensor_apply_kernelINS1_18TensorListMetadataILi2EEENS1_14UnaryOpFunctorIN3c107complexIfEELi2ELi1ELi1EEEJSt6negateIS8_EEEEvT_T0_DpT1_: ; @_ZN2at6native12_GLOBAL__N_125multi_tensor_apply_kernelINS1_18TensorListMetadataILi2EEENS1_14UnaryOpFunctorIN3c107complexIfEELi2ELi1ELi1EEEJSt6negateIS8_EEEEvT_T0_DpT1_
; %bb.0:
	v_mov_b32_e32 v1, s15
	s_add_u32 s2, s0, s15
	s_mul_hi_u32 s3, s15, 3
	s_mul_i32 s15, s15, 3
	s_addc_u32 s4, s1, 0
	global_load_u8 v1, v1, s[0:1] offset:1536
	s_add_u32 s2, s2, s15
	s_addc_u32 s3, s4, s3
	s_mov_b32 s17, 0
	s_load_b32 s2, s[2:3], 0x740
	s_mov_b32 s19, s17
	s_mov_b32 s21, s17
	s_waitcnt vmcnt(0)
	v_readfirstlane_b32 s5, v1
	s_delay_alu instid0(VALU_DEP_1)
	s_lshl_b32 s3, s5, 3
	s_clause 0x2
	s_load_b64 s[12:13], s[0:1], s3 offset:0x0
	s_load_b64 s[14:15], s[0:1], s3 offset:0x200
	;; [unrolled: 1-line block ×3, first 2 shown]
	s_waitcnt lgkmcnt(0)
	s_ashr_i32 s3, s2, 31
	s_delay_alu instid0(SALU_CYCLE_1) | instskip(NEXT) | instid1(SALU_CYCLE_1)
	s_lshl_b64 s[4:5], s[2:3], 19
	s_add_u32 s8, s12, s4
	s_addc_u32 s9, s13, s5
	s_add_u32 s10, s14, s4
	s_addc_u32 s11, s15, s5
	s_and_b32 s18, s8, 31
	s_and_b32 s20, s6, 3
	;; [unrolled: 1-line block ×3, first 2 shown]
	s_or_b64 s[18:19], s[18:19], s[20:21]
	s_lshl_b64 s[2:3], s[2:3], 16
	s_or_b64 s[16:17], s[16:17], s[18:19]
	s_sub_u32 s6, s6, s2
	s_subb_u32 s7, s7, s3
	s_cmp_eq_u64 s[16:17], 0
	s_mov_b32 s2, -1
	s_cbranch_scc0 .LBB314_5
; %bb.1:
	v_dual_mov_b32 v2, 0 :: v_dual_lshlrev_b32 v1, 2, v0
	s_mov_b32 s16, exec_lo
	s_delay_alu instid0(VALU_DEP_1)
	v_cmpx_gt_i64_e64 s[6:7], v[1:2]
	s_cbranch_execz .LBB314_4
; %bb.2:
	s_load_b32 s2, s[0:1], 0xc5c
	v_lshlrev_b32_e32 v3, 5, v0
	s_mov_b32 s17, 0
	s_waitcnt lgkmcnt(0)
	s_and_b32 s2, s2, 0xffff
	s_delay_alu instid0(SALU_CYCLE_1)
	v_add_lshl_u32 v1, v0, s2, 2
	s_lshl_b32 s18, s2, 2
	s_lshl_b32 s19, s2, 5
.LBB314_3:                              ; =>This Inner Loop Header: Depth=1
	v_add_co_u32 v8, s2, s8, v3
	s_delay_alu instid0(VALU_DEP_1)
	v_add_co_ci_u32_e64 v9, null, s9, 0, s2
	v_cmp_le_i64_e32 vcc_lo, s[6:7], v[1:2]
	v_cmp_lt_u64_e64 s2, 0xffff, v[1:2]
	v_add_co_u32 v12, s3, s10, v3
	s_clause 0x1
	global_load_b128 v[4:7], v[8:9], off
	global_load_b128 v[8:11], v[8:9], off offset:16
	v_add_co_ci_u32_e64 v13, null, s11, 0, s3
	s_or_b32 s2, vcc_lo, s2
	s_add_u32 s8, s8, s19
	v_add_co_u32 v1, s3, v1, s18
	s_addc_u32 s9, s9, 0
	s_add_u32 s10, s10, s19
	v_add_co_ci_u32_e64 v2, s3, 0, v2, s3
	s_addc_u32 s11, s11, 0
	s_and_b32 s2, exec_lo, s2
	s_delay_alu instid0(SALU_CYCLE_1)
	s_or_b32 s17, s2, s17
	s_waitcnt vmcnt(1)
	v_xor_b32_e32 v4, 0x80000000, v4
	v_xor_b32_e32 v5, 0x80000000, v5
	;; [unrolled: 1-line block ×4, first 2 shown]
	s_waitcnt vmcnt(0)
	v_xor_b32_e32 v8, 0x80000000, v8
	v_xor_b32_e32 v9, 0x80000000, v9
	;; [unrolled: 1-line block ×4, first 2 shown]
	s_clause 0x1
	global_store_b128 v[12:13], v[4:7], off
	global_store_b128 v[12:13], v[8:11], off offset:16
	s_and_not1_b32 exec_lo, exec_lo, s17
	s_cbranch_execnz .LBB314_3
.LBB314_4:
	s_or_b32 exec_lo, exec_lo, s16
	s_mov_b32 s2, 0
.LBB314_5:
	s_delay_alu instid0(SALU_CYCLE_1)
	s_and_not1_b32 vcc_lo, exec_lo, s2
	s_cbranch_vccnz .LBB314_25
; %bb.6:
	v_cmp_lt_i64_e64 s2, s[6:7], 1
	s_delay_alu instid0(VALU_DEP_1)
	s_and_b32 vcc_lo, exec_lo, s2
	s_cbranch_vccnz .LBB314_25
; %bb.7:
	s_load_b32 s0, s[0:1], 0xc5c
	v_mov_b32_e32 v1, 0
	v_lshl_or_b32 v2, v0, 3, 4
	v_cmp_gt_u64_e64 s1, 0x10000, s[6:7]
	s_mov_b32 s9, 0
	s_delay_alu instid0(VALU_DEP_3) | instskip(NEXT) | instid1(VALU_DEP_3)
	v_mov_b32_e32 v3, v1
	v_add_co_u32 v10, s2, s12, v2
	s_delay_alu instid0(VALU_DEP_1) | instskip(SKIP_1) | instid1(VALU_DEP_1)
	v_add_co_ci_u32_e64 v11, null, s13, 0, s2
	v_add_co_u32 v12, s2, s14, v2
	v_add_co_ci_u32_e64 v13, null, s15, 0, s2
	s_waitcnt lgkmcnt(0)
	s_and_b32 s16, s0, 0xffff
	s_and_b32 s0, s1, exec_lo
	v_add_lshl_u32 v6, v0, s16, 3
	v_mad_u64_u32 v[4:5], null, s16, 24, v[2:3]
	s_cselect_b32 s11, s7, 0
	s_cselect_b32 s10, s6, 0x10000
	s_delay_alu instid0(VALU_DEP_2) | instskip(NEXT) | instid1(VALU_DEP_1)
	v_add_co_u32 v14, s0, s14, v6
	v_add_co_ci_u32_e64 v15, null, s15, 0, s0
	v_add_co_u32 v18, s0, s12, v6
	s_delay_alu instid0(VALU_DEP_1)
	v_add_co_ci_u32_e64 v19, null, s13, 0, s0
	s_lshl_b32 s0, s16, 4
	v_add_co_u32 v16, vcc_lo, s12, v4
	v_add_co_u32 v2, s0, v2, s0
	v_add_co_ci_u32_e32 v17, vcc_lo, s13, v5, vcc_lo
	v_add_co_ci_u32_e64 v3, null, 0, 0, s0
	v_add_co_u32 v20, vcc_lo, s14, v4
	v_add_co_ci_u32_e32 v21, vcc_lo, s15, v5, vcc_lo
	v_add_co_u32 v22, vcc_lo, s12, v2
	s_delay_alu instid0(VALU_DEP_4)
	v_add_co_ci_u32_e32 v23, vcc_lo, s13, v3, vcc_lo
	v_add_co_u32 v24, vcc_lo, s14, v2
	v_add_co_ci_u32_e32 v25, vcc_lo, s15, v3, vcc_lo
	s_lshl_b32 s8, s16, 2
	s_lshl_b32 s17, s16, 1
	s_mul_i32 s18, s16, 3
	s_lshl_b32 s14, s16, 5
	s_mov_b64 s[12:13], s[8:9]
	s_branch .LBB314_9
.LBB314_8:                              ;   in Loop: Header=BB314_9 Depth=1
	s_or_b32 exec_lo, exec_lo, s0
	v_add_co_u32 v0, vcc_lo, v0, s8
	v_add_co_ci_u32_e32 v1, vcc_lo, 0, v1, vcc_lo
	v_add_co_u32 v10, vcc_lo, v10, s14
	v_add_co_ci_u32_e32 v11, vcc_lo, 0, v11, vcc_lo
	;; [unrolled: 2-line block ×7, first 2 shown]
	v_cmp_ge_i64_e64 s0, s[12:13], s[6:7]
	v_cmp_lt_u64_e64 s1, 0xffff, s[12:13]
	v_add_co_u32 v22, vcc_lo, v22, s14
	v_add_co_ci_u32_e32 v23, vcc_lo, 0, v23, vcc_lo
	v_add_co_u32 v24, vcc_lo, v24, s14
	v_add_co_ci_u32_e32 v25, vcc_lo, 0, v25, vcc_lo
	s_or_b32 s0, s0, s1
	s_add_u32 s12, s12, s8
	s_addc_u32 s13, s13, 0
	s_and_b32 vcc_lo, exec_lo, s0
	s_cbranch_vccnz .LBB314_25
.LBB314_9:                              ; =>This Inner Loop Header: Depth=1
	v_cmp_gt_u64_e32 vcc_lo, s[10:11], v[0:1]
	s_waitcnt vmcnt(0)
	v_dual_mov_b32 v5, 0 :: v_dual_mov_b32 v4, 0
	s_and_saveexec_b32 s1, vcc_lo
	s_cbranch_execz .LBB314_11
; %bb.10:                               ;   in Loop: Header=BB314_9 Depth=1
	v_add_co_u32 v2, s0, v10, s4
	s_delay_alu instid0(VALU_DEP_1)
	v_add_co_ci_u32_e64 v3, s0, s5, v11, s0
	global_load_b64 v[4:5], v[2:3], off offset:-4
.LBB314_11:                             ;   in Loop: Header=BB314_9 Depth=1
	s_or_b32 exec_lo, exec_lo, s1
	v_add_co_u32 v6, s0, s16, v0
	s_delay_alu instid0(VALU_DEP_1) | instskip(SKIP_1) | instid1(VALU_DEP_2)
	v_add_co_ci_u32_e64 v7, s0, 0, v1, s0
	v_mov_b32_e32 v3, 0
	v_cmp_gt_u64_e64 s0, s[10:11], v[6:7]
	v_dual_mov_b32 v6, 0 :: v_dual_mov_b32 v7, 0
	s_delay_alu instid0(VALU_DEP_2)
	s_and_saveexec_b32 s2, s0
	s_cbranch_execz .LBB314_13
; %bb.12:                               ;   in Loop: Header=BB314_9 Depth=1
	v_add_co_u32 v6, s1, v18, s4
	s_delay_alu instid0(VALU_DEP_1)
	v_add_co_ci_u32_e64 v7, s1, s5, v19, s1
	global_load_b64 v[6:7], v[6:7], off
.LBB314_13:                             ;   in Loop: Header=BB314_9 Depth=1
	s_or_b32 exec_lo, exec_lo, s2
	v_add_co_u32 v8, s1, s17, v0
	s_delay_alu instid0(VALU_DEP_1) | instskip(SKIP_1) | instid1(VALU_DEP_2)
	v_add_co_ci_u32_e64 v9, s1, 0, v1, s1
	v_mov_b32_e32 v2, 0
	v_cmp_gt_u64_e64 s1, s[10:11], v[8:9]
	s_delay_alu instid0(VALU_DEP_1)
	s_and_saveexec_b32 s3, s1
	s_cbranch_execz .LBB314_15
; %bb.14:                               ;   in Loop: Header=BB314_9 Depth=1
	v_add_co_u32 v2, s2, v22, s4
	s_delay_alu instid0(VALU_DEP_1)
	v_add_co_ci_u32_e64 v3, s2, s5, v23, s2
	global_load_b64 v[2:3], v[2:3], off offset:-4
.LBB314_15:                             ;   in Loop: Header=BB314_9 Depth=1
	s_or_b32 exec_lo, exec_lo, s3
	v_add_co_u32 v8, s2, s18, v0
	s_delay_alu instid0(VALU_DEP_1) | instskip(NEXT) | instid1(VALU_DEP_1)
	v_add_co_ci_u32_e64 v9, s2, 0, v1, s2
	v_cmp_gt_u64_e64 s2, s[10:11], v[8:9]
	v_dual_mov_b32 v9, 0 :: v_dual_mov_b32 v8, 0
	s_delay_alu instid0(VALU_DEP_2)
	s_and_saveexec_b32 s9, s2
	s_cbranch_execnz .LBB314_20
; %bb.16:                               ;   in Loop: Header=BB314_9 Depth=1
	s_or_b32 exec_lo, exec_lo, s9
	s_and_saveexec_b32 s3, vcc_lo
	s_cbranch_execnz .LBB314_21
.LBB314_17:                             ;   in Loop: Header=BB314_9 Depth=1
	s_or_b32 exec_lo, exec_lo, s3
	s_and_saveexec_b32 s3, s0
	s_cbranch_execnz .LBB314_22
.LBB314_18:                             ;   in Loop: Header=BB314_9 Depth=1
	s_or_b32 exec_lo, exec_lo, s3
	s_and_saveexec_b32 s0, s1
	s_cbranch_execnz .LBB314_23
.LBB314_19:                             ;   in Loop: Header=BB314_9 Depth=1
	s_or_b32 exec_lo, exec_lo, s0
	s_and_saveexec_b32 s0, s2
	s_cbranch_execz .LBB314_8
	s_branch .LBB314_24
.LBB314_20:                             ;   in Loop: Header=BB314_9 Depth=1
	v_add_co_u32 v8, s3, v16, s4
	s_delay_alu instid0(VALU_DEP_1)
	v_add_co_ci_u32_e64 v9, s3, s5, v17, s3
	global_load_b64 v[8:9], v[8:9], off offset:-4
	s_or_b32 exec_lo, exec_lo, s9
	s_and_saveexec_b32 s3, vcc_lo
	s_cbranch_execz .LBB314_17
.LBB314_21:                             ;   in Loop: Header=BB314_9 Depth=1
	v_add_co_u32 v26, vcc_lo, v12, s4
	v_add_co_ci_u32_e32 v27, vcc_lo, s5, v13, vcc_lo
	s_waitcnt vmcnt(0)
	v_xor_b32_e32 v4, 0x80000000, v4
	v_xor_b32_e32 v5, 0x80000000, v5
	global_store_b64 v[26:27], v[4:5], off offset:-4
	s_or_b32 exec_lo, exec_lo, s3
	s_and_saveexec_b32 s3, s0
	s_cbranch_execz .LBB314_18
.LBB314_22:                             ;   in Loop: Header=BB314_9 Depth=1
	s_waitcnt vmcnt(0)
	v_xor_b32_e32 v4, 0x80000000, v6
	v_add_co_u32 v6, vcc_lo, v14, s4
	v_xor_b32_e32 v5, 0x80000000, v7
	v_add_co_ci_u32_e32 v7, vcc_lo, s5, v15, vcc_lo
	global_store_b64 v[6:7], v[4:5], off
	s_or_b32 exec_lo, exec_lo, s3
	s_and_saveexec_b32 s0, s1
	s_cbranch_execz .LBB314_19
.LBB314_23:                             ;   in Loop: Header=BB314_9 Depth=1
	s_waitcnt vmcnt(0)
	v_add_co_u32 v4, vcc_lo, v24, s4
	v_xor_b32_e32 v2, 0x80000000, v2
	v_xor_b32_e32 v3, 0x80000000, v3
	v_add_co_ci_u32_e32 v5, vcc_lo, s5, v25, vcc_lo
	global_store_b64 v[4:5], v[2:3], off offset:-4
	s_or_b32 exec_lo, exec_lo, s0
	s_and_saveexec_b32 s0, s2
	s_cbranch_execz .LBB314_8
.LBB314_24:                             ;   in Loop: Header=BB314_9 Depth=1
	s_waitcnt vmcnt(0)
	v_add_co_u32 v4, vcc_lo, v20, s4
	v_xor_b32_e32 v2, 0x80000000, v8
	v_xor_b32_e32 v3, 0x80000000, v9
	v_add_co_ci_u32_e32 v5, vcc_lo, s5, v21, vcc_lo
	global_store_b64 v[4:5], v[2:3], off offset:-4
	s_branch .LBB314_8
.LBB314_25:
	s_nop 0
	s_sendmsg sendmsg(MSG_DEALLOC_VGPRS)
	s_endpgm
	.section	.rodata,"a",@progbits
	.p2align	6, 0x0
	.amdhsa_kernel _ZN2at6native12_GLOBAL__N_125multi_tensor_apply_kernelINS1_18TensorListMetadataILi2EEENS1_14UnaryOpFunctorIN3c107complexIfEELi2ELi1ELi1EEEJSt6negateIS8_EEEEvT_T0_DpT1_
		.amdhsa_group_segment_fixed_size 0
		.amdhsa_private_segment_fixed_size 0
		.amdhsa_kernarg_size 3408
		.amdhsa_user_sgpr_count 15
		.amdhsa_user_sgpr_dispatch_ptr 0
		.amdhsa_user_sgpr_queue_ptr 0
		.amdhsa_user_sgpr_kernarg_segment_ptr 1
		.amdhsa_user_sgpr_dispatch_id 0
		.amdhsa_user_sgpr_private_segment_size 0
		.amdhsa_wavefront_size32 1
		.amdhsa_uses_dynamic_stack 0
		.amdhsa_enable_private_segment 0
		.amdhsa_system_sgpr_workgroup_id_x 1
		.amdhsa_system_sgpr_workgroup_id_y 0
		.amdhsa_system_sgpr_workgroup_id_z 0
		.amdhsa_system_sgpr_workgroup_info 0
		.amdhsa_system_vgpr_workitem_id 0
		.amdhsa_next_free_vgpr 28
		.amdhsa_next_free_sgpr 22
		.amdhsa_reserve_vcc 1
		.amdhsa_float_round_mode_32 0
		.amdhsa_float_round_mode_16_64 0
		.amdhsa_float_denorm_mode_32 3
		.amdhsa_float_denorm_mode_16_64 3
		.amdhsa_dx10_clamp 1
		.amdhsa_ieee_mode 1
		.amdhsa_fp16_overflow 0
		.amdhsa_workgroup_processor_mode 1
		.amdhsa_memory_ordered 1
		.amdhsa_forward_progress 0
		.amdhsa_shared_vgpr_count 0
		.amdhsa_exception_fp_ieee_invalid_op 0
		.amdhsa_exception_fp_denorm_src 0
		.amdhsa_exception_fp_ieee_div_zero 0
		.amdhsa_exception_fp_ieee_overflow 0
		.amdhsa_exception_fp_ieee_underflow 0
		.amdhsa_exception_fp_ieee_inexact 0
		.amdhsa_exception_int_div_zero 0
	.end_amdhsa_kernel
	.section	.text._ZN2at6native12_GLOBAL__N_125multi_tensor_apply_kernelINS1_18TensorListMetadataILi2EEENS1_14UnaryOpFunctorIN3c107complexIfEELi2ELi1ELi1EEEJSt6negateIS8_EEEEvT_T0_DpT1_,"axG",@progbits,_ZN2at6native12_GLOBAL__N_125multi_tensor_apply_kernelINS1_18TensorListMetadataILi2EEENS1_14UnaryOpFunctorIN3c107complexIfEELi2ELi1ELi1EEEJSt6negateIS8_EEEEvT_T0_DpT1_,comdat
.Lfunc_end314:
	.size	_ZN2at6native12_GLOBAL__N_125multi_tensor_apply_kernelINS1_18TensorListMetadataILi2EEENS1_14UnaryOpFunctorIN3c107complexIfEELi2ELi1ELi1EEEJSt6negateIS8_EEEEvT_T0_DpT1_, .Lfunc_end314-_ZN2at6native12_GLOBAL__N_125multi_tensor_apply_kernelINS1_18TensorListMetadataILi2EEENS1_14UnaryOpFunctorIN3c107complexIfEELi2ELi1ELi1EEEJSt6negateIS8_EEEEvT_T0_DpT1_
                                        ; -- End function
	.section	.AMDGPU.csdata,"",@progbits
; Kernel info:
; codeLenInByte = 1492
; NumSgprs: 24
; NumVgprs: 28
; ScratchSize: 0
; MemoryBound: 0
; FloatMode: 240
; IeeeMode: 1
; LDSByteSize: 0 bytes/workgroup (compile time only)
; SGPRBlocks: 2
; VGPRBlocks: 3
; NumSGPRsForWavesPerEU: 24
; NumVGPRsForWavesPerEU: 28
; Occupancy: 16
; WaveLimiterHint : 0
; COMPUTE_PGM_RSRC2:SCRATCH_EN: 0
; COMPUTE_PGM_RSRC2:USER_SGPR: 15
; COMPUTE_PGM_RSRC2:TRAP_HANDLER: 0
; COMPUTE_PGM_RSRC2:TGID_X_EN: 1
; COMPUTE_PGM_RSRC2:TGID_Y_EN: 0
; COMPUTE_PGM_RSRC2:TGID_Z_EN: 0
; COMPUTE_PGM_RSRC2:TIDIG_COMP_CNT: 0
	.section	.text._ZN2at6native12_GLOBAL__N_125multi_tensor_apply_kernelINS1_18TensorListMetadataILi2EEENS1_14UnaryOpFunctorIN3c104HalfELi2ELi1ELi1EEEJSt6negateIfEEEEvT_T0_DpT1_,"axG",@progbits,_ZN2at6native12_GLOBAL__N_125multi_tensor_apply_kernelINS1_18TensorListMetadataILi2EEENS1_14UnaryOpFunctorIN3c104HalfELi2ELi1ELi1EEEJSt6negateIfEEEEvT_T0_DpT1_,comdat
	.globl	_ZN2at6native12_GLOBAL__N_125multi_tensor_apply_kernelINS1_18TensorListMetadataILi2EEENS1_14UnaryOpFunctorIN3c104HalfELi2ELi1ELi1EEEJSt6negateIfEEEEvT_T0_DpT1_ ; -- Begin function _ZN2at6native12_GLOBAL__N_125multi_tensor_apply_kernelINS1_18TensorListMetadataILi2EEENS1_14UnaryOpFunctorIN3c104HalfELi2ELi1ELi1EEEJSt6negateIfEEEEvT_T0_DpT1_
	.p2align	8
	.type	_ZN2at6native12_GLOBAL__N_125multi_tensor_apply_kernelINS1_18TensorListMetadataILi2EEENS1_14UnaryOpFunctorIN3c104HalfELi2ELi1ELi1EEEJSt6negateIfEEEEvT_T0_DpT1_,@function
_ZN2at6native12_GLOBAL__N_125multi_tensor_apply_kernelINS1_18TensorListMetadataILi2EEENS1_14UnaryOpFunctorIN3c104HalfELi2ELi1ELi1EEEJSt6negateIfEEEEvT_T0_DpT1_: ; @_ZN2at6native12_GLOBAL__N_125multi_tensor_apply_kernelINS1_18TensorListMetadataILi2EEENS1_14UnaryOpFunctorIN3c104HalfELi2ELi1ELi1EEEJSt6negateIfEEEEvT_T0_DpT1_
; %bb.0:
	v_mov_b32_e32 v1, s15
	s_add_u32 s2, s0, s15
	s_mul_hi_u32 s3, s15, 3
	s_mul_i32 s15, s15, 3
	s_addc_u32 s4, s1, 0
	global_load_u8 v1, v1, s[0:1] offset:1536
	s_add_u32 s2, s2, s15
	s_addc_u32 s3, s4, s3
	s_mov_b32 s9, 0
	s_load_b32 s2, s[2:3], 0x740
	s_mov_b32 s17, s9
	s_mov_b32 s15, s9
	s_waitcnt vmcnt(0)
	v_readfirstlane_b32 s5, v1
	s_delay_alu instid0(VALU_DEP_1)
	s_lshl_b32 s3, s5, 3
	s_clause 0x2
	s_load_b64 s[10:11], s[0:1], s3 offset:0x0
	s_load_b64 s[12:13], s[0:1], s3 offset:0x200
	;; [unrolled: 1-line block ×3, first 2 shown]
	s_waitcnt lgkmcnt(0)
	s_ashr_i32 s3, s2, 31
	s_delay_alu instid0(SALU_CYCLE_1) | instskip(SKIP_4) | instid1(SALU_CYCLE_1)
	s_lshl_b64 s[4:5], s[2:3], 17
	s_lshl_b64 s[2:3], s[2:3], 16
	s_and_b32 s8, s10, 7
	s_and_b32 s14, s12, 7
	;; [unrolled: 1-line block ×3, first 2 shown]
	s_or_b64 s[8:9], s[8:9], s[16:17]
	s_delay_alu instid0(SALU_CYCLE_1)
	s_or_b64 s[8:9], s[14:15], s[8:9]
	s_sub_u32 s6, s6, s2
	s_subb_u32 s7, s7, s3
	s_cmp_eq_u64 s[8:9], 0
	s_mov_b32 s2, -1
	s_cbranch_scc0 .LBB315_5
; %bb.1:
	v_dual_mov_b32 v2, 0 :: v_dual_lshlrev_b32 v1, 2, v0
	s_mov_b32 s8, exec_lo
	s_delay_alu instid0(VALU_DEP_1)
	v_cmpx_gt_i64_e64 s[6:7], v[1:2]
	s_cbranch_execz .LBB315_4
; %bb.2:
	s_load_b32 s2, s[0:1], 0xc5c
	v_lshlrev_b32_e32 v1, 3, v0
	s_mov_b32 s9, 0
	s_delay_alu instid0(VALU_DEP_1) | instskip(NEXT) | instid1(VALU_DEP_1)
	v_add_co_u32 v3, s3, s4, v1
	v_add_co_ci_u32_e64 v4, null, s5, 0, s3
	s_delay_alu instid0(VALU_DEP_2) | instskip(NEXT) | instid1(VALU_DEP_2)
	v_add_co_u32 v3, vcc_lo, v3, 4
	v_add_co_ci_u32_e32 v4, vcc_lo, 0, v4, vcc_lo
	s_waitcnt lgkmcnt(0)
	s_and_b32 s2, s2, 0xffff
	s_delay_alu instid0(SALU_CYCLE_1)
	v_add_lshl_u32 v1, v0, s2, 2
	s_lshl_b32 s14, s2, 2
	s_lshl_b32 s15, s2, 3
	.p2align	6
.LBB315_3:                              ; =>This Inner Loop Header: Depth=1
	v_add_co_u32 v5, vcc_lo, s10, v3
	v_add_co_ci_u32_e32 v6, vcc_lo, s11, v4, vcc_lo
	v_add_co_u32 v7, vcc_lo, s12, v3
	v_add_co_ci_u32_e32 v8, vcc_lo, s13, v4, vcc_lo
	global_load_b64 v[5:6], v[5:6], off offset:-4
	v_cmp_le_i64_e32 vcc_lo, s[6:7], v[1:2]
	v_cmp_lt_u64_e64 s2, 0xffff, v[1:2]
	v_add_co_u32 v1, s3, v1, s14
	s_delay_alu instid0(VALU_DEP_1) | instskip(SKIP_1) | instid1(VALU_DEP_4)
	v_add_co_ci_u32_e64 v2, s3, 0, v2, s3
	v_add_co_u32 v3, s3, v3, s15
	s_or_b32 s2, vcc_lo, s2
	v_add_co_ci_u32_e64 v4, s3, 0, v4, s3
	s_and_b32 s2, exec_lo, s2
	s_delay_alu instid0(SALU_CYCLE_1)
	s_or_b32 s9, s2, s9
	s_waitcnt vmcnt(0)
	v_xor_b32_e32 v5, 0x80008000, v5
	v_xor_b32_e32 v6, 0x80008000, v6
	global_store_b64 v[7:8], v[5:6], off offset:-4
	s_and_not1_b32 exec_lo, exec_lo, s9
	s_cbranch_execnz .LBB315_3
.LBB315_4:
	s_or_b32 exec_lo, exec_lo, s8
	s_mov_b32 s2, 0
.LBB315_5:
	s_delay_alu instid0(SALU_CYCLE_1)
	s_and_not1_b32 vcc_lo, exec_lo, s2
	s_cbranch_vccnz .LBB315_25
; %bb.6:
	v_cmp_lt_i64_e64 s2, s[6:7], 1
	s_delay_alu instid0(VALU_DEP_1)
	s_and_b32 vcc_lo, exec_lo, s2
	s_cbranch_vccnz .LBB315_25
; %bb.7:
	s_load_b32 s0, s[0:1], 0xc5c
	v_dual_mov_b32 v10, 0 :: v_dual_lshlrev_b32 v9, 1, v0
	v_cmp_gt_u64_e64 s1, 0x10000, s[6:7]
	s_delay_alu instid0(VALU_DEP_2) | instskip(NEXT) | instid1(VALU_DEP_1)
	v_add_co_u32 v1, s2, s10, v9
	v_add_co_ci_u32_e64 v2, null, s11, 0, s2
	v_add_co_u32 v3, s2, s12, v9
	s_delay_alu instid0(VALU_DEP_1)
	v_add_co_ci_u32_e64 v4, null, s13, 0, s2
	s_waitcnt lgkmcnt(0)
	s_and_b32 s0, s0, 0xffff
	s_and_b32 s1, s1, exec_lo
	v_mad_u64_u32 v[7:8], null, s0, 6, v[9:10]
	s_cselect_b32 s9, s7, 0
	s_cselect_b32 s8, s6, 0x10000
	s_mul_i32 s2, s0, 3
	s_lshl_b32 s14, s0, 2
	s_lshl_b32 s1, s0, 1
	v_add_co_u32 v14, s3, s14, v9
	v_add_co_u32 v9, s2, s2, v0
	s_delay_alu instid0(VALU_DEP_1) | instskip(SKIP_3) | instid1(VALU_DEP_3)
	v_add_co_ci_u32_e64 v10, null, 0, 0, s2
	v_add_co_u32 v13, s2, v0, s0
	v_add_co_u32 v5, vcc_lo, s10, v7
	v_add_co_ci_u32_e32 v6, vcc_lo, s11, v8, vcc_lo
	v_lshlrev_b32_e32 v21, 1, v13
	v_add_co_u32 v7, vcc_lo, s12, v7
	v_add_co_ci_u32_e64 v15, null, 0, 0, s3
	v_add_co_ci_u32_e32 v8, vcc_lo, s13, v8, vcc_lo
	v_add_co_u32 v17, s1, s1, v0
	v_add_co_u32 v11, vcc_lo, s10, v14
	v_add_co_ci_u32_e64 v18, null, 0, 0, s1
	v_add_co_u32 v19, s1, s10, v21
	v_add_co_ci_u32_e32 v12, vcc_lo, s11, v15, vcc_lo
	v_add_co_u32 v14, vcc_lo, s12, v14
	v_add_co_ci_u32_e64 v20, null, s11, 0, s1
	v_add_co_u32 v21, s1, s12, v21
	v_add_co_ci_u32_e32 v15, vcc_lo, s13, v15, vcc_lo
	v_add_co_ci_u32_e64 v16, null, 0, 0, s2
	v_add_co_ci_u32_e64 v22, null, s13, 0, s1
	s_lshl_b32 s12, s0, 3
	s_mov_b64 s[10:11], 0
	s_branch .LBB315_9
.LBB315_8:                              ;   in Loop: Header=BB315_9 Depth=1
	s_or_b32 exec_lo, exec_lo, s0
	v_add_co_u32 v1, vcc_lo, v1, s12
	v_add_co_ci_u32_e32 v2, vcc_lo, 0, v2, vcc_lo
	v_add_co_u32 v3, vcc_lo, v3, s12
	v_add_co_ci_u32_e32 v4, vcc_lo, 0, v4, vcc_lo
	;; [unrolled: 2-line block ×5, first 2 shown]
	s_add_u32 s10, s10, s14
	v_add_co_u32 v14, vcc_lo, v14, s12
	s_addc_u32 s11, s11, 0
	v_add_co_ci_u32_e32 v15, vcc_lo, 0, v15, vcc_lo
	v_cmp_ge_i64_e64 s0, s[10:11], s[6:7]
	v_cmp_lt_u64_e64 s1, 0xffff, s[10:11]
	v_add_co_u32 v19, vcc_lo, v19, s12
	v_add_co_ci_u32_e32 v20, vcc_lo, 0, v20, vcc_lo
	v_add_co_u32 v21, vcc_lo, v21, s12
	v_add_co_ci_u32_e32 v22, vcc_lo, 0, v22, vcc_lo
	s_or_b32 s0, s0, s1
	s_delay_alu instid0(SALU_CYCLE_1)
	s_and_b32 vcc_lo, exec_lo, s0
	s_cbranch_vccnz .LBB315_25
.LBB315_9:                              ; =>This Inner Loop Header: Depth=1
	s_waitcnt vmcnt(0)
	v_add_co_u32 v23, s0, v0, s10
	s_delay_alu instid0(VALU_DEP_1) | instskip(NEXT) | instid1(VALU_DEP_1)
	v_add_co_ci_u32_e64 v24, null, 0, s11, s0
	v_cmp_gt_u64_e32 vcc_lo, s[8:9], v[23:24]
	v_mov_b32_e32 v23, 0
	s_and_saveexec_b32 s1, vcc_lo
	s_cbranch_execz .LBB315_11
; %bb.10:                               ;   in Loop: Header=BB315_9 Depth=1
	v_add_co_u32 v23, s0, v1, s4
	s_delay_alu instid0(VALU_DEP_1)
	v_add_co_ci_u32_e64 v24, s0, s5, v2, s0
	global_load_u16 v23, v[23:24], off
.LBB315_11:                             ;   in Loop: Header=BB315_9 Depth=1
	s_or_b32 exec_lo, exec_lo, s1
	v_add_co_u32 v24, s0, v13, s10
	s_delay_alu instid0(VALU_DEP_1) | instskip(NEXT) | instid1(VALU_DEP_1)
	v_add_co_ci_u32_e64 v25, s0, s11, v16, s0
	v_cmp_gt_u64_e64 s0, s[8:9], v[24:25]
	v_mov_b32_e32 v25, 0
	s_delay_alu instid0(VALU_DEP_2)
	s_and_saveexec_b32 s2, s0
	s_cbranch_execz .LBB315_13
; %bb.12:                               ;   in Loop: Header=BB315_9 Depth=1
	v_add_co_u32 v24, s1, v19, s4
	s_delay_alu instid0(VALU_DEP_1)
	v_add_co_ci_u32_e64 v25, s1, s5, v20, s1
	global_load_u16 v25, v[24:25], off
.LBB315_13:                             ;   in Loop: Header=BB315_9 Depth=1
	s_or_b32 exec_lo, exec_lo, s2
	v_add_co_u32 v26, s1, v17, s10
	s_delay_alu instid0(VALU_DEP_1) | instskip(SKIP_1) | instid1(VALU_DEP_2)
	v_add_co_ci_u32_e64 v27, s1, s11, v18, s1
	v_mov_b32_e32 v24, 0
	v_cmp_gt_u64_e64 s1, s[8:9], v[26:27]
	v_mov_b32_e32 v26, 0
	s_delay_alu instid0(VALU_DEP_2)
	s_and_saveexec_b32 s3, s1
	s_cbranch_execz .LBB315_15
; %bb.14:                               ;   in Loop: Header=BB315_9 Depth=1
	v_add_co_u32 v26, s2, v11, s4
	s_delay_alu instid0(VALU_DEP_1)
	v_add_co_ci_u32_e64 v27, s2, s5, v12, s2
	global_load_u16 v26, v[26:27], off
.LBB315_15:                             ;   in Loop: Header=BB315_9 Depth=1
	s_or_b32 exec_lo, exec_lo, s3
	v_add_co_u32 v27, s2, v9, s10
	s_delay_alu instid0(VALU_DEP_1) | instskip(NEXT) | instid1(VALU_DEP_1)
	v_add_co_ci_u32_e64 v28, s2, s11, v10, s2
	v_cmp_gt_u64_e64 s2, s[8:9], v[27:28]
	s_delay_alu instid0(VALU_DEP_1)
	s_and_saveexec_b32 s13, s2
	s_cbranch_execnz .LBB315_20
; %bb.16:                               ;   in Loop: Header=BB315_9 Depth=1
	s_or_b32 exec_lo, exec_lo, s13
	s_and_saveexec_b32 s3, vcc_lo
	s_cbranch_execnz .LBB315_21
.LBB315_17:                             ;   in Loop: Header=BB315_9 Depth=1
	s_or_b32 exec_lo, exec_lo, s3
	s_and_saveexec_b32 s3, s0
	s_cbranch_execnz .LBB315_22
.LBB315_18:                             ;   in Loop: Header=BB315_9 Depth=1
	s_or_b32 exec_lo, exec_lo, s3
	s_and_saveexec_b32 s0, s1
	s_cbranch_execnz .LBB315_23
.LBB315_19:                             ;   in Loop: Header=BB315_9 Depth=1
	s_or_b32 exec_lo, exec_lo, s0
	s_and_saveexec_b32 s0, s2
	s_cbranch_execz .LBB315_8
	s_branch .LBB315_24
.LBB315_20:                             ;   in Loop: Header=BB315_9 Depth=1
	v_add_co_u32 v27, s3, v5, s4
	s_delay_alu instid0(VALU_DEP_1)
	v_add_co_ci_u32_e64 v28, s3, s5, v6, s3
	global_load_u16 v24, v[27:28], off
	s_or_b32 exec_lo, exec_lo, s13
	s_and_saveexec_b32 s3, vcc_lo
	s_cbranch_execz .LBB315_17
.LBB315_21:                             ;   in Loop: Header=BB315_9 Depth=1
	v_add_co_u32 v27, vcc_lo, v3, s4
	v_add_co_ci_u32_e32 v28, vcc_lo, s5, v4, vcc_lo
	s_waitcnt vmcnt(0)
	v_xor_b32_e32 v23, 0x8000, v23
	global_store_b16 v[27:28], v23, off
	s_or_b32 exec_lo, exec_lo, s3
	s_and_saveexec_b32 s3, s0
	s_cbranch_execz .LBB315_18
.LBB315_22:                             ;   in Loop: Header=BB315_9 Depth=1
	v_add_co_u32 v27, vcc_lo, v21, s4
	s_waitcnt vmcnt(0)
	v_xor_b32_e32 v23, 0x8000, v25
	v_add_co_ci_u32_e32 v28, vcc_lo, s5, v22, vcc_lo
	global_store_b16 v[27:28], v23, off
	s_or_b32 exec_lo, exec_lo, s3
	s_and_saveexec_b32 s0, s1
	s_cbranch_execz .LBB315_19
.LBB315_23:                             ;   in Loop: Header=BB315_9 Depth=1
	s_waitcnt vmcnt(0)
	v_add_co_u32 v25, vcc_lo, v14, s4
	v_xor_b32_e32 v23, 0x8000, v26
	v_add_co_ci_u32_e32 v26, vcc_lo, s5, v15, vcc_lo
	global_store_b16 v[25:26], v23, off
	s_or_b32 exec_lo, exec_lo, s0
	s_and_saveexec_b32 s0, s2
	s_cbranch_execz .LBB315_8
.LBB315_24:                             ;   in Loop: Header=BB315_9 Depth=1
	s_waitcnt vmcnt(0)
	v_add_co_u32 v23, vcc_lo, v7, s4
	v_xor_b32_e32 v25, 0x8000, v24
	v_add_co_ci_u32_e32 v24, vcc_lo, s5, v8, vcc_lo
	global_store_b16 v[23:24], v25, off
	s_branch .LBB315_8
.LBB315_25:
	s_nop 0
	s_sendmsg sendmsg(MSG_DEALLOC_VGPRS)
	s_endpgm
	.section	.rodata,"a",@progbits
	.p2align	6, 0x0
	.amdhsa_kernel _ZN2at6native12_GLOBAL__N_125multi_tensor_apply_kernelINS1_18TensorListMetadataILi2EEENS1_14UnaryOpFunctorIN3c104HalfELi2ELi1ELi1EEEJSt6negateIfEEEEvT_T0_DpT1_
		.amdhsa_group_segment_fixed_size 0
		.amdhsa_private_segment_fixed_size 0
		.amdhsa_kernarg_size 3408
		.amdhsa_user_sgpr_count 15
		.amdhsa_user_sgpr_dispatch_ptr 0
		.amdhsa_user_sgpr_queue_ptr 0
		.amdhsa_user_sgpr_kernarg_segment_ptr 1
		.amdhsa_user_sgpr_dispatch_id 0
		.amdhsa_user_sgpr_private_segment_size 0
		.amdhsa_wavefront_size32 1
		.amdhsa_uses_dynamic_stack 0
		.amdhsa_enable_private_segment 0
		.amdhsa_system_sgpr_workgroup_id_x 1
		.amdhsa_system_sgpr_workgroup_id_y 0
		.amdhsa_system_sgpr_workgroup_id_z 0
		.amdhsa_system_sgpr_workgroup_info 0
		.amdhsa_system_vgpr_workitem_id 0
		.amdhsa_next_free_vgpr 29
		.amdhsa_next_free_sgpr 18
		.amdhsa_reserve_vcc 1
		.amdhsa_float_round_mode_32 0
		.amdhsa_float_round_mode_16_64 0
		.amdhsa_float_denorm_mode_32 3
		.amdhsa_float_denorm_mode_16_64 3
		.amdhsa_dx10_clamp 1
		.amdhsa_ieee_mode 1
		.amdhsa_fp16_overflow 0
		.amdhsa_workgroup_processor_mode 1
		.amdhsa_memory_ordered 1
		.amdhsa_forward_progress 0
		.amdhsa_shared_vgpr_count 0
		.amdhsa_exception_fp_ieee_invalid_op 0
		.amdhsa_exception_fp_denorm_src 0
		.amdhsa_exception_fp_ieee_div_zero 0
		.amdhsa_exception_fp_ieee_overflow 0
		.amdhsa_exception_fp_ieee_underflow 0
		.amdhsa_exception_fp_ieee_inexact 0
		.amdhsa_exception_int_div_zero 0
	.end_amdhsa_kernel
	.section	.text._ZN2at6native12_GLOBAL__N_125multi_tensor_apply_kernelINS1_18TensorListMetadataILi2EEENS1_14UnaryOpFunctorIN3c104HalfELi2ELi1ELi1EEEJSt6negateIfEEEEvT_T0_DpT1_,"axG",@progbits,_ZN2at6native12_GLOBAL__N_125multi_tensor_apply_kernelINS1_18TensorListMetadataILi2EEENS1_14UnaryOpFunctorIN3c104HalfELi2ELi1ELi1EEEJSt6negateIfEEEEvT_T0_DpT1_,comdat
.Lfunc_end315:
	.size	_ZN2at6native12_GLOBAL__N_125multi_tensor_apply_kernelINS1_18TensorListMetadataILi2EEENS1_14UnaryOpFunctorIN3c104HalfELi2ELi1ELi1EEEJSt6negateIfEEEEvT_T0_DpT1_, .Lfunc_end315-_ZN2at6native12_GLOBAL__N_125multi_tensor_apply_kernelINS1_18TensorListMetadataILi2EEENS1_14UnaryOpFunctorIN3c104HalfELi2ELi1ELi1EEEJSt6negateIfEEEEvT_T0_DpT1_
                                        ; -- End function
	.section	.AMDGPU.csdata,"",@progbits
; Kernel info:
; codeLenInByte = 1416
; NumSgprs: 20
; NumVgprs: 29
; ScratchSize: 0
; MemoryBound: 0
; FloatMode: 240
; IeeeMode: 1
; LDSByteSize: 0 bytes/workgroup (compile time only)
; SGPRBlocks: 2
; VGPRBlocks: 3
; NumSGPRsForWavesPerEU: 20
; NumVGPRsForWavesPerEU: 29
; Occupancy: 16
; WaveLimiterHint : 0
; COMPUTE_PGM_RSRC2:SCRATCH_EN: 0
; COMPUTE_PGM_RSRC2:USER_SGPR: 15
; COMPUTE_PGM_RSRC2:TRAP_HANDLER: 0
; COMPUTE_PGM_RSRC2:TGID_X_EN: 1
; COMPUTE_PGM_RSRC2:TGID_Y_EN: 0
; COMPUTE_PGM_RSRC2:TGID_Z_EN: 0
; COMPUTE_PGM_RSRC2:TIDIG_COMP_CNT: 0
	.section	.text._ZN2at6native12_GLOBAL__N_125multi_tensor_apply_kernelINS1_18TensorListMetadataILi2EEENS1_14UnaryOpFunctorIN3c108BFloat16ELi2ELi1ELi1EEEJSt6negateIfEEEEvT_T0_DpT1_,"axG",@progbits,_ZN2at6native12_GLOBAL__N_125multi_tensor_apply_kernelINS1_18TensorListMetadataILi2EEENS1_14UnaryOpFunctorIN3c108BFloat16ELi2ELi1ELi1EEEJSt6negateIfEEEEvT_T0_DpT1_,comdat
	.globl	_ZN2at6native12_GLOBAL__N_125multi_tensor_apply_kernelINS1_18TensorListMetadataILi2EEENS1_14UnaryOpFunctorIN3c108BFloat16ELi2ELi1ELi1EEEJSt6negateIfEEEEvT_T0_DpT1_ ; -- Begin function _ZN2at6native12_GLOBAL__N_125multi_tensor_apply_kernelINS1_18TensorListMetadataILi2EEENS1_14UnaryOpFunctorIN3c108BFloat16ELi2ELi1ELi1EEEJSt6negateIfEEEEvT_T0_DpT1_
	.p2align	8
	.type	_ZN2at6native12_GLOBAL__N_125multi_tensor_apply_kernelINS1_18TensorListMetadataILi2EEENS1_14UnaryOpFunctorIN3c108BFloat16ELi2ELi1ELi1EEEJSt6negateIfEEEEvT_T0_DpT1_,@function
_ZN2at6native12_GLOBAL__N_125multi_tensor_apply_kernelINS1_18TensorListMetadataILi2EEENS1_14UnaryOpFunctorIN3c108BFloat16ELi2ELi1ELi1EEEJSt6negateIfEEEEvT_T0_DpT1_: ; @_ZN2at6native12_GLOBAL__N_125multi_tensor_apply_kernelINS1_18TensorListMetadataILi2EEENS1_14UnaryOpFunctorIN3c108BFloat16ELi2ELi1ELi1EEEJSt6negateIfEEEEvT_T0_DpT1_
; %bb.0:
	v_mov_b32_e32 v1, s15
	s_add_u32 s2, s0, s15
	s_mul_hi_u32 s3, s15, 3
	s_mul_i32 s15, s15, 3
	s_addc_u32 s4, s1, 0
	global_load_u8 v1, v1, s[0:1] offset:1536
	s_add_u32 s2, s2, s15
	s_addc_u32 s3, s4, s3
	s_mov_b32 s9, 0
	s_load_b32 s2, s[2:3], 0x740
	s_mov_b32 s17, s9
	s_mov_b32 s15, s9
	s_waitcnt vmcnt(0)
	v_readfirstlane_b32 s5, v1
	s_delay_alu instid0(VALU_DEP_1)
	s_lshl_b32 s3, s5, 3
	s_clause 0x2
	s_load_b64 s[10:11], s[0:1], s3 offset:0x0
	s_load_b64 s[12:13], s[0:1], s3 offset:0x200
	;; [unrolled: 1-line block ×3, first 2 shown]
	s_waitcnt lgkmcnt(0)
	s_ashr_i32 s3, s2, 31
	s_delay_alu instid0(SALU_CYCLE_1) | instskip(SKIP_4) | instid1(SALU_CYCLE_1)
	s_lshl_b64 s[6:7], s[2:3], 17
	s_lshl_b64 s[2:3], s[2:3], 16
	s_and_b32 s8, s10, 7
	s_and_b32 s14, s12, 7
	;; [unrolled: 1-line block ×3, first 2 shown]
	s_or_b64 s[8:9], s[8:9], s[16:17]
	s_delay_alu instid0(SALU_CYCLE_1)
	s_or_b64 s[14:15], s[14:15], s[8:9]
	s_sub_u32 s8, s4, s2
	s_subb_u32 s9, s5, s3
	s_cmp_eq_u64 s[14:15], 0
	s_mov_b32 s2, -1
	s_cbranch_scc0 .LBB316_5
; %bb.1:
	v_dual_mov_b32 v2, 0 :: v_dual_lshlrev_b32 v1, 2, v0
	s_mov_b32 s14, exec_lo
	s_delay_alu instid0(VALU_DEP_1)
	v_cmpx_gt_i64_e64 s[8:9], v[1:2]
	s_cbranch_execz .LBB316_4
; %bb.2:
	s_load_b32 s2, s[0:1], 0xc5c
	v_lshlrev_b32_e32 v1, 3, v0
	s_mov_b32 s15, 0
	s_delay_alu instid0(VALU_DEP_1) | instskip(NEXT) | instid1(VALU_DEP_1)
	v_add_co_u32 v3, s3, s6, v1
	v_add_co_ci_u32_e64 v4, null, s7, 0, s3
	s_waitcnt lgkmcnt(0)
	s_and_b32 s2, s2, 0xffff
	s_delay_alu instid0(SALU_CYCLE_1)
	v_add_lshl_u32 v1, v0, s2, 2
	s_lshl_b32 s16, s2, 3
	s_lshl_b32 s17, s2, 2
.LBB316_3:                              ; =>This Inner Loop Header: Depth=1
	v_add_co_u32 v5, vcc_lo, s10, v3
	v_add_co_ci_u32_e32 v6, vcc_lo, s11, v4, vcc_lo
	v_add_co_u32 v7, vcc_lo, s12, v3
	v_add_co_ci_u32_e32 v8, vcc_lo, s13, v4, vcc_lo
	global_load_b64 v[5:6], v[5:6], off
	v_cmp_le_i64_e32 vcc_lo, s[8:9], v[1:2]
	v_cmp_lt_u64_e64 s2, 0xffff, v[1:2]
	v_add_co_u32 v3, s3, v3, s16
	s_delay_alu instid0(VALU_DEP_1) | instskip(SKIP_1) | instid1(VALU_DEP_4)
	v_add_co_ci_u32_e64 v4, s3, 0, v4, s3
	v_add_co_u32 v1, s3, v1, s17
	s_or_b32 s2, vcc_lo, s2
	v_add_co_ci_u32_e64 v2, s3, 0, v2, s3
	s_and_b32 s2, exec_lo, s2
	s_delay_alu instid0(SALU_CYCLE_1)
	s_or_b32 s15, s2, s15
	s_waitcnt vmcnt(0)
	v_lshlrev_b32_e32 v9, 16, v5
	v_alignbit_b32 v10, v6, v5, 16
	v_and_b32_e32 v5, 0xffff0000, v5
	v_and_b32_e32 v6, 0xffff0000, v6
	s_delay_alu instid0(VALU_DEP_4) | instskip(NEXT) | instid1(VALU_DEP_4)
	v_xor_b32_e32 v11, 0x80000000, v9
	v_and_b32_e32 v10, 0xffff0000, v10
	s_delay_alu instid0(VALU_DEP_4) | instskip(NEXT) | instid1(VALU_DEP_4)
	v_xor_b32_e32 v12, 0x80000000, v5
	v_xor_b32_e32 v13, 0x80000000, v6
	v_cmp_o_f32_e64 s4, v9, v9
	v_bfe_u32 v14, v11, 16, 1
	v_xor_b32_e32 v15, 0x80000000, v10
	v_bfe_u32 v16, v12, 16, 1
	v_bfe_u32 v17, v13, 16, 1
	v_cmp_o_f32_e64 s5, v5, v5
	v_add3_u32 v11, v11, v14, 0x7fff
	v_bfe_u32 v14, v15, 16, 1
	v_add3_u32 v12, v12, v16, 0x7fff
	v_add3_u32 v13, v13, v17, 0x7fff
	s_delay_alu instid0(VALU_DEP_4) | instskip(NEXT) | instid1(VALU_DEP_4)
	v_lshrrev_b32_e32 v11, 16, v11
	v_add3_u32 v14, v15, v14, 0x7fff
	s_delay_alu instid0(VALU_DEP_4) | instskip(NEXT) | instid1(VALU_DEP_4)
	v_and_b32_e32 v12, 0xffff0000, v12
	v_and_b32_e32 v13, 0xffff0000, v13
	s_delay_alu instid0(VALU_DEP_4) | instskip(SKIP_3) | instid1(VALU_DEP_3)
	v_cndmask_b32_e64 v11, 0x7fc0, v11, s4
	v_cmp_o_f32_e64 s4, v6, v6
	v_lshrrev_b32_e32 v5, 16, v14
	v_cndmask_b32_e64 v9, 0x7fc00000, v12, s5
	v_cndmask_b32_e64 v6, 0x7fc00000, v13, s4
	v_cmp_o_f32_e64 s4, v10, v10
	s_delay_alu instid0(VALU_DEP_3) | instskip(NEXT) | instid1(VALU_DEP_2)
	v_or_b32_e32 v9, v11, v9
	v_cndmask_b32_e64 v5, 0x7fc0, v5, s4
	s_delay_alu instid0(VALU_DEP_1) | instskip(NEXT) | instid1(VALU_DEP_3)
	v_or3_b32 v6, 0, v5, v6
	v_or3_b32 v5, v9, 0, 0
	global_store_b64 v[7:8], v[5:6], off
	s_and_not1_b32 exec_lo, exec_lo, s15
	s_cbranch_execnz .LBB316_3
.LBB316_4:
	s_or_b32 exec_lo, exec_lo, s14
	s_mov_b32 s2, 0
.LBB316_5:
	s_delay_alu instid0(SALU_CYCLE_1)
	s_and_not1_b32 vcc_lo, exec_lo, s2
	s_cbranch_vccnz .LBB316_25
; %bb.6:
	v_cmp_lt_i64_e64 s2, s[8:9], 1
	s_delay_alu instid0(VALU_DEP_1)
	s_and_b32 vcc_lo, exec_lo, s2
	s_cbranch_vccnz .LBB316_25
; %bb.7:
	s_load_b32 s0, s[0:1], 0xc5c
	v_dual_mov_b32 v10, 0 :: v_dual_lshlrev_b32 v9, 1, v0
	v_cmp_gt_u64_e64 s1, 0x10000, s[8:9]
	s_delay_alu instid0(VALU_DEP_2) | instskip(NEXT) | instid1(VALU_DEP_1)
	v_add_co_u32 v1, s2, s10, v9
	v_add_co_ci_u32_e64 v2, null, s11, 0, s2
	v_add_co_u32 v3, s2, s12, v9
	s_delay_alu instid0(VALU_DEP_1)
	v_add_co_ci_u32_e64 v4, null, s13, 0, s2
	s_waitcnt lgkmcnt(0)
	s_and_b32 s0, s0, 0xffff
	s_and_b32 s1, s1, exec_lo
	v_mad_u64_u32 v[7:8], null, s0, 6, v[9:10]
	s_cselect_b32 s5, s9, 0
	s_cselect_b32 s4, s8, 0x10000
	s_mul_i32 s2, s0, 3
	s_lshl_b32 s14, s0, 2
	s_lshl_b32 s1, s0, 1
	v_add_co_u32 v14, s3, s14, v9
	v_add_co_u32 v9, s2, s2, v0
	s_delay_alu instid0(VALU_DEP_1) | instskip(SKIP_3) | instid1(VALU_DEP_3)
	v_add_co_ci_u32_e64 v10, null, 0, 0, s2
	v_add_co_u32 v13, s2, v0, s0
	v_add_co_u32 v5, vcc_lo, s10, v7
	v_add_co_ci_u32_e32 v6, vcc_lo, s11, v8, vcc_lo
	v_lshlrev_b32_e32 v21, 1, v13
	v_add_co_u32 v7, vcc_lo, s12, v7
	v_add_co_ci_u32_e64 v15, null, 0, 0, s3
	v_add_co_ci_u32_e32 v8, vcc_lo, s13, v8, vcc_lo
	v_add_co_u32 v17, s1, s1, v0
	v_add_co_u32 v11, vcc_lo, s10, v14
	v_add_co_ci_u32_e64 v18, null, 0, 0, s1
	v_add_co_u32 v19, s1, s10, v21
	v_add_co_ci_u32_e32 v12, vcc_lo, s11, v15, vcc_lo
	v_add_co_u32 v14, vcc_lo, s12, v14
	v_add_co_ci_u32_e64 v20, null, s11, 0, s1
	v_add_co_u32 v21, s1, s12, v21
	v_add_co_ci_u32_e32 v15, vcc_lo, s13, v15, vcc_lo
	v_add_co_ci_u32_e64 v16, null, 0, 0, s2
	v_add_co_ci_u32_e64 v22, null, s13, 0, s1
	s_lshl_b32 s12, s0, 3
	s_mov_b64 s[10:11], 0
	s_branch .LBB316_9
.LBB316_8:                              ;   in Loop: Header=BB316_9 Depth=1
	s_or_b32 exec_lo, exec_lo, s0
	v_add_co_u32 v1, vcc_lo, v1, s12
	v_add_co_ci_u32_e32 v2, vcc_lo, 0, v2, vcc_lo
	v_add_co_u32 v3, vcc_lo, v3, s12
	v_add_co_ci_u32_e32 v4, vcc_lo, 0, v4, vcc_lo
	;; [unrolled: 2-line block ×5, first 2 shown]
	s_add_u32 s10, s10, s14
	v_add_co_u32 v14, vcc_lo, v14, s12
	s_addc_u32 s11, s11, 0
	v_add_co_ci_u32_e32 v15, vcc_lo, 0, v15, vcc_lo
	v_cmp_ge_i64_e64 s0, s[10:11], s[8:9]
	v_cmp_lt_u64_e64 s1, 0xffff, s[10:11]
	v_add_co_u32 v19, vcc_lo, v19, s12
	v_add_co_ci_u32_e32 v20, vcc_lo, 0, v20, vcc_lo
	v_add_co_u32 v21, vcc_lo, v21, s12
	v_add_co_ci_u32_e32 v22, vcc_lo, 0, v22, vcc_lo
	s_or_b32 s0, s0, s1
	s_delay_alu instid0(SALU_CYCLE_1)
	s_and_b32 vcc_lo, exec_lo, s0
	s_cbranch_vccnz .LBB316_25
.LBB316_9:                              ; =>This Inner Loop Header: Depth=1
	s_waitcnt vmcnt(0)
	v_add_co_u32 v23, s0, v0, s10
	s_delay_alu instid0(VALU_DEP_1) | instskip(NEXT) | instid1(VALU_DEP_1)
	v_add_co_ci_u32_e64 v24, null, 0, s11, s0
	v_cmp_gt_u64_e32 vcc_lo, s[4:5], v[23:24]
	v_mov_b32_e32 v24, 0
	s_and_saveexec_b32 s1, vcc_lo
	s_cbranch_execz .LBB316_11
; %bb.10:                               ;   in Loop: Header=BB316_9 Depth=1
	v_add_co_u32 v23, s0, v1, s6
	s_delay_alu instid0(VALU_DEP_1)
	v_add_co_ci_u32_e64 v24, s0, s7, v2, s0
	global_load_u16 v24, v[23:24], off
.LBB316_11:                             ;   in Loop: Header=BB316_9 Depth=1
	s_or_b32 exec_lo, exec_lo, s1
	v_add_co_u32 v25, s0, v13, s10
	s_delay_alu instid0(VALU_DEP_1) | instskip(NEXT) | instid1(VALU_DEP_1)
	v_add_co_ci_u32_e64 v26, s0, s11, v16, s0
	v_cmp_gt_u64_e64 s0, s[4:5], v[25:26]
	v_mov_b32_e32 v25, 0
	s_delay_alu instid0(VALU_DEP_2)
	s_and_saveexec_b32 s2, s0
	s_cbranch_execz .LBB316_13
; %bb.12:                               ;   in Loop: Header=BB316_9 Depth=1
	v_add_co_u32 v25, s1, v19, s6
	s_delay_alu instid0(VALU_DEP_1)
	v_add_co_ci_u32_e64 v26, s1, s7, v20, s1
	global_load_u16 v25, v[25:26], off
.LBB316_13:                             ;   in Loop: Header=BB316_9 Depth=1
	s_or_b32 exec_lo, exec_lo, s2
	v_add_co_u32 v26, s1, v17, s10
	s_delay_alu instid0(VALU_DEP_1) | instskip(SKIP_1) | instid1(VALU_DEP_2)
	v_add_co_ci_u32_e64 v27, s1, s11, v18, s1
	v_mov_b32_e32 v23, 0
	v_cmp_gt_u64_e64 s1, s[4:5], v[26:27]
	v_mov_b32_e32 v26, 0
	s_delay_alu instid0(VALU_DEP_2)
	s_and_saveexec_b32 s3, s1
	s_cbranch_execz .LBB316_15
; %bb.14:                               ;   in Loop: Header=BB316_9 Depth=1
	v_add_co_u32 v26, s2, v11, s6
	s_delay_alu instid0(VALU_DEP_1)
	v_add_co_ci_u32_e64 v27, s2, s7, v12, s2
	global_load_u16 v26, v[26:27], off
.LBB316_15:                             ;   in Loop: Header=BB316_9 Depth=1
	s_or_b32 exec_lo, exec_lo, s3
	v_add_co_u32 v27, s2, v9, s10
	s_delay_alu instid0(VALU_DEP_1) | instskip(NEXT) | instid1(VALU_DEP_1)
	v_add_co_ci_u32_e64 v28, s2, s11, v10, s2
	v_cmp_gt_u64_e64 s2, s[4:5], v[27:28]
	s_delay_alu instid0(VALU_DEP_1)
	s_and_saveexec_b32 s13, s2
	s_cbranch_execnz .LBB316_20
; %bb.16:                               ;   in Loop: Header=BB316_9 Depth=1
	s_or_b32 exec_lo, exec_lo, s13
	s_and_saveexec_b32 s3, vcc_lo
	s_cbranch_execnz .LBB316_21
.LBB316_17:                             ;   in Loop: Header=BB316_9 Depth=1
	s_or_b32 exec_lo, exec_lo, s3
	s_and_saveexec_b32 s3, s0
	s_cbranch_execnz .LBB316_22
.LBB316_18:                             ;   in Loop: Header=BB316_9 Depth=1
	s_or_b32 exec_lo, exec_lo, s3
	s_and_saveexec_b32 s0, s1
	s_cbranch_execnz .LBB316_23
.LBB316_19:                             ;   in Loop: Header=BB316_9 Depth=1
	s_or_b32 exec_lo, exec_lo, s0
	s_and_saveexec_b32 s0, s2
	s_cbranch_execz .LBB316_8
	s_branch .LBB316_24
.LBB316_20:                             ;   in Loop: Header=BB316_9 Depth=1
	v_add_co_u32 v27, s3, v5, s6
	s_delay_alu instid0(VALU_DEP_1)
	v_add_co_ci_u32_e64 v28, s3, s7, v6, s3
	global_load_u16 v23, v[27:28], off
	s_or_b32 exec_lo, exec_lo, s13
	s_and_saveexec_b32 s3, vcc_lo
	s_cbranch_execz .LBB316_17
.LBB316_21:                             ;   in Loop: Header=BB316_9 Depth=1
	s_waitcnt vmcnt(0)
	v_lshlrev_b32_e32 v24, 16, v24
	s_delay_alu instid0(VALU_DEP_1) | instskip(SKIP_1) | instid1(VALU_DEP_2)
	v_xor_b32_e32 v27, 0x80000000, v24
	v_cmp_o_f32_e32 vcc_lo, v24, v24
	v_bfe_u32 v28, v27, 16, 1
	s_delay_alu instid0(VALU_DEP_1) | instskip(NEXT) | instid1(VALU_DEP_1)
	v_add3_u32 v27, v27, v28, 0x7fff
	v_lshrrev_b32_e32 v27, 16, v27
	s_delay_alu instid0(VALU_DEP_1)
	v_cndmask_b32_e32 v24, 0x7fc0, v27, vcc_lo
	v_add_co_u32 v27, vcc_lo, v3, s6
	v_add_co_ci_u32_e32 v28, vcc_lo, s7, v4, vcc_lo
	global_store_b16 v[27:28], v24, off
	s_or_b32 exec_lo, exec_lo, s3
	s_and_saveexec_b32 s3, s0
	s_cbranch_execz .LBB316_18
.LBB316_22:                             ;   in Loop: Header=BB316_9 Depth=1
	s_waitcnt vmcnt(0)
	v_lshlrev_b32_e32 v24, 16, v25
	s_delay_alu instid0(VALU_DEP_1) | instskip(SKIP_1) | instid1(VALU_DEP_2)
	v_xor_b32_e32 v25, 0x80000000, v24
	v_cmp_o_f32_e32 vcc_lo, v24, v24
	v_bfe_u32 v27, v25, 16, 1
	s_delay_alu instid0(VALU_DEP_1) | instskip(NEXT) | instid1(VALU_DEP_1)
	v_add3_u32 v25, v25, v27, 0x7fff
	v_lshrrev_b32_e32 v25, 16, v25
	s_delay_alu instid0(VALU_DEP_1)
	v_cndmask_b32_e32 v27, 0x7fc0, v25, vcc_lo
	v_add_co_u32 v24, vcc_lo, v21, s6
	v_add_co_ci_u32_e32 v25, vcc_lo, s7, v22, vcc_lo
	global_store_b16 v[24:25], v27, off
	s_or_b32 exec_lo, exec_lo, s3
	s_and_saveexec_b32 s0, s1
	s_cbranch_execz .LBB316_19
.LBB316_23:                             ;   in Loop: Header=BB316_9 Depth=1
	s_waitcnt vmcnt(0)
	v_lshlrev_b32_e32 v24, 16, v26
	s_delay_alu instid0(VALU_DEP_1) | instskip(SKIP_1) | instid1(VALU_DEP_2)
	v_xor_b32_e32 v25, 0x80000000, v24
	v_cmp_o_f32_e32 vcc_lo, v24, v24
	v_bfe_u32 v26, v25, 16, 1
	s_delay_alu instid0(VALU_DEP_1) | instskip(NEXT) | instid1(VALU_DEP_1)
	v_add3_u32 v25, v25, v26, 0x7fff
	v_lshrrev_b32_e32 v25, 16, v25
	s_delay_alu instid0(VALU_DEP_1)
	v_cndmask_b32_e32 v26, 0x7fc0, v25, vcc_lo
	v_add_co_u32 v24, vcc_lo, v14, s6
	v_add_co_ci_u32_e32 v25, vcc_lo, s7, v15, vcc_lo
	global_store_b16 v[24:25], v26, off
	s_or_b32 exec_lo, exec_lo, s0
	s_and_saveexec_b32 s0, s2
	s_cbranch_execz .LBB316_8
.LBB316_24:                             ;   in Loop: Header=BB316_9 Depth=1
	s_waitcnt vmcnt(0)
	v_lshlrev_b32_e32 v23, 16, v23
	s_delay_alu instid0(VALU_DEP_1) | instskip(SKIP_1) | instid1(VALU_DEP_2)
	v_xor_b32_e32 v24, 0x80000000, v23
	v_cmp_o_f32_e32 vcc_lo, v23, v23
	v_bfe_u32 v25, v24, 16, 1
	s_delay_alu instid0(VALU_DEP_1) | instskip(NEXT) | instid1(VALU_DEP_1)
	v_add3_u32 v24, v24, v25, 0x7fff
	v_lshrrev_b32_e32 v24, 16, v24
	s_delay_alu instid0(VALU_DEP_1)
	v_cndmask_b32_e32 v25, 0x7fc0, v24, vcc_lo
	v_add_co_u32 v23, vcc_lo, v7, s6
	v_add_co_ci_u32_e32 v24, vcc_lo, s7, v8, vcc_lo
	global_store_b16 v[23:24], v25, off
	s_branch .LBB316_8
.LBB316_25:
	s_nop 0
	s_sendmsg sendmsg(MSG_DEALLOC_VGPRS)
	s_endpgm
	.section	.rodata,"a",@progbits
	.p2align	6, 0x0
	.amdhsa_kernel _ZN2at6native12_GLOBAL__N_125multi_tensor_apply_kernelINS1_18TensorListMetadataILi2EEENS1_14UnaryOpFunctorIN3c108BFloat16ELi2ELi1ELi1EEEJSt6negateIfEEEEvT_T0_DpT1_
		.amdhsa_group_segment_fixed_size 0
		.amdhsa_private_segment_fixed_size 0
		.amdhsa_kernarg_size 3408
		.amdhsa_user_sgpr_count 15
		.amdhsa_user_sgpr_dispatch_ptr 0
		.amdhsa_user_sgpr_queue_ptr 0
		.amdhsa_user_sgpr_kernarg_segment_ptr 1
		.amdhsa_user_sgpr_dispatch_id 0
		.amdhsa_user_sgpr_private_segment_size 0
		.amdhsa_wavefront_size32 1
		.amdhsa_uses_dynamic_stack 0
		.amdhsa_enable_private_segment 0
		.amdhsa_system_sgpr_workgroup_id_x 1
		.amdhsa_system_sgpr_workgroup_id_y 0
		.amdhsa_system_sgpr_workgroup_id_z 0
		.amdhsa_system_sgpr_workgroup_info 0
		.amdhsa_system_vgpr_workitem_id 0
		.amdhsa_next_free_vgpr 29
		.amdhsa_next_free_sgpr 18
		.amdhsa_reserve_vcc 1
		.amdhsa_float_round_mode_32 0
		.amdhsa_float_round_mode_16_64 0
		.amdhsa_float_denorm_mode_32 3
		.amdhsa_float_denorm_mode_16_64 3
		.amdhsa_dx10_clamp 1
		.amdhsa_ieee_mode 1
		.amdhsa_fp16_overflow 0
		.amdhsa_workgroup_processor_mode 1
		.amdhsa_memory_ordered 1
		.amdhsa_forward_progress 0
		.amdhsa_shared_vgpr_count 0
		.amdhsa_exception_fp_ieee_invalid_op 0
		.amdhsa_exception_fp_denorm_src 0
		.amdhsa_exception_fp_ieee_div_zero 0
		.amdhsa_exception_fp_ieee_overflow 0
		.amdhsa_exception_fp_ieee_underflow 0
		.amdhsa_exception_fp_ieee_inexact 0
		.amdhsa_exception_int_div_zero 0
	.end_amdhsa_kernel
	.section	.text._ZN2at6native12_GLOBAL__N_125multi_tensor_apply_kernelINS1_18TensorListMetadataILi2EEENS1_14UnaryOpFunctorIN3c108BFloat16ELi2ELi1ELi1EEEJSt6negateIfEEEEvT_T0_DpT1_,"axG",@progbits,_ZN2at6native12_GLOBAL__N_125multi_tensor_apply_kernelINS1_18TensorListMetadataILi2EEENS1_14UnaryOpFunctorIN3c108BFloat16ELi2ELi1ELi1EEEJSt6negateIfEEEEvT_T0_DpT1_,comdat
.Lfunc_end316:
	.size	_ZN2at6native12_GLOBAL__N_125multi_tensor_apply_kernelINS1_18TensorListMetadataILi2EEENS1_14UnaryOpFunctorIN3c108BFloat16ELi2ELi1ELi1EEEJSt6negateIfEEEEvT_T0_DpT1_, .Lfunc_end316-_ZN2at6native12_GLOBAL__N_125multi_tensor_apply_kernelINS1_18TensorListMetadataILi2EEENS1_14UnaryOpFunctorIN3c108BFloat16ELi2ELi1ELi1EEEJSt6negateIfEEEEvT_T0_DpT1_
                                        ; -- End function
	.section	.AMDGPU.csdata,"",@progbits
; Kernel info:
; codeLenInByte = 1892
; NumSgprs: 20
; NumVgprs: 29
; ScratchSize: 0
; MemoryBound: 0
; FloatMode: 240
; IeeeMode: 1
; LDSByteSize: 0 bytes/workgroup (compile time only)
; SGPRBlocks: 2
; VGPRBlocks: 3
; NumSGPRsForWavesPerEU: 20
; NumVGPRsForWavesPerEU: 29
; Occupancy: 16
; WaveLimiterHint : 0
; COMPUTE_PGM_RSRC2:SCRATCH_EN: 0
; COMPUTE_PGM_RSRC2:USER_SGPR: 15
; COMPUTE_PGM_RSRC2:TRAP_HANDLER: 0
; COMPUTE_PGM_RSRC2:TGID_X_EN: 1
; COMPUTE_PGM_RSRC2:TGID_Y_EN: 0
; COMPUTE_PGM_RSRC2:TGID_Z_EN: 0
; COMPUTE_PGM_RSRC2:TIDIG_COMP_CNT: 0
	.section	.text._ZN2at6native12_GLOBAL__N_125multi_tensor_apply_kernelINS1_18TensorListMetadataILi1EEENS1_14UnaryOpFunctorIhLi1ELi1ELi0EEEJSt6negateIhEEEEvT_T0_DpT1_,"axG",@progbits,_ZN2at6native12_GLOBAL__N_125multi_tensor_apply_kernelINS1_18TensorListMetadataILi1EEENS1_14UnaryOpFunctorIhLi1ELi1ELi0EEEJSt6negateIhEEEEvT_T0_DpT1_,comdat
	.globl	_ZN2at6native12_GLOBAL__N_125multi_tensor_apply_kernelINS1_18TensorListMetadataILi1EEENS1_14UnaryOpFunctorIhLi1ELi1ELi0EEEJSt6negateIhEEEEvT_T0_DpT1_ ; -- Begin function _ZN2at6native12_GLOBAL__N_125multi_tensor_apply_kernelINS1_18TensorListMetadataILi1EEENS1_14UnaryOpFunctorIhLi1ELi1ELi0EEEJSt6negateIhEEEEvT_T0_DpT1_
	.p2align	8
	.type	_ZN2at6native12_GLOBAL__N_125multi_tensor_apply_kernelINS1_18TensorListMetadataILi1EEENS1_14UnaryOpFunctorIhLi1ELi1ELi0EEEJSt6negateIhEEEEvT_T0_DpT1_,@function
_ZN2at6native12_GLOBAL__N_125multi_tensor_apply_kernelINS1_18TensorListMetadataILi1EEENS1_14UnaryOpFunctorIhLi1ELi1ELi0EEEJSt6negateIhEEEEvT_T0_DpT1_: ; @_ZN2at6native12_GLOBAL__N_125multi_tensor_apply_kernelINS1_18TensorListMetadataILi1EEENS1_14UnaryOpFunctorIhLi1ELi1ELi0EEEJSt6negateIhEEEEvT_T0_DpT1_
; %bb.0:
	v_mov_b32_e32 v1, s15
	s_add_u32 s2, s0, s15
	s_mul_hi_u32 s3, s15, 3
	s_mul_i32 s15, s15, 3
	s_addc_u32 s4, s1, 0
	global_load_u8 v1, v1, s[0:1] offset:1760
	s_add_u32 s2, s2, s15
	s_addc_u32 s3, s4, s3
	s_load_b32 s4, s[2:3], 0x820
	s_waitcnt vmcnt(0)
	v_readfirstlane_b32 s5, v1
	s_delay_alu instid0(VALU_DEP_1)
	s_lshl_b32 s5, s5, 3
	s_clause 0x1
	s_load_b64 s[2:3], s[0:1], s5 offset:0x0
	s_load_b64 s[8:9], s[0:1], s5 offset:0x370
	s_waitcnt lgkmcnt(0)
	s_ashr_i32 s5, s4, 31
	s_delay_alu instid0(SALU_CYCLE_1) | instskip(NEXT) | instid1(SALU_CYCLE_1)
	s_lshl_b64 s[4:5], s[4:5], 16
	s_add_u32 s12, s2, s4
	s_addc_u32 s13, s3, s5
	s_sub_u32 s6, s8, s4
	s_subb_u32 s7, s9, s5
	s_or_b32 s8, s8, s12
	s_delay_alu instid0(SALU_CYCLE_1) | instskip(NEXT) | instid1(SALU_CYCLE_1)
	s_and_b32 s8, s8, 3
	s_cmp_eq_u32 s8, 0
	s_cbranch_scc1 .LBB317_21
; %bb.1:
	v_cmp_lt_i64_e64 s8, s[6:7], 1
	s_delay_alu instid0(VALU_DEP_1)
	s_and_b32 vcc_lo, exec_lo, s8
	s_cbranch_vccnz .LBB317_20
; %bb.2:
	s_load_b32 s8, s[0:1], 0xd3c
	v_add_co_u32 v11, s9, s4, v0
	s_delay_alu instid0(VALU_DEP_1) | instskip(SKIP_1) | instid1(VALU_DEP_3)
	v_add_co_ci_u32_e64 v12, null, s5, 0, s9
	v_cmp_gt_u64_e64 s9, 0x10000, s[6:7]
	v_add_co_u32 v1, vcc_lo, s2, v11
	s_delay_alu instid0(VALU_DEP_3) | instskip(SKIP_2) | instid1(VALU_DEP_3)
	v_add_co_ci_u32_e32 v2, vcc_lo, s3, v12, vcc_lo
	s_waitcnt lgkmcnt(0)
	s_and_b32 s10, s8, 0xffff
	s_and_b32 s8, s9, exec_lo
	s_mul_i32 s15, s10, 3
	s_cselect_b32 s9, s7, 0
	s_cselect_b32 s8, s6, 0x10000
	s_lshl_b32 s11, s10, 1
	s_lshl_b32 s14, s10, 2
	s_add_u32 s16, s4, s15
	v_add_co_u32 v3, s15, s15, v0
	s_delay_alu instid0(VALU_DEP_1)
	v_add_co_ci_u32_e64 v4, null, 0, 0, s15
	s_addc_u32 s15, s5, 0
	s_add_u32 s16, s2, s16
	s_addc_u32 s15, s3, s15
	s_add_u32 s4, s4, s11
	;; [unrolled: 2-line block ×3, first 2 shown]
	s_addc_u32 s5, s3, s5
	v_add_co_u32 v7, s4, s4, v0
	s_add_u32 s2, s2, s10
	v_add_co_u32 v5, s16, s16, v0
	v_add_co_ci_u32_e64 v8, null, s5, 0, s4
	v_add_co_u32 v9, s4, s11, v0
	s_addc_u32 s3, s3, 0
	v_add_co_u32 v11, vcc_lo, s2, v11
	v_add_co_u32 v13, s2, v0, s10
	v_add_co_ci_u32_e64 v6, null, s15, 0, s16
	v_add_co_ci_u32_e64 v10, null, 0, 0, s4
	v_add_co_ci_u32_e32 v12, vcc_lo, s3, v12, vcc_lo
	v_add_co_ci_u32_e64 v14, null, 0, 0, s2
	s_mov_b64 s[10:11], 0
	s_branch .LBB317_4
.LBB317_3:                              ;   in Loop: Header=BB317_4 Depth=1
	s_or_b32 exec_lo, exec_lo, s2
	s_add_u32 s10, s10, s14
	s_addc_u32 s11, s11, 0
	s_delay_alu instid0(SALU_CYCLE_1) | instskip(SKIP_1) | instid1(VALU_DEP_1)
	v_cmp_lt_i64_e64 s2, s[10:11], s[6:7]
	v_cmp_gt_u64_e64 s3, 0x10000, s[10:11]
	s_and_b32 s2, s2, s3
	s_delay_alu instid0(SALU_CYCLE_1)
	s_and_b32 vcc_lo, exec_lo, s2
	s_cbranch_vccz .LBB317_20
.LBB317_4:                              ; =>This Inner Loop Header: Depth=1
	s_waitcnt vmcnt(0)
	v_add_co_u32 v15, s2, v0, s10
	s_delay_alu instid0(VALU_DEP_1) | instskip(NEXT) | instid1(VALU_DEP_1)
	v_add_co_ci_u32_e64 v16, null, 0, s11, s2
	v_cmp_gt_u64_e32 vcc_lo, s[8:9], v[15:16]
	v_mov_b32_e32 v15, 0
	s_and_saveexec_b32 s3, vcc_lo
	s_cbranch_execz .LBB317_6
; %bb.5:                                ;   in Loop: Header=BB317_4 Depth=1
	v_add_co_u32 v15, s2, v1, s10
	s_delay_alu instid0(VALU_DEP_1)
	v_add_co_ci_u32_e64 v16, s2, s11, v2, s2
	global_load_u8 v15, v[15:16], off
.LBB317_6:                              ;   in Loop: Header=BB317_4 Depth=1
	s_or_b32 exec_lo, exec_lo, s3
	v_add_co_u32 v16, s2, v13, s10
	s_delay_alu instid0(VALU_DEP_1) | instskip(NEXT) | instid1(VALU_DEP_1)
	v_add_co_ci_u32_e64 v17, s2, s11, v14, s2
	v_cmp_gt_u64_e64 s2, s[8:9], v[16:17]
	v_mov_b32_e32 v17, 0
	s_delay_alu instid0(VALU_DEP_2)
	s_and_saveexec_b32 s4, s2
	s_cbranch_execz .LBB317_8
; %bb.7:                                ;   in Loop: Header=BB317_4 Depth=1
	v_add_co_u32 v16, s3, v11, s10
	s_delay_alu instid0(VALU_DEP_1)
	v_add_co_ci_u32_e64 v17, s3, s11, v12, s3
	global_load_u8 v17, v[16:17], off
.LBB317_8:                              ;   in Loop: Header=BB317_4 Depth=1
	s_or_b32 exec_lo, exec_lo, s4
	v_add_co_u32 v18, s3, v9, s10
	s_delay_alu instid0(VALU_DEP_1) | instskip(SKIP_1) | instid1(VALU_DEP_2)
	v_add_co_ci_u32_e64 v19, s3, s11, v10, s3
	v_mov_b32_e32 v16, 0
	v_cmp_gt_u64_e64 s3, s[8:9], v[18:19]
	v_mov_b32_e32 v18, 0
	s_delay_alu instid0(VALU_DEP_2)
	s_and_saveexec_b32 s5, s3
	s_cbranch_execz .LBB317_10
; %bb.9:                                ;   in Loop: Header=BB317_4 Depth=1
	v_add_co_u32 v18, s4, v7, s10
	s_delay_alu instid0(VALU_DEP_1)
	v_add_co_ci_u32_e64 v19, s4, s11, v8, s4
	global_load_u8 v18, v[18:19], off
.LBB317_10:                             ;   in Loop: Header=BB317_4 Depth=1
	s_or_b32 exec_lo, exec_lo, s5
	v_add_co_u32 v19, s4, v3, s10
	s_delay_alu instid0(VALU_DEP_1) | instskip(NEXT) | instid1(VALU_DEP_1)
	v_add_co_ci_u32_e64 v20, s4, s11, v4, s4
	v_cmp_gt_u64_e64 s4, s[8:9], v[19:20]
	s_delay_alu instid0(VALU_DEP_1)
	s_and_saveexec_b32 s15, s4
	s_cbranch_execnz .LBB317_15
; %bb.11:                               ;   in Loop: Header=BB317_4 Depth=1
	s_or_b32 exec_lo, exec_lo, s15
	s_and_saveexec_b32 s5, vcc_lo
	s_cbranch_execnz .LBB317_16
.LBB317_12:                             ;   in Loop: Header=BB317_4 Depth=1
	s_or_b32 exec_lo, exec_lo, s5
	s_and_saveexec_b32 s5, s2
	s_cbranch_execnz .LBB317_17
.LBB317_13:                             ;   in Loop: Header=BB317_4 Depth=1
	s_or_b32 exec_lo, exec_lo, s5
	s_and_saveexec_b32 s2, s3
	s_cbranch_execnz .LBB317_18
.LBB317_14:                             ;   in Loop: Header=BB317_4 Depth=1
	s_or_b32 exec_lo, exec_lo, s2
	s_and_saveexec_b32 s2, s4
	s_cbranch_execz .LBB317_3
	s_branch .LBB317_19
.LBB317_15:                             ;   in Loop: Header=BB317_4 Depth=1
	v_add_co_u32 v19, s5, v5, s10
	s_delay_alu instid0(VALU_DEP_1)
	v_add_co_ci_u32_e64 v20, s5, s11, v6, s5
	global_load_u8 v16, v[19:20], off
	s_or_b32 exec_lo, exec_lo, s15
	s_and_saveexec_b32 s5, vcc_lo
	s_cbranch_execz .LBB317_12
.LBB317_16:                             ;   in Loop: Header=BB317_4 Depth=1
	v_add_co_u32 v19, vcc_lo, v1, s10
	v_add_co_ci_u32_e32 v20, vcc_lo, s11, v2, vcc_lo
	s_waitcnt vmcnt(0)
	v_sub_nc_u16 v15, 0, v15
	global_store_b8 v[19:20], v15, off
	s_or_b32 exec_lo, exec_lo, s5
	s_and_saveexec_b32 s5, s2
	s_cbranch_execz .LBB317_13
.LBB317_17:                             ;   in Loop: Header=BB317_4 Depth=1
	v_add_co_u32 v19, vcc_lo, v11, s10
	s_waitcnt vmcnt(0)
	v_sub_nc_u16 v15, 0, v17
	v_add_co_ci_u32_e32 v20, vcc_lo, s11, v12, vcc_lo
	global_store_b8 v[19:20], v15, off
	s_or_b32 exec_lo, exec_lo, s5
	s_and_saveexec_b32 s2, s3
	s_cbranch_execz .LBB317_14
.LBB317_18:                             ;   in Loop: Header=BB317_4 Depth=1
	s_waitcnt vmcnt(0)
	v_add_co_u32 v17, vcc_lo, v7, s10
	v_sub_nc_u16 v15, 0, v18
	v_add_co_ci_u32_e32 v18, vcc_lo, s11, v8, vcc_lo
	global_store_b8 v[17:18], v15, off
	s_or_b32 exec_lo, exec_lo, s2
	s_and_saveexec_b32 s2, s4
	s_cbranch_execz .LBB317_3
.LBB317_19:                             ;   in Loop: Header=BB317_4 Depth=1
	s_waitcnt vmcnt(0)
	v_add_co_u32 v15, vcc_lo, v5, s10
	v_sub_nc_u16 v17, 0, v16
	v_add_co_ci_u32_e32 v16, vcc_lo, s11, v6, vcc_lo
	global_store_b8 v[15:16], v17, off
	s_branch .LBB317_3
.LBB317_20:
	s_cbranch_execz .LBB317_22
	s_branch .LBB317_25
.LBB317_21:
.LBB317_22:
	v_dual_mov_b32 v1, 0 :: v_dual_lshlrev_b32 v0, 2, v0
	s_mov_b32 s2, exec_lo
	s_delay_alu instid0(VALU_DEP_1)
	v_cmpx_gt_i64_e64 s[6:7], v[0:1]
	s_cbranch_execz .LBB317_25
; %bb.23:
	s_load_b32 s0, s[0:1], 0xd3c
	s_mov_b32 s2, 0
	s_waitcnt lgkmcnt(0)
	s_and_b32 s0, s0, 0xffff
	s_delay_alu instid0(SALU_CYCLE_1)
	s_lshl_b32 s1, s0, 2
	s_set_inst_prefetch_distance 0x1
	.p2align	6
.LBB317_24:                             ; =>This Inner Loop Header: Depth=1
	v_add_co_u32 v2, vcc_lo, s12, v0
	v_add_co_ci_u32_e32 v3, vcc_lo, s13, v1, vcc_lo
	v_add_co_u32 v0, vcc_lo, s1, v0
	v_add_co_ci_u32_e32 v1, vcc_lo, 0, v1, vcc_lo
	global_load_b32 v4, v[2:3], off
	v_cmp_le_i64_e32 vcc_lo, s[6:7], v[0:1]
	v_cmp_lt_u64_e64 s0, 0xffff, v[0:1]
	s_delay_alu instid0(VALU_DEP_1) | instskip(NEXT) | instid1(SALU_CYCLE_1)
	s_or_b32 s0, vcc_lo, s0
	s_and_b32 s0, exec_lo, s0
	s_delay_alu instid0(SALU_CYCLE_1)
	s_or_b32 s2, s0, s2
	s_waitcnt vmcnt(0)
	v_and_b32_e32 v5, 0xff0000, v4
	v_and_b32_e32 v6, 0xff00, v4
	;; [unrolled: 1-line block ×3, first 2 shown]
	v_sub_nc_u32_e32 v4, 0, v4
	s_delay_alu instid0(VALU_DEP_4) | instskip(NEXT) | instid1(VALU_DEP_4)
	v_sub_nc_u32_e32 v5, 0, v5
	v_sub_nc_u32_e32 v6, 0, v6
	s_delay_alu instid0(VALU_DEP_3) | instskip(NEXT) | instid1(VALU_DEP_3)
	v_and_b32_e32 v4, 0xff, v4
	v_and_b32_e32 v5, 0xff0000, v5
	s_delay_alu instid0(VALU_DEP_3) | instskip(NEXT) | instid1(VALU_DEP_2)
	v_and_b32_e32 v6, 0xff00, v6
	v_sub_nc_u32_e32 v5, v5, v7
	s_delay_alu instid0(VALU_DEP_1)
	v_or3_b32 v4, v5, v6, v4
	global_store_b32 v[2:3], v4, off
	s_and_not1_b32 exec_lo, exec_lo, s2
	s_cbranch_execnz .LBB317_24
.LBB317_25:
	s_set_inst_prefetch_distance 0x2
	s_nop 0
	s_sendmsg sendmsg(MSG_DEALLOC_VGPRS)
	s_endpgm
	.section	.rodata,"a",@progbits
	.p2align	6, 0x0
	.amdhsa_kernel _ZN2at6native12_GLOBAL__N_125multi_tensor_apply_kernelINS1_18TensorListMetadataILi1EEENS1_14UnaryOpFunctorIhLi1ELi1ELi0EEEJSt6negateIhEEEEvT_T0_DpT1_
		.amdhsa_group_segment_fixed_size 0
		.amdhsa_private_segment_fixed_size 0
		.amdhsa_kernarg_size 3632
		.amdhsa_user_sgpr_count 15
		.amdhsa_user_sgpr_dispatch_ptr 0
		.amdhsa_user_sgpr_queue_ptr 0
		.amdhsa_user_sgpr_kernarg_segment_ptr 1
		.amdhsa_user_sgpr_dispatch_id 0
		.amdhsa_user_sgpr_private_segment_size 0
		.amdhsa_wavefront_size32 1
		.amdhsa_uses_dynamic_stack 0
		.amdhsa_enable_private_segment 0
		.amdhsa_system_sgpr_workgroup_id_x 1
		.amdhsa_system_sgpr_workgroup_id_y 0
		.amdhsa_system_sgpr_workgroup_id_z 0
		.amdhsa_system_sgpr_workgroup_info 0
		.amdhsa_system_vgpr_workitem_id 0
		.amdhsa_next_free_vgpr 21
		.amdhsa_next_free_sgpr 17
		.amdhsa_reserve_vcc 1
		.amdhsa_float_round_mode_32 0
		.amdhsa_float_round_mode_16_64 0
		.amdhsa_float_denorm_mode_32 3
		.amdhsa_float_denorm_mode_16_64 3
		.amdhsa_dx10_clamp 1
		.amdhsa_ieee_mode 1
		.amdhsa_fp16_overflow 0
		.amdhsa_workgroup_processor_mode 1
		.amdhsa_memory_ordered 1
		.amdhsa_forward_progress 0
		.amdhsa_shared_vgpr_count 0
		.amdhsa_exception_fp_ieee_invalid_op 0
		.amdhsa_exception_fp_denorm_src 0
		.amdhsa_exception_fp_ieee_div_zero 0
		.amdhsa_exception_fp_ieee_overflow 0
		.amdhsa_exception_fp_ieee_underflow 0
		.amdhsa_exception_fp_ieee_inexact 0
		.amdhsa_exception_int_div_zero 0
	.end_amdhsa_kernel
	.section	.text._ZN2at6native12_GLOBAL__N_125multi_tensor_apply_kernelINS1_18TensorListMetadataILi1EEENS1_14UnaryOpFunctorIhLi1ELi1ELi0EEEJSt6negateIhEEEEvT_T0_DpT1_,"axG",@progbits,_ZN2at6native12_GLOBAL__N_125multi_tensor_apply_kernelINS1_18TensorListMetadataILi1EEENS1_14UnaryOpFunctorIhLi1ELi1ELi0EEEJSt6negateIhEEEEvT_T0_DpT1_,comdat
.Lfunc_end317:
	.size	_ZN2at6native12_GLOBAL__N_125multi_tensor_apply_kernelINS1_18TensorListMetadataILi1EEENS1_14UnaryOpFunctorIhLi1ELi1ELi0EEEJSt6negateIhEEEEvT_T0_DpT1_, .Lfunc_end317-_ZN2at6native12_GLOBAL__N_125multi_tensor_apply_kernelINS1_18TensorListMetadataILi1EEENS1_14UnaryOpFunctorIhLi1ELi1ELi0EEEJSt6negateIhEEEEvT_T0_DpT1_
                                        ; -- End function
	.section	.AMDGPU.csdata,"",@progbits
; Kernel info:
; codeLenInByte = 1236
; NumSgprs: 19
; NumVgprs: 21
; ScratchSize: 0
; MemoryBound: 0
; FloatMode: 240
; IeeeMode: 1
; LDSByteSize: 0 bytes/workgroup (compile time only)
; SGPRBlocks: 2
; VGPRBlocks: 2
; NumSGPRsForWavesPerEU: 19
; NumVGPRsForWavesPerEU: 21
; Occupancy: 16
; WaveLimiterHint : 0
; COMPUTE_PGM_RSRC2:SCRATCH_EN: 0
; COMPUTE_PGM_RSRC2:USER_SGPR: 15
; COMPUTE_PGM_RSRC2:TRAP_HANDLER: 0
; COMPUTE_PGM_RSRC2:TGID_X_EN: 1
; COMPUTE_PGM_RSRC2:TGID_Y_EN: 0
; COMPUTE_PGM_RSRC2:TGID_Z_EN: 0
; COMPUTE_PGM_RSRC2:TIDIG_COMP_CNT: 0
	.section	.text._ZN2at6native12_GLOBAL__N_125multi_tensor_apply_kernelINS1_18TensorListMetadataILi1EEENS1_14UnaryOpFunctorIaLi1ELi1ELi0EEEJSt6negateIaEEEEvT_T0_DpT1_,"axG",@progbits,_ZN2at6native12_GLOBAL__N_125multi_tensor_apply_kernelINS1_18TensorListMetadataILi1EEENS1_14UnaryOpFunctorIaLi1ELi1ELi0EEEJSt6negateIaEEEEvT_T0_DpT1_,comdat
	.globl	_ZN2at6native12_GLOBAL__N_125multi_tensor_apply_kernelINS1_18TensorListMetadataILi1EEENS1_14UnaryOpFunctorIaLi1ELi1ELi0EEEJSt6negateIaEEEEvT_T0_DpT1_ ; -- Begin function _ZN2at6native12_GLOBAL__N_125multi_tensor_apply_kernelINS1_18TensorListMetadataILi1EEENS1_14UnaryOpFunctorIaLi1ELi1ELi0EEEJSt6negateIaEEEEvT_T0_DpT1_
	.p2align	8
	.type	_ZN2at6native12_GLOBAL__N_125multi_tensor_apply_kernelINS1_18TensorListMetadataILi1EEENS1_14UnaryOpFunctorIaLi1ELi1ELi0EEEJSt6negateIaEEEEvT_T0_DpT1_,@function
_ZN2at6native12_GLOBAL__N_125multi_tensor_apply_kernelINS1_18TensorListMetadataILi1EEENS1_14UnaryOpFunctorIaLi1ELi1ELi0EEEJSt6negateIaEEEEvT_T0_DpT1_: ; @_ZN2at6native12_GLOBAL__N_125multi_tensor_apply_kernelINS1_18TensorListMetadataILi1EEENS1_14UnaryOpFunctorIaLi1ELi1ELi0EEEJSt6negateIaEEEEvT_T0_DpT1_
; %bb.0:
	v_mov_b32_e32 v1, s15
	s_add_u32 s2, s0, s15
	s_mul_hi_u32 s3, s15, 3
	s_mul_i32 s15, s15, 3
	s_addc_u32 s4, s1, 0
	global_load_u8 v1, v1, s[0:1] offset:1760
	s_add_u32 s2, s2, s15
	s_addc_u32 s3, s4, s3
	s_load_b32 s4, s[2:3], 0x820
	s_waitcnt vmcnt(0)
	v_readfirstlane_b32 s5, v1
	s_delay_alu instid0(VALU_DEP_1)
	s_lshl_b32 s5, s5, 3
	s_clause 0x1
	s_load_b64 s[2:3], s[0:1], s5 offset:0x0
	s_load_b64 s[8:9], s[0:1], s5 offset:0x370
	s_waitcnt lgkmcnt(0)
	s_ashr_i32 s5, s4, 31
	s_delay_alu instid0(SALU_CYCLE_1) | instskip(NEXT) | instid1(SALU_CYCLE_1)
	s_lshl_b64 s[4:5], s[4:5], 16
	s_add_u32 s12, s2, s4
	s_addc_u32 s13, s3, s5
	s_sub_u32 s6, s8, s4
	s_subb_u32 s7, s9, s5
	s_or_b32 s8, s8, s12
	s_delay_alu instid0(SALU_CYCLE_1) | instskip(NEXT) | instid1(SALU_CYCLE_1)
	s_and_b32 s8, s8, 3
	s_cmp_eq_u32 s8, 0
	s_cbranch_scc1 .LBB318_21
; %bb.1:
	v_cmp_lt_i64_e64 s8, s[6:7], 1
	s_delay_alu instid0(VALU_DEP_1)
	s_and_b32 vcc_lo, exec_lo, s8
	s_cbranch_vccnz .LBB318_20
; %bb.2:
	s_load_b32 s8, s[0:1], 0xd3c
	v_add_co_u32 v11, s9, s4, v0
	s_delay_alu instid0(VALU_DEP_1) | instskip(SKIP_1) | instid1(VALU_DEP_3)
	v_add_co_ci_u32_e64 v12, null, s5, 0, s9
	v_cmp_gt_u64_e64 s9, 0x10000, s[6:7]
	v_add_co_u32 v1, vcc_lo, s2, v11
	s_delay_alu instid0(VALU_DEP_3) | instskip(SKIP_2) | instid1(VALU_DEP_3)
	v_add_co_ci_u32_e32 v2, vcc_lo, s3, v12, vcc_lo
	s_waitcnt lgkmcnt(0)
	s_and_b32 s10, s8, 0xffff
	s_and_b32 s8, s9, exec_lo
	s_mul_i32 s15, s10, 3
	s_cselect_b32 s9, s7, 0
	s_cselect_b32 s8, s6, 0x10000
	s_lshl_b32 s11, s10, 1
	s_lshl_b32 s14, s10, 2
	s_add_u32 s16, s4, s15
	v_add_co_u32 v3, s15, s15, v0
	s_delay_alu instid0(VALU_DEP_1)
	v_add_co_ci_u32_e64 v4, null, 0, 0, s15
	s_addc_u32 s15, s5, 0
	s_add_u32 s16, s2, s16
	s_addc_u32 s15, s3, s15
	s_add_u32 s4, s4, s11
	;; [unrolled: 2-line block ×3, first 2 shown]
	s_addc_u32 s5, s3, s5
	v_add_co_u32 v7, s4, s4, v0
	s_add_u32 s2, s2, s10
	v_add_co_u32 v5, s16, s16, v0
	v_add_co_ci_u32_e64 v8, null, s5, 0, s4
	v_add_co_u32 v9, s4, s11, v0
	s_addc_u32 s3, s3, 0
	v_add_co_u32 v11, vcc_lo, s2, v11
	v_add_co_u32 v13, s2, v0, s10
	v_add_co_ci_u32_e64 v6, null, s15, 0, s16
	v_add_co_ci_u32_e64 v10, null, 0, 0, s4
	v_add_co_ci_u32_e32 v12, vcc_lo, s3, v12, vcc_lo
	v_add_co_ci_u32_e64 v14, null, 0, 0, s2
	s_mov_b64 s[10:11], 0
	s_branch .LBB318_4
.LBB318_3:                              ;   in Loop: Header=BB318_4 Depth=1
	s_or_b32 exec_lo, exec_lo, s2
	s_add_u32 s10, s10, s14
	s_addc_u32 s11, s11, 0
	s_delay_alu instid0(SALU_CYCLE_1) | instskip(SKIP_1) | instid1(VALU_DEP_1)
	v_cmp_lt_i64_e64 s2, s[10:11], s[6:7]
	v_cmp_gt_u64_e64 s3, 0x10000, s[10:11]
	s_and_b32 s2, s2, s3
	s_delay_alu instid0(SALU_CYCLE_1)
	s_and_b32 vcc_lo, exec_lo, s2
	s_cbranch_vccz .LBB318_20
.LBB318_4:                              ; =>This Inner Loop Header: Depth=1
	s_waitcnt vmcnt(0)
	v_add_co_u32 v15, s2, v0, s10
	s_delay_alu instid0(VALU_DEP_1) | instskip(NEXT) | instid1(VALU_DEP_1)
	v_add_co_ci_u32_e64 v16, null, 0, s11, s2
	v_cmp_gt_u64_e32 vcc_lo, s[8:9], v[15:16]
	v_mov_b32_e32 v15, 0
	s_and_saveexec_b32 s3, vcc_lo
	s_cbranch_execz .LBB318_6
; %bb.5:                                ;   in Loop: Header=BB318_4 Depth=1
	v_add_co_u32 v15, s2, v1, s10
	s_delay_alu instid0(VALU_DEP_1)
	v_add_co_ci_u32_e64 v16, s2, s11, v2, s2
	global_load_u8 v15, v[15:16], off
.LBB318_6:                              ;   in Loop: Header=BB318_4 Depth=1
	s_or_b32 exec_lo, exec_lo, s3
	v_add_co_u32 v16, s2, v13, s10
	s_delay_alu instid0(VALU_DEP_1) | instskip(NEXT) | instid1(VALU_DEP_1)
	v_add_co_ci_u32_e64 v17, s2, s11, v14, s2
	v_cmp_gt_u64_e64 s2, s[8:9], v[16:17]
	v_mov_b32_e32 v17, 0
	s_delay_alu instid0(VALU_DEP_2)
	s_and_saveexec_b32 s4, s2
	s_cbranch_execz .LBB318_8
; %bb.7:                                ;   in Loop: Header=BB318_4 Depth=1
	v_add_co_u32 v16, s3, v11, s10
	s_delay_alu instid0(VALU_DEP_1)
	v_add_co_ci_u32_e64 v17, s3, s11, v12, s3
	global_load_u8 v17, v[16:17], off
.LBB318_8:                              ;   in Loop: Header=BB318_4 Depth=1
	s_or_b32 exec_lo, exec_lo, s4
	v_add_co_u32 v18, s3, v9, s10
	s_delay_alu instid0(VALU_DEP_1) | instskip(SKIP_1) | instid1(VALU_DEP_2)
	v_add_co_ci_u32_e64 v19, s3, s11, v10, s3
	v_mov_b32_e32 v16, 0
	v_cmp_gt_u64_e64 s3, s[8:9], v[18:19]
	v_mov_b32_e32 v18, 0
	s_delay_alu instid0(VALU_DEP_2)
	s_and_saveexec_b32 s5, s3
	s_cbranch_execz .LBB318_10
; %bb.9:                                ;   in Loop: Header=BB318_4 Depth=1
	v_add_co_u32 v18, s4, v7, s10
	s_delay_alu instid0(VALU_DEP_1)
	v_add_co_ci_u32_e64 v19, s4, s11, v8, s4
	global_load_u8 v18, v[18:19], off
.LBB318_10:                             ;   in Loop: Header=BB318_4 Depth=1
	s_or_b32 exec_lo, exec_lo, s5
	v_add_co_u32 v19, s4, v3, s10
	s_delay_alu instid0(VALU_DEP_1) | instskip(NEXT) | instid1(VALU_DEP_1)
	v_add_co_ci_u32_e64 v20, s4, s11, v4, s4
	v_cmp_gt_u64_e64 s4, s[8:9], v[19:20]
	s_delay_alu instid0(VALU_DEP_1)
	s_and_saveexec_b32 s15, s4
	s_cbranch_execnz .LBB318_15
; %bb.11:                               ;   in Loop: Header=BB318_4 Depth=1
	s_or_b32 exec_lo, exec_lo, s15
	s_and_saveexec_b32 s5, vcc_lo
	s_cbranch_execnz .LBB318_16
.LBB318_12:                             ;   in Loop: Header=BB318_4 Depth=1
	s_or_b32 exec_lo, exec_lo, s5
	s_and_saveexec_b32 s5, s2
	s_cbranch_execnz .LBB318_17
.LBB318_13:                             ;   in Loop: Header=BB318_4 Depth=1
	s_or_b32 exec_lo, exec_lo, s5
	s_and_saveexec_b32 s2, s3
	s_cbranch_execnz .LBB318_18
.LBB318_14:                             ;   in Loop: Header=BB318_4 Depth=1
	s_or_b32 exec_lo, exec_lo, s2
	s_and_saveexec_b32 s2, s4
	s_cbranch_execz .LBB318_3
	s_branch .LBB318_19
.LBB318_15:                             ;   in Loop: Header=BB318_4 Depth=1
	v_add_co_u32 v19, s5, v5, s10
	s_delay_alu instid0(VALU_DEP_1)
	v_add_co_ci_u32_e64 v20, s5, s11, v6, s5
	global_load_u8 v16, v[19:20], off
	s_or_b32 exec_lo, exec_lo, s15
	s_and_saveexec_b32 s5, vcc_lo
	s_cbranch_execz .LBB318_12
.LBB318_16:                             ;   in Loop: Header=BB318_4 Depth=1
	v_add_co_u32 v19, vcc_lo, v1, s10
	v_add_co_ci_u32_e32 v20, vcc_lo, s11, v2, vcc_lo
	s_waitcnt vmcnt(0)
	v_sub_nc_u16 v15, 0, v15
	global_store_b8 v[19:20], v15, off
	s_or_b32 exec_lo, exec_lo, s5
	s_and_saveexec_b32 s5, s2
	s_cbranch_execz .LBB318_13
.LBB318_17:                             ;   in Loop: Header=BB318_4 Depth=1
	v_add_co_u32 v19, vcc_lo, v11, s10
	s_waitcnt vmcnt(0)
	v_sub_nc_u16 v15, 0, v17
	v_add_co_ci_u32_e32 v20, vcc_lo, s11, v12, vcc_lo
	global_store_b8 v[19:20], v15, off
	s_or_b32 exec_lo, exec_lo, s5
	s_and_saveexec_b32 s2, s3
	s_cbranch_execz .LBB318_14
.LBB318_18:                             ;   in Loop: Header=BB318_4 Depth=1
	s_waitcnt vmcnt(0)
	v_add_co_u32 v17, vcc_lo, v7, s10
	v_sub_nc_u16 v15, 0, v18
	v_add_co_ci_u32_e32 v18, vcc_lo, s11, v8, vcc_lo
	global_store_b8 v[17:18], v15, off
	s_or_b32 exec_lo, exec_lo, s2
	s_and_saveexec_b32 s2, s4
	s_cbranch_execz .LBB318_3
.LBB318_19:                             ;   in Loop: Header=BB318_4 Depth=1
	s_waitcnt vmcnt(0)
	v_add_co_u32 v15, vcc_lo, v5, s10
	v_sub_nc_u16 v17, 0, v16
	v_add_co_ci_u32_e32 v16, vcc_lo, s11, v6, vcc_lo
	global_store_b8 v[15:16], v17, off
	s_branch .LBB318_3
.LBB318_20:
	s_cbranch_execz .LBB318_22
	s_branch .LBB318_25
.LBB318_21:
.LBB318_22:
	v_dual_mov_b32 v1, 0 :: v_dual_lshlrev_b32 v0, 2, v0
	s_mov_b32 s2, exec_lo
	s_delay_alu instid0(VALU_DEP_1)
	v_cmpx_gt_i64_e64 s[6:7], v[0:1]
	s_cbranch_execz .LBB318_25
; %bb.23:
	s_load_b32 s0, s[0:1], 0xd3c
	s_mov_b32 s2, 0
	s_waitcnt lgkmcnt(0)
	s_and_b32 s0, s0, 0xffff
	s_delay_alu instid0(SALU_CYCLE_1)
	s_lshl_b32 s1, s0, 2
	s_set_inst_prefetch_distance 0x1
	.p2align	6
.LBB318_24:                             ; =>This Inner Loop Header: Depth=1
	v_add_co_u32 v2, vcc_lo, s12, v0
	v_add_co_ci_u32_e32 v3, vcc_lo, s13, v1, vcc_lo
	v_add_co_u32 v0, vcc_lo, s1, v0
	v_add_co_ci_u32_e32 v1, vcc_lo, 0, v1, vcc_lo
	global_load_b32 v4, v[2:3], off
	v_cmp_le_i64_e32 vcc_lo, s[6:7], v[0:1]
	v_cmp_lt_u64_e64 s0, 0xffff, v[0:1]
	s_delay_alu instid0(VALU_DEP_1) | instskip(NEXT) | instid1(SALU_CYCLE_1)
	s_or_b32 s0, vcc_lo, s0
	s_and_b32 s0, exec_lo, s0
	s_delay_alu instid0(SALU_CYCLE_1)
	s_or_b32 s2, s0, s2
	s_waitcnt vmcnt(0)
	v_and_b32_e32 v5, 0xff0000, v4
	v_and_b32_e32 v6, 0xff00, v4
	;; [unrolled: 1-line block ×3, first 2 shown]
	v_sub_nc_u32_e32 v4, 0, v4
	s_delay_alu instid0(VALU_DEP_4) | instskip(NEXT) | instid1(VALU_DEP_4)
	v_sub_nc_u32_e32 v5, 0, v5
	v_sub_nc_u32_e32 v6, 0, v6
	s_delay_alu instid0(VALU_DEP_3) | instskip(NEXT) | instid1(VALU_DEP_3)
	v_and_b32_e32 v4, 0xff, v4
	v_and_b32_e32 v5, 0xff0000, v5
	s_delay_alu instid0(VALU_DEP_3) | instskip(NEXT) | instid1(VALU_DEP_2)
	v_and_b32_e32 v6, 0xff00, v6
	v_sub_nc_u32_e32 v5, v5, v7
	s_delay_alu instid0(VALU_DEP_1)
	v_or3_b32 v4, v5, v6, v4
	global_store_b32 v[2:3], v4, off
	s_and_not1_b32 exec_lo, exec_lo, s2
	s_cbranch_execnz .LBB318_24
.LBB318_25:
	s_set_inst_prefetch_distance 0x2
	s_nop 0
	s_sendmsg sendmsg(MSG_DEALLOC_VGPRS)
	s_endpgm
	.section	.rodata,"a",@progbits
	.p2align	6, 0x0
	.amdhsa_kernel _ZN2at6native12_GLOBAL__N_125multi_tensor_apply_kernelINS1_18TensorListMetadataILi1EEENS1_14UnaryOpFunctorIaLi1ELi1ELi0EEEJSt6negateIaEEEEvT_T0_DpT1_
		.amdhsa_group_segment_fixed_size 0
		.amdhsa_private_segment_fixed_size 0
		.amdhsa_kernarg_size 3632
		.amdhsa_user_sgpr_count 15
		.amdhsa_user_sgpr_dispatch_ptr 0
		.amdhsa_user_sgpr_queue_ptr 0
		.amdhsa_user_sgpr_kernarg_segment_ptr 1
		.amdhsa_user_sgpr_dispatch_id 0
		.amdhsa_user_sgpr_private_segment_size 0
		.amdhsa_wavefront_size32 1
		.amdhsa_uses_dynamic_stack 0
		.amdhsa_enable_private_segment 0
		.amdhsa_system_sgpr_workgroup_id_x 1
		.amdhsa_system_sgpr_workgroup_id_y 0
		.amdhsa_system_sgpr_workgroup_id_z 0
		.amdhsa_system_sgpr_workgroup_info 0
		.amdhsa_system_vgpr_workitem_id 0
		.amdhsa_next_free_vgpr 21
		.amdhsa_next_free_sgpr 17
		.amdhsa_reserve_vcc 1
		.amdhsa_float_round_mode_32 0
		.amdhsa_float_round_mode_16_64 0
		.amdhsa_float_denorm_mode_32 3
		.amdhsa_float_denorm_mode_16_64 3
		.amdhsa_dx10_clamp 1
		.amdhsa_ieee_mode 1
		.amdhsa_fp16_overflow 0
		.amdhsa_workgroup_processor_mode 1
		.amdhsa_memory_ordered 1
		.amdhsa_forward_progress 0
		.amdhsa_shared_vgpr_count 0
		.amdhsa_exception_fp_ieee_invalid_op 0
		.amdhsa_exception_fp_denorm_src 0
		.amdhsa_exception_fp_ieee_div_zero 0
		.amdhsa_exception_fp_ieee_overflow 0
		.amdhsa_exception_fp_ieee_underflow 0
		.amdhsa_exception_fp_ieee_inexact 0
		.amdhsa_exception_int_div_zero 0
	.end_amdhsa_kernel
	.section	.text._ZN2at6native12_GLOBAL__N_125multi_tensor_apply_kernelINS1_18TensorListMetadataILi1EEENS1_14UnaryOpFunctorIaLi1ELi1ELi0EEEJSt6negateIaEEEEvT_T0_DpT1_,"axG",@progbits,_ZN2at6native12_GLOBAL__N_125multi_tensor_apply_kernelINS1_18TensorListMetadataILi1EEENS1_14UnaryOpFunctorIaLi1ELi1ELi0EEEJSt6negateIaEEEEvT_T0_DpT1_,comdat
.Lfunc_end318:
	.size	_ZN2at6native12_GLOBAL__N_125multi_tensor_apply_kernelINS1_18TensorListMetadataILi1EEENS1_14UnaryOpFunctorIaLi1ELi1ELi0EEEJSt6negateIaEEEEvT_T0_DpT1_, .Lfunc_end318-_ZN2at6native12_GLOBAL__N_125multi_tensor_apply_kernelINS1_18TensorListMetadataILi1EEENS1_14UnaryOpFunctorIaLi1ELi1ELi0EEEJSt6negateIaEEEEvT_T0_DpT1_
                                        ; -- End function
	.section	.AMDGPU.csdata,"",@progbits
; Kernel info:
; codeLenInByte = 1236
; NumSgprs: 19
; NumVgprs: 21
; ScratchSize: 0
; MemoryBound: 0
; FloatMode: 240
; IeeeMode: 1
; LDSByteSize: 0 bytes/workgroup (compile time only)
; SGPRBlocks: 2
; VGPRBlocks: 2
; NumSGPRsForWavesPerEU: 19
; NumVGPRsForWavesPerEU: 21
; Occupancy: 16
; WaveLimiterHint : 0
; COMPUTE_PGM_RSRC2:SCRATCH_EN: 0
; COMPUTE_PGM_RSRC2:USER_SGPR: 15
; COMPUTE_PGM_RSRC2:TRAP_HANDLER: 0
; COMPUTE_PGM_RSRC2:TGID_X_EN: 1
; COMPUTE_PGM_RSRC2:TGID_Y_EN: 0
; COMPUTE_PGM_RSRC2:TGID_Z_EN: 0
; COMPUTE_PGM_RSRC2:TIDIG_COMP_CNT: 0
	.section	.text._ZN2at6native12_GLOBAL__N_125multi_tensor_apply_kernelINS1_18TensorListMetadataILi1EEENS1_14UnaryOpFunctorIiLi1ELi1ELi0EEEJSt6negateIiEEEEvT_T0_DpT1_,"axG",@progbits,_ZN2at6native12_GLOBAL__N_125multi_tensor_apply_kernelINS1_18TensorListMetadataILi1EEENS1_14UnaryOpFunctorIiLi1ELi1ELi0EEEJSt6negateIiEEEEvT_T0_DpT1_,comdat
	.globl	_ZN2at6native12_GLOBAL__N_125multi_tensor_apply_kernelINS1_18TensorListMetadataILi1EEENS1_14UnaryOpFunctorIiLi1ELi1ELi0EEEJSt6negateIiEEEEvT_T0_DpT1_ ; -- Begin function _ZN2at6native12_GLOBAL__N_125multi_tensor_apply_kernelINS1_18TensorListMetadataILi1EEENS1_14UnaryOpFunctorIiLi1ELi1ELi0EEEJSt6negateIiEEEEvT_T0_DpT1_
	.p2align	8
	.type	_ZN2at6native12_GLOBAL__N_125multi_tensor_apply_kernelINS1_18TensorListMetadataILi1EEENS1_14UnaryOpFunctorIiLi1ELi1ELi0EEEJSt6negateIiEEEEvT_T0_DpT1_,@function
_ZN2at6native12_GLOBAL__N_125multi_tensor_apply_kernelINS1_18TensorListMetadataILi1EEENS1_14UnaryOpFunctorIiLi1ELi1ELi0EEEJSt6negateIiEEEEvT_T0_DpT1_: ; @_ZN2at6native12_GLOBAL__N_125multi_tensor_apply_kernelINS1_18TensorListMetadataILi1EEENS1_14UnaryOpFunctorIiLi1ELi1ELi0EEEJSt6negateIiEEEEvT_T0_DpT1_
; %bb.0:
	v_mov_b32_e32 v1, s15
	s_add_u32 s2, s0, s15
	s_mul_hi_u32 s3, s15, 3
	s_mul_i32 s15, s15, 3
	s_addc_u32 s4, s1, 0
	global_load_u8 v1, v1, s[0:1] offset:1760
	s_add_u32 s2, s2, s15
	s_addc_u32 s3, s4, s3
	s_mov_b32 s13, 0
	s_load_b32 s2, s[2:3], 0x820
	s_waitcnt vmcnt(0)
	v_readfirstlane_b32 s5, v1
	s_delay_alu instid0(VALU_DEP_1)
	s_lshl_b32 s3, s5, 3
	s_clause 0x1
	s_load_b64 s[8:9], s[0:1], s3 offset:0x0
	s_load_b64 s[4:5], s[0:1], s3 offset:0x370
	s_waitcnt lgkmcnt(0)
	s_ashr_i32 s3, s2, 31
	s_delay_alu instid0(SALU_CYCLE_1)
	s_lshl_b64 s[10:11], s[2:3], 18
	s_lshl_b64 s[2:3], s[2:3], 16
	s_and_b32 s12, s8, 15
	s_sub_u32 s6, s4, s2
	s_subb_u32 s7, s5, s3
	s_and_b32 s2, s4, 3
	s_mov_b32 s3, s13
	s_delay_alu instid0(SALU_CYCLE_1) | instskip(NEXT) | instid1(SALU_CYCLE_1)
	s_or_b64 s[2:3], s[12:13], s[2:3]
	s_cmp_eq_u64 s[2:3], 0
	s_cbranch_scc1 .LBB319_21
; %bb.1:
	v_cmp_lt_i64_e64 s2, s[6:7], 1
	s_delay_alu instid0(VALU_DEP_1)
	s_and_b32 vcc_lo, exec_lo, s2
	s_cbranch_vccnz .LBB319_20
; %bb.2:
	s_load_b32 s2, s[0:1], 0xd3c
	v_cmp_gt_u64_e64 s3, 0x10000, s[6:7]
	v_lshlrev_b32_e32 v1, 2, v0
	s_waitcnt lgkmcnt(0)
	s_and_b32 s2, s2, 0xffff
	s_delay_alu instid0(VALU_DEP_2)
	s_and_b32 s3, s3, exec_lo
	v_add_co_u32 v5, s5, v0, s2
	s_cselect_b32 s13, s7, 0
	s_cselect_b32 s12, s6, 0x10000
	s_lshl_b32 s3, s2, 1
	s_lshl_b32 s16, s2, 2
	v_lshlrev_b32_e32 v3, 2, v5
	v_add_co_ci_u32_e64 v6, null, 0, 0, s5
	s_add_u32 s5, s8, s10
	v_add_co_u32 v9, s3, s3, v0
	s_mul_i32 s4, s2, 3
	s_addc_u32 s14, s9, s11
	v_add_co_ci_u32_e64 v10, null, 0, 0, s3
	v_add_co_u32 v1, s3, s5, v1
	v_add_co_u32 v7, s4, s4, v0
	v_add_co_ci_u32_e64 v2, null, s14, 0, s3
	v_add_co_u32 v3, s3, s5, v3
	v_add_co_ci_u32_e64 v8, null, 0, 0, s4
	v_add_co_ci_u32_e64 v4, null, s14, 0, s3
	s_lshl_b32 s17, s2, 4
	s_mul_i32 s18, s2, 12
	s_lshl_b32 s19, s2, 3
	s_mov_b64 s[14:15], 0
	s_branch .LBB319_4
.LBB319_3:                              ;   in Loop: Header=BB319_4 Depth=1
	s_or_b32 exec_lo, exec_lo, s2
	s_add_u32 s14, s14, s16
	s_addc_u32 s15, s15, 0
	v_add_co_u32 v1, vcc_lo, v1, s17
	v_cmp_lt_i64_e64 s2, s[14:15], s[6:7]
	v_cmp_gt_u64_e64 s3, 0x10000, s[14:15]
	v_add_co_ci_u32_e32 v2, vcc_lo, 0, v2, vcc_lo
	v_add_co_u32 v3, vcc_lo, v3, s17
	v_add_co_ci_u32_e32 v4, vcc_lo, 0, v4, vcc_lo
	s_delay_alu instid0(VALU_DEP_4) | instskip(NEXT) | instid1(SALU_CYCLE_1)
	s_and_b32 s2, s2, s3
	s_and_b32 vcc_lo, exec_lo, s2
	s_cbranch_vccz .LBB319_20
.LBB319_4:                              ; =>This Inner Loop Header: Depth=1
	s_waitcnt vmcnt(0)
	v_add_co_u32 v11, s2, v0, s14
	s_delay_alu instid0(VALU_DEP_1) | instskip(NEXT) | instid1(VALU_DEP_1)
	v_add_co_ci_u32_e64 v12, null, 0, s15, s2
	v_cmp_gt_u64_e32 vcc_lo, s[12:13], v[11:12]
	v_mov_b32_e32 v11, 0
	s_and_saveexec_b32 s2, vcc_lo
	s_cbranch_execz .LBB319_6
; %bb.5:                                ;   in Loop: Header=BB319_4 Depth=1
	global_load_b32 v11, v[1:2], off
.LBB319_6:                              ;   in Loop: Header=BB319_4 Depth=1
	s_or_b32 exec_lo, exec_lo, s2
	v_add_co_u32 v12, s2, v5, s14
	s_delay_alu instid0(VALU_DEP_1) | instskip(NEXT) | instid1(VALU_DEP_1)
	v_add_co_ci_u32_e64 v13, s2, s15, v6, s2
	v_cmp_gt_u64_e64 s2, s[12:13], v[12:13]
	v_mov_b32_e32 v13, 0
	s_delay_alu instid0(VALU_DEP_2)
	s_and_saveexec_b32 s3, s2
	s_cbranch_execz .LBB319_8
; %bb.7:                                ;   in Loop: Header=BB319_4 Depth=1
	global_load_b32 v13, v[3:4], off
.LBB319_8:                              ;   in Loop: Header=BB319_4 Depth=1
	s_or_b32 exec_lo, exec_lo, s3
	v_add_co_u32 v14, s3, v9, s14
	s_delay_alu instid0(VALU_DEP_1) | instskip(SKIP_1) | instid1(VALU_DEP_2)
	v_add_co_ci_u32_e64 v15, s3, s15, v10, s3
	v_mov_b32_e32 v12, 0
	v_cmp_gt_u64_e64 s3, s[12:13], v[14:15]
	v_mov_b32_e32 v14, 0
	s_delay_alu instid0(VALU_DEP_2)
	s_and_saveexec_b32 s5, s3
	s_cbranch_execz .LBB319_10
; %bb.9:                                ;   in Loop: Header=BB319_4 Depth=1
	v_add_co_u32 v14, s4, v1, s19
	s_delay_alu instid0(VALU_DEP_1)
	v_add_co_ci_u32_e64 v15, s4, 0, v2, s4
	global_load_b32 v14, v[14:15], off
.LBB319_10:                             ;   in Loop: Header=BB319_4 Depth=1
	s_or_b32 exec_lo, exec_lo, s5
	v_add_co_u32 v15, s4, v7, s14
	s_delay_alu instid0(VALU_DEP_1) | instskip(NEXT) | instid1(VALU_DEP_1)
	v_add_co_ci_u32_e64 v16, s4, s15, v8, s4
	v_cmp_gt_u64_e64 s4, s[12:13], v[15:16]
	s_delay_alu instid0(VALU_DEP_1)
	s_and_saveexec_b32 s20, s4
	s_cbranch_execnz .LBB319_15
; %bb.11:                               ;   in Loop: Header=BB319_4 Depth=1
	s_or_b32 exec_lo, exec_lo, s20
	s_and_saveexec_b32 s5, vcc_lo
	s_cbranch_execnz .LBB319_16
.LBB319_12:                             ;   in Loop: Header=BB319_4 Depth=1
	s_or_b32 exec_lo, exec_lo, s5
	s_and_saveexec_b32 s5, s2
	s_cbranch_execnz .LBB319_17
.LBB319_13:                             ;   in Loop: Header=BB319_4 Depth=1
	s_or_b32 exec_lo, exec_lo, s5
	s_and_saveexec_b32 s2, s3
	s_cbranch_execnz .LBB319_18
.LBB319_14:                             ;   in Loop: Header=BB319_4 Depth=1
	s_or_b32 exec_lo, exec_lo, s2
	s_and_saveexec_b32 s2, s4
	s_cbranch_execz .LBB319_3
	s_branch .LBB319_19
.LBB319_15:                             ;   in Loop: Header=BB319_4 Depth=1
	v_add_co_u32 v15, s5, v1, s18
	s_delay_alu instid0(VALU_DEP_1)
	v_add_co_ci_u32_e64 v16, s5, 0, v2, s5
	global_load_b32 v12, v[15:16], off
	s_or_b32 exec_lo, exec_lo, s20
	s_and_saveexec_b32 s5, vcc_lo
	s_cbranch_execz .LBB319_12
.LBB319_16:                             ;   in Loop: Header=BB319_4 Depth=1
	s_waitcnt vmcnt(0)
	v_sub_nc_u32_e32 v11, 0, v11
	global_store_b32 v[1:2], v11, off
	s_or_b32 exec_lo, exec_lo, s5
	s_and_saveexec_b32 s5, s2
	s_cbranch_execz .LBB319_13
.LBB319_17:                             ;   in Loop: Header=BB319_4 Depth=1
	s_waitcnt vmcnt(0)
	v_sub_nc_u32_e32 v11, 0, v13
	global_store_b32 v[3:4], v11, off
	s_or_b32 exec_lo, exec_lo, s5
	s_and_saveexec_b32 s2, s3
	s_cbranch_execz .LBB319_14
.LBB319_18:                             ;   in Loop: Header=BB319_4 Depth=1
	s_waitcnt vmcnt(0)
	v_add_co_u32 v13, vcc_lo, v1, s19
	v_sub_nc_u32_e32 v11, 0, v14
	v_add_co_ci_u32_e32 v14, vcc_lo, 0, v2, vcc_lo
	global_store_b32 v[13:14], v11, off
	s_or_b32 exec_lo, exec_lo, s2
	s_and_saveexec_b32 s2, s4
	s_cbranch_execz .LBB319_3
.LBB319_19:                             ;   in Loop: Header=BB319_4 Depth=1
	s_waitcnt vmcnt(0)
	v_add_co_u32 v11, vcc_lo, v1, s18
	v_sub_nc_u32_e32 v13, 0, v12
	v_add_co_ci_u32_e32 v12, vcc_lo, 0, v2, vcc_lo
	global_store_b32 v[11:12], v13, off
	s_branch .LBB319_3
.LBB319_20:
	s_cbranch_execz .LBB319_22
	s_branch .LBB319_25
.LBB319_21:
.LBB319_22:
	v_dual_mov_b32 v2, 0 :: v_dual_lshlrev_b32 v1, 2, v0
	s_mov_b32 s2, 0
	s_mov_b32 s3, exec_lo
	s_delay_alu instid0(VALU_DEP_1)
	v_cmpx_gt_i64_e64 s[6:7], v[1:2]
	s_cbranch_execz .LBB319_25
; %bb.23:
	s_load_b32 s0, s[0:1], 0xd3c
	v_lshlrev_b32_e32 v1, 4, v0
	s_waitcnt lgkmcnt(0)
	s_and_b32 s0, s0, 0xffff
	s_delay_alu instid0(SALU_CYCLE_1) | instskip(SKIP_3) | instid1(VALU_DEP_1)
	s_lshl_b32 s3, s0, 2
	s_add_u32 s1, s8, s10
	s_addc_u32 s4, s9, s11
	v_add_co_u32 v3, s1, s1, v1
	v_add_co_ci_u32_e64 v4, null, s4, 0, s1
	v_add_lshl_u32 v1, v0, s0, 2
	s_delay_alu instid0(VALU_DEP_3) | instskip(NEXT) | instid1(VALU_DEP_3)
	v_add_co_u32 v3, vcc_lo, v3, 8
	v_add_co_ci_u32_e32 v4, vcc_lo, 0, v4, vcc_lo
	s_lshl_b32 s4, s0, 4
	.p2align	6
.LBB319_24:                             ; =>This Inner Loop Header: Depth=1
	global_load_b128 v[5:8], v[3:4], off offset:-8
	v_cmp_le_i64_e32 vcc_lo, s[6:7], v[1:2]
	v_cmp_lt_u64_e64 s0, 0xffff, v[1:2]
	v_add_co_u32 v1, s1, v1, s3
	s_delay_alu instid0(VALU_DEP_1) | instskip(NEXT) | instid1(VALU_DEP_3)
	v_add_co_ci_u32_e64 v2, s1, 0, v2, s1
	s_or_b32 s0, vcc_lo, s0
	s_delay_alu instid0(SALU_CYCLE_1) | instskip(NEXT) | instid1(SALU_CYCLE_1)
	s_and_b32 s0, exec_lo, s0
	s_or_b32 s2, s0, s2
	s_waitcnt vmcnt(0)
	v_sub_nc_u32_e32 v5, 0, v5
	v_sub_nc_u32_e32 v6, 0, v6
	;; [unrolled: 1-line block ×4, first 2 shown]
	global_store_b128 v[3:4], v[5:8], off offset:-8
	v_add_co_u32 v3, vcc_lo, v3, s4
	v_add_co_ci_u32_e32 v4, vcc_lo, 0, v4, vcc_lo
	s_and_not1_b32 exec_lo, exec_lo, s2
	s_cbranch_execnz .LBB319_24
.LBB319_25:
	s_nop 0
	s_sendmsg sendmsg(MSG_DEALLOC_VGPRS)
	s_endpgm
	.section	.rodata,"a",@progbits
	.p2align	6, 0x0
	.amdhsa_kernel _ZN2at6native12_GLOBAL__N_125multi_tensor_apply_kernelINS1_18TensorListMetadataILi1EEENS1_14UnaryOpFunctorIiLi1ELi1ELi0EEEJSt6negateIiEEEEvT_T0_DpT1_
		.amdhsa_group_segment_fixed_size 0
		.amdhsa_private_segment_fixed_size 0
		.amdhsa_kernarg_size 3632
		.amdhsa_user_sgpr_count 15
		.amdhsa_user_sgpr_dispatch_ptr 0
		.amdhsa_user_sgpr_queue_ptr 0
		.amdhsa_user_sgpr_kernarg_segment_ptr 1
		.amdhsa_user_sgpr_dispatch_id 0
		.amdhsa_user_sgpr_private_segment_size 0
		.amdhsa_wavefront_size32 1
		.amdhsa_uses_dynamic_stack 0
		.amdhsa_enable_private_segment 0
		.amdhsa_system_sgpr_workgroup_id_x 1
		.amdhsa_system_sgpr_workgroup_id_y 0
		.amdhsa_system_sgpr_workgroup_id_z 0
		.amdhsa_system_sgpr_workgroup_info 0
		.amdhsa_system_vgpr_workitem_id 0
		.amdhsa_next_free_vgpr 17
		.amdhsa_next_free_sgpr 21
		.amdhsa_reserve_vcc 1
		.amdhsa_float_round_mode_32 0
		.amdhsa_float_round_mode_16_64 0
		.amdhsa_float_denorm_mode_32 3
		.amdhsa_float_denorm_mode_16_64 3
		.amdhsa_dx10_clamp 1
		.amdhsa_ieee_mode 1
		.amdhsa_fp16_overflow 0
		.amdhsa_workgroup_processor_mode 1
		.amdhsa_memory_ordered 1
		.amdhsa_forward_progress 0
		.amdhsa_shared_vgpr_count 0
		.amdhsa_exception_fp_ieee_invalid_op 0
		.amdhsa_exception_fp_denorm_src 0
		.amdhsa_exception_fp_ieee_div_zero 0
		.amdhsa_exception_fp_ieee_overflow 0
		.amdhsa_exception_fp_ieee_underflow 0
		.amdhsa_exception_fp_ieee_inexact 0
		.amdhsa_exception_int_div_zero 0
	.end_amdhsa_kernel
	.section	.text._ZN2at6native12_GLOBAL__N_125multi_tensor_apply_kernelINS1_18TensorListMetadataILi1EEENS1_14UnaryOpFunctorIiLi1ELi1ELi0EEEJSt6negateIiEEEEvT_T0_DpT1_,"axG",@progbits,_ZN2at6native12_GLOBAL__N_125multi_tensor_apply_kernelINS1_18TensorListMetadataILi1EEENS1_14UnaryOpFunctorIiLi1ELi1ELi0EEEJSt6negateIiEEEEvT_T0_DpT1_,comdat
.Lfunc_end319:
	.size	_ZN2at6native12_GLOBAL__N_125multi_tensor_apply_kernelINS1_18TensorListMetadataILi1EEENS1_14UnaryOpFunctorIiLi1ELi1ELi0EEEJSt6negateIiEEEEvT_T0_DpT1_, .Lfunc_end319-_ZN2at6native12_GLOBAL__N_125multi_tensor_apply_kernelINS1_18TensorListMetadataILi1EEENS1_14UnaryOpFunctorIiLi1ELi1ELi0EEEJSt6negateIiEEEEvT_T0_DpT1_
                                        ; -- End function
	.section	.AMDGPU.csdata,"",@progbits
; Kernel info:
; codeLenInByte = 1104
; NumSgprs: 23
; NumVgprs: 17
; ScratchSize: 0
; MemoryBound: 0
; FloatMode: 240
; IeeeMode: 1
; LDSByteSize: 0 bytes/workgroup (compile time only)
; SGPRBlocks: 2
; VGPRBlocks: 2
; NumSGPRsForWavesPerEU: 23
; NumVGPRsForWavesPerEU: 17
; Occupancy: 16
; WaveLimiterHint : 0
; COMPUTE_PGM_RSRC2:SCRATCH_EN: 0
; COMPUTE_PGM_RSRC2:USER_SGPR: 15
; COMPUTE_PGM_RSRC2:TRAP_HANDLER: 0
; COMPUTE_PGM_RSRC2:TGID_X_EN: 1
; COMPUTE_PGM_RSRC2:TGID_Y_EN: 0
; COMPUTE_PGM_RSRC2:TGID_Z_EN: 0
; COMPUTE_PGM_RSRC2:TIDIG_COMP_CNT: 0
	.section	.text._ZN2at6native12_GLOBAL__N_125multi_tensor_apply_kernelINS1_18TensorListMetadataILi1EEENS1_14UnaryOpFunctorIlLi1ELi1ELi0EEEJSt6negateIlEEEEvT_T0_DpT1_,"axG",@progbits,_ZN2at6native12_GLOBAL__N_125multi_tensor_apply_kernelINS1_18TensorListMetadataILi1EEENS1_14UnaryOpFunctorIlLi1ELi1ELi0EEEJSt6negateIlEEEEvT_T0_DpT1_,comdat
	.globl	_ZN2at6native12_GLOBAL__N_125multi_tensor_apply_kernelINS1_18TensorListMetadataILi1EEENS1_14UnaryOpFunctorIlLi1ELi1ELi0EEEJSt6negateIlEEEEvT_T0_DpT1_ ; -- Begin function _ZN2at6native12_GLOBAL__N_125multi_tensor_apply_kernelINS1_18TensorListMetadataILi1EEENS1_14UnaryOpFunctorIlLi1ELi1ELi0EEEJSt6negateIlEEEEvT_T0_DpT1_
	.p2align	8
	.type	_ZN2at6native12_GLOBAL__N_125multi_tensor_apply_kernelINS1_18TensorListMetadataILi1EEENS1_14UnaryOpFunctorIlLi1ELi1ELi0EEEJSt6negateIlEEEEvT_T0_DpT1_,@function
_ZN2at6native12_GLOBAL__N_125multi_tensor_apply_kernelINS1_18TensorListMetadataILi1EEENS1_14UnaryOpFunctorIlLi1ELi1ELi0EEEJSt6negateIlEEEEvT_T0_DpT1_: ; @_ZN2at6native12_GLOBAL__N_125multi_tensor_apply_kernelINS1_18TensorListMetadataILi1EEENS1_14UnaryOpFunctorIlLi1ELi1ELi0EEEJSt6negateIlEEEEvT_T0_DpT1_
; %bb.0:
	v_mov_b32_e32 v1, s15
	s_add_u32 s2, s0, s15
	s_mul_hi_u32 s3, s15, 3
	s_mul_i32 s15, s15, 3
	s_addc_u32 s4, s1, 0
	global_load_u8 v1, v1, s[0:1] offset:1760
	s_add_u32 s2, s2, s15
	s_addc_u32 s3, s4, s3
	s_mov_b32 s13, 0
	s_load_b32 s2, s[2:3], 0x820
	s_waitcnt vmcnt(0)
	v_readfirstlane_b32 s5, v1
	s_delay_alu instid0(VALU_DEP_1)
	s_lshl_b32 s3, s5, 3
	s_clause 0x1
	s_load_b64 s[8:9], s[0:1], s3 offset:0x0
	s_load_b64 s[4:5], s[0:1], s3 offset:0x370
	s_waitcnt lgkmcnt(0)
	s_ashr_i32 s3, s2, 31
	s_delay_alu instid0(SALU_CYCLE_1)
	s_lshl_b64 s[10:11], s[2:3], 19
	s_lshl_b64 s[2:3], s[2:3], 16
	s_and_b32 s12, s8, 31
	s_sub_u32 s6, s4, s2
	s_subb_u32 s7, s5, s3
	s_and_b32 s2, s4, 3
	s_mov_b32 s3, s13
	s_delay_alu instid0(SALU_CYCLE_1) | instskip(NEXT) | instid1(SALU_CYCLE_1)
	s_or_b64 s[2:3], s[12:13], s[2:3]
	s_cmp_eq_u64 s[2:3], 0
	s_cbranch_scc1 .LBB320_21
; %bb.1:
	v_cmp_lt_i64_e64 s2, s[6:7], 1
	s_delay_alu instid0(VALU_DEP_1)
	s_and_b32 vcc_lo, exec_lo, s2
	s_cbranch_vccnz .LBB320_20
; %bb.2:
	s_load_b32 s2, s[0:1], 0xd3c
	v_cmp_gt_u64_e64 s3, 0x10000, s[6:7]
	v_lshlrev_b32_e32 v1, 3, v0
	s_waitcnt lgkmcnt(0)
	s_and_b32 s2, s2, 0xffff
	s_delay_alu instid0(VALU_DEP_2)
	s_and_b32 s3, s3, exec_lo
	v_add_co_u32 v13, s5, v0, s2
	s_cselect_b32 s13, s7, 0
	s_cselect_b32 s12, s6, 0x10000
	s_lshl_b32 s3, s2, 1
	s_lshl_b32 s16, s2, 2
	v_lshlrev_b32_e32 v3, 3, v13
	v_add_co_ci_u32_e64 v14, null, 0, 0, s5
	s_add_u32 s5, s8, s10
	v_add_co_u32 v17, s3, s3, v0
	s_mul_i32 s4, s2, 3
	s_addc_u32 s14, s9, s11
	v_add_co_ci_u32_e64 v18, null, 0, 0, s3
	v_add_co_u32 v1, s3, s5, v1
	v_add_co_u32 v15, s4, s4, v0
	v_add_co_ci_u32_e64 v2, null, s14, 0, s3
	v_add_co_u32 v3, s3, s5, v3
	v_add_co_ci_u32_e64 v16, null, 0, 0, s4
	v_add_co_ci_u32_e64 v4, null, s14, 0, s3
	s_lshl_b32 s17, s2, 5
	s_mul_i32 s18, s2, 24
	s_lshl_b32 s19, s2, 4
	s_mov_b64 s[14:15], 0
	s_branch .LBB320_4
.LBB320_3:                              ;   in Loop: Header=BB320_4 Depth=1
	s_or_b32 exec_lo, exec_lo, s2
	s_add_u32 s14, s14, s16
	s_addc_u32 s15, s15, 0
	v_add_co_u32 v1, vcc_lo, v1, s17
	v_cmp_lt_i64_e64 s2, s[14:15], s[6:7]
	v_cmp_gt_u64_e64 s3, 0x10000, s[14:15]
	v_add_co_ci_u32_e32 v2, vcc_lo, 0, v2, vcc_lo
	v_add_co_u32 v3, vcc_lo, v3, s17
	v_add_co_ci_u32_e32 v4, vcc_lo, 0, v4, vcc_lo
	s_delay_alu instid0(VALU_DEP_4) | instskip(NEXT) | instid1(SALU_CYCLE_1)
	s_and_b32 s2, s2, s3
	s_and_b32 vcc_lo, exec_lo, s2
	s_cbranch_vccz .LBB320_20
.LBB320_4:                              ; =>This Inner Loop Header: Depth=1
	s_waitcnt vmcnt(0)
	v_add_co_u32 v7, s2, v0, s14
	s_delay_alu instid0(VALU_DEP_1) | instskip(SKIP_2) | instid1(VALU_DEP_3)
	v_add_co_ci_u32_e64 v8, null, 0, s15, s2
	v_mov_b32_e32 v5, 0
	v_mov_b32_e32 v6, 0
	v_cmp_gt_u64_e32 vcc_lo, s[12:13], v[7:8]
	s_delay_alu instid0(VALU_DEP_2)
	v_dual_mov_b32 v10, v6 :: v_dual_mov_b32 v9, v5
	s_and_saveexec_b32 s2, vcc_lo
	s_cbranch_execz .LBB320_6
; %bb.5:                                ;   in Loop: Header=BB320_4 Depth=1
	global_load_b64 v[9:10], v[1:2], off
.LBB320_6:                              ;   in Loop: Header=BB320_4 Depth=1
	s_or_b32 exec_lo, exec_lo, s2
	v_add_co_u32 v7, s2, v13, s14
	s_delay_alu instid0(VALU_DEP_1) | instskip(NEXT) | instid1(VALU_DEP_1)
	v_add_co_ci_u32_e64 v8, s2, s15, v14, s2
	v_cmp_gt_u64_e64 s2, s[12:13], v[7:8]
	s_delay_alu instid0(VALU_DEP_1)
	s_and_saveexec_b32 s3, s2
	s_cbranch_execz .LBB320_8
; %bb.7:                                ;   in Loop: Header=BB320_4 Depth=1
	global_load_b64 v[5:6], v[3:4], off
.LBB320_8:                              ;   in Loop: Header=BB320_4 Depth=1
	s_or_b32 exec_lo, exec_lo, s3
	v_add_co_u32 v11, s3, v17, s14
	s_delay_alu instid0(VALU_DEP_1) | instskip(SKIP_2) | instid1(VALU_DEP_3)
	v_add_co_ci_u32_e64 v12, s3, s15, v18, s3
	v_mov_b32_e32 v7, 0
	v_mov_b32_e32 v8, 0
	v_cmp_gt_u64_e64 s3, s[12:13], v[11:12]
	s_delay_alu instid0(VALU_DEP_2) | instskip(NEXT) | instid1(VALU_DEP_2)
	v_dual_mov_b32 v12, v8 :: v_dual_mov_b32 v11, v7
	s_and_saveexec_b32 s5, s3
	s_cbranch_execz .LBB320_10
; %bb.9:                                ;   in Loop: Header=BB320_4 Depth=1
	v_add_co_u32 v11, s4, v1, s19
	s_delay_alu instid0(VALU_DEP_1)
	v_add_co_ci_u32_e64 v12, s4, 0, v2, s4
	global_load_b64 v[11:12], v[11:12], off
.LBB320_10:                             ;   in Loop: Header=BB320_4 Depth=1
	s_or_b32 exec_lo, exec_lo, s5
	v_add_co_u32 v19, s4, v15, s14
	s_delay_alu instid0(VALU_DEP_1) | instskip(NEXT) | instid1(VALU_DEP_1)
	v_add_co_ci_u32_e64 v20, s4, s15, v16, s4
	v_cmp_gt_u64_e64 s4, s[12:13], v[19:20]
	s_delay_alu instid0(VALU_DEP_1)
	s_and_saveexec_b32 s20, s4
	s_cbranch_execnz .LBB320_15
; %bb.11:                               ;   in Loop: Header=BB320_4 Depth=1
	s_or_b32 exec_lo, exec_lo, s20
	s_and_saveexec_b32 s5, vcc_lo
	s_cbranch_execnz .LBB320_16
.LBB320_12:                             ;   in Loop: Header=BB320_4 Depth=1
	s_or_b32 exec_lo, exec_lo, s5
	s_and_saveexec_b32 s5, s2
	s_cbranch_execnz .LBB320_17
.LBB320_13:                             ;   in Loop: Header=BB320_4 Depth=1
	s_or_b32 exec_lo, exec_lo, s5
	s_and_saveexec_b32 s2, s3
	s_cbranch_execnz .LBB320_18
.LBB320_14:                             ;   in Loop: Header=BB320_4 Depth=1
	s_or_b32 exec_lo, exec_lo, s2
	s_and_saveexec_b32 s2, s4
	s_cbranch_execz .LBB320_3
	s_branch .LBB320_19
.LBB320_15:                             ;   in Loop: Header=BB320_4 Depth=1
	v_add_co_u32 v7, s5, v1, s18
	s_delay_alu instid0(VALU_DEP_1)
	v_add_co_ci_u32_e64 v8, s5, 0, v2, s5
	global_load_b64 v[7:8], v[7:8], off
	s_or_b32 exec_lo, exec_lo, s20
	s_and_saveexec_b32 s5, vcc_lo
	s_cbranch_execz .LBB320_12
.LBB320_16:                             ;   in Loop: Header=BB320_4 Depth=1
	s_waitcnt vmcnt(0)
	v_sub_co_u32 v9, vcc_lo, 0, v9
	v_sub_co_ci_u32_e32 v10, vcc_lo, 0, v10, vcc_lo
	global_store_b64 v[1:2], v[9:10], off
	s_or_b32 exec_lo, exec_lo, s5
	s_and_saveexec_b32 s5, s2
	s_cbranch_execz .LBB320_13
.LBB320_17:                             ;   in Loop: Header=BB320_4 Depth=1
	s_waitcnt vmcnt(0)
	v_sub_co_u32 v5, vcc_lo, 0, v5
	v_sub_co_ci_u32_e32 v6, vcc_lo, 0, v6, vcc_lo
	global_store_b64 v[3:4], v[5:6], off
	s_or_b32 exec_lo, exec_lo, s5
	s_and_saveexec_b32 s2, s3
	s_cbranch_execz .LBB320_14
.LBB320_18:                             ;   in Loop: Header=BB320_4 Depth=1
	s_waitcnt vmcnt(0)
	v_sub_co_u32 v5, vcc_lo, 0, v11
	v_sub_co_ci_u32_e32 v6, vcc_lo, 0, v12, vcc_lo
	v_add_co_u32 v9, vcc_lo, v1, s19
	v_add_co_ci_u32_e32 v10, vcc_lo, 0, v2, vcc_lo
	global_store_b64 v[9:10], v[5:6], off
	s_or_b32 exec_lo, exec_lo, s2
	s_and_saveexec_b32 s2, s4
	s_cbranch_execz .LBB320_3
.LBB320_19:                             ;   in Loop: Header=BB320_4 Depth=1
	s_waitcnt vmcnt(0)
	v_sub_co_u32 v5, vcc_lo, 0, v7
	v_sub_co_ci_u32_e32 v6, vcc_lo, 0, v8, vcc_lo
	v_add_co_u32 v7, vcc_lo, v1, s18
	v_add_co_ci_u32_e32 v8, vcc_lo, 0, v2, vcc_lo
	global_store_b64 v[7:8], v[5:6], off
	s_branch .LBB320_3
.LBB320_20:
	s_cbranch_execz .LBB320_22
	s_branch .LBB320_25
.LBB320_21:
.LBB320_22:
	v_dual_mov_b32 v2, 0 :: v_dual_lshlrev_b32 v1, 2, v0
	s_mov_b32 s2, 0
	s_mov_b32 s3, exec_lo
	s_delay_alu instid0(VALU_DEP_1)
	v_cmpx_gt_i64_e64 s[6:7], v[1:2]
	s_cbranch_execz .LBB320_25
; %bb.23:
	s_load_b32 s0, s[0:1], 0xd3c
	v_lshlrev_b32_e32 v1, 5, v0
	s_waitcnt lgkmcnt(0)
	s_and_b32 s0, s0, 0xffff
	s_delay_alu instid0(SALU_CYCLE_1) | instskip(SKIP_3) | instid1(VALU_DEP_1)
	s_lshl_b32 s3, s0, 2
	s_add_u32 s1, s8, s10
	s_addc_u32 s4, s9, s11
	v_add_co_u32 v3, s1, s1, v1
	v_add_co_ci_u32_e64 v4, null, s4, 0, s1
	v_add_lshl_u32 v1, v0, s0, 2
	s_delay_alu instid0(VALU_DEP_3) | instskip(NEXT) | instid1(VALU_DEP_3)
	v_add_co_u32 v3, vcc_lo, v3, 16
	v_add_co_ci_u32_e32 v4, vcc_lo, 0, v4, vcc_lo
	s_lshl_b32 s4, s0, 5
	s_set_inst_prefetch_distance 0x1
	.p2align	6
.LBB320_24:                             ; =>This Inner Loop Header: Depth=1
	s_clause 0x1
	global_load_b128 v[5:8], v[3:4], off offset:-16
	global_load_b128 v[9:12], v[3:4], off
	v_cmp_le_i64_e32 vcc_lo, s[6:7], v[1:2]
	v_cmp_lt_u64_e64 s0, 0xffff, v[1:2]
	s_delay_alu instid0(VALU_DEP_1) | instskip(NEXT) | instid1(SALU_CYCLE_1)
	s_or_b32 s0, vcc_lo, s0
	s_and_b32 s0, exec_lo, s0
	s_delay_alu instid0(SALU_CYCLE_1) | instskip(SKIP_2) | instid1(VALU_DEP_1)
	s_or_b32 s2, s0, s2
	s_waitcnt vmcnt(1)
	v_sub_co_u32 v5, s1, 0, v5
	v_sub_co_ci_u32_e64 v6, s1, 0, v6, s1
	v_sub_co_u32 v7, s1, 0, v7
	s_delay_alu instid0(VALU_DEP_1) | instskip(SKIP_2) | instid1(VALU_DEP_1)
	v_sub_co_ci_u32_e64 v8, s1, 0, v8, s1
	s_waitcnt vmcnt(0)
	v_sub_co_u32 v9, s1, 0, v9
	v_sub_co_ci_u32_e64 v10, s1, 0, v10, s1
	v_sub_co_u32 v11, s1, 0, v11
	s_delay_alu instid0(VALU_DEP_1)
	v_sub_co_ci_u32_e64 v12, s1, 0, v12, s1
	v_add_co_u32 v1, s1, v1, s3
	s_clause 0x1
	global_store_b128 v[3:4], v[5:8], off offset:-16
	global_store_b128 v[3:4], v[9:12], off
	v_add_co_u32 v3, vcc_lo, v3, s4
	v_add_co_ci_u32_e64 v2, s1, 0, v2, s1
	v_add_co_ci_u32_e32 v4, vcc_lo, 0, v4, vcc_lo
	s_and_not1_b32 exec_lo, exec_lo, s2
	s_cbranch_execnz .LBB320_24
.LBB320_25:
	s_set_inst_prefetch_distance 0x2
	s_nop 0
	s_sendmsg sendmsg(MSG_DEALLOC_VGPRS)
	s_endpgm
	.section	.rodata,"a",@progbits
	.p2align	6, 0x0
	.amdhsa_kernel _ZN2at6native12_GLOBAL__N_125multi_tensor_apply_kernelINS1_18TensorListMetadataILi1EEENS1_14UnaryOpFunctorIlLi1ELi1ELi0EEEJSt6negateIlEEEEvT_T0_DpT1_
		.amdhsa_group_segment_fixed_size 0
		.amdhsa_private_segment_fixed_size 0
		.amdhsa_kernarg_size 3632
		.amdhsa_user_sgpr_count 15
		.amdhsa_user_sgpr_dispatch_ptr 0
		.amdhsa_user_sgpr_queue_ptr 0
		.amdhsa_user_sgpr_kernarg_segment_ptr 1
		.amdhsa_user_sgpr_dispatch_id 0
		.amdhsa_user_sgpr_private_segment_size 0
		.amdhsa_wavefront_size32 1
		.amdhsa_uses_dynamic_stack 0
		.amdhsa_enable_private_segment 0
		.amdhsa_system_sgpr_workgroup_id_x 1
		.amdhsa_system_sgpr_workgroup_id_y 0
		.amdhsa_system_sgpr_workgroup_id_z 0
		.amdhsa_system_sgpr_workgroup_info 0
		.amdhsa_system_vgpr_workitem_id 0
		.amdhsa_next_free_vgpr 21
		.amdhsa_next_free_sgpr 21
		.amdhsa_reserve_vcc 1
		.amdhsa_float_round_mode_32 0
		.amdhsa_float_round_mode_16_64 0
		.amdhsa_float_denorm_mode_32 3
		.amdhsa_float_denorm_mode_16_64 3
		.amdhsa_dx10_clamp 1
		.amdhsa_ieee_mode 1
		.amdhsa_fp16_overflow 0
		.amdhsa_workgroup_processor_mode 1
		.amdhsa_memory_ordered 1
		.amdhsa_forward_progress 0
		.amdhsa_shared_vgpr_count 0
		.amdhsa_exception_fp_ieee_invalid_op 0
		.amdhsa_exception_fp_denorm_src 0
		.amdhsa_exception_fp_ieee_div_zero 0
		.amdhsa_exception_fp_ieee_overflow 0
		.amdhsa_exception_fp_ieee_underflow 0
		.amdhsa_exception_fp_ieee_inexact 0
		.amdhsa_exception_int_div_zero 0
	.end_amdhsa_kernel
	.section	.text._ZN2at6native12_GLOBAL__N_125multi_tensor_apply_kernelINS1_18TensorListMetadataILi1EEENS1_14UnaryOpFunctorIlLi1ELi1ELi0EEEJSt6negateIlEEEEvT_T0_DpT1_,"axG",@progbits,_ZN2at6native12_GLOBAL__N_125multi_tensor_apply_kernelINS1_18TensorListMetadataILi1EEENS1_14UnaryOpFunctorIlLi1ELi1ELi0EEEJSt6negateIlEEEEvT_T0_DpT1_,comdat
.Lfunc_end320:
	.size	_ZN2at6native12_GLOBAL__N_125multi_tensor_apply_kernelINS1_18TensorListMetadataILi1EEENS1_14UnaryOpFunctorIlLi1ELi1ELi0EEEJSt6negateIlEEEEvT_T0_DpT1_, .Lfunc_end320-_ZN2at6native12_GLOBAL__N_125multi_tensor_apply_kernelINS1_18TensorListMetadataILi1EEENS1_14UnaryOpFunctorIlLi1ELi1ELi0EEEJSt6negateIlEEEEvT_T0_DpT1_
                                        ; -- End function
	.section	.AMDGPU.csdata,"",@progbits
; Kernel info:
; codeLenInByte = 1248
; NumSgprs: 23
; NumVgprs: 21
; ScratchSize: 0
; MemoryBound: 0
; FloatMode: 240
; IeeeMode: 1
; LDSByteSize: 0 bytes/workgroup (compile time only)
; SGPRBlocks: 2
; VGPRBlocks: 2
; NumSGPRsForWavesPerEU: 23
; NumVGPRsForWavesPerEU: 21
; Occupancy: 16
; WaveLimiterHint : 0
; COMPUTE_PGM_RSRC2:SCRATCH_EN: 0
; COMPUTE_PGM_RSRC2:USER_SGPR: 15
; COMPUTE_PGM_RSRC2:TRAP_HANDLER: 0
; COMPUTE_PGM_RSRC2:TGID_X_EN: 1
; COMPUTE_PGM_RSRC2:TGID_Y_EN: 0
; COMPUTE_PGM_RSRC2:TGID_Z_EN: 0
; COMPUTE_PGM_RSRC2:TIDIG_COMP_CNT: 0
	.section	.text._ZN2at6native12_GLOBAL__N_125multi_tensor_apply_kernelINS1_18TensorListMetadataILi1EEENS1_14UnaryOpFunctorIsLi1ELi1ELi0EEEJSt6negateIsEEEEvT_T0_DpT1_,"axG",@progbits,_ZN2at6native12_GLOBAL__N_125multi_tensor_apply_kernelINS1_18TensorListMetadataILi1EEENS1_14UnaryOpFunctorIsLi1ELi1ELi0EEEJSt6negateIsEEEEvT_T0_DpT1_,comdat
	.globl	_ZN2at6native12_GLOBAL__N_125multi_tensor_apply_kernelINS1_18TensorListMetadataILi1EEENS1_14UnaryOpFunctorIsLi1ELi1ELi0EEEJSt6negateIsEEEEvT_T0_DpT1_ ; -- Begin function _ZN2at6native12_GLOBAL__N_125multi_tensor_apply_kernelINS1_18TensorListMetadataILi1EEENS1_14UnaryOpFunctorIsLi1ELi1ELi0EEEJSt6negateIsEEEEvT_T0_DpT1_
	.p2align	8
	.type	_ZN2at6native12_GLOBAL__N_125multi_tensor_apply_kernelINS1_18TensorListMetadataILi1EEENS1_14UnaryOpFunctorIsLi1ELi1ELi0EEEJSt6negateIsEEEEvT_T0_DpT1_,@function
_ZN2at6native12_GLOBAL__N_125multi_tensor_apply_kernelINS1_18TensorListMetadataILi1EEENS1_14UnaryOpFunctorIsLi1ELi1ELi0EEEJSt6negateIsEEEEvT_T0_DpT1_: ; @_ZN2at6native12_GLOBAL__N_125multi_tensor_apply_kernelINS1_18TensorListMetadataILi1EEENS1_14UnaryOpFunctorIsLi1ELi1ELi0EEEJSt6negateIsEEEEvT_T0_DpT1_
; %bb.0:
	v_mov_b32_e32 v1, s15
	s_add_u32 s2, s0, s15
	s_mul_hi_u32 s3, s15, 3
	s_mul_i32 s15, s15, 3
	s_addc_u32 s4, s1, 0
	global_load_u8 v1, v1, s[0:1] offset:1760
	s_add_u32 s2, s2, s15
	s_addc_u32 s3, s4, s3
	s_mov_b32 s13, 0
	s_load_b32 s2, s[2:3], 0x820
	s_waitcnt vmcnt(0)
	v_readfirstlane_b32 s5, v1
	s_delay_alu instid0(VALU_DEP_1)
	s_lshl_b32 s3, s5, 3
	s_clause 0x1
	s_load_b64 s[8:9], s[0:1], s3 offset:0x0
	s_load_b64 s[4:5], s[0:1], s3 offset:0x370
	s_waitcnt lgkmcnt(0)
	s_ashr_i32 s3, s2, 31
	s_delay_alu instid0(SALU_CYCLE_1)
	s_lshl_b64 s[10:11], s[2:3], 17
	s_lshl_b64 s[2:3], s[2:3], 16
	s_and_b32 s12, s8, 7
	s_sub_u32 s6, s4, s2
	s_subb_u32 s7, s5, s3
	s_and_b32 s2, s4, 3
	s_mov_b32 s3, s13
	s_delay_alu instid0(SALU_CYCLE_1) | instskip(NEXT) | instid1(SALU_CYCLE_1)
	s_or_b64 s[2:3], s[12:13], s[2:3]
	s_cmp_eq_u64 s[2:3], 0
	s_cbranch_scc1 .LBB321_21
; %bb.1:
	v_cmp_lt_i64_e64 s2, s[6:7], 1
	s_delay_alu instid0(VALU_DEP_1)
	s_and_b32 vcc_lo, exec_lo, s2
	s_cbranch_vccnz .LBB321_20
; %bb.2:
	s_load_b32 s2, s[0:1], 0xd3c
	v_cmp_gt_u64_e64 s3, 0x10000, s[6:7]
	v_lshlrev_b32_e32 v1, 1, v0
	s_waitcnt lgkmcnt(0)
	s_and_b32 s2, s2, 0xffff
	s_delay_alu instid0(VALU_DEP_2)
	s_and_b32 s3, s3, exec_lo
	v_add_co_u32 v5, s5, v0, s2
	s_cselect_b32 s13, s7, 0
	s_cselect_b32 s12, s6, 0x10000
	s_lshl_b32 s3, s2, 1
	s_lshl_b32 s16, s2, 2
	v_lshlrev_b32_e32 v3, 1, v5
	v_add_co_ci_u32_e64 v6, null, 0, 0, s5
	s_add_u32 s5, s8, s10
	v_add_co_u32 v9, s3, s3, v0
	s_mul_i32 s4, s2, 3
	s_addc_u32 s14, s9, s11
	v_add_co_ci_u32_e64 v10, null, 0, 0, s3
	v_add_co_u32 v1, s3, s5, v1
	v_add_co_u32 v7, s4, s4, v0
	v_add_co_ci_u32_e64 v2, null, s14, 0, s3
	v_add_co_u32 v3, s3, s5, v3
	v_add_co_ci_u32_e64 v8, null, 0, 0, s4
	v_add_co_ci_u32_e64 v4, null, s14, 0, s3
	s_lshl_b32 s17, s2, 3
	s_mul_i32 s18, s2, 6
	s_mov_b64 s[14:15], 0
	s_branch .LBB321_4
.LBB321_3:                              ;   in Loop: Header=BB321_4 Depth=1
	s_or_b32 exec_lo, exec_lo, s2
	s_add_u32 s14, s14, s16
	s_addc_u32 s15, s15, 0
	v_add_co_u32 v1, vcc_lo, v1, s17
	v_cmp_lt_i64_e64 s2, s[14:15], s[6:7]
	v_cmp_gt_u64_e64 s3, 0x10000, s[14:15]
	v_add_co_ci_u32_e32 v2, vcc_lo, 0, v2, vcc_lo
	v_add_co_u32 v3, vcc_lo, v3, s17
	v_add_co_ci_u32_e32 v4, vcc_lo, 0, v4, vcc_lo
	s_delay_alu instid0(VALU_DEP_4) | instskip(NEXT) | instid1(SALU_CYCLE_1)
	s_and_b32 s2, s2, s3
	s_and_b32 vcc_lo, exec_lo, s2
	s_cbranch_vccz .LBB321_20
.LBB321_4:                              ; =>This Inner Loop Header: Depth=1
	s_waitcnt vmcnt(0)
	v_add_co_u32 v11, s2, v0, s14
	s_delay_alu instid0(VALU_DEP_1) | instskip(NEXT) | instid1(VALU_DEP_1)
	v_add_co_ci_u32_e64 v12, null, 0, s15, s2
	v_cmp_gt_u64_e32 vcc_lo, s[12:13], v[11:12]
	v_mov_b32_e32 v11, 0
	s_and_saveexec_b32 s2, vcc_lo
	s_cbranch_execz .LBB321_6
; %bb.5:                                ;   in Loop: Header=BB321_4 Depth=1
	global_load_u16 v11, v[1:2], off
.LBB321_6:                              ;   in Loop: Header=BB321_4 Depth=1
	s_or_b32 exec_lo, exec_lo, s2
	v_add_co_u32 v12, s2, v5, s14
	s_delay_alu instid0(VALU_DEP_1) | instskip(NEXT) | instid1(VALU_DEP_1)
	v_add_co_ci_u32_e64 v13, s2, s15, v6, s2
	v_cmp_gt_u64_e64 s2, s[12:13], v[12:13]
	v_mov_b32_e32 v13, 0
	s_delay_alu instid0(VALU_DEP_2)
	s_and_saveexec_b32 s3, s2
	s_cbranch_execz .LBB321_8
; %bb.7:                                ;   in Loop: Header=BB321_4 Depth=1
	global_load_u16 v13, v[3:4], off
.LBB321_8:                              ;   in Loop: Header=BB321_4 Depth=1
	s_or_b32 exec_lo, exec_lo, s3
	v_add_co_u32 v14, s3, v9, s14
	s_delay_alu instid0(VALU_DEP_1) | instskip(SKIP_1) | instid1(VALU_DEP_2)
	v_add_co_ci_u32_e64 v15, s3, s15, v10, s3
	v_mov_b32_e32 v12, 0
	v_cmp_gt_u64_e64 s3, s[12:13], v[14:15]
	v_mov_b32_e32 v14, 0
	s_delay_alu instid0(VALU_DEP_2)
	s_and_saveexec_b32 s5, s3
	s_cbranch_execz .LBB321_10
; %bb.9:                                ;   in Loop: Header=BB321_4 Depth=1
	v_add_co_u32 v14, s4, v1, s16
	s_delay_alu instid0(VALU_DEP_1)
	v_add_co_ci_u32_e64 v15, s4, 0, v2, s4
	global_load_u16 v14, v[14:15], off
.LBB321_10:                             ;   in Loop: Header=BB321_4 Depth=1
	s_or_b32 exec_lo, exec_lo, s5
	v_add_co_u32 v15, s4, v7, s14
	s_delay_alu instid0(VALU_DEP_1) | instskip(NEXT) | instid1(VALU_DEP_1)
	v_add_co_ci_u32_e64 v16, s4, s15, v8, s4
	v_cmp_gt_u64_e64 s4, s[12:13], v[15:16]
	s_delay_alu instid0(VALU_DEP_1)
	s_and_saveexec_b32 s19, s4
	s_cbranch_execnz .LBB321_15
; %bb.11:                               ;   in Loop: Header=BB321_4 Depth=1
	s_or_b32 exec_lo, exec_lo, s19
	s_and_saveexec_b32 s5, vcc_lo
	s_cbranch_execnz .LBB321_16
.LBB321_12:                             ;   in Loop: Header=BB321_4 Depth=1
	s_or_b32 exec_lo, exec_lo, s5
	s_and_saveexec_b32 s5, s2
	s_cbranch_execnz .LBB321_17
.LBB321_13:                             ;   in Loop: Header=BB321_4 Depth=1
	s_or_b32 exec_lo, exec_lo, s5
	s_and_saveexec_b32 s2, s3
	s_cbranch_execnz .LBB321_18
.LBB321_14:                             ;   in Loop: Header=BB321_4 Depth=1
	s_or_b32 exec_lo, exec_lo, s2
	s_and_saveexec_b32 s2, s4
	s_cbranch_execz .LBB321_3
	s_branch .LBB321_19
.LBB321_15:                             ;   in Loop: Header=BB321_4 Depth=1
	v_add_co_u32 v15, s5, v1, s18
	s_delay_alu instid0(VALU_DEP_1)
	v_add_co_ci_u32_e64 v16, s5, 0, v2, s5
	global_load_u16 v12, v[15:16], off
	s_or_b32 exec_lo, exec_lo, s19
	s_and_saveexec_b32 s5, vcc_lo
	s_cbranch_execz .LBB321_12
.LBB321_16:                             ;   in Loop: Header=BB321_4 Depth=1
	s_waitcnt vmcnt(0)
	v_sub_nc_u16 v11, 0, v11
	global_store_b16 v[1:2], v11, off
	s_or_b32 exec_lo, exec_lo, s5
	s_and_saveexec_b32 s5, s2
	s_cbranch_execz .LBB321_13
.LBB321_17:                             ;   in Loop: Header=BB321_4 Depth=1
	s_waitcnt vmcnt(0)
	v_sub_nc_u16 v11, 0, v13
	global_store_b16 v[3:4], v11, off
	s_or_b32 exec_lo, exec_lo, s5
	s_and_saveexec_b32 s2, s3
	s_cbranch_execz .LBB321_14
.LBB321_18:                             ;   in Loop: Header=BB321_4 Depth=1
	s_waitcnt vmcnt(0)
	v_add_co_u32 v13, vcc_lo, v1, s16
	v_sub_nc_u16 v11, 0, v14
	v_add_co_ci_u32_e32 v14, vcc_lo, 0, v2, vcc_lo
	global_store_b16 v[13:14], v11, off
	s_or_b32 exec_lo, exec_lo, s2
	s_and_saveexec_b32 s2, s4
	s_cbranch_execz .LBB321_3
.LBB321_19:                             ;   in Loop: Header=BB321_4 Depth=1
	s_waitcnt vmcnt(0)
	v_add_co_u32 v11, vcc_lo, v1, s18
	v_sub_nc_u16 v13, 0, v12
	v_add_co_ci_u32_e32 v12, vcc_lo, 0, v2, vcc_lo
	global_store_b16 v[11:12], v13, off
	s_branch .LBB321_3
.LBB321_20:
	s_cbranch_execz .LBB321_22
	s_branch .LBB321_25
.LBB321_21:
.LBB321_22:
	v_dual_mov_b32 v2, 0 :: v_dual_lshlrev_b32 v1, 2, v0
	s_mov_b32 s3, 0
	s_mov_b32 s2, exec_lo
	s_delay_alu instid0(VALU_DEP_1)
	v_cmpx_gt_i64_e64 s[6:7], v[1:2]
	s_cbranch_execz .LBB321_25
; %bb.23:
	s_load_b32 s0, s[0:1], 0xd3c
	v_lshlrev_b32_e32 v3, 3, v0
	s_waitcnt lgkmcnt(0)
	s_and_b32 s0, s0, 0xffff
	s_add_u32 s1, s8, s10
	s_addc_u32 s2, s9, s11
	v_add_co_u32 v3, s1, s1, v3
	v_add_lshl_u32 v1, v0, s0, 2
	v_add_co_ci_u32_e64 v4, null, s2, 0, s1
	v_sub_co_u32 v0, vcc_lo, 0, 0
	s_lshl_b32 s4, s0, 3
	s_lshl_b32 s5, s0, 2
	s_set_inst_prefetch_distance 0x1
	.p2align	6
.LBB321_24:                             ; =>This Inner Loop Header: Depth=1
	global_load_b64 v[5:6], v[3:4], off
	v_cmp_lt_u64_e64 s1, 0xffff, v[1:2]
	s_waitcnt vmcnt(0)
	v_and_b32_e32 v0, 0xffff, v6
	v_sub_nc_u32_e32 v7, 0, v5
	v_and_b32_e32 v5, 0xffff0000, v5
	v_and_b32_e32 v6, 0xffff0000, v6
	s_delay_alu instid0(VALU_DEP_4) | instskip(NEXT) | instid1(VALU_DEP_4)
	v_sub_co_ci_u32_e64 v0, s0, 0, v0, vcc_lo
	v_and_b32_e32 v7, 0xffff, v7
	v_cmp_le_i64_e64 s0, s[6:7], v[1:2]
	s_delay_alu instid0(VALU_DEP_3) | instskip(NEXT) | instid1(VALU_DEP_3)
	v_and_b32_e32 v0, 0xffff, v0
	v_sub_nc_u32_e32 v5, v7, v5
	s_delay_alu instid0(VALU_DEP_3) | instskip(NEXT) | instid1(VALU_DEP_2)
	s_or_b32 s1, s0, s1
	v_sub_co_ci_u32_e64 v6, s2, v0, v6, vcc_lo
	v_add_co_u32 v1, s2, v1, s5
	s_delay_alu instid0(VALU_DEP_1) | instskip(SKIP_2) | instid1(VALU_DEP_1)
	v_add_co_ci_u32_e64 v2, s2, 0, v2, s2
	global_store_b64 v[3:4], v[5:6], off
	v_add_co_u32 v3, s0, v3, s4
	v_add_co_ci_u32_e64 v4, s0, 0, v4, s0
	s_and_b32 s0, exec_lo, s1
	s_delay_alu instid0(SALU_CYCLE_1) | instskip(NEXT) | instid1(SALU_CYCLE_1)
	s_or_b32 s3, s0, s3
	s_and_not1_b32 exec_lo, exec_lo, s3
	s_cbranch_execnz .LBB321_24
.LBB321_25:
	s_set_inst_prefetch_distance 0x2
	s_nop 0
	s_sendmsg sendmsg(MSG_DEALLOC_VGPRS)
	s_endpgm
	.section	.rodata,"a",@progbits
	.p2align	6, 0x0
	.amdhsa_kernel _ZN2at6native12_GLOBAL__N_125multi_tensor_apply_kernelINS1_18TensorListMetadataILi1EEENS1_14UnaryOpFunctorIsLi1ELi1ELi0EEEJSt6negateIsEEEEvT_T0_DpT1_
		.amdhsa_group_segment_fixed_size 0
		.amdhsa_private_segment_fixed_size 0
		.amdhsa_kernarg_size 3632
		.amdhsa_user_sgpr_count 15
		.amdhsa_user_sgpr_dispatch_ptr 0
		.amdhsa_user_sgpr_queue_ptr 0
		.amdhsa_user_sgpr_kernarg_segment_ptr 1
		.amdhsa_user_sgpr_dispatch_id 0
		.amdhsa_user_sgpr_private_segment_size 0
		.amdhsa_wavefront_size32 1
		.amdhsa_uses_dynamic_stack 0
		.amdhsa_enable_private_segment 0
		.amdhsa_system_sgpr_workgroup_id_x 1
		.amdhsa_system_sgpr_workgroup_id_y 0
		.amdhsa_system_sgpr_workgroup_id_z 0
		.amdhsa_system_sgpr_workgroup_info 0
		.amdhsa_system_vgpr_workitem_id 0
		.amdhsa_next_free_vgpr 17
		.amdhsa_next_free_sgpr 20
		.amdhsa_reserve_vcc 1
		.amdhsa_float_round_mode_32 0
		.amdhsa_float_round_mode_16_64 0
		.amdhsa_float_denorm_mode_32 3
		.amdhsa_float_denorm_mode_16_64 3
		.amdhsa_dx10_clamp 1
		.amdhsa_ieee_mode 1
		.amdhsa_fp16_overflow 0
		.amdhsa_workgroup_processor_mode 1
		.amdhsa_memory_ordered 1
		.amdhsa_forward_progress 0
		.amdhsa_shared_vgpr_count 0
		.amdhsa_exception_fp_ieee_invalid_op 0
		.amdhsa_exception_fp_denorm_src 0
		.amdhsa_exception_fp_ieee_div_zero 0
		.amdhsa_exception_fp_ieee_overflow 0
		.amdhsa_exception_fp_ieee_underflow 0
		.amdhsa_exception_fp_ieee_inexact 0
		.amdhsa_exception_int_div_zero 0
	.end_amdhsa_kernel
	.section	.text._ZN2at6native12_GLOBAL__N_125multi_tensor_apply_kernelINS1_18TensorListMetadataILi1EEENS1_14UnaryOpFunctorIsLi1ELi1ELi0EEEJSt6negateIsEEEEvT_T0_DpT1_,"axG",@progbits,_ZN2at6native12_GLOBAL__N_125multi_tensor_apply_kernelINS1_18TensorListMetadataILi1EEENS1_14UnaryOpFunctorIsLi1ELi1ELi0EEEJSt6negateIsEEEEvT_T0_DpT1_,comdat
.Lfunc_end321:
	.size	_ZN2at6native12_GLOBAL__N_125multi_tensor_apply_kernelINS1_18TensorListMetadataILi1EEENS1_14UnaryOpFunctorIsLi1ELi1ELi0EEEJSt6negateIsEEEEvT_T0_DpT1_, .Lfunc_end321-_ZN2at6native12_GLOBAL__N_125multi_tensor_apply_kernelINS1_18TensorListMetadataILi1EEENS1_14UnaryOpFunctorIsLi1ELi1ELi0EEEJSt6negateIsEEEEvT_T0_DpT1_
                                        ; -- End function
	.section	.AMDGPU.csdata,"",@progbits
; Kernel info:
; codeLenInByte = 1180
; NumSgprs: 22
; NumVgprs: 17
; ScratchSize: 0
; MemoryBound: 0
; FloatMode: 240
; IeeeMode: 1
; LDSByteSize: 0 bytes/workgroup (compile time only)
; SGPRBlocks: 2
; VGPRBlocks: 2
; NumSGPRsForWavesPerEU: 22
; NumVGPRsForWavesPerEU: 17
; Occupancy: 16
; WaveLimiterHint : 0
; COMPUTE_PGM_RSRC2:SCRATCH_EN: 0
; COMPUTE_PGM_RSRC2:USER_SGPR: 15
; COMPUTE_PGM_RSRC2:TRAP_HANDLER: 0
; COMPUTE_PGM_RSRC2:TGID_X_EN: 1
; COMPUTE_PGM_RSRC2:TGID_Y_EN: 0
; COMPUTE_PGM_RSRC2:TGID_Z_EN: 0
; COMPUTE_PGM_RSRC2:TIDIG_COMP_CNT: 0
	.section	.text._ZN2at6native12_GLOBAL__N_125multi_tensor_apply_kernelINS1_18TensorListMetadataILi1EEENS1_14UnaryOpFunctorIdLi1ELi1ELi0EEEJSt6negateIdEEEEvT_T0_DpT1_,"axG",@progbits,_ZN2at6native12_GLOBAL__N_125multi_tensor_apply_kernelINS1_18TensorListMetadataILi1EEENS1_14UnaryOpFunctorIdLi1ELi1ELi0EEEJSt6negateIdEEEEvT_T0_DpT1_,comdat
	.globl	_ZN2at6native12_GLOBAL__N_125multi_tensor_apply_kernelINS1_18TensorListMetadataILi1EEENS1_14UnaryOpFunctorIdLi1ELi1ELi0EEEJSt6negateIdEEEEvT_T0_DpT1_ ; -- Begin function _ZN2at6native12_GLOBAL__N_125multi_tensor_apply_kernelINS1_18TensorListMetadataILi1EEENS1_14UnaryOpFunctorIdLi1ELi1ELi0EEEJSt6negateIdEEEEvT_T0_DpT1_
	.p2align	8
	.type	_ZN2at6native12_GLOBAL__N_125multi_tensor_apply_kernelINS1_18TensorListMetadataILi1EEENS1_14UnaryOpFunctorIdLi1ELi1ELi0EEEJSt6negateIdEEEEvT_T0_DpT1_,@function
_ZN2at6native12_GLOBAL__N_125multi_tensor_apply_kernelINS1_18TensorListMetadataILi1EEENS1_14UnaryOpFunctorIdLi1ELi1ELi0EEEJSt6negateIdEEEEvT_T0_DpT1_: ; @_ZN2at6native12_GLOBAL__N_125multi_tensor_apply_kernelINS1_18TensorListMetadataILi1EEENS1_14UnaryOpFunctorIdLi1ELi1ELi0EEEJSt6negateIdEEEEvT_T0_DpT1_
; %bb.0:
	v_mov_b32_e32 v1, s15
	s_add_u32 s2, s0, s15
	s_mul_hi_u32 s3, s15, 3
	s_mul_i32 s15, s15, 3
	s_addc_u32 s4, s1, 0
	global_load_u8 v1, v1, s[0:1] offset:1760
	s_add_u32 s2, s2, s15
	s_addc_u32 s3, s4, s3
	s_mov_b32 s13, 0
	s_load_b32 s2, s[2:3], 0x820
	s_waitcnt vmcnt(0)
	v_readfirstlane_b32 s5, v1
	s_delay_alu instid0(VALU_DEP_1)
	s_lshl_b32 s3, s5, 3
	s_clause 0x1
	s_load_b64 s[8:9], s[0:1], s3 offset:0x0
	s_load_b64 s[4:5], s[0:1], s3 offset:0x370
	s_waitcnt lgkmcnt(0)
	s_ashr_i32 s3, s2, 31
	s_delay_alu instid0(SALU_CYCLE_1)
	s_lshl_b64 s[10:11], s[2:3], 19
	s_lshl_b64 s[2:3], s[2:3], 16
	s_and_b32 s12, s8, 31
	s_sub_u32 s6, s4, s2
	s_subb_u32 s7, s5, s3
	s_and_b32 s2, s4, 3
	s_mov_b32 s3, s13
	s_delay_alu instid0(SALU_CYCLE_1) | instskip(NEXT) | instid1(SALU_CYCLE_1)
	s_or_b64 s[2:3], s[12:13], s[2:3]
	s_cmp_eq_u64 s[2:3], 0
	s_cbranch_scc1 .LBB322_21
; %bb.1:
	v_cmp_lt_i64_e64 s2, s[6:7], 1
	s_delay_alu instid0(VALU_DEP_1)
	s_and_b32 vcc_lo, exec_lo, s2
	s_cbranch_vccnz .LBB322_20
; %bb.2:
	s_load_b32 s2, s[0:1], 0xd3c
	v_cmp_gt_u64_e64 s3, 0x10000, s[6:7]
	v_lshlrev_b32_e32 v1, 3, v0
	s_waitcnt lgkmcnt(0)
	s_and_b32 s2, s2, 0xffff
	s_delay_alu instid0(VALU_DEP_2)
	s_and_b32 s3, s3, exec_lo
	v_add_co_u32 v13, s5, v0, s2
	s_cselect_b32 s13, s7, 0
	s_cselect_b32 s12, s6, 0x10000
	s_lshl_b32 s3, s2, 1
	s_lshl_b32 s16, s2, 2
	v_lshlrev_b32_e32 v3, 3, v13
	v_add_co_ci_u32_e64 v14, null, 0, 0, s5
	s_add_u32 s5, s8, s10
	v_add_co_u32 v17, s3, s3, v0
	s_mul_i32 s4, s2, 3
	s_addc_u32 s14, s9, s11
	v_add_co_ci_u32_e64 v18, null, 0, 0, s3
	v_add_co_u32 v1, s3, s5, v1
	v_add_co_u32 v15, s4, s4, v0
	v_add_co_ci_u32_e64 v2, null, s14, 0, s3
	v_add_co_u32 v3, s3, s5, v3
	v_add_co_ci_u32_e64 v16, null, 0, 0, s4
	v_add_co_ci_u32_e64 v4, null, s14, 0, s3
	s_lshl_b32 s17, s2, 5
	s_mul_i32 s18, s2, 24
	s_lshl_b32 s19, s2, 4
	s_mov_b64 s[14:15], 0
	s_branch .LBB322_4
.LBB322_3:                              ;   in Loop: Header=BB322_4 Depth=1
	s_or_b32 exec_lo, exec_lo, s2
	s_add_u32 s14, s14, s16
	s_addc_u32 s15, s15, 0
	v_add_co_u32 v1, vcc_lo, v1, s17
	v_cmp_lt_i64_e64 s2, s[14:15], s[6:7]
	v_cmp_gt_u64_e64 s3, 0x10000, s[14:15]
	v_add_co_ci_u32_e32 v2, vcc_lo, 0, v2, vcc_lo
	v_add_co_u32 v3, vcc_lo, v3, s17
	v_add_co_ci_u32_e32 v4, vcc_lo, 0, v4, vcc_lo
	s_delay_alu instid0(VALU_DEP_4) | instskip(NEXT) | instid1(SALU_CYCLE_1)
	s_and_b32 s2, s2, s3
	s_and_b32 vcc_lo, exec_lo, s2
	s_cbranch_vccz .LBB322_20
.LBB322_4:                              ; =>This Inner Loop Header: Depth=1
	s_waitcnt vmcnt(0)
	v_add_co_u32 v7, s2, v0, s14
	s_delay_alu instid0(VALU_DEP_1) | instskip(SKIP_2) | instid1(VALU_DEP_3)
	v_add_co_ci_u32_e64 v8, null, 0, s15, s2
	v_mov_b32_e32 v5, 0
	v_mov_b32_e32 v6, 0
	v_cmp_gt_u64_e32 vcc_lo, s[12:13], v[7:8]
	s_delay_alu instid0(VALU_DEP_2)
	v_dual_mov_b32 v10, v6 :: v_dual_mov_b32 v9, v5
	s_and_saveexec_b32 s2, vcc_lo
	s_cbranch_execz .LBB322_6
; %bb.5:                                ;   in Loop: Header=BB322_4 Depth=1
	global_load_b64 v[9:10], v[1:2], off
.LBB322_6:                              ;   in Loop: Header=BB322_4 Depth=1
	s_or_b32 exec_lo, exec_lo, s2
	v_add_co_u32 v7, s2, v13, s14
	s_delay_alu instid0(VALU_DEP_1) | instskip(NEXT) | instid1(VALU_DEP_1)
	v_add_co_ci_u32_e64 v8, s2, s15, v14, s2
	v_cmp_gt_u64_e64 s2, s[12:13], v[7:8]
	s_delay_alu instid0(VALU_DEP_1)
	s_and_saveexec_b32 s3, s2
	s_cbranch_execz .LBB322_8
; %bb.7:                                ;   in Loop: Header=BB322_4 Depth=1
	global_load_b64 v[5:6], v[3:4], off
.LBB322_8:                              ;   in Loop: Header=BB322_4 Depth=1
	s_or_b32 exec_lo, exec_lo, s3
	v_add_co_u32 v11, s3, v17, s14
	s_delay_alu instid0(VALU_DEP_1) | instskip(SKIP_2) | instid1(VALU_DEP_3)
	v_add_co_ci_u32_e64 v12, s3, s15, v18, s3
	v_mov_b32_e32 v7, 0
	v_mov_b32_e32 v8, 0
	v_cmp_gt_u64_e64 s3, s[12:13], v[11:12]
	s_delay_alu instid0(VALU_DEP_2) | instskip(NEXT) | instid1(VALU_DEP_2)
	v_dual_mov_b32 v12, v8 :: v_dual_mov_b32 v11, v7
	s_and_saveexec_b32 s5, s3
	s_cbranch_execz .LBB322_10
; %bb.9:                                ;   in Loop: Header=BB322_4 Depth=1
	v_add_co_u32 v11, s4, v1, s19
	s_delay_alu instid0(VALU_DEP_1)
	v_add_co_ci_u32_e64 v12, s4, 0, v2, s4
	global_load_b64 v[11:12], v[11:12], off
.LBB322_10:                             ;   in Loop: Header=BB322_4 Depth=1
	s_or_b32 exec_lo, exec_lo, s5
	v_add_co_u32 v19, s4, v15, s14
	s_delay_alu instid0(VALU_DEP_1) | instskip(NEXT) | instid1(VALU_DEP_1)
	v_add_co_ci_u32_e64 v20, s4, s15, v16, s4
	v_cmp_gt_u64_e64 s4, s[12:13], v[19:20]
	s_delay_alu instid0(VALU_DEP_1)
	s_and_saveexec_b32 s20, s4
	s_cbranch_execnz .LBB322_15
; %bb.11:                               ;   in Loop: Header=BB322_4 Depth=1
	s_or_b32 exec_lo, exec_lo, s20
	s_and_saveexec_b32 s5, vcc_lo
	s_cbranch_execnz .LBB322_16
.LBB322_12:                             ;   in Loop: Header=BB322_4 Depth=1
	s_or_b32 exec_lo, exec_lo, s5
	s_and_saveexec_b32 s5, s2
	s_cbranch_execnz .LBB322_17
.LBB322_13:                             ;   in Loop: Header=BB322_4 Depth=1
	s_or_b32 exec_lo, exec_lo, s5
	s_and_saveexec_b32 s2, s3
	s_cbranch_execnz .LBB322_18
.LBB322_14:                             ;   in Loop: Header=BB322_4 Depth=1
	s_or_b32 exec_lo, exec_lo, s2
	s_and_saveexec_b32 s2, s4
	s_cbranch_execz .LBB322_3
	s_branch .LBB322_19
.LBB322_15:                             ;   in Loop: Header=BB322_4 Depth=1
	v_add_co_u32 v7, s5, v1, s18
	s_delay_alu instid0(VALU_DEP_1)
	v_add_co_ci_u32_e64 v8, s5, 0, v2, s5
	global_load_b64 v[7:8], v[7:8], off
	s_or_b32 exec_lo, exec_lo, s20
	s_and_saveexec_b32 s5, vcc_lo
	s_cbranch_execz .LBB322_12
.LBB322_16:                             ;   in Loop: Header=BB322_4 Depth=1
	s_waitcnt vmcnt(0)
	v_xor_b32_e32 v10, 0x80000000, v10
	global_store_b64 v[1:2], v[9:10], off
	s_or_b32 exec_lo, exec_lo, s5
	s_and_saveexec_b32 s5, s2
	s_cbranch_execz .LBB322_13
.LBB322_17:                             ;   in Loop: Header=BB322_4 Depth=1
	s_waitcnt vmcnt(0)
	v_xor_b32_e32 v6, 0x80000000, v6
	global_store_b64 v[3:4], v[5:6], off
	s_or_b32 exec_lo, exec_lo, s5
	s_and_saveexec_b32 s2, s3
	s_cbranch_execz .LBB322_14
.LBB322_18:                             ;   in Loop: Header=BB322_4 Depth=1
	s_waitcnt vmcnt(0)
	v_add_co_u32 v5, vcc_lo, v1, s19
	v_xor_b32_e32 v12, 0x80000000, v12
	v_add_co_ci_u32_e32 v6, vcc_lo, 0, v2, vcc_lo
	global_store_b64 v[5:6], v[11:12], off
	s_or_b32 exec_lo, exec_lo, s2
	s_and_saveexec_b32 s2, s4
	s_cbranch_execz .LBB322_3
.LBB322_19:                             ;   in Loop: Header=BB322_4 Depth=1
	s_waitcnt vmcnt(0)
	v_add_co_u32 v5, vcc_lo, v1, s18
	v_xor_b32_e32 v8, 0x80000000, v8
	v_add_co_ci_u32_e32 v6, vcc_lo, 0, v2, vcc_lo
	global_store_b64 v[5:6], v[7:8], off
	s_branch .LBB322_3
.LBB322_20:
	s_cbranch_execz .LBB322_22
	s_branch .LBB322_25
.LBB322_21:
.LBB322_22:
	v_dual_mov_b32 v2, 0 :: v_dual_lshlrev_b32 v1, 2, v0
	s_mov_b32 s2, 0
	s_mov_b32 s3, exec_lo
	s_delay_alu instid0(VALU_DEP_1)
	v_cmpx_gt_i64_e64 s[6:7], v[1:2]
	s_cbranch_execz .LBB322_25
; %bb.23:
	s_load_b32 s0, s[0:1], 0xd3c
	v_lshlrev_b32_e32 v1, 5, v0
	s_waitcnt lgkmcnt(0)
	s_and_b32 s0, s0, 0xffff
	s_delay_alu instid0(SALU_CYCLE_1) | instskip(SKIP_3) | instid1(VALU_DEP_1)
	s_lshl_b32 s3, s0, 2
	s_add_u32 s1, s8, s10
	s_addc_u32 s4, s9, s11
	v_add_co_u32 v3, s1, s1, v1
	v_add_co_ci_u32_e64 v4, null, s4, 0, s1
	v_add_lshl_u32 v1, v0, s0, 2
	s_delay_alu instid0(VALU_DEP_3) | instskip(NEXT) | instid1(VALU_DEP_3)
	v_add_co_u32 v3, vcc_lo, v3, 16
	v_add_co_ci_u32_e32 v4, vcc_lo, 0, v4, vcc_lo
	s_lshl_b32 s4, s0, 5
	.p2align	6
.LBB322_24:                             ; =>This Inner Loop Header: Depth=1
	s_clause 0x1
	global_load_b128 v[5:8], v[3:4], off offset:-16
	global_load_b128 v[9:12], v[3:4], off
	v_cmp_le_i64_e32 vcc_lo, s[6:7], v[1:2]
	v_cmp_lt_u64_e64 s0, 0xffff, v[1:2]
	v_add_co_u32 v1, s1, v1, s3
	s_delay_alu instid0(VALU_DEP_1) | instskip(NEXT) | instid1(VALU_DEP_3)
	v_add_co_ci_u32_e64 v2, s1, 0, v2, s1
	s_or_b32 s0, vcc_lo, s0
	s_delay_alu instid0(SALU_CYCLE_1) | instskip(NEXT) | instid1(SALU_CYCLE_1)
	s_and_b32 s0, exec_lo, s0
	s_or_b32 s2, s0, s2
	s_waitcnt vmcnt(1)
	v_xor_b32_e32 v6, 0x80000000, v6
	v_xor_b32_e32 v8, 0x80000000, v8
	s_waitcnt vmcnt(0)
	v_xor_b32_e32 v10, 0x80000000, v10
	v_xor_b32_e32 v12, 0x80000000, v12
	s_clause 0x1
	global_store_b128 v[3:4], v[5:8], off offset:-16
	global_store_b128 v[3:4], v[9:12], off
	v_add_co_u32 v3, vcc_lo, v3, s4
	v_add_co_ci_u32_e32 v4, vcc_lo, 0, v4, vcc_lo
	s_and_not1_b32 exec_lo, exec_lo, s2
	s_cbranch_execnz .LBB322_24
.LBB322_25:
	s_nop 0
	s_sendmsg sendmsg(MSG_DEALLOC_VGPRS)
	s_endpgm
	.section	.rodata,"a",@progbits
	.p2align	6, 0x0
	.amdhsa_kernel _ZN2at6native12_GLOBAL__N_125multi_tensor_apply_kernelINS1_18TensorListMetadataILi1EEENS1_14UnaryOpFunctorIdLi1ELi1ELi0EEEJSt6negateIdEEEEvT_T0_DpT1_
		.amdhsa_group_segment_fixed_size 0
		.amdhsa_private_segment_fixed_size 0
		.amdhsa_kernarg_size 3632
		.amdhsa_user_sgpr_count 15
		.amdhsa_user_sgpr_dispatch_ptr 0
		.amdhsa_user_sgpr_queue_ptr 0
		.amdhsa_user_sgpr_kernarg_segment_ptr 1
		.amdhsa_user_sgpr_dispatch_id 0
		.amdhsa_user_sgpr_private_segment_size 0
		.amdhsa_wavefront_size32 1
		.amdhsa_uses_dynamic_stack 0
		.amdhsa_enable_private_segment 0
		.amdhsa_system_sgpr_workgroup_id_x 1
		.amdhsa_system_sgpr_workgroup_id_y 0
		.amdhsa_system_sgpr_workgroup_id_z 0
		.amdhsa_system_sgpr_workgroup_info 0
		.amdhsa_system_vgpr_workitem_id 0
		.amdhsa_next_free_vgpr 21
		.amdhsa_next_free_sgpr 21
		.amdhsa_reserve_vcc 1
		.amdhsa_float_round_mode_32 0
		.amdhsa_float_round_mode_16_64 0
		.amdhsa_float_denorm_mode_32 3
		.amdhsa_float_denorm_mode_16_64 3
		.amdhsa_dx10_clamp 1
		.amdhsa_ieee_mode 1
		.amdhsa_fp16_overflow 0
		.amdhsa_workgroup_processor_mode 1
		.amdhsa_memory_ordered 1
		.amdhsa_forward_progress 0
		.amdhsa_shared_vgpr_count 0
		.amdhsa_exception_fp_ieee_invalid_op 0
		.amdhsa_exception_fp_denorm_src 0
		.amdhsa_exception_fp_ieee_div_zero 0
		.amdhsa_exception_fp_ieee_overflow 0
		.amdhsa_exception_fp_ieee_underflow 0
		.amdhsa_exception_fp_ieee_inexact 0
		.amdhsa_exception_int_div_zero 0
	.end_amdhsa_kernel
	.section	.text._ZN2at6native12_GLOBAL__N_125multi_tensor_apply_kernelINS1_18TensorListMetadataILi1EEENS1_14UnaryOpFunctorIdLi1ELi1ELi0EEEJSt6negateIdEEEEvT_T0_DpT1_,"axG",@progbits,_ZN2at6native12_GLOBAL__N_125multi_tensor_apply_kernelINS1_18TensorListMetadataILi1EEENS1_14UnaryOpFunctorIdLi1ELi1ELi0EEEJSt6negateIdEEEEvT_T0_DpT1_,comdat
.Lfunc_end322:
	.size	_ZN2at6native12_GLOBAL__N_125multi_tensor_apply_kernelINS1_18TensorListMetadataILi1EEENS1_14UnaryOpFunctorIdLi1ELi1ELi0EEEJSt6negateIdEEEEvT_T0_DpT1_, .Lfunc_end322-_ZN2at6native12_GLOBAL__N_125multi_tensor_apply_kernelINS1_18TensorListMetadataILi1EEENS1_14UnaryOpFunctorIdLi1ELi1ELi0EEEJSt6negateIdEEEEvT_T0_DpT1_
                                        ; -- End function
	.section	.AMDGPU.csdata,"",@progbits
; Kernel info:
; codeLenInByte = 1184
; NumSgprs: 23
; NumVgprs: 21
; ScratchSize: 0
; MemoryBound: 0
; FloatMode: 240
; IeeeMode: 1
; LDSByteSize: 0 bytes/workgroup (compile time only)
; SGPRBlocks: 2
; VGPRBlocks: 2
; NumSGPRsForWavesPerEU: 23
; NumVGPRsForWavesPerEU: 21
; Occupancy: 16
; WaveLimiterHint : 0
; COMPUTE_PGM_RSRC2:SCRATCH_EN: 0
; COMPUTE_PGM_RSRC2:USER_SGPR: 15
; COMPUTE_PGM_RSRC2:TRAP_HANDLER: 0
; COMPUTE_PGM_RSRC2:TGID_X_EN: 1
; COMPUTE_PGM_RSRC2:TGID_Y_EN: 0
; COMPUTE_PGM_RSRC2:TGID_Z_EN: 0
; COMPUTE_PGM_RSRC2:TIDIG_COMP_CNT: 0
	.section	.text._ZN2at6native12_GLOBAL__N_125multi_tensor_apply_kernelINS1_18TensorListMetadataILi1EEENS1_14UnaryOpFunctorIfLi1ELi1ELi0EEEJSt6negateIfEEEEvT_T0_DpT1_,"axG",@progbits,_ZN2at6native12_GLOBAL__N_125multi_tensor_apply_kernelINS1_18TensorListMetadataILi1EEENS1_14UnaryOpFunctorIfLi1ELi1ELi0EEEJSt6negateIfEEEEvT_T0_DpT1_,comdat
	.globl	_ZN2at6native12_GLOBAL__N_125multi_tensor_apply_kernelINS1_18TensorListMetadataILi1EEENS1_14UnaryOpFunctorIfLi1ELi1ELi0EEEJSt6negateIfEEEEvT_T0_DpT1_ ; -- Begin function _ZN2at6native12_GLOBAL__N_125multi_tensor_apply_kernelINS1_18TensorListMetadataILi1EEENS1_14UnaryOpFunctorIfLi1ELi1ELi0EEEJSt6negateIfEEEEvT_T0_DpT1_
	.p2align	8
	.type	_ZN2at6native12_GLOBAL__N_125multi_tensor_apply_kernelINS1_18TensorListMetadataILi1EEENS1_14UnaryOpFunctorIfLi1ELi1ELi0EEEJSt6negateIfEEEEvT_T0_DpT1_,@function
_ZN2at6native12_GLOBAL__N_125multi_tensor_apply_kernelINS1_18TensorListMetadataILi1EEENS1_14UnaryOpFunctorIfLi1ELi1ELi0EEEJSt6negateIfEEEEvT_T0_DpT1_: ; @_ZN2at6native12_GLOBAL__N_125multi_tensor_apply_kernelINS1_18TensorListMetadataILi1EEENS1_14UnaryOpFunctorIfLi1ELi1ELi0EEEJSt6negateIfEEEEvT_T0_DpT1_
; %bb.0:
	v_mov_b32_e32 v1, s15
	s_add_u32 s2, s0, s15
	s_mul_hi_u32 s3, s15, 3
	s_mul_i32 s15, s15, 3
	s_addc_u32 s4, s1, 0
	global_load_u8 v1, v1, s[0:1] offset:1760
	s_add_u32 s2, s2, s15
	s_addc_u32 s3, s4, s3
	s_mov_b32 s13, 0
	s_load_b32 s2, s[2:3], 0x820
	s_waitcnt vmcnt(0)
	v_readfirstlane_b32 s5, v1
	s_delay_alu instid0(VALU_DEP_1)
	s_lshl_b32 s3, s5, 3
	s_clause 0x1
	s_load_b64 s[8:9], s[0:1], s3 offset:0x0
	s_load_b64 s[4:5], s[0:1], s3 offset:0x370
	s_waitcnt lgkmcnt(0)
	s_ashr_i32 s3, s2, 31
	s_delay_alu instid0(SALU_CYCLE_1)
	s_lshl_b64 s[10:11], s[2:3], 18
	s_lshl_b64 s[2:3], s[2:3], 16
	s_and_b32 s12, s8, 15
	s_sub_u32 s6, s4, s2
	s_subb_u32 s7, s5, s3
	s_and_b32 s2, s4, 3
	s_mov_b32 s3, s13
	s_delay_alu instid0(SALU_CYCLE_1) | instskip(NEXT) | instid1(SALU_CYCLE_1)
	s_or_b64 s[2:3], s[12:13], s[2:3]
	s_cmp_eq_u64 s[2:3], 0
	s_cbranch_scc1 .LBB323_21
; %bb.1:
	v_cmp_lt_i64_e64 s2, s[6:7], 1
	s_delay_alu instid0(VALU_DEP_1)
	s_and_b32 vcc_lo, exec_lo, s2
	s_cbranch_vccnz .LBB323_20
; %bb.2:
	s_load_b32 s2, s[0:1], 0xd3c
	v_cmp_gt_u64_e64 s3, 0x10000, s[6:7]
	v_lshlrev_b32_e32 v1, 2, v0
	s_waitcnt lgkmcnt(0)
	s_and_b32 s2, s2, 0xffff
	s_delay_alu instid0(VALU_DEP_2)
	s_and_b32 s3, s3, exec_lo
	v_add_co_u32 v5, s5, v0, s2
	s_cselect_b32 s13, s7, 0
	s_cselect_b32 s12, s6, 0x10000
	s_lshl_b32 s3, s2, 1
	s_lshl_b32 s16, s2, 2
	v_lshlrev_b32_e32 v3, 2, v5
	v_add_co_ci_u32_e64 v6, null, 0, 0, s5
	s_add_u32 s5, s8, s10
	v_add_co_u32 v9, s3, s3, v0
	s_mul_i32 s4, s2, 3
	s_addc_u32 s14, s9, s11
	v_add_co_ci_u32_e64 v10, null, 0, 0, s3
	v_add_co_u32 v1, s3, s5, v1
	v_add_co_u32 v7, s4, s4, v0
	v_add_co_ci_u32_e64 v2, null, s14, 0, s3
	v_add_co_u32 v3, s3, s5, v3
	v_add_co_ci_u32_e64 v8, null, 0, 0, s4
	v_add_co_ci_u32_e64 v4, null, s14, 0, s3
	s_lshl_b32 s17, s2, 4
	s_mul_i32 s18, s2, 12
	s_lshl_b32 s19, s2, 3
	s_mov_b64 s[14:15], 0
	s_branch .LBB323_4
.LBB323_3:                              ;   in Loop: Header=BB323_4 Depth=1
	s_or_b32 exec_lo, exec_lo, s2
	s_add_u32 s14, s14, s16
	s_addc_u32 s15, s15, 0
	v_add_co_u32 v1, vcc_lo, v1, s17
	v_cmp_lt_i64_e64 s2, s[14:15], s[6:7]
	v_cmp_gt_u64_e64 s3, 0x10000, s[14:15]
	v_add_co_ci_u32_e32 v2, vcc_lo, 0, v2, vcc_lo
	v_add_co_u32 v3, vcc_lo, v3, s17
	v_add_co_ci_u32_e32 v4, vcc_lo, 0, v4, vcc_lo
	s_delay_alu instid0(VALU_DEP_4) | instskip(NEXT) | instid1(SALU_CYCLE_1)
	s_and_b32 s2, s2, s3
	s_and_b32 vcc_lo, exec_lo, s2
	s_cbranch_vccz .LBB323_20
.LBB323_4:                              ; =>This Inner Loop Header: Depth=1
	s_waitcnt vmcnt(0)
	v_add_co_u32 v11, s2, v0, s14
	s_delay_alu instid0(VALU_DEP_1) | instskip(NEXT) | instid1(VALU_DEP_1)
	v_add_co_ci_u32_e64 v12, null, 0, s15, s2
	v_cmp_gt_u64_e32 vcc_lo, s[12:13], v[11:12]
	v_mov_b32_e32 v11, 0
	s_and_saveexec_b32 s2, vcc_lo
	s_cbranch_execz .LBB323_6
; %bb.5:                                ;   in Loop: Header=BB323_4 Depth=1
	global_load_b32 v11, v[1:2], off
.LBB323_6:                              ;   in Loop: Header=BB323_4 Depth=1
	s_or_b32 exec_lo, exec_lo, s2
	v_add_co_u32 v12, s2, v5, s14
	s_delay_alu instid0(VALU_DEP_1) | instskip(NEXT) | instid1(VALU_DEP_1)
	v_add_co_ci_u32_e64 v13, s2, s15, v6, s2
	v_cmp_gt_u64_e64 s2, s[12:13], v[12:13]
	v_mov_b32_e32 v13, 0
	s_delay_alu instid0(VALU_DEP_2)
	s_and_saveexec_b32 s3, s2
	s_cbranch_execz .LBB323_8
; %bb.7:                                ;   in Loop: Header=BB323_4 Depth=1
	global_load_b32 v13, v[3:4], off
.LBB323_8:                              ;   in Loop: Header=BB323_4 Depth=1
	s_or_b32 exec_lo, exec_lo, s3
	v_add_co_u32 v14, s3, v9, s14
	s_delay_alu instid0(VALU_DEP_1) | instskip(SKIP_1) | instid1(VALU_DEP_2)
	v_add_co_ci_u32_e64 v15, s3, s15, v10, s3
	v_mov_b32_e32 v12, 0
	v_cmp_gt_u64_e64 s3, s[12:13], v[14:15]
	v_mov_b32_e32 v14, 0
	s_delay_alu instid0(VALU_DEP_2)
	s_and_saveexec_b32 s5, s3
	s_cbranch_execz .LBB323_10
; %bb.9:                                ;   in Loop: Header=BB323_4 Depth=1
	v_add_co_u32 v14, s4, v1, s19
	s_delay_alu instid0(VALU_DEP_1)
	v_add_co_ci_u32_e64 v15, s4, 0, v2, s4
	global_load_b32 v14, v[14:15], off
.LBB323_10:                             ;   in Loop: Header=BB323_4 Depth=1
	s_or_b32 exec_lo, exec_lo, s5
	v_add_co_u32 v15, s4, v7, s14
	s_delay_alu instid0(VALU_DEP_1) | instskip(NEXT) | instid1(VALU_DEP_1)
	v_add_co_ci_u32_e64 v16, s4, s15, v8, s4
	v_cmp_gt_u64_e64 s4, s[12:13], v[15:16]
	s_delay_alu instid0(VALU_DEP_1)
	s_and_saveexec_b32 s20, s4
	s_cbranch_execnz .LBB323_15
; %bb.11:                               ;   in Loop: Header=BB323_4 Depth=1
	s_or_b32 exec_lo, exec_lo, s20
	s_and_saveexec_b32 s5, vcc_lo
	s_cbranch_execnz .LBB323_16
.LBB323_12:                             ;   in Loop: Header=BB323_4 Depth=1
	s_or_b32 exec_lo, exec_lo, s5
	s_and_saveexec_b32 s5, s2
	s_cbranch_execnz .LBB323_17
.LBB323_13:                             ;   in Loop: Header=BB323_4 Depth=1
	s_or_b32 exec_lo, exec_lo, s5
	s_and_saveexec_b32 s2, s3
	s_cbranch_execnz .LBB323_18
.LBB323_14:                             ;   in Loop: Header=BB323_4 Depth=1
	s_or_b32 exec_lo, exec_lo, s2
	s_and_saveexec_b32 s2, s4
	s_cbranch_execz .LBB323_3
	s_branch .LBB323_19
.LBB323_15:                             ;   in Loop: Header=BB323_4 Depth=1
	v_add_co_u32 v15, s5, v1, s18
	s_delay_alu instid0(VALU_DEP_1)
	v_add_co_ci_u32_e64 v16, s5, 0, v2, s5
	global_load_b32 v12, v[15:16], off
	s_or_b32 exec_lo, exec_lo, s20
	s_and_saveexec_b32 s5, vcc_lo
	s_cbranch_execz .LBB323_12
.LBB323_16:                             ;   in Loop: Header=BB323_4 Depth=1
	s_waitcnt vmcnt(0)
	v_xor_b32_e32 v11, 0x80000000, v11
	global_store_b32 v[1:2], v11, off
	s_or_b32 exec_lo, exec_lo, s5
	s_and_saveexec_b32 s5, s2
	s_cbranch_execz .LBB323_13
.LBB323_17:                             ;   in Loop: Header=BB323_4 Depth=1
	s_waitcnt vmcnt(0)
	v_xor_b32_e32 v11, 0x80000000, v13
	global_store_b32 v[3:4], v11, off
	s_or_b32 exec_lo, exec_lo, s5
	s_and_saveexec_b32 s2, s3
	s_cbranch_execz .LBB323_14
.LBB323_18:                             ;   in Loop: Header=BB323_4 Depth=1
	s_waitcnt vmcnt(0)
	v_add_co_u32 v13, vcc_lo, v1, s19
	v_xor_b32_e32 v11, 0x80000000, v14
	v_add_co_ci_u32_e32 v14, vcc_lo, 0, v2, vcc_lo
	global_store_b32 v[13:14], v11, off
	s_or_b32 exec_lo, exec_lo, s2
	s_and_saveexec_b32 s2, s4
	s_cbranch_execz .LBB323_3
.LBB323_19:                             ;   in Loop: Header=BB323_4 Depth=1
	s_waitcnt vmcnt(0)
	v_add_co_u32 v11, vcc_lo, v1, s18
	v_xor_b32_e32 v13, 0x80000000, v12
	v_add_co_ci_u32_e32 v12, vcc_lo, 0, v2, vcc_lo
	global_store_b32 v[11:12], v13, off
	s_branch .LBB323_3
.LBB323_20:
	s_cbranch_execz .LBB323_22
	s_branch .LBB323_25
.LBB323_21:
.LBB323_22:
	v_dual_mov_b32 v2, 0 :: v_dual_lshlrev_b32 v1, 2, v0
	s_mov_b32 s2, 0
	s_mov_b32 s3, exec_lo
	s_delay_alu instid0(VALU_DEP_1)
	v_cmpx_gt_i64_e64 s[6:7], v[1:2]
	s_cbranch_execz .LBB323_25
; %bb.23:
	s_load_b32 s0, s[0:1], 0xd3c
	v_lshlrev_b32_e32 v1, 4, v0
	s_waitcnt lgkmcnt(0)
	s_and_b32 s0, s0, 0xffff
	s_delay_alu instid0(SALU_CYCLE_1) | instskip(SKIP_3) | instid1(VALU_DEP_1)
	s_lshl_b32 s3, s0, 2
	s_add_u32 s1, s8, s10
	s_addc_u32 s4, s9, s11
	v_add_co_u32 v3, s1, s1, v1
	v_add_co_ci_u32_e64 v4, null, s4, 0, s1
	v_add_lshl_u32 v1, v0, s0, 2
	s_delay_alu instid0(VALU_DEP_3) | instskip(NEXT) | instid1(VALU_DEP_3)
	v_add_co_u32 v3, vcc_lo, v3, 8
	v_add_co_ci_u32_e32 v4, vcc_lo, 0, v4, vcc_lo
	s_lshl_b32 s4, s0, 4
	.p2align	6
.LBB323_24:                             ; =>This Inner Loop Header: Depth=1
	global_load_b128 v[5:8], v[3:4], off offset:-8
	v_cmp_le_i64_e32 vcc_lo, s[6:7], v[1:2]
	v_cmp_lt_u64_e64 s0, 0xffff, v[1:2]
	v_add_co_u32 v1, s1, v1, s3
	s_delay_alu instid0(VALU_DEP_1) | instskip(NEXT) | instid1(VALU_DEP_3)
	v_add_co_ci_u32_e64 v2, s1, 0, v2, s1
	s_or_b32 s0, vcc_lo, s0
	s_delay_alu instid0(SALU_CYCLE_1) | instskip(NEXT) | instid1(SALU_CYCLE_1)
	s_and_b32 s0, exec_lo, s0
	s_or_b32 s2, s0, s2
	s_waitcnt vmcnt(0)
	v_xor_b32_e32 v5, 0x80000000, v5
	v_xor_b32_e32 v6, 0x80000000, v6
	;; [unrolled: 1-line block ×4, first 2 shown]
	global_store_b128 v[3:4], v[5:8], off offset:-8
	v_add_co_u32 v3, vcc_lo, v3, s4
	v_add_co_ci_u32_e32 v4, vcc_lo, 0, v4, vcc_lo
	s_and_not1_b32 exec_lo, exec_lo, s2
	s_cbranch_execnz .LBB323_24
.LBB323_25:
	s_nop 0
	s_sendmsg sendmsg(MSG_DEALLOC_VGPRS)
	s_endpgm
	.section	.rodata,"a",@progbits
	.p2align	6, 0x0
	.amdhsa_kernel _ZN2at6native12_GLOBAL__N_125multi_tensor_apply_kernelINS1_18TensorListMetadataILi1EEENS1_14UnaryOpFunctorIfLi1ELi1ELi0EEEJSt6negateIfEEEEvT_T0_DpT1_
		.amdhsa_group_segment_fixed_size 0
		.amdhsa_private_segment_fixed_size 0
		.amdhsa_kernarg_size 3632
		.amdhsa_user_sgpr_count 15
		.amdhsa_user_sgpr_dispatch_ptr 0
		.amdhsa_user_sgpr_queue_ptr 0
		.amdhsa_user_sgpr_kernarg_segment_ptr 1
		.amdhsa_user_sgpr_dispatch_id 0
		.amdhsa_user_sgpr_private_segment_size 0
		.amdhsa_wavefront_size32 1
		.amdhsa_uses_dynamic_stack 0
		.amdhsa_enable_private_segment 0
		.amdhsa_system_sgpr_workgroup_id_x 1
		.amdhsa_system_sgpr_workgroup_id_y 0
		.amdhsa_system_sgpr_workgroup_id_z 0
		.amdhsa_system_sgpr_workgroup_info 0
		.amdhsa_system_vgpr_workitem_id 0
		.amdhsa_next_free_vgpr 17
		.amdhsa_next_free_sgpr 21
		.amdhsa_reserve_vcc 1
		.amdhsa_float_round_mode_32 0
		.amdhsa_float_round_mode_16_64 0
		.amdhsa_float_denorm_mode_32 3
		.amdhsa_float_denorm_mode_16_64 3
		.amdhsa_dx10_clamp 1
		.amdhsa_ieee_mode 1
		.amdhsa_fp16_overflow 0
		.amdhsa_workgroup_processor_mode 1
		.amdhsa_memory_ordered 1
		.amdhsa_forward_progress 0
		.amdhsa_shared_vgpr_count 0
		.amdhsa_exception_fp_ieee_invalid_op 0
		.amdhsa_exception_fp_denorm_src 0
		.amdhsa_exception_fp_ieee_div_zero 0
		.amdhsa_exception_fp_ieee_overflow 0
		.amdhsa_exception_fp_ieee_underflow 0
		.amdhsa_exception_fp_ieee_inexact 0
		.amdhsa_exception_int_div_zero 0
	.end_amdhsa_kernel
	.section	.text._ZN2at6native12_GLOBAL__N_125multi_tensor_apply_kernelINS1_18TensorListMetadataILi1EEENS1_14UnaryOpFunctorIfLi1ELi1ELi0EEEJSt6negateIfEEEEvT_T0_DpT1_,"axG",@progbits,_ZN2at6native12_GLOBAL__N_125multi_tensor_apply_kernelINS1_18TensorListMetadataILi1EEENS1_14UnaryOpFunctorIfLi1ELi1ELi0EEEJSt6negateIfEEEEvT_T0_DpT1_,comdat
.Lfunc_end323:
	.size	_ZN2at6native12_GLOBAL__N_125multi_tensor_apply_kernelINS1_18TensorListMetadataILi1EEENS1_14UnaryOpFunctorIfLi1ELi1ELi0EEEJSt6negateIfEEEEvT_T0_DpT1_, .Lfunc_end323-_ZN2at6native12_GLOBAL__N_125multi_tensor_apply_kernelINS1_18TensorListMetadataILi1EEENS1_14UnaryOpFunctorIfLi1ELi1ELi0EEEJSt6negateIfEEEEvT_T0_DpT1_
                                        ; -- End function
	.section	.AMDGPU.csdata,"",@progbits
; Kernel info:
; codeLenInByte = 1136
; NumSgprs: 23
; NumVgprs: 17
; ScratchSize: 0
; MemoryBound: 0
; FloatMode: 240
; IeeeMode: 1
; LDSByteSize: 0 bytes/workgroup (compile time only)
; SGPRBlocks: 2
; VGPRBlocks: 2
; NumSGPRsForWavesPerEU: 23
; NumVGPRsForWavesPerEU: 17
; Occupancy: 16
; WaveLimiterHint : 0
; COMPUTE_PGM_RSRC2:SCRATCH_EN: 0
; COMPUTE_PGM_RSRC2:USER_SGPR: 15
; COMPUTE_PGM_RSRC2:TRAP_HANDLER: 0
; COMPUTE_PGM_RSRC2:TGID_X_EN: 1
; COMPUTE_PGM_RSRC2:TGID_Y_EN: 0
; COMPUTE_PGM_RSRC2:TGID_Z_EN: 0
; COMPUTE_PGM_RSRC2:TIDIG_COMP_CNT: 0
	.section	.text._ZN2at6native12_GLOBAL__N_125multi_tensor_apply_kernelINS1_18TensorListMetadataILi1EEENS1_14UnaryOpFunctorIN3c107complexIdEELi1ELi1ELi0EEEJSt6negateIS8_EEEEvT_T0_DpT1_,"axG",@progbits,_ZN2at6native12_GLOBAL__N_125multi_tensor_apply_kernelINS1_18TensorListMetadataILi1EEENS1_14UnaryOpFunctorIN3c107complexIdEELi1ELi1ELi0EEEJSt6negateIS8_EEEEvT_T0_DpT1_,comdat
	.globl	_ZN2at6native12_GLOBAL__N_125multi_tensor_apply_kernelINS1_18TensorListMetadataILi1EEENS1_14UnaryOpFunctorIN3c107complexIdEELi1ELi1ELi0EEEJSt6negateIS8_EEEEvT_T0_DpT1_ ; -- Begin function _ZN2at6native12_GLOBAL__N_125multi_tensor_apply_kernelINS1_18TensorListMetadataILi1EEENS1_14UnaryOpFunctorIN3c107complexIdEELi1ELi1ELi0EEEJSt6negateIS8_EEEEvT_T0_DpT1_
	.p2align	8
	.type	_ZN2at6native12_GLOBAL__N_125multi_tensor_apply_kernelINS1_18TensorListMetadataILi1EEENS1_14UnaryOpFunctorIN3c107complexIdEELi1ELi1ELi0EEEJSt6negateIS8_EEEEvT_T0_DpT1_,@function
_ZN2at6native12_GLOBAL__N_125multi_tensor_apply_kernelINS1_18TensorListMetadataILi1EEENS1_14UnaryOpFunctorIN3c107complexIdEELi1ELi1ELi0EEEJSt6negateIS8_EEEEvT_T0_DpT1_: ; @_ZN2at6native12_GLOBAL__N_125multi_tensor_apply_kernelINS1_18TensorListMetadataILi1EEENS1_14UnaryOpFunctorIN3c107complexIdEELi1ELi1ELi0EEEJSt6negateIS8_EEEEvT_T0_DpT1_
; %bb.0:
	v_mov_b32_e32 v1, s15
	s_add_u32 s2, s0, s15
	s_mul_hi_u32 s3, s15, 3
	s_mul_i32 s15, s15, 3
	s_addc_u32 s4, s1, 0
	global_load_u8 v1, v1, s[0:1] offset:1760
	s_add_u32 s2, s2, s15
	s_addc_u32 s3, s4, s3
	s_mov_b32 s13, 0
	s_load_b32 s2, s[2:3], 0x820
	s_waitcnt vmcnt(0)
	v_readfirstlane_b32 s5, v1
	s_delay_alu instid0(VALU_DEP_1)
	s_lshl_b32 s3, s5, 3
	s_clause 0x1
	s_load_b64 s[8:9], s[0:1], s3 offset:0x0
	s_load_b64 s[4:5], s[0:1], s3 offset:0x370
	s_waitcnt lgkmcnt(0)
	s_ashr_i32 s3, s2, 31
	s_delay_alu instid0(SALU_CYCLE_1) | instskip(NEXT) | instid1(SALU_CYCLE_1)
	s_lshl_b64 s[10:11], s[2:3], 20
	s_add_u32 s16, s8, s10
	s_addc_u32 s17, s9, s11
	s_lshl_b64 s[2:3], s[2:3], 16
	s_and_b32 s12, s16, 63
	s_sub_u32 s6, s4, s2
	s_subb_u32 s7, s5, s3
	s_and_b32 s2, s4, 3
	s_mov_b32 s3, s13
	s_delay_alu instid0(SALU_CYCLE_1) | instskip(NEXT) | instid1(SALU_CYCLE_1)
	s_or_b64 s[2:3], s[12:13], s[2:3]
	s_cmp_eq_u64 s[2:3], 0
	s_cbranch_scc1 .LBB324_21
; %bb.1:
	v_cmp_lt_i64_e64 s2, s[6:7], 1
	s_delay_alu instid0(VALU_DEP_1)
	s_and_b32 vcc_lo, exec_lo, s2
	s_cbranch_vccnz .LBB324_20
; %bb.2:
	s_load_b32 s2, s[0:1], 0xd3c
	v_cmp_gt_u64_e64 s3, 0x10000, s[6:7]
	v_dual_mov_b32 v18, 0 :: v_dual_lshlrev_b32 v17, 4, v0
	s_mov_b64 s[14:15], 0
	s_waitcnt lgkmcnt(0)
	s_and_b32 s2, s2, 0xffff
	s_delay_alu instid0(VALU_DEP_2)
	s_and_b32 s3, s3, exec_lo
	v_add_co_u32 v21, s5, v0, s2
	v_mad_u64_u32 v[19:20], null, s2, 48, v[17:18]
	s_cselect_b32 s13, s7, 0
	s_cselect_b32 s12, s6, 0x10000
	v_add_co_ci_u32_e64 v22, null, 0, 0, s5
	s_lshl_b32 s5, s2, 5
	s_lshl_b32 s3, s2, 1
	v_add_co_u32 v1, s5, s5, v17
	s_mul_i32 s4, s2, 3
	v_add_co_u32 v27, s3, s3, v0
	v_add_co_u32 v18, s4, s4, v0
	s_delay_alu instid0(VALU_DEP_1)
	v_add_co_ci_u32_e64 v23, null, 0, 0, s4
	v_add_co_ci_u32_e64 v24, null, 0, 0, s5
	v_lshlrev_b32_e32 v25, 4, v21
	v_or_b32_e32 v26, 8, v1
	v_or_b32_e32 v19, 8, v19
	v_add_co_ci_u32_e64 v28, null, 0, 0, s3
	s_lshl_b32 s18, s2, 2
	s_lshl_b32 s19, s2, 6
	s_branch .LBB324_4
.LBB324_3:                              ;   in Loop: Header=BB324_4 Depth=1
	s_or_b32 exec_lo, exec_lo, s2
	s_add_u32 s14, s14, s18
	s_addc_u32 s15, s15, 0
	s_delay_alu instid0(SALU_CYCLE_1) | instskip(SKIP_1) | instid1(VALU_DEP_1)
	v_cmp_lt_i64_e64 s2, s[14:15], s[6:7]
	v_cmp_gt_u64_e64 s3, 0x10000, s[14:15]
	s_and_b32 s2, s2, s3
	s_add_u32 s16, s16, s19
	s_addc_u32 s17, s17, 0
	s_and_b32 vcc_lo, exec_lo, s2
	s_cbranch_vccz .LBB324_20
.LBB324_4:                              ; =>This Inner Loop Header: Depth=1
	s_waitcnt vmcnt(0)
	v_add_co_u32 v1, s2, v0, s14
	s_delay_alu instid0(VALU_DEP_1) | instskip(SKIP_2) | instid1(VALU_DEP_3)
	v_add_co_ci_u32_e64 v2, null, 0, s15, s2
	v_mov_b32_e32 v3, 0
	v_mov_b32_e32 v4, 0
	v_cmp_gt_u64_e32 vcc_lo, s[12:13], v[1:2]
	s_delay_alu instid0(VALU_DEP_2)
	v_dual_mov_b32 v12, v4 :: v_dual_mov_b32 v11, v3
	v_dual_mov_b32 v10, v4 :: v_dual_mov_b32 v9, v3
	s_and_saveexec_b32 s2, vcc_lo
	s_cbranch_execz .LBB324_6
; %bb.5:                                ;   in Loop: Header=BB324_4 Depth=1
	v_add_co_u32 v1, s3, s16, v17
	s_delay_alu instid0(VALU_DEP_1)
	v_add_co_ci_u32_e64 v2, null, s17, 0, s3
	global_load_b128 v[9:12], v[1:2], off
.LBB324_6:                              ;   in Loop: Header=BB324_4 Depth=1
	s_or_b32 exec_lo, exec_lo, s2
	v_add_co_u32 v1, s2, v21, s14
	s_delay_alu instid0(VALU_DEP_1) | instskip(NEXT) | instid1(VALU_DEP_1)
	v_add_co_ci_u32_e64 v2, s2, s15, v22, s2
	v_cmp_gt_u64_e64 s2, s[12:13], v[1:2]
	v_dual_mov_b32 v1, v3 :: v_dual_mov_b32 v2, v4
	s_delay_alu instid0(VALU_DEP_2)
	s_and_saveexec_b32 s3, s2
	s_cbranch_execz .LBB324_8
; %bb.7:                                ;   in Loop: Header=BB324_4 Depth=1
	v_add_co_u32 v1, s4, s16, v25
	s_delay_alu instid0(VALU_DEP_1)
	v_add_co_ci_u32_e64 v2, null, s17, 0, s4
	global_load_b128 v[1:4], v[1:2], off
.LBB324_8:                              ;   in Loop: Header=BB324_4 Depth=1
	s_or_b32 exec_lo, exec_lo, s3
	v_add_co_u32 v5, s3, v27, s14
	s_delay_alu instid0(VALU_DEP_1) | instskip(SKIP_2) | instid1(VALU_DEP_3)
	v_add_co_ci_u32_e64 v6, s3, s15, v28, s3
	v_mov_b32_e32 v7, 0
	v_mov_b32_e32 v8, 0
	v_cmp_gt_u64_e64 s3, s[12:13], v[5:6]
	s_delay_alu instid0(VALU_DEP_2) | instskip(SKIP_1) | instid1(VALU_DEP_3)
	v_dual_mov_b32 v16, v8 :: v_dual_mov_b32 v15, v7
	v_dual_mov_b32 v14, v8 :: v_dual_mov_b32 v13, v7
	s_and_saveexec_b32 s5, s3
	s_cbranch_execz .LBB324_10
; %bb.9:                                ;   in Loop: Header=BB324_4 Depth=1
	v_add_co_u32 v5, s4, s16, v26
	s_delay_alu instid0(VALU_DEP_1)
	v_add_co_ci_u32_e64 v6, s4, s17, v24, s4
	global_load_b128 v[13:16], v[5:6], off offset:-8
.LBB324_10:                             ;   in Loop: Header=BB324_4 Depth=1
	s_or_b32 exec_lo, exec_lo, s5
	v_add_co_u32 v5, s4, v18, s14
	s_delay_alu instid0(VALU_DEP_1) | instskip(NEXT) | instid1(VALU_DEP_1)
	v_add_co_ci_u32_e64 v6, s4, s15, v23, s4
	v_cmp_gt_u64_e64 s4, s[12:13], v[5:6]
	v_dual_mov_b32 v5, v7 :: v_dual_mov_b32 v6, v8
	s_delay_alu instid0(VALU_DEP_2)
	s_and_saveexec_b32 s20, s4
	s_cbranch_execnz .LBB324_15
; %bb.11:                               ;   in Loop: Header=BB324_4 Depth=1
	s_or_b32 exec_lo, exec_lo, s20
	s_and_saveexec_b32 s5, vcc_lo
	s_cbranch_execnz .LBB324_16
.LBB324_12:                             ;   in Loop: Header=BB324_4 Depth=1
	s_or_b32 exec_lo, exec_lo, s5
	s_and_saveexec_b32 s5, s2
	s_cbranch_execnz .LBB324_17
.LBB324_13:                             ;   in Loop: Header=BB324_4 Depth=1
	s_or_b32 exec_lo, exec_lo, s5
	s_and_saveexec_b32 s2, s3
	s_cbranch_execnz .LBB324_18
.LBB324_14:                             ;   in Loop: Header=BB324_4 Depth=1
	s_or_b32 exec_lo, exec_lo, s2
	s_and_saveexec_b32 s2, s4
	s_cbranch_execz .LBB324_3
	s_branch .LBB324_19
.LBB324_15:                             ;   in Loop: Header=BB324_4 Depth=1
	v_add_co_u32 v5, s5, s16, v19
	s_delay_alu instid0(VALU_DEP_1)
	v_add_co_ci_u32_e64 v6, s5, s17, v20, s5
	global_load_b128 v[5:8], v[5:6], off offset:-8
	s_or_b32 exec_lo, exec_lo, s20
	s_and_saveexec_b32 s5, vcc_lo
	s_cbranch_execz .LBB324_12
.LBB324_16:                             ;   in Loop: Header=BB324_4 Depth=1
	v_add_co_u32 v29, s20, s16, v17
	s_delay_alu instid0(VALU_DEP_1)
	v_add_co_ci_u32_e64 v30, null, s17, 0, s20
	s_waitcnt vmcnt(0)
	v_xor_b32_e32 v10, 0x80000000, v10
	v_xor_b32_e32 v12, 0x80000000, v12
	global_store_b128 v[29:30], v[9:12], off
	s_or_b32 exec_lo, exec_lo, s5
	s_and_saveexec_b32 s5, s2
	s_cbranch_execz .LBB324_13
.LBB324_17:                             ;   in Loop: Header=BB324_4 Depth=1
	s_waitcnt vmcnt(0)
	v_add_co_u32 v9, s2, s16, v25
	v_xor_b32_e32 v2, 0x80000000, v2
	v_xor_b32_e32 v4, 0x80000000, v4
	v_add_co_ci_u32_e64 v10, null, s17, 0, s2
	global_store_b128 v[9:10], v[1:4], off
	s_or_b32 exec_lo, exec_lo, s5
	s_and_saveexec_b32 s2, s3
	s_cbranch_execz .LBB324_14
.LBB324_18:                             ;   in Loop: Header=BB324_4 Depth=1
	s_waitcnt vmcnt(0)
	v_add_co_u32 v1, vcc_lo, s16, v26
	v_xor_b32_e32 v14, 0x80000000, v14
	v_xor_b32_e32 v16, 0x80000000, v16
	v_add_co_ci_u32_e32 v2, vcc_lo, s17, v24, vcc_lo
	global_store_b128 v[1:2], v[13:16], off offset:-8
	s_or_b32 exec_lo, exec_lo, s2
	s_and_saveexec_b32 s2, s4
	s_cbranch_execz .LBB324_3
.LBB324_19:                             ;   in Loop: Header=BB324_4 Depth=1
	s_waitcnt vmcnt(0)
	v_add_co_u32 v1, vcc_lo, s16, v19
	v_xor_b32_e32 v6, 0x80000000, v6
	v_xor_b32_e32 v8, 0x80000000, v8
	v_add_co_ci_u32_e32 v2, vcc_lo, s17, v20, vcc_lo
	global_store_b128 v[1:2], v[5:8], off offset:-8
	s_branch .LBB324_3
.LBB324_20:
	s_cbranch_execz .LBB324_22
	s_branch .LBB324_25
.LBB324_21:
.LBB324_22:
	s_waitcnt vmcnt(0)
	v_dual_mov_b32 v2, 0 :: v_dual_lshlrev_b32 v1, 2, v0
	s_mov_b32 s2, 0
	s_mov_b32 s3, exec_lo
	s_delay_alu instid0(VALU_DEP_1)
	v_cmpx_gt_i64_e64 s[6:7], v[1:2]
	s_cbranch_execz .LBB324_25
; %bb.23:
	s_load_b32 s0, s[0:1], 0xd3c
	v_lshlrev_b32_e32 v3, 6, v0
	s_waitcnt lgkmcnt(0)
	s_and_b32 s0, s0, 0xffff
	s_delay_alu instid0(SALU_CYCLE_1)
	s_lshl_b32 s3, s0, 2
	s_add_u32 s1, s8, s10
	s_addc_u32 s4, s9, s11
	v_add_co_u32 v3, s1, s1, v3
	v_add_lshl_u32 v1, v0, s0, 2
	v_add_co_ci_u32_e64 v4, null, s4, 0, s1
	s_lshl_b32 s4, s0, 6
	s_set_inst_prefetch_distance 0x1
	.p2align	6
.LBB324_24:                             ; =>This Inner Loop Header: Depth=1
	s_clause 0x3
	global_load_b128 v[5:8], v[3:4], off
	global_load_b128 v[9:12], v[3:4], off offset:16
	global_load_b128 v[13:16], v[3:4], off offset:32
	;; [unrolled: 1-line block ×3, first 2 shown]
	v_cmp_le_i64_e32 vcc_lo, s[6:7], v[1:2]
	v_cmp_lt_u64_e64 s0, 0xffff, v[1:2]
	v_add_co_u32 v1, s1, v1, s3
	s_delay_alu instid0(VALU_DEP_1) | instskip(NEXT) | instid1(VALU_DEP_3)
	v_add_co_ci_u32_e64 v2, s1, 0, v2, s1
	s_or_b32 s0, vcc_lo, s0
	s_delay_alu instid0(SALU_CYCLE_1) | instskip(NEXT) | instid1(SALU_CYCLE_1)
	s_and_b32 s0, exec_lo, s0
	s_or_b32 s2, s0, s2
	s_waitcnt vmcnt(3)
	v_xor_b32_e32 v6, 0x80000000, v6
	v_xor_b32_e32 v8, 0x80000000, v8
	s_waitcnt vmcnt(2)
	v_xor_b32_e32 v10, 0x80000000, v10
	v_xor_b32_e32 v12, 0x80000000, v12
	;; [unrolled: 3-line block ×4, first 2 shown]
	s_clause 0x3
	global_store_b128 v[3:4], v[5:8], off
	global_store_b128 v[3:4], v[9:12], off offset:16
	global_store_b128 v[3:4], v[13:16], off offset:32
	;; [unrolled: 1-line block ×3, first 2 shown]
	v_add_co_u32 v3, vcc_lo, v3, s4
	v_add_co_ci_u32_e32 v4, vcc_lo, 0, v4, vcc_lo
	s_and_not1_b32 exec_lo, exec_lo, s2
	s_cbranch_execnz .LBB324_24
.LBB324_25:
	s_set_inst_prefetch_distance 0x2
	s_nop 0
	s_sendmsg sendmsg(MSG_DEALLOC_VGPRS)
	s_endpgm
	.section	.rodata,"a",@progbits
	.p2align	6, 0x0
	.amdhsa_kernel _ZN2at6native12_GLOBAL__N_125multi_tensor_apply_kernelINS1_18TensorListMetadataILi1EEENS1_14UnaryOpFunctorIN3c107complexIdEELi1ELi1ELi0EEEJSt6negateIS8_EEEEvT_T0_DpT1_
		.amdhsa_group_segment_fixed_size 0
		.amdhsa_private_segment_fixed_size 0
		.amdhsa_kernarg_size 3632
		.amdhsa_user_sgpr_count 15
		.amdhsa_user_sgpr_dispatch_ptr 0
		.amdhsa_user_sgpr_queue_ptr 0
		.amdhsa_user_sgpr_kernarg_segment_ptr 1
		.amdhsa_user_sgpr_dispatch_id 0
		.amdhsa_user_sgpr_private_segment_size 0
		.amdhsa_wavefront_size32 1
		.amdhsa_uses_dynamic_stack 0
		.amdhsa_enable_private_segment 0
		.amdhsa_system_sgpr_workgroup_id_x 1
		.amdhsa_system_sgpr_workgroup_id_y 0
		.amdhsa_system_sgpr_workgroup_id_z 0
		.amdhsa_system_sgpr_workgroup_info 0
		.amdhsa_system_vgpr_workitem_id 0
		.amdhsa_next_free_vgpr 31
		.amdhsa_next_free_sgpr 21
		.amdhsa_reserve_vcc 1
		.amdhsa_float_round_mode_32 0
		.amdhsa_float_round_mode_16_64 0
		.amdhsa_float_denorm_mode_32 3
		.amdhsa_float_denorm_mode_16_64 3
		.amdhsa_dx10_clamp 1
		.amdhsa_ieee_mode 1
		.amdhsa_fp16_overflow 0
		.amdhsa_workgroup_processor_mode 1
		.amdhsa_memory_ordered 1
		.amdhsa_forward_progress 0
		.amdhsa_shared_vgpr_count 0
		.amdhsa_exception_fp_ieee_invalid_op 0
		.amdhsa_exception_fp_denorm_src 0
		.amdhsa_exception_fp_ieee_div_zero 0
		.amdhsa_exception_fp_ieee_overflow 0
		.amdhsa_exception_fp_ieee_underflow 0
		.amdhsa_exception_fp_ieee_inexact 0
		.amdhsa_exception_int_div_zero 0
	.end_amdhsa_kernel
	.section	.text._ZN2at6native12_GLOBAL__N_125multi_tensor_apply_kernelINS1_18TensorListMetadataILi1EEENS1_14UnaryOpFunctorIN3c107complexIdEELi1ELi1ELi0EEEJSt6negateIS8_EEEEvT_T0_DpT1_,"axG",@progbits,_ZN2at6native12_GLOBAL__N_125multi_tensor_apply_kernelINS1_18TensorListMetadataILi1EEENS1_14UnaryOpFunctorIN3c107complexIdEELi1ELi1ELi0EEEJSt6negateIS8_EEEEvT_T0_DpT1_,comdat
.Lfunc_end324:
	.size	_ZN2at6native12_GLOBAL__N_125multi_tensor_apply_kernelINS1_18TensorListMetadataILi1EEENS1_14UnaryOpFunctorIN3c107complexIdEELi1ELi1ELi0EEEJSt6negateIS8_EEEEvT_T0_DpT1_, .Lfunc_end324-_ZN2at6native12_GLOBAL__N_125multi_tensor_apply_kernelINS1_18TensorListMetadataILi1EEENS1_14UnaryOpFunctorIN3c107complexIdEELi1ELi1ELi0EEEJSt6negateIS8_EEEEvT_T0_DpT1_
                                        ; -- End function
	.section	.AMDGPU.csdata,"",@progbits
; Kernel info:
; codeLenInByte = 1380
; NumSgprs: 23
; NumVgprs: 31
; ScratchSize: 0
; MemoryBound: 1
; FloatMode: 240
; IeeeMode: 1
; LDSByteSize: 0 bytes/workgroup (compile time only)
; SGPRBlocks: 2
; VGPRBlocks: 3
; NumSGPRsForWavesPerEU: 23
; NumVGPRsForWavesPerEU: 31
; Occupancy: 16
; WaveLimiterHint : 0
; COMPUTE_PGM_RSRC2:SCRATCH_EN: 0
; COMPUTE_PGM_RSRC2:USER_SGPR: 15
; COMPUTE_PGM_RSRC2:TRAP_HANDLER: 0
; COMPUTE_PGM_RSRC2:TGID_X_EN: 1
; COMPUTE_PGM_RSRC2:TGID_Y_EN: 0
; COMPUTE_PGM_RSRC2:TGID_Z_EN: 0
; COMPUTE_PGM_RSRC2:TIDIG_COMP_CNT: 0
	.section	.text._ZN2at6native12_GLOBAL__N_125multi_tensor_apply_kernelINS1_18TensorListMetadataILi1EEENS1_14UnaryOpFunctorIN3c107complexIfEELi1ELi1ELi0EEEJSt6negateIS8_EEEEvT_T0_DpT1_,"axG",@progbits,_ZN2at6native12_GLOBAL__N_125multi_tensor_apply_kernelINS1_18TensorListMetadataILi1EEENS1_14UnaryOpFunctorIN3c107complexIfEELi1ELi1ELi0EEEJSt6negateIS8_EEEEvT_T0_DpT1_,comdat
	.globl	_ZN2at6native12_GLOBAL__N_125multi_tensor_apply_kernelINS1_18TensorListMetadataILi1EEENS1_14UnaryOpFunctorIN3c107complexIfEELi1ELi1ELi0EEEJSt6negateIS8_EEEEvT_T0_DpT1_ ; -- Begin function _ZN2at6native12_GLOBAL__N_125multi_tensor_apply_kernelINS1_18TensorListMetadataILi1EEENS1_14UnaryOpFunctorIN3c107complexIfEELi1ELi1ELi0EEEJSt6negateIS8_EEEEvT_T0_DpT1_
	.p2align	8
	.type	_ZN2at6native12_GLOBAL__N_125multi_tensor_apply_kernelINS1_18TensorListMetadataILi1EEENS1_14UnaryOpFunctorIN3c107complexIfEELi1ELi1ELi0EEEJSt6negateIS8_EEEEvT_T0_DpT1_,@function
_ZN2at6native12_GLOBAL__N_125multi_tensor_apply_kernelINS1_18TensorListMetadataILi1EEENS1_14UnaryOpFunctorIN3c107complexIfEELi1ELi1ELi0EEEJSt6negateIS8_EEEEvT_T0_DpT1_: ; @_ZN2at6native12_GLOBAL__N_125multi_tensor_apply_kernelINS1_18TensorListMetadataILi1EEENS1_14UnaryOpFunctorIN3c107complexIfEELi1ELi1ELi0EEEJSt6negateIS8_EEEEvT_T0_DpT1_
; %bb.0:
	v_mov_b32_e32 v1, s15
	s_add_u32 s2, s0, s15
	s_mul_hi_u32 s3, s15, 3
	s_mul_i32 s15, s15, 3
	s_addc_u32 s4, s1, 0
	global_load_u8 v1, v1, s[0:1] offset:1760
	s_add_u32 s2, s2, s15
	s_addc_u32 s3, s4, s3
	s_mov_b32 s13, 0
	s_load_b32 s2, s[2:3], 0x820
	s_waitcnt vmcnt(0)
	v_readfirstlane_b32 s5, v1
	s_delay_alu instid0(VALU_DEP_1)
	s_lshl_b32 s3, s5, 3
	s_clause 0x1
	s_load_b64 s[8:9], s[0:1], s3 offset:0x0
	s_load_b64 s[4:5], s[0:1], s3 offset:0x370
	s_waitcnt lgkmcnt(0)
	s_ashr_i32 s3, s2, 31
	s_delay_alu instid0(SALU_CYCLE_1) | instskip(NEXT) | instid1(SALU_CYCLE_1)
	s_lshl_b64 s[10:11], s[2:3], 19
	s_add_u32 s16, s8, s10
	s_addc_u32 s17, s9, s11
	s_lshl_b64 s[2:3], s[2:3], 16
	s_and_b32 s12, s16, 31
	s_sub_u32 s6, s4, s2
	s_subb_u32 s7, s5, s3
	s_and_b32 s2, s4, 3
	s_mov_b32 s3, s13
	s_delay_alu instid0(SALU_CYCLE_1) | instskip(NEXT) | instid1(SALU_CYCLE_1)
	s_or_b64 s[2:3], s[12:13], s[2:3]
	s_cmp_eq_u64 s[2:3], 0
	s_cbranch_scc1 .LBB325_21
; %bb.1:
	v_cmp_lt_i64_e64 s2, s[6:7], 1
	s_delay_alu instid0(VALU_DEP_1)
	s_and_b32 vcc_lo, exec_lo, s2
	s_cbranch_vccnz .LBB325_20
; %bb.2:
	s_load_b32 s2, s[0:1], 0xd3c
	v_cmp_gt_u64_e64 s3, 0x10000, s[6:7]
	v_dual_mov_b32 v2, 0 :: v_dual_lshlrev_b32 v1, 3, v0
	s_mov_b64 s[14:15], 0
	s_waitcnt lgkmcnt(0)
	s_and_b32 s2, s2, 0xffff
	s_delay_alu instid0(VALU_DEP_2)
	s_and_b32 s3, s3, exec_lo
	v_add_co_u32 v13, s5, v0, s2
	v_mad_u64_u32 v[3:4], null, s2, 24, v[1:2]
	s_cselect_b32 s13, s7, 0
	s_cselect_b32 s12, s6, 0x10000
	v_add_co_ci_u32_e64 v14, null, 0, 0, s5
	s_lshl_b32 s5, s2, 4
	s_lshl_b32 s3, s2, 1
	v_add_co_u32 v5, s5, s5, v1
	s_mul_i32 s4, s2, 3
	v_add_co_u32 v19, s3, s3, v0
	v_add_co_u32 v2, s4, s4, v0
	s_delay_alu instid0(VALU_DEP_1)
	v_add_co_ci_u32_e64 v15, null, 0, 0, s4
	v_add_co_ci_u32_e64 v16, null, 0, 0, s5
	v_lshlrev_b32_e32 v17, 3, v13
	v_or_b32_e32 v18, 4, v5
	v_or_b32_e32 v3, 4, v3
	v_add_co_ci_u32_e64 v20, null, 0, 0, s3
	s_lshl_b32 s18, s2, 2
	s_lshl_b32 s19, s2, 5
	s_branch .LBB325_4
.LBB325_3:                              ;   in Loop: Header=BB325_4 Depth=1
	s_or_b32 exec_lo, exec_lo, s2
	s_add_u32 s14, s14, s18
	s_addc_u32 s15, s15, 0
	s_delay_alu instid0(SALU_CYCLE_1) | instskip(SKIP_1) | instid1(VALU_DEP_1)
	v_cmp_lt_i64_e64 s2, s[14:15], s[6:7]
	v_cmp_gt_u64_e64 s3, 0x10000, s[14:15]
	s_and_b32 s2, s2, s3
	s_add_u32 s16, s16, s19
	s_addc_u32 s17, s17, 0
	s_and_b32 vcc_lo, exec_lo, s2
	s_cbranch_vccz .LBB325_20
.LBB325_4:                              ; =>This Inner Loop Header: Depth=1
	s_waitcnt vmcnt(0)
	v_add_co_u32 v5, s2, v0, s14
	s_delay_alu instid0(VALU_DEP_1) | instskip(SKIP_1) | instid1(VALU_DEP_2)
	v_add_co_ci_u32_e64 v6, null, 0, s15, s2
	v_dual_mov_b32 v8, 0 :: v_dual_mov_b32 v7, 0
	v_cmp_gt_u64_e32 vcc_lo, s[12:13], v[5:6]
	s_and_saveexec_b32 s2, vcc_lo
	s_cbranch_execz .LBB325_6
; %bb.5:                                ;   in Loop: Header=BB325_4 Depth=1
	v_add_co_u32 v5, s3, s16, v1
	s_delay_alu instid0(VALU_DEP_1)
	v_add_co_ci_u32_e64 v6, null, s17, 0, s3
	global_load_b64 v[7:8], v[5:6], off
.LBB325_6:                              ;   in Loop: Header=BB325_4 Depth=1
	s_or_b32 exec_lo, exec_lo, s2
	v_add_co_u32 v9, s2, v13, s14
	s_delay_alu instid0(VALU_DEP_1) | instskip(SKIP_1) | instid1(VALU_DEP_2)
	v_add_co_ci_u32_e64 v10, s2, s15, v14, s2
	v_mov_b32_e32 v6, 0
	v_cmp_gt_u64_e64 s2, s[12:13], v[9:10]
	v_dual_mov_b32 v9, 0 :: v_dual_mov_b32 v10, 0
	s_delay_alu instid0(VALU_DEP_2)
	s_and_saveexec_b32 s3, s2
	s_cbranch_execz .LBB325_8
; %bb.7:                                ;   in Loop: Header=BB325_4 Depth=1
	v_add_co_u32 v9, s4, s16, v17
	s_delay_alu instid0(VALU_DEP_1)
	v_add_co_ci_u32_e64 v10, null, s17, 0, s4
	global_load_b64 v[9:10], v[9:10], off
.LBB325_8:                              ;   in Loop: Header=BB325_4 Depth=1
	s_or_b32 exec_lo, exec_lo, s3
	v_add_co_u32 v11, s3, v19, s14
	s_delay_alu instid0(VALU_DEP_1) | instskip(SKIP_1) | instid1(VALU_DEP_2)
	v_add_co_ci_u32_e64 v12, s3, s15, v20, s3
	v_mov_b32_e32 v5, 0
	v_cmp_gt_u64_e64 s3, s[12:13], v[11:12]
	s_delay_alu instid0(VALU_DEP_1)
	s_and_saveexec_b32 s5, s3
	s_cbranch_execz .LBB325_10
; %bb.9:                                ;   in Loop: Header=BB325_4 Depth=1
	v_add_co_u32 v5, s4, s16, v18
	s_delay_alu instid0(VALU_DEP_1)
	v_add_co_ci_u32_e64 v6, s4, s17, v16, s4
	global_load_b64 v[5:6], v[5:6], off offset:-4
.LBB325_10:                             ;   in Loop: Header=BB325_4 Depth=1
	s_or_b32 exec_lo, exec_lo, s5
	v_add_co_u32 v11, s4, v2, s14
	s_delay_alu instid0(VALU_DEP_1) | instskip(NEXT) | instid1(VALU_DEP_1)
	v_add_co_ci_u32_e64 v12, s4, s15, v15, s4
	v_cmp_gt_u64_e64 s4, s[12:13], v[11:12]
	v_dual_mov_b32 v12, 0 :: v_dual_mov_b32 v11, 0
	s_delay_alu instid0(VALU_DEP_2)
	s_and_saveexec_b32 s20, s4
	s_cbranch_execnz .LBB325_15
; %bb.11:                               ;   in Loop: Header=BB325_4 Depth=1
	s_or_b32 exec_lo, exec_lo, s20
	s_and_saveexec_b32 s5, vcc_lo
	s_cbranch_execnz .LBB325_16
.LBB325_12:                             ;   in Loop: Header=BB325_4 Depth=1
	s_or_b32 exec_lo, exec_lo, s5
	s_and_saveexec_b32 s5, s2
	s_cbranch_execnz .LBB325_17
.LBB325_13:                             ;   in Loop: Header=BB325_4 Depth=1
	s_or_b32 exec_lo, exec_lo, s5
	s_and_saveexec_b32 s2, s3
	s_cbranch_execnz .LBB325_18
.LBB325_14:                             ;   in Loop: Header=BB325_4 Depth=1
	s_or_b32 exec_lo, exec_lo, s2
	s_and_saveexec_b32 s2, s4
	s_cbranch_execz .LBB325_3
	s_branch .LBB325_19
.LBB325_15:                             ;   in Loop: Header=BB325_4 Depth=1
	v_add_co_u32 v11, s5, s16, v3
	s_delay_alu instid0(VALU_DEP_1)
	v_add_co_ci_u32_e64 v12, s5, s17, v4, s5
	global_load_b64 v[11:12], v[11:12], off offset:-4
	s_or_b32 exec_lo, exec_lo, s20
	s_and_saveexec_b32 s5, vcc_lo
	s_cbranch_execz .LBB325_12
.LBB325_16:                             ;   in Loop: Header=BB325_4 Depth=1
	v_add_co_u32 v21, s20, s16, v1
	s_delay_alu instid0(VALU_DEP_1)
	v_add_co_ci_u32_e64 v22, null, s17, 0, s20
	s_waitcnt vmcnt(0)
	v_xor_b32_e32 v7, 0x80000000, v7
	v_xor_b32_e32 v8, 0x80000000, v8
	global_store_b64 v[21:22], v[7:8], off
	s_or_b32 exec_lo, exec_lo, s5
	s_and_saveexec_b32 s5, s2
	s_cbranch_execz .LBB325_13
.LBB325_17:                             ;   in Loop: Header=BB325_4 Depth=1
	s_waitcnt vmcnt(0)
	v_xor_b32_e32 v7, 0x80000000, v9
	v_add_co_u32 v9, s2, s16, v17
	v_xor_b32_e32 v8, 0x80000000, v10
	v_add_co_ci_u32_e64 v10, null, s17, 0, s2
	global_store_b64 v[9:10], v[7:8], off
	s_or_b32 exec_lo, exec_lo, s5
	s_and_saveexec_b32 s2, s3
	s_cbranch_execz .LBB325_14
.LBB325_18:                             ;   in Loop: Header=BB325_4 Depth=1
	s_waitcnt vmcnt(0)
	v_add_co_u32 v7, vcc_lo, s16, v18
	v_xor_b32_e32 v5, 0x80000000, v5
	v_xor_b32_e32 v6, 0x80000000, v6
	v_add_co_ci_u32_e32 v8, vcc_lo, s17, v16, vcc_lo
	global_store_b64 v[7:8], v[5:6], off offset:-4
	s_or_b32 exec_lo, exec_lo, s2
	s_and_saveexec_b32 s2, s4
	s_cbranch_execz .LBB325_3
.LBB325_19:                             ;   in Loop: Header=BB325_4 Depth=1
	s_waitcnt vmcnt(0)
	v_add_co_u32 v7, vcc_lo, s16, v3
	v_xor_b32_e32 v5, 0x80000000, v11
	v_xor_b32_e32 v6, 0x80000000, v12
	v_add_co_ci_u32_e32 v8, vcc_lo, s17, v4, vcc_lo
	global_store_b64 v[7:8], v[5:6], off offset:-4
	s_branch .LBB325_3
.LBB325_20:
	s_cbranch_execz .LBB325_22
	s_branch .LBB325_25
.LBB325_21:
.LBB325_22:
	v_dual_mov_b32 v2, 0 :: v_dual_lshlrev_b32 v1, 2, v0
	s_mov_b32 s2, 0
	s_mov_b32 s3, exec_lo
	s_delay_alu instid0(VALU_DEP_1)
	v_cmpx_gt_i64_e64 s[6:7], v[1:2]
	s_cbranch_execz .LBB325_25
; %bb.23:
	s_load_b32 s0, s[0:1], 0xd3c
	v_lshlrev_b32_e32 v3, 5, v0
	s_waitcnt lgkmcnt(0)
	s_and_b32 s0, s0, 0xffff
	s_delay_alu instid0(SALU_CYCLE_1)
	s_lshl_b32 s3, s0, 2
	s_add_u32 s1, s8, s10
	s_addc_u32 s4, s9, s11
	v_add_co_u32 v3, s1, s1, v3
	v_add_lshl_u32 v1, v0, s0, 2
	v_add_co_ci_u32_e64 v4, null, s4, 0, s1
	s_lshl_b32 s4, s0, 5
	s_set_inst_prefetch_distance 0x1
	.p2align	6
.LBB325_24:                             ; =>This Inner Loop Header: Depth=1
	s_clause 0x1
	global_load_b128 v[5:8], v[3:4], off
	global_load_b128 v[9:12], v[3:4], off offset:16
	v_cmp_le_i64_e32 vcc_lo, s[6:7], v[1:2]
	v_cmp_lt_u64_e64 s0, 0xffff, v[1:2]
	v_add_co_u32 v1, s1, v1, s3
	s_delay_alu instid0(VALU_DEP_1) | instskip(NEXT) | instid1(VALU_DEP_3)
	v_add_co_ci_u32_e64 v2, s1, 0, v2, s1
	s_or_b32 s0, vcc_lo, s0
	s_delay_alu instid0(SALU_CYCLE_1) | instskip(NEXT) | instid1(SALU_CYCLE_1)
	s_and_b32 s0, exec_lo, s0
	s_or_b32 s2, s0, s2
	s_waitcnt vmcnt(1)
	v_xor_b32_e32 v5, 0x80000000, v5
	v_xor_b32_e32 v6, 0x80000000, v6
	;; [unrolled: 1-line block ×4, first 2 shown]
	s_waitcnt vmcnt(0)
	v_xor_b32_e32 v9, 0x80000000, v9
	v_xor_b32_e32 v10, 0x80000000, v10
	;; [unrolled: 1-line block ×4, first 2 shown]
	s_clause 0x1
	global_store_b128 v[3:4], v[5:8], off
	global_store_b128 v[3:4], v[9:12], off offset:16
	v_add_co_u32 v3, vcc_lo, v3, s4
	v_add_co_ci_u32_e32 v4, vcc_lo, 0, v4, vcc_lo
	s_and_not1_b32 exec_lo, exec_lo, s2
	s_cbranch_execnz .LBB325_24
.LBB325_25:
	s_set_inst_prefetch_distance 0x2
	s_nop 0
	s_sendmsg sendmsg(MSG_DEALLOC_VGPRS)
	s_endpgm
	.section	.rodata,"a",@progbits
	.p2align	6, 0x0
	.amdhsa_kernel _ZN2at6native12_GLOBAL__N_125multi_tensor_apply_kernelINS1_18TensorListMetadataILi1EEENS1_14UnaryOpFunctorIN3c107complexIfEELi1ELi1ELi0EEEJSt6negateIS8_EEEEvT_T0_DpT1_
		.amdhsa_group_segment_fixed_size 0
		.amdhsa_private_segment_fixed_size 0
		.amdhsa_kernarg_size 3632
		.amdhsa_user_sgpr_count 15
		.amdhsa_user_sgpr_dispatch_ptr 0
		.amdhsa_user_sgpr_queue_ptr 0
		.amdhsa_user_sgpr_kernarg_segment_ptr 1
		.amdhsa_user_sgpr_dispatch_id 0
		.amdhsa_user_sgpr_private_segment_size 0
		.amdhsa_wavefront_size32 1
		.amdhsa_uses_dynamic_stack 0
		.amdhsa_enable_private_segment 0
		.amdhsa_system_sgpr_workgroup_id_x 1
		.amdhsa_system_sgpr_workgroup_id_y 0
		.amdhsa_system_sgpr_workgroup_id_z 0
		.amdhsa_system_sgpr_workgroup_info 0
		.amdhsa_system_vgpr_workitem_id 0
		.amdhsa_next_free_vgpr 23
		.amdhsa_next_free_sgpr 21
		.amdhsa_reserve_vcc 1
		.amdhsa_float_round_mode_32 0
		.amdhsa_float_round_mode_16_64 0
		.amdhsa_float_denorm_mode_32 3
		.amdhsa_float_denorm_mode_16_64 3
		.amdhsa_dx10_clamp 1
		.amdhsa_ieee_mode 1
		.amdhsa_fp16_overflow 0
		.amdhsa_workgroup_processor_mode 1
		.amdhsa_memory_ordered 1
		.amdhsa_forward_progress 0
		.amdhsa_shared_vgpr_count 0
		.amdhsa_exception_fp_ieee_invalid_op 0
		.amdhsa_exception_fp_denorm_src 0
		.amdhsa_exception_fp_ieee_div_zero 0
		.amdhsa_exception_fp_ieee_overflow 0
		.amdhsa_exception_fp_ieee_underflow 0
		.amdhsa_exception_fp_ieee_inexact 0
		.amdhsa_exception_int_div_zero 0
	.end_amdhsa_kernel
	.section	.text._ZN2at6native12_GLOBAL__N_125multi_tensor_apply_kernelINS1_18TensorListMetadataILi1EEENS1_14UnaryOpFunctorIN3c107complexIfEELi1ELi1ELi0EEEJSt6negateIS8_EEEEvT_T0_DpT1_,"axG",@progbits,_ZN2at6native12_GLOBAL__N_125multi_tensor_apply_kernelINS1_18TensorListMetadataILi1EEENS1_14UnaryOpFunctorIN3c107complexIfEELi1ELi1ELi0EEEJSt6negateIS8_EEEEvT_T0_DpT1_,comdat
.Lfunc_end325:
	.size	_ZN2at6native12_GLOBAL__N_125multi_tensor_apply_kernelINS1_18TensorListMetadataILi1EEENS1_14UnaryOpFunctorIN3c107complexIfEELi1ELi1ELi0EEEJSt6negateIS8_EEEEvT_T0_DpT1_, .Lfunc_end325-_ZN2at6native12_GLOBAL__N_125multi_tensor_apply_kernelINS1_18TensorListMetadataILi1EEENS1_14UnaryOpFunctorIN3c107complexIfEELi1ELi1ELi0EEEJSt6negateIS8_EEEEvT_T0_DpT1_
                                        ; -- End function
	.section	.AMDGPU.csdata,"",@progbits
; Kernel info:
; codeLenInByte = 1300
; NumSgprs: 23
; NumVgprs: 23
; ScratchSize: 0
; MemoryBound: 0
; FloatMode: 240
; IeeeMode: 1
; LDSByteSize: 0 bytes/workgroup (compile time only)
; SGPRBlocks: 2
; VGPRBlocks: 2
; NumSGPRsForWavesPerEU: 23
; NumVGPRsForWavesPerEU: 23
; Occupancy: 16
; WaveLimiterHint : 0
; COMPUTE_PGM_RSRC2:SCRATCH_EN: 0
; COMPUTE_PGM_RSRC2:USER_SGPR: 15
; COMPUTE_PGM_RSRC2:TRAP_HANDLER: 0
; COMPUTE_PGM_RSRC2:TGID_X_EN: 1
; COMPUTE_PGM_RSRC2:TGID_Y_EN: 0
; COMPUTE_PGM_RSRC2:TGID_Z_EN: 0
; COMPUTE_PGM_RSRC2:TIDIG_COMP_CNT: 0
	.section	.text._ZN2at6native12_GLOBAL__N_125multi_tensor_apply_kernelINS1_18TensorListMetadataILi1EEENS1_14UnaryOpFunctorIN3c104HalfELi1ELi1ELi0EEEJSt6negateIfEEEEvT_T0_DpT1_,"axG",@progbits,_ZN2at6native12_GLOBAL__N_125multi_tensor_apply_kernelINS1_18TensorListMetadataILi1EEENS1_14UnaryOpFunctorIN3c104HalfELi1ELi1ELi0EEEJSt6negateIfEEEEvT_T0_DpT1_,comdat
	.globl	_ZN2at6native12_GLOBAL__N_125multi_tensor_apply_kernelINS1_18TensorListMetadataILi1EEENS1_14UnaryOpFunctorIN3c104HalfELi1ELi1ELi0EEEJSt6negateIfEEEEvT_T0_DpT1_ ; -- Begin function _ZN2at6native12_GLOBAL__N_125multi_tensor_apply_kernelINS1_18TensorListMetadataILi1EEENS1_14UnaryOpFunctorIN3c104HalfELi1ELi1ELi0EEEJSt6negateIfEEEEvT_T0_DpT1_
	.p2align	8
	.type	_ZN2at6native12_GLOBAL__N_125multi_tensor_apply_kernelINS1_18TensorListMetadataILi1EEENS1_14UnaryOpFunctorIN3c104HalfELi1ELi1ELi0EEEJSt6negateIfEEEEvT_T0_DpT1_,@function
_ZN2at6native12_GLOBAL__N_125multi_tensor_apply_kernelINS1_18TensorListMetadataILi1EEENS1_14UnaryOpFunctorIN3c104HalfELi1ELi1ELi0EEEJSt6negateIfEEEEvT_T0_DpT1_: ; @_ZN2at6native12_GLOBAL__N_125multi_tensor_apply_kernelINS1_18TensorListMetadataILi1EEENS1_14UnaryOpFunctorIN3c104HalfELi1ELi1ELi0EEEJSt6negateIfEEEEvT_T0_DpT1_
; %bb.0:
	v_mov_b32_e32 v1, s15
	s_add_u32 s2, s0, s15
	s_mul_hi_u32 s3, s15, 3
	s_mul_i32 s15, s15, 3
	s_addc_u32 s4, s1, 0
	global_load_u8 v1, v1, s[0:1] offset:1760
	s_add_u32 s2, s2, s15
	s_addc_u32 s3, s4, s3
	s_mov_b32 s13, 0
	s_load_b32 s2, s[2:3], 0x820
	s_waitcnt vmcnt(0)
	v_readfirstlane_b32 s5, v1
	s_delay_alu instid0(VALU_DEP_1)
	s_lshl_b32 s3, s5, 3
	s_clause 0x1
	s_load_b64 s[8:9], s[0:1], s3 offset:0x0
	s_load_b64 s[4:5], s[0:1], s3 offset:0x370
	s_waitcnt lgkmcnt(0)
	s_ashr_i32 s3, s2, 31
	s_delay_alu instid0(SALU_CYCLE_1)
	s_lshl_b64 s[10:11], s[2:3], 17
	s_lshl_b64 s[2:3], s[2:3], 16
	s_and_b32 s12, s8, 7
	s_sub_u32 s6, s4, s2
	s_subb_u32 s7, s5, s3
	s_and_b32 s2, s4, 3
	s_mov_b32 s3, s13
	s_delay_alu instid0(SALU_CYCLE_1) | instskip(NEXT) | instid1(SALU_CYCLE_1)
	s_or_b64 s[2:3], s[12:13], s[2:3]
	s_cmp_eq_u64 s[2:3], 0
	s_cbranch_scc1 .LBB326_21
; %bb.1:
	v_cmp_lt_i64_e64 s2, s[6:7], 1
	s_delay_alu instid0(VALU_DEP_1)
	s_and_b32 vcc_lo, exec_lo, s2
	s_cbranch_vccnz .LBB326_20
; %bb.2:
	s_load_b32 s2, s[0:1], 0xd3c
	v_cmp_gt_u64_e64 s3, 0x10000, s[6:7]
	v_lshlrev_b32_e32 v1, 1, v0
	s_waitcnt lgkmcnt(0)
	s_and_b32 s2, s2, 0xffff
	s_delay_alu instid0(VALU_DEP_2)
	s_and_b32 s3, s3, exec_lo
	v_add_co_u32 v5, s5, v0, s2
	s_cselect_b32 s13, s7, 0
	s_cselect_b32 s12, s6, 0x10000
	s_lshl_b32 s3, s2, 1
	s_lshl_b32 s16, s2, 2
	v_lshlrev_b32_e32 v3, 1, v5
	v_add_co_ci_u32_e64 v6, null, 0, 0, s5
	s_add_u32 s5, s8, s10
	v_add_co_u32 v9, s3, s3, v0
	s_mul_i32 s4, s2, 3
	s_addc_u32 s14, s9, s11
	v_add_co_ci_u32_e64 v10, null, 0, 0, s3
	v_add_co_u32 v1, s3, s5, v1
	v_add_co_u32 v7, s4, s4, v0
	v_add_co_ci_u32_e64 v2, null, s14, 0, s3
	v_add_co_u32 v3, s3, s5, v3
	v_add_co_ci_u32_e64 v8, null, 0, 0, s4
	v_add_co_ci_u32_e64 v4, null, s14, 0, s3
	s_lshl_b32 s17, s2, 3
	s_mul_i32 s18, s2, 6
	s_mov_b64 s[14:15], 0
	s_branch .LBB326_4
.LBB326_3:                              ;   in Loop: Header=BB326_4 Depth=1
	s_or_b32 exec_lo, exec_lo, s2
	s_add_u32 s14, s14, s16
	s_addc_u32 s15, s15, 0
	v_add_co_u32 v1, vcc_lo, v1, s17
	v_cmp_lt_i64_e64 s2, s[14:15], s[6:7]
	v_cmp_gt_u64_e64 s3, 0x10000, s[14:15]
	v_add_co_ci_u32_e32 v2, vcc_lo, 0, v2, vcc_lo
	v_add_co_u32 v3, vcc_lo, v3, s17
	v_add_co_ci_u32_e32 v4, vcc_lo, 0, v4, vcc_lo
	s_delay_alu instid0(VALU_DEP_4) | instskip(NEXT) | instid1(SALU_CYCLE_1)
	s_and_b32 s2, s2, s3
	s_and_b32 vcc_lo, exec_lo, s2
	s_cbranch_vccz .LBB326_20
.LBB326_4:                              ; =>This Inner Loop Header: Depth=1
	s_waitcnt vmcnt(0)
	v_add_co_u32 v11, s2, v0, s14
	s_delay_alu instid0(VALU_DEP_1) | instskip(NEXT) | instid1(VALU_DEP_1)
	v_add_co_ci_u32_e64 v12, null, 0, s15, s2
	v_cmp_gt_u64_e32 vcc_lo, s[12:13], v[11:12]
	v_mov_b32_e32 v11, 0
	s_and_saveexec_b32 s2, vcc_lo
	s_cbranch_execz .LBB326_6
; %bb.5:                                ;   in Loop: Header=BB326_4 Depth=1
	global_load_u16 v11, v[1:2], off
.LBB326_6:                              ;   in Loop: Header=BB326_4 Depth=1
	s_or_b32 exec_lo, exec_lo, s2
	v_add_co_u32 v12, s2, v5, s14
	s_delay_alu instid0(VALU_DEP_1) | instskip(NEXT) | instid1(VALU_DEP_1)
	v_add_co_ci_u32_e64 v13, s2, s15, v6, s2
	v_cmp_gt_u64_e64 s2, s[12:13], v[12:13]
	v_mov_b32_e32 v13, 0
	s_delay_alu instid0(VALU_DEP_2)
	s_and_saveexec_b32 s3, s2
	s_cbranch_execz .LBB326_8
; %bb.7:                                ;   in Loop: Header=BB326_4 Depth=1
	global_load_u16 v13, v[3:4], off
.LBB326_8:                              ;   in Loop: Header=BB326_4 Depth=1
	s_or_b32 exec_lo, exec_lo, s3
	v_add_co_u32 v14, s3, v9, s14
	s_delay_alu instid0(VALU_DEP_1) | instskip(SKIP_1) | instid1(VALU_DEP_2)
	v_add_co_ci_u32_e64 v15, s3, s15, v10, s3
	v_mov_b32_e32 v12, 0
	v_cmp_gt_u64_e64 s3, s[12:13], v[14:15]
	v_mov_b32_e32 v14, 0
	s_delay_alu instid0(VALU_DEP_2)
	s_and_saveexec_b32 s5, s3
	s_cbranch_execz .LBB326_10
; %bb.9:                                ;   in Loop: Header=BB326_4 Depth=1
	v_add_co_u32 v14, s4, v1, s16
	s_delay_alu instid0(VALU_DEP_1)
	v_add_co_ci_u32_e64 v15, s4, 0, v2, s4
	global_load_u16 v14, v[14:15], off
.LBB326_10:                             ;   in Loop: Header=BB326_4 Depth=1
	s_or_b32 exec_lo, exec_lo, s5
	v_add_co_u32 v15, s4, v7, s14
	s_delay_alu instid0(VALU_DEP_1) | instskip(NEXT) | instid1(VALU_DEP_1)
	v_add_co_ci_u32_e64 v16, s4, s15, v8, s4
	v_cmp_gt_u64_e64 s4, s[12:13], v[15:16]
	s_delay_alu instid0(VALU_DEP_1)
	s_and_saveexec_b32 s19, s4
	s_cbranch_execnz .LBB326_15
; %bb.11:                               ;   in Loop: Header=BB326_4 Depth=1
	s_or_b32 exec_lo, exec_lo, s19
	s_and_saveexec_b32 s5, vcc_lo
	s_cbranch_execnz .LBB326_16
.LBB326_12:                             ;   in Loop: Header=BB326_4 Depth=1
	s_or_b32 exec_lo, exec_lo, s5
	s_and_saveexec_b32 s5, s2
	s_cbranch_execnz .LBB326_17
.LBB326_13:                             ;   in Loop: Header=BB326_4 Depth=1
	s_or_b32 exec_lo, exec_lo, s5
	s_and_saveexec_b32 s2, s3
	s_cbranch_execnz .LBB326_18
.LBB326_14:                             ;   in Loop: Header=BB326_4 Depth=1
	s_or_b32 exec_lo, exec_lo, s2
	s_and_saveexec_b32 s2, s4
	s_cbranch_execz .LBB326_3
	s_branch .LBB326_19
.LBB326_15:                             ;   in Loop: Header=BB326_4 Depth=1
	v_add_co_u32 v15, s5, v1, s18
	s_delay_alu instid0(VALU_DEP_1)
	v_add_co_ci_u32_e64 v16, s5, 0, v2, s5
	global_load_u16 v12, v[15:16], off
	s_or_b32 exec_lo, exec_lo, s19
	s_and_saveexec_b32 s5, vcc_lo
	s_cbranch_execz .LBB326_12
.LBB326_16:                             ;   in Loop: Header=BB326_4 Depth=1
	s_waitcnt vmcnt(0)
	v_xor_b32_e32 v11, 0x8000, v11
	global_store_b16 v[1:2], v11, off
	s_or_b32 exec_lo, exec_lo, s5
	s_and_saveexec_b32 s5, s2
	s_cbranch_execz .LBB326_13
.LBB326_17:                             ;   in Loop: Header=BB326_4 Depth=1
	s_waitcnt vmcnt(0)
	v_xor_b32_e32 v11, 0x8000, v13
	global_store_b16 v[3:4], v11, off
	s_or_b32 exec_lo, exec_lo, s5
	s_and_saveexec_b32 s2, s3
	s_cbranch_execz .LBB326_14
.LBB326_18:                             ;   in Loop: Header=BB326_4 Depth=1
	s_waitcnt vmcnt(0)
	v_add_co_u32 v13, vcc_lo, v1, s16
	v_xor_b32_e32 v11, 0x8000, v14
	v_add_co_ci_u32_e32 v14, vcc_lo, 0, v2, vcc_lo
	global_store_b16 v[13:14], v11, off
	s_or_b32 exec_lo, exec_lo, s2
	s_and_saveexec_b32 s2, s4
	s_cbranch_execz .LBB326_3
.LBB326_19:                             ;   in Loop: Header=BB326_4 Depth=1
	s_waitcnt vmcnt(0)
	v_add_co_u32 v11, vcc_lo, v1, s18
	v_xor_b32_e32 v13, 0x8000, v12
	v_add_co_ci_u32_e32 v12, vcc_lo, 0, v2, vcc_lo
	global_store_b16 v[11:12], v13, off
	s_branch .LBB326_3
.LBB326_20:
	s_cbranch_execz .LBB326_22
	s_branch .LBB326_25
.LBB326_21:
.LBB326_22:
	v_dual_mov_b32 v2, 0 :: v_dual_lshlrev_b32 v1, 2, v0
	s_mov_b32 s2, 0
	s_mov_b32 s3, exec_lo
	s_delay_alu instid0(VALU_DEP_1)
	v_cmpx_gt_i64_e64 s[6:7], v[1:2]
	s_cbranch_execz .LBB326_25
; %bb.23:
	s_load_b32 s0, s[0:1], 0xd3c
	v_lshlrev_b32_e32 v1, 3, v0
	s_waitcnt lgkmcnt(0)
	s_and_b32 s0, s0, 0xffff
	s_add_u32 s1, s8, s10
	s_addc_u32 s3, s9, s11
	v_add_co_u32 v1, s1, s1, v1
	s_delay_alu instid0(VALU_DEP_1) | instskip(SKIP_1) | instid1(VALU_DEP_2)
	v_add_co_ci_u32_e64 v4, null, s3, 0, s1
	s_lshl_b32 s3, s0, 3
	v_add_co_u32 v3, vcc_lo, v1, 4
	s_delay_alu instid0(VALU_DEP_2)
	v_add_co_ci_u32_e32 v4, vcc_lo, 0, v4, vcc_lo
	v_add_lshl_u32 v1, v0, s0, 2
	s_lshl_b32 s4, s0, 2
	.p2align	6
.LBB326_24:                             ; =>This Inner Loop Header: Depth=1
	global_load_b64 v[5:6], v[3:4], off offset:-4
	v_cmp_le_i64_e32 vcc_lo, s[6:7], v[1:2]
	v_cmp_lt_u64_e64 s0, 0xffff, v[1:2]
	v_add_co_u32 v1, s1, v1, s4
	s_delay_alu instid0(VALU_DEP_1) | instskip(NEXT) | instid1(VALU_DEP_3)
	v_add_co_ci_u32_e64 v2, s1, 0, v2, s1
	s_or_b32 s0, vcc_lo, s0
	s_delay_alu instid0(SALU_CYCLE_1) | instskip(NEXT) | instid1(SALU_CYCLE_1)
	s_and_b32 s0, exec_lo, s0
	s_or_b32 s2, s0, s2
	s_waitcnt vmcnt(0)
	v_xor_b32_e32 v5, 0x80008000, v5
	v_xor_b32_e32 v6, 0x80008000, v6
	global_store_b64 v[3:4], v[5:6], off offset:-4
	v_add_co_u32 v3, vcc_lo, v3, s3
	v_add_co_ci_u32_e32 v4, vcc_lo, 0, v4, vcc_lo
	s_and_not1_b32 exec_lo, exec_lo, s2
	s_cbranch_execnz .LBB326_24
.LBB326_25:
	s_nop 0
	s_sendmsg sendmsg(MSG_DEALLOC_VGPRS)
	s_endpgm
	.section	.rodata,"a",@progbits
	.p2align	6, 0x0
	.amdhsa_kernel _ZN2at6native12_GLOBAL__N_125multi_tensor_apply_kernelINS1_18TensorListMetadataILi1EEENS1_14UnaryOpFunctorIN3c104HalfELi1ELi1ELi0EEEJSt6negateIfEEEEvT_T0_DpT1_
		.amdhsa_group_segment_fixed_size 0
		.amdhsa_private_segment_fixed_size 0
		.amdhsa_kernarg_size 3632
		.amdhsa_user_sgpr_count 15
		.amdhsa_user_sgpr_dispatch_ptr 0
		.amdhsa_user_sgpr_queue_ptr 0
		.amdhsa_user_sgpr_kernarg_segment_ptr 1
		.amdhsa_user_sgpr_dispatch_id 0
		.amdhsa_user_sgpr_private_segment_size 0
		.amdhsa_wavefront_size32 1
		.amdhsa_uses_dynamic_stack 0
		.amdhsa_enable_private_segment 0
		.amdhsa_system_sgpr_workgroup_id_x 1
		.amdhsa_system_sgpr_workgroup_id_y 0
		.amdhsa_system_sgpr_workgroup_id_z 0
		.amdhsa_system_sgpr_workgroup_info 0
		.amdhsa_system_vgpr_workitem_id 0
		.amdhsa_next_free_vgpr 17
		.amdhsa_next_free_sgpr 20
		.amdhsa_reserve_vcc 1
		.amdhsa_float_round_mode_32 0
		.amdhsa_float_round_mode_16_64 0
		.amdhsa_float_denorm_mode_32 3
		.amdhsa_float_denorm_mode_16_64 3
		.amdhsa_dx10_clamp 1
		.amdhsa_ieee_mode 1
		.amdhsa_fp16_overflow 0
		.amdhsa_workgroup_processor_mode 1
		.amdhsa_memory_ordered 1
		.amdhsa_forward_progress 0
		.amdhsa_shared_vgpr_count 0
		.amdhsa_exception_fp_ieee_invalid_op 0
		.amdhsa_exception_fp_denorm_src 0
		.amdhsa_exception_fp_ieee_div_zero 0
		.amdhsa_exception_fp_ieee_overflow 0
		.amdhsa_exception_fp_ieee_underflow 0
		.amdhsa_exception_fp_ieee_inexact 0
		.amdhsa_exception_int_div_zero 0
	.end_amdhsa_kernel
	.section	.text._ZN2at6native12_GLOBAL__N_125multi_tensor_apply_kernelINS1_18TensorListMetadataILi1EEENS1_14UnaryOpFunctorIN3c104HalfELi1ELi1ELi0EEEJSt6negateIfEEEEvT_T0_DpT1_,"axG",@progbits,_ZN2at6native12_GLOBAL__N_125multi_tensor_apply_kernelINS1_18TensorListMetadataILi1EEENS1_14UnaryOpFunctorIN3c104HalfELi1ELi1ELi0EEEJSt6negateIfEEEEvT_T0_DpT1_,comdat
.Lfunc_end326:
	.size	_ZN2at6native12_GLOBAL__N_125multi_tensor_apply_kernelINS1_18TensorListMetadataILi1EEENS1_14UnaryOpFunctorIN3c104HalfELi1ELi1ELi0EEEJSt6negateIfEEEEvT_T0_DpT1_, .Lfunc_end326-_ZN2at6native12_GLOBAL__N_125multi_tensor_apply_kernelINS1_18TensorListMetadataILi1EEENS1_14UnaryOpFunctorIN3c104HalfELi1ELi1ELi0EEEJSt6negateIfEEEEvT_T0_DpT1_
                                        ; -- End function
	.section	.AMDGPU.csdata,"",@progbits
; Kernel info:
; codeLenInByte = 1116
; NumSgprs: 22
; NumVgprs: 17
; ScratchSize: 0
; MemoryBound: 0
; FloatMode: 240
; IeeeMode: 1
; LDSByteSize: 0 bytes/workgroup (compile time only)
; SGPRBlocks: 2
; VGPRBlocks: 2
; NumSGPRsForWavesPerEU: 22
; NumVGPRsForWavesPerEU: 17
; Occupancy: 16
; WaveLimiterHint : 0
; COMPUTE_PGM_RSRC2:SCRATCH_EN: 0
; COMPUTE_PGM_RSRC2:USER_SGPR: 15
; COMPUTE_PGM_RSRC2:TRAP_HANDLER: 0
; COMPUTE_PGM_RSRC2:TGID_X_EN: 1
; COMPUTE_PGM_RSRC2:TGID_Y_EN: 0
; COMPUTE_PGM_RSRC2:TGID_Z_EN: 0
; COMPUTE_PGM_RSRC2:TIDIG_COMP_CNT: 0
	.section	.text._ZN2at6native12_GLOBAL__N_125multi_tensor_apply_kernelINS1_18TensorListMetadataILi1EEENS1_14UnaryOpFunctorIN3c108BFloat16ELi1ELi1ELi0EEEJSt6negateIfEEEEvT_T0_DpT1_,"axG",@progbits,_ZN2at6native12_GLOBAL__N_125multi_tensor_apply_kernelINS1_18TensorListMetadataILi1EEENS1_14UnaryOpFunctorIN3c108BFloat16ELi1ELi1ELi0EEEJSt6negateIfEEEEvT_T0_DpT1_,comdat
	.globl	_ZN2at6native12_GLOBAL__N_125multi_tensor_apply_kernelINS1_18TensorListMetadataILi1EEENS1_14UnaryOpFunctorIN3c108BFloat16ELi1ELi1ELi0EEEJSt6negateIfEEEEvT_T0_DpT1_ ; -- Begin function _ZN2at6native12_GLOBAL__N_125multi_tensor_apply_kernelINS1_18TensorListMetadataILi1EEENS1_14UnaryOpFunctorIN3c108BFloat16ELi1ELi1ELi0EEEJSt6negateIfEEEEvT_T0_DpT1_
	.p2align	8
	.type	_ZN2at6native12_GLOBAL__N_125multi_tensor_apply_kernelINS1_18TensorListMetadataILi1EEENS1_14UnaryOpFunctorIN3c108BFloat16ELi1ELi1ELi0EEEJSt6negateIfEEEEvT_T0_DpT1_,@function
_ZN2at6native12_GLOBAL__N_125multi_tensor_apply_kernelINS1_18TensorListMetadataILi1EEENS1_14UnaryOpFunctorIN3c108BFloat16ELi1ELi1ELi0EEEJSt6negateIfEEEEvT_T0_DpT1_: ; @_ZN2at6native12_GLOBAL__N_125multi_tensor_apply_kernelINS1_18TensorListMetadataILi1EEENS1_14UnaryOpFunctorIN3c108BFloat16ELi1ELi1ELi0EEEJSt6negateIfEEEEvT_T0_DpT1_
; %bb.0:
	v_mov_b32_e32 v1, s15
	s_add_u32 s2, s0, s15
	s_mul_hi_u32 s3, s15, 3
	s_mul_i32 s15, s15, 3
	s_addc_u32 s4, s1, 0
	global_load_u8 v1, v1, s[0:1] offset:1760
	s_add_u32 s2, s2, s15
	s_addc_u32 s3, s4, s3
	s_mov_b32 s13, 0
	s_load_b32 s2, s[2:3], 0x820
	s_waitcnt vmcnt(0)
	v_readfirstlane_b32 s5, v1
	s_delay_alu instid0(VALU_DEP_1)
	s_lshl_b32 s3, s5, 3
	s_clause 0x1
	s_load_b64 s[8:9], s[0:1], s3 offset:0x0
	s_load_b64 s[4:5], s[0:1], s3 offset:0x370
	s_waitcnt lgkmcnt(0)
	s_ashr_i32 s3, s2, 31
	s_delay_alu instid0(SALU_CYCLE_1)
	s_lshl_b64 s[10:11], s[2:3], 17
	s_lshl_b64 s[2:3], s[2:3], 16
	s_and_b32 s12, s8, 7
	s_sub_u32 s6, s4, s2
	s_subb_u32 s7, s5, s3
	s_and_b32 s2, s4, 3
	s_mov_b32 s3, s13
	s_delay_alu instid0(SALU_CYCLE_1) | instskip(NEXT) | instid1(SALU_CYCLE_1)
	s_or_b64 s[2:3], s[12:13], s[2:3]
	s_cmp_eq_u64 s[2:3], 0
	s_cbranch_scc1 .LBB327_21
; %bb.1:
	v_cmp_lt_i64_e64 s2, s[6:7], 1
	s_delay_alu instid0(VALU_DEP_1)
	s_and_b32 vcc_lo, exec_lo, s2
	s_cbranch_vccnz .LBB327_20
; %bb.2:
	s_load_b32 s2, s[0:1], 0xd3c
	v_cmp_gt_u64_e64 s3, 0x10000, s[6:7]
	v_lshlrev_b32_e32 v1, 1, v0
	s_waitcnt lgkmcnt(0)
	s_and_b32 s2, s2, 0xffff
	s_delay_alu instid0(VALU_DEP_2)
	s_and_b32 s3, s3, exec_lo
	v_add_co_u32 v5, s5, v0, s2
	s_cselect_b32 s13, s7, 0
	s_cselect_b32 s12, s6, 0x10000
	s_lshl_b32 s3, s2, 1
	s_lshl_b32 s16, s2, 2
	v_lshlrev_b32_e32 v3, 1, v5
	v_add_co_ci_u32_e64 v6, null, 0, 0, s5
	s_add_u32 s5, s8, s10
	v_add_co_u32 v9, s3, s3, v0
	s_mul_i32 s4, s2, 3
	s_addc_u32 s14, s9, s11
	v_add_co_ci_u32_e64 v10, null, 0, 0, s3
	v_add_co_u32 v1, s3, s5, v1
	v_add_co_u32 v7, s4, s4, v0
	v_add_co_ci_u32_e64 v2, null, s14, 0, s3
	v_add_co_u32 v3, s3, s5, v3
	v_add_co_ci_u32_e64 v8, null, 0, 0, s4
	v_add_co_ci_u32_e64 v4, null, s14, 0, s3
	s_lshl_b32 s17, s2, 3
	s_mul_i32 s18, s2, 6
	s_mov_b64 s[14:15], 0
	s_branch .LBB327_4
.LBB327_3:                              ;   in Loop: Header=BB327_4 Depth=1
	s_or_b32 exec_lo, exec_lo, s2
	s_add_u32 s14, s14, s16
	s_addc_u32 s15, s15, 0
	v_add_co_u32 v1, vcc_lo, v1, s17
	v_cmp_lt_i64_e64 s2, s[14:15], s[6:7]
	v_cmp_gt_u64_e64 s3, 0x10000, s[14:15]
	v_add_co_ci_u32_e32 v2, vcc_lo, 0, v2, vcc_lo
	v_add_co_u32 v3, vcc_lo, v3, s17
	v_add_co_ci_u32_e32 v4, vcc_lo, 0, v4, vcc_lo
	s_delay_alu instid0(VALU_DEP_4) | instskip(NEXT) | instid1(SALU_CYCLE_1)
	s_and_b32 s2, s2, s3
	s_and_b32 vcc_lo, exec_lo, s2
	s_cbranch_vccz .LBB327_20
.LBB327_4:                              ; =>This Inner Loop Header: Depth=1
	s_waitcnt vmcnt(0)
	v_add_co_u32 v11, s2, v0, s14
	s_delay_alu instid0(VALU_DEP_1) | instskip(NEXT) | instid1(VALU_DEP_1)
	v_add_co_ci_u32_e64 v12, null, 0, s15, s2
	v_cmp_gt_u64_e32 vcc_lo, s[12:13], v[11:12]
	v_mov_b32_e32 v12, 0
	s_and_saveexec_b32 s2, vcc_lo
	s_cbranch_execz .LBB327_6
; %bb.5:                                ;   in Loop: Header=BB327_4 Depth=1
	global_load_u16 v12, v[1:2], off
.LBB327_6:                              ;   in Loop: Header=BB327_4 Depth=1
	s_or_b32 exec_lo, exec_lo, s2
	v_add_co_u32 v13, s2, v5, s14
	s_delay_alu instid0(VALU_DEP_1) | instskip(NEXT) | instid1(VALU_DEP_1)
	v_add_co_ci_u32_e64 v14, s2, s15, v6, s2
	v_cmp_gt_u64_e64 s2, s[12:13], v[13:14]
	v_mov_b32_e32 v13, 0
	s_delay_alu instid0(VALU_DEP_2)
	s_and_saveexec_b32 s3, s2
	s_cbranch_execz .LBB327_8
; %bb.7:                                ;   in Loop: Header=BB327_4 Depth=1
	global_load_u16 v13, v[3:4], off
.LBB327_8:                              ;   in Loop: Header=BB327_4 Depth=1
	s_or_b32 exec_lo, exec_lo, s3
	v_add_co_u32 v14, s3, v9, s14
	s_delay_alu instid0(VALU_DEP_1) | instskip(SKIP_1) | instid1(VALU_DEP_2)
	v_add_co_ci_u32_e64 v15, s3, s15, v10, s3
	v_mov_b32_e32 v11, 0
	v_cmp_gt_u64_e64 s3, s[12:13], v[14:15]
	v_mov_b32_e32 v14, 0
	s_delay_alu instid0(VALU_DEP_2)
	s_and_saveexec_b32 s5, s3
	s_cbranch_execz .LBB327_10
; %bb.9:                                ;   in Loop: Header=BB327_4 Depth=1
	v_add_co_u32 v14, s4, v1, s16
	s_delay_alu instid0(VALU_DEP_1)
	v_add_co_ci_u32_e64 v15, s4, 0, v2, s4
	global_load_u16 v14, v[14:15], off
.LBB327_10:                             ;   in Loop: Header=BB327_4 Depth=1
	s_or_b32 exec_lo, exec_lo, s5
	v_add_co_u32 v15, s4, v7, s14
	s_delay_alu instid0(VALU_DEP_1) | instskip(NEXT) | instid1(VALU_DEP_1)
	v_add_co_ci_u32_e64 v16, s4, s15, v8, s4
	v_cmp_gt_u64_e64 s4, s[12:13], v[15:16]
	s_delay_alu instid0(VALU_DEP_1)
	s_and_saveexec_b32 s19, s4
	s_cbranch_execnz .LBB327_15
; %bb.11:                               ;   in Loop: Header=BB327_4 Depth=1
	s_or_b32 exec_lo, exec_lo, s19
	s_and_saveexec_b32 s5, vcc_lo
	s_cbranch_execnz .LBB327_16
.LBB327_12:                             ;   in Loop: Header=BB327_4 Depth=1
	s_or_b32 exec_lo, exec_lo, s5
	s_and_saveexec_b32 s5, s2
	s_cbranch_execnz .LBB327_17
.LBB327_13:                             ;   in Loop: Header=BB327_4 Depth=1
	s_or_b32 exec_lo, exec_lo, s5
	s_and_saveexec_b32 s2, s3
	s_cbranch_execnz .LBB327_18
.LBB327_14:                             ;   in Loop: Header=BB327_4 Depth=1
	s_or_b32 exec_lo, exec_lo, s2
	s_and_saveexec_b32 s2, s4
	s_cbranch_execz .LBB327_3
	s_branch .LBB327_19
.LBB327_15:                             ;   in Loop: Header=BB327_4 Depth=1
	v_add_co_u32 v15, s5, v1, s18
	s_delay_alu instid0(VALU_DEP_1)
	v_add_co_ci_u32_e64 v16, s5, 0, v2, s5
	global_load_u16 v11, v[15:16], off
	s_or_b32 exec_lo, exec_lo, s19
	s_and_saveexec_b32 s5, vcc_lo
	s_cbranch_execz .LBB327_12
.LBB327_16:                             ;   in Loop: Header=BB327_4 Depth=1
	s_waitcnt vmcnt(0)
	v_lshlrev_b32_e32 v12, 16, v12
	s_delay_alu instid0(VALU_DEP_1) | instskip(SKIP_1) | instid1(VALU_DEP_2)
	v_xor_b32_e32 v15, 0x80000000, v12
	v_cmp_o_f32_e32 vcc_lo, v12, v12
	v_bfe_u32 v16, v15, 16, 1
	s_delay_alu instid0(VALU_DEP_1) | instskip(NEXT) | instid1(VALU_DEP_1)
	v_add3_u32 v15, v15, v16, 0x7fff
	v_lshrrev_b32_e32 v15, 16, v15
	s_delay_alu instid0(VALU_DEP_1)
	v_cndmask_b32_e32 v12, 0x7fc0, v15, vcc_lo
	global_store_b16 v[1:2], v12, off
	s_or_b32 exec_lo, exec_lo, s5
	s_and_saveexec_b32 s5, s2
	s_cbranch_execz .LBB327_13
.LBB327_17:                             ;   in Loop: Header=BB327_4 Depth=1
	s_waitcnt vmcnt(0)
	v_lshlrev_b32_e32 v12, 16, v13
	s_delay_alu instid0(VALU_DEP_1) | instskip(SKIP_1) | instid1(VALU_DEP_2)
	v_xor_b32_e32 v13, 0x80000000, v12
	v_cmp_o_f32_e32 vcc_lo, v12, v12
	v_bfe_u32 v15, v13, 16, 1
	s_delay_alu instid0(VALU_DEP_1) | instskip(NEXT) | instid1(VALU_DEP_1)
	v_add3_u32 v13, v13, v15, 0x7fff
	v_lshrrev_b32_e32 v13, 16, v13
	s_delay_alu instid0(VALU_DEP_1)
	v_cndmask_b32_e32 v12, 0x7fc0, v13, vcc_lo
	global_store_b16 v[3:4], v12, off
	s_or_b32 exec_lo, exec_lo, s5
	s_and_saveexec_b32 s2, s3
	s_cbranch_execz .LBB327_14
.LBB327_18:                             ;   in Loop: Header=BB327_4 Depth=1
	s_waitcnt vmcnt(0)
	v_lshlrev_b32_e32 v12, 16, v14
	s_delay_alu instid0(VALU_DEP_1) | instskip(SKIP_1) | instid1(VALU_DEP_2)
	v_xor_b32_e32 v13, 0x80000000, v12
	v_cmp_o_f32_e32 vcc_lo, v12, v12
	v_bfe_u32 v14, v13, 16, 1
	s_delay_alu instid0(VALU_DEP_1) | instskip(NEXT) | instid1(VALU_DEP_1)
	v_add3_u32 v13, v13, v14, 0x7fff
	v_lshrrev_b32_e32 v13, 16, v13
	s_delay_alu instid0(VALU_DEP_1)
	v_cndmask_b32_e32 v14, 0x7fc0, v13, vcc_lo
	v_add_co_u32 v12, vcc_lo, v1, s16
	v_add_co_ci_u32_e32 v13, vcc_lo, 0, v2, vcc_lo
	global_store_b16 v[12:13], v14, off
	s_or_b32 exec_lo, exec_lo, s2
	s_and_saveexec_b32 s2, s4
	s_cbranch_execz .LBB327_3
.LBB327_19:                             ;   in Loop: Header=BB327_4 Depth=1
	s_waitcnt vmcnt(0)
	v_lshlrev_b32_e32 v11, 16, v11
	s_delay_alu instid0(VALU_DEP_1) | instskip(SKIP_1) | instid1(VALU_DEP_2)
	v_xor_b32_e32 v12, 0x80000000, v11
	v_cmp_o_f32_e32 vcc_lo, v11, v11
	v_bfe_u32 v13, v12, 16, 1
	s_delay_alu instid0(VALU_DEP_1) | instskip(NEXT) | instid1(VALU_DEP_1)
	v_add3_u32 v12, v12, v13, 0x7fff
	v_lshrrev_b32_e32 v12, 16, v12
	s_delay_alu instid0(VALU_DEP_1)
	v_cndmask_b32_e32 v13, 0x7fc0, v12, vcc_lo
	v_add_co_u32 v11, vcc_lo, v1, s18
	v_add_co_ci_u32_e32 v12, vcc_lo, 0, v2, vcc_lo
	global_store_b16 v[11:12], v13, off
	s_branch .LBB327_3
.LBB327_20:
	s_cbranch_execz .LBB327_22
	s_branch .LBB327_25
.LBB327_21:
.LBB327_22:
	v_dual_mov_b32 v2, 0 :: v_dual_lshlrev_b32 v1, 2, v0
	s_mov_b32 s2, 0
	s_mov_b32 s3, exec_lo
	s_delay_alu instid0(VALU_DEP_1)
	v_cmpx_gt_i64_e64 s[6:7], v[1:2]
	s_cbranch_execz .LBB327_25
; %bb.23:
	s_load_b32 s0, s[0:1], 0xd3c
	v_lshlrev_b32_e32 v1, 3, v0
	s_waitcnt lgkmcnt(0)
	s_and_b32 s0, s0, 0xffff
	s_add_u32 s1, s8, s10
	s_addc_u32 s3, s9, s11
	v_add_co_u32 v3, s1, s1, v1
	s_delay_alu instid0(VALU_DEP_1)
	v_add_co_ci_u32_e64 v4, null, s3, 0, s1
	v_add_lshl_u32 v1, v0, s0, 2
	s_lshl_b32 s3, s0, 3
	s_lshl_b32 s4, s0, 2
.LBB327_24:                             ; =>This Inner Loop Header: Depth=1
	global_load_b64 v[5:6], v[3:4], off
	v_cmp_lt_u64_e64 s0, 0xffff, v[1:2]
	s_waitcnt vmcnt(0)
	v_alignbit_b32 v0, v6, v5, 16
	v_and_b32_e32 v6, 0xffff0000, v6
	v_and_b32_e32 v7, 0xffff0000, v5
	s_delay_alu instid0(VALU_DEP_3) | instskip(NEXT) | instid1(VALU_DEP_3)
	v_and_b32_e32 v0, 0xffff0000, v0
	v_xor_b32_e32 v10, 0x80000000, v6
	s_delay_alu instid0(VALU_DEP_3) | instskip(SKIP_1) | instid1(VALU_DEP_4)
	v_xor_b32_e32 v8, 0x80000000, v7
	v_cmp_o_f32_e32 vcc_lo, v7, v7
	v_xor_b32_e32 v11, 0x80000000, v0
	s_delay_alu instid0(VALU_DEP_4) | instskip(NEXT) | instid1(VALU_DEP_4)
	v_bfe_u32 v14, v10, 16, 1
	v_bfe_u32 v12, v8, 16, 1
	s_delay_alu instid0(VALU_DEP_3) | instskip(NEXT) | instid1(VALU_DEP_3)
	v_bfe_u32 v15, v11, 16, 1
	v_add3_u32 v10, v10, v14, 0x7fff
	s_delay_alu instid0(VALU_DEP_3) | instskip(NEXT) | instid1(VALU_DEP_3)
	v_add3_u32 v8, v8, v12, 0x7fff
	v_add3_u32 v11, v11, v15, 0x7fff
	s_delay_alu instid0(VALU_DEP_3) | instskip(SKIP_1) | instid1(VALU_DEP_4)
	v_and_b32_e32 v10, 0xffff0000, v10
	v_lshlrev_b32_e32 v5, 16, v5
	v_and_b32_e32 v8, 0xffff0000, v8
	s_delay_alu instid0(VALU_DEP_4) | instskip(NEXT) | instid1(VALU_DEP_3)
	v_lshrrev_b32_e32 v11, 16, v11
	v_xor_b32_e32 v9, 0x80000000, v5
	s_delay_alu instid0(VALU_DEP_3) | instskip(SKIP_1) | instid1(VALU_DEP_3)
	v_cndmask_b32_e32 v7, 0x7fc00000, v8, vcc_lo
	v_cmp_o_f32_e32 vcc_lo, v5, v5
	v_bfe_u32 v13, v9, 16, 1
	s_delay_alu instid0(VALU_DEP_1) | instskip(NEXT) | instid1(VALU_DEP_1)
	v_add3_u32 v9, v9, v13, 0x7fff
	v_lshrrev_b32_e32 v9, 16, v9
	s_delay_alu instid0(VALU_DEP_1) | instskip(SKIP_1) | instid1(VALU_DEP_2)
	v_cndmask_b32_e32 v5, 0x7fc0, v9, vcc_lo
	v_cmp_o_f32_e32 vcc_lo, v6, v6
	v_or_b32_e32 v5, v5, v7
	v_cndmask_b32_e32 v6, 0x7fc00000, v10, vcc_lo
	v_cmp_o_f32_e32 vcc_lo, v0, v0
	s_delay_alu instid0(VALU_DEP_3) | instskip(SKIP_3) | instid1(VALU_DEP_1)
	v_or3_b32 v5, v5, 0, 0
	v_cndmask_b32_e32 v0, 0x7fc0, v11, vcc_lo
	v_cmp_le_i64_e32 vcc_lo, s[6:7], v[1:2]
	v_add_co_u32 v1, s1, v1, s4
	v_add_co_ci_u32_e64 v2, s1, 0, v2, s1
	s_delay_alu instid0(VALU_DEP_4) | instskip(SKIP_1) | instid1(SALU_CYCLE_1)
	v_or3_b32 v6, 0, v0, v6
	s_or_b32 s0, vcc_lo, s0
	s_and_b32 s0, exec_lo, s0
	global_store_b64 v[3:4], v[5:6], off
	v_add_co_u32 v3, vcc_lo, v3, s3
	v_add_co_ci_u32_e32 v4, vcc_lo, 0, v4, vcc_lo
	s_or_b32 s2, s0, s2
	s_delay_alu instid0(SALU_CYCLE_1)
	s_and_not1_b32 exec_lo, exec_lo, s2
	s_cbranch_execnz .LBB327_24
.LBB327_25:
	s_nop 0
	s_sendmsg sendmsg(MSG_DEALLOC_VGPRS)
	s_endpgm
	.section	.rodata,"a",@progbits
	.p2align	6, 0x0
	.amdhsa_kernel _ZN2at6native12_GLOBAL__N_125multi_tensor_apply_kernelINS1_18TensorListMetadataILi1EEENS1_14UnaryOpFunctorIN3c108BFloat16ELi1ELi1ELi0EEEJSt6negateIfEEEEvT_T0_DpT1_
		.amdhsa_group_segment_fixed_size 0
		.amdhsa_private_segment_fixed_size 0
		.amdhsa_kernarg_size 3632
		.amdhsa_user_sgpr_count 15
		.amdhsa_user_sgpr_dispatch_ptr 0
		.amdhsa_user_sgpr_queue_ptr 0
		.amdhsa_user_sgpr_kernarg_segment_ptr 1
		.amdhsa_user_sgpr_dispatch_id 0
		.amdhsa_user_sgpr_private_segment_size 0
		.amdhsa_wavefront_size32 1
		.amdhsa_uses_dynamic_stack 0
		.amdhsa_enable_private_segment 0
		.amdhsa_system_sgpr_workgroup_id_x 1
		.amdhsa_system_sgpr_workgroup_id_y 0
		.amdhsa_system_sgpr_workgroup_id_z 0
		.amdhsa_system_sgpr_workgroup_info 0
		.amdhsa_system_vgpr_workitem_id 0
		.amdhsa_next_free_vgpr 17
		.amdhsa_next_free_sgpr 20
		.amdhsa_reserve_vcc 1
		.amdhsa_float_round_mode_32 0
		.amdhsa_float_round_mode_16_64 0
		.amdhsa_float_denorm_mode_32 3
		.amdhsa_float_denorm_mode_16_64 3
		.amdhsa_dx10_clamp 1
		.amdhsa_ieee_mode 1
		.amdhsa_fp16_overflow 0
		.amdhsa_workgroup_processor_mode 1
		.amdhsa_memory_ordered 1
		.amdhsa_forward_progress 0
		.amdhsa_shared_vgpr_count 0
		.amdhsa_exception_fp_ieee_invalid_op 0
		.amdhsa_exception_fp_denorm_src 0
		.amdhsa_exception_fp_ieee_div_zero 0
		.amdhsa_exception_fp_ieee_overflow 0
		.amdhsa_exception_fp_ieee_underflow 0
		.amdhsa_exception_fp_ieee_inexact 0
		.amdhsa_exception_int_div_zero 0
	.end_amdhsa_kernel
	.section	.text._ZN2at6native12_GLOBAL__N_125multi_tensor_apply_kernelINS1_18TensorListMetadataILi1EEENS1_14UnaryOpFunctorIN3c108BFloat16ELi1ELi1ELi0EEEJSt6negateIfEEEEvT_T0_DpT1_,"axG",@progbits,_ZN2at6native12_GLOBAL__N_125multi_tensor_apply_kernelINS1_18TensorListMetadataILi1EEENS1_14UnaryOpFunctorIN3c108BFloat16ELi1ELi1ELi0EEEJSt6negateIfEEEEvT_T0_DpT1_,comdat
.Lfunc_end327:
	.size	_ZN2at6native12_GLOBAL__N_125multi_tensor_apply_kernelINS1_18TensorListMetadataILi1EEENS1_14UnaryOpFunctorIN3c108BFloat16ELi1ELi1ELi0EEEJSt6negateIfEEEEvT_T0_DpT1_, .Lfunc_end327-_ZN2at6native12_GLOBAL__N_125multi_tensor_apply_kernelINS1_18TensorListMetadataILi1EEENS1_14UnaryOpFunctorIN3c108BFloat16ELi1ELi1ELi0EEEJSt6negateIfEEEEvT_T0_DpT1_
                                        ; -- End function
	.section	.AMDGPU.csdata,"",@progbits
; Kernel info:
; codeLenInByte = 1576
; NumSgprs: 22
; NumVgprs: 17
; ScratchSize: 0
; MemoryBound: 0
; FloatMode: 240
; IeeeMode: 1
; LDSByteSize: 0 bytes/workgroup (compile time only)
; SGPRBlocks: 2
; VGPRBlocks: 2
; NumSGPRsForWavesPerEU: 22
; NumVGPRsForWavesPerEU: 17
; Occupancy: 16
; WaveLimiterHint : 0
; COMPUTE_PGM_RSRC2:SCRATCH_EN: 0
; COMPUTE_PGM_RSRC2:USER_SGPR: 15
; COMPUTE_PGM_RSRC2:TRAP_HANDLER: 0
; COMPUTE_PGM_RSRC2:TGID_X_EN: 1
; COMPUTE_PGM_RSRC2:TGID_Y_EN: 0
; COMPUTE_PGM_RSRC2:TGID_Z_EN: 0
; COMPUTE_PGM_RSRC2:TIDIG_COMP_CNT: 0
	.section	.text._ZN2at6native12_GLOBAL__N_125multi_tensor_apply_kernelINS1_18TensorListMetadataILi2EEENS1_14UnaryOpFunctorIhLi2ELi1ELi1EEEJNS0_3AbsIhEEEEEvT_T0_DpT1_,"axG",@progbits,_ZN2at6native12_GLOBAL__N_125multi_tensor_apply_kernelINS1_18TensorListMetadataILi2EEENS1_14UnaryOpFunctorIhLi2ELi1ELi1EEEJNS0_3AbsIhEEEEEvT_T0_DpT1_,comdat
	.globl	_ZN2at6native12_GLOBAL__N_125multi_tensor_apply_kernelINS1_18TensorListMetadataILi2EEENS1_14UnaryOpFunctorIhLi2ELi1ELi1EEEJNS0_3AbsIhEEEEEvT_T0_DpT1_ ; -- Begin function _ZN2at6native12_GLOBAL__N_125multi_tensor_apply_kernelINS1_18TensorListMetadataILi2EEENS1_14UnaryOpFunctorIhLi2ELi1ELi1EEEJNS0_3AbsIhEEEEEvT_T0_DpT1_
	.p2align	8
	.type	_ZN2at6native12_GLOBAL__N_125multi_tensor_apply_kernelINS1_18TensorListMetadataILi2EEENS1_14UnaryOpFunctorIhLi2ELi1ELi1EEEJNS0_3AbsIhEEEEEvT_T0_DpT1_,@function
_ZN2at6native12_GLOBAL__N_125multi_tensor_apply_kernelINS1_18TensorListMetadataILi2EEENS1_14UnaryOpFunctorIhLi2ELi1ELi1EEEJNS0_3AbsIhEEEEEvT_T0_DpT1_: ; @_ZN2at6native12_GLOBAL__N_125multi_tensor_apply_kernelINS1_18TensorListMetadataILi2EEENS1_14UnaryOpFunctorIhLi2ELi1ELi1EEEJNS0_3AbsIhEEEEEvT_T0_DpT1_
; %bb.0:
	v_mov_b32_e32 v1, s15
	s_add_u32 s2, s0, s15
	s_mul_hi_u32 s3, s15, 3
	s_mul_i32 s15, s15, 3
	s_addc_u32 s4, s1, 0
	global_load_u8 v1, v1, s[0:1] offset:1536
	s_add_u32 s2, s2, s15
	s_addc_u32 s3, s4, s3
	s_load_b32 s2, s[2:3], 0x740
	s_waitcnt vmcnt(0)
	v_readfirstlane_b32 s5, v1
	s_delay_alu instid0(VALU_DEP_1)
	s_lshl_b32 s3, s5, 3
	s_clause 0x2
	s_load_b64 s[8:9], s[0:1], s3 offset:0x0
	s_load_b64 s[10:11], s[0:1], s3 offset:0x200
	;; [unrolled: 1-line block ×3, first 2 shown]
	s_waitcnt lgkmcnt(0)
	s_ashr_i32 s3, s2, 31
	s_delay_alu instid0(SALU_CYCLE_1) | instskip(NEXT) | instid1(SALU_CYCLE_1)
	s_lshl_b64 s[12:13], s[2:3], 16
	s_add_u32 s6, s8, s12
	s_addc_u32 s7, s9, s13
	s_add_u32 s3, s10, s12
	s_addc_u32 s14, s11, s13
	s_or_b64 s[16:17], s[4:5], s[6:7]
	s_delay_alu instid0(SALU_CYCLE_1) | instskip(NEXT) | instid1(SALU_CYCLE_1)
	s_or_b32 s2, s3, s16
	s_and_b32 s2, s2, 3
	s_sub_u32 s4, s4, s12
	s_subb_u32 s5, s5, s13
	s_cmp_eq_u32 s2, 0
	s_mov_b32 s2, -1
	s_cbranch_scc0 .LBB328_5
; %bb.1:
	v_dual_mov_b32 v2, 0 :: v_dual_lshlrev_b32 v1, 2, v0
	s_mov_b32 s15, exec_lo
	s_delay_alu instid0(VALU_DEP_1)
	v_cmpx_gt_i64_e64 s[4:5], v[1:2]
	s_cbranch_execz .LBB328_4
; %bb.2:
	s_load_b32 s2, s[0:1], 0xc5c
	s_mov_b32 s17, 0
	s_waitcnt lgkmcnt(0)
	s_and_b32 s2, s2, 0xffff
	s_delay_alu instid0(SALU_CYCLE_1)
	s_lshl_b32 s16, s2, 2
	.p2align	6
.LBB328_3:                              ; =>This Inner Loop Header: Depth=1
	v_add_co_u32 v3, vcc_lo, s6, v1
	v_add_co_ci_u32_e32 v4, vcc_lo, s7, v2, vcc_lo
	global_load_b32 v5, v[3:4], off
	v_add_co_u32 v3, vcc_lo, s3, v1
	v_add_co_ci_u32_e32 v4, vcc_lo, s14, v2, vcc_lo
	v_add_co_u32 v1, vcc_lo, s16, v1
	v_add_co_ci_u32_e32 v2, vcc_lo, 0, v2, vcc_lo
	s_delay_alu instid0(VALU_DEP_1) | instskip(SKIP_1) | instid1(VALU_DEP_1)
	v_cmp_le_i64_e32 vcc_lo, s[4:5], v[1:2]
	v_cmp_lt_u64_e64 s2, 0xffff, v[1:2]
	s_or_b32 s2, vcc_lo, s2
	s_delay_alu instid0(SALU_CYCLE_1) | instskip(NEXT) | instid1(SALU_CYCLE_1)
	s_and_b32 s2, exec_lo, s2
	s_or_b32 s17, s2, s17
	s_waitcnt vmcnt(0)
	global_store_b32 v[3:4], v5, off
	s_and_not1_b32 exec_lo, exec_lo, s17
	s_cbranch_execnz .LBB328_3
.LBB328_4:
	s_or_b32 exec_lo, exec_lo, s15
	s_mov_b32 s2, 0
.LBB328_5:
	s_delay_alu instid0(SALU_CYCLE_1)
	s_and_not1_b32 vcc_lo, exec_lo, s2
	s_cbranch_vccnz .LBB328_25
; %bb.6:
	v_cmp_lt_i64_e64 s2, s[4:5], 1
	s_delay_alu instid0(VALU_DEP_1)
	s_and_b32 vcc_lo, exec_lo, s2
	s_cbranch_vccnz .LBB328_25
; %bb.7:
	s_load_b32 s0, s[0:1], 0xc5c
	v_add_co_u32 v15, s1, s12, v0
	s_delay_alu instid0(VALU_DEP_1) | instskip(SKIP_1) | instid1(VALU_DEP_3)
	v_add_co_ci_u32_e64 v16, null, s13, 0, s1
	v_cmp_gt_u64_e64 s1, 0x10000, s[4:5]
	v_add_co_u32 v1, vcc_lo, s8, v15
	s_delay_alu instid0(VALU_DEP_3)
	v_add_co_ci_u32_e32 v2, vcc_lo, s9, v16, vcc_lo
	v_add_co_u32 v3, vcc_lo, s10, v15
	v_add_co_ci_u32_e32 v4, vcc_lo, s11, v16, vcc_lo
	s_waitcnt lgkmcnt(0)
	s_and_b32 s0, s0, 0xffff
	s_and_b32 s1, s1, exec_lo
	s_mul_i32 s2, s0, 3
	s_cselect_b32 s7, s5, 0
	s_cselect_b32 s6, s4, 0x10000
	s_lshl_b32 s1, s0, 1
	s_lshl_b32 s14, s0, 2
	s_add_u32 s3, s12, s2
	s_addc_u32 s15, s13, 0
	v_add_co_u32 v7, s3, s3, v0
	s_delay_alu instid0(VALU_DEP_1) | instskip(SKIP_1) | instid1(VALU_DEP_2)
	v_add_co_ci_u32_e64 v8, null, s15, 0, s3
	s_add_u32 s3, s12, s1
	v_add_co_u32 v5, vcc_lo, s8, v7
	s_addc_u32 s12, s13, 0
	v_add_co_u32 v13, s3, s3, v0
	v_add_co_ci_u32_e32 v6, vcc_lo, s9, v8, vcc_lo
	v_add_co_u32 v7, vcc_lo, s10, v7
	v_add_co_ci_u32_e64 v14, null, s12, 0, s3
	v_add_co_ci_u32_e32 v8, vcc_lo, s11, v8, vcc_lo
	v_add_co_u32 v11, vcc_lo, s8, v13
	s_delay_alu instid0(VALU_DEP_3)
	v_add_co_ci_u32_e32 v12, vcc_lo, s9, v14, vcc_lo
	v_add_co_u32 v13, vcc_lo, s10, v13
	v_add_co_ci_u32_e32 v14, vcc_lo, s11, v14, vcc_lo
	v_add_co_u32 v19, vcc_lo, v15, s0
	v_add_co_ci_u32_e32 v20, vcc_lo, 0, v16, vcc_lo
	v_add_co_u32 v9, s2, s2, v0
	s_delay_alu instid0(VALU_DEP_3) | instskip(NEXT) | instid1(VALU_DEP_3)
	v_add_co_u32 v17, vcc_lo, s8, v19
	v_add_co_ci_u32_e32 v18, vcc_lo, s9, v20, vcc_lo
	v_add_co_u32 v15, s1, s1, v0
	v_add_co_u32 v19, vcc_lo, s10, v19
	v_add_co_u32 v21, s0, v0, s0
	v_add_co_ci_u32_e64 v10, null, 0, 0, s2
	v_add_co_ci_u32_e64 v16, null, 0, 0, s1
	v_add_co_ci_u32_e32 v20, vcc_lo, s11, v20, vcc_lo
	v_add_co_ci_u32_e64 v22, null, 0, 0, s0
	s_mov_b64 s[8:9], 0
	s_branch .LBB328_9
.LBB328_8:                              ;   in Loop: Header=BB328_9 Depth=1
	s_or_b32 exec_lo, exec_lo, s0
	s_add_u32 s8, s8, s14
	s_addc_u32 s9, s9, 0
	s_delay_alu instid0(SALU_CYCLE_1) | instskip(SKIP_1) | instid1(VALU_DEP_1)
	v_cmp_ge_i64_e64 s0, s[8:9], s[4:5]
	v_cmp_lt_u64_e64 s1, 0xffff, s[8:9]
	s_or_b32 s0, s0, s1
	s_delay_alu instid0(SALU_CYCLE_1)
	s_and_b32 vcc_lo, exec_lo, s0
	s_cbranch_vccnz .LBB328_25
.LBB328_9:                              ; =>This Inner Loop Header: Depth=1
	s_waitcnt vmcnt(0)
	v_add_co_u32 v23, s0, v0, s8
	s_delay_alu instid0(VALU_DEP_1) | instskip(NEXT) | instid1(VALU_DEP_1)
	v_add_co_ci_u32_e64 v24, null, 0, s9, s0
	v_cmp_gt_u64_e32 vcc_lo, s[6:7], v[23:24]
	v_mov_b32_e32 v23, 0
	s_and_saveexec_b32 s1, vcc_lo
	s_cbranch_execz .LBB328_11
; %bb.10:                               ;   in Loop: Header=BB328_9 Depth=1
	v_add_co_u32 v23, s0, v1, s8
	s_delay_alu instid0(VALU_DEP_1)
	v_add_co_ci_u32_e64 v24, s0, s9, v2, s0
	global_load_u8 v23, v[23:24], off
.LBB328_11:                             ;   in Loop: Header=BB328_9 Depth=1
	s_or_b32 exec_lo, exec_lo, s1
	v_add_co_u32 v24, s0, v21, s8
	s_delay_alu instid0(VALU_DEP_1) | instskip(NEXT) | instid1(VALU_DEP_1)
	v_add_co_ci_u32_e64 v25, s0, s9, v22, s0
	v_cmp_gt_u64_e64 s0, s[6:7], v[24:25]
	v_mov_b32_e32 v25, 0
	s_delay_alu instid0(VALU_DEP_2)
	s_and_saveexec_b32 s2, s0
	s_cbranch_execz .LBB328_13
; %bb.12:                               ;   in Loop: Header=BB328_9 Depth=1
	v_add_co_u32 v24, s1, v17, s8
	s_delay_alu instid0(VALU_DEP_1)
	v_add_co_ci_u32_e64 v25, s1, s9, v18, s1
	global_load_u8 v25, v[24:25], off
.LBB328_13:                             ;   in Loop: Header=BB328_9 Depth=1
	s_or_b32 exec_lo, exec_lo, s2
	v_add_co_u32 v26, s1, v15, s8
	s_delay_alu instid0(VALU_DEP_1) | instskip(SKIP_1) | instid1(VALU_DEP_2)
	v_add_co_ci_u32_e64 v27, s1, s9, v16, s1
	v_mov_b32_e32 v24, 0
	v_cmp_gt_u64_e64 s1, s[6:7], v[26:27]
	v_mov_b32_e32 v26, 0
	s_delay_alu instid0(VALU_DEP_2)
	s_and_saveexec_b32 s3, s1
	s_cbranch_execz .LBB328_15
; %bb.14:                               ;   in Loop: Header=BB328_9 Depth=1
	v_add_co_u32 v26, s2, v11, s8
	s_delay_alu instid0(VALU_DEP_1)
	v_add_co_ci_u32_e64 v27, s2, s9, v12, s2
	global_load_u8 v26, v[26:27], off
.LBB328_15:                             ;   in Loop: Header=BB328_9 Depth=1
	s_or_b32 exec_lo, exec_lo, s3
	v_add_co_u32 v27, s2, v9, s8
	s_delay_alu instid0(VALU_DEP_1) | instskip(NEXT) | instid1(VALU_DEP_1)
	v_add_co_ci_u32_e64 v28, s2, s9, v10, s2
	v_cmp_gt_u64_e64 s2, s[6:7], v[27:28]
	s_delay_alu instid0(VALU_DEP_1)
	s_and_saveexec_b32 s10, s2
	s_cbranch_execnz .LBB328_20
; %bb.16:                               ;   in Loop: Header=BB328_9 Depth=1
	s_or_b32 exec_lo, exec_lo, s10
	s_and_saveexec_b32 s3, vcc_lo
	s_cbranch_execnz .LBB328_21
.LBB328_17:                             ;   in Loop: Header=BB328_9 Depth=1
	s_or_b32 exec_lo, exec_lo, s3
	s_and_saveexec_b32 s3, s0
	s_cbranch_execnz .LBB328_22
.LBB328_18:                             ;   in Loop: Header=BB328_9 Depth=1
	s_or_b32 exec_lo, exec_lo, s3
	s_and_saveexec_b32 s0, s1
	s_cbranch_execnz .LBB328_23
.LBB328_19:                             ;   in Loop: Header=BB328_9 Depth=1
	s_or_b32 exec_lo, exec_lo, s0
	s_and_saveexec_b32 s0, s2
	s_cbranch_execz .LBB328_8
	s_branch .LBB328_24
.LBB328_20:                             ;   in Loop: Header=BB328_9 Depth=1
	v_add_co_u32 v27, s3, v5, s8
	s_delay_alu instid0(VALU_DEP_1)
	v_add_co_ci_u32_e64 v28, s3, s9, v6, s3
	global_load_u8 v24, v[27:28], off
	s_or_b32 exec_lo, exec_lo, s10
	s_and_saveexec_b32 s3, vcc_lo
	s_cbranch_execz .LBB328_17
.LBB328_21:                             ;   in Loop: Header=BB328_9 Depth=1
	v_add_co_u32 v27, vcc_lo, v3, s8
	v_add_co_ci_u32_e32 v28, vcc_lo, s9, v4, vcc_lo
	s_waitcnt vmcnt(0)
	global_store_b8 v[27:28], v23, off
	s_or_b32 exec_lo, exec_lo, s3
	s_and_saveexec_b32 s3, s0
	s_cbranch_execz .LBB328_18
.LBB328_22:                             ;   in Loop: Header=BB328_9 Depth=1
	v_add_co_u32 v27, vcc_lo, v19, s8
	v_add_co_ci_u32_e32 v28, vcc_lo, s9, v20, vcc_lo
	s_waitcnt vmcnt(0)
	global_store_b8 v[27:28], v25, off
	s_or_b32 exec_lo, exec_lo, s3
	s_and_saveexec_b32 s0, s1
	s_cbranch_execz .LBB328_19
.LBB328_23:                             ;   in Loop: Header=BB328_9 Depth=1
	v_add_co_u32 v27, vcc_lo, v13, s8
	v_add_co_ci_u32_e32 v28, vcc_lo, s9, v14, vcc_lo
	s_waitcnt vmcnt(0)
	global_store_b8 v[27:28], v26, off
	s_or_b32 exec_lo, exec_lo, s0
	s_and_saveexec_b32 s0, s2
	s_cbranch_execz .LBB328_8
.LBB328_24:                             ;   in Loop: Header=BB328_9 Depth=1
	s_waitcnt vmcnt(0)
	v_add_co_u32 v25, vcc_lo, v7, s8
	v_add_co_ci_u32_e32 v26, vcc_lo, s9, v8, vcc_lo
	global_store_b8 v[25:26], v24, off
	s_branch .LBB328_8
.LBB328_25:
	s_nop 0
	s_sendmsg sendmsg(MSG_DEALLOC_VGPRS)
	s_endpgm
	.section	.rodata,"a",@progbits
	.p2align	6, 0x0
	.amdhsa_kernel _ZN2at6native12_GLOBAL__N_125multi_tensor_apply_kernelINS1_18TensorListMetadataILi2EEENS1_14UnaryOpFunctorIhLi2ELi1ELi1EEEJNS0_3AbsIhEEEEEvT_T0_DpT1_
		.amdhsa_group_segment_fixed_size 0
		.amdhsa_private_segment_fixed_size 0
		.amdhsa_kernarg_size 3408
		.amdhsa_user_sgpr_count 15
		.amdhsa_user_sgpr_dispatch_ptr 0
		.amdhsa_user_sgpr_queue_ptr 0
		.amdhsa_user_sgpr_kernarg_segment_ptr 1
		.amdhsa_user_sgpr_dispatch_id 0
		.amdhsa_user_sgpr_private_segment_size 0
		.amdhsa_wavefront_size32 1
		.amdhsa_uses_dynamic_stack 0
		.amdhsa_enable_private_segment 0
		.amdhsa_system_sgpr_workgroup_id_x 1
		.amdhsa_system_sgpr_workgroup_id_y 0
		.amdhsa_system_sgpr_workgroup_id_z 0
		.amdhsa_system_sgpr_workgroup_info 0
		.amdhsa_system_vgpr_workitem_id 0
		.amdhsa_next_free_vgpr 29
		.amdhsa_next_free_sgpr 18
		.amdhsa_reserve_vcc 1
		.amdhsa_float_round_mode_32 0
		.amdhsa_float_round_mode_16_64 0
		.amdhsa_float_denorm_mode_32 3
		.amdhsa_float_denorm_mode_16_64 3
		.amdhsa_dx10_clamp 1
		.amdhsa_ieee_mode 1
		.amdhsa_fp16_overflow 0
		.amdhsa_workgroup_processor_mode 1
		.amdhsa_memory_ordered 1
		.amdhsa_forward_progress 0
		.amdhsa_shared_vgpr_count 0
		.amdhsa_exception_fp_ieee_invalid_op 0
		.amdhsa_exception_fp_denorm_src 0
		.amdhsa_exception_fp_ieee_div_zero 0
		.amdhsa_exception_fp_ieee_overflow 0
		.amdhsa_exception_fp_ieee_underflow 0
		.amdhsa_exception_fp_ieee_inexact 0
		.amdhsa_exception_int_div_zero 0
	.end_amdhsa_kernel
	.section	.text._ZN2at6native12_GLOBAL__N_125multi_tensor_apply_kernelINS1_18TensorListMetadataILi2EEENS1_14UnaryOpFunctorIhLi2ELi1ELi1EEEJNS0_3AbsIhEEEEEvT_T0_DpT1_,"axG",@progbits,_ZN2at6native12_GLOBAL__N_125multi_tensor_apply_kernelINS1_18TensorListMetadataILi2EEENS1_14UnaryOpFunctorIhLi2ELi1ELi1EEEJNS0_3AbsIhEEEEEvT_T0_DpT1_,comdat
.Lfunc_end328:
	.size	_ZN2at6native12_GLOBAL__N_125multi_tensor_apply_kernelINS1_18TensorListMetadataILi2EEENS1_14UnaryOpFunctorIhLi2ELi1ELi1EEEJNS0_3AbsIhEEEEEvT_T0_DpT1_, .Lfunc_end328-_ZN2at6native12_GLOBAL__N_125multi_tensor_apply_kernelINS1_18TensorListMetadataILi2EEENS1_14UnaryOpFunctorIhLi2ELi1ELi1EEEJNS0_3AbsIhEEEEEvT_T0_DpT1_
                                        ; -- End function
	.section	.AMDGPU.csdata,"",@progbits
; Kernel info:
; codeLenInByte = 1224
; NumSgprs: 20
; NumVgprs: 29
; ScratchSize: 0
; MemoryBound: 0
; FloatMode: 240
; IeeeMode: 1
; LDSByteSize: 0 bytes/workgroup (compile time only)
; SGPRBlocks: 2
; VGPRBlocks: 3
; NumSGPRsForWavesPerEU: 20
; NumVGPRsForWavesPerEU: 29
; Occupancy: 16
; WaveLimiterHint : 0
; COMPUTE_PGM_RSRC2:SCRATCH_EN: 0
; COMPUTE_PGM_RSRC2:USER_SGPR: 15
; COMPUTE_PGM_RSRC2:TRAP_HANDLER: 0
; COMPUTE_PGM_RSRC2:TGID_X_EN: 1
; COMPUTE_PGM_RSRC2:TGID_Y_EN: 0
; COMPUTE_PGM_RSRC2:TGID_Z_EN: 0
; COMPUTE_PGM_RSRC2:TIDIG_COMP_CNT: 0
	.section	.text._ZN2at6native12_GLOBAL__N_125multi_tensor_apply_kernelINS1_18TensorListMetadataILi2EEENS1_14UnaryOpFunctorIaLi2ELi1ELi1EEEJNS0_3AbsIaEEEEEvT_T0_DpT1_,"axG",@progbits,_ZN2at6native12_GLOBAL__N_125multi_tensor_apply_kernelINS1_18TensorListMetadataILi2EEENS1_14UnaryOpFunctorIaLi2ELi1ELi1EEEJNS0_3AbsIaEEEEEvT_T0_DpT1_,comdat
	.globl	_ZN2at6native12_GLOBAL__N_125multi_tensor_apply_kernelINS1_18TensorListMetadataILi2EEENS1_14UnaryOpFunctorIaLi2ELi1ELi1EEEJNS0_3AbsIaEEEEEvT_T0_DpT1_ ; -- Begin function _ZN2at6native12_GLOBAL__N_125multi_tensor_apply_kernelINS1_18TensorListMetadataILi2EEENS1_14UnaryOpFunctorIaLi2ELi1ELi1EEEJNS0_3AbsIaEEEEEvT_T0_DpT1_
	.p2align	8
	.type	_ZN2at6native12_GLOBAL__N_125multi_tensor_apply_kernelINS1_18TensorListMetadataILi2EEENS1_14UnaryOpFunctorIaLi2ELi1ELi1EEEJNS0_3AbsIaEEEEEvT_T0_DpT1_,@function
_ZN2at6native12_GLOBAL__N_125multi_tensor_apply_kernelINS1_18TensorListMetadataILi2EEENS1_14UnaryOpFunctorIaLi2ELi1ELi1EEEJNS0_3AbsIaEEEEEvT_T0_DpT1_: ; @_ZN2at6native12_GLOBAL__N_125multi_tensor_apply_kernelINS1_18TensorListMetadataILi2EEENS1_14UnaryOpFunctorIaLi2ELi1ELi1EEEJNS0_3AbsIaEEEEEvT_T0_DpT1_
; %bb.0:
	v_mov_b32_e32 v1, s15
	s_add_u32 s2, s0, s15
	s_mul_hi_u32 s3, s15, 3
	s_mul_i32 s15, s15, 3
	s_addc_u32 s4, s1, 0
	global_load_u8 v1, v1, s[0:1] offset:1536
	s_add_u32 s2, s2, s15
	s_addc_u32 s3, s4, s3
	s_load_b32 s2, s[2:3], 0x740
	s_waitcnt vmcnt(0)
	v_readfirstlane_b32 s5, v1
	s_delay_alu instid0(VALU_DEP_1)
	s_lshl_b32 s3, s5, 3
	s_clause 0x2
	s_load_b64 s[8:9], s[0:1], s3 offset:0x0
	s_load_b64 s[10:11], s[0:1], s3 offset:0x200
	;; [unrolled: 1-line block ×3, first 2 shown]
	s_waitcnt lgkmcnt(0)
	s_ashr_i32 s3, s2, 31
	s_delay_alu instid0(SALU_CYCLE_1) | instskip(NEXT) | instid1(SALU_CYCLE_1)
	s_lshl_b64 s[12:13], s[2:3], 16
	s_add_u32 s6, s8, s12
	s_addc_u32 s7, s9, s13
	s_add_u32 s3, s10, s12
	s_addc_u32 s14, s11, s13
	s_or_b64 s[16:17], s[4:5], s[6:7]
	s_delay_alu instid0(SALU_CYCLE_1) | instskip(NEXT) | instid1(SALU_CYCLE_1)
	s_or_b32 s2, s3, s16
	s_and_b32 s2, s2, 3
	s_sub_u32 s4, s4, s12
	s_subb_u32 s5, s5, s13
	s_cmp_eq_u32 s2, 0
	s_mov_b32 s2, -1
	s_cbranch_scc0 .LBB329_5
; %bb.1:
	v_dual_mov_b32 v2, 0 :: v_dual_lshlrev_b32 v1, 2, v0
	s_mov_b32 s15, exec_lo
	s_delay_alu instid0(VALU_DEP_1)
	v_cmpx_gt_i64_e64 s[4:5], v[1:2]
	s_cbranch_execz .LBB329_4
; %bb.2:
	s_load_b32 s2, s[0:1], 0xc5c
	s_mov_b32 s17, 0
	s_waitcnt lgkmcnt(0)
	s_and_b32 s2, s2, 0xffff
	s_delay_alu instid0(SALU_CYCLE_1)
	s_lshl_b32 s16, s2, 2
.LBB329_3:                              ; =>This Inner Loop Header: Depth=1
	v_add_co_u32 v3, vcc_lo, s6, v1
	v_add_co_ci_u32_e32 v4, vcc_lo, s7, v2, vcc_lo
	global_load_b32 v5, v[3:4], off
	v_add_co_u32 v3, vcc_lo, s3, v1
	v_add_co_ci_u32_e32 v4, vcc_lo, s14, v2, vcc_lo
	v_add_co_u32 v1, vcc_lo, s16, v1
	v_add_co_ci_u32_e32 v2, vcc_lo, 0, v2, vcc_lo
	s_delay_alu instid0(VALU_DEP_1) | instskip(SKIP_1) | instid1(VALU_DEP_1)
	v_cmp_le_i64_e32 vcc_lo, s[4:5], v[1:2]
	v_cmp_lt_u64_e64 s2, 0xffff, v[1:2]
	s_or_b32 s2, vcc_lo, s2
	s_delay_alu instid0(SALU_CYCLE_1) | instskip(NEXT) | instid1(SALU_CYCLE_1)
	s_and_b32 s2, exec_lo, s2
	s_or_b32 s17, s2, s17
	s_waitcnt vmcnt(0)
	v_lshrrev_b32_e32 v6, 16, v5
	v_ashrrev_i16 v7, 8, v5
	v_lshrrev_b32_e32 v8, 24, v5
	v_bfe_i32 v5, v5, 0, 8
	s_delay_alu instid0(VALU_DEP_4) | instskip(NEXT) | instid1(VALU_DEP_4)
	v_bfe_i32 v6, v6, 0, 8
	v_sub_nc_u16 v9, 0, v7
	s_delay_alu instid0(VALU_DEP_4) | instskip(NEXT) | instid1(VALU_DEP_4)
	v_bfe_i32 v8, v8, 0, 8
	v_sub_nc_u16 v11, 0, v5
	s_delay_alu instid0(VALU_DEP_4) | instskip(NEXT) | instid1(VALU_DEP_4)
	v_sub_nc_u16 v10, 0, v6
	v_max_i16 v7, v7, v9
	s_delay_alu instid0(VALU_DEP_4) | instskip(NEXT) | instid1(VALU_DEP_4)
	v_sub_nc_u16 v9, 0, v8
	v_max_i16 v5, v5, v11
	s_delay_alu instid0(VALU_DEP_4) | instskip(NEXT) | instid1(VALU_DEP_4)
	v_max_i16 v6, v6, v10
	v_and_b32_e32 v7, 0xffff, v7
	s_delay_alu instid0(VALU_DEP_4) | instskip(NEXT) | instid1(VALU_DEP_4)
	v_max_i16 v8, v8, v9
	v_and_b32_e32 v5, 0xffff, v5
	s_delay_alu instid0(VALU_DEP_4) | instskip(NEXT) | instid1(VALU_DEP_4)
	v_lshlrev_b32_e32 v6, 16, v6
	v_lshlrev_b32_e32 v7, 8, v7
	s_delay_alu instid0(VALU_DEP_2) | instskip(NEXT) | instid1(VALU_DEP_1)
	v_lshl_or_b32 v6, v8, 24, v6
	v_or3_b32 v5, v6, v7, v5
	global_store_b32 v[3:4], v5, off
	s_and_not1_b32 exec_lo, exec_lo, s17
	s_cbranch_execnz .LBB329_3
.LBB329_4:
	s_or_b32 exec_lo, exec_lo, s15
	s_mov_b32 s2, 0
.LBB329_5:
	s_delay_alu instid0(SALU_CYCLE_1)
	s_and_not1_b32 vcc_lo, exec_lo, s2
	s_cbranch_vccnz .LBB329_25
; %bb.6:
	v_cmp_lt_i64_e64 s2, s[4:5], 1
	s_delay_alu instid0(VALU_DEP_1)
	s_and_b32 vcc_lo, exec_lo, s2
	s_cbranch_vccnz .LBB329_25
; %bb.7:
	s_load_b32 s0, s[0:1], 0xc5c
	v_add_co_u32 v15, s1, s12, v0
	s_delay_alu instid0(VALU_DEP_1) | instskip(SKIP_1) | instid1(VALU_DEP_3)
	v_add_co_ci_u32_e64 v16, null, s13, 0, s1
	v_cmp_gt_u64_e64 s1, 0x10000, s[4:5]
	v_add_co_u32 v1, vcc_lo, s8, v15
	s_delay_alu instid0(VALU_DEP_3)
	v_add_co_ci_u32_e32 v2, vcc_lo, s9, v16, vcc_lo
	v_add_co_u32 v3, vcc_lo, s10, v15
	v_add_co_ci_u32_e32 v4, vcc_lo, s11, v16, vcc_lo
	s_waitcnt lgkmcnt(0)
	s_and_b32 s0, s0, 0xffff
	s_and_b32 s1, s1, exec_lo
	s_mul_i32 s2, s0, 3
	s_cselect_b32 s7, s5, 0
	s_cselect_b32 s6, s4, 0x10000
	s_lshl_b32 s1, s0, 1
	s_lshl_b32 s14, s0, 2
	s_add_u32 s3, s12, s2
	s_addc_u32 s15, s13, 0
	v_add_co_u32 v7, s3, s3, v0
	s_delay_alu instid0(VALU_DEP_1) | instskip(SKIP_1) | instid1(VALU_DEP_2)
	v_add_co_ci_u32_e64 v8, null, s15, 0, s3
	s_add_u32 s3, s12, s1
	v_add_co_u32 v5, vcc_lo, s8, v7
	s_addc_u32 s12, s13, 0
	v_add_co_u32 v13, s3, s3, v0
	v_add_co_ci_u32_e32 v6, vcc_lo, s9, v8, vcc_lo
	v_add_co_u32 v7, vcc_lo, s10, v7
	v_add_co_ci_u32_e64 v14, null, s12, 0, s3
	v_add_co_ci_u32_e32 v8, vcc_lo, s11, v8, vcc_lo
	v_add_co_u32 v11, vcc_lo, s8, v13
	s_delay_alu instid0(VALU_DEP_3)
	v_add_co_ci_u32_e32 v12, vcc_lo, s9, v14, vcc_lo
	v_add_co_u32 v13, vcc_lo, s10, v13
	v_add_co_ci_u32_e32 v14, vcc_lo, s11, v14, vcc_lo
	v_add_co_u32 v19, vcc_lo, v15, s0
	v_add_co_ci_u32_e32 v20, vcc_lo, 0, v16, vcc_lo
	v_add_co_u32 v9, s2, s2, v0
	s_delay_alu instid0(VALU_DEP_3) | instskip(NEXT) | instid1(VALU_DEP_3)
	v_add_co_u32 v17, vcc_lo, s8, v19
	v_add_co_ci_u32_e32 v18, vcc_lo, s9, v20, vcc_lo
	v_add_co_u32 v15, s1, s1, v0
	v_add_co_u32 v19, vcc_lo, s10, v19
	v_add_co_u32 v21, s0, v0, s0
	v_add_co_ci_u32_e64 v10, null, 0, 0, s2
	v_add_co_ci_u32_e64 v16, null, 0, 0, s1
	v_add_co_ci_u32_e32 v20, vcc_lo, s11, v20, vcc_lo
	v_add_co_ci_u32_e64 v22, null, 0, 0, s0
	s_mov_b64 s[8:9], 0
	s_branch .LBB329_9
.LBB329_8:                              ;   in Loop: Header=BB329_9 Depth=1
	s_or_b32 exec_lo, exec_lo, s0
	s_add_u32 s8, s8, s14
	s_addc_u32 s9, s9, 0
	s_delay_alu instid0(SALU_CYCLE_1) | instskip(SKIP_1) | instid1(VALU_DEP_1)
	v_cmp_ge_i64_e64 s0, s[8:9], s[4:5]
	v_cmp_lt_u64_e64 s1, 0xffff, s[8:9]
	s_or_b32 s0, s0, s1
	s_delay_alu instid0(SALU_CYCLE_1)
	s_and_b32 vcc_lo, exec_lo, s0
	s_cbranch_vccnz .LBB329_25
.LBB329_9:                              ; =>This Inner Loop Header: Depth=1
	s_waitcnt vmcnt(0)
	v_add_co_u32 v23, s0, v0, s8
	s_delay_alu instid0(VALU_DEP_1) | instskip(NEXT) | instid1(VALU_DEP_1)
	v_add_co_ci_u32_e64 v24, null, 0, s9, s0
	v_cmp_gt_u64_e32 vcc_lo, s[6:7], v[23:24]
	v_mov_b32_e32 v24, 0
	s_and_saveexec_b32 s1, vcc_lo
	s_cbranch_execz .LBB329_11
; %bb.10:                               ;   in Loop: Header=BB329_9 Depth=1
	v_add_co_u32 v23, s0, v1, s8
	s_delay_alu instid0(VALU_DEP_1)
	v_add_co_ci_u32_e64 v24, s0, s9, v2, s0
	global_load_u8 v24, v[23:24], off
.LBB329_11:                             ;   in Loop: Header=BB329_9 Depth=1
	s_or_b32 exec_lo, exec_lo, s1
	v_add_co_u32 v25, s0, v21, s8
	s_delay_alu instid0(VALU_DEP_1) | instskip(NEXT) | instid1(VALU_DEP_1)
	v_add_co_ci_u32_e64 v26, s0, s9, v22, s0
	v_cmp_gt_u64_e64 s0, s[6:7], v[25:26]
	v_mov_b32_e32 v25, 0
	s_delay_alu instid0(VALU_DEP_2)
	s_and_saveexec_b32 s2, s0
	s_cbranch_execz .LBB329_13
; %bb.12:                               ;   in Loop: Header=BB329_9 Depth=1
	v_add_co_u32 v25, s1, v17, s8
	s_delay_alu instid0(VALU_DEP_1)
	v_add_co_ci_u32_e64 v26, s1, s9, v18, s1
	global_load_u8 v25, v[25:26], off
.LBB329_13:                             ;   in Loop: Header=BB329_9 Depth=1
	s_or_b32 exec_lo, exec_lo, s2
	v_add_co_u32 v26, s1, v15, s8
	s_delay_alu instid0(VALU_DEP_1) | instskip(SKIP_1) | instid1(VALU_DEP_2)
	v_add_co_ci_u32_e64 v27, s1, s9, v16, s1
	v_mov_b32_e32 v23, 0
	v_cmp_gt_u64_e64 s1, s[6:7], v[26:27]
	v_mov_b32_e32 v26, 0
	s_delay_alu instid0(VALU_DEP_2)
	s_and_saveexec_b32 s3, s1
	s_cbranch_execz .LBB329_15
; %bb.14:                               ;   in Loop: Header=BB329_9 Depth=1
	v_add_co_u32 v26, s2, v11, s8
	s_delay_alu instid0(VALU_DEP_1)
	v_add_co_ci_u32_e64 v27, s2, s9, v12, s2
	global_load_u8 v26, v[26:27], off
.LBB329_15:                             ;   in Loop: Header=BB329_9 Depth=1
	s_or_b32 exec_lo, exec_lo, s3
	v_add_co_u32 v27, s2, v9, s8
	s_delay_alu instid0(VALU_DEP_1) | instskip(NEXT) | instid1(VALU_DEP_1)
	v_add_co_ci_u32_e64 v28, s2, s9, v10, s2
	v_cmp_gt_u64_e64 s2, s[6:7], v[27:28]
	s_delay_alu instid0(VALU_DEP_1)
	s_and_saveexec_b32 s10, s2
	s_cbranch_execnz .LBB329_20
; %bb.16:                               ;   in Loop: Header=BB329_9 Depth=1
	s_or_b32 exec_lo, exec_lo, s10
	s_and_saveexec_b32 s3, vcc_lo
	s_cbranch_execnz .LBB329_21
.LBB329_17:                             ;   in Loop: Header=BB329_9 Depth=1
	s_or_b32 exec_lo, exec_lo, s3
	s_and_saveexec_b32 s3, s0
	s_cbranch_execnz .LBB329_22
.LBB329_18:                             ;   in Loop: Header=BB329_9 Depth=1
	s_or_b32 exec_lo, exec_lo, s3
	s_and_saveexec_b32 s0, s1
	s_cbranch_execnz .LBB329_23
.LBB329_19:                             ;   in Loop: Header=BB329_9 Depth=1
	s_or_b32 exec_lo, exec_lo, s0
	s_and_saveexec_b32 s0, s2
	s_cbranch_execz .LBB329_8
	s_branch .LBB329_24
.LBB329_20:                             ;   in Loop: Header=BB329_9 Depth=1
	v_add_co_u32 v27, s3, v5, s8
	s_delay_alu instid0(VALU_DEP_1)
	v_add_co_ci_u32_e64 v28, s3, s9, v6, s3
	global_load_u8 v23, v[27:28], off
	s_or_b32 exec_lo, exec_lo, s10
	s_and_saveexec_b32 s3, vcc_lo
	s_cbranch_execz .LBB329_17
.LBB329_21:                             ;   in Loop: Header=BB329_9 Depth=1
	s_waitcnt vmcnt(0)
	v_bfe_i32 v24, v24, 0, 8
	v_add_co_u32 v27, vcc_lo, v3, s8
	v_add_co_ci_u32_e32 v28, vcc_lo, s9, v4, vcc_lo
	s_delay_alu instid0(VALU_DEP_3) | instskip(NEXT) | instid1(VALU_DEP_1)
	v_sub_nc_u16 v29, 0, v24
	v_max_i16 v24, v24, v29
	global_store_b8 v[27:28], v24, off
	s_or_b32 exec_lo, exec_lo, s3
	s_and_saveexec_b32 s3, s0
	s_cbranch_execz .LBB329_18
.LBB329_22:                             ;   in Loop: Header=BB329_9 Depth=1
	s_waitcnt vmcnt(0)
	v_bfe_i32 v24, v25, 0, 8
	s_delay_alu instid0(VALU_DEP_1) | instskip(NEXT) | instid1(VALU_DEP_1)
	v_sub_nc_u16 v25, 0, v24
	v_max_i16 v27, v24, v25
	v_add_co_u32 v24, vcc_lo, v19, s8
	v_add_co_ci_u32_e32 v25, vcc_lo, s9, v20, vcc_lo
	global_store_b8 v[24:25], v27, off
	s_or_b32 exec_lo, exec_lo, s3
	s_and_saveexec_b32 s0, s1
	s_cbranch_execz .LBB329_19
.LBB329_23:                             ;   in Loop: Header=BB329_9 Depth=1
	s_waitcnt vmcnt(0)
	v_bfe_i32 v24, v26, 0, 8
	s_delay_alu instid0(VALU_DEP_1) | instskip(NEXT) | instid1(VALU_DEP_1)
	v_sub_nc_u16 v25, 0, v24
	v_max_i16 v26, v24, v25
	v_add_co_u32 v24, vcc_lo, v13, s8
	v_add_co_ci_u32_e32 v25, vcc_lo, s9, v14, vcc_lo
	global_store_b8 v[24:25], v26, off
	s_or_b32 exec_lo, exec_lo, s0
	s_and_saveexec_b32 s0, s2
	s_cbranch_execz .LBB329_8
.LBB329_24:                             ;   in Loop: Header=BB329_9 Depth=1
	s_waitcnt vmcnt(0)
	v_bfe_i32 v23, v23, 0, 8
	s_delay_alu instid0(VALU_DEP_1) | instskip(NEXT) | instid1(VALU_DEP_1)
	v_sub_nc_u16 v24, 0, v23
	v_max_i16 v25, v23, v24
	v_add_co_u32 v23, vcc_lo, v7, s8
	v_add_co_ci_u32_e32 v24, vcc_lo, s9, v8, vcc_lo
	global_store_b8 v[23:24], v25, off
	s_branch .LBB329_8
.LBB329_25:
	s_nop 0
	s_sendmsg sendmsg(MSG_DEALLOC_VGPRS)
	s_endpgm
	.section	.rodata,"a",@progbits
	.p2align	6, 0x0
	.amdhsa_kernel _ZN2at6native12_GLOBAL__N_125multi_tensor_apply_kernelINS1_18TensorListMetadataILi2EEENS1_14UnaryOpFunctorIaLi2ELi1ELi1EEEJNS0_3AbsIaEEEEEvT_T0_DpT1_
		.amdhsa_group_segment_fixed_size 0
		.amdhsa_private_segment_fixed_size 0
		.amdhsa_kernarg_size 3408
		.amdhsa_user_sgpr_count 15
		.amdhsa_user_sgpr_dispatch_ptr 0
		.amdhsa_user_sgpr_queue_ptr 0
		.amdhsa_user_sgpr_kernarg_segment_ptr 1
		.amdhsa_user_sgpr_dispatch_id 0
		.amdhsa_user_sgpr_private_segment_size 0
		.amdhsa_wavefront_size32 1
		.amdhsa_uses_dynamic_stack 0
		.amdhsa_enable_private_segment 0
		.amdhsa_system_sgpr_workgroup_id_x 1
		.amdhsa_system_sgpr_workgroup_id_y 0
		.amdhsa_system_sgpr_workgroup_id_z 0
		.amdhsa_system_sgpr_workgroup_info 0
		.amdhsa_system_vgpr_workitem_id 0
		.amdhsa_next_free_vgpr 30
		.amdhsa_next_free_sgpr 18
		.amdhsa_reserve_vcc 1
		.amdhsa_float_round_mode_32 0
		.amdhsa_float_round_mode_16_64 0
		.amdhsa_float_denorm_mode_32 3
		.amdhsa_float_denorm_mode_16_64 3
		.amdhsa_dx10_clamp 1
		.amdhsa_ieee_mode 1
		.amdhsa_fp16_overflow 0
		.amdhsa_workgroup_processor_mode 1
		.amdhsa_memory_ordered 1
		.amdhsa_forward_progress 0
		.amdhsa_shared_vgpr_count 0
		.amdhsa_exception_fp_ieee_invalid_op 0
		.amdhsa_exception_fp_denorm_src 0
		.amdhsa_exception_fp_ieee_div_zero 0
		.amdhsa_exception_fp_ieee_overflow 0
		.amdhsa_exception_fp_ieee_underflow 0
		.amdhsa_exception_fp_ieee_inexact 0
		.amdhsa_exception_int_div_zero 0
	.end_amdhsa_kernel
	.section	.text._ZN2at6native12_GLOBAL__N_125multi_tensor_apply_kernelINS1_18TensorListMetadataILi2EEENS1_14UnaryOpFunctorIaLi2ELi1ELi1EEEJNS0_3AbsIaEEEEEvT_T0_DpT1_,"axG",@progbits,_ZN2at6native12_GLOBAL__N_125multi_tensor_apply_kernelINS1_18TensorListMetadataILi2EEENS1_14UnaryOpFunctorIaLi2ELi1ELi1EEEJNS0_3AbsIaEEEEEvT_T0_DpT1_,comdat
.Lfunc_end329:
	.size	_ZN2at6native12_GLOBAL__N_125multi_tensor_apply_kernelINS1_18TensorListMetadataILi2EEENS1_14UnaryOpFunctorIaLi2ELi1ELi1EEEJNS0_3AbsIaEEEEEvT_T0_DpT1_, .Lfunc_end329-_ZN2at6native12_GLOBAL__N_125multi_tensor_apply_kernelINS1_18TensorListMetadataILi2EEENS1_14UnaryOpFunctorIaLi2ELi1ELi1EEEJNS0_3AbsIaEEEEEvT_T0_DpT1_
                                        ; -- End function
	.section	.AMDGPU.csdata,"",@progbits
; Kernel info:
; codeLenInByte = 1512
; NumSgprs: 20
; NumVgprs: 30
; ScratchSize: 0
; MemoryBound: 0
; FloatMode: 240
; IeeeMode: 1
; LDSByteSize: 0 bytes/workgroup (compile time only)
; SGPRBlocks: 2
; VGPRBlocks: 3
; NumSGPRsForWavesPerEU: 20
; NumVGPRsForWavesPerEU: 30
; Occupancy: 16
; WaveLimiterHint : 0
; COMPUTE_PGM_RSRC2:SCRATCH_EN: 0
; COMPUTE_PGM_RSRC2:USER_SGPR: 15
; COMPUTE_PGM_RSRC2:TRAP_HANDLER: 0
; COMPUTE_PGM_RSRC2:TGID_X_EN: 1
; COMPUTE_PGM_RSRC2:TGID_Y_EN: 0
; COMPUTE_PGM_RSRC2:TGID_Z_EN: 0
; COMPUTE_PGM_RSRC2:TIDIG_COMP_CNT: 0
	.section	.text._ZN2at6native12_GLOBAL__N_125multi_tensor_apply_kernelINS1_18TensorListMetadataILi2EEENS1_14UnaryOpFunctorIiLi2ELi1ELi1EEEJNS0_3AbsIiEEEEEvT_T0_DpT1_,"axG",@progbits,_ZN2at6native12_GLOBAL__N_125multi_tensor_apply_kernelINS1_18TensorListMetadataILi2EEENS1_14UnaryOpFunctorIiLi2ELi1ELi1EEEJNS0_3AbsIiEEEEEvT_T0_DpT1_,comdat
	.globl	_ZN2at6native12_GLOBAL__N_125multi_tensor_apply_kernelINS1_18TensorListMetadataILi2EEENS1_14UnaryOpFunctorIiLi2ELi1ELi1EEEJNS0_3AbsIiEEEEEvT_T0_DpT1_ ; -- Begin function _ZN2at6native12_GLOBAL__N_125multi_tensor_apply_kernelINS1_18TensorListMetadataILi2EEENS1_14UnaryOpFunctorIiLi2ELi1ELi1EEEJNS0_3AbsIiEEEEEvT_T0_DpT1_
	.p2align	8
	.type	_ZN2at6native12_GLOBAL__N_125multi_tensor_apply_kernelINS1_18TensorListMetadataILi2EEENS1_14UnaryOpFunctorIiLi2ELi1ELi1EEEJNS0_3AbsIiEEEEEvT_T0_DpT1_,@function
_ZN2at6native12_GLOBAL__N_125multi_tensor_apply_kernelINS1_18TensorListMetadataILi2EEENS1_14UnaryOpFunctorIiLi2ELi1ELi1EEEJNS0_3AbsIiEEEEEvT_T0_DpT1_: ; @_ZN2at6native12_GLOBAL__N_125multi_tensor_apply_kernelINS1_18TensorListMetadataILi2EEENS1_14UnaryOpFunctorIiLi2ELi1ELi1EEEJNS0_3AbsIiEEEEEvT_T0_DpT1_
; %bb.0:
	v_mov_b32_e32 v1, s15
	s_add_u32 s2, s0, s15
	s_mul_hi_u32 s3, s15, 3
	s_mul_i32 s15, s15, 3
	s_addc_u32 s4, s1, 0
	global_load_u8 v1, v1, s[0:1] offset:1536
	s_add_u32 s2, s2, s15
	s_addc_u32 s3, s4, s3
	s_mov_b32 s17, 0
	s_load_b32 s2, s[2:3], 0x740
	s_mov_b32 s19, s17
	s_mov_b32 s21, s17
	s_waitcnt vmcnt(0)
	v_readfirstlane_b32 s5, v1
	s_delay_alu instid0(VALU_DEP_1)
	s_lshl_b32 s3, s5, 3
	s_clause 0x2
	s_load_b64 s[10:11], s[0:1], s3 offset:0x0
	s_load_b64 s[12:13], s[0:1], s3 offset:0x200
	s_load_b64 s[6:7], s[0:1], s3 offset:0x400
	s_waitcnt lgkmcnt(0)
	s_ashr_i32 s3, s2, 31
	s_delay_alu instid0(SALU_CYCLE_1) | instskip(NEXT) | instid1(SALU_CYCLE_1)
	s_lshl_b64 s[4:5], s[2:3], 18
	s_add_u32 s8, s10, s4
	s_addc_u32 s9, s11, s5
	s_and_b32 s16, s8, 15
	s_add_u32 s14, s12, s4
	s_addc_u32 s15, s13, s5
	s_and_b32 s18, s6, 3
	s_and_b32 s20, s14, 15
	s_or_b64 s[16:17], s[16:17], s[18:19]
	s_lshl_b64 s[2:3], s[2:3], 16
	s_or_b64 s[16:17], s[20:21], s[16:17]
	s_sub_u32 s6, s6, s2
	s_subb_u32 s7, s7, s3
	s_cmp_eq_u64 s[16:17], 0
	s_mov_b32 s2, -1
	s_cbranch_scc0 .LBB330_5
; %bb.1:
	v_dual_mov_b32 v2, 0 :: v_dual_lshlrev_b32 v1, 2, v0
	s_mov_b32 s16, exec_lo
	s_delay_alu instid0(VALU_DEP_1)
	v_cmpx_gt_i64_e64 s[6:7], v[1:2]
	s_cbranch_execz .LBB330_4
; %bb.2:
	s_load_b32 s2, s[0:1], 0xc5c
	v_lshlrev_b32_e32 v3, 4, v0
	s_mov_b32 s17, 0
	s_waitcnt lgkmcnt(0)
	s_and_b32 s2, s2, 0xffff
	s_delay_alu instid0(SALU_CYCLE_1)
	v_add_lshl_u32 v1, v0, s2, 2
	s_lshl_b32 s18, s2, 2
	s_lshl_b32 s19, s2, 4
	s_set_inst_prefetch_distance 0x1
	.p2align	6
.LBB330_3:                              ; =>This Inner Loop Header: Depth=1
	v_add_co_u32 v4, s2, s8, v3
	s_delay_alu instid0(VALU_DEP_1)
	v_add_co_ci_u32_e64 v5, null, s9, 0, s2
	v_cmp_le_i64_e32 vcc_lo, s[6:7], v[1:2]
	v_cmp_lt_u64_e64 s2, 0xffff, v[1:2]
	v_add_co_u32 v8, s3, s14, v3
	global_load_b128 v[4:7], v[4:5], off
	v_add_co_ci_u32_e64 v9, null, s15, 0, s3
	s_or_b32 s2, vcc_lo, s2
	s_add_u32 s8, s8, s19
	v_add_co_u32 v1, s3, v1, s18
	s_addc_u32 s9, s9, 0
	s_add_u32 s14, s14, s19
	v_add_co_ci_u32_e64 v2, s3, 0, v2, s3
	s_addc_u32 s15, s15, 0
	s_and_b32 s2, exec_lo, s2
	s_delay_alu instid0(SALU_CYCLE_1)
	s_or_b32 s17, s2, s17
	s_waitcnt vmcnt(0)
	v_sub_nc_u32_e32 v10, 0, v4
	v_sub_nc_u32_e32 v11, 0, v5
	;; [unrolled: 1-line block ×4, first 2 shown]
	s_delay_alu instid0(VALU_DEP_4) | instskip(NEXT) | instid1(VALU_DEP_4)
	v_max_i32_e32 v4, v4, v10
	v_max_i32_e32 v5, v5, v11
	s_delay_alu instid0(VALU_DEP_4) | instskip(NEXT) | instid1(VALU_DEP_4)
	v_max_i32_e32 v6, v6, v12
	v_max_i32_e32 v7, v7, v13
	global_store_b128 v[8:9], v[4:7], off
	s_and_not1_b32 exec_lo, exec_lo, s17
	s_cbranch_execnz .LBB330_3
.LBB330_4:
	s_set_inst_prefetch_distance 0x2
	s_or_b32 exec_lo, exec_lo, s16
	s_mov_b32 s2, 0
.LBB330_5:
	s_delay_alu instid0(SALU_CYCLE_1)
	s_and_not1_b32 vcc_lo, exec_lo, s2
	s_cbranch_vccnz .LBB330_25
; %bb.6:
	v_cmp_lt_i64_e64 s2, s[6:7], 1
	s_delay_alu instid0(VALU_DEP_1)
	s_and_b32 vcc_lo, exec_lo, s2
	s_cbranch_vccnz .LBB330_25
; %bb.7:
	s_load_b32 s0, s[0:1], 0xc5c
	v_dual_mov_b32 v10, 0 :: v_dual_lshlrev_b32 v9, 2, v0
	v_cmp_gt_u64_e64 s1, 0x10000, s[6:7]
	s_delay_alu instid0(VALU_DEP_2) | instskip(NEXT) | instid1(VALU_DEP_1)
	v_add_co_u32 v1, s2, s10, v9
	v_add_co_ci_u32_e64 v2, null, s11, 0, s2
	v_add_co_u32 v3, s2, s12, v9
	s_delay_alu instid0(VALU_DEP_1)
	v_add_co_ci_u32_e64 v4, null, s13, 0, s2
	s_waitcnt lgkmcnt(0)
	s_and_b32 s0, s0, 0xffff
	s_and_b32 s1, s1, exec_lo
	v_mad_u64_u32 v[7:8], null, s0, 12, v[9:10]
	s_cselect_b32 s9, s7, 0
	s_cselect_b32 s8, s6, 0x10000
	s_mul_i32 s2, s0, 3
	s_lshl_b32 s3, s0, 3
	s_lshl_b32 s1, s0, 1
	v_add_co_u32 v14, s3, s3, v9
	v_add_co_u32 v9, s2, s2, v0
	s_delay_alu instid0(VALU_DEP_1) | instskip(SKIP_3) | instid1(VALU_DEP_3)
	v_add_co_ci_u32_e64 v10, null, 0, 0, s2
	v_add_co_u32 v13, s2, v0, s0
	v_add_co_u32 v5, vcc_lo, s10, v7
	v_add_co_ci_u32_e32 v6, vcc_lo, s11, v8, vcc_lo
	v_lshlrev_b32_e32 v21, 2, v13
	v_add_co_u32 v7, vcc_lo, s12, v7
	v_add_co_ci_u32_e64 v15, null, 0, 0, s3
	v_add_co_ci_u32_e32 v8, vcc_lo, s13, v8, vcc_lo
	v_add_co_u32 v17, s1, s1, v0
	v_add_co_u32 v11, vcc_lo, s10, v14
	v_add_co_ci_u32_e64 v18, null, 0, 0, s1
	v_add_co_u32 v19, s1, s10, v21
	v_add_co_ci_u32_e32 v12, vcc_lo, s11, v15, vcc_lo
	v_add_co_u32 v14, vcc_lo, s12, v14
	v_add_co_ci_u32_e64 v20, null, s11, 0, s1
	v_add_co_u32 v21, s1, s12, v21
	v_add_co_ci_u32_e32 v15, vcc_lo, s13, v15, vcc_lo
	v_add_co_ci_u32_e64 v16, null, 0, 0, s2
	v_add_co_ci_u32_e64 v22, null, s13, 0, s1
	s_lshl_b32 s12, s0, 2
	s_lshl_b32 s13, s0, 4
	s_mov_b64 s[10:11], 0
	s_branch .LBB330_9
.LBB330_8:                              ;   in Loop: Header=BB330_9 Depth=1
	s_or_b32 exec_lo, exec_lo, s0
	v_add_co_u32 v1, vcc_lo, v1, s13
	v_add_co_ci_u32_e32 v2, vcc_lo, 0, v2, vcc_lo
	v_add_co_u32 v3, vcc_lo, v3, s13
	v_add_co_ci_u32_e32 v4, vcc_lo, 0, v4, vcc_lo
	;; [unrolled: 2-line block ×5, first 2 shown]
	s_add_u32 s10, s10, s12
	v_add_co_u32 v14, vcc_lo, v14, s13
	s_addc_u32 s11, s11, 0
	v_add_co_ci_u32_e32 v15, vcc_lo, 0, v15, vcc_lo
	v_cmp_ge_i64_e64 s0, s[10:11], s[6:7]
	v_cmp_lt_u64_e64 s1, 0xffff, s[10:11]
	v_add_co_u32 v19, vcc_lo, v19, s13
	v_add_co_ci_u32_e32 v20, vcc_lo, 0, v20, vcc_lo
	v_add_co_u32 v21, vcc_lo, v21, s13
	v_add_co_ci_u32_e32 v22, vcc_lo, 0, v22, vcc_lo
	s_or_b32 s0, s0, s1
	s_delay_alu instid0(SALU_CYCLE_1)
	s_and_b32 vcc_lo, exec_lo, s0
	s_cbranch_vccnz .LBB330_25
.LBB330_9:                              ; =>This Inner Loop Header: Depth=1
	s_waitcnt vmcnt(0)
	v_add_co_u32 v23, s0, v0, s10
	s_delay_alu instid0(VALU_DEP_1) | instskip(NEXT) | instid1(VALU_DEP_1)
	v_add_co_ci_u32_e64 v24, null, 0, s11, s0
	v_cmp_gt_u64_e32 vcc_lo, s[8:9], v[23:24]
	v_mov_b32_e32 v23, 0
	s_and_saveexec_b32 s1, vcc_lo
	s_cbranch_execz .LBB330_11
; %bb.10:                               ;   in Loop: Header=BB330_9 Depth=1
	v_add_co_u32 v23, s0, v1, s4
	s_delay_alu instid0(VALU_DEP_1)
	v_add_co_ci_u32_e64 v24, s0, s5, v2, s0
	global_load_b32 v23, v[23:24], off
.LBB330_11:                             ;   in Loop: Header=BB330_9 Depth=1
	s_or_b32 exec_lo, exec_lo, s1
	v_add_co_u32 v24, s0, v13, s10
	s_delay_alu instid0(VALU_DEP_1) | instskip(NEXT) | instid1(VALU_DEP_1)
	v_add_co_ci_u32_e64 v25, s0, s11, v16, s0
	v_cmp_gt_u64_e64 s0, s[8:9], v[24:25]
	v_mov_b32_e32 v25, 0
	s_delay_alu instid0(VALU_DEP_2)
	s_and_saveexec_b32 s2, s0
	s_cbranch_execz .LBB330_13
; %bb.12:                               ;   in Loop: Header=BB330_9 Depth=1
	v_add_co_u32 v24, s1, v19, s4
	s_delay_alu instid0(VALU_DEP_1)
	v_add_co_ci_u32_e64 v25, s1, s5, v20, s1
	global_load_b32 v25, v[24:25], off
.LBB330_13:                             ;   in Loop: Header=BB330_9 Depth=1
	s_or_b32 exec_lo, exec_lo, s2
	v_add_co_u32 v26, s1, v17, s10
	s_delay_alu instid0(VALU_DEP_1) | instskip(SKIP_1) | instid1(VALU_DEP_2)
	v_add_co_ci_u32_e64 v27, s1, s11, v18, s1
	v_mov_b32_e32 v24, 0
	v_cmp_gt_u64_e64 s1, s[8:9], v[26:27]
	v_mov_b32_e32 v26, 0
	s_delay_alu instid0(VALU_DEP_2)
	s_and_saveexec_b32 s3, s1
	s_cbranch_execz .LBB330_15
; %bb.14:                               ;   in Loop: Header=BB330_9 Depth=1
	v_add_co_u32 v26, s2, v11, s4
	s_delay_alu instid0(VALU_DEP_1)
	v_add_co_ci_u32_e64 v27, s2, s5, v12, s2
	global_load_b32 v26, v[26:27], off
.LBB330_15:                             ;   in Loop: Header=BB330_9 Depth=1
	s_or_b32 exec_lo, exec_lo, s3
	v_add_co_u32 v27, s2, v9, s10
	s_delay_alu instid0(VALU_DEP_1) | instskip(NEXT) | instid1(VALU_DEP_1)
	v_add_co_ci_u32_e64 v28, s2, s11, v10, s2
	v_cmp_gt_u64_e64 s2, s[8:9], v[27:28]
	s_delay_alu instid0(VALU_DEP_1)
	s_and_saveexec_b32 s14, s2
	s_cbranch_execnz .LBB330_20
; %bb.16:                               ;   in Loop: Header=BB330_9 Depth=1
	s_or_b32 exec_lo, exec_lo, s14
	s_and_saveexec_b32 s3, vcc_lo
	s_cbranch_execnz .LBB330_21
.LBB330_17:                             ;   in Loop: Header=BB330_9 Depth=1
	s_or_b32 exec_lo, exec_lo, s3
	s_and_saveexec_b32 s3, s0
	s_cbranch_execnz .LBB330_22
.LBB330_18:                             ;   in Loop: Header=BB330_9 Depth=1
	s_or_b32 exec_lo, exec_lo, s3
	s_and_saveexec_b32 s0, s1
	s_cbranch_execnz .LBB330_23
.LBB330_19:                             ;   in Loop: Header=BB330_9 Depth=1
	s_or_b32 exec_lo, exec_lo, s0
	s_and_saveexec_b32 s0, s2
	s_cbranch_execz .LBB330_8
	s_branch .LBB330_24
.LBB330_20:                             ;   in Loop: Header=BB330_9 Depth=1
	v_add_co_u32 v27, s3, v5, s4
	s_delay_alu instid0(VALU_DEP_1)
	v_add_co_ci_u32_e64 v28, s3, s5, v6, s3
	global_load_b32 v24, v[27:28], off
	s_or_b32 exec_lo, exec_lo, s14
	s_and_saveexec_b32 s3, vcc_lo
	s_cbranch_execz .LBB330_17
.LBB330_21:                             ;   in Loop: Header=BB330_9 Depth=1
	s_waitcnt vmcnt(0)
	v_sub_nc_u32_e32 v29, 0, v23
	v_add_co_u32 v27, vcc_lo, v3, s4
	v_add_co_ci_u32_e32 v28, vcc_lo, s5, v4, vcc_lo
	s_delay_alu instid0(VALU_DEP_3)
	v_max_i32_e32 v23, v23, v29
	global_store_b32 v[27:28], v23, off
	s_or_b32 exec_lo, exec_lo, s3
	s_and_saveexec_b32 s3, s0
	s_cbranch_execz .LBB330_18
.LBB330_22:                             ;   in Loop: Header=BB330_9 Depth=1
	s_waitcnt vmcnt(0)
	v_sub_nc_u32_e32 v23, 0, v25
	v_add_co_u32 v27, vcc_lo, v21, s4
	v_add_co_ci_u32_e32 v28, vcc_lo, s5, v22, vcc_lo
	s_delay_alu instid0(VALU_DEP_3)
	v_max_i32_e32 v23, v25, v23
	global_store_b32 v[27:28], v23, off
	s_or_b32 exec_lo, exec_lo, s3
	s_and_saveexec_b32 s0, s1
	s_cbranch_execz .LBB330_19
.LBB330_23:                             ;   in Loop: Header=BB330_9 Depth=1
	s_waitcnt vmcnt(0)
	v_sub_nc_u32_e32 v23, 0, v26
	v_add_co_u32 v25, vcc_lo, v14, s4
	s_delay_alu instid0(VALU_DEP_2)
	v_max_i32_e32 v23, v26, v23
	v_add_co_ci_u32_e32 v26, vcc_lo, s5, v15, vcc_lo
	global_store_b32 v[25:26], v23, off
	s_or_b32 exec_lo, exec_lo, s0
	s_and_saveexec_b32 s0, s2
	s_cbranch_execz .LBB330_8
.LBB330_24:                             ;   in Loop: Header=BB330_9 Depth=1
	s_waitcnt vmcnt(0)
	v_sub_nc_u32_e32 v23, 0, v24
	s_delay_alu instid0(VALU_DEP_1)
	v_max_i32_e32 v25, v24, v23
	v_add_co_u32 v23, vcc_lo, v7, s4
	v_add_co_ci_u32_e32 v24, vcc_lo, s5, v8, vcc_lo
	global_store_b32 v[23:24], v25, off
	s_branch .LBB330_8
.LBB330_25:
	s_nop 0
	s_sendmsg sendmsg(MSG_DEALLOC_VGPRS)
	s_endpgm
	.section	.rodata,"a",@progbits
	.p2align	6, 0x0
	.amdhsa_kernel _ZN2at6native12_GLOBAL__N_125multi_tensor_apply_kernelINS1_18TensorListMetadataILi2EEENS1_14UnaryOpFunctorIiLi2ELi1ELi1EEEJNS0_3AbsIiEEEEEvT_T0_DpT1_
		.amdhsa_group_segment_fixed_size 0
		.amdhsa_private_segment_fixed_size 0
		.amdhsa_kernarg_size 3408
		.amdhsa_user_sgpr_count 15
		.amdhsa_user_sgpr_dispatch_ptr 0
		.amdhsa_user_sgpr_queue_ptr 0
		.amdhsa_user_sgpr_kernarg_segment_ptr 1
		.amdhsa_user_sgpr_dispatch_id 0
		.amdhsa_user_sgpr_private_segment_size 0
		.amdhsa_wavefront_size32 1
		.amdhsa_uses_dynamic_stack 0
		.amdhsa_enable_private_segment 0
		.amdhsa_system_sgpr_workgroup_id_x 1
		.amdhsa_system_sgpr_workgroup_id_y 0
		.amdhsa_system_sgpr_workgroup_id_z 0
		.amdhsa_system_sgpr_workgroup_info 0
		.amdhsa_system_vgpr_workitem_id 0
		.amdhsa_next_free_vgpr 30
		.amdhsa_next_free_sgpr 22
		.amdhsa_reserve_vcc 1
		.amdhsa_float_round_mode_32 0
		.amdhsa_float_round_mode_16_64 0
		.amdhsa_float_denorm_mode_32 3
		.amdhsa_float_denorm_mode_16_64 3
		.amdhsa_dx10_clamp 1
		.amdhsa_ieee_mode 1
		.amdhsa_fp16_overflow 0
		.amdhsa_workgroup_processor_mode 1
		.amdhsa_memory_ordered 1
		.amdhsa_forward_progress 0
		.amdhsa_shared_vgpr_count 0
		.amdhsa_exception_fp_ieee_invalid_op 0
		.amdhsa_exception_fp_denorm_src 0
		.amdhsa_exception_fp_ieee_div_zero 0
		.amdhsa_exception_fp_ieee_overflow 0
		.amdhsa_exception_fp_ieee_underflow 0
		.amdhsa_exception_fp_ieee_inexact 0
		.amdhsa_exception_int_div_zero 0
	.end_amdhsa_kernel
	.section	.text._ZN2at6native12_GLOBAL__N_125multi_tensor_apply_kernelINS1_18TensorListMetadataILi2EEENS1_14UnaryOpFunctorIiLi2ELi1ELi1EEEJNS0_3AbsIiEEEEEvT_T0_DpT1_,"axG",@progbits,_ZN2at6native12_GLOBAL__N_125multi_tensor_apply_kernelINS1_18TensorListMetadataILi2EEENS1_14UnaryOpFunctorIiLi2ELi1ELi1EEEJNS0_3AbsIiEEEEEvT_T0_DpT1_,comdat
.Lfunc_end330:
	.size	_ZN2at6native12_GLOBAL__N_125multi_tensor_apply_kernelINS1_18TensorListMetadataILi2EEENS1_14UnaryOpFunctorIiLi2ELi1ELi1EEEJNS0_3AbsIiEEEEEvT_T0_DpT1_, .Lfunc_end330-_ZN2at6native12_GLOBAL__N_125multi_tensor_apply_kernelINS1_18TensorListMetadataILi2EEENS1_14UnaryOpFunctorIiLi2ELi1ELi1EEEJNS0_3AbsIiEEEEEvT_T0_DpT1_
                                        ; -- End function
	.section	.AMDGPU.csdata,"",@progbits
; Kernel info:
; codeLenInByte = 1452
; NumSgprs: 24
; NumVgprs: 30
; ScratchSize: 0
; MemoryBound: 0
; FloatMode: 240
; IeeeMode: 1
; LDSByteSize: 0 bytes/workgroup (compile time only)
; SGPRBlocks: 2
; VGPRBlocks: 3
; NumSGPRsForWavesPerEU: 24
; NumVGPRsForWavesPerEU: 30
; Occupancy: 16
; WaveLimiterHint : 0
; COMPUTE_PGM_RSRC2:SCRATCH_EN: 0
; COMPUTE_PGM_RSRC2:USER_SGPR: 15
; COMPUTE_PGM_RSRC2:TRAP_HANDLER: 0
; COMPUTE_PGM_RSRC2:TGID_X_EN: 1
; COMPUTE_PGM_RSRC2:TGID_Y_EN: 0
; COMPUTE_PGM_RSRC2:TGID_Z_EN: 0
; COMPUTE_PGM_RSRC2:TIDIG_COMP_CNT: 0
	.section	.text._ZN2at6native12_GLOBAL__N_125multi_tensor_apply_kernelINS1_18TensorListMetadataILi2EEENS1_14UnaryOpFunctorIlLi2ELi1ELi1EEEJNS0_3AbsIlEEEEEvT_T0_DpT1_,"axG",@progbits,_ZN2at6native12_GLOBAL__N_125multi_tensor_apply_kernelINS1_18TensorListMetadataILi2EEENS1_14UnaryOpFunctorIlLi2ELi1ELi1EEEJNS0_3AbsIlEEEEEvT_T0_DpT1_,comdat
	.globl	_ZN2at6native12_GLOBAL__N_125multi_tensor_apply_kernelINS1_18TensorListMetadataILi2EEENS1_14UnaryOpFunctorIlLi2ELi1ELi1EEEJNS0_3AbsIlEEEEEvT_T0_DpT1_ ; -- Begin function _ZN2at6native12_GLOBAL__N_125multi_tensor_apply_kernelINS1_18TensorListMetadataILi2EEENS1_14UnaryOpFunctorIlLi2ELi1ELi1EEEJNS0_3AbsIlEEEEEvT_T0_DpT1_
	.p2align	8
	.type	_ZN2at6native12_GLOBAL__N_125multi_tensor_apply_kernelINS1_18TensorListMetadataILi2EEENS1_14UnaryOpFunctorIlLi2ELi1ELi1EEEJNS0_3AbsIlEEEEEvT_T0_DpT1_,@function
_ZN2at6native12_GLOBAL__N_125multi_tensor_apply_kernelINS1_18TensorListMetadataILi2EEENS1_14UnaryOpFunctorIlLi2ELi1ELi1EEEJNS0_3AbsIlEEEEEvT_T0_DpT1_: ; @_ZN2at6native12_GLOBAL__N_125multi_tensor_apply_kernelINS1_18TensorListMetadataILi2EEENS1_14UnaryOpFunctorIlLi2ELi1ELi1EEEJNS0_3AbsIlEEEEEvT_T0_DpT1_
; %bb.0:
	v_mov_b32_e32 v1, s15
	s_add_u32 s2, s0, s15
	s_mul_hi_u32 s3, s15, 3
	s_mul_i32 s15, s15, 3
	s_addc_u32 s4, s1, 0
	global_load_u8 v1, v1, s[0:1] offset:1536
	s_add_u32 s2, s2, s15
	s_addc_u32 s3, s4, s3
	s_mov_b32 s17, 0
	s_load_b32 s2, s[2:3], 0x740
	s_mov_b32 s19, s17
	s_mov_b32 s21, s17
	s_waitcnt vmcnt(0)
	v_readfirstlane_b32 s5, v1
	s_delay_alu instid0(VALU_DEP_1)
	s_lshl_b32 s3, s5, 3
	s_clause 0x2
	s_load_b64 s[10:11], s[0:1], s3 offset:0x0
	s_load_b64 s[12:13], s[0:1], s3 offset:0x200
	;; [unrolled: 1-line block ×3, first 2 shown]
	s_waitcnt lgkmcnt(0)
	s_ashr_i32 s3, s2, 31
	s_delay_alu instid0(SALU_CYCLE_1) | instskip(NEXT) | instid1(SALU_CYCLE_1)
	s_lshl_b64 s[4:5], s[2:3], 19
	s_add_u32 s8, s10, s4
	s_addc_u32 s9, s11, s5
	s_and_b32 s16, s8, 31
	s_add_u32 s14, s12, s4
	s_addc_u32 s15, s13, s5
	s_and_b32 s18, s6, 3
	s_and_b32 s20, s14, 31
	s_or_b64 s[16:17], s[16:17], s[18:19]
	s_lshl_b64 s[2:3], s[2:3], 16
	s_or_b64 s[16:17], s[20:21], s[16:17]
	s_sub_u32 s6, s6, s2
	s_subb_u32 s7, s7, s3
	s_cmp_eq_u64 s[16:17], 0
	s_mov_b32 s2, -1
	s_cbranch_scc0 .LBB331_5
; %bb.1:
	v_dual_mov_b32 v2, 0 :: v_dual_lshlrev_b32 v1, 2, v0
	s_mov_b32 s16, exec_lo
	s_delay_alu instid0(VALU_DEP_1)
	v_cmpx_gt_i64_e64 s[6:7], v[1:2]
	s_cbranch_execz .LBB331_4
; %bb.2:
	s_load_b32 s2, s[0:1], 0xc5c
	v_lshlrev_b32_e32 v3, 5, v0
	s_mov_b32 s17, 0
	s_waitcnt lgkmcnt(0)
	s_and_b32 s2, s2, 0xffff
	s_delay_alu instid0(SALU_CYCLE_1)
	v_add_lshl_u32 v1, v0, s2, 2
	s_lshl_b32 s18, s2, 2
	s_lshl_b32 s19, s2, 5
.LBB331_3:                              ; =>This Inner Loop Header: Depth=1
	v_add_co_u32 v8, s2, s8, v3
	s_delay_alu instid0(VALU_DEP_1)
	v_add_co_ci_u32_e64 v9, null, s9, 0, s2
	v_cmp_le_i64_e32 vcc_lo, s[6:7], v[1:2]
	v_cmp_lt_u64_e64 s2, 0xffff, v[1:2]
	v_add_co_u32 v12, s3, s14, v3
	s_clause 0x1
	global_load_b128 v[4:7], v[8:9], off
	global_load_b128 v[8:11], v[8:9], off offset:16
	v_add_co_ci_u32_e64 v13, null, s15, 0, s3
	s_or_b32 s2, vcc_lo, s2
	s_add_u32 s8, s8, s19
	v_add_co_u32 v1, s3, v1, s18
	s_addc_u32 s9, s9, 0
	s_add_u32 s14, s14, s19
	v_add_co_ci_u32_e64 v2, s3, 0, v2, s3
	s_addc_u32 s15, s15, 0
	s_and_b32 s2, exec_lo, s2
	s_delay_alu instid0(SALU_CYCLE_1)
	s_or_b32 s17, s2, s17
	s_waitcnt vmcnt(1)
	v_ashrrev_i32_e32 v14, 31, v5
	v_ashrrev_i32_e32 v15, 31, v7
	s_waitcnt vmcnt(0)
	v_ashrrev_i32_e32 v16, 31, v9
	v_ashrrev_i32_e32 v17, 31, v11
	v_xor_b32_e32 v4, v4, v14
	v_xor_b32_e32 v5, v5, v14
	;; [unrolled: 1-line block ×5, first 2 shown]
	v_sub_co_u32 v4, vcc_lo, v4, v14
	v_sub_co_ci_u32_e32 v5, vcc_lo, v5, v14, vcc_lo
	v_xor_b32_e32 v9, v9, v16
	v_sub_co_u32 v6, vcc_lo, v6, v15
	v_xor_b32_e32 v10, v10, v17
	v_sub_co_ci_u32_e32 v7, vcc_lo, v7, v15, vcc_lo
	v_xor_b32_e32 v11, v11, v17
	v_sub_co_u32 v8, vcc_lo, v8, v16
	v_sub_co_ci_u32_e32 v9, vcc_lo, v9, v16, vcc_lo
	v_sub_co_u32 v10, vcc_lo, v10, v17
	s_delay_alu instid0(VALU_DEP_4)
	v_sub_co_ci_u32_e32 v11, vcc_lo, v11, v17, vcc_lo
	s_clause 0x1
	global_store_b128 v[12:13], v[4:7], off
	global_store_b128 v[12:13], v[8:11], off offset:16
	s_and_not1_b32 exec_lo, exec_lo, s17
	s_cbranch_execnz .LBB331_3
.LBB331_4:
	s_or_b32 exec_lo, exec_lo, s16
	s_mov_b32 s2, 0
.LBB331_5:
	s_delay_alu instid0(SALU_CYCLE_1)
	s_and_not1_b32 vcc_lo, exec_lo, s2
	s_cbranch_vccnz .LBB331_25
; %bb.6:
	v_cmp_lt_i64_e64 s2, s[6:7], 1
	s_delay_alu instid0(VALU_DEP_1)
	s_and_b32 vcc_lo, exec_lo, s2
	s_cbranch_vccnz .LBB331_25
; %bb.7:
	s_load_b32 s0, s[0:1], 0xc5c
	v_dual_mov_b32 v2, 0 :: v_dual_lshlrev_b32 v1, 3, v0
	v_cmp_gt_u64_e64 s1, 0x10000, s[6:7]
	s_delay_alu instid0(VALU_DEP_2) | instskip(NEXT) | instid1(VALU_DEP_1)
	v_add_co_u32 v9, s2, s10, v1
	v_add_co_ci_u32_e64 v10, null, s11, 0, s2
	v_add_co_u32 v11, s2, s12, v1
	s_delay_alu instid0(VALU_DEP_1)
	v_add_co_ci_u32_e64 v12, null, s13, 0, s2
	s_waitcnt lgkmcnt(0)
	s_and_b32 s0, s0, 0xffff
	s_and_b32 s1, s1, exec_lo
	v_mad_u64_u32 v[3:4], null, s0, 24, v[1:2]
	s_cselect_b32 s9, s7, 0
	s_cselect_b32 s8, s6, 0x10000
	s_lshl_b32 s3, s0, 4
	s_mul_i32 s2, s0, 3
	v_add_co_u32 v1, s3, s3, v1
	s_delay_alu instid0(VALU_DEP_2) | instskip(NEXT) | instid1(VALU_DEP_3)
	v_add_co_u32 v13, vcc_lo, s10, v3
	v_add_co_ci_u32_e32 v14, vcc_lo, s11, v4, vcc_lo
	v_add_co_u32 v17, s2, s2, v0
	v_add_co_u32 v15, vcc_lo, s12, v3
	v_add_co_ci_u32_e64 v2, null, 0, 0, s3
	v_add_co_ci_u32_e64 v18, null, 0, 0, s2
	v_add_co_u32 v21, s2, v0, s0
	v_add_co_ci_u32_e32 v16, vcc_lo, s13, v4, vcc_lo
	v_add_co_u32 v19, vcc_lo, s10, v1
	v_add_co_ci_u32_e32 v20, vcc_lo, s11, v2, vcc_lo
	v_add_co_u32 v22, vcc_lo, s12, v1
	v_lshlrev_b32_e32 v1, 3, v21
	s_lshl_b32 s1, s0, 1
	v_add_co_ci_u32_e32 v23, vcc_lo, s13, v2, vcc_lo
	v_add_co_u32 v25, s1, s1, v0
	s_delay_alu instid0(VALU_DEP_1) | instskip(SKIP_1) | instid1(VALU_DEP_1)
	v_add_co_ci_u32_e64 v26, null, 0, 0, s1
	v_add_co_u32 v27, s1, s10, v1
	v_add_co_ci_u32_e64 v28, null, s11, 0, s1
	v_add_co_u32 v29, s1, s12, v1
	v_add_co_ci_u32_e64 v24, null, 0, 0, s2
	v_add_co_ci_u32_e64 v30, null, s13, 0, s1
	s_lshl_b32 s12, s0, 2
	s_lshl_b32 s13, s0, 5
	s_mov_b64 s[10:11], 0
	s_branch .LBB331_9
.LBB331_8:                              ;   in Loop: Header=BB331_9 Depth=1
	s_or_b32 exec_lo, exec_lo, s0
	v_add_co_u32 v9, vcc_lo, v9, s13
	v_add_co_ci_u32_e32 v10, vcc_lo, 0, v10, vcc_lo
	v_add_co_u32 v11, vcc_lo, v11, s13
	v_add_co_ci_u32_e32 v12, vcc_lo, 0, v12, vcc_lo
	v_add_co_u32 v13, vcc_lo, v13, s13
	v_add_co_ci_u32_e32 v14, vcc_lo, 0, v14, vcc_lo
	v_add_co_u32 v15, vcc_lo, v15, s13
	v_add_co_ci_u32_e32 v16, vcc_lo, 0, v16, vcc_lo
	v_add_co_u32 v19, vcc_lo, v19, s13
	v_add_co_ci_u32_e32 v20, vcc_lo, 0, v20, vcc_lo
	s_add_u32 s10, s10, s12
	v_add_co_u32 v22, vcc_lo, v22, s13
	s_addc_u32 s11, s11, 0
	v_add_co_ci_u32_e32 v23, vcc_lo, 0, v23, vcc_lo
	v_cmp_ge_i64_e64 s0, s[10:11], s[6:7]
	v_cmp_lt_u64_e64 s1, 0xffff, s[10:11]
	v_add_co_u32 v27, vcc_lo, v27, s13
	v_add_co_ci_u32_e32 v28, vcc_lo, 0, v28, vcc_lo
	v_add_co_u32 v29, vcc_lo, v29, s13
	v_add_co_ci_u32_e32 v30, vcc_lo, 0, v30, vcc_lo
	s_or_b32 s0, s0, s1
	s_delay_alu instid0(SALU_CYCLE_1)
	s_and_b32 vcc_lo, exec_lo, s0
	s_cbranch_vccnz .LBB331_25
.LBB331_9:                              ; =>This Inner Loop Header: Depth=1
	s_waitcnt vmcnt(0)
	v_add_co_u32 v3, s0, v0, s10
	s_delay_alu instid0(VALU_DEP_1) | instskip(SKIP_2) | instid1(VALU_DEP_3)
	v_add_co_ci_u32_e64 v4, null, 0, s11, s0
	v_mov_b32_e32 v1, 0
	v_mov_b32_e32 v2, 0
	v_cmp_gt_u64_e64 s0, s[8:9], v[3:4]
	s_delay_alu instid0(VALU_DEP_2) | instskip(NEXT) | instid1(VALU_DEP_2)
	v_dual_mov_b32 v6, v2 :: v_dual_mov_b32 v5, v1
	s_and_saveexec_b32 s1, s0
	s_cbranch_execz .LBB331_11
; %bb.10:                               ;   in Loop: Header=BB331_9 Depth=1
	v_add_co_u32 v3, vcc_lo, v9, s4
	v_add_co_ci_u32_e32 v4, vcc_lo, s5, v10, vcc_lo
	global_load_b64 v[5:6], v[3:4], off
.LBB331_11:                             ;   in Loop: Header=BB331_9 Depth=1
	s_or_b32 exec_lo, exec_lo, s1
	v_add_co_u32 v3, vcc_lo, v21, s10
	v_add_co_ci_u32_e32 v4, vcc_lo, s11, v24, vcc_lo
	s_delay_alu instid0(VALU_DEP_1)
	v_cmp_gt_u64_e32 vcc_lo, s[8:9], v[3:4]
	s_and_saveexec_b32 s2, vcc_lo
	s_cbranch_execz .LBB331_13
; %bb.12:                               ;   in Loop: Header=BB331_9 Depth=1
	v_add_co_u32 v1, s1, v27, s4
	s_delay_alu instid0(VALU_DEP_1)
	v_add_co_ci_u32_e64 v2, s1, s5, v28, s1
	global_load_b64 v[1:2], v[1:2], off
.LBB331_13:                             ;   in Loop: Header=BB331_9 Depth=1
	s_or_b32 exec_lo, exec_lo, s2
	v_add_co_u32 v7, s1, v25, s10
	s_delay_alu instid0(VALU_DEP_1) | instskip(SKIP_2) | instid1(VALU_DEP_3)
	v_add_co_ci_u32_e64 v8, s1, s11, v26, s1
	v_mov_b32_e32 v3, 0
	v_mov_b32_e32 v4, 0
	v_cmp_gt_u64_e64 s1, s[8:9], v[7:8]
	s_delay_alu instid0(VALU_DEP_2) | instskip(NEXT) | instid1(VALU_DEP_2)
	v_dual_mov_b32 v8, v4 :: v_dual_mov_b32 v7, v3
	s_and_saveexec_b32 s3, s1
	s_cbranch_execz .LBB331_15
; %bb.14:                               ;   in Loop: Header=BB331_9 Depth=1
	v_add_co_u32 v7, s2, v19, s4
	s_delay_alu instid0(VALU_DEP_1)
	v_add_co_ci_u32_e64 v8, s2, s5, v20, s2
	global_load_b64 v[7:8], v[7:8], off
.LBB331_15:                             ;   in Loop: Header=BB331_9 Depth=1
	s_or_b32 exec_lo, exec_lo, s3
	v_add_co_u32 v31, s2, v17, s10
	s_delay_alu instid0(VALU_DEP_1) | instskip(NEXT) | instid1(VALU_DEP_1)
	v_add_co_ci_u32_e64 v32, s2, s11, v18, s2
	v_cmp_gt_u64_e64 s2, s[8:9], v[31:32]
	s_delay_alu instid0(VALU_DEP_1)
	s_and_saveexec_b32 s14, s2
	s_cbranch_execnz .LBB331_20
; %bb.16:                               ;   in Loop: Header=BB331_9 Depth=1
	s_or_b32 exec_lo, exec_lo, s14
	s_and_saveexec_b32 s3, s0
	s_cbranch_execnz .LBB331_21
.LBB331_17:                             ;   in Loop: Header=BB331_9 Depth=1
	s_or_b32 exec_lo, exec_lo, s3
	s_and_saveexec_b32 s0, vcc_lo
	s_cbranch_execnz .LBB331_22
.LBB331_18:                             ;   in Loop: Header=BB331_9 Depth=1
	s_or_b32 exec_lo, exec_lo, s0
	s_and_saveexec_b32 s0, s1
	s_cbranch_execnz .LBB331_23
.LBB331_19:                             ;   in Loop: Header=BB331_9 Depth=1
	s_or_b32 exec_lo, exec_lo, s0
	s_and_saveexec_b32 s0, s2
	s_cbranch_execz .LBB331_8
	s_branch .LBB331_24
.LBB331_20:                             ;   in Loop: Header=BB331_9 Depth=1
	v_add_co_u32 v3, s3, v13, s4
	s_delay_alu instid0(VALU_DEP_1)
	v_add_co_ci_u32_e64 v4, s3, s5, v14, s3
	global_load_b64 v[3:4], v[3:4], off
	s_or_b32 exec_lo, exec_lo, s14
	s_and_saveexec_b32 s3, s0
	s_cbranch_execz .LBB331_17
.LBB331_21:                             ;   in Loop: Header=BB331_9 Depth=1
	s_waitcnt vmcnt(0)
	v_ashrrev_i32_e32 v32, 31, v6
	s_delay_alu instid0(VALU_DEP_1) | instskip(SKIP_2) | instid1(VALU_DEP_1)
	v_xor_b32_e32 v31, v5, v32
	v_xor_b32_e32 v33, v6, v32
	v_add_co_u32 v5, s0, v11, s4
	v_add_co_ci_u32_e64 v6, s0, s5, v12, s0
	s_delay_alu instid0(VALU_DEP_4) | instskip(NEXT) | instid1(VALU_DEP_1)
	v_sub_co_u32 v31, s0, v31, v32
	v_sub_co_ci_u32_e64 v32, s0, v33, v32, s0
	global_store_b64 v[5:6], v[31:32], off
	s_or_b32 exec_lo, exec_lo, s3
	s_and_saveexec_b32 s0, vcc_lo
	s_cbranch_execz .LBB331_18
.LBB331_22:                             ;   in Loop: Header=BB331_9 Depth=1
	s_waitcnt vmcnt(0)
	v_ashrrev_i32_e32 v5, 31, v2
	s_delay_alu instid0(VALU_DEP_1) | instskip(SKIP_1) | instid1(VALU_DEP_2)
	v_xor_b32_e32 v1, v1, v5
	v_xor_b32_e32 v2, v2, v5
	v_sub_co_u32 v1, vcc_lo, v1, v5
	s_delay_alu instid0(VALU_DEP_2)
	v_sub_co_ci_u32_e32 v2, vcc_lo, v2, v5, vcc_lo
	v_add_co_u32 v5, vcc_lo, v29, s4
	v_add_co_ci_u32_e32 v6, vcc_lo, s5, v30, vcc_lo
	global_store_b64 v[5:6], v[1:2], off
	s_or_b32 exec_lo, exec_lo, s0
	s_and_saveexec_b32 s0, s1
	s_cbranch_execz .LBB331_19
.LBB331_23:                             ;   in Loop: Header=BB331_9 Depth=1
	s_waitcnt vmcnt(0)
	v_ashrrev_i32_e32 v2, 31, v8
	s_delay_alu instid0(VALU_DEP_1) | instskip(SKIP_1) | instid1(VALU_DEP_2)
	v_xor_b32_e32 v1, v7, v2
	v_xor_b32_e32 v5, v8, v2
	v_sub_co_u32 v1, vcc_lo, v1, v2
	s_delay_alu instid0(VALU_DEP_2)
	v_sub_co_ci_u32_e32 v2, vcc_lo, v5, v2, vcc_lo
	v_add_co_u32 v5, vcc_lo, v22, s4
	v_add_co_ci_u32_e32 v6, vcc_lo, s5, v23, vcc_lo
	global_store_b64 v[5:6], v[1:2], off
	s_or_b32 exec_lo, exec_lo, s0
	s_and_saveexec_b32 s0, s2
	s_cbranch_execz .LBB331_8
.LBB331_24:                             ;   in Loop: Header=BB331_9 Depth=1
	s_waitcnt vmcnt(0)
	v_ashrrev_i32_e32 v2, 31, v4
	s_delay_alu instid0(VALU_DEP_1) | instskip(SKIP_1) | instid1(VALU_DEP_2)
	v_xor_b32_e32 v1, v3, v2
	v_xor_b32_e32 v3, v4, v2
	v_sub_co_u32 v1, vcc_lo, v1, v2
	s_delay_alu instid0(VALU_DEP_2)
	v_sub_co_ci_u32_e32 v2, vcc_lo, v3, v2, vcc_lo
	v_add_co_u32 v3, vcc_lo, v15, s4
	v_add_co_ci_u32_e32 v4, vcc_lo, s5, v16, vcc_lo
	global_store_b64 v[3:4], v[1:2], off
	s_branch .LBB331_8
.LBB331_25:
	s_nop 0
	s_sendmsg sendmsg(MSG_DEALLOC_VGPRS)
	s_endpgm
	.section	.rodata,"a",@progbits
	.p2align	6, 0x0
	.amdhsa_kernel _ZN2at6native12_GLOBAL__N_125multi_tensor_apply_kernelINS1_18TensorListMetadataILi2EEENS1_14UnaryOpFunctorIlLi2ELi1ELi1EEEJNS0_3AbsIlEEEEEvT_T0_DpT1_
		.amdhsa_group_segment_fixed_size 0
		.amdhsa_private_segment_fixed_size 0
		.amdhsa_kernarg_size 3408
		.amdhsa_user_sgpr_count 15
		.amdhsa_user_sgpr_dispatch_ptr 0
		.amdhsa_user_sgpr_queue_ptr 0
		.amdhsa_user_sgpr_kernarg_segment_ptr 1
		.amdhsa_user_sgpr_dispatch_id 0
		.amdhsa_user_sgpr_private_segment_size 0
		.amdhsa_wavefront_size32 1
		.amdhsa_uses_dynamic_stack 0
		.amdhsa_enable_private_segment 0
		.amdhsa_system_sgpr_workgroup_id_x 1
		.amdhsa_system_sgpr_workgroup_id_y 0
		.amdhsa_system_sgpr_workgroup_id_z 0
		.amdhsa_system_sgpr_workgroup_info 0
		.amdhsa_system_vgpr_workitem_id 0
		.amdhsa_next_free_vgpr 34
		.amdhsa_next_free_sgpr 22
		.amdhsa_reserve_vcc 1
		.amdhsa_float_round_mode_32 0
		.amdhsa_float_round_mode_16_64 0
		.amdhsa_float_denorm_mode_32 3
		.amdhsa_float_denorm_mode_16_64 3
		.amdhsa_dx10_clamp 1
		.amdhsa_ieee_mode 1
		.amdhsa_fp16_overflow 0
		.amdhsa_workgroup_processor_mode 1
		.amdhsa_memory_ordered 1
		.amdhsa_forward_progress 0
		.amdhsa_shared_vgpr_count 0
		.amdhsa_exception_fp_ieee_invalid_op 0
		.amdhsa_exception_fp_denorm_src 0
		.amdhsa_exception_fp_ieee_div_zero 0
		.amdhsa_exception_fp_ieee_overflow 0
		.amdhsa_exception_fp_ieee_underflow 0
		.amdhsa_exception_fp_ieee_inexact 0
		.amdhsa_exception_int_div_zero 0
	.end_amdhsa_kernel
	.section	.text._ZN2at6native12_GLOBAL__N_125multi_tensor_apply_kernelINS1_18TensorListMetadataILi2EEENS1_14UnaryOpFunctorIlLi2ELi1ELi1EEEJNS0_3AbsIlEEEEEvT_T0_DpT1_,"axG",@progbits,_ZN2at6native12_GLOBAL__N_125multi_tensor_apply_kernelINS1_18TensorListMetadataILi2EEENS1_14UnaryOpFunctorIlLi2ELi1ELi1EEEJNS0_3AbsIlEEEEEvT_T0_DpT1_,comdat
.Lfunc_end331:
	.size	_ZN2at6native12_GLOBAL__N_125multi_tensor_apply_kernelINS1_18TensorListMetadataILi2EEENS1_14UnaryOpFunctorIlLi2ELi1ELi1EEEJNS0_3AbsIlEEEEEvT_T0_DpT1_, .Lfunc_end331-_ZN2at6native12_GLOBAL__N_125multi_tensor_apply_kernelINS1_18TensorListMetadataILi2EEENS1_14UnaryOpFunctorIlLi2ELi1ELi1EEEJNS0_3AbsIlEEEEEvT_T0_DpT1_
                                        ; -- End function
	.section	.AMDGPU.csdata,"",@progbits
; Kernel info:
; codeLenInByte = 1628
; NumSgprs: 24
; NumVgprs: 34
; ScratchSize: 0
; MemoryBound: 0
; FloatMode: 240
; IeeeMode: 1
; LDSByteSize: 0 bytes/workgroup (compile time only)
; SGPRBlocks: 2
; VGPRBlocks: 4
; NumSGPRsForWavesPerEU: 24
; NumVGPRsForWavesPerEU: 34
; Occupancy: 16
; WaveLimiterHint : 0
; COMPUTE_PGM_RSRC2:SCRATCH_EN: 0
; COMPUTE_PGM_RSRC2:USER_SGPR: 15
; COMPUTE_PGM_RSRC2:TRAP_HANDLER: 0
; COMPUTE_PGM_RSRC2:TGID_X_EN: 1
; COMPUTE_PGM_RSRC2:TGID_Y_EN: 0
; COMPUTE_PGM_RSRC2:TGID_Z_EN: 0
; COMPUTE_PGM_RSRC2:TIDIG_COMP_CNT: 0
	.section	.text._ZN2at6native12_GLOBAL__N_125multi_tensor_apply_kernelINS1_18TensorListMetadataILi2EEENS1_14UnaryOpFunctorIsLi2ELi1ELi1EEEJNS0_3AbsIsEEEEEvT_T0_DpT1_,"axG",@progbits,_ZN2at6native12_GLOBAL__N_125multi_tensor_apply_kernelINS1_18TensorListMetadataILi2EEENS1_14UnaryOpFunctorIsLi2ELi1ELi1EEEJNS0_3AbsIsEEEEEvT_T0_DpT1_,comdat
	.globl	_ZN2at6native12_GLOBAL__N_125multi_tensor_apply_kernelINS1_18TensorListMetadataILi2EEENS1_14UnaryOpFunctorIsLi2ELi1ELi1EEEJNS0_3AbsIsEEEEEvT_T0_DpT1_ ; -- Begin function _ZN2at6native12_GLOBAL__N_125multi_tensor_apply_kernelINS1_18TensorListMetadataILi2EEENS1_14UnaryOpFunctorIsLi2ELi1ELi1EEEJNS0_3AbsIsEEEEEvT_T0_DpT1_
	.p2align	8
	.type	_ZN2at6native12_GLOBAL__N_125multi_tensor_apply_kernelINS1_18TensorListMetadataILi2EEENS1_14UnaryOpFunctorIsLi2ELi1ELi1EEEJNS0_3AbsIsEEEEEvT_T0_DpT1_,@function
_ZN2at6native12_GLOBAL__N_125multi_tensor_apply_kernelINS1_18TensorListMetadataILi2EEENS1_14UnaryOpFunctorIsLi2ELi1ELi1EEEJNS0_3AbsIsEEEEEvT_T0_DpT1_: ; @_ZN2at6native12_GLOBAL__N_125multi_tensor_apply_kernelINS1_18TensorListMetadataILi2EEENS1_14UnaryOpFunctorIsLi2ELi1ELi1EEEJNS0_3AbsIsEEEEEvT_T0_DpT1_
; %bb.0:
	v_mov_b32_e32 v1, s15
	s_add_u32 s2, s0, s15
	s_mul_hi_u32 s3, s15, 3
	s_mul_i32 s15, s15, 3
	s_addc_u32 s4, s1, 0
	global_load_u8 v1, v1, s[0:1] offset:1536
	s_add_u32 s2, s2, s15
	s_addc_u32 s3, s4, s3
	s_mov_b32 s9, 0
	s_load_b32 s2, s[2:3], 0x740
	s_mov_b32 s17, s9
	s_mov_b32 s15, s9
	s_waitcnt vmcnt(0)
	v_readfirstlane_b32 s5, v1
	s_delay_alu instid0(VALU_DEP_1)
	s_lshl_b32 s3, s5, 3
	s_clause 0x2
	s_load_b64 s[10:11], s[0:1], s3 offset:0x0
	s_load_b64 s[12:13], s[0:1], s3 offset:0x200
	;; [unrolled: 1-line block ×3, first 2 shown]
	s_waitcnt lgkmcnt(0)
	s_ashr_i32 s3, s2, 31
	s_delay_alu instid0(SALU_CYCLE_1) | instskip(SKIP_4) | instid1(SALU_CYCLE_1)
	s_lshl_b64 s[4:5], s[2:3], 17
	s_lshl_b64 s[2:3], s[2:3], 16
	s_and_b32 s8, s10, 7
	s_and_b32 s14, s12, 7
	;; [unrolled: 1-line block ×3, first 2 shown]
	s_or_b64 s[8:9], s[8:9], s[16:17]
	s_delay_alu instid0(SALU_CYCLE_1)
	s_or_b64 s[8:9], s[14:15], s[8:9]
	s_sub_u32 s6, s6, s2
	s_subb_u32 s7, s7, s3
	s_cmp_eq_u64 s[8:9], 0
	s_mov_b32 s2, -1
	s_cbranch_scc0 .LBB332_5
; %bb.1:
	v_dual_mov_b32 v2, 0 :: v_dual_lshlrev_b32 v1, 2, v0
	s_mov_b32 s8, exec_lo
	s_delay_alu instid0(VALU_DEP_1)
	v_cmpx_gt_i64_e64 s[6:7], v[1:2]
	s_cbranch_execz .LBB332_4
; %bb.2:
	s_load_b32 s2, s[0:1], 0xc5c
	v_lshlrev_b32_e32 v1, 3, v0
	s_mov_b32 s9, 0
	s_delay_alu instid0(VALU_DEP_1) | instskip(NEXT) | instid1(VALU_DEP_1)
	v_add_co_u32 v3, s3, s4, v1
	v_add_co_ci_u32_e64 v4, null, s5, 0, s3
	s_waitcnt lgkmcnt(0)
	s_and_b32 s2, s2, 0xffff
	s_delay_alu instid0(SALU_CYCLE_1)
	v_add_lshl_u32 v1, v0, s2, 2
	s_lshl_b32 s14, s2, 3
	s_lshl_b32 s15, s2, 2
.LBB332_3:                              ; =>This Inner Loop Header: Depth=1
	v_add_co_u32 v5, vcc_lo, s10, v3
	v_add_co_ci_u32_e32 v6, vcc_lo, s11, v4, vcc_lo
	v_add_co_u32 v7, vcc_lo, s12, v3
	v_add_co_ci_u32_e32 v8, vcc_lo, s13, v4, vcc_lo
	global_load_b64 v[5:6], v[5:6], off
	v_cmp_le_i64_e32 vcc_lo, s[6:7], v[1:2]
	v_cmp_lt_u64_e64 s2, 0xffff, v[1:2]
	v_add_co_u32 v3, s3, v3, s14
	s_delay_alu instid0(VALU_DEP_1) | instskip(SKIP_1) | instid1(VALU_DEP_4)
	v_add_co_ci_u32_e64 v4, s3, 0, v4, s3
	v_add_co_u32 v1, s3, v1, s15
	s_or_b32 s2, vcc_lo, s2
	v_add_co_ci_u32_e64 v2, s3, 0, v2, s3
	s_and_b32 s2, exec_lo, s2
	s_delay_alu instid0(SALU_CYCLE_1)
	s_or_b32 s9, s2, s9
	s_waitcnt vmcnt(0)
	v_lshrrev_b32_e32 v9, 16, v5
	v_lshrrev_b32_e32 v10, 16, v6
	v_sub_nc_u16 v11, 0, v5
	v_sub_nc_u16 v12, 0, v6
	s_delay_alu instid0(VALU_DEP_4) | instskip(NEXT) | instid1(VALU_DEP_4)
	v_sub_nc_u16 v13, 0, v9
	v_sub_nc_u16 v14, 0, v10
	s_delay_alu instid0(VALU_DEP_4) | instskip(NEXT) | instid1(VALU_DEP_4)
	v_max_i16 v5, v5, v11
	v_max_i16 v6, v6, v12
	s_delay_alu instid0(VALU_DEP_4) | instskip(NEXT) | instid1(VALU_DEP_4)
	v_max_i16 v9, v9, v13
	v_max_i16 v10, v10, v14
	s_delay_alu instid0(VALU_DEP_4) | instskip(NEXT) | instid1(VALU_DEP_4)
	v_and_b32_e32 v5, 0xffff, v5
	v_and_b32_e32 v6, 0xffff, v6
	s_delay_alu instid0(VALU_DEP_4) | instskip(NEXT) | instid1(VALU_DEP_4)
	v_lshlrev_b32_e32 v9, 16, v9
	v_lshlrev_b32_e32 v10, 16, v10
	s_delay_alu instid0(VALU_DEP_2) | instskip(NEXT) | instid1(VALU_DEP_2)
	v_or_b32_e32 v5, v9, v5
	v_or_b32_e32 v6, v10, v6
	global_store_b64 v[7:8], v[5:6], off
	s_and_not1_b32 exec_lo, exec_lo, s9
	s_cbranch_execnz .LBB332_3
.LBB332_4:
	s_or_b32 exec_lo, exec_lo, s8
	s_mov_b32 s2, 0
.LBB332_5:
	s_delay_alu instid0(SALU_CYCLE_1)
	s_and_not1_b32 vcc_lo, exec_lo, s2
	s_cbranch_vccnz .LBB332_25
; %bb.6:
	v_cmp_lt_i64_e64 s2, s[6:7], 1
	s_delay_alu instid0(VALU_DEP_1)
	s_and_b32 vcc_lo, exec_lo, s2
	s_cbranch_vccnz .LBB332_25
; %bb.7:
	s_load_b32 s0, s[0:1], 0xc5c
	v_dual_mov_b32 v10, 0 :: v_dual_lshlrev_b32 v9, 1, v0
	v_cmp_gt_u64_e64 s1, 0x10000, s[6:7]
	s_delay_alu instid0(VALU_DEP_2) | instskip(NEXT) | instid1(VALU_DEP_1)
	v_add_co_u32 v1, s2, s10, v9
	v_add_co_ci_u32_e64 v2, null, s11, 0, s2
	v_add_co_u32 v3, s2, s12, v9
	s_delay_alu instid0(VALU_DEP_1)
	v_add_co_ci_u32_e64 v4, null, s13, 0, s2
	s_waitcnt lgkmcnt(0)
	s_and_b32 s0, s0, 0xffff
	s_and_b32 s1, s1, exec_lo
	v_mad_u64_u32 v[7:8], null, s0, 6, v[9:10]
	s_cselect_b32 s9, s7, 0
	s_cselect_b32 s8, s6, 0x10000
	s_mul_i32 s2, s0, 3
	s_lshl_b32 s14, s0, 2
	s_lshl_b32 s1, s0, 1
	v_add_co_u32 v14, s3, s14, v9
	v_add_co_u32 v9, s2, s2, v0
	s_delay_alu instid0(VALU_DEP_1) | instskip(SKIP_3) | instid1(VALU_DEP_3)
	v_add_co_ci_u32_e64 v10, null, 0, 0, s2
	v_add_co_u32 v13, s2, v0, s0
	v_add_co_u32 v5, vcc_lo, s10, v7
	v_add_co_ci_u32_e32 v6, vcc_lo, s11, v8, vcc_lo
	v_lshlrev_b32_e32 v21, 1, v13
	v_add_co_u32 v7, vcc_lo, s12, v7
	v_add_co_ci_u32_e64 v15, null, 0, 0, s3
	v_add_co_ci_u32_e32 v8, vcc_lo, s13, v8, vcc_lo
	v_add_co_u32 v17, s1, s1, v0
	v_add_co_u32 v11, vcc_lo, s10, v14
	v_add_co_ci_u32_e64 v18, null, 0, 0, s1
	v_add_co_u32 v19, s1, s10, v21
	v_add_co_ci_u32_e32 v12, vcc_lo, s11, v15, vcc_lo
	v_add_co_u32 v14, vcc_lo, s12, v14
	v_add_co_ci_u32_e64 v20, null, s11, 0, s1
	v_add_co_u32 v21, s1, s12, v21
	v_add_co_ci_u32_e32 v15, vcc_lo, s13, v15, vcc_lo
	v_add_co_ci_u32_e64 v16, null, 0, 0, s2
	v_add_co_ci_u32_e64 v22, null, s13, 0, s1
	s_lshl_b32 s12, s0, 3
	s_mov_b64 s[10:11], 0
	s_branch .LBB332_9
.LBB332_8:                              ;   in Loop: Header=BB332_9 Depth=1
	s_or_b32 exec_lo, exec_lo, s0
	v_add_co_u32 v1, vcc_lo, v1, s12
	v_add_co_ci_u32_e32 v2, vcc_lo, 0, v2, vcc_lo
	v_add_co_u32 v3, vcc_lo, v3, s12
	v_add_co_ci_u32_e32 v4, vcc_lo, 0, v4, vcc_lo
	;; [unrolled: 2-line block ×5, first 2 shown]
	s_add_u32 s10, s10, s14
	v_add_co_u32 v14, vcc_lo, v14, s12
	s_addc_u32 s11, s11, 0
	v_add_co_ci_u32_e32 v15, vcc_lo, 0, v15, vcc_lo
	v_cmp_ge_i64_e64 s0, s[10:11], s[6:7]
	v_cmp_lt_u64_e64 s1, 0xffff, s[10:11]
	v_add_co_u32 v19, vcc_lo, v19, s12
	v_add_co_ci_u32_e32 v20, vcc_lo, 0, v20, vcc_lo
	v_add_co_u32 v21, vcc_lo, v21, s12
	v_add_co_ci_u32_e32 v22, vcc_lo, 0, v22, vcc_lo
	s_or_b32 s0, s0, s1
	s_delay_alu instid0(SALU_CYCLE_1)
	s_and_b32 vcc_lo, exec_lo, s0
	s_cbranch_vccnz .LBB332_25
.LBB332_9:                              ; =>This Inner Loop Header: Depth=1
	s_waitcnt vmcnt(0)
	v_add_co_u32 v23, s0, v0, s10
	s_delay_alu instid0(VALU_DEP_1) | instskip(NEXT) | instid1(VALU_DEP_1)
	v_add_co_ci_u32_e64 v24, null, 0, s11, s0
	v_cmp_gt_u64_e32 vcc_lo, s[8:9], v[23:24]
	v_mov_b32_e32 v23, 0
	s_and_saveexec_b32 s1, vcc_lo
	s_cbranch_execz .LBB332_11
; %bb.10:                               ;   in Loop: Header=BB332_9 Depth=1
	v_add_co_u32 v23, s0, v1, s4
	s_delay_alu instid0(VALU_DEP_1)
	v_add_co_ci_u32_e64 v24, s0, s5, v2, s0
	global_load_u16 v23, v[23:24], off
.LBB332_11:                             ;   in Loop: Header=BB332_9 Depth=1
	s_or_b32 exec_lo, exec_lo, s1
	v_add_co_u32 v24, s0, v13, s10
	s_delay_alu instid0(VALU_DEP_1) | instskip(NEXT) | instid1(VALU_DEP_1)
	v_add_co_ci_u32_e64 v25, s0, s11, v16, s0
	v_cmp_gt_u64_e64 s0, s[8:9], v[24:25]
	v_mov_b32_e32 v25, 0
	s_delay_alu instid0(VALU_DEP_2)
	s_and_saveexec_b32 s2, s0
	s_cbranch_execz .LBB332_13
; %bb.12:                               ;   in Loop: Header=BB332_9 Depth=1
	v_add_co_u32 v24, s1, v19, s4
	s_delay_alu instid0(VALU_DEP_1)
	v_add_co_ci_u32_e64 v25, s1, s5, v20, s1
	global_load_u16 v25, v[24:25], off
.LBB332_13:                             ;   in Loop: Header=BB332_9 Depth=1
	s_or_b32 exec_lo, exec_lo, s2
	v_add_co_u32 v26, s1, v17, s10
	s_delay_alu instid0(VALU_DEP_1) | instskip(SKIP_1) | instid1(VALU_DEP_2)
	v_add_co_ci_u32_e64 v27, s1, s11, v18, s1
	v_mov_b32_e32 v24, 0
	v_cmp_gt_u64_e64 s1, s[8:9], v[26:27]
	v_mov_b32_e32 v26, 0
	s_delay_alu instid0(VALU_DEP_2)
	s_and_saveexec_b32 s3, s1
	s_cbranch_execz .LBB332_15
; %bb.14:                               ;   in Loop: Header=BB332_9 Depth=1
	v_add_co_u32 v26, s2, v11, s4
	s_delay_alu instid0(VALU_DEP_1)
	v_add_co_ci_u32_e64 v27, s2, s5, v12, s2
	global_load_u16 v26, v[26:27], off
.LBB332_15:                             ;   in Loop: Header=BB332_9 Depth=1
	s_or_b32 exec_lo, exec_lo, s3
	v_add_co_u32 v27, s2, v9, s10
	s_delay_alu instid0(VALU_DEP_1) | instskip(NEXT) | instid1(VALU_DEP_1)
	v_add_co_ci_u32_e64 v28, s2, s11, v10, s2
	v_cmp_gt_u64_e64 s2, s[8:9], v[27:28]
	s_delay_alu instid0(VALU_DEP_1)
	s_and_saveexec_b32 s13, s2
	s_cbranch_execnz .LBB332_20
; %bb.16:                               ;   in Loop: Header=BB332_9 Depth=1
	s_or_b32 exec_lo, exec_lo, s13
	s_and_saveexec_b32 s3, vcc_lo
	s_cbranch_execnz .LBB332_21
.LBB332_17:                             ;   in Loop: Header=BB332_9 Depth=1
	s_or_b32 exec_lo, exec_lo, s3
	s_and_saveexec_b32 s3, s0
	s_cbranch_execnz .LBB332_22
.LBB332_18:                             ;   in Loop: Header=BB332_9 Depth=1
	s_or_b32 exec_lo, exec_lo, s3
	s_and_saveexec_b32 s0, s1
	s_cbranch_execnz .LBB332_23
.LBB332_19:                             ;   in Loop: Header=BB332_9 Depth=1
	s_or_b32 exec_lo, exec_lo, s0
	s_and_saveexec_b32 s0, s2
	s_cbranch_execz .LBB332_8
	s_branch .LBB332_24
.LBB332_20:                             ;   in Loop: Header=BB332_9 Depth=1
	v_add_co_u32 v27, s3, v5, s4
	s_delay_alu instid0(VALU_DEP_1)
	v_add_co_ci_u32_e64 v28, s3, s5, v6, s3
	global_load_u16 v24, v[27:28], off
	s_or_b32 exec_lo, exec_lo, s13
	s_and_saveexec_b32 s3, vcc_lo
	s_cbranch_execz .LBB332_17
.LBB332_21:                             ;   in Loop: Header=BB332_9 Depth=1
	s_waitcnt vmcnt(0)
	v_sub_nc_u16 v29, 0, v23
	v_add_co_u32 v27, vcc_lo, v3, s4
	v_add_co_ci_u32_e32 v28, vcc_lo, s5, v4, vcc_lo
	s_delay_alu instid0(VALU_DEP_3)
	v_max_i16 v23, v23, v29
	global_store_b16 v[27:28], v23, off
	s_or_b32 exec_lo, exec_lo, s3
	s_and_saveexec_b32 s3, s0
	s_cbranch_execz .LBB332_18
.LBB332_22:                             ;   in Loop: Header=BB332_9 Depth=1
	s_waitcnt vmcnt(0)
	v_sub_nc_u16 v23, 0, v25
	v_add_co_u32 v27, vcc_lo, v21, s4
	v_add_co_ci_u32_e32 v28, vcc_lo, s5, v22, vcc_lo
	s_delay_alu instid0(VALU_DEP_3)
	v_max_i16 v23, v25, v23
	global_store_b16 v[27:28], v23, off
	s_or_b32 exec_lo, exec_lo, s3
	s_and_saveexec_b32 s0, s1
	s_cbranch_execz .LBB332_19
.LBB332_23:                             ;   in Loop: Header=BB332_9 Depth=1
	s_waitcnt vmcnt(0)
	v_sub_nc_u16 v23, 0, v26
	v_add_co_u32 v25, vcc_lo, v14, s4
	s_delay_alu instid0(VALU_DEP_2)
	v_max_i16 v23, v26, v23
	v_add_co_ci_u32_e32 v26, vcc_lo, s5, v15, vcc_lo
	global_store_b16 v[25:26], v23, off
	s_or_b32 exec_lo, exec_lo, s0
	s_and_saveexec_b32 s0, s2
	s_cbranch_execz .LBB332_8
.LBB332_24:                             ;   in Loop: Header=BB332_9 Depth=1
	s_waitcnt vmcnt(0)
	v_sub_nc_u16 v23, 0, v24
	s_delay_alu instid0(VALU_DEP_1)
	v_max_i16 v25, v24, v23
	v_add_co_u32 v23, vcc_lo, v7, s4
	v_add_co_ci_u32_e32 v24, vcc_lo, s5, v8, vcc_lo
	global_store_b16 v[23:24], v25, off
	s_branch .LBB332_8
.LBB332_25:
	s_nop 0
	s_sendmsg sendmsg(MSG_DEALLOC_VGPRS)
	s_endpgm
	.section	.rodata,"a",@progbits
	.p2align	6, 0x0
	.amdhsa_kernel _ZN2at6native12_GLOBAL__N_125multi_tensor_apply_kernelINS1_18TensorListMetadataILi2EEENS1_14UnaryOpFunctorIsLi2ELi1ELi1EEEJNS0_3AbsIsEEEEEvT_T0_DpT1_
		.amdhsa_group_segment_fixed_size 0
		.amdhsa_private_segment_fixed_size 0
		.amdhsa_kernarg_size 3408
		.amdhsa_user_sgpr_count 15
		.amdhsa_user_sgpr_dispatch_ptr 0
		.amdhsa_user_sgpr_queue_ptr 0
		.amdhsa_user_sgpr_kernarg_segment_ptr 1
		.amdhsa_user_sgpr_dispatch_id 0
		.amdhsa_user_sgpr_private_segment_size 0
		.amdhsa_wavefront_size32 1
		.amdhsa_uses_dynamic_stack 0
		.amdhsa_enable_private_segment 0
		.amdhsa_system_sgpr_workgroup_id_x 1
		.amdhsa_system_sgpr_workgroup_id_y 0
		.amdhsa_system_sgpr_workgroup_id_z 0
		.amdhsa_system_sgpr_workgroup_info 0
		.amdhsa_system_vgpr_workitem_id 0
		.amdhsa_next_free_vgpr 30
		.amdhsa_next_free_sgpr 18
		.amdhsa_reserve_vcc 1
		.amdhsa_float_round_mode_32 0
		.amdhsa_float_round_mode_16_64 0
		.amdhsa_float_denorm_mode_32 3
		.amdhsa_float_denorm_mode_16_64 3
		.amdhsa_dx10_clamp 1
		.amdhsa_ieee_mode 1
		.amdhsa_fp16_overflow 0
		.amdhsa_workgroup_processor_mode 1
		.amdhsa_memory_ordered 1
		.amdhsa_forward_progress 0
		.amdhsa_shared_vgpr_count 0
		.amdhsa_exception_fp_ieee_invalid_op 0
		.amdhsa_exception_fp_denorm_src 0
		.amdhsa_exception_fp_ieee_div_zero 0
		.amdhsa_exception_fp_ieee_overflow 0
		.amdhsa_exception_fp_ieee_underflow 0
		.amdhsa_exception_fp_ieee_inexact 0
		.amdhsa_exception_int_div_zero 0
	.end_amdhsa_kernel
	.section	.text._ZN2at6native12_GLOBAL__N_125multi_tensor_apply_kernelINS1_18TensorListMetadataILi2EEENS1_14UnaryOpFunctorIsLi2ELi1ELi1EEEJNS0_3AbsIsEEEEEvT_T0_DpT1_,"axG",@progbits,_ZN2at6native12_GLOBAL__N_125multi_tensor_apply_kernelINS1_18TensorListMetadataILi2EEENS1_14UnaryOpFunctorIsLi2ELi1ELi1EEEJNS0_3AbsIsEEEEEvT_T0_DpT1_,comdat
.Lfunc_end332:
	.size	_ZN2at6native12_GLOBAL__N_125multi_tensor_apply_kernelINS1_18TensorListMetadataILi2EEENS1_14UnaryOpFunctorIsLi2ELi1ELi1EEEJNS0_3AbsIsEEEEEvT_T0_DpT1_, .Lfunc_end332-_ZN2at6native12_GLOBAL__N_125multi_tensor_apply_kernelINS1_18TensorListMetadataILi2EEENS1_14UnaryOpFunctorIsLi2ELi1ELi1EEEJNS0_3AbsIsEEEEEvT_T0_DpT1_
                                        ; -- End function
	.section	.AMDGPU.csdata,"",@progbits
; Kernel info:
; codeLenInByte = 1560
; NumSgprs: 20
; NumVgprs: 30
; ScratchSize: 0
; MemoryBound: 0
; FloatMode: 240
; IeeeMode: 1
; LDSByteSize: 0 bytes/workgroup (compile time only)
; SGPRBlocks: 2
; VGPRBlocks: 3
; NumSGPRsForWavesPerEU: 20
; NumVGPRsForWavesPerEU: 30
; Occupancy: 16
; WaveLimiterHint : 0
; COMPUTE_PGM_RSRC2:SCRATCH_EN: 0
; COMPUTE_PGM_RSRC2:USER_SGPR: 15
; COMPUTE_PGM_RSRC2:TRAP_HANDLER: 0
; COMPUTE_PGM_RSRC2:TGID_X_EN: 1
; COMPUTE_PGM_RSRC2:TGID_Y_EN: 0
; COMPUTE_PGM_RSRC2:TGID_Z_EN: 0
; COMPUTE_PGM_RSRC2:TIDIG_COMP_CNT: 0
	.section	.text._ZN2at6native12_GLOBAL__N_125multi_tensor_apply_kernelINS1_18TensorListMetadataILi2EEENS1_14UnaryOpFunctorIdLi2ELi1ELi1EEEJNS0_3AbsIdEEEEEvT_T0_DpT1_,"axG",@progbits,_ZN2at6native12_GLOBAL__N_125multi_tensor_apply_kernelINS1_18TensorListMetadataILi2EEENS1_14UnaryOpFunctorIdLi2ELi1ELi1EEEJNS0_3AbsIdEEEEEvT_T0_DpT1_,comdat
	.globl	_ZN2at6native12_GLOBAL__N_125multi_tensor_apply_kernelINS1_18TensorListMetadataILi2EEENS1_14UnaryOpFunctorIdLi2ELi1ELi1EEEJNS0_3AbsIdEEEEEvT_T0_DpT1_ ; -- Begin function _ZN2at6native12_GLOBAL__N_125multi_tensor_apply_kernelINS1_18TensorListMetadataILi2EEENS1_14UnaryOpFunctorIdLi2ELi1ELi1EEEJNS0_3AbsIdEEEEEvT_T0_DpT1_
	.p2align	8
	.type	_ZN2at6native12_GLOBAL__N_125multi_tensor_apply_kernelINS1_18TensorListMetadataILi2EEENS1_14UnaryOpFunctorIdLi2ELi1ELi1EEEJNS0_3AbsIdEEEEEvT_T0_DpT1_,@function
_ZN2at6native12_GLOBAL__N_125multi_tensor_apply_kernelINS1_18TensorListMetadataILi2EEENS1_14UnaryOpFunctorIdLi2ELi1ELi1EEEJNS0_3AbsIdEEEEEvT_T0_DpT1_: ; @_ZN2at6native12_GLOBAL__N_125multi_tensor_apply_kernelINS1_18TensorListMetadataILi2EEENS1_14UnaryOpFunctorIdLi2ELi1ELi1EEEJNS0_3AbsIdEEEEEvT_T0_DpT1_
; %bb.0:
	v_mov_b32_e32 v1, s15
	s_add_u32 s2, s0, s15
	s_mul_hi_u32 s3, s15, 3
	s_mul_i32 s15, s15, 3
	s_addc_u32 s4, s1, 0
	global_load_u8 v1, v1, s[0:1] offset:1536
	s_add_u32 s2, s2, s15
	s_addc_u32 s3, s4, s3
	s_mov_b32 s17, 0
	s_load_b32 s2, s[2:3], 0x740
	s_mov_b32 s19, s17
	s_mov_b32 s21, s17
	s_waitcnt vmcnt(0)
	v_readfirstlane_b32 s5, v1
	s_delay_alu instid0(VALU_DEP_1)
	s_lshl_b32 s3, s5, 3
	s_clause 0x2
	s_load_b64 s[10:11], s[0:1], s3 offset:0x0
	s_load_b64 s[12:13], s[0:1], s3 offset:0x200
	;; [unrolled: 1-line block ×3, first 2 shown]
	s_waitcnt lgkmcnt(0)
	s_ashr_i32 s3, s2, 31
	s_delay_alu instid0(SALU_CYCLE_1) | instskip(NEXT) | instid1(SALU_CYCLE_1)
	s_lshl_b64 s[4:5], s[2:3], 19
	s_add_u32 s8, s10, s4
	s_addc_u32 s9, s11, s5
	s_and_b32 s16, s8, 31
	s_add_u32 s14, s12, s4
	s_addc_u32 s15, s13, s5
	s_and_b32 s18, s6, 3
	s_and_b32 s20, s14, 31
	s_or_b64 s[16:17], s[16:17], s[18:19]
	s_lshl_b64 s[2:3], s[2:3], 16
	s_or_b64 s[16:17], s[20:21], s[16:17]
	s_sub_u32 s6, s6, s2
	s_subb_u32 s7, s7, s3
	s_cmp_eq_u64 s[16:17], 0
	s_mov_b32 s2, -1
	s_cbranch_scc0 .LBB333_5
; %bb.1:
	v_dual_mov_b32 v2, 0 :: v_dual_lshlrev_b32 v1, 2, v0
	s_mov_b32 s16, exec_lo
	s_delay_alu instid0(VALU_DEP_1)
	v_cmpx_gt_i64_e64 s[6:7], v[1:2]
	s_cbranch_execz .LBB333_4
; %bb.2:
	s_load_b32 s2, s[0:1], 0xc5c
	v_lshlrev_b32_e32 v3, 5, v0
	s_mov_b32 s17, 0
	s_waitcnt lgkmcnt(0)
	s_and_b32 s2, s2, 0xffff
	s_delay_alu instid0(SALU_CYCLE_1)
	v_add_lshl_u32 v1, v0, s2, 2
	s_lshl_b32 s18, s2, 2
	s_lshl_b32 s19, s2, 5
	s_set_inst_prefetch_distance 0x1
	.p2align	6
.LBB333_3:                              ; =>This Inner Loop Header: Depth=1
	v_add_co_u32 v8, s2, s8, v3
	s_delay_alu instid0(VALU_DEP_1)
	v_add_co_ci_u32_e64 v9, null, s9, 0, s2
	v_cmp_le_i64_e32 vcc_lo, s[6:7], v[1:2]
	v_cmp_lt_u64_e64 s2, 0xffff, v[1:2]
	v_add_co_u32 v12, s3, s14, v3
	s_clause 0x1
	global_load_b128 v[4:7], v[8:9], off
	global_load_b128 v[8:11], v[8:9], off offset:16
	v_add_co_ci_u32_e64 v13, null, s15, 0, s3
	s_or_b32 s2, vcc_lo, s2
	s_add_u32 s8, s8, s19
	v_add_co_u32 v1, s3, v1, s18
	s_addc_u32 s9, s9, 0
	s_add_u32 s14, s14, s19
	v_add_co_ci_u32_e64 v2, s3, 0, v2, s3
	s_addc_u32 s15, s15, 0
	s_and_b32 s2, exec_lo, s2
	s_delay_alu instid0(SALU_CYCLE_1)
	s_or_b32 s17, s2, s17
	s_waitcnt vmcnt(1)
	v_and_b32_e32 v5, 0x7fffffff, v5
	v_and_b32_e32 v7, 0x7fffffff, v7
	s_waitcnt vmcnt(0)
	v_and_b32_e32 v9, 0x7fffffff, v9
	v_and_b32_e32 v11, 0x7fffffff, v11
	s_clause 0x1
	global_store_b128 v[12:13], v[4:7], off
	global_store_b128 v[12:13], v[8:11], off offset:16
	s_and_not1_b32 exec_lo, exec_lo, s17
	s_cbranch_execnz .LBB333_3
.LBB333_4:
	s_set_inst_prefetch_distance 0x2
	s_or_b32 exec_lo, exec_lo, s16
	s_mov_b32 s2, 0
.LBB333_5:
	s_delay_alu instid0(SALU_CYCLE_1)
	s_and_not1_b32 vcc_lo, exec_lo, s2
	s_cbranch_vccnz .LBB333_25
; %bb.6:
	v_cmp_lt_i64_e64 s2, s[6:7], 1
	s_delay_alu instid0(VALU_DEP_1)
	s_and_b32 vcc_lo, exec_lo, s2
	s_cbranch_vccnz .LBB333_25
; %bb.7:
	s_load_b32 s0, s[0:1], 0xc5c
	v_dual_mov_b32 v2, 0 :: v_dual_lshlrev_b32 v1, 3, v0
	v_cmp_gt_u64_e64 s1, 0x10000, s[6:7]
	s_delay_alu instid0(VALU_DEP_2) | instskip(NEXT) | instid1(VALU_DEP_1)
	v_add_co_u32 v9, s2, s10, v1
	v_add_co_ci_u32_e64 v10, null, s11, 0, s2
	v_add_co_u32 v11, s2, s12, v1
	s_delay_alu instid0(VALU_DEP_1)
	v_add_co_ci_u32_e64 v12, null, s13, 0, s2
	s_waitcnt lgkmcnt(0)
	s_and_b32 s0, s0, 0xffff
	s_and_b32 s1, s1, exec_lo
	v_mad_u64_u32 v[3:4], null, s0, 24, v[1:2]
	s_cselect_b32 s9, s7, 0
	s_cselect_b32 s8, s6, 0x10000
	s_lshl_b32 s3, s0, 4
	s_mul_i32 s2, s0, 3
	v_add_co_u32 v1, s3, s3, v1
	s_delay_alu instid0(VALU_DEP_2) | instskip(NEXT) | instid1(VALU_DEP_3)
	v_add_co_u32 v13, vcc_lo, s10, v3
	v_add_co_ci_u32_e32 v14, vcc_lo, s11, v4, vcc_lo
	v_add_co_u32 v17, s2, s2, v0
	v_add_co_u32 v15, vcc_lo, s12, v3
	v_add_co_ci_u32_e64 v2, null, 0, 0, s3
	v_add_co_ci_u32_e64 v18, null, 0, 0, s2
	v_add_co_u32 v21, s2, v0, s0
	v_add_co_ci_u32_e32 v16, vcc_lo, s13, v4, vcc_lo
	v_add_co_u32 v19, vcc_lo, s10, v1
	v_add_co_ci_u32_e32 v20, vcc_lo, s11, v2, vcc_lo
	v_add_co_u32 v22, vcc_lo, s12, v1
	v_lshlrev_b32_e32 v1, 3, v21
	s_lshl_b32 s1, s0, 1
	v_add_co_ci_u32_e32 v23, vcc_lo, s13, v2, vcc_lo
	v_add_co_u32 v25, s1, s1, v0
	s_delay_alu instid0(VALU_DEP_1) | instskip(SKIP_1) | instid1(VALU_DEP_1)
	v_add_co_ci_u32_e64 v26, null, 0, 0, s1
	v_add_co_u32 v27, s1, s10, v1
	v_add_co_ci_u32_e64 v28, null, s11, 0, s1
	v_add_co_u32 v29, s1, s12, v1
	v_add_co_ci_u32_e64 v24, null, 0, 0, s2
	v_add_co_ci_u32_e64 v30, null, s13, 0, s1
	s_lshl_b32 s12, s0, 2
	s_lshl_b32 s13, s0, 5
	s_mov_b64 s[10:11], 0
	s_branch .LBB333_9
.LBB333_8:                              ;   in Loop: Header=BB333_9 Depth=1
	s_or_b32 exec_lo, exec_lo, s0
	v_add_co_u32 v9, vcc_lo, v9, s13
	v_add_co_ci_u32_e32 v10, vcc_lo, 0, v10, vcc_lo
	v_add_co_u32 v11, vcc_lo, v11, s13
	v_add_co_ci_u32_e32 v12, vcc_lo, 0, v12, vcc_lo
	v_add_co_u32 v13, vcc_lo, v13, s13
	v_add_co_ci_u32_e32 v14, vcc_lo, 0, v14, vcc_lo
	v_add_co_u32 v15, vcc_lo, v15, s13
	v_add_co_ci_u32_e32 v16, vcc_lo, 0, v16, vcc_lo
	v_add_co_u32 v19, vcc_lo, v19, s13
	v_add_co_ci_u32_e32 v20, vcc_lo, 0, v20, vcc_lo
	s_add_u32 s10, s10, s12
	v_add_co_u32 v22, vcc_lo, v22, s13
	s_addc_u32 s11, s11, 0
	v_add_co_ci_u32_e32 v23, vcc_lo, 0, v23, vcc_lo
	v_cmp_ge_i64_e64 s0, s[10:11], s[6:7]
	v_cmp_lt_u64_e64 s1, 0xffff, s[10:11]
	v_add_co_u32 v27, vcc_lo, v27, s13
	v_add_co_ci_u32_e32 v28, vcc_lo, 0, v28, vcc_lo
	v_add_co_u32 v29, vcc_lo, v29, s13
	v_add_co_ci_u32_e32 v30, vcc_lo, 0, v30, vcc_lo
	s_or_b32 s0, s0, s1
	s_delay_alu instid0(SALU_CYCLE_1)
	s_and_b32 vcc_lo, exec_lo, s0
	s_cbranch_vccnz .LBB333_25
.LBB333_9:                              ; =>This Inner Loop Header: Depth=1
	s_waitcnt vmcnt(0)
	v_add_co_u32 v3, s0, v0, s10
	s_delay_alu instid0(VALU_DEP_1) | instskip(SKIP_2) | instid1(VALU_DEP_3)
	v_add_co_ci_u32_e64 v4, null, 0, s11, s0
	v_mov_b32_e32 v1, 0
	v_mov_b32_e32 v2, 0
	v_cmp_gt_u64_e32 vcc_lo, s[8:9], v[3:4]
	s_delay_alu instid0(VALU_DEP_2)
	v_dual_mov_b32 v6, v2 :: v_dual_mov_b32 v5, v1
	s_and_saveexec_b32 s1, vcc_lo
	s_cbranch_execz .LBB333_11
; %bb.10:                               ;   in Loop: Header=BB333_9 Depth=1
	v_add_co_u32 v3, s0, v9, s4
	s_delay_alu instid0(VALU_DEP_1)
	v_add_co_ci_u32_e64 v4, s0, s5, v10, s0
	global_load_b64 v[5:6], v[3:4], off
.LBB333_11:                             ;   in Loop: Header=BB333_9 Depth=1
	s_or_b32 exec_lo, exec_lo, s1
	v_add_co_u32 v3, s0, v21, s10
	s_delay_alu instid0(VALU_DEP_1) | instskip(NEXT) | instid1(VALU_DEP_1)
	v_add_co_ci_u32_e64 v4, s0, s11, v24, s0
	v_cmp_gt_u64_e64 s0, s[8:9], v[3:4]
	s_delay_alu instid0(VALU_DEP_1)
	s_and_saveexec_b32 s2, s0
	s_cbranch_execz .LBB333_13
; %bb.12:                               ;   in Loop: Header=BB333_9 Depth=1
	v_add_co_u32 v1, s1, v27, s4
	s_delay_alu instid0(VALU_DEP_1)
	v_add_co_ci_u32_e64 v2, s1, s5, v28, s1
	global_load_b64 v[1:2], v[1:2], off
.LBB333_13:                             ;   in Loop: Header=BB333_9 Depth=1
	s_or_b32 exec_lo, exec_lo, s2
	v_add_co_u32 v7, s1, v25, s10
	s_delay_alu instid0(VALU_DEP_1) | instskip(SKIP_2) | instid1(VALU_DEP_3)
	v_add_co_ci_u32_e64 v8, s1, s11, v26, s1
	v_mov_b32_e32 v3, 0
	v_mov_b32_e32 v4, 0
	v_cmp_gt_u64_e64 s1, s[8:9], v[7:8]
	s_delay_alu instid0(VALU_DEP_2) | instskip(NEXT) | instid1(VALU_DEP_2)
	v_dual_mov_b32 v8, v4 :: v_dual_mov_b32 v7, v3
	s_and_saveexec_b32 s3, s1
	s_cbranch_execz .LBB333_15
; %bb.14:                               ;   in Loop: Header=BB333_9 Depth=1
	v_add_co_u32 v7, s2, v19, s4
	s_delay_alu instid0(VALU_DEP_1)
	v_add_co_ci_u32_e64 v8, s2, s5, v20, s2
	global_load_b64 v[7:8], v[7:8], off
.LBB333_15:                             ;   in Loop: Header=BB333_9 Depth=1
	s_or_b32 exec_lo, exec_lo, s3
	v_add_co_u32 v31, s2, v17, s10
	s_delay_alu instid0(VALU_DEP_1) | instskip(NEXT) | instid1(VALU_DEP_1)
	v_add_co_ci_u32_e64 v32, s2, s11, v18, s2
	v_cmp_gt_u64_e64 s2, s[8:9], v[31:32]
	s_delay_alu instid0(VALU_DEP_1)
	s_and_saveexec_b32 s14, s2
	s_cbranch_execnz .LBB333_20
; %bb.16:                               ;   in Loop: Header=BB333_9 Depth=1
	s_or_b32 exec_lo, exec_lo, s14
	s_and_saveexec_b32 s3, vcc_lo
	s_cbranch_execnz .LBB333_21
.LBB333_17:                             ;   in Loop: Header=BB333_9 Depth=1
	s_or_b32 exec_lo, exec_lo, s3
	s_and_saveexec_b32 s3, s0
	s_cbranch_execnz .LBB333_22
.LBB333_18:                             ;   in Loop: Header=BB333_9 Depth=1
	s_or_b32 exec_lo, exec_lo, s3
	s_and_saveexec_b32 s0, s1
	s_cbranch_execnz .LBB333_23
.LBB333_19:                             ;   in Loop: Header=BB333_9 Depth=1
	s_or_b32 exec_lo, exec_lo, s0
	s_and_saveexec_b32 s0, s2
	s_cbranch_execz .LBB333_8
	s_branch .LBB333_24
.LBB333_20:                             ;   in Loop: Header=BB333_9 Depth=1
	v_add_co_u32 v3, s3, v13, s4
	s_delay_alu instid0(VALU_DEP_1)
	v_add_co_ci_u32_e64 v4, s3, s5, v14, s3
	global_load_b64 v[3:4], v[3:4], off
	s_or_b32 exec_lo, exec_lo, s14
	s_and_saveexec_b32 s3, vcc_lo
	s_cbranch_execz .LBB333_17
.LBB333_21:                             ;   in Loop: Header=BB333_9 Depth=1
	v_add_co_u32 v31, vcc_lo, v11, s4
	v_add_co_ci_u32_e32 v32, vcc_lo, s5, v12, vcc_lo
	s_waitcnt vmcnt(0)
	v_and_b32_e32 v6, 0x7fffffff, v6
	global_store_b64 v[31:32], v[5:6], off
	s_or_b32 exec_lo, exec_lo, s3
	s_and_saveexec_b32 s3, s0
	s_cbranch_execz .LBB333_18
.LBB333_22:                             ;   in Loop: Header=BB333_9 Depth=1
	s_waitcnt vmcnt(0)
	v_add_co_u32 v5, vcc_lo, v29, s4
	v_and_b32_e32 v2, 0x7fffffff, v2
	v_add_co_ci_u32_e32 v6, vcc_lo, s5, v30, vcc_lo
	global_store_b64 v[5:6], v[1:2], off
	s_or_b32 exec_lo, exec_lo, s3
	s_and_saveexec_b32 s0, s1
	s_cbranch_execz .LBB333_19
.LBB333_23:                             ;   in Loop: Header=BB333_9 Depth=1
	s_waitcnt vmcnt(0)
	v_add_co_u32 v1, vcc_lo, v22, s4
	v_and_b32_e32 v8, 0x7fffffff, v8
	v_add_co_ci_u32_e32 v2, vcc_lo, s5, v23, vcc_lo
	global_store_b64 v[1:2], v[7:8], off
	s_or_b32 exec_lo, exec_lo, s0
	s_and_saveexec_b32 s0, s2
	s_cbranch_execz .LBB333_8
.LBB333_24:                             ;   in Loop: Header=BB333_9 Depth=1
	s_waitcnt vmcnt(0)
	v_add_co_u32 v1, vcc_lo, v15, s4
	v_and_b32_e32 v4, 0x7fffffff, v4
	v_add_co_ci_u32_e32 v2, vcc_lo, s5, v16, vcc_lo
	global_store_b64 v[1:2], v[3:4], off
	s_branch .LBB333_8
.LBB333_25:
	s_nop 0
	s_sendmsg sendmsg(MSG_DEALLOC_VGPRS)
	s_endpgm
	.section	.rodata,"a",@progbits
	.p2align	6, 0x0
	.amdhsa_kernel _ZN2at6native12_GLOBAL__N_125multi_tensor_apply_kernelINS1_18TensorListMetadataILi2EEENS1_14UnaryOpFunctorIdLi2ELi1ELi1EEEJNS0_3AbsIdEEEEEvT_T0_DpT1_
		.amdhsa_group_segment_fixed_size 0
		.amdhsa_private_segment_fixed_size 0
		.amdhsa_kernarg_size 3408
		.amdhsa_user_sgpr_count 15
		.amdhsa_user_sgpr_dispatch_ptr 0
		.amdhsa_user_sgpr_queue_ptr 0
		.amdhsa_user_sgpr_kernarg_segment_ptr 1
		.amdhsa_user_sgpr_dispatch_id 0
		.amdhsa_user_sgpr_private_segment_size 0
		.amdhsa_wavefront_size32 1
		.amdhsa_uses_dynamic_stack 0
		.amdhsa_enable_private_segment 0
		.amdhsa_system_sgpr_workgroup_id_x 1
		.amdhsa_system_sgpr_workgroup_id_y 0
		.amdhsa_system_sgpr_workgroup_id_z 0
		.amdhsa_system_sgpr_workgroup_info 0
		.amdhsa_system_vgpr_workitem_id 0
		.amdhsa_next_free_vgpr 33
		.amdhsa_next_free_sgpr 22
		.amdhsa_reserve_vcc 1
		.amdhsa_float_round_mode_32 0
		.amdhsa_float_round_mode_16_64 0
		.amdhsa_float_denorm_mode_32 3
		.amdhsa_float_denorm_mode_16_64 3
		.amdhsa_dx10_clamp 1
		.amdhsa_ieee_mode 1
		.amdhsa_fp16_overflow 0
		.amdhsa_workgroup_processor_mode 1
		.amdhsa_memory_ordered 1
		.amdhsa_forward_progress 0
		.amdhsa_shared_vgpr_count 0
		.amdhsa_exception_fp_ieee_invalid_op 0
		.amdhsa_exception_fp_denorm_src 0
		.amdhsa_exception_fp_ieee_div_zero 0
		.amdhsa_exception_fp_ieee_overflow 0
		.amdhsa_exception_fp_ieee_underflow 0
		.amdhsa_exception_fp_ieee_inexact 0
		.amdhsa_exception_int_div_zero 0
	.end_amdhsa_kernel
	.section	.text._ZN2at6native12_GLOBAL__N_125multi_tensor_apply_kernelINS1_18TensorListMetadataILi2EEENS1_14UnaryOpFunctorIdLi2ELi1ELi1EEEJNS0_3AbsIdEEEEEvT_T0_DpT1_,"axG",@progbits,_ZN2at6native12_GLOBAL__N_125multi_tensor_apply_kernelINS1_18TensorListMetadataILi2EEENS1_14UnaryOpFunctorIdLi2ELi1ELi1EEEJNS0_3AbsIdEEEEEvT_T0_DpT1_,comdat
.Lfunc_end333:
	.size	_ZN2at6native12_GLOBAL__N_125multi_tensor_apply_kernelINS1_18TensorListMetadataILi2EEENS1_14UnaryOpFunctorIdLi2ELi1ELi1EEEJNS0_3AbsIdEEEEEvT_T0_DpT1_, .Lfunc_end333-_ZN2at6native12_GLOBAL__N_125multi_tensor_apply_kernelINS1_18TensorListMetadataILi2EEENS1_14UnaryOpFunctorIdLi2ELi1ELi1EEEJNS0_3AbsIdEEEEEvT_T0_DpT1_
                                        ; -- End function
	.section	.AMDGPU.csdata,"",@progbits
; Kernel info:
; codeLenInByte = 1480
; NumSgprs: 24
; NumVgprs: 33
; ScratchSize: 0
; MemoryBound: 0
; FloatMode: 240
; IeeeMode: 1
; LDSByteSize: 0 bytes/workgroup (compile time only)
; SGPRBlocks: 2
; VGPRBlocks: 4
; NumSGPRsForWavesPerEU: 24
; NumVGPRsForWavesPerEU: 33
; Occupancy: 16
; WaveLimiterHint : 0
; COMPUTE_PGM_RSRC2:SCRATCH_EN: 0
; COMPUTE_PGM_RSRC2:USER_SGPR: 15
; COMPUTE_PGM_RSRC2:TRAP_HANDLER: 0
; COMPUTE_PGM_RSRC2:TGID_X_EN: 1
; COMPUTE_PGM_RSRC2:TGID_Y_EN: 0
; COMPUTE_PGM_RSRC2:TGID_Z_EN: 0
; COMPUTE_PGM_RSRC2:TIDIG_COMP_CNT: 0
	.section	.text._ZN2at6native12_GLOBAL__N_125multi_tensor_apply_kernelINS1_18TensorListMetadataILi2EEENS1_14UnaryOpFunctorIfLi2ELi1ELi1EEEJNS0_3AbsIfEEEEEvT_T0_DpT1_,"axG",@progbits,_ZN2at6native12_GLOBAL__N_125multi_tensor_apply_kernelINS1_18TensorListMetadataILi2EEENS1_14UnaryOpFunctorIfLi2ELi1ELi1EEEJNS0_3AbsIfEEEEEvT_T0_DpT1_,comdat
	.globl	_ZN2at6native12_GLOBAL__N_125multi_tensor_apply_kernelINS1_18TensorListMetadataILi2EEENS1_14UnaryOpFunctorIfLi2ELi1ELi1EEEJNS0_3AbsIfEEEEEvT_T0_DpT1_ ; -- Begin function _ZN2at6native12_GLOBAL__N_125multi_tensor_apply_kernelINS1_18TensorListMetadataILi2EEENS1_14UnaryOpFunctorIfLi2ELi1ELi1EEEJNS0_3AbsIfEEEEEvT_T0_DpT1_
	.p2align	8
	.type	_ZN2at6native12_GLOBAL__N_125multi_tensor_apply_kernelINS1_18TensorListMetadataILi2EEENS1_14UnaryOpFunctorIfLi2ELi1ELi1EEEJNS0_3AbsIfEEEEEvT_T0_DpT1_,@function
_ZN2at6native12_GLOBAL__N_125multi_tensor_apply_kernelINS1_18TensorListMetadataILi2EEENS1_14UnaryOpFunctorIfLi2ELi1ELi1EEEJNS0_3AbsIfEEEEEvT_T0_DpT1_: ; @_ZN2at6native12_GLOBAL__N_125multi_tensor_apply_kernelINS1_18TensorListMetadataILi2EEENS1_14UnaryOpFunctorIfLi2ELi1ELi1EEEJNS0_3AbsIfEEEEEvT_T0_DpT1_
; %bb.0:
	v_mov_b32_e32 v1, s15
	s_add_u32 s2, s0, s15
	s_mul_hi_u32 s3, s15, 3
	s_mul_i32 s15, s15, 3
	s_addc_u32 s4, s1, 0
	global_load_u8 v1, v1, s[0:1] offset:1536
	s_add_u32 s2, s2, s15
	s_addc_u32 s3, s4, s3
	s_mov_b32 s17, 0
	s_load_b32 s2, s[2:3], 0x740
	s_mov_b32 s19, s17
	s_mov_b32 s21, s17
	s_waitcnt vmcnt(0)
	v_readfirstlane_b32 s5, v1
	s_delay_alu instid0(VALU_DEP_1)
	s_lshl_b32 s3, s5, 3
	s_clause 0x2
	s_load_b64 s[10:11], s[0:1], s3 offset:0x0
	s_load_b64 s[12:13], s[0:1], s3 offset:0x200
	s_load_b64 s[6:7], s[0:1], s3 offset:0x400
	s_waitcnt lgkmcnt(0)
	s_ashr_i32 s3, s2, 31
	s_delay_alu instid0(SALU_CYCLE_1) | instskip(NEXT) | instid1(SALU_CYCLE_1)
	s_lshl_b64 s[4:5], s[2:3], 18
	s_add_u32 s8, s10, s4
	s_addc_u32 s9, s11, s5
	s_and_b32 s16, s8, 15
	s_add_u32 s14, s12, s4
	s_addc_u32 s15, s13, s5
	s_and_b32 s18, s6, 3
	s_and_b32 s20, s14, 15
	s_or_b64 s[16:17], s[16:17], s[18:19]
	s_lshl_b64 s[2:3], s[2:3], 16
	s_or_b64 s[16:17], s[20:21], s[16:17]
	s_sub_u32 s6, s6, s2
	s_subb_u32 s7, s7, s3
	s_cmp_eq_u64 s[16:17], 0
	s_mov_b32 s2, -1
	s_cbranch_scc0 .LBB334_5
; %bb.1:
	v_dual_mov_b32 v2, 0 :: v_dual_lshlrev_b32 v1, 2, v0
	s_mov_b32 s16, exec_lo
	s_delay_alu instid0(VALU_DEP_1)
	v_cmpx_gt_i64_e64 s[6:7], v[1:2]
	s_cbranch_execz .LBB334_4
; %bb.2:
	s_load_b32 s2, s[0:1], 0xc5c
	v_lshlrev_b32_e32 v3, 4, v0
	s_mov_b32 s17, 0
	s_waitcnt lgkmcnt(0)
	s_and_b32 s2, s2, 0xffff
	s_delay_alu instid0(SALU_CYCLE_1)
	v_add_lshl_u32 v1, v0, s2, 2
	s_lshl_b32 s18, s2, 2
	s_lshl_b32 s19, s2, 4
	s_set_inst_prefetch_distance 0x1
	.p2align	6
.LBB334_3:                              ; =>This Inner Loop Header: Depth=1
	v_add_co_u32 v4, s2, s8, v3
	s_delay_alu instid0(VALU_DEP_1)
	v_add_co_ci_u32_e64 v5, null, s9, 0, s2
	v_cmp_le_i64_e32 vcc_lo, s[6:7], v[1:2]
	v_cmp_lt_u64_e64 s2, 0xffff, v[1:2]
	v_add_co_u32 v8, s3, s14, v3
	global_load_b128 v[4:7], v[4:5], off
	v_add_co_ci_u32_e64 v9, null, s15, 0, s3
	s_or_b32 s2, vcc_lo, s2
	s_add_u32 s8, s8, s19
	v_add_co_u32 v1, s3, v1, s18
	s_addc_u32 s9, s9, 0
	s_add_u32 s14, s14, s19
	v_add_co_ci_u32_e64 v2, s3, 0, v2, s3
	s_addc_u32 s15, s15, 0
	s_and_b32 s2, exec_lo, s2
	s_delay_alu instid0(SALU_CYCLE_1)
	s_or_b32 s17, s2, s17
	s_waitcnt vmcnt(0)
	v_and_b32_e32 v4, 0x7fffffff, v4
	v_and_b32_e32 v5, 0x7fffffff, v5
	;; [unrolled: 1-line block ×4, first 2 shown]
	global_store_b128 v[8:9], v[4:7], off
	s_and_not1_b32 exec_lo, exec_lo, s17
	s_cbranch_execnz .LBB334_3
.LBB334_4:
	s_set_inst_prefetch_distance 0x2
	s_or_b32 exec_lo, exec_lo, s16
	s_mov_b32 s2, 0
.LBB334_5:
	s_delay_alu instid0(SALU_CYCLE_1)
	s_and_not1_b32 vcc_lo, exec_lo, s2
	s_cbranch_vccnz .LBB334_25
; %bb.6:
	v_cmp_lt_i64_e64 s2, s[6:7], 1
	s_delay_alu instid0(VALU_DEP_1)
	s_and_b32 vcc_lo, exec_lo, s2
	s_cbranch_vccnz .LBB334_25
; %bb.7:
	s_load_b32 s0, s[0:1], 0xc5c
	v_dual_mov_b32 v10, 0 :: v_dual_lshlrev_b32 v9, 2, v0
	v_cmp_gt_u64_e64 s1, 0x10000, s[6:7]
	s_delay_alu instid0(VALU_DEP_2) | instskip(NEXT) | instid1(VALU_DEP_1)
	v_add_co_u32 v1, s2, s10, v9
	v_add_co_ci_u32_e64 v2, null, s11, 0, s2
	v_add_co_u32 v3, s2, s12, v9
	s_delay_alu instid0(VALU_DEP_1)
	v_add_co_ci_u32_e64 v4, null, s13, 0, s2
	s_waitcnt lgkmcnt(0)
	s_and_b32 s0, s0, 0xffff
	s_and_b32 s1, s1, exec_lo
	v_mad_u64_u32 v[7:8], null, s0, 12, v[9:10]
	s_cselect_b32 s9, s7, 0
	s_cselect_b32 s8, s6, 0x10000
	s_mul_i32 s2, s0, 3
	s_lshl_b32 s3, s0, 3
	s_lshl_b32 s1, s0, 1
	v_add_co_u32 v14, s3, s3, v9
	v_add_co_u32 v9, s2, s2, v0
	s_delay_alu instid0(VALU_DEP_1) | instskip(SKIP_3) | instid1(VALU_DEP_3)
	v_add_co_ci_u32_e64 v10, null, 0, 0, s2
	v_add_co_u32 v13, s2, v0, s0
	v_add_co_u32 v5, vcc_lo, s10, v7
	v_add_co_ci_u32_e32 v6, vcc_lo, s11, v8, vcc_lo
	v_lshlrev_b32_e32 v21, 2, v13
	v_add_co_u32 v7, vcc_lo, s12, v7
	v_add_co_ci_u32_e64 v15, null, 0, 0, s3
	v_add_co_ci_u32_e32 v8, vcc_lo, s13, v8, vcc_lo
	v_add_co_u32 v17, s1, s1, v0
	v_add_co_u32 v11, vcc_lo, s10, v14
	v_add_co_ci_u32_e64 v18, null, 0, 0, s1
	v_add_co_u32 v19, s1, s10, v21
	v_add_co_ci_u32_e32 v12, vcc_lo, s11, v15, vcc_lo
	v_add_co_u32 v14, vcc_lo, s12, v14
	v_add_co_ci_u32_e64 v20, null, s11, 0, s1
	v_add_co_u32 v21, s1, s12, v21
	v_add_co_ci_u32_e32 v15, vcc_lo, s13, v15, vcc_lo
	v_add_co_ci_u32_e64 v16, null, 0, 0, s2
	v_add_co_ci_u32_e64 v22, null, s13, 0, s1
	s_lshl_b32 s12, s0, 2
	s_lshl_b32 s13, s0, 4
	s_mov_b64 s[10:11], 0
	s_branch .LBB334_9
.LBB334_8:                              ;   in Loop: Header=BB334_9 Depth=1
	s_or_b32 exec_lo, exec_lo, s0
	v_add_co_u32 v1, vcc_lo, v1, s13
	v_add_co_ci_u32_e32 v2, vcc_lo, 0, v2, vcc_lo
	v_add_co_u32 v3, vcc_lo, v3, s13
	v_add_co_ci_u32_e32 v4, vcc_lo, 0, v4, vcc_lo
	;; [unrolled: 2-line block ×5, first 2 shown]
	s_add_u32 s10, s10, s12
	v_add_co_u32 v14, vcc_lo, v14, s13
	s_addc_u32 s11, s11, 0
	v_add_co_ci_u32_e32 v15, vcc_lo, 0, v15, vcc_lo
	v_cmp_ge_i64_e64 s0, s[10:11], s[6:7]
	v_cmp_lt_u64_e64 s1, 0xffff, s[10:11]
	v_add_co_u32 v19, vcc_lo, v19, s13
	v_add_co_ci_u32_e32 v20, vcc_lo, 0, v20, vcc_lo
	v_add_co_u32 v21, vcc_lo, v21, s13
	v_add_co_ci_u32_e32 v22, vcc_lo, 0, v22, vcc_lo
	s_or_b32 s0, s0, s1
	s_delay_alu instid0(SALU_CYCLE_1)
	s_and_b32 vcc_lo, exec_lo, s0
	s_cbranch_vccnz .LBB334_25
.LBB334_9:                              ; =>This Inner Loop Header: Depth=1
	s_waitcnt vmcnt(0)
	v_add_co_u32 v23, s0, v0, s10
	s_delay_alu instid0(VALU_DEP_1) | instskip(NEXT) | instid1(VALU_DEP_1)
	v_add_co_ci_u32_e64 v24, null, 0, s11, s0
	v_cmp_gt_u64_e32 vcc_lo, s[8:9], v[23:24]
	v_mov_b32_e32 v23, 0
	s_and_saveexec_b32 s1, vcc_lo
	s_cbranch_execz .LBB334_11
; %bb.10:                               ;   in Loop: Header=BB334_9 Depth=1
	v_add_co_u32 v23, s0, v1, s4
	s_delay_alu instid0(VALU_DEP_1)
	v_add_co_ci_u32_e64 v24, s0, s5, v2, s0
	global_load_b32 v23, v[23:24], off
.LBB334_11:                             ;   in Loop: Header=BB334_9 Depth=1
	s_or_b32 exec_lo, exec_lo, s1
	v_add_co_u32 v24, s0, v13, s10
	s_delay_alu instid0(VALU_DEP_1) | instskip(NEXT) | instid1(VALU_DEP_1)
	v_add_co_ci_u32_e64 v25, s0, s11, v16, s0
	v_cmp_gt_u64_e64 s0, s[8:9], v[24:25]
	v_mov_b32_e32 v25, 0
	s_delay_alu instid0(VALU_DEP_2)
	s_and_saveexec_b32 s2, s0
	s_cbranch_execz .LBB334_13
; %bb.12:                               ;   in Loop: Header=BB334_9 Depth=1
	v_add_co_u32 v24, s1, v19, s4
	s_delay_alu instid0(VALU_DEP_1)
	v_add_co_ci_u32_e64 v25, s1, s5, v20, s1
	global_load_b32 v25, v[24:25], off
.LBB334_13:                             ;   in Loop: Header=BB334_9 Depth=1
	s_or_b32 exec_lo, exec_lo, s2
	v_add_co_u32 v26, s1, v17, s10
	s_delay_alu instid0(VALU_DEP_1) | instskip(SKIP_1) | instid1(VALU_DEP_2)
	v_add_co_ci_u32_e64 v27, s1, s11, v18, s1
	v_mov_b32_e32 v24, 0
	v_cmp_gt_u64_e64 s1, s[8:9], v[26:27]
	v_mov_b32_e32 v26, 0
	s_delay_alu instid0(VALU_DEP_2)
	s_and_saveexec_b32 s3, s1
	s_cbranch_execz .LBB334_15
; %bb.14:                               ;   in Loop: Header=BB334_9 Depth=1
	v_add_co_u32 v26, s2, v11, s4
	s_delay_alu instid0(VALU_DEP_1)
	v_add_co_ci_u32_e64 v27, s2, s5, v12, s2
	global_load_b32 v26, v[26:27], off
.LBB334_15:                             ;   in Loop: Header=BB334_9 Depth=1
	s_or_b32 exec_lo, exec_lo, s3
	v_add_co_u32 v27, s2, v9, s10
	s_delay_alu instid0(VALU_DEP_1) | instskip(NEXT) | instid1(VALU_DEP_1)
	v_add_co_ci_u32_e64 v28, s2, s11, v10, s2
	v_cmp_gt_u64_e64 s2, s[8:9], v[27:28]
	s_delay_alu instid0(VALU_DEP_1)
	s_and_saveexec_b32 s14, s2
	s_cbranch_execnz .LBB334_20
; %bb.16:                               ;   in Loop: Header=BB334_9 Depth=1
	s_or_b32 exec_lo, exec_lo, s14
	s_and_saveexec_b32 s3, vcc_lo
	s_cbranch_execnz .LBB334_21
.LBB334_17:                             ;   in Loop: Header=BB334_9 Depth=1
	s_or_b32 exec_lo, exec_lo, s3
	s_and_saveexec_b32 s3, s0
	s_cbranch_execnz .LBB334_22
.LBB334_18:                             ;   in Loop: Header=BB334_9 Depth=1
	s_or_b32 exec_lo, exec_lo, s3
	s_and_saveexec_b32 s0, s1
	s_cbranch_execnz .LBB334_23
.LBB334_19:                             ;   in Loop: Header=BB334_9 Depth=1
	s_or_b32 exec_lo, exec_lo, s0
	s_and_saveexec_b32 s0, s2
	s_cbranch_execz .LBB334_8
	s_branch .LBB334_24
.LBB334_20:                             ;   in Loop: Header=BB334_9 Depth=1
	v_add_co_u32 v27, s3, v5, s4
	s_delay_alu instid0(VALU_DEP_1)
	v_add_co_ci_u32_e64 v28, s3, s5, v6, s3
	global_load_b32 v24, v[27:28], off
	s_or_b32 exec_lo, exec_lo, s14
	s_and_saveexec_b32 s3, vcc_lo
	s_cbranch_execz .LBB334_17
.LBB334_21:                             ;   in Loop: Header=BB334_9 Depth=1
	v_add_co_u32 v27, vcc_lo, v3, s4
	v_add_co_ci_u32_e32 v28, vcc_lo, s5, v4, vcc_lo
	s_waitcnt vmcnt(0)
	v_and_b32_e32 v23, 0x7fffffff, v23
	global_store_b32 v[27:28], v23, off
	s_or_b32 exec_lo, exec_lo, s3
	s_and_saveexec_b32 s3, s0
	s_cbranch_execz .LBB334_18
.LBB334_22:                             ;   in Loop: Header=BB334_9 Depth=1
	v_add_co_u32 v27, vcc_lo, v21, s4
	s_waitcnt vmcnt(0)
	v_and_b32_e32 v23, 0x7fffffff, v25
	v_add_co_ci_u32_e32 v28, vcc_lo, s5, v22, vcc_lo
	global_store_b32 v[27:28], v23, off
	s_or_b32 exec_lo, exec_lo, s3
	s_and_saveexec_b32 s0, s1
	s_cbranch_execz .LBB334_19
.LBB334_23:                             ;   in Loop: Header=BB334_9 Depth=1
	s_waitcnt vmcnt(0)
	v_add_co_u32 v25, vcc_lo, v14, s4
	v_and_b32_e32 v23, 0x7fffffff, v26
	v_add_co_ci_u32_e32 v26, vcc_lo, s5, v15, vcc_lo
	global_store_b32 v[25:26], v23, off
	s_or_b32 exec_lo, exec_lo, s0
	s_and_saveexec_b32 s0, s2
	s_cbranch_execz .LBB334_8
.LBB334_24:                             ;   in Loop: Header=BB334_9 Depth=1
	s_waitcnt vmcnt(0)
	v_add_co_u32 v23, vcc_lo, v7, s4
	v_and_b32_e32 v25, 0x7fffffff, v24
	v_add_co_ci_u32_e32 v24, vcc_lo, s5, v8, vcc_lo
	global_store_b32 v[23:24], v25, off
	s_branch .LBB334_8
.LBB334_25:
	s_nop 0
	s_sendmsg sendmsg(MSG_DEALLOC_VGPRS)
	s_endpgm
	.section	.rodata,"a",@progbits
	.p2align	6, 0x0
	.amdhsa_kernel _ZN2at6native12_GLOBAL__N_125multi_tensor_apply_kernelINS1_18TensorListMetadataILi2EEENS1_14UnaryOpFunctorIfLi2ELi1ELi1EEEJNS0_3AbsIfEEEEEvT_T0_DpT1_
		.amdhsa_group_segment_fixed_size 0
		.amdhsa_private_segment_fixed_size 0
		.amdhsa_kernarg_size 3408
		.amdhsa_user_sgpr_count 15
		.amdhsa_user_sgpr_dispatch_ptr 0
		.amdhsa_user_sgpr_queue_ptr 0
		.amdhsa_user_sgpr_kernarg_segment_ptr 1
		.amdhsa_user_sgpr_dispatch_id 0
		.amdhsa_user_sgpr_private_segment_size 0
		.amdhsa_wavefront_size32 1
		.amdhsa_uses_dynamic_stack 0
		.amdhsa_enable_private_segment 0
		.amdhsa_system_sgpr_workgroup_id_x 1
		.amdhsa_system_sgpr_workgroup_id_y 0
		.amdhsa_system_sgpr_workgroup_id_z 0
		.amdhsa_system_sgpr_workgroup_info 0
		.amdhsa_system_vgpr_workitem_id 0
		.amdhsa_next_free_vgpr 29
		.amdhsa_next_free_sgpr 22
		.amdhsa_reserve_vcc 1
		.amdhsa_float_round_mode_32 0
		.amdhsa_float_round_mode_16_64 0
		.amdhsa_float_denorm_mode_32 3
		.amdhsa_float_denorm_mode_16_64 3
		.amdhsa_dx10_clamp 1
		.amdhsa_ieee_mode 1
		.amdhsa_fp16_overflow 0
		.amdhsa_workgroup_processor_mode 1
		.amdhsa_memory_ordered 1
		.amdhsa_forward_progress 0
		.amdhsa_shared_vgpr_count 0
		.amdhsa_exception_fp_ieee_invalid_op 0
		.amdhsa_exception_fp_denorm_src 0
		.amdhsa_exception_fp_ieee_div_zero 0
		.amdhsa_exception_fp_ieee_overflow 0
		.amdhsa_exception_fp_ieee_underflow 0
		.amdhsa_exception_fp_ieee_inexact 0
		.amdhsa_exception_int_div_zero 0
	.end_amdhsa_kernel
	.section	.text._ZN2at6native12_GLOBAL__N_125multi_tensor_apply_kernelINS1_18TensorListMetadataILi2EEENS1_14UnaryOpFunctorIfLi2ELi1ELi1EEEJNS0_3AbsIfEEEEEvT_T0_DpT1_,"axG",@progbits,_ZN2at6native12_GLOBAL__N_125multi_tensor_apply_kernelINS1_18TensorListMetadataILi2EEENS1_14UnaryOpFunctorIfLi2ELi1ELi1EEEJNS0_3AbsIfEEEEEvT_T0_DpT1_,comdat
.Lfunc_end334:
	.size	_ZN2at6native12_GLOBAL__N_125multi_tensor_apply_kernelINS1_18TensorListMetadataILi2EEENS1_14UnaryOpFunctorIfLi2ELi1ELi1EEEJNS0_3AbsIfEEEEEvT_T0_DpT1_, .Lfunc_end334-_ZN2at6native12_GLOBAL__N_125multi_tensor_apply_kernelINS1_18TensorListMetadataILi2EEENS1_14UnaryOpFunctorIfLi2ELi1ELi1EEEJNS0_3AbsIfEEEEEvT_T0_DpT1_
                                        ; -- End function
	.section	.AMDGPU.csdata,"",@progbits
; Kernel info:
; codeLenInByte = 1428
; NumSgprs: 24
; NumVgprs: 29
; ScratchSize: 0
; MemoryBound: 0
; FloatMode: 240
; IeeeMode: 1
; LDSByteSize: 0 bytes/workgroup (compile time only)
; SGPRBlocks: 2
; VGPRBlocks: 3
; NumSGPRsForWavesPerEU: 24
; NumVGPRsForWavesPerEU: 29
; Occupancy: 16
; WaveLimiterHint : 0
; COMPUTE_PGM_RSRC2:SCRATCH_EN: 0
; COMPUTE_PGM_RSRC2:USER_SGPR: 15
; COMPUTE_PGM_RSRC2:TRAP_HANDLER: 0
; COMPUTE_PGM_RSRC2:TGID_X_EN: 1
; COMPUTE_PGM_RSRC2:TGID_Y_EN: 0
; COMPUTE_PGM_RSRC2:TGID_Z_EN: 0
; COMPUTE_PGM_RSRC2:TIDIG_COMP_CNT: 0
	.section	.text._ZN2at6native12_GLOBAL__N_125multi_tensor_apply_kernelINS1_18TensorListMetadataILi2EEENS1_14UnaryOpFunctorIN3c107complexIdEELi2ELi1ELi1EEEJNS0_3AbsIS8_EEEEEvT_T0_DpT1_,"axG",@progbits,_ZN2at6native12_GLOBAL__N_125multi_tensor_apply_kernelINS1_18TensorListMetadataILi2EEENS1_14UnaryOpFunctorIN3c107complexIdEELi2ELi1ELi1EEEJNS0_3AbsIS8_EEEEEvT_T0_DpT1_,comdat
	.globl	_ZN2at6native12_GLOBAL__N_125multi_tensor_apply_kernelINS1_18TensorListMetadataILi2EEENS1_14UnaryOpFunctorIN3c107complexIdEELi2ELi1ELi1EEEJNS0_3AbsIS8_EEEEEvT_T0_DpT1_ ; -- Begin function _ZN2at6native12_GLOBAL__N_125multi_tensor_apply_kernelINS1_18TensorListMetadataILi2EEENS1_14UnaryOpFunctorIN3c107complexIdEELi2ELi1ELi1EEEJNS0_3AbsIS8_EEEEEvT_T0_DpT1_
	.p2align	8
	.type	_ZN2at6native12_GLOBAL__N_125multi_tensor_apply_kernelINS1_18TensorListMetadataILi2EEENS1_14UnaryOpFunctorIN3c107complexIdEELi2ELi1ELi1EEEJNS0_3AbsIS8_EEEEEvT_T0_DpT1_,@function
_ZN2at6native12_GLOBAL__N_125multi_tensor_apply_kernelINS1_18TensorListMetadataILi2EEENS1_14UnaryOpFunctorIN3c107complexIdEELi2ELi1ELi1EEEJNS0_3AbsIS8_EEEEEvT_T0_DpT1_: ; @_ZN2at6native12_GLOBAL__N_125multi_tensor_apply_kernelINS1_18TensorListMetadataILi2EEENS1_14UnaryOpFunctorIN3c107complexIdEELi2ELi1ELi1EEEJNS0_3AbsIS8_EEEEEvT_T0_DpT1_
; %bb.0:
	v_dual_mov_b32 v1, v0 :: v_dual_mov_b32 v0, s15
	s_add_u32 s2, s0, s15
	s_mul_hi_u32 s3, s15, 3
	s_mul_i32 s15, s15, 3
	s_addc_u32 s4, s1, 0
	global_load_u8 v0, v0, s[0:1] offset:1536
	s_add_u32 s2, s2, s15
	s_addc_u32 s3, s4, s3
	s_mov_b32 s7, 0
	s_load_b32 s2, s[2:3], 0x740
	s_mov_b32 s11, s7
	s_mov_b32 s21, s7
	s_waitcnt vmcnt(0)
	v_readfirstlane_b32 s5, v0
	s_delay_alu instid0(VALU_DEP_1)
	s_lshl_b32 s3, s5, 3
	s_clause 0x2
	s_load_b64 s[12:13], s[0:1], s3 offset:0x0
	s_load_b64 s[14:15], s[0:1], s3 offset:0x200
	;; [unrolled: 1-line block ×3, first 2 shown]
	s_waitcnt lgkmcnt(0)
	s_ashr_i32 s3, s2, 31
	s_delay_alu instid0(SALU_CYCLE_1) | instskip(NEXT) | instid1(SALU_CYCLE_1)
	s_lshl_b64 s[8:9], s[2:3], 20
	s_add_u32 s16, s12, s8
	s_addc_u32 s17, s13, s9
	s_add_u32 s18, s14, s8
	s_addc_u32 s19, s15, s9
	s_and_b32 s10, s16, 63
	s_and_b32 s20, s4, 3
	;; [unrolled: 1-line block ×3, first 2 shown]
	s_or_b64 s[10:11], s[10:11], s[20:21]
	s_lshl_b64 s[2:3], s[2:3], 16
	s_or_b64 s[6:7], s[6:7], s[10:11]
	s_sub_u32 s10, s4, s2
	s_subb_u32 s11, s5, s3
	s_cmp_eq_u64 s[6:7], 0
	s_mov_b32 s2, -1
	s_cbranch_scc0 .LBB335_5
; %bb.1:
	v_dual_mov_b32 v4, 0 :: v_dual_lshlrev_b32 v3, 2, v1
	s_mov_b32 s20, exec_lo
	s_delay_alu instid0(VALU_DEP_1)
	v_cmpx_gt_i64_e64 s[10:11], v[3:4]
	s_cbranch_execz .LBB335_4
; %bb.2:
	s_load_b32 s2, s[0:1], 0xc5c
	s_mov_b32 s21, 0
	s_waitcnt lgkmcnt(0)
	s_and_b32 s2, s2, 0xffff
	s_delay_alu instid0(SALU_CYCLE_1) | instskip(SKIP_3) | instid1(VALU_DEP_2)
	v_add_lshl_u32 v3, v1, s2, 2
	v_dual_mov_b32 v7, v4 :: v_dual_lshlrev_b32 v0, 6, v1
	s_lshl_b32 s22, s2, 2
	s_lshl_b32 s23, s2, 6
	v_mov_b32_e32 v6, v3
.LBB335_3:                              ; =>This Inner Loop Header: Depth=1
	s_delay_alu instid0(VALU_DEP_2) | instskip(NEXT) | instid1(VALU_DEP_1)
	v_add_co_u32 v2, s2, s16, v0
	v_add_co_ci_u32_e64 v3, null, s17, 0, s2
	s_delay_alu instid0(VALU_DEP_3)
	v_cmp_lt_u64_e64 s6, 0xffff, v[6:7]
	s_clause 0x3
	global_load_b128 v[8:11], v[2:3], off
	global_load_b128 v[12:15], v[2:3], off offset:16
	global_load_b128 v[16:19], v[2:3], off offset:32
	;; [unrolled: 1-line block ×3, first 2 shown]
	s_waitcnt vmcnt(3)
	v_max_f64 v[2:3], |v[10:11]|, |v[10:11]|
	v_max_f64 v[24:25], |v[8:9]|, |v[8:9]|
	s_waitcnt vmcnt(2)
	v_max_f64 v[26:27], |v[14:15]|, |v[14:15]|
	v_max_f64 v[28:29], |v[12:13]|, |v[12:13]|
	;; [unrolled: 3-line block ×4, first 2 shown]
	v_cmp_class_f64_e64 s24, v[8:9], 0x204
	v_cmp_class_f64_e64 s25, v[10:11], 0x204
	;; [unrolled: 1-line block ×8, first 2 shown]
	v_max_f64 v[2:3], v[24:25], v[2:3]
	v_max_f64 v[24:25], v[28:29], v[26:27]
	;; [unrolled: 1-line block ×4, first 2 shown]
	s_delay_alu instid0(VALU_DEP_4) | instskip(NEXT) | instid1(VALU_DEP_4)
	v_frexp_exp_i32_f64_e32 v5, v[2:3]
	v_frexp_exp_i32_f64_e32 v54, v[24:25]
	s_delay_alu instid0(VALU_DEP_4) | instskip(NEXT) | instid1(VALU_DEP_4)
	v_frexp_exp_i32_f64_e32 v55, v[26:27]
	v_frexp_exp_i32_f64_e32 v56, v[28:29]
	s_delay_alu instid0(VALU_DEP_4) | instskip(NEXT) | instid1(VALU_DEP_4)
	v_sub_nc_u32_e32 v30, 0, v5
	v_sub_nc_u32_e32 v32, 0, v54
	s_delay_alu instid0(VALU_DEP_4) | instskip(NEXT) | instid1(VALU_DEP_3)
	v_sub_nc_u32_e32 v34, 0, v55
	v_ldexp_f64 v[2:3], |v[10:11]|, v30
	v_sub_nc_u32_e32 v36, 0, v56
	s_delay_alu instid0(VALU_DEP_4)
	v_ldexp_f64 v[24:25], |v[14:15]|, v32
	v_ldexp_f64 v[30:31], |v[8:9]|, v30
	;; [unrolled: 1-line block ×7, first 2 shown]
	v_mul_f64 v[2:3], v[2:3], v[2:3]
	v_mul_f64 v[24:25], v[24:25], v[24:25]
	;; [unrolled: 1-line block ×4, first 2 shown]
	s_delay_alu instid0(VALU_DEP_4) | instskip(NEXT) | instid1(VALU_DEP_4)
	v_fma_f64 v[2:3], v[30:31], v[30:31], v[2:3]
	v_fma_f64 v[24:25], v[32:33], v[32:33], v[24:25]
	s_delay_alu instid0(VALU_DEP_4) | instskip(NEXT) | instid1(VALU_DEP_4)
	v_fma_f64 v[26:27], v[34:35], v[34:35], v[26:27]
	v_fma_f64 v[28:29], v[36:37], v[36:37], v[28:29]
	s_delay_alu instid0(VALU_DEP_4) | instskip(SKIP_1) | instid1(VALU_DEP_4)
	v_rsq_f64_e32 v[30:31], v[2:3]
	v_cmp_eq_f64_e32 vcc_lo, 0, v[2:3]
	v_rsq_f64_e32 v[32:33], v[24:25]
	v_cmp_eq_f64_e64 s2, 0, v[24:25]
	s_delay_alu instid0(VALU_DEP_4) | instskip(SKIP_1) | instid1(VALU_DEP_4)
	v_rsq_f64_e32 v[34:35], v[26:27]
	v_cmp_eq_f64_e64 s3, 0, v[26:27]
	v_rsq_f64_e32 v[36:37], v[28:29]
	v_cmp_eq_f64_e64 s4, 0, v[28:29]
	v_mul_f64 v[38:39], v[2:3], v[30:31]
	v_mul_f64 v[30:31], v[30:31], 0.5
	s_delay_alu instid0(TRANS32_DEP_3) | instskip(SKIP_1) | instid1(TRANS32_DEP_2)
	v_mul_f64 v[40:41], v[24:25], v[32:33]
	v_mul_f64 v[32:33], v[32:33], 0.5
	v_mul_f64 v[42:43], v[26:27], v[34:35]
	v_mul_f64 v[34:35], v[34:35], 0.5
	s_delay_alu instid0(TRANS32_DEP_1) | instskip(SKIP_4) | instid1(VALU_DEP_4)
	v_mul_f64 v[44:45], v[28:29], v[36:37]
	v_mul_f64 v[36:37], v[36:37], 0.5
	v_fma_f64 v[46:47], -v[30:31], v[38:39], 0.5
	v_fma_f64 v[48:49], -v[32:33], v[40:41], 0.5
	;; [unrolled: 1-line block ×4, first 2 shown]
	s_delay_alu instid0(VALU_DEP_4)
	v_fma_f64 v[38:39], v[38:39], v[46:47], v[38:39]
	v_fma_f64 v[30:31], v[30:31], v[46:47], v[30:31]
	;; [unrolled: 1-line block ×8, first 2 shown]
	v_fma_f64 v[46:47], -v[38:39], v[38:39], v[2:3]
	v_fma_f64 v[48:49], -v[40:41], v[40:41], v[24:25]
	v_fma_f64 v[50:51], -v[42:43], v[42:43], v[26:27]
	v_fma_f64 v[52:53], -v[44:45], v[44:45], v[28:29]
	s_delay_alu instid0(VALU_DEP_4) | instskip(NEXT) | instid1(VALU_DEP_4)
	v_fma_f64 v[30:31], v[46:47], v[30:31], v[38:39]
	v_fma_f64 v[32:33], v[48:49], v[32:33], v[40:41]
	s_delay_alu instid0(VALU_DEP_4) | instskip(NEXT) | instid1(VALU_DEP_4)
	v_fma_f64 v[34:35], v[50:51], v[34:35], v[42:43]
	v_fma_f64 v[36:37], v[52:53], v[36:37], v[44:45]
	s_delay_alu instid0(VALU_DEP_4) | instskip(NEXT) | instid1(VALU_DEP_4)
	v_dual_cndmask_b32 v3, v31, v3 :: v_dual_cndmask_b32 v2, v30, v2
	v_cndmask_b32_e64 v25, v33, v25, s2
	v_cndmask_b32_e64 v24, v32, v24, s2
	v_cndmask_b32_e64 v27, v35, v27, s3
	v_cndmask_b32_e64 v26, v34, v26, s3
	v_cndmask_b32_e64 v29, v37, v29, s4
	v_cndmask_b32_e64 v28, v36, v28, s4
	v_ldexp_f64 v[2:3], v[2:3], v5
	v_cmp_o_f64_e32 vcc_lo, v[8:9], v[10:11]
	v_ldexp_f64 v[8:9], v[24:25], v54
	v_cmp_o_f64_e64 s2, v[12:13], v[14:15]
	v_ldexp_f64 v[12:13], v[26:27], v55
	v_cmp_o_f64_e64 s3, v[16:17], v[18:19]
	;; [unrolled: 2-line block ×3, first 2 shown]
	v_add_co_u32 v20, s5, s18, v0
	s_delay_alu instid0(VALU_DEP_1) | instskip(SKIP_4) | instid1(VALU_DEP_1)
	v_add_co_ci_u32_e64 v21, null, s19, 0, s5
	v_cmp_le_i64_e64 s5, s[10:11], v[6:7]
	v_mov_b32_e32 v5, v4
	v_mov_b32_e32 v10, v4
	v_add_co_u32 v6, s7, v6, s22
	v_add_co_ci_u32_e64 v7, s7, 0, v7, s7
	s_or_b32 s5, s5, s6
	s_or_b32 s6, s24, s25
	v_mov_b32_e32 v11, v4
	v_mov_b32_e32 v14, v4
	;; [unrolled: 1-line block ×5, first 2 shown]
	v_cndmask_b32_e32 v3, 0x7ff80000, v3, vcc_lo
	v_cndmask_b32_e32 v2, 0, v2, vcc_lo
	v_cndmask_b32_e64 v8, 0, v8, s2
	v_cndmask_b32_e64 v9, 0x7ff80000, v9, s2
	s_or_b32 s2, s26, s27
	v_cndmask_b32_e64 v12, 0, v12, s3
	v_cndmask_b32_e64 v13, 0x7ff80000, v13, s3
	s_or_b32 s3, s28, s29
	;; [unrolled: 3-line block ×3, first 2 shown]
	s_add_u32 s16, s16, s23
	s_addc_u32 s17, s17, 0
	s_add_u32 s18, s18, s23
	s_addc_u32 s19, s19, 0
	v_cndmask_b32_e64 v3, v3, 0x7ff00000, s6
	v_cndmask_b32_e64 v2, v2, 0, s6
	;; [unrolled: 1-line block ×4, first 2 shown]
	s_and_b32 s2, exec_lo, s5
	v_cndmask_b32_e64 v13, v13, 0x7ff00000, s3
	v_cndmask_b32_e64 v12, v12, 0, s3
	v_cndmask_b32_e64 v17, v17, 0x7ff00000, s4
	v_cndmask_b32_e64 v16, v16, 0, s4
	s_or_b32 s21, s2, s21
	s_clause 0x3
	global_store_b128 v[20:21], v[2:5], off
	global_store_b128 v[20:21], v[8:11], off offset:16
	global_store_b128 v[20:21], v[12:15], off offset:32
	;; [unrolled: 1-line block ×3, first 2 shown]
	s_and_not1_b32 exec_lo, exec_lo, s21
	s_cbranch_execnz .LBB335_3
.LBB335_4:
	s_or_b32 exec_lo, exec_lo, s20
	s_mov_b32 s2, 0
.LBB335_5:
	s_delay_alu instid0(SALU_CYCLE_1)
	s_and_not1_b32 vcc_lo, exec_lo, s2
	s_cbranch_vccnz .LBB335_25
; %bb.6:
	v_cmp_lt_i64_e64 s2, s[10:11], 1
	s_delay_alu instid0(VALU_DEP_1)
	s_and_b32 vcc_lo, exec_lo, s2
	s_cbranch_vccnz .LBB335_25
; %bb.7:
	s_load_b32 s0, s[0:1], 0xc5c
	v_mov_b32_e32 v2, 0
	v_lshl_or_b32 v3, v1, 4, 8
	v_cmp_gt_u64_e64 s1, 0x10000, s[10:11]
	s_mov_b32 s5, 0
	s_delay_alu instid0(VALU_DEP_3) | instskip(NEXT) | instid1(VALU_DEP_3)
	v_mov_b32_e32 v4, v2
	v_add_co_u32 v22, s2, s12, v3
	s_delay_alu instid0(VALU_DEP_1) | instskip(SKIP_1) | instid1(VALU_DEP_1)
	v_add_co_ci_u32_e64 v23, null, s13, 0, s2
	v_add_co_u32 v24, s2, s14, v3
	v_add_co_ci_u32_e64 v25, null, s15, 0, s2
	v_dual_mov_b32 v21, v2 :: v_dual_mov_b32 v20, v1
	s_waitcnt lgkmcnt(0)
	s_and_b32 s16, s0, 0xffff
	s_and_b32 s0, s1, exec_lo
	v_add_lshl_u32 v0, v1, s16, 4
	v_mad_u64_u32 v[5:6], null, s16, 48, v[3:4]
	s_cselect_b32 s7, s11, 0
	s_cselect_b32 s6, s10, 0x10000
	s_delay_alu instid0(VALU_DEP_2) | instskip(NEXT) | instid1(VALU_DEP_1)
	v_add_co_u32 v26, s0, s14, v0
	v_add_co_ci_u32_e64 v27, null, s15, 0, s0
	v_add_co_u32 v30, s0, s12, v0
	s_delay_alu instid0(VALU_DEP_1)
	v_add_co_ci_u32_e64 v31, null, s13, 0, s0
	s_lshl_b32 s0, s16, 5
	v_add_co_u32 v28, vcc_lo, s12, v5
	v_add_co_u32 v0, s0, v3, s0
	v_add_co_ci_u32_e32 v29, vcc_lo, s13, v6, vcc_lo
	v_add_co_ci_u32_e64 v3, null, 0, 0, s0
	v_add_co_u32 v32, vcc_lo, s14, v5
	v_add_co_ci_u32_e32 v33, vcc_lo, s15, v6, vcc_lo
	v_add_co_u32 v34, vcc_lo, s12, v0
	s_delay_alu instid0(VALU_DEP_4)
	v_add_co_ci_u32_e32 v35, vcc_lo, s13, v3, vcc_lo
	v_add_co_u32 v36, vcc_lo, s14, v0
	v_add_co_ci_u32_e32 v37, vcc_lo, s15, v3, vcc_lo
	s_lshl_b32 s4, s16, 2
	s_lshl_b32 s17, s16, 1
	s_mul_i32 s18, s16, 3
	s_lshl_b32 s14, s16, 6
	s_mov_b64 s[12:13], s[4:5]
	s_branch .LBB335_9
.LBB335_8:                              ;   in Loop: Header=BB335_9 Depth=1
	s_or_b32 exec_lo, exec_lo, s0
	v_add_co_u32 v20, vcc_lo, v20, s4
	v_add_co_ci_u32_e32 v21, vcc_lo, 0, v21, vcc_lo
	v_add_co_u32 v22, vcc_lo, v22, s14
	v_add_co_ci_u32_e32 v23, vcc_lo, 0, v23, vcc_lo
	;; [unrolled: 2-line block ×7, first 2 shown]
	v_cmp_ge_i64_e64 s0, s[12:13], s[10:11]
	v_cmp_lt_u64_e64 s1, 0xffff, s[12:13]
	v_add_co_u32 v34, vcc_lo, v34, s14
	v_add_co_ci_u32_e32 v35, vcc_lo, 0, v35, vcc_lo
	v_add_co_u32 v36, vcc_lo, v36, s14
	v_add_co_ci_u32_e32 v37, vcc_lo, 0, v37, vcc_lo
	s_or_b32 s0, s0, s1
	s_add_u32 s12, s12, s4
	s_addc_u32 s13, s13, 0
	s_and_b32 vcc_lo, exec_lo, s0
	s_cbranch_vccnz .LBB335_25
.LBB335_9:                              ; =>This Inner Loop Header: Depth=1
	s_waitcnt vmcnt(0)
	v_mov_b32_e32 v10, 0
	v_mov_b32_e32 v11, 0
	v_cmp_gt_u64_e64 s2, s[6:7], v[20:21]
	s_delay_alu instid0(VALU_DEP_2) | instskip(SKIP_1) | instid1(VALU_DEP_3)
	v_dual_mov_b32 v19, v11 :: v_dual_mov_b32 v18, v10
	v_dual_mov_b32 v17, v11 :: v_dual_mov_b32 v16, v10
	s_and_saveexec_b32 s0, s2
	s_cbranch_execz .LBB335_11
; %bb.10:                               ;   in Loop: Header=BB335_9 Depth=1
	v_add_co_u32 v0, vcc_lo, v22, s8
	v_add_co_ci_u32_e32 v1, vcc_lo, s9, v23, vcc_lo
	global_load_b128 v[16:19], v[0:1], off offset:-8
.LBB335_11:                             ;   in Loop: Header=BB335_9 Depth=1
	s_or_b32 exec_lo, exec_lo, s0
	v_add_co_u32 v0, vcc_lo, s16, v20
	v_add_co_ci_u32_e32 v1, vcc_lo, 0, v21, vcc_lo
	v_dual_mov_b32 v8, v10 :: v_dual_mov_b32 v9, v11
	s_delay_alu instid0(VALU_DEP_2) | instskip(NEXT) | instid1(VALU_DEP_1)
	v_cmp_gt_u64_e64 s1, s[6:7], v[0:1]
	s_and_saveexec_b32 s0, s1
	s_cbranch_execz .LBB335_13
; %bb.12:                               ;   in Loop: Header=BB335_9 Depth=1
	v_add_co_u32 v0, vcc_lo, v30, s8
	v_add_co_ci_u32_e32 v1, vcc_lo, s9, v31, vcc_lo
	global_load_b128 v[8:11], v[0:1], off
.LBB335_13:                             ;   in Loop: Header=BB335_9 Depth=1
	s_or_b32 exec_lo, exec_lo, s0
	v_add_co_u32 v0, vcc_lo, s17, v20
	v_add_co_ci_u32_e32 v1, vcc_lo, 0, v21, vcc_lo
	v_mov_b32_e32 v6, 0
	v_mov_b32_e32 v7, 0
	s_delay_alu instid0(VALU_DEP_3) | instskip(NEXT) | instid1(VALU_DEP_2)
	v_cmp_gt_u64_e64 s0, s[6:7], v[0:1]
	v_dual_mov_b32 v15, v7 :: v_dual_mov_b32 v14, v6
	v_dual_mov_b32 v13, v7 :: v_dual_mov_b32 v12, v6
	s_delay_alu instid0(VALU_DEP_3)
	s_and_saveexec_b32 s3, s0
	s_cbranch_execz .LBB335_15
; %bb.14:                               ;   in Loop: Header=BB335_9 Depth=1
	v_add_co_u32 v0, vcc_lo, v34, s8
	v_add_co_ci_u32_e32 v1, vcc_lo, s9, v35, vcc_lo
	global_load_b128 v[12:15], v[0:1], off offset:-8
.LBB335_15:                             ;   in Loop: Header=BB335_9 Depth=1
	s_or_b32 exec_lo, exec_lo, s3
	v_add_co_u32 v0, vcc_lo, s18, v20
	v_add_co_ci_u32_e32 v1, vcc_lo, 0, v21, vcc_lo
	v_dual_mov_b32 v4, v6 :: v_dual_mov_b32 v5, v7
	s_delay_alu instid0(VALU_DEP_2)
	v_cmp_gt_u64_e32 vcc_lo, s[6:7], v[0:1]
	s_and_saveexec_b32 s5, vcc_lo
	s_cbranch_execnz .LBB335_20
; %bb.16:                               ;   in Loop: Header=BB335_9 Depth=1
	s_or_b32 exec_lo, exec_lo, s5
	s_and_saveexec_b32 s3, s2
	s_cbranch_execnz .LBB335_21
.LBB335_17:                             ;   in Loop: Header=BB335_9 Depth=1
	s_or_b32 exec_lo, exec_lo, s3
	s_and_saveexec_b32 s2, s1
	s_cbranch_execnz .LBB335_22
.LBB335_18:                             ;   in Loop: Header=BB335_9 Depth=1
	s_or_b32 exec_lo, exec_lo, s2
	s_and_saveexec_b32 s1, s0
	s_cbranch_execnz .LBB335_23
.LBB335_19:                             ;   in Loop: Header=BB335_9 Depth=1
	s_or_b32 exec_lo, exec_lo, s1
	s_and_saveexec_b32 s0, vcc_lo
	s_cbranch_execz .LBB335_8
	s_branch .LBB335_24
.LBB335_20:                             ;   in Loop: Header=BB335_9 Depth=1
	v_add_co_u32 v0, s3, v28, s8
	s_delay_alu instid0(VALU_DEP_1)
	v_add_co_ci_u32_e64 v1, s3, s9, v29, s3
	global_load_b128 v[4:7], v[0:1], off offset:-8
	s_or_b32 exec_lo, exec_lo, s5
	s_and_saveexec_b32 s3, s2
	s_cbranch_execz .LBB335_17
.LBB335_21:                             ;   in Loop: Header=BB335_9 Depth=1
	s_waitcnt vmcnt(0)
	v_max_f64 v[0:1], |v[18:19]|, |v[18:19]|
	v_max_f64 v[38:39], |v[16:17]|, |v[16:17]|
	v_cmp_class_f64_e64 s5, v[16:17], 0x204
	v_cmp_class_f64_e64 s15, v[18:19], 0x204
	s_delay_alu instid0(VALU_DEP_3) | instskip(NEXT) | instid1(VALU_DEP_1)
	v_max_f64 v[0:1], v[38:39], v[0:1]
	v_frexp_exp_i32_f64_e32 v3, v[0:1]
	s_delay_alu instid0(VALU_DEP_1) | instskip(NEXT) | instid1(VALU_DEP_1)
	v_sub_nc_u32_e32 v38, 0, v3
	v_ldexp_f64 v[0:1], |v[18:19]|, v38
	v_ldexp_f64 v[38:39], |v[16:17]|, v38
	s_delay_alu instid0(VALU_DEP_2) | instskip(NEXT) | instid1(VALU_DEP_1)
	v_mul_f64 v[0:1], v[0:1], v[0:1]
	v_fma_f64 v[0:1], v[38:39], v[38:39], v[0:1]
	s_delay_alu instid0(VALU_DEP_1) | instskip(SKIP_4) | instid1(VALU_DEP_1)
	v_rsq_f64_e32 v[38:39], v[0:1]
	v_cmp_eq_f64_e64 s2, 0, v[0:1]
	s_waitcnt_depctr 0xfff
	v_mul_f64 v[40:41], v[0:1], v[38:39]
	v_mul_f64 v[38:39], v[38:39], 0.5
	v_fma_f64 v[42:43], -v[38:39], v[40:41], 0.5
	s_delay_alu instid0(VALU_DEP_1) | instskip(SKIP_1) | instid1(VALU_DEP_2)
	v_fma_f64 v[40:41], v[40:41], v[42:43], v[40:41]
	v_fma_f64 v[38:39], v[38:39], v[42:43], v[38:39]
	v_fma_f64 v[42:43], -v[40:41], v[40:41], v[0:1]
	s_delay_alu instid0(VALU_DEP_1) | instskip(NEXT) | instid1(VALU_DEP_1)
	v_fma_f64 v[38:39], v[42:43], v[38:39], v[40:41]
	v_cndmask_b32_e64 v1, v39, v1, s2
	s_delay_alu instid0(VALU_DEP_2) | instskip(SKIP_1) | instid1(VALU_DEP_2)
	v_cndmask_b32_e64 v0, v38, v0, s2
	v_cmp_o_f64_e64 s2, v[16:17], v[18:19]
	v_ldexp_f64 v[0:1], v[0:1], v3
	v_mov_b32_e32 v3, v2
	s_delay_alu instid0(VALU_DEP_2) | instskip(NEXT) | instid1(VALU_DEP_3)
	v_cndmask_b32_e64 v0, 0, v0, s2
	v_cndmask_b32_e64 v1, 0x7ff80000, v1, s2
	v_add_co_u32 v16, s2, v24, s8
	s_delay_alu instid0(VALU_DEP_1)
	v_add_co_ci_u32_e64 v17, s2, s9, v25, s2
	s_or_b32 s2, s15, s5
	s_delay_alu instid0(VALU_DEP_3) | instid1(SALU_CYCLE_1)
	v_cndmask_b32_e64 v1, v1, 0x7ff00000, s2
	v_cndmask_b32_e64 v0, v0, 0, s2
	global_store_b128 v[16:17], v[0:3], off offset:-8
	s_or_b32 exec_lo, exec_lo, s3
	s_and_saveexec_b32 s2, s1
	s_cbranch_execz .LBB335_18
.LBB335_22:                             ;   in Loop: Header=BB335_9 Depth=1
	s_waitcnt vmcnt(0)
	v_max_f64 v[0:1], |v[10:11]|, |v[10:11]|
	v_max_f64 v[16:17], |v[8:9]|, |v[8:9]|
	v_cmp_class_f64_e64 s3, v[8:9], 0x204
	v_cmp_class_f64_e64 s5, v[10:11], 0x204
	s_delay_alu instid0(VALU_DEP_3) | instskip(NEXT) | instid1(VALU_DEP_1)
	v_max_f64 v[0:1], v[16:17], v[0:1]
	v_frexp_exp_i32_f64_e32 v3, v[0:1]
	s_delay_alu instid0(VALU_DEP_1) | instskip(NEXT) | instid1(VALU_DEP_1)
	v_sub_nc_u32_e32 v16, 0, v3
	v_ldexp_f64 v[0:1], |v[10:11]|, v16
	v_ldexp_f64 v[16:17], |v[8:9]|, v16
	s_delay_alu instid0(VALU_DEP_2) | instskip(NEXT) | instid1(VALU_DEP_1)
	v_mul_f64 v[0:1], v[0:1], v[0:1]
	v_fma_f64 v[0:1], v[16:17], v[16:17], v[0:1]
	s_delay_alu instid0(VALU_DEP_1) | instskip(SKIP_4) | instid1(VALU_DEP_1)
	v_rsq_f64_e32 v[16:17], v[0:1]
	v_cmp_eq_f64_e64 s1, 0, v[0:1]
	s_waitcnt_depctr 0xfff
	v_mul_f64 v[18:19], v[0:1], v[16:17]
	v_mul_f64 v[16:17], v[16:17], 0.5
	v_fma_f64 v[38:39], -v[16:17], v[18:19], 0.5
	s_delay_alu instid0(VALU_DEP_1) | instskip(SKIP_1) | instid1(VALU_DEP_2)
	v_fma_f64 v[18:19], v[18:19], v[38:39], v[18:19]
	v_fma_f64 v[16:17], v[16:17], v[38:39], v[16:17]
	v_fma_f64 v[38:39], -v[18:19], v[18:19], v[0:1]
	s_delay_alu instid0(VALU_DEP_1) | instskip(NEXT) | instid1(VALU_DEP_1)
	v_fma_f64 v[16:17], v[38:39], v[16:17], v[18:19]
	v_cndmask_b32_e64 v1, v17, v1, s1
	s_delay_alu instid0(VALU_DEP_2) | instskip(SKIP_1) | instid1(VALU_DEP_2)
	v_cndmask_b32_e64 v0, v16, v0, s1
	v_cmp_o_f64_e64 s1, v[8:9], v[10:11]
	v_ldexp_f64 v[0:1], v[0:1], v3
	v_mov_b32_e32 v3, v2
	s_delay_alu instid0(VALU_DEP_2) | instskip(NEXT) | instid1(VALU_DEP_3)
	v_cndmask_b32_e64 v0, 0, v0, s1
	v_cndmask_b32_e64 v1, 0x7ff80000, v1, s1
	v_add_co_u32 v8, s1, v26, s8
	s_delay_alu instid0(VALU_DEP_1)
	v_add_co_ci_u32_e64 v9, s1, s9, v27, s1
	s_or_b32 s1, s5, s3
	s_delay_alu instid0(VALU_DEP_3) | instid1(SALU_CYCLE_1)
	v_cndmask_b32_e64 v1, v1, 0x7ff00000, s1
	v_cndmask_b32_e64 v0, v0, 0, s1
	global_store_b128 v[8:9], v[0:3], off
	s_or_b32 exec_lo, exec_lo, s2
	s_and_saveexec_b32 s1, s0
	s_cbranch_execz .LBB335_19
.LBB335_23:                             ;   in Loop: Header=BB335_9 Depth=1
	s_waitcnt vmcnt(0)
	v_max_f64 v[0:1], |v[14:15]|, |v[14:15]|
	v_max_f64 v[8:9], |v[12:13]|, |v[12:13]|
	v_cmp_class_f64_e64 s2, v[12:13], 0x204
	v_cmp_class_f64_e64 s3, v[14:15], 0x204
	s_delay_alu instid0(VALU_DEP_3) | instskip(NEXT) | instid1(VALU_DEP_1)
	v_max_f64 v[0:1], v[8:9], v[0:1]
	v_frexp_exp_i32_f64_e32 v3, v[0:1]
	s_delay_alu instid0(VALU_DEP_1) | instskip(NEXT) | instid1(VALU_DEP_1)
	v_sub_nc_u32_e32 v8, 0, v3
	v_ldexp_f64 v[0:1], |v[14:15]|, v8
	v_ldexp_f64 v[8:9], |v[12:13]|, v8
	s_delay_alu instid0(VALU_DEP_2) | instskip(NEXT) | instid1(VALU_DEP_1)
	v_mul_f64 v[0:1], v[0:1], v[0:1]
	v_fma_f64 v[0:1], v[8:9], v[8:9], v[0:1]
	s_delay_alu instid0(VALU_DEP_1) | instskip(SKIP_4) | instid1(VALU_DEP_1)
	v_rsq_f64_e32 v[8:9], v[0:1]
	v_cmp_eq_f64_e64 s0, 0, v[0:1]
	s_waitcnt_depctr 0xfff
	v_mul_f64 v[10:11], v[0:1], v[8:9]
	v_mul_f64 v[8:9], v[8:9], 0.5
	v_fma_f64 v[16:17], -v[8:9], v[10:11], 0.5
	s_delay_alu instid0(VALU_DEP_1) | instskip(SKIP_1) | instid1(VALU_DEP_2)
	v_fma_f64 v[10:11], v[10:11], v[16:17], v[10:11]
	v_fma_f64 v[8:9], v[8:9], v[16:17], v[8:9]
	v_fma_f64 v[16:17], -v[10:11], v[10:11], v[0:1]
	s_delay_alu instid0(VALU_DEP_1) | instskip(NEXT) | instid1(VALU_DEP_1)
	v_fma_f64 v[8:9], v[16:17], v[8:9], v[10:11]
	v_cndmask_b32_e64 v1, v9, v1, s0
	s_delay_alu instid0(VALU_DEP_2) | instskip(SKIP_1) | instid1(VALU_DEP_2)
	v_cndmask_b32_e64 v0, v8, v0, s0
	v_cmp_o_f64_e64 s0, v[12:13], v[14:15]
	v_ldexp_f64 v[0:1], v[0:1], v3
	v_mov_b32_e32 v3, v2
	s_delay_alu instid0(VALU_DEP_2) | instskip(NEXT) | instid1(VALU_DEP_3)
	v_cndmask_b32_e64 v0, 0, v0, s0
	v_cndmask_b32_e64 v1, 0x7ff80000, v1, s0
	v_add_co_u32 v8, s0, v36, s8
	s_delay_alu instid0(VALU_DEP_1)
	v_add_co_ci_u32_e64 v9, s0, s9, v37, s0
	s_or_b32 s0, s3, s2
	s_delay_alu instid0(VALU_DEP_3) | instid1(SALU_CYCLE_1)
	v_cndmask_b32_e64 v1, v1, 0x7ff00000, s0
	v_cndmask_b32_e64 v0, v0, 0, s0
	global_store_b128 v[8:9], v[0:3], off offset:-8
	s_or_b32 exec_lo, exec_lo, s1
	s_and_saveexec_b32 s0, vcc_lo
	s_cbranch_execz .LBB335_8
.LBB335_24:                             ;   in Loop: Header=BB335_9 Depth=1
	s_waitcnt vmcnt(0)
	v_max_f64 v[0:1], |v[6:7]|, |v[6:7]|
	v_max_f64 v[8:9], |v[4:5]|, |v[4:5]|
	v_cmp_class_f64_e64 s1, v[4:5], 0x204
	v_cmp_class_f64_e64 s2, v[6:7], 0x204
	s_delay_alu instid0(VALU_DEP_3) | instskip(NEXT) | instid1(VALU_DEP_2)
	v_max_f64 v[0:1], v[8:9], v[0:1]
	s_or_b32 s1, s2, s1
	s_delay_alu instid0(VALU_DEP_1) | instskip(NEXT) | instid1(VALU_DEP_1)
	v_frexp_exp_i32_f64_e32 v3, v[0:1]
	v_sub_nc_u32_e32 v8, 0, v3
	s_delay_alu instid0(VALU_DEP_1) | instskip(SKIP_1) | instid1(VALU_DEP_2)
	v_ldexp_f64 v[0:1], |v[6:7]|, v8
	v_ldexp_f64 v[8:9], |v[4:5]|, v8
	v_mul_f64 v[0:1], v[0:1], v[0:1]
	s_delay_alu instid0(VALU_DEP_1) | instskip(NEXT) | instid1(VALU_DEP_1)
	v_fma_f64 v[0:1], v[8:9], v[8:9], v[0:1]
	v_rsq_f64_e32 v[8:9], v[0:1]
	v_cmp_eq_f64_e32 vcc_lo, 0, v[0:1]
	s_waitcnt_depctr 0xfff
	v_mul_f64 v[10:11], v[0:1], v[8:9]
	v_mul_f64 v[8:9], v[8:9], 0.5
	s_delay_alu instid0(VALU_DEP_1) | instskip(NEXT) | instid1(VALU_DEP_1)
	v_fma_f64 v[12:13], -v[8:9], v[10:11], 0.5
	v_fma_f64 v[10:11], v[10:11], v[12:13], v[10:11]
	v_fma_f64 v[8:9], v[8:9], v[12:13], v[8:9]
	s_delay_alu instid0(VALU_DEP_2) | instskip(NEXT) | instid1(VALU_DEP_1)
	v_fma_f64 v[12:13], -v[10:11], v[10:11], v[0:1]
	v_fma_f64 v[8:9], v[12:13], v[8:9], v[10:11]
	s_delay_alu instid0(VALU_DEP_1) | instskip(SKIP_1) | instid1(VALU_DEP_2)
	v_dual_cndmask_b32 v1, v9, v1 :: v_dual_cndmask_b32 v0, v8, v0
	v_cmp_o_f64_e32 vcc_lo, v[4:5], v[6:7]
	v_ldexp_f64 v[0:1], v[0:1], v3
	s_delay_alu instid0(VALU_DEP_1) | instskip(NEXT) | instid1(VALU_DEP_2)
	v_dual_mov_b32 v3, v2 :: v_dual_cndmask_b32 v0, 0, v0
	v_cndmask_b32_e32 v1, 0x7ff80000, v1, vcc_lo
	v_add_co_u32 v4, vcc_lo, v32, s8
	v_add_co_ci_u32_e32 v5, vcc_lo, s9, v33, vcc_lo
	s_delay_alu instid0(VALU_DEP_3)
	v_cndmask_b32_e64 v1, v1, 0x7ff00000, s1
	v_cndmask_b32_e64 v0, v0, 0, s1
	global_store_b128 v[4:5], v[0:3], off offset:-8
	s_branch .LBB335_8
.LBB335_25:
	s_nop 0
	s_sendmsg sendmsg(MSG_DEALLOC_VGPRS)
	s_endpgm
	.section	.rodata,"a",@progbits
	.p2align	6, 0x0
	.amdhsa_kernel _ZN2at6native12_GLOBAL__N_125multi_tensor_apply_kernelINS1_18TensorListMetadataILi2EEENS1_14UnaryOpFunctorIN3c107complexIdEELi2ELi1ELi1EEEJNS0_3AbsIS8_EEEEEvT_T0_DpT1_
		.amdhsa_group_segment_fixed_size 0
		.amdhsa_private_segment_fixed_size 0
		.amdhsa_kernarg_size 3408
		.amdhsa_user_sgpr_count 15
		.amdhsa_user_sgpr_dispatch_ptr 0
		.amdhsa_user_sgpr_queue_ptr 0
		.amdhsa_user_sgpr_kernarg_segment_ptr 1
		.amdhsa_user_sgpr_dispatch_id 0
		.amdhsa_user_sgpr_private_segment_size 0
		.amdhsa_wavefront_size32 1
		.amdhsa_uses_dynamic_stack 0
		.amdhsa_enable_private_segment 0
		.amdhsa_system_sgpr_workgroup_id_x 1
		.amdhsa_system_sgpr_workgroup_id_y 0
		.amdhsa_system_sgpr_workgroup_id_z 0
		.amdhsa_system_sgpr_workgroup_info 0
		.amdhsa_system_vgpr_workitem_id 0
		.amdhsa_next_free_vgpr 57
		.amdhsa_next_free_sgpr 32
		.amdhsa_reserve_vcc 1
		.amdhsa_float_round_mode_32 0
		.amdhsa_float_round_mode_16_64 0
		.amdhsa_float_denorm_mode_32 3
		.amdhsa_float_denorm_mode_16_64 3
		.amdhsa_dx10_clamp 1
		.amdhsa_ieee_mode 1
		.amdhsa_fp16_overflow 0
		.amdhsa_workgroup_processor_mode 1
		.amdhsa_memory_ordered 1
		.amdhsa_forward_progress 0
		.amdhsa_shared_vgpr_count 0
		.amdhsa_exception_fp_ieee_invalid_op 0
		.amdhsa_exception_fp_denorm_src 0
		.amdhsa_exception_fp_ieee_div_zero 0
		.amdhsa_exception_fp_ieee_overflow 0
		.amdhsa_exception_fp_ieee_underflow 0
		.amdhsa_exception_fp_ieee_inexact 0
		.amdhsa_exception_int_div_zero 0
	.end_amdhsa_kernel
	.section	.text._ZN2at6native12_GLOBAL__N_125multi_tensor_apply_kernelINS1_18TensorListMetadataILi2EEENS1_14UnaryOpFunctorIN3c107complexIdEELi2ELi1ELi1EEEJNS0_3AbsIS8_EEEEEvT_T0_DpT1_,"axG",@progbits,_ZN2at6native12_GLOBAL__N_125multi_tensor_apply_kernelINS1_18TensorListMetadataILi2EEENS1_14UnaryOpFunctorIN3c107complexIdEELi2ELi1ELi1EEEJNS0_3AbsIS8_EEEEEvT_T0_DpT1_,comdat
.Lfunc_end335:
	.size	_ZN2at6native12_GLOBAL__N_125multi_tensor_apply_kernelINS1_18TensorListMetadataILi2EEENS1_14UnaryOpFunctorIN3c107complexIdEELi2ELi1ELi1EEEJNS0_3AbsIS8_EEEEEvT_T0_DpT1_, .Lfunc_end335-_ZN2at6native12_GLOBAL__N_125multi_tensor_apply_kernelINS1_18TensorListMetadataILi2EEENS1_14UnaryOpFunctorIN3c107complexIdEELi2ELi1ELi1EEEJNS0_3AbsIS8_EEEEEvT_T0_DpT1_
                                        ; -- End function
	.section	.AMDGPU.csdata,"",@progbits
; Kernel info:
; codeLenInByte = 3520
; NumSgprs: 34
; NumVgprs: 57
; ScratchSize: 0
; MemoryBound: 1
; FloatMode: 240
; IeeeMode: 1
; LDSByteSize: 0 bytes/workgroup (compile time only)
; SGPRBlocks: 4
; VGPRBlocks: 7
; NumSGPRsForWavesPerEU: 34
; NumVGPRsForWavesPerEU: 57
; Occupancy: 16
; WaveLimiterHint : 0
; COMPUTE_PGM_RSRC2:SCRATCH_EN: 0
; COMPUTE_PGM_RSRC2:USER_SGPR: 15
; COMPUTE_PGM_RSRC2:TRAP_HANDLER: 0
; COMPUTE_PGM_RSRC2:TGID_X_EN: 1
; COMPUTE_PGM_RSRC2:TGID_Y_EN: 0
; COMPUTE_PGM_RSRC2:TGID_Z_EN: 0
; COMPUTE_PGM_RSRC2:TIDIG_COMP_CNT: 0
	.section	.text._ZN2at6native12_GLOBAL__N_125multi_tensor_apply_kernelINS1_18TensorListMetadataILi2EEENS1_14UnaryOpFunctorIN3c107complexIfEELi2ELi1ELi1EEEJNS0_3AbsIS8_EEEEEvT_T0_DpT1_,"axG",@progbits,_ZN2at6native12_GLOBAL__N_125multi_tensor_apply_kernelINS1_18TensorListMetadataILi2EEENS1_14UnaryOpFunctorIN3c107complexIfEELi2ELi1ELi1EEEJNS0_3AbsIS8_EEEEEvT_T0_DpT1_,comdat
	.globl	_ZN2at6native12_GLOBAL__N_125multi_tensor_apply_kernelINS1_18TensorListMetadataILi2EEENS1_14UnaryOpFunctorIN3c107complexIfEELi2ELi1ELi1EEEJNS0_3AbsIS8_EEEEEvT_T0_DpT1_ ; -- Begin function _ZN2at6native12_GLOBAL__N_125multi_tensor_apply_kernelINS1_18TensorListMetadataILi2EEENS1_14UnaryOpFunctorIN3c107complexIfEELi2ELi1ELi1EEEJNS0_3AbsIS8_EEEEEvT_T0_DpT1_
	.p2align	8
	.type	_ZN2at6native12_GLOBAL__N_125multi_tensor_apply_kernelINS1_18TensorListMetadataILi2EEENS1_14UnaryOpFunctorIN3c107complexIfEELi2ELi1ELi1EEEJNS0_3AbsIS8_EEEEEvT_T0_DpT1_,@function
_ZN2at6native12_GLOBAL__N_125multi_tensor_apply_kernelINS1_18TensorListMetadataILi2EEENS1_14UnaryOpFunctorIN3c107complexIfEELi2ELi1ELi1EEEJNS0_3AbsIS8_EEEEEvT_T0_DpT1_: ; @_ZN2at6native12_GLOBAL__N_125multi_tensor_apply_kernelINS1_18TensorListMetadataILi2EEENS1_14UnaryOpFunctorIN3c107complexIfEELi2ELi1ELi1EEEJNS0_3AbsIS8_EEEEEvT_T0_DpT1_
; %bb.0:
	v_mov_b32_e32 v1, s15
	s_add_u32 s2, s0, s15
	s_mul_hi_u32 s3, s15, 3
	s_mul_i32 s15, s15, 3
	s_addc_u32 s4, s1, 0
	global_load_u8 v1, v1, s[0:1] offset:1536
	s_add_u32 s2, s2, s15
	s_addc_u32 s3, s4, s3
	s_mov_b32 s19, 0
	s_load_b32 s2, s[2:3], 0x740
	s_mov_b32 s21, s19
	s_mov_b32 s23, s19
	s_waitcnt vmcnt(0)
	v_readfirstlane_b32 s5, v1
	s_delay_alu instid0(VALU_DEP_1)
	s_lshl_b32 s3, s5, 3
	s_clause 0x2
	s_load_b64 s[12:13], s[0:1], s3 offset:0x0
	s_load_b64 s[14:15], s[0:1], s3 offset:0x200
	;; [unrolled: 1-line block ×3, first 2 shown]
	s_waitcnt lgkmcnt(0)
	s_ashr_i32 s3, s2, 31
	s_delay_alu instid0(SALU_CYCLE_1) | instskip(NEXT) | instid1(SALU_CYCLE_1)
	s_lshl_b64 s[6:7], s[2:3], 19
	s_add_u32 s5, s12, s6
	s_addc_u32 s10, s13, s7
	s_add_u32 s11, s14, s6
	s_addc_u32 s16, s15, s7
	s_and_b32 s20, s5, 31
	s_and_b32 s22, s8, 3
	;; [unrolled: 1-line block ×3, first 2 shown]
	s_or_b64 s[20:21], s[20:21], s[22:23]
	s_lshl_b64 s[2:3], s[2:3], 16
	s_or_b64 s[18:19], s[18:19], s[20:21]
	s_sub_u32 s8, s8, s2
	s_subb_u32 s9, s9, s3
	s_cmp_eq_u64 s[18:19], 0
	s_mov_b32 s2, -1
	s_cbranch_scc0 .LBB336_5
; %bb.1:
	v_dual_mov_b32 v2, 0 :: v_dual_lshlrev_b32 v1, 2, v0
	s_mov_b32 s17, exec_lo
	s_delay_alu instid0(VALU_DEP_1)
	v_cmpx_gt_i64_e64 s[8:9], v[1:2]
	s_cbranch_execz .LBB336_4
; %bb.2:
	s_load_b32 s2, s[0:1], 0xc5c
	s_mov_b32 s18, 0
	s_waitcnt lgkmcnt(0)
	s_and_b32 s2, s2, 0xffff
	s_delay_alu instid0(SALU_CYCLE_1) | instskip(SKIP_3) | instid1(VALU_DEP_2)
	v_add_lshl_u32 v1, v0, s2, 2
	v_dual_mov_b32 v6, v2 :: v_dual_lshlrev_b32 v7, 5, v0
	s_lshl_b32 s19, s2, 2
	s_lshl_b32 s20, s2, 5
	v_mov_b32_e32 v5, v1
.LBB336_3:                              ; =>This Inner Loop Header: Depth=1
	s_delay_alu instid0(VALU_DEP_2) | instskip(NEXT) | instid1(VALU_DEP_1)
	v_add_co_u32 v3, s2, s5, v7
	v_add_co_ci_u32_e64 v4, null, s10, 0, s2
	s_delay_alu instid0(VALU_DEP_3)
	v_cmp_le_i64_e32 vcc_lo, s[8:9], v[5:6]
	s_clause 0x1
	global_load_b128 v[8:11], v[3:4], off
	global_load_b128 v[12:15], v[3:4], off offset:16
	s_waitcnt vmcnt(1)
	v_max_f32_e64 v1, |v9|, |v9|
	v_max_f32_e64 v3, |v8|, |v8|
	;; [unrolled: 1-line block ×4, first 2 shown]
	s_waitcnt vmcnt(0)
	v_max_f32_e64 v17, |v13|, |v13|
	v_max_f32_e64 v18, |v12|, |v12|
	;; [unrolled: 1-line block ×4, first 2 shown]
	v_dual_max_f32 v1, v3, v1 :: v_dual_max_f32 v22, v16, v4
	s_delay_alu instid0(VALU_DEP_2) | instskip(NEXT) | instid1(VALU_DEP_2)
	v_dual_max_f32 v23, v18, v17 :: v_dual_max_f32 v24, v20, v19
	v_cvt_f64_f32_e32 v[3:4], v1
	s_delay_alu instid0(VALU_DEP_3) | instskip(NEXT) | instid1(VALU_DEP_3)
	v_cvt_f64_f32_e32 v[16:17], v22
	v_cvt_f64_f32_e32 v[18:19], v23
	v_cmp_neq_f32_e64 s4, 0x7f800000, v1
	v_cvt_f64_f32_e32 v[20:21], v24
	v_frexp_exp_i32_f64_e32 v3, v[3:4]
	v_frexp_exp_i32_f64_e32 v17, v[16:17]
	;; [unrolled: 1-line block ×3, first 2 shown]
	v_add_co_u32 v19, s2, s11, v7
	v_frexp_exp_i32_f64_e32 v21, v[20:21]
	v_add_co_ci_u32_e64 v20, null, s16, 0, s2
	v_cmp_lt_u64_e64 s2, 0xffff, v[5:6]
	v_add_co_u32 v5, s3, v5, s19
	s_delay_alu instid0(VALU_DEP_1) | instskip(SKIP_1) | instid1(VALU_DEP_4)
	v_add_co_ci_u32_e64 v6, s3, 0, v6, s3
	v_cmp_neq_f32_e64 s3, 0x7f800000, v24
	s_or_b32 s21, vcc_lo, s2
	v_cmp_neq_f32_e32 vcc_lo, 0x7f800000, v22
	v_cmp_neq_f32_e64 s2, 0x7f800000, v23
	s_add_u32 s5, s5, s20
	s_addc_u32 s10, s10, 0
	s_add_u32 s11, s11, s20
	s_addc_u32 s16, s16, 0
	v_sub_nc_u32_e32 v26, 0, v3
	v_sub_nc_u32_e32 v27, 0, v17
	;; [unrolled: 1-line block ×4, first 2 shown]
	s_delay_alu instid0(VALU_DEP_4) | instskip(NEXT) | instid1(VALU_DEP_4)
	v_ldexp_f32 v9, |v9|, v26
	v_ldexp_f32 v11, |v11|, v27
	s_delay_alu instid0(VALU_DEP_4)
	v_ldexp_f32 v13, |v13|, v28
	v_mov_b32_e32 v4, v2
	v_ldexp_f32 v15, |v15|, v29
	v_dual_mul_f32 v9, v9, v9 :: v_dual_mov_b32 v16, v2
	v_mul_f32_e32 v11, v11, v11
	v_ldexp_f32 v8, |v8|, v26
	v_ldexp_f32 v10, |v10|, v27
	v_dual_mov_b32 v18, v2 :: v_dual_mul_f32 v13, v13, v13
	v_ldexp_f32 v12, |v12|, v28
	v_ldexp_f32 v14, |v14|, v29
	v_mul_f32_e32 v15, v15, v15
	v_fmac_f32_e32 v9, v8, v8
	v_fmac_f32_e32 v11, v10, v10
	v_fmac_f32_e32 v13, v12, v12
	s_delay_alu instid0(VALU_DEP_4) | instskip(NEXT) | instid1(VALU_DEP_4)
	v_fmac_f32_e32 v15, v14, v14
	v_sqrt_f32_e32 v8, v9
	s_delay_alu instid0(VALU_DEP_3) | instskip(NEXT) | instid1(VALU_DEP_2)
	v_sqrt_f32_e32 v9, v11
	v_sqrt_f32_e32 v10, v13
	s_delay_alu instid0(VALU_DEP_1) | instskip(SKIP_1) | instid1(TRANS32_DEP_3)
	v_sqrt_f32_e32 v11, v15
	v_ldexp_f32 v3, v8, v3
	v_ldexp_f32 v8, v9, v17
	s_waitcnt_depctr 0xfff
	v_ldexp_f32 v9, v10, v25
	v_ldexp_f32 v10, v11, v21
	v_cndmask_b32_e64 v1, 0x7f800000, v3, s4
	v_cndmask_b32_e32 v3, 0x7f800000, v8, vcc_lo
	s_delay_alu instid0(VALU_DEP_4)
	v_cndmask_b32_e64 v15, 0x7f800000, v9, s2
	s_and_b32 s2, exec_lo, s21
	v_cndmask_b32_e64 v17, 0x7f800000, v10, s3
	s_or_b32 s18, s2, s18
	s_clause 0x1
	global_store_b128 v[19:20], v[1:4], off
	global_store_b128 v[19:20], v[15:18], off offset:16
	s_and_not1_b32 exec_lo, exec_lo, s18
	s_cbranch_execnz .LBB336_3
.LBB336_4:
	s_or_b32 exec_lo, exec_lo, s17
	s_mov_b32 s2, 0
.LBB336_5:
	s_delay_alu instid0(SALU_CYCLE_1)
	s_and_not1_b32 vcc_lo, exec_lo, s2
	s_cbranch_vccnz .LBB336_25
; %bb.6:
	v_cmp_lt_i64_e64 s2, s[8:9], 1
	s_delay_alu instid0(VALU_DEP_1)
	s_and_b32 vcc_lo, exec_lo, s2
	s_cbranch_vccnz .LBB336_25
; %bb.7:
	s_load_b32 s0, s[0:1], 0xc5c
	v_dual_mov_b32 v1, 0 :: v_dual_lshlrev_b32 v2, 3, v0
	v_cmp_gt_u64_e64 s1, 0x10000, s[8:9]
	s_mov_b32 s5, 0
	s_delay_alu instid0(VALU_DEP_2) | instskip(NEXT) | instid1(VALU_DEP_3)
	v_mov_b32_e32 v3, v1
	v_add_co_u32 v6, s2, v2, s12
	s_delay_alu instid0(VALU_DEP_1) | instskip(SKIP_1) | instid1(VALU_DEP_3)
	v_add_co_ci_u32_e64 v7, null, 0, s13, s2
	v_add_co_u32 v12, s2, s14, v2
	v_add_co_u32 v14, vcc_lo, v6, 4
	s_delay_alu instid0(VALU_DEP_3)
	v_add_co_ci_u32_e32 v15, vcc_lo, 0, v7, vcc_lo
	v_add_co_ci_u32_e64 v13, null, s15, 0, s2
	s_waitcnt lgkmcnt(0)
	s_and_b32 s16, s0, 0xffff
	s_and_b32 s0, s1, exec_lo
	v_mad_u64_u32 v[4:5], null, s16, 24, v[2:3]
	s_cselect_b32 s11, s9, 0
	s_cselect_b32 s10, s8, 0x10000
	s_lshl_b32 s0, s16, 4
	s_lshl_b32 s4, s16, 2
	v_add_co_u32 v2, s0, s0, v2
	s_delay_alu instid0(VALU_DEP_2) | instskip(NEXT) | instid1(VALU_DEP_3)
	v_add_co_u32 v3, vcc_lo, v4, s12
	v_add_co_ci_u32_e32 v6, vcc_lo, s13, v5, vcc_lo
	s_lshl_b32 s17, s16, 1
	s_delay_alu instid0(VALU_DEP_2) | instskip(NEXT) | instid1(VALU_DEP_2)
	v_add_co_u32 v16, vcc_lo, v3, 4
	v_add_co_ci_u32_e32 v17, vcc_lo, 0, v6, vcc_lo
	v_add_co_u32 v18, vcc_lo, s14, v4
	v_add_co_ci_u32_e64 v3, null, 0, 0, s0
	v_add_co_ci_u32_e32 v19, vcc_lo, s15, v5, vcc_lo
	v_add_lshl_u32 v4, v0, s16, 3
	v_add_co_u32 v5, vcc_lo, v2, s12
	s_delay_alu instid0(VALU_DEP_4) | instskip(NEXT) | instid1(VALU_DEP_3)
	v_add_co_ci_u32_e32 v6, vcc_lo, s13, v3, vcc_lo
	v_add_co_u32 v20, s0, s14, v4
	s_delay_alu instid0(VALU_DEP_3)
	v_add_co_u32 v22, vcc_lo, v5, 4
	v_add_co_ci_u32_e64 v21, null, s15, 0, s0
	v_add_co_u32 v4, s0, v4, s12
	v_add_co_ci_u32_e32 v23, vcc_lo, 0, v6, vcc_lo
	v_add_co_ci_u32_e64 v5, null, 0, s13, s0
	v_add_co_u32 v24, vcc_lo, s14, v2
	v_add_co_ci_u32_e32 v25, vcc_lo, s15, v3, vcc_lo
	v_add_co_u32 v26, vcc_lo, v4, 4
	v_dual_mov_b32 v3, v1 :: v_dual_mov_b32 v2, v0
	v_add_co_ci_u32_e32 v27, vcc_lo, 0, v5, vcc_lo
	s_mul_i32 s18, s16, 3
	s_lshl_b32 s14, s16, 5
	s_mov_b64 s[12:13], s[4:5]
	s_branch .LBB336_9
.LBB336_8:                              ;   in Loop: Header=BB336_9 Depth=1
	s_or_b32 exec_lo, exec_lo, s0
	v_add_co_u32 v2, vcc_lo, v2, s4
	v_add_co_ci_u32_e32 v3, vcc_lo, 0, v3, vcc_lo
	v_add_co_u32 v14, vcc_lo, v14, s14
	v_add_co_ci_u32_e32 v15, vcc_lo, 0, v15, vcc_lo
	v_add_co_u32 v12, vcc_lo, v12, s14
	v_add_co_ci_u32_e32 v13, vcc_lo, 0, v13, vcc_lo
	v_add_co_u32 v16, vcc_lo, v16, s14
	v_add_co_ci_u32_e32 v17, vcc_lo, 0, v17, vcc_lo
	v_add_co_u32 v18, vcc_lo, v18, s14
	v_add_co_ci_u32_e32 v19, vcc_lo, 0, v19, vcc_lo
	v_add_co_u32 v20, vcc_lo, v20, s14
	v_add_co_ci_u32_e32 v21, vcc_lo, 0, v21, vcc_lo
	v_add_co_u32 v22, vcc_lo, v22, s14
	v_add_co_ci_u32_e32 v23, vcc_lo, 0, v23, vcc_lo
	v_cmp_ge_i64_e64 s0, s[12:13], s[8:9]
	v_cmp_lt_u64_e64 s1, 0xffff, s[12:13]
	v_add_co_u32 v24, vcc_lo, v24, s14
	v_add_co_ci_u32_e32 v25, vcc_lo, 0, v25, vcc_lo
	v_add_co_u32 v26, vcc_lo, v26, s14
	v_add_co_ci_u32_e32 v27, vcc_lo, 0, v27, vcc_lo
	s_or_b32 s0, s0, s1
	s_add_u32 s12, s12, s4
	s_addc_u32 s13, s13, 0
	s_and_b32 vcc_lo, exec_lo, s0
	s_cbranch_vccnz .LBB336_25
.LBB336_9:                              ; =>This Inner Loop Header: Depth=1
	v_cmp_gt_u64_e64 s2, s[10:11], v[2:3]
	s_waitcnt vmcnt(0)
	v_dual_mov_b32 v11, 0 :: v_dual_mov_b32 v10, 0
	s_delay_alu instid0(VALU_DEP_2)
	s_and_saveexec_b32 s0, s2
	s_cbranch_execz .LBB336_11
; %bb.10:                               ;   in Loop: Header=BB336_9 Depth=1
	v_add_co_u32 v4, vcc_lo, v14, s6
	v_add_co_ci_u32_e32 v5, vcc_lo, s7, v15, vcc_lo
	global_load_b64 v[10:11], v[4:5], off offset:-4
.LBB336_11:                             ;   in Loop: Header=BB336_9 Depth=1
	s_or_b32 exec_lo, exec_lo, s0
	v_add_co_u32 v6, vcc_lo, s16, v2
	v_add_co_ci_u32_e32 v7, vcc_lo, 0, v3, vcc_lo
	v_dual_mov_b32 v5, 0 :: v_dual_mov_b32 v8, 0
	v_mov_b32_e32 v9, 0
	s_delay_alu instid0(VALU_DEP_3) | instskip(NEXT) | instid1(VALU_DEP_1)
	v_cmp_gt_u64_e64 s1, s[10:11], v[6:7]
	s_and_saveexec_b32 s0, s1
	s_cbranch_execz .LBB336_13
; %bb.12:                               ;   in Loop: Header=BB336_9 Depth=1
	v_add_co_u32 v6, vcc_lo, v26, s6
	v_add_co_ci_u32_e32 v7, vcc_lo, s7, v27, vcc_lo
	global_load_b64 v[8:9], v[6:7], off offset:-4
.LBB336_13:                             ;   in Loop: Header=BB336_9 Depth=1
	s_or_b32 exec_lo, exec_lo, s0
	v_add_co_u32 v6, vcc_lo, s17, v2
	v_add_co_ci_u32_e32 v7, vcc_lo, 0, v3, vcc_lo
	v_mov_b32_e32 v4, 0
	s_delay_alu instid0(VALU_DEP_2) | instskip(NEXT) | instid1(VALU_DEP_1)
	v_cmp_gt_u64_e64 s0, s[10:11], v[6:7]
	s_and_saveexec_b32 s3, s0
	s_cbranch_execz .LBB336_15
; %bb.14:                               ;   in Loop: Header=BB336_9 Depth=1
	v_add_co_u32 v4, vcc_lo, v22, s6
	v_add_co_ci_u32_e32 v5, vcc_lo, s7, v23, vcc_lo
	global_load_b64 v[4:5], v[4:5], off offset:-4
.LBB336_15:                             ;   in Loop: Header=BB336_9 Depth=1
	s_or_b32 exec_lo, exec_lo, s3
	v_add_co_u32 v6, vcc_lo, s18, v2
	v_add_co_ci_u32_e32 v7, vcc_lo, 0, v3, vcc_lo
	s_delay_alu instid0(VALU_DEP_1)
	v_cmp_gt_u64_e32 vcc_lo, s[10:11], v[6:7]
	v_dual_mov_b32 v7, 0 :: v_dual_mov_b32 v6, 0
	s_and_saveexec_b32 s5, vcc_lo
	s_cbranch_execnz .LBB336_20
; %bb.16:                               ;   in Loop: Header=BB336_9 Depth=1
	s_or_b32 exec_lo, exec_lo, s5
	s_and_saveexec_b32 s3, s2
	s_cbranch_execnz .LBB336_21
.LBB336_17:                             ;   in Loop: Header=BB336_9 Depth=1
	s_or_b32 exec_lo, exec_lo, s3
	s_and_saveexec_b32 s2, s1
	s_cbranch_execnz .LBB336_22
.LBB336_18:                             ;   in Loop: Header=BB336_9 Depth=1
	s_or_b32 exec_lo, exec_lo, s2
	s_and_saveexec_b32 s1, s0
	s_cbranch_execnz .LBB336_23
.LBB336_19:                             ;   in Loop: Header=BB336_9 Depth=1
	s_or_b32 exec_lo, exec_lo, s1
	s_and_saveexec_b32 s0, vcc_lo
	s_cbranch_execz .LBB336_8
	s_branch .LBB336_24
.LBB336_20:                             ;   in Loop: Header=BB336_9 Depth=1
	v_add_co_u32 v6, s3, v16, s6
	s_delay_alu instid0(VALU_DEP_1)
	v_add_co_ci_u32_e64 v7, s3, s7, v17, s3
	global_load_b64 v[6:7], v[6:7], off offset:-4
	s_or_b32 exec_lo, exec_lo, s5
	s_and_saveexec_b32 s3, s2
	s_cbranch_execz .LBB336_17
.LBB336_21:                             ;   in Loop: Header=BB336_9 Depth=1
	s_waitcnt vmcnt(0)
	v_max_f32_e64 v0, |v11|, |v11|
	v_max_f32_e64 v28, |v10|, |v10|
	s_delay_alu instid0(VALU_DEP_1) | instskip(NEXT) | instid1(VALU_DEP_1)
	v_max_f32_e32 v0, v28, v0
	v_cvt_f64_f32_e32 v[28:29], v0
	s_delay_alu instid0(VALU_DEP_1) | instskip(NEXT) | instid1(VALU_DEP_1)
	v_frexp_exp_i32_f64_e32 v28, v[28:29]
	v_sub_nc_u32_e32 v29, 0, v28
	s_delay_alu instid0(VALU_DEP_1) | instskip(SKIP_1) | instid1(VALU_DEP_2)
	v_ldexp_f32 v11, |v11|, v29
	v_ldexp_f32 v10, |v10|, v29
	v_mul_f32_e32 v11, v11, v11
	v_cmp_neq_f32_e64 s2, 0x7f800000, v0
	s_delay_alu instid0(VALU_DEP_2) | instskip(NEXT) | instid1(VALU_DEP_1)
	v_fmac_f32_e32 v11, v10, v10
	v_sqrt_f32_e32 v10, v11
	s_waitcnt_depctr 0xfff
	v_ldexp_f32 v10, v10, v28
	s_delay_alu instid0(VALU_DEP_1) | instskip(SKIP_1) | instid1(VALU_DEP_1)
	v_cndmask_b32_e64 v0, 0x7f800000, v10, s2
	v_add_co_u32 v10, s2, v12, s6
	v_add_co_ci_u32_e64 v11, s2, s7, v13, s2
	global_store_b64 v[10:11], v[0:1], off
	s_or_b32 exec_lo, exec_lo, s3
	s_and_saveexec_b32 s2, s1
	s_cbranch_execz .LBB336_18
.LBB336_22:                             ;   in Loop: Header=BB336_9 Depth=1
	s_waitcnt vmcnt(0)
	v_max_f32_e64 v0, |v9|, |v9|
	v_max_f32_e64 v10, |v8|, |v8|
	s_delay_alu instid0(VALU_DEP_1) | instskip(NEXT) | instid1(VALU_DEP_1)
	v_max_f32_e32 v0, v10, v0
	v_cvt_f64_f32_e32 v[10:11], v0
	s_delay_alu instid0(VALU_DEP_1) | instskip(NEXT) | instid1(VALU_DEP_1)
	v_frexp_exp_i32_f64_e32 v10, v[10:11]
	v_sub_nc_u32_e32 v11, 0, v10
	s_delay_alu instid0(VALU_DEP_1) | instskip(SKIP_1) | instid1(VALU_DEP_2)
	v_ldexp_f32 v9, |v9|, v11
	v_ldexp_f32 v8, |v8|, v11
	v_mul_f32_e32 v9, v9, v9
	v_cmp_neq_f32_e64 s1, 0x7f800000, v0
	s_delay_alu instid0(VALU_DEP_2) | instskip(NEXT) | instid1(VALU_DEP_1)
	v_fmac_f32_e32 v9, v8, v8
	v_sqrt_f32_e32 v8, v9
	s_waitcnt_depctr 0xfff
	v_ldexp_f32 v8, v8, v10
	s_delay_alu instid0(VALU_DEP_1) | instskip(SKIP_1) | instid1(VALU_DEP_1)
	v_cndmask_b32_e64 v0, 0x7f800000, v8, s1
	v_add_co_u32 v8, s1, v20, s6
	v_add_co_ci_u32_e64 v9, s1, s7, v21, s1
	global_store_b64 v[8:9], v[0:1], off
	s_or_b32 exec_lo, exec_lo, s2
	s_and_saveexec_b32 s1, s0
	s_cbranch_execz .LBB336_19
.LBB336_23:                             ;   in Loop: Header=BB336_9 Depth=1
	s_waitcnt vmcnt(0)
	v_max_f32_e64 v0, |v5|, |v5|
	v_max_f32_e64 v8, |v4|, |v4|
	s_delay_alu instid0(VALU_DEP_1) | instskip(NEXT) | instid1(VALU_DEP_1)
	v_max_f32_e32 v0, v8, v0
	v_cvt_f64_f32_e32 v[8:9], v0
	s_delay_alu instid0(VALU_DEP_1) | instskip(NEXT) | instid1(VALU_DEP_1)
	v_frexp_exp_i32_f64_e32 v8, v[8:9]
	v_sub_nc_u32_e32 v9, 0, v8
	s_delay_alu instid0(VALU_DEP_1) | instskip(SKIP_1) | instid1(VALU_DEP_2)
	v_ldexp_f32 v5, |v5|, v9
	v_ldexp_f32 v4, |v4|, v9
	v_mul_f32_e32 v5, v5, v5
	v_cmp_neq_f32_e64 s0, 0x7f800000, v0
	s_delay_alu instid0(VALU_DEP_2) | instskip(NEXT) | instid1(VALU_DEP_1)
	v_fmac_f32_e32 v5, v4, v4
	v_sqrt_f32_e32 v4, v5
	s_waitcnt_depctr 0xfff
	v_ldexp_f32 v4, v4, v8
	s_delay_alu instid0(VALU_DEP_1) | instskip(SKIP_1) | instid1(VALU_DEP_1)
	v_cndmask_b32_e64 v0, 0x7f800000, v4, s0
	v_add_co_u32 v4, s0, v24, s6
	v_add_co_ci_u32_e64 v5, s0, s7, v25, s0
	global_store_b64 v[4:5], v[0:1], off
	s_or_b32 exec_lo, exec_lo, s1
	s_and_saveexec_b32 s0, vcc_lo
	s_cbranch_execz .LBB336_8
.LBB336_24:                             ;   in Loop: Header=BB336_9 Depth=1
	s_waitcnt vmcnt(0)
	v_max_f32_e64 v0, |v7|, |v7|
	v_max_f32_e64 v4, |v6|, |v6|
	s_delay_alu instid0(VALU_DEP_1) | instskip(NEXT) | instid1(VALU_DEP_1)
	v_max_f32_e32 v0, v4, v0
	v_cvt_f64_f32_e32 v[4:5], v0
	v_cmp_neq_f32_e32 vcc_lo, 0x7f800000, v0
	s_delay_alu instid0(VALU_DEP_2) | instskip(NEXT) | instid1(VALU_DEP_1)
	v_frexp_exp_i32_f64_e32 v4, v[4:5]
	v_sub_nc_u32_e32 v5, 0, v4
	s_delay_alu instid0(VALU_DEP_1) | instskip(SKIP_1) | instid1(VALU_DEP_2)
	v_ldexp_f32 v7, |v7|, v5
	v_ldexp_f32 v5, |v6|, v5
	v_mul_f32_e32 v6, v7, v7
	s_delay_alu instid0(VALU_DEP_1) | instskip(NEXT) | instid1(VALU_DEP_1)
	v_fmac_f32_e32 v6, v5, v5
	v_sqrt_f32_e32 v5, v6
	s_waitcnt_depctr 0xfff
	v_ldexp_f32 v4, v5, v4
	s_delay_alu instid0(VALU_DEP_1)
	v_cndmask_b32_e32 v0, 0x7f800000, v4, vcc_lo
	v_add_co_u32 v4, vcc_lo, v18, s6
	v_add_co_ci_u32_e32 v5, vcc_lo, s7, v19, vcc_lo
	global_store_b64 v[4:5], v[0:1], off
	s_branch .LBB336_8
.LBB336_25:
	s_nop 0
	s_sendmsg sendmsg(MSG_DEALLOC_VGPRS)
	s_endpgm
	.section	.rodata,"a",@progbits
	.p2align	6, 0x0
	.amdhsa_kernel _ZN2at6native12_GLOBAL__N_125multi_tensor_apply_kernelINS1_18TensorListMetadataILi2EEENS1_14UnaryOpFunctorIN3c107complexIfEELi2ELi1ELi1EEEJNS0_3AbsIS8_EEEEEvT_T0_DpT1_
		.amdhsa_group_segment_fixed_size 0
		.amdhsa_private_segment_fixed_size 0
		.amdhsa_kernarg_size 3408
		.amdhsa_user_sgpr_count 15
		.amdhsa_user_sgpr_dispatch_ptr 0
		.amdhsa_user_sgpr_queue_ptr 0
		.amdhsa_user_sgpr_kernarg_segment_ptr 1
		.amdhsa_user_sgpr_dispatch_id 0
		.amdhsa_user_sgpr_private_segment_size 0
		.amdhsa_wavefront_size32 1
		.amdhsa_uses_dynamic_stack 0
		.amdhsa_enable_private_segment 0
		.amdhsa_system_sgpr_workgroup_id_x 1
		.amdhsa_system_sgpr_workgroup_id_y 0
		.amdhsa_system_sgpr_workgroup_id_z 0
		.amdhsa_system_sgpr_workgroup_info 0
		.amdhsa_system_vgpr_workitem_id 0
		.amdhsa_next_free_vgpr 30
		.amdhsa_next_free_sgpr 24
		.amdhsa_reserve_vcc 1
		.amdhsa_float_round_mode_32 0
		.amdhsa_float_round_mode_16_64 0
		.amdhsa_float_denorm_mode_32 3
		.amdhsa_float_denorm_mode_16_64 3
		.amdhsa_dx10_clamp 1
		.amdhsa_ieee_mode 1
		.amdhsa_fp16_overflow 0
		.amdhsa_workgroup_processor_mode 1
		.amdhsa_memory_ordered 1
		.amdhsa_forward_progress 0
		.amdhsa_shared_vgpr_count 0
		.amdhsa_exception_fp_ieee_invalid_op 0
		.amdhsa_exception_fp_denorm_src 0
		.amdhsa_exception_fp_ieee_div_zero 0
		.amdhsa_exception_fp_ieee_overflow 0
		.amdhsa_exception_fp_ieee_underflow 0
		.amdhsa_exception_fp_ieee_inexact 0
		.amdhsa_exception_int_div_zero 0
	.end_amdhsa_kernel
	.section	.text._ZN2at6native12_GLOBAL__N_125multi_tensor_apply_kernelINS1_18TensorListMetadataILi2EEENS1_14UnaryOpFunctorIN3c107complexIfEELi2ELi1ELi1EEEJNS0_3AbsIS8_EEEEEvT_T0_DpT1_,"axG",@progbits,_ZN2at6native12_GLOBAL__N_125multi_tensor_apply_kernelINS1_18TensorListMetadataILi2EEENS1_14UnaryOpFunctorIN3c107complexIfEELi2ELi1ELi1EEEJNS0_3AbsIS8_EEEEEvT_T0_DpT1_,comdat
.Lfunc_end336:
	.size	_ZN2at6native12_GLOBAL__N_125multi_tensor_apply_kernelINS1_18TensorListMetadataILi2EEENS1_14UnaryOpFunctorIN3c107complexIfEELi2ELi1ELi1EEEJNS0_3AbsIS8_EEEEEvT_T0_DpT1_, .Lfunc_end336-_ZN2at6native12_GLOBAL__N_125multi_tensor_apply_kernelINS1_18TensorListMetadataILi2EEENS1_14UnaryOpFunctorIN3c107complexIfEELi2ELi1ELi1EEEJNS0_3AbsIS8_EEEEEvT_T0_DpT1_
                                        ; -- End function
	.section	.AMDGPU.csdata,"",@progbits
; Kernel info:
; codeLenInByte = 2268
; NumSgprs: 26
; NumVgprs: 30
; ScratchSize: 0
; MemoryBound: 0
; FloatMode: 240
; IeeeMode: 1
; LDSByteSize: 0 bytes/workgroup (compile time only)
; SGPRBlocks: 3
; VGPRBlocks: 3
; NumSGPRsForWavesPerEU: 26
; NumVGPRsForWavesPerEU: 30
; Occupancy: 16
; WaveLimiterHint : 0
; COMPUTE_PGM_RSRC2:SCRATCH_EN: 0
; COMPUTE_PGM_RSRC2:USER_SGPR: 15
; COMPUTE_PGM_RSRC2:TRAP_HANDLER: 0
; COMPUTE_PGM_RSRC2:TGID_X_EN: 1
; COMPUTE_PGM_RSRC2:TGID_Y_EN: 0
; COMPUTE_PGM_RSRC2:TGID_Z_EN: 0
; COMPUTE_PGM_RSRC2:TIDIG_COMP_CNT: 0
	.section	.text._ZN2at6native12_GLOBAL__N_125multi_tensor_apply_kernelINS1_18TensorListMetadataILi2EEENS1_14UnaryOpFunctorIN3c104HalfELi2ELi1ELi1EEEJNS0_3AbsIfEEEEEvT_T0_DpT1_,"axG",@progbits,_ZN2at6native12_GLOBAL__N_125multi_tensor_apply_kernelINS1_18TensorListMetadataILi2EEENS1_14UnaryOpFunctorIN3c104HalfELi2ELi1ELi1EEEJNS0_3AbsIfEEEEEvT_T0_DpT1_,comdat
	.globl	_ZN2at6native12_GLOBAL__N_125multi_tensor_apply_kernelINS1_18TensorListMetadataILi2EEENS1_14UnaryOpFunctorIN3c104HalfELi2ELi1ELi1EEEJNS0_3AbsIfEEEEEvT_T0_DpT1_ ; -- Begin function _ZN2at6native12_GLOBAL__N_125multi_tensor_apply_kernelINS1_18TensorListMetadataILi2EEENS1_14UnaryOpFunctorIN3c104HalfELi2ELi1ELi1EEEJNS0_3AbsIfEEEEEvT_T0_DpT1_
	.p2align	8
	.type	_ZN2at6native12_GLOBAL__N_125multi_tensor_apply_kernelINS1_18TensorListMetadataILi2EEENS1_14UnaryOpFunctorIN3c104HalfELi2ELi1ELi1EEEJNS0_3AbsIfEEEEEvT_T0_DpT1_,@function
_ZN2at6native12_GLOBAL__N_125multi_tensor_apply_kernelINS1_18TensorListMetadataILi2EEENS1_14UnaryOpFunctorIN3c104HalfELi2ELi1ELi1EEEJNS0_3AbsIfEEEEEvT_T0_DpT1_: ; @_ZN2at6native12_GLOBAL__N_125multi_tensor_apply_kernelINS1_18TensorListMetadataILi2EEENS1_14UnaryOpFunctorIN3c104HalfELi2ELi1ELi1EEEJNS0_3AbsIfEEEEEvT_T0_DpT1_
; %bb.0:
	v_mov_b32_e32 v1, s15
	s_add_u32 s2, s0, s15
	s_mul_hi_u32 s3, s15, 3
	s_mul_i32 s15, s15, 3
	s_addc_u32 s4, s1, 0
	global_load_u8 v1, v1, s[0:1] offset:1536
	s_add_u32 s2, s2, s15
	s_addc_u32 s3, s4, s3
	s_mov_b32 s9, 0
	s_load_b32 s2, s[2:3], 0x740
	s_mov_b32 s17, s9
	s_mov_b32 s15, s9
	s_waitcnt vmcnt(0)
	v_readfirstlane_b32 s5, v1
	s_delay_alu instid0(VALU_DEP_1)
	s_lshl_b32 s3, s5, 3
	s_clause 0x2
	s_load_b64 s[10:11], s[0:1], s3 offset:0x0
	s_load_b64 s[12:13], s[0:1], s3 offset:0x200
	;; [unrolled: 1-line block ×3, first 2 shown]
	s_waitcnt lgkmcnt(0)
	s_ashr_i32 s3, s2, 31
	s_delay_alu instid0(SALU_CYCLE_1) | instskip(SKIP_4) | instid1(SALU_CYCLE_1)
	s_lshl_b64 s[4:5], s[2:3], 17
	s_lshl_b64 s[2:3], s[2:3], 16
	s_and_b32 s8, s10, 7
	s_and_b32 s14, s12, 7
	;; [unrolled: 1-line block ×3, first 2 shown]
	s_or_b64 s[8:9], s[8:9], s[16:17]
	s_delay_alu instid0(SALU_CYCLE_1)
	s_or_b64 s[8:9], s[14:15], s[8:9]
	s_sub_u32 s6, s6, s2
	s_subb_u32 s7, s7, s3
	s_cmp_eq_u64 s[8:9], 0
	s_mov_b32 s2, -1
	s_cbranch_scc0 .LBB337_5
; %bb.1:
	v_dual_mov_b32 v2, 0 :: v_dual_lshlrev_b32 v1, 2, v0
	s_mov_b32 s8, exec_lo
	s_delay_alu instid0(VALU_DEP_1)
	v_cmpx_gt_i64_e64 s[6:7], v[1:2]
	s_cbranch_execz .LBB337_4
; %bb.2:
	s_load_b32 s2, s[0:1], 0xc5c
	v_lshlrev_b32_e32 v1, 3, v0
	s_mov_b32 s9, 0
	s_delay_alu instid0(VALU_DEP_1) | instskip(NEXT) | instid1(VALU_DEP_1)
	v_add_co_u32 v3, s3, s4, v1
	v_add_co_ci_u32_e64 v4, null, s5, 0, s3
	s_delay_alu instid0(VALU_DEP_2) | instskip(NEXT) | instid1(VALU_DEP_2)
	v_add_co_u32 v3, vcc_lo, v3, 4
	v_add_co_ci_u32_e32 v4, vcc_lo, 0, v4, vcc_lo
	s_waitcnt lgkmcnt(0)
	s_and_b32 s2, s2, 0xffff
	s_delay_alu instid0(SALU_CYCLE_1)
	v_add_lshl_u32 v1, v0, s2, 2
	s_lshl_b32 s14, s2, 2
	s_lshl_b32 s15, s2, 3
	.p2align	6
.LBB337_3:                              ; =>This Inner Loop Header: Depth=1
	v_add_co_u32 v5, vcc_lo, s10, v3
	v_add_co_ci_u32_e32 v6, vcc_lo, s11, v4, vcc_lo
	v_add_co_u32 v7, vcc_lo, s12, v3
	v_add_co_ci_u32_e32 v8, vcc_lo, s13, v4, vcc_lo
	global_load_b64 v[5:6], v[5:6], off offset:-4
	v_cmp_le_i64_e32 vcc_lo, s[6:7], v[1:2]
	v_cmp_lt_u64_e64 s2, 0xffff, v[1:2]
	v_add_co_u32 v1, s3, v1, s14
	s_delay_alu instid0(VALU_DEP_1) | instskip(SKIP_1) | instid1(VALU_DEP_4)
	v_add_co_ci_u32_e64 v2, s3, 0, v2, s3
	v_add_co_u32 v3, s3, v3, s15
	s_or_b32 s2, vcc_lo, s2
	v_add_co_ci_u32_e64 v4, s3, 0, v4, s3
	s_and_b32 s2, exec_lo, s2
	s_delay_alu instid0(SALU_CYCLE_1)
	s_or_b32 s9, s2, s9
	s_waitcnt vmcnt(0)
	v_and_b32_e32 v5, 0x7fff7fff, v5
	v_and_b32_e32 v6, 0x7fff7fff, v6
	global_store_b64 v[7:8], v[5:6], off offset:-4
	s_and_not1_b32 exec_lo, exec_lo, s9
	s_cbranch_execnz .LBB337_3
.LBB337_4:
	s_or_b32 exec_lo, exec_lo, s8
	s_mov_b32 s2, 0
.LBB337_5:
	s_delay_alu instid0(SALU_CYCLE_1)
	s_and_not1_b32 vcc_lo, exec_lo, s2
	s_cbranch_vccnz .LBB337_25
; %bb.6:
	v_cmp_lt_i64_e64 s2, s[6:7], 1
	s_delay_alu instid0(VALU_DEP_1)
	s_and_b32 vcc_lo, exec_lo, s2
	s_cbranch_vccnz .LBB337_25
; %bb.7:
	s_load_b32 s0, s[0:1], 0xc5c
	v_dual_mov_b32 v10, 0 :: v_dual_lshlrev_b32 v9, 1, v0
	v_cmp_gt_u64_e64 s1, 0x10000, s[6:7]
	s_delay_alu instid0(VALU_DEP_2) | instskip(NEXT) | instid1(VALU_DEP_1)
	v_add_co_u32 v1, s2, s10, v9
	v_add_co_ci_u32_e64 v2, null, s11, 0, s2
	v_add_co_u32 v3, s2, s12, v9
	s_delay_alu instid0(VALU_DEP_1)
	v_add_co_ci_u32_e64 v4, null, s13, 0, s2
	s_waitcnt lgkmcnt(0)
	s_and_b32 s0, s0, 0xffff
	s_and_b32 s1, s1, exec_lo
	v_mad_u64_u32 v[7:8], null, s0, 6, v[9:10]
	s_cselect_b32 s9, s7, 0
	s_cselect_b32 s8, s6, 0x10000
	s_mul_i32 s2, s0, 3
	s_lshl_b32 s14, s0, 2
	s_lshl_b32 s1, s0, 1
	v_add_co_u32 v14, s3, s14, v9
	v_add_co_u32 v9, s2, s2, v0
	s_delay_alu instid0(VALU_DEP_1) | instskip(SKIP_3) | instid1(VALU_DEP_3)
	v_add_co_ci_u32_e64 v10, null, 0, 0, s2
	v_add_co_u32 v13, s2, v0, s0
	v_add_co_u32 v5, vcc_lo, s10, v7
	v_add_co_ci_u32_e32 v6, vcc_lo, s11, v8, vcc_lo
	v_lshlrev_b32_e32 v21, 1, v13
	v_add_co_u32 v7, vcc_lo, s12, v7
	v_add_co_ci_u32_e64 v15, null, 0, 0, s3
	v_add_co_ci_u32_e32 v8, vcc_lo, s13, v8, vcc_lo
	v_add_co_u32 v17, s1, s1, v0
	v_add_co_u32 v11, vcc_lo, s10, v14
	v_add_co_ci_u32_e64 v18, null, 0, 0, s1
	v_add_co_u32 v19, s1, s10, v21
	v_add_co_ci_u32_e32 v12, vcc_lo, s11, v15, vcc_lo
	v_add_co_u32 v14, vcc_lo, s12, v14
	v_add_co_ci_u32_e64 v20, null, s11, 0, s1
	v_add_co_u32 v21, s1, s12, v21
	v_add_co_ci_u32_e32 v15, vcc_lo, s13, v15, vcc_lo
	v_add_co_ci_u32_e64 v16, null, 0, 0, s2
	v_add_co_ci_u32_e64 v22, null, s13, 0, s1
	s_lshl_b32 s12, s0, 3
	s_mov_b64 s[10:11], 0
	s_branch .LBB337_9
.LBB337_8:                              ;   in Loop: Header=BB337_9 Depth=1
	s_or_b32 exec_lo, exec_lo, s0
	v_add_co_u32 v1, vcc_lo, v1, s12
	v_add_co_ci_u32_e32 v2, vcc_lo, 0, v2, vcc_lo
	v_add_co_u32 v3, vcc_lo, v3, s12
	v_add_co_ci_u32_e32 v4, vcc_lo, 0, v4, vcc_lo
	;; [unrolled: 2-line block ×5, first 2 shown]
	s_add_u32 s10, s10, s14
	v_add_co_u32 v14, vcc_lo, v14, s12
	s_addc_u32 s11, s11, 0
	v_add_co_ci_u32_e32 v15, vcc_lo, 0, v15, vcc_lo
	v_cmp_ge_i64_e64 s0, s[10:11], s[6:7]
	v_cmp_lt_u64_e64 s1, 0xffff, s[10:11]
	v_add_co_u32 v19, vcc_lo, v19, s12
	v_add_co_ci_u32_e32 v20, vcc_lo, 0, v20, vcc_lo
	v_add_co_u32 v21, vcc_lo, v21, s12
	v_add_co_ci_u32_e32 v22, vcc_lo, 0, v22, vcc_lo
	s_or_b32 s0, s0, s1
	s_delay_alu instid0(SALU_CYCLE_1)
	s_and_b32 vcc_lo, exec_lo, s0
	s_cbranch_vccnz .LBB337_25
.LBB337_9:                              ; =>This Inner Loop Header: Depth=1
	s_waitcnt vmcnt(0)
	v_add_co_u32 v23, s0, v0, s10
	s_delay_alu instid0(VALU_DEP_1) | instskip(NEXT) | instid1(VALU_DEP_1)
	v_add_co_ci_u32_e64 v24, null, 0, s11, s0
	v_cmp_gt_u64_e32 vcc_lo, s[8:9], v[23:24]
	v_mov_b32_e32 v23, 0
	s_and_saveexec_b32 s1, vcc_lo
	s_cbranch_execz .LBB337_11
; %bb.10:                               ;   in Loop: Header=BB337_9 Depth=1
	v_add_co_u32 v23, s0, v1, s4
	s_delay_alu instid0(VALU_DEP_1)
	v_add_co_ci_u32_e64 v24, s0, s5, v2, s0
	global_load_u16 v23, v[23:24], off
.LBB337_11:                             ;   in Loop: Header=BB337_9 Depth=1
	s_or_b32 exec_lo, exec_lo, s1
	v_add_co_u32 v24, s0, v13, s10
	s_delay_alu instid0(VALU_DEP_1) | instskip(NEXT) | instid1(VALU_DEP_1)
	v_add_co_ci_u32_e64 v25, s0, s11, v16, s0
	v_cmp_gt_u64_e64 s0, s[8:9], v[24:25]
	v_mov_b32_e32 v25, 0
	s_delay_alu instid0(VALU_DEP_2)
	s_and_saveexec_b32 s2, s0
	s_cbranch_execz .LBB337_13
; %bb.12:                               ;   in Loop: Header=BB337_9 Depth=1
	v_add_co_u32 v24, s1, v19, s4
	s_delay_alu instid0(VALU_DEP_1)
	v_add_co_ci_u32_e64 v25, s1, s5, v20, s1
	global_load_u16 v25, v[24:25], off
.LBB337_13:                             ;   in Loop: Header=BB337_9 Depth=1
	s_or_b32 exec_lo, exec_lo, s2
	v_add_co_u32 v26, s1, v17, s10
	s_delay_alu instid0(VALU_DEP_1) | instskip(SKIP_1) | instid1(VALU_DEP_2)
	v_add_co_ci_u32_e64 v27, s1, s11, v18, s1
	v_mov_b32_e32 v24, 0
	v_cmp_gt_u64_e64 s1, s[8:9], v[26:27]
	v_mov_b32_e32 v26, 0
	s_delay_alu instid0(VALU_DEP_2)
	s_and_saveexec_b32 s3, s1
	s_cbranch_execz .LBB337_15
; %bb.14:                               ;   in Loop: Header=BB337_9 Depth=1
	v_add_co_u32 v26, s2, v11, s4
	s_delay_alu instid0(VALU_DEP_1)
	v_add_co_ci_u32_e64 v27, s2, s5, v12, s2
	global_load_u16 v26, v[26:27], off
.LBB337_15:                             ;   in Loop: Header=BB337_9 Depth=1
	s_or_b32 exec_lo, exec_lo, s3
	v_add_co_u32 v27, s2, v9, s10
	s_delay_alu instid0(VALU_DEP_1) | instskip(NEXT) | instid1(VALU_DEP_1)
	v_add_co_ci_u32_e64 v28, s2, s11, v10, s2
	v_cmp_gt_u64_e64 s2, s[8:9], v[27:28]
	s_delay_alu instid0(VALU_DEP_1)
	s_and_saveexec_b32 s13, s2
	s_cbranch_execnz .LBB337_20
; %bb.16:                               ;   in Loop: Header=BB337_9 Depth=1
	s_or_b32 exec_lo, exec_lo, s13
	s_and_saveexec_b32 s3, vcc_lo
	s_cbranch_execnz .LBB337_21
.LBB337_17:                             ;   in Loop: Header=BB337_9 Depth=1
	s_or_b32 exec_lo, exec_lo, s3
	s_and_saveexec_b32 s3, s0
	s_cbranch_execnz .LBB337_22
.LBB337_18:                             ;   in Loop: Header=BB337_9 Depth=1
	s_or_b32 exec_lo, exec_lo, s3
	s_and_saveexec_b32 s0, s1
	s_cbranch_execnz .LBB337_23
.LBB337_19:                             ;   in Loop: Header=BB337_9 Depth=1
	s_or_b32 exec_lo, exec_lo, s0
	s_and_saveexec_b32 s0, s2
	s_cbranch_execz .LBB337_8
	s_branch .LBB337_24
.LBB337_20:                             ;   in Loop: Header=BB337_9 Depth=1
	v_add_co_u32 v27, s3, v5, s4
	s_delay_alu instid0(VALU_DEP_1)
	v_add_co_ci_u32_e64 v28, s3, s5, v6, s3
	global_load_u16 v24, v[27:28], off
	s_or_b32 exec_lo, exec_lo, s13
	s_and_saveexec_b32 s3, vcc_lo
	s_cbranch_execz .LBB337_17
.LBB337_21:                             ;   in Loop: Header=BB337_9 Depth=1
	v_add_co_u32 v27, vcc_lo, v3, s4
	v_add_co_ci_u32_e32 v28, vcc_lo, s5, v4, vcc_lo
	s_waitcnt vmcnt(0)
	v_and_b32_e32 v23, 0x7fff, v23
	global_store_b16 v[27:28], v23, off
	s_or_b32 exec_lo, exec_lo, s3
	s_and_saveexec_b32 s3, s0
	s_cbranch_execz .LBB337_18
.LBB337_22:                             ;   in Loop: Header=BB337_9 Depth=1
	v_add_co_u32 v27, vcc_lo, v21, s4
	s_waitcnt vmcnt(0)
	v_and_b32_e32 v23, 0x7fff, v25
	v_add_co_ci_u32_e32 v28, vcc_lo, s5, v22, vcc_lo
	global_store_b16 v[27:28], v23, off
	s_or_b32 exec_lo, exec_lo, s3
	s_and_saveexec_b32 s0, s1
	s_cbranch_execz .LBB337_19
.LBB337_23:                             ;   in Loop: Header=BB337_9 Depth=1
	s_waitcnt vmcnt(0)
	v_add_co_u32 v25, vcc_lo, v14, s4
	v_and_b32_e32 v23, 0x7fff, v26
	v_add_co_ci_u32_e32 v26, vcc_lo, s5, v15, vcc_lo
	global_store_b16 v[25:26], v23, off
	s_or_b32 exec_lo, exec_lo, s0
	s_and_saveexec_b32 s0, s2
	s_cbranch_execz .LBB337_8
.LBB337_24:                             ;   in Loop: Header=BB337_9 Depth=1
	s_waitcnt vmcnt(0)
	v_add_co_u32 v23, vcc_lo, v7, s4
	v_and_b32_e32 v25, 0x7fff, v24
	v_add_co_ci_u32_e32 v24, vcc_lo, s5, v8, vcc_lo
	global_store_b16 v[23:24], v25, off
	s_branch .LBB337_8
.LBB337_25:
	s_nop 0
	s_sendmsg sendmsg(MSG_DEALLOC_VGPRS)
	s_endpgm
	.section	.rodata,"a",@progbits
	.p2align	6, 0x0
	.amdhsa_kernel _ZN2at6native12_GLOBAL__N_125multi_tensor_apply_kernelINS1_18TensorListMetadataILi2EEENS1_14UnaryOpFunctorIN3c104HalfELi2ELi1ELi1EEEJNS0_3AbsIfEEEEEvT_T0_DpT1_
		.amdhsa_group_segment_fixed_size 0
		.amdhsa_private_segment_fixed_size 0
		.amdhsa_kernarg_size 3408
		.amdhsa_user_sgpr_count 15
		.amdhsa_user_sgpr_dispatch_ptr 0
		.amdhsa_user_sgpr_queue_ptr 0
		.amdhsa_user_sgpr_kernarg_segment_ptr 1
		.amdhsa_user_sgpr_dispatch_id 0
		.amdhsa_user_sgpr_private_segment_size 0
		.amdhsa_wavefront_size32 1
		.amdhsa_uses_dynamic_stack 0
		.amdhsa_enable_private_segment 0
		.amdhsa_system_sgpr_workgroup_id_x 1
		.amdhsa_system_sgpr_workgroup_id_y 0
		.amdhsa_system_sgpr_workgroup_id_z 0
		.amdhsa_system_sgpr_workgroup_info 0
		.amdhsa_system_vgpr_workitem_id 0
		.amdhsa_next_free_vgpr 29
		.amdhsa_next_free_sgpr 18
		.amdhsa_reserve_vcc 1
		.amdhsa_float_round_mode_32 0
		.amdhsa_float_round_mode_16_64 0
		.amdhsa_float_denorm_mode_32 3
		.amdhsa_float_denorm_mode_16_64 3
		.amdhsa_dx10_clamp 1
		.amdhsa_ieee_mode 1
		.amdhsa_fp16_overflow 0
		.amdhsa_workgroup_processor_mode 1
		.amdhsa_memory_ordered 1
		.amdhsa_forward_progress 0
		.amdhsa_shared_vgpr_count 0
		.amdhsa_exception_fp_ieee_invalid_op 0
		.amdhsa_exception_fp_denorm_src 0
		.amdhsa_exception_fp_ieee_div_zero 0
		.amdhsa_exception_fp_ieee_overflow 0
		.amdhsa_exception_fp_ieee_underflow 0
		.amdhsa_exception_fp_ieee_inexact 0
		.amdhsa_exception_int_div_zero 0
	.end_amdhsa_kernel
	.section	.text._ZN2at6native12_GLOBAL__N_125multi_tensor_apply_kernelINS1_18TensorListMetadataILi2EEENS1_14UnaryOpFunctorIN3c104HalfELi2ELi1ELi1EEEJNS0_3AbsIfEEEEEvT_T0_DpT1_,"axG",@progbits,_ZN2at6native12_GLOBAL__N_125multi_tensor_apply_kernelINS1_18TensorListMetadataILi2EEENS1_14UnaryOpFunctorIN3c104HalfELi2ELi1ELi1EEEJNS0_3AbsIfEEEEEvT_T0_DpT1_,comdat
.Lfunc_end337:
	.size	_ZN2at6native12_GLOBAL__N_125multi_tensor_apply_kernelINS1_18TensorListMetadataILi2EEENS1_14UnaryOpFunctorIN3c104HalfELi2ELi1ELi1EEEJNS0_3AbsIfEEEEEvT_T0_DpT1_, .Lfunc_end337-_ZN2at6native12_GLOBAL__N_125multi_tensor_apply_kernelINS1_18TensorListMetadataILi2EEENS1_14UnaryOpFunctorIN3c104HalfELi2ELi1ELi1EEEJNS0_3AbsIfEEEEEvT_T0_DpT1_
                                        ; -- End function
	.section	.AMDGPU.csdata,"",@progbits
; Kernel info:
; codeLenInByte = 1416
; NumSgprs: 20
; NumVgprs: 29
; ScratchSize: 0
; MemoryBound: 0
; FloatMode: 240
; IeeeMode: 1
; LDSByteSize: 0 bytes/workgroup (compile time only)
; SGPRBlocks: 2
; VGPRBlocks: 3
; NumSGPRsForWavesPerEU: 20
; NumVGPRsForWavesPerEU: 29
; Occupancy: 16
; WaveLimiterHint : 0
; COMPUTE_PGM_RSRC2:SCRATCH_EN: 0
; COMPUTE_PGM_RSRC2:USER_SGPR: 15
; COMPUTE_PGM_RSRC2:TRAP_HANDLER: 0
; COMPUTE_PGM_RSRC2:TGID_X_EN: 1
; COMPUTE_PGM_RSRC2:TGID_Y_EN: 0
; COMPUTE_PGM_RSRC2:TGID_Z_EN: 0
; COMPUTE_PGM_RSRC2:TIDIG_COMP_CNT: 0
	.section	.text._ZN2at6native12_GLOBAL__N_125multi_tensor_apply_kernelINS1_18TensorListMetadataILi2EEENS1_14UnaryOpFunctorIN3c108BFloat16ELi2ELi1ELi1EEEJNS0_3AbsIfEEEEEvT_T0_DpT1_,"axG",@progbits,_ZN2at6native12_GLOBAL__N_125multi_tensor_apply_kernelINS1_18TensorListMetadataILi2EEENS1_14UnaryOpFunctorIN3c108BFloat16ELi2ELi1ELi1EEEJNS0_3AbsIfEEEEEvT_T0_DpT1_,comdat
	.globl	_ZN2at6native12_GLOBAL__N_125multi_tensor_apply_kernelINS1_18TensorListMetadataILi2EEENS1_14UnaryOpFunctorIN3c108BFloat16ELi2ELi1ELi1EEEJNS0_3AbsIfEEEEEvT_T0_DpT1_ ; -- Begin function _ZN2at6native12_GLOBAL__N_125multi_tensor_apply_kernelINS1_18TensorListMetadataILi2EEENS1_14UnaryOpFunctorIN3c108BFloat16ELi2ELi1ELi1EEEJNS0_3AbsIfEEEEEvT_T0_DpT1_
	.p2align	8
	.type	_ZN2at6native12_GLOBAL__N_125multi_tensor_apply_kernelINS1_18TensorListMetadataILi2EEENS1_14UnaryOpFunctorIN3c108BFloat16ELi2ELi1ELi1EEEJNS0_3AbsIfEEEEEvT_T0_DpT1_,@function
_ZN2at6native12_GLOBAL__N_125multi_tensor_apply_kernelINS1_18TensorListMetadataILi2EEENS1_14UnaryOpFunctorIN3c108BFloat16ELi2ELi1ELi1EEEJNS0_3AbsIfEEEEEvT_T0_DpT1_: ; @_ZN2at6native12_GLOBAL__N_125multi_tensor_apply_kernelINS1_18TensorListMetadataILi2EEENS1_14UnaryOpFunctorIN3c108BFloat16ELi2ELi1ELi1EEEJNS0_3AbsIfEEEEEvT_T0_DpT1_
; %bb.0:
	v_mov_b32_e32 v1, s15
	s_add_u32 s2, s0, s15
	s_mul_hi_u32 s3, s15, 3
	s_mul_i32 s15, s15, 3
	s_addc_u32 s4, s1, 0
	global_load_u8 v1, v1, s[0:1] offset:1536
	s_add_u32 s2, s2, s15
	s_addc_u32 s3, s4, s3
	s_mov_b32 s9, 0
	s_load_b32 s2, s[2:3], 0x740
	s_mov_b32 s17, s9
	s_mov_b32 s15, s9
	s_waitcnt vmcnt(0)
	v_readfirstlane_b32 s5, v1
	s_delay_alu instid0(VALU_DEP_1)
	s_lshl_b32 s3, s5, 3
	s_clause 0x2
	s_load_b64 s[10:11], s[0:1], s3 offset:0x0
	s_load_b64 s[12:13], s[0:1], s3 offset:0x200
	;; [unrolled: 1-line block ×3, first 2 shown]
	s_waitcnt lgkmcnt(0)
	s_ashr_i32 s3, s2, 31
	s_delay_alu instid0(SALU_CYCLE_1) | instskip(SKIP_4) | instid1(SALU_CYCLE_1)
	s_lshl_b64 s[6:7], s[2:3], 17
	s_lshl_b64 s[2:3], s[2:3], 16
	s_and_b32 s8, s10, 7
	s_and_b32 s14, s12, 7
	;; [unrolled: 1-line block ×3, first 2 shown]
	s_or_b64 s[8:9], s[8:9], s[16:17]
	s_delay_alu instid0(SALU_CYCLE_1)
	s_or_b64 s[14:15], s[14:15], s[8:9]
	s_sub_u32 s8, s4, s2
	s_subb_u32 s9, s5, s3
	s_cmp_eq_u64 s[14:15], 0
	s_mov_b32 s2, -1
	s_cbranch_scc0 .LBB338_5
; %bb.1:
	v_dual_mov_b32 v2, 0 :: v_dual_lshlrev_b32 v1, 2, v0
	s_mov_b32 s14, exec_lo
	s_delay_alu instid0(VALU_DEP_1)
	v_cmpx_gt_i64_e64 s[8:9], v[1:2]
	s_cbranch_execz .LBB338_4
; %bb.2:
	s_load_b32 s2, s[0:1], 0xc5c
	v_lshlrev_b32_e32 v1, 3, v0
	s_mov_b32 s15, 0
	s_delay_alu instid0(VALU_DEP_1) | instskip(NEXT) | instid1(VALU_DEP_1)
	v_add_co_u32 v3, s3, s6, v1
	v_add_co_ci_u32_e64 v4, null, s7, 0, s3
	s_waitcnt lgkmcnt(0)
	s_and_b32 s2, s2, 0xffff
	s_delay_alu instid0(SALU_CYCLE_1)
	v_add_lshl_u32 v1, v0, s2, 2
	s_lshl_b32 s16, s2, 3
	s_lshl_b32 s17, s2, 2
.LBB338_3:                              ; =>This Inner Loop Header: Depth=1
	v_add_co_u32 v5, vcc_lo, s10, v3
	v_add_co_ci_u32_e32 v6, vcc_lo, s11, v4, vcc_lo
	v_add_co_u32 v7, vcc_lo, s12, v3
	v_add_co_ci_u32_e32 v8, vcc_lo, s13, v4, vcc_lo
	global_load_b64 v[5:6], v[5:6], off
	v_cmp_le_i64_e32 vcc_lo, s[8:9], v[1:2]
	v_cmp_lt_u64_e64 s2, 0xffff, v[1:2]
	v_add_co_u32 v3, s3, v3, s16
	s_delay_alu instid0(VALU_DEP_1) | instskip(SKIP_1) | instid1(VALU_DEP_4)
	v_add_co_ci_u32_e64 v4, s3, 0, v4, s3
	v_add_co_u32 v1, s3, v1, s17
	s_or_b32 s2, vcc_lo, s2
	v_add_co_ci_u32_e64 v2, s3, 0, v2, s3
	s_and_b32 s2, exec_lo, s2
	s_delay_alu instid0(SALU_CYCLE_1)
	s_or_b32 s15, s2, s15
	s_waitcnt vmcnt(0)
	v_lshlrev_b32_e32 v9, 16, v5
	v_alignbit_b32 v10, v6, v5, 16
	v_and_b32_e32 v5, 0xffff0000, v5
	v_and_b32_e32 v6, 0xffff0000, v6
	s_delay_alu instid0(VALU_DEP_4) | instskip(NEXT) | instid1(VALU_DEP_4)
	v_and_b32_e32 v11, 0x7fffffff, v9
	v_and_b32_e32 v10, 0xffff0000, v10
	s_delay_alu instid0(VALU_DEP_4) | instskip(NEXT) | instid1(VALU_DEP_4)
	v_and_b32_e32 v12, 0x7fffffff, v5
	v_and_b32_e32 v13, 0x7fffffff, v6
	v_cmp_o_f32_e64 s4, v9, v9
	v_bfe_u32 v14, v11, 16, 1
	v_and_b32_e32 v15, 0x7fffffff, v10
	v_bfe_u32 v16, v12, 16, 1
	v_bfe_u32 v17, v13, 16, 1
	v_cmp_o_f32_e64 s5, v5, v5
	v_add3_u32 v11, v11, v14, 0x7fff
	v_bfe_u32 v14, v15, 16, 1
	v_add3_u32 v12, v12, v16, 0x7fff
	v_add3_u32 v13, v13, v17, 0x7fff
	s_delay_alu instid0(VALU_DEP_4) | instskip(NEXT) | instid1(VALU_DEP_4)
	v_lshrrev_b32_e32 v11, 16, v11
	v_add3_u32 v14, v15, v14, 0x7fff
	s_delay_alu instid0(VALU_DEP_4) | instskip(NEXT) | instid1(VALU_DEP_4)
	v_and_b32_e32 v12, 0xffff0000, v12
	v_and_b32_e32 v13, 0xffff0000, v13
	s_delay_alu instid0(VALU_DEP_4) | instskip(SKIP_3) | instid1(VALU_DEP_3)
	v_cndmask_b32_e64 v11, 0x7fc0, v11, s4
	v_cmp_o_f32_e64 s4, v6, v6
	v_lshrrev_b32_e32 v5, 16, v14
	v_cndmask_b32_e64 v9, 0x7fc00000, v12, s5
	v_cndmask_b32_e64 v6, 0x7fc00000, v13, s4
	v_cmp_o_f32_e64 s4, v10, v10
	s_delay_alu instid0(VALU_DEP_3) | instskip(NEXT) | instid1(VALU_DEP_2)
	v_or_b32_e32 v9, v11, v9
	v_cndmask_b32_e64 v5, 0x7fc0, v5, s4
	s_delay_alu instid0(VALU_DEP_1) | instskip(NEXT) | instid1(VALU_DEP_3)
	v_or3_b32 v6, 0, v5, v6
	v_or3_b32 v5, v9, 0, 0
	global_store_b64 v[7:8], v[5:6], off
	s_and_not1_b32 exec_lo, exec_lo, s15
	s_cbranch_execnz .LBB338_3
.LBB338_4:
	s_or_b32 exec_lo, exec_lo, s14
	s_mov_b32 s2, 0
.LBB338_5:
	s_delay_alu instid0(SALU_CYCLE_1)
	s_and_not1_b32 vcc_lo, exec_lo, s2
	s_cbranch_vccnz .LBB338_25
; %bb.6:
	v_cmp_lt_i64_e64 s2, s[8:9], 1
	s_delay_alu instid0(VALU_DEP_1)
	s_and_b32 vcc_lo, exec_lo, s2
	s_cbranch_vccnz .LBB338_25
; %bb.7:
	s_load_b32 s0, s[0:1], 0xc5c
	v_dual_mov_b32 v10, 0 :: v_dual_lshlrev_b32 v9, 1, v0
	v_cmp_gt_u64_e64 s1, 0x10000, s[8:9]
	s_delay_alu instid0(VALU_DEP_2) | instskip(NEXT) | instid1(VALU_DEP_1)
	v_add_co_u32 v1, s2, s10, v9
	v_add_co_ci_u32_e64 v2, null, s11, 0, s2
	v_add_co_u32 v3, s2, s12, v9
	s_delay_alu instid0(VALU_DEP_1)
	v_add_co_ci_u32_e64 v4, null, s13, 0, s2
	s_waitcnt lgkmcnt(0)
	s_and_b32 s0, s0, 0xffff
	s_and_b32 s1, s1, exec_lo
	v_mad_u64_u32 v[7:8], null, s0, 6, v[9:10]
	s_cselect_b32 s5, s9, 0
	s_cselect_b32 s4, s8, 0x10000
	s_mul_i32 s2, s0, 3
	s_lshl_b32 s14, s0, 2
	s_lshl_b32 s1, s0, 1
	v_add_co_u32 v14, s3, s14, v9
	v_add_co_u32 v9, s2, s2, v0
	s_delay_alu instid0(VALU_DEP_1) | instskip(SKIP_3) | instid1(VALU_DEP_3)
	v_add_co_ci_u32_e64 v10, null, 0, 0, s2
	v_add_co_u32 v13, s2, v0, s0
	v_add_co_u32 v5, vcc_lo, s10, v7
	v_add_co_ci_u32_e32 v6, vcc_lo, s11, v8, vcc_lo
	v_lshlrev_b32_e32 v21, 1, v13
	v_add_co_u32 v7, vcc_lo, s12, v7
	v_add_co_ci_u32_e64 v15, null, 0, 0, s3
	v_add_co_ci_u32_e32 v8, vcc_lo, s13, v8, vcc_lo
	v_add_co_u32 v17, s1, s1, v0
	v_add_co_u32 v11, vcc_lo, s10, v14
	v_add_co_ci_u32_e64 v18, null, 0, 0, s1
	v_add_co_u32 v19, s1, s10, v21
	v_add_co_ci_u32_e32 v12, vcc_lo, s11, v15, vcc_lo
	v_add_co_u32 v14, vcc_lo, s12, v14
	v_add_co_ci_u32_e64 v20, null, s11, 0, s1
	v_add_co_u32 v21, s1, s12, v21
	v_add_co_ci_u32_e32 v15, vcc_lo, s13, v15, vcc_lo
	v_add_co_ci_u32_e64 v16, null, 0, 0, s2
	v_add_co_ci_u32_e64 v22, null, s13, 0, s1
	s_lshl_b32 s12, s0, 3
	s_mov_b64 s[10:11], 0
	s_branch .LBB338_9
.LBB338_8:                              ;   in Loop: Header=BB338_9 Depth=1
	s_or_b32 exec_lo, exec_lo, s0
	v_add_co_u32 v1, vcc_lo, v1, s12
	v_add_co_ci_u32_e32 v2, vcc_lo, 0, v2, vcc_lo
	v_add_co_u32 v3, vcc_lo, v3, s12
	v_add_co_ci_u32_e32 v4, vcc_lo, 0, v4, vcc_lo
	;; [unrolled: 2-line block ×5, first 2 shown]
	s_add_u32 s10, s10, s14
	v_add_co_u32 v14, vcc_lo, v14, s12
	s_addc_u32 s11, s11, 0
	v_add_co_ci_u32_e32 v15, vcc_lo, 0, v15, vcc_lo
	v_cmp_ge_i64_e64 s0, s[10:11], s[8:9]
	v_cmp_lt_u64_e64 s1, 0xffff, s[10:11]
	v_add_co_u32 v19, vcc_lo, v19, s12
	v_add_co_ci_u32_e32 v20, vcc_lo, 0, v20, vcc_lo
	v_add_co_u32 v21, vcc_lo, v21, s12
	v_add_co_ci_u32_e32 v22, vcc_lo, 0, v22, vcc_lo
	s_or_b32 s0, s0, s1
	s_delay_alu instid0(SALU_CYCLE_1)
	s_and_b32 vcc_lo, exec_lo, s0
	s_cbranch_vccnz .LBB338_25
.LBB338_9:                              ; =>This Inner Loop Header: Depth=1
	s_waitcnt vmcnt(0)
	v_add_co_u32 v23, s0, v0, s10
	s_delay_alu instid0(VALU_DEP_1) | instskip(NEXT) | instid1(VALU_DEP_1)
	v_add_co_ci_u32_e64 v24, null, 0, s11, s0
	v_cmp_gt_u64_e32 vcc_lo, s[4:5], v[23:24]
	v_mov_b32_e32 v24, 0
	s_and_saveexec_b32 s1, vcc_lo
	s_cbranch_execz .LBB338_11
; %bb.10:                               ;   in Loop: Header=BB338_9 Depth=1
	v_add_co_u32 v23, s0, v1, s6
	s_delay_alu instid0(VALU_DEP_1)
	v_add_co_ci_u32_e64 v24, s0, s7, v2, s0
	global_load_u16 v24, v[23:24], off
.LBB338_11:                             ;   in Loop: Header=BB338_9 Depth=1
	s_or_b32 exec_lo, exec_lo, s1
	v_add_co_u32 v25, s0, v13, s10
	s_delay_alu instid0(VALU_DEP_1) | instskip(NEXT) | instid1(VALU_DEP_1)
	v_add_co_ci_u32_e64 v26, s0, s11, v16, s0
	v_cmp_gt_u64_e64 s0, s[4:5], v[25:26]
	v_mov_b32_e32 v25, 0
	s_delay_alu instid0(VALU_DEP_2)
	s_and_saveexec_b32 s2, s0
	s_cbranch_execz .LBB338_13
; %bb.12:                               ;   in Loop: Header=BB338_9 Depth=1
	v_add_co_u32 v25, s1, v19, s6
	s_delay_alu instid0(VALU_DEP_1)
	v_add_co_ci_u32_e64 v26, s1, s7, v20, s1
	global_load_u16 v25, v[25:26], off
.LBB338_13:                             ;   in Loop: Header=BB338_9 Depth=1
	s_or_b32 exec_lo, exec_lo, s2
	v_add_co_u32 v26, s1, v17, s10
	s_delay_alu instid0(VALU_DEP_1) | instskip(SKIP_1) | instid1(VALU_DEP_2)
	v_add_co_ci_u32_e64 v27, s1, s11, v18, s1
	v_mov_b32_e32 v23, 0
	v_cmp_gt_u64_e64 s1, s[4:5], v[26:27]
	v_mov_b32_e32 v26, 0
	s_delay_alu instid0(VALU_DEP_2)
	s_and_saveexec_b32 s3, s1
	s_cbranch_execz .LBB338_15
; %bb.14:                               ;   in Loop: Header=BB338_9 Depth=1
	v_add_co_u32 v26, s2, v11, s6
	s_delay_alu instid0(VALU_DEP_1)
	v_add_co_ci_u32_e64 v27, s2, s7, v12, s2
	global_load_u16 v26, v[26:27], off
.LBB338_15:                             ;   in Loop: Header=BB338_9 Depth=1
	s_or_b32 exec_lo, exec_lo, s3
	v_add_co_u32 v27, s2, v9, s10
	s_delay_alu instid0(VALU_DEP_1) | instskip(NEXT) | instid1(VALU_DEP_1)
	v_add_co_ci_u32_e64 v28, s2, s11, v10, s2
	v_cmp_gt_u64_e64 s2, s[4:5], v[27:28]
	s_delay_alu instid0(VALU_DEP_1)
	s_and_saveexec_b32 s13, s2
	s_cbranch_execnz .LBB338_20
; %bb.16:                               ;   in Loop: Header=BB338_9 Depth=1
	s_or_b32 exec_lo, exec_lo, s13
	s_and_saveexec_b32 s3, vcc_lo
	s_cbranch_execnz .LBB338_21
.LBB338_17:                             ;   in Loop: Header=BB338_9 Depth=1
	s_or_b32 exec_lo, exec_lo, s3
	s_and_saveexec_b32 s3, s0
	s_cbranch_execnz .LBB338_22
.LBB338_18:                             ;   in Loop: Header=BB338_9 Depth=1
	s_or_b32 exec_lo, exec_lo, s3
	s_and_saveexec_b32 s0, s1
	s_cbranch_execnz .LBB338_23
.LBB338_19:                             ;   in Loop: Header=BB338_9 Depth=1
	s_or_b32 exec_lo, exec_lo, s0
	s_and_saveexec_b32 s0, s2
	s_cbranch_execz .LBB338_8
	s_branch .LBB338_24
.LBB338_20:                             ;   in Loop: Header=BB338_9 Depth=1
	v_add_co_u32 v27, s3, v5, s6
	s_delay_alu instid0(VALU_DEP_1)
	v_add_co_ci_u32_e64 v28, s3, s7, v6, s3
	global_load_u16 v23, v[27:28], off
	s_or_b32 exec_lo, exec_lo, s13
	s_and_saveexec_b32 s3, vcc_lo
	s_cbranch_execz .LBB338_17
.LBB338_21:                             ;   in Loop: Header=BB338_9 Depth=1
	s_waitcnt vmcnt(0)
	v_lshlrev_b32_e32 v24, 16, v24
	s_delay_alu instid0(VALU_DEP_1) | instskip(SKIP_1) | instid1(VALU_DEP_2)
	v_and_b32_e32 v27, 0x7fffffff, v24
	v_cmp_o_f32_e32 vcc_lo, v24, v24
	v_bfe_u32 v28, v27, 16, 1
	s_delay_alu instid0(VALU_DEP_1) | instskip(NEXT) | instid1(VALU_DEP_1)
	v_add3_u32 v27, v27, v28, 0x7fff
	v_lshrrev_b32_e32 v27, 16, v27
	s_delay_alu instid0(VALU_DEP_1)
	v_cndmask_b32_e32 v24, 0x7fc0, v27, vcc_lo
	v_add_co_u32 v27, vcc_lo, v3, s6
	v_add_co_ci_u32_e32 v28, vcc_lo, s7, v4, vcc_lo
	global_store_b16 v[27:28], v24, off
	s_or_b32 exec_lo, exec_lo, s3
	s_and_saveexec_b32 s3, s0
	s_cbranch_execz .LBB338_18
.LBB338_22:                             ;   in Loop: Header=BB338_9 Depth=1
	s_waitcnt vmcnt(0)
	v_lshlrev_b32_e32 v24, 16, v25
	s_delay_alu instid0(VALU_DEP_1) | instskip(SKIP_1) | instid1(VALU_DEP_2)
	v_and_b32_e32 v25, 0x7fffffff, v24
	v_cmp_o_f32_e32 vcc_lo, v24, v24
	v_bfe_u32 v27, v25, 16, 1
	s_delay_alu instid0(VALU_DEP_1) | instskip(NEXT) | instid1(VALU_DEP_1)
	v_add3_u32 v25, v25, v27, 0x7fff
	v_lshrrev_b32_e32 v25, 16, v25
	s_delay_alu instid0(VALU_DEP_1)
	v_cndmask_b32_e32 v27, 0x7fc0, v25, vcc_lo
	v_add_co_u32 v24, vcc_lo, v21, s6
	v_add_co_ci_u32_e32 v25, vcc_lo, s7, v22, vcc_lo
	global_store_b16 v[24:25], v27, off
	s_or_b32 exec_lo, exec_lo, s3
	s_and_saveexec_b32 s0, s1
	s_cbranch_execz .LBB338_19
.LBB338_23:                             ;   in Loop: Header=BB338_9 Depth=1
	s_waitcnt vmcnt(0)
	v_lshlrev_b32_e32 v24, 16, v26
	s_delay_alu instid0(VALU_DEP_1) | instskip(SKIP_1) | instid1(VALU_DEP_2)
	v_and_b32_e32 v25, 0x7fffffff, v24
	v_cmp_o_f32_e32 vcc_lo, v24, v24
	v_bfe_u32 v26, v25, 16, 1
	s_delay_alu instid0(VALU_DEP_1) | instskip(NEXT) | instid1(VALU_DEP_1)
	v_add3_u32 v25, v25, v26, 0x7fff
	v_lshrrev_b32_e32 v25, 16, v25
	s_delay_alu instid0(VALU_DEP_1)
	v_cndmask_b32_e32 v26, 0x7fc0, v25, vcc_lo
	v_add_co_u32 v24, vcc_lo, v14, s6
	v_add_co_ci_u32_e32 v25, vcc_lo, s7, v15, vcc_lo
	global_store_b16 v[24:25], v26, off
	s_or_b32 exec_lo, exec_lo, s0
	s_and_saveexec_b32 s0, s2
	s_cbranch_execz .LBB338_8
.LBB338_24:                             ;   in Loop: Header=BB338_9 Depth=1
	s_waitcnt vmcnt(0)
	v_lshlrev_b32_e32 v23, 16, v23
	s_delay_alu instid0(VALU_DEP_1) | instskip(SKIP_1) | instid1(VALU_DEP_2)
	v_and_b32_e32 v24, 0x7fffffff, v23
	v_cmp_o_f32_e32 vcc_lo, v23, v23
	v_bfe_u32 v25, v24, 16, 1
	s_delay_alu instid0(VALU_DEP_1) | instskip(NEXT) | instid1(VALU_DEP_1)
	v_add3_u32 v24, v24, v25, 0x7fff
	v_lshrrev_b32_e32 v24, 16, v24
	s_delay_alu instid0(VALU_DEP_1)
	v_cndmask_b32_e32 v25, 0x7fc0, v24, vcc_lo
	v_add_co_u32 v23, vcc_lo, v7, s6
	v_add_co_ci_u32_e32 v24, vcc_lo, s7, v8, vcc_lo
	global_store_b16 v[23:24], v25, off
	s_branch .LBB338_8
.LBB338_25:
	s_nop 0
	s_sendmsg sendmsg(MSG_DEALLOC_VGPRS)
	s_endpgm
	.section	.rodata,"a",@progbits
	.p2align	6, 0x0
	.amdhsa_kernel _ZN2at6native12_GLOBAL__N_125multi_tensor_apply_kernelINS1_18TensorListMetadataILi2EEENS1_14UnaryOpFunctorIN3c108BFloat16ELi2ELi1ELi1EEEJNS0_3AbsIfEEEEEvT_T0_DpT1_
		.amdhsa_group_segment_fixed_size 0
		.amdhsa_private_segment_fixed_size 0
		.amdhsa_kernarg_size 3408
		.amdhsa_user_sgpr_count 15
		.amdhsa_user_sgpr_dispatch_ptr 0
		.amdhsa_user_sgpr_queue_ptr 0
		.amdhsa_user_sgpr_kernarg_segment_ptr 1
		.amdhsa_user_sgpr_dispatch_id 0
		.amdhsa_user_sgpr_private_segment_size 0
		.amdhsa_wavefront_size32 1
		.amdhsa_uses_dynamic_stack 0
		.amdhsa_enable_private_segment 0
		.amdhsa_system_sgpr_workgroup_id_x 1
		.amdhsa_system_sgpr_workgroup_id_y 0
		.amdhsa_system_sgpr_workgroup_id_z 0
		.amdhsa_system_sgpr_workgroup_info 0
		.amdhsa_system_vgpr_workitem_id 0
		.amdhsa_next_free_vgpr 29
		.amdhsa_next_free_sgpr 18
		.amdhsa_reserve_vcc 1
		.amdhsa_float_round_mode_32 0
		.amdhsa_float_round_mode_16_64 0
		.amdhsa_float_denorm_mode_32 3
		.amdhsa_float_denorm_mode_16_64 3
		.amdhsa_dx10_clamp 1
		.amdhsa_ieee_mode 1
		.amdhsa_fp16_overflow 0
		.amdhsa_workgroup_processor_mode 1
		.amdhsa_memory_ordered 1
		.amdhsa_forward_progress 0
		.amdhsa_shared_vgpr_count 0
		.amdhsa_exception_fp_ieee_invalid_op 0
		.amdhsa_exception_fp_denorm_src 0
		.amdhsa_exception_fp_ieee_div_zero 0
		.amdhsa_exception_fp_ieee_overflow 0
		.amdhsa_exception_fp_ieee_underflow 0
		.amdhsa_exception_fp_ieee_inexact 0
		.amdhsa_exception_int_div_zero 0
	.end_amdhsa_kernel
	.section	.text._ZN2at6native12_GLOBAL__N_125multi_tensor_apply_kernelINS1_18TensorListMetadataILi2EEENS1_14UnaryOpFunctorIN3c108BFloat16ELi2ELi1ELi1EEEJNS0_3AbsIfEEEEEvT_T0_DpT1_,"axG",@progbits,_ZN2at6native12_GLOBAL__N_125multi_tensor_apply_kernelINS1_18TensorListMetadataILi2EEENS1_14UnaryOpFunctorIN3c108BFloat16ELi2ELi1ELi1EEEJNS0_3AbsIfEEEEEvT_T0_DpT1_,comdat
.Lfunc_end338:
	.size	_ZN2at6native12_GLOBAL__N_125multi_tensor_apply_kernelINS1_18TensorListMetadataILi2EEENS1_14UnaryOpFunctorIN3c108BFloat16ELi2ELi1ELi1EEEJNS0_3AbsIfEEEEEvT_T0_DpT1_, .Lfunc_end338-_ZN2at6native12_GLOBAL__N_125multi_tensor_apply_kernelINS1_18TensorListMetadataILi2EEENS1_14UnaryOpFunctorIN3c108BFloat16ELi2ELi1ELi1EEEJNS0_3AbsIfEEEEEvT_T0_DpT1_
                                        ; -- End function
	.section	.AMDGPU.csdata,"",@progbits
; Kernel info:
; codeLenInByte = 1892
; NumSgprs: 20
; NumVgprs: 29
; ScratchSize: 0
; MemoryBound: 0
; FloatMode: 240
; IeeeMode: 1
; LDSByteSize: 0 bytes/workgroup (compile time only)
; SGPRBlocks: 2
; VGPRBlocks: 3
; NumSGPRsForWavesPerEU: 20
; NumVGPRsForWavesPerEU: 29
; Occupancy: 16
; WaveLimiterHint : 0
; COMPUTE_PGM_RSRC2:SCRATCH_EN: 0
; COMPUTE_PGM_RSRC2:USER_SGPR: 15
; COMPUTE_PGM_RSRC2:TRAP_HANDLER: 0
; COMPUTE_PGM_RSRC2:TGID_X_EN: 1
; COMPUTE_PGM_RSRC2:TGID_Y_EN: 0
; COMPUTE_PGM_RSRC2:TGID_Z_EN: 0
; COMPUTE_PGM_RSRC2:TIDIG_COMP_CNT: 0
	.section	.text._ZN2at6native12_GLOBAL__N_125multi_tensor_apply_kernelINS1_18TensorListMetadataILi2EEENS1_14UnaryOpFunctorIbLi2ELi1ELi1EEEJNS0_3AbsIbEEEEEvT_T0_DpT1_,"axG",@progbits,_ZN2at6native12_GLOBAL__N_125multi_tensor_apply_kernelINS1_18TensorListMetadataILi2EEENS1_14UnaryOpFunctorIbLi2ELi1ELi1EEEJNS0_3AbsIbEEEEEvT_T0_DpT1_,comdat
	.globl	_ZN2at6native12_GLOBAL__N_125multi_tensor_apply_kernelINS1_18TensorListMetadataILi2EEENS1_14UnaryOpFunctorIbLi2ELi1ELi1EEEJNS0_3AbsIbEEEEEvT_T0_DpT1_ ; -- Begin function _ZN2at6native12_GLOBAL__N_125multi_tensor_apply_kernelINS1_18TensorListMetadataILi2EEENS1_14UnaryOpFunctorIbLi2ELi1ELi1EEEJNS0_3AbsIbEEEEEvT_T0_DpT1_
	.p2align	8
	.type	_ZN2at6native12_GLOBAL__N_125multi_tensor_apply_kernelINS1_18TensorListMetadataILi2EEENS1_14UnaryOpFunctorIbLi2ELi1ELi1EEEJNS0_3AbsIbEEEEEvT_T0_DpT1_,@function
_ZN2at6native12_GLOBAL__N_125multi_tensor_apply_kernelINS1_18TensorListMetadataILi2EEENS1_14UnaryOpFunctorIbLi2ELi1ELi1EEEJNS0_3AbsIbEEEEEvT_T0_DpT1_: ; @_ZN2at6native12_GLOBAL__N_125multi_tensor_apply_kernelINS1_18TensorListMetadataILi2EEENS1_14UnaryOpFunctorIbLi2ELi1ELi1EEEJNS0_3AbsIbEEEEEvT_T0_DpT1_
; %bb.0:
	v_mov_b32_e32 v1, s15
	s_add_u32 s2, s0, s15
	s_mul_hi_u32 s3, s15, 3
	s_mul_i32 s15, s15, 3
	s_addc_u32 s4, s1, 0
	global_load_u8 v1, v1, s[0:1] offset:1536
	s_add_u32 s2, s2, s15
	s_addc_u32 s3, s4, s3
	s_load_b32 s2, s[2:3], 0x740
	s_waitcnt vmcnt(0)
	v_readfirstlane_b32 s5, v1
	s_delay_alu instid0(VALU_DEP_1)
	s_lshl_b32 s3, s5, 3
	s_clause 0x2
	s_load_b64 s[8:9], s[0:1], s3 offset:0x0
	s_load_b64 s[10:11], s[0:1], s3 offset:0x200
	;; [unrolled: 1-line block ×3, first 2 shown]
	s_waitcnt lgkmcnt(0)
	s_ashr_i32 s3, s2, 31
	s_delay_alu instid0(SALU_CYCLE_1) | instskip(NEXT) | instid1(SALU_CYCLE_1)
	s_lshl_b64 s[12:13], s[2:3], 16
	s_add_u32 s6, s8, s12
	s_addc_u32 s7, s9, s13
	s_add_u32 s3, s10, s12
	s_addc_u32 s14, s11, s13
	s_or_b64 s[16:17], s[4:5], s[6:7]
	s_delay_alu instid0(SALU_CYCLE_1) | instskip(NEXT) | instid1(SALU_CYCLE_1)
	s_or_b32 s2, s3, s16
	s_and_b32 s2, s2, 3
	s_sub_u32 s4, s4, s12
	s_subb_u32 s5, s5, s13
	s_cmp_eq_u32 s2, 0
	s_mov_b32 s2, -1
	s_cbranch_scc0 .LBB339_5
; %bb.1:
	v_dual_mov_b32 v2, 0 :: v_dual_lshlrev_b32 v1, 2, v0
	s_mov_b32 s15, exec_lo
	s_delay_alu instid0(VALU_DEP_1)
	v_cmpx_gt_i64_e64 s[4:5], v[1:2]
	s_cbranch_execz .LBB339_4
; %bb.2:
	s_load_b32 s2, s[0:1], 0xc5c
	s_mov_b32 s17, 0
	s_waitcnt lgkmcnt(0)
	s_and_b32 s2, s2, 0xffff
	s_delay_alu instid0(SALU_CYCLE_1)
	s_lshl_b32 s16, s2, 2
	.p2align	6
.LBB339_3:                              ; =>This Inner Loop Header: Depth=1
	v_add_co_u32 v3, vcc_lo, s6, v1
	v_add_co_ci_u32_e32 v4, vcc_lo, s7, v2, vcc_lo
	global_load_b32 v5, v[3:4], off
	v_add_co_u32 v3, vcc_lo, s3, v1
	v_add_co_ci_u32_e32 v4, vcc_lo, s14, v2, vcc_lo
	v_add_co_u32 v1, vcc_lo, s16, v1
	v_add_co_ci_u32_e32 v2, vcc_lo, 0, v2, vcc_lo
	s_delay_alu instid0(VALU_DEP_1) | instskip(SKIP_1) | instid1(VALU_DEP_1)
	v_cmp_le_i64_e32 vcc_lo, s[4:5], v[1:2]
	v_cmp_lt_u64_e64 s2, 0xffff, v[1:2]
	s_or_b32 s2, vcc_lo, s2
	s_delay_alu instid0(SALU_CYCLE_1) | instskip(NEXT) | instid1(SALU_CYCLE_1)
	s_and_b32 s2, exec_lo, s2
	s_or_b32 s17, s2, s17
	s_waitcnt vmcnt(0)
	global_store_b32 v[3:4], v5, off
	s_and_not1_b32 exec_lo, exec_lo, s17
	s_cbranch_execnz .LBB339_3
.LBB339_4:
	s_or_b32 exec_lo, exec_lo, s15
	s_mov_b32 s2, 0
.LBB339_5:
	s_delay_alu instid0(SALU_CYCLE_1)
	s_and_not1_b32 vcc_lo, exec_lo, s2
	s_cbranch_vccnz .LBB339_25
; %bb.6:
	v_cmp_lt_i64_e64 s2, s[4:5], 1
	s_delay_alu instid0(VALU_DEP_1)
	s_and_b32 vcc_lo, exec_lo, s2
	s_cbranch_vccnz .LBB339_25
; %bb.7:
	s_load_b32 s0, s[0:1], 0xc5c
	v_add_co_u32 v15, s1, s12, v0
	s_delay_alu instid0(VALU_DEP_1) | instskip(SKIP_1) | instid1(VALU_DEP_3)
	v_add_co_ci_u32_e64 v16, null, s13, 0, s1
	v_cmp_gt_u64_e64 s1, 0x10000, s[4:5]
	v_add_co_u32 v1, vcc_lo, s8, v15
	s_delay_alu instid0(VALU_DEP_3)
	v_add_co_ci_u32_e32 v2, vcc_lo, s9, v16, vcc_lo
	v_add_co_u32 v3, vcc_lo, s10, v15
	v_add_co_ci_u32_e32 v4, vcc_lo, s11, v16, vcc_lo
	s_waitcnt lgkmcnt(0)
	s_and_b32 s0, s0, 0xffff
	s_and_b32 s1, s1, exec_lo
	s_mul_i32 s2, s0, 3
	s_cselect_b32 s7, s5, 0
	s_cselect_b32 s6, s4, 0x10000
	s_lshl_b32 s1, s0, 1
	s_lshl_b32 s14, s0, 2
	s_add_u32 s3, s12, s2
	s_addc_u32 s15, s13, 0
	v_add_co_u32 v7, s3, s3, v0
	s_delay_alu instid0(VALU_DEP_1) | instskip(SKIP_1) | instid1(VALU_DEP_2)
	v_add_co_ci_u32_e64 v8, null, s15, 0, s3
	s_add_u32 s3, s12, s1
	v_add_co_u32 v5, vcc_lo, s8, v7
	s_addc_u32 s12, s13, 0
	v_add_co_u32 v13, s3, s3, v0
	v_add_co_ci_u32_e32 v6, vcc_lo, s9, v8, vcc_lo
	v_add_co_u32 v7, vcc_lo, s10, v7
	v_add_co_ci_u32_e64 v14, null, s12, 0, s3
	v_add_co_ci_u32_e32 v8, vcc_lo, s11, v8, vcc_lo
	v_add_co_u32 v11, vcc_lo, s8, v13
	s_delay_alu instid0(VALU_DEP_3)
	v_add_co_ci_u32_e32 v12, vcc_lo, s9, v14, vcc_lo
	v_add_co_u32 v13, vcc_lo, s10, v13
	v_add_co_ci_u32_e32 v14, vcc_lo, s11, v14, vcc_lo
	v_add_co_u32 v19, vcc_lo, v15, s0
	v_add_co_ci_u32_e32 v20, vcc_lo, 0, v16, vcc_lo
	v_add_co_u32 v9, s2, s2, v0
	s_delay_alu instid0(VALU_DEP_3) | instskip(NEXT) | instid1(VALU_DEP_3)
	v_add_co_u32 v17, vcc_lo, s8, v19
	v_add_co_ci_u32_e32 v18, vcc_lo, s9, v20, vcc_lo
	v_add_co_u32 v15, s1, s1, v0
	v_add_co_u32 v19, vcc_lo, s10, v19
	v_add_co_u32 v21, s0, v0, s0
	v_add_co_ci_u32_e64 v10, null, 0, 0, s2
	v_add_co_ci_u32_e64 v16, null, 0, 0, s1
	v_add_co_ci_u32_e32 v20, vcc_lo, s11, v20, vcc_lo
	v_add_co_ci_u32_e64 v22, null, 0, 0, s0
	s_mov_b64 s[8:9], 0
	s_branch .LBB339_9
.LBB339_8:                              ;   in Loop: Header=BB339_9 Depth=1
	s_or_b32 exec_lo, exec_lo, s0
	s_add_u32 s8, s8, s14
	s_addc_u32 s9, s9, 0
	s_delay_alu instid0(SALU_CYCLE_1) | instskip(SKIP_1) | instid1(VALU_DEP_1)
	v_cmp_ge_i64_e64 s0, s[8:9], s[4:5]
	v_cmp_lt_u64_e64 s1, 0xffff, s[8:9]
	s_or_b32 s0, s0, s1
	s_delay_alu instid0(SALU_CYCLE_1)
	s_and_b32 vcc_lo, exec_lo, s0
	s_cbranch_vccnz .LBB339_25
.LBB339_9:                              ; =>This Inner Loop Header: Depth=1
	s_waitcnt vmcnt(0)
	v_add_co_u32 v23, s0, v0, s8
	s_delay_alu instid0(VALU_DEP_1) | instskip(NEXT) | instid1(VALU_DEP_1)
	v_add_co_ci_u32_e64 v24, null, 0, s9, s0
	v_cmp_gt_u64_e32 vcc_lo, s[6:7], v[23:24]
	v_mov_b32_e32 v23, 0
	s_and_saveexec_b32 s1, vcc_lo
	s_cbranch_execz .LBB339_11
; %bb.10:                               ;   in Loop: Header=BB339_9 Depth=1
	v_add_co_u32 v23, s0, v1, s8
	s_delay_alu instid0(VALU_DEP_1)
	v_add_co_ci_u32_e64 v24, s0, s9, v2, s0
	global_load_u8 v23, v[23:24], off
.LBB339_11:                             ;   in Loop: Header=BB339_9 Depth=1
	s_or_b32 exec_lo, exec_lo, s1
	v_add_co_u32 v24, s0, v21, s8
	s_delay_alu instid0(VALU_DEP_1) | instskip(NEXT) | instid1(VALU_DEP_1)
	v_add_co_ci_u32_e64 v25, s0, s9, v22, s0
	v_cmp_gt_u64_e64 s0, s[6:7], v[24:25]
	v_mov_b32_e32 v25, 0
	s_delay_alu instid0(VALU_DEP_2)
	s_and_saveexec_b32 s2, s0
	s_cbranch_execz .LBB339_13
; %bb.12:                               ;   in Loop: Header=BB339_9 Depth=1
	v_add_co_u32 v24, s1, v17, s8
	s_delay_alu instid0(VALU_DEP_1)
	v_add_co_ci_u32_e64 v25, s1, s9, v18, s1
	global_load_u8 v25, v[24:25], off
.LBB339_13:                             ;   in Loop: Header=BB339_9 Depth=1
	s_or_b32 exec_lo, exec_lo, s2
	v_add_co_u32 v26, s1, v15, s8
	s_delay_alu instid0(VALU_DEP_1) | instskip(SKIP_1) | instid1(VALU_DEP_2)
	v_add_co_ci_u32_e64 v27, s1, s9, v16, s1
	v_mov_b32_e32 v24, 0
	v_cmp_gt_u64_e64 s1, s[6:7], v[26:27]
	v_mov_b32_e32 v26, 0
	s_delay_alu instid0(VALU_DEP_2)
	s_and_saveexec_b32 s3, s1
	s_cbranch_execz .LBB339_15
; %bb.14:                               ;   in Loop: Header=BB339_9 Depth=1
	v_add_co_u32 v26, s2, v11, s8
	s_delay_alu instid0(VALU_DEP_1)
	v_add_co_ci_u32_e64 v27, s2, s9, v12, s2
	global_load_u8 v26, v[26:27], off
.LBB339_15:                             ;   in Loop: Header=BB339_9 Depth=1
	s_or_b32 exec_lo, exec_lo, s3
	v_add_co_u32 v27, s2, v9, s8
	s_delay_alu instid0(VALU_DEP_1) | instskip(NEXT) | instid1(VALU_DEP_1)
	v_add_co_ci_u32_e64 v28, s2, s9, v10, s2
	v_cmp_gt_u64_e64 s2, s[6:7], v[27:28]
	s_delay_alu instid0(VALU_DEP_1)
	s_and_saveexec_b32 s10, s2
	s_cbranch_execnz .LBB339_20
; %bb.16:                               ;   in Loop: Header=BB339_9 Depth=1
	s_or_b32 exec_lo, exec_lo, s10
	s_and_saveexec_b32 s3, vcc_lo
	s_cbranch_execnz .LBB339_21
.LBB339_17:                             ;   in Loop: Header=BB339_9 Depth=1
	s_or_b32 exec_lo, exec_lo, s3
	s_and_saveexec_b32 s3, s0
	s_cbranch_execnz .LBB339_22
.LBB339_18:                             ;   in Loop: Header=BB339_9 Depth=1
	s_or_b32 exec_lo, exec_lo, s3
	s_and_saveexec_b32 s0, s1
	s_cbranch_execnz .LBB339_23
.LBB339_19:                             ;   in Loop: Header=BB339_9 Depth=1
	s_or_b32 exec_lo, exec_lo, s0
	s_and_saveexec_b32 s0, s2
	s_cbranch_execz .LBB339_8
	s_branch .LBB339_24
.LBB339_20:                             ;   in Loop: Header=BB339_9 Depth=1
	v_add_co_u32 v27, s3, v5, s8
	s_delay_alu instid0(VALU_DEP_1)
	v_add_co_ci_u32_e64 v28, s3, s9, v6, s3
	global_load_u8 v24, v[27:28], off
	s_or_b32 exec_lo, exec_lo, s10
	s_and_saveexec_b32 s3, vcc_lo
	s_cbranch_execz .LBB339_17
.LBB339_21:                             ;   in Loop: Header=BB339_9 Depth=1
	v_add_co_u32 v27, vcc_lo, v3, s8
	v_add_co_ci_u32_e32 v28, vcc_lo, s9, v4, vcc_lo
	s_waitcnt vmcnt(0)
	global_store_b8 v[27:28], v23, off
	s_or_b32 exec_lo, exec_lo, s3
	s_and_saveexec_b32 s3, s0
	s_cbranch_execz .LBB339_18
.LBB339_22:                             ;   in Loop: Header=BB339_9 Depth=1
	v_add_co_u32 v27, vcc_lo, v19, s8
	v_add_co_ci_u32_e32 v28, vcc_lo, s9, v20, vcc_lo
	s_waitcnt vmcnt(0)
	global_store_b8 v[27:28], v25, off
	s_or_b32 exec_lo, exec_lo, s3
	s_and_saveexec_b32 s0, s1
	s_cbranch_execz .LBB339_19
.LBB339_23:                             ;   in Loop: Header=BB339_9 Depth=1
	v_add_co_u32 v27, vcc_lo, v13, s8
	v_add_co_ci_u32_e32 v28, vcc_lo, s9, v14, vcc_lo
	s_waitcnt vmcnt(0)
	global_store_b8 v[27:28], v26, off
	s_or_b32 exec_lo, exec_lo, s0
	s_and_saveexec_b32 s0, s2
	s_cbranch_execz .LBB339_8
.LBB339_24:                             ;   in Loop: Header=BB339_9 Depth=1
	s_waitcnt vmcnt(0)
	v_add_co_u32 v25, vcc_lo, v7, s8
	v_add_co_ci_u32_e32 v26, vcc_lo, s9, v8, vcc_lo
	global_store_b8 v[25:26], v24, off
	s_branch .LBB339_8
.LBB339_25:
	s_nop 0
	s_sendmsg sendmsg(MSG_DEALLOC_VGPRS)
	s_endpgm
	.section	.rodata,"a",@progbits
	.p2align	6, 0x0
	.amdhsa_kernel _ZN2at6native12_GLOBAL__N_125multi_tensor_apply_kernelINS1_18TensorListMetadataILi2EEENS1_14UnaryOpFunctorIbLi2ELi1ELi1EEEJNS0_3AbsIbEEEEEvT_T0_DpT1_
		.amdhsa_group_segment_fixed_size 0
		.amdhsa_private_segment_fixed_size 0
		.amdhsa_kernarg_size 3408
		.amdhsa_user_sgpr_count 15
		.amdhsa_user_sgpr_dispatch_ptr 0
		.amdhsa_user_sgpr_queue_ptr 0
		.amdhsa_user_sgpr_kernarg_segment_ptr 1
		.amdhsa_user_sgpr_dispatch_id 0
		.amdhsa_user_sgpr_private_segment_size 0
		.amdhsa_wavefront_size32 1
		.amdhsa_uses_dynamic_stack 0
		.amdhsa_enable_private_segment 0
		.amdhsa_system_sgpr_workgroup_id_x 1
		.amdhsa_system_sgpr_workgroup_id_y 0
		.amdhsa_system_sgpr_workgroup_id_z 0
		.amdhsa_system_sgpr_workgroup_info 0
		.amdhsa_system_vgpr_workitem_id 0
		.amdhsa_next_free_vgpr 29
		.amdhsa_next_free_sgpr 18
		.amdhsa_reserve_vcc 1
		.amdhsa_float_round_mode_32 0
		.amdhsa_float_round_mode_16_64 0
		.amdhsa_float_denorm_mode_32 3
		.amdhsa_float_denorm_mode_16_64 3
		.amdhsa_dx10_clamp 1
		.amdhsa_ieee_mode 1
		.amdhsa_fp16_overflow 0
		.amdhsa_workgroup_processor_mode 1
		.amdhsa_memory_ordered 1
		.amdhsa_forward_progress 0
		.amdhsa_shared_vgpr_count 0
		.amdhsa_exception_fp_ieee_invalid_op 0
		.amdhsa_exception_fp_denorm_src 0
		.amdhsa_exception_fp_ieee_div_zero 0
		.amdhsa_exception_fp_ieee_overflow 0
		.amdhsa_exception_fp_ieee_underflow 0
		.amdhsa_exception_fp_ieee_inexact 0
		.amdhsa_exception_int_div_zero 0
	.end_amdhsa_kernel
	.section	.text._ZN2at6native12_GLOBAL__N_125multi_tensor_apply_kernelINS1_18TensorListMetadataILi2EEENS1_14UnaryOpFunctorIbLi2ELi1ELi1EEEJNS0_3AbsIbEEEEEvT_T0_DpT1_,"axG",@progbits,_ZN2at6native12_GLOBAL__N_125multi_tensor_apply_kernelINS1_18TensorListMetadataILi2EEENS1_14UnaryOpFunctorIbLi2ELi1ELi1EEEJNS0_3AbsIbEEEEEvT_T0_DpT1_,comdat
.Lfunc_end339:
	.size	_ZN2at6native12_GLOBAL__N_125multi_tensor_apply_kernelINS1_18TensorListMetadataILi2EEENS1_14UnaryOpFunctorIbLi2ELi1ELi1EEEJNS0_3AbsIbEEEEEvT_T0_DpT1_, .Lfunc_end339-_ZN2at6native12_GLOBAL__N_125multi_tensor_apply_kernelINS1_18TensorListMetadataILi2EEENS1_14UnaryOpFunctorIbLi2ELi1ELi1EEEJNS0_3AbsIbEEEEEvT_T0_DpT1_
                                        ; -- End function
	.section	.AMDGPU.csdata,"",@progbits
; Kernel info:
; codeLenInByte = 1224
; NumSgprs: 20
; NumVgprs: 29
; ScratchSize: 0
; MemoryBound: 0
; FloatMode: 240
; IeeeMode: 1
; LDSByteSize: 0 bytes/workgroup (compile time only)
; SGPRBlocks: 2
; VGPRBlocks: 3
; NumSGPRsForWavesPerEU: 20
; NumVGPRsForWavesPerEU: 29
; Occupancy: 16
; WaveLimiterHint : 0
; COMPUTE_PGM_RSRC2:SCRATCH_EN: 0
; COMPUTE_PGM_RSRC2:USER_SGPR: 15
; COMPUTE_PGM_RSRC2:TRAP_HANDLER: 0
; COMPUTE_PGM_RSRC2:TGID_X_EN: 1
; COMPUTE_PGM_RSRC2:TGID_Y_EN: 0
; COMPUTE_PGM_RSRC2:TGID_Z_EN: 0
; COMPUTE_PGM_RSRC2:TIDIG_COMP_CNT: 0
	.section	.text._ZN2at6native12_GLOBAL__N_125multi_tensor_apply_kernelINS1_18TensorListMetadataILi1EEENS1_14UnaryOpFunctorIhLi1ELi1ELi0EEEJNS0_3AbsIhEEEEEvT_T0_DpT1_,"axG",@progbits,_ZN2at6native12_GLOBAL__N_125multi_tensor_apply_kernelINS1_18TensorListMetadataILi1EEENS1_14UnaryOpFunctorIhLi1ELi1ELi0EEEJNS0_3AbsIhEEEEEvT_T0_DpT1_,comdat
	.globl	_ZN2at6native12_GLOBAL__N_125multi_tensor_apply_kernelINS1_18TensorListMetadataILi1EEENS1_14UnaryOpFunctorIhLi1ELi1ELi0EEEJNS0_3AbsIhEEEEEvT_T0_DpT1_ ; -- Begin function _ZN2at6native12_GLOBAL__N_125multi_tensor_apply_kernelINS1_18TensorListMetadataILi1EEENS1_14UnaryOpFunctorIhLi1ELi1ELi0EEEJNS0_3AbsIhEEEEEvT_T0_DpT1_
	.p2align	8
	.type	_ZN2at6native12_GLOBAL__N_125multi_tensor_apply_kernelINS1_18TensorListMetadataILi1EEENS1_14UnaryOpFunctorIhLi1ELi1ELi0EEEJNS0_3AbsIhEEEEEvT_T0_DpT1_,@function
_ZN2at6native12_GLOBAL__N_125multi_tensor_apply_kernelINS1_18TensorListMetadataILi1EEENS1_14UnaryOpFunctorIhLi1ELi1ELi0EEEJNS0_3AbsIhEEEEEvT_T0_DpT1_: ; @_ZN2at6native12_GLOBAL__N_125multi_tensor_apply_kernelINS1_18TensorListMetadataILi1EEENS1_14UnaryOpFunctorIhLi1ELi1ELi0EEEJNS0_3AbsIhEEEEEvT_T0_DpT1_
; %bb.0:
	v_mov_b32_e32 v1, s15
	s_add_u32 s2, s0, s15
	s_mul_hi_u32 s3, s15, 3
	s_mul_i32 s15, s15, 3
	s_addc_u32 s4, s1, 0
	global_load_u8 v1, v1, s[0:1] offset:1760
	s_add_u32 s2, s2, s15
	s_addc_u32 s3, s4, s3
	s_load_b32 s4, s[2:3], 0x820
	s_waitcnt vmcnt(0)
	v_readfirstlane_b32 s5, v1
	s_delay_alu instid0(VALU_DEP_1)
	s_lshl_b32 s2, s5, 3
	s_waitcnt lgkmcnt(0)
	s_ashr_i32 s5, s4, 31
	s_clause 0x1
	s_load_b64 s[6:7], s[0:1], s2 offset:0x370
	s_load_b64 s[2:3], s[0:1], s2 offset:0x0
	s_lshl_b64 s[10:11], s[4:5], 16
	s_waitcnt lgkmcnt(0)
	s_sub_u32 s4, s6, s10
	s_subb_u32 s5, s7, s11
	s_or_b32 s6, s6, s2
	v_cmp_gt_i64_e64 s7, s[4:5], 0
	s_and_b32 s6, s6, 3
	s_delay_alu instid0(SALU_CYCLE_1)
	s_cmp_lg_u32 s6, 0
	s_cselect_b32 s6, -1, 0
	s_delay_alu instid0(VALU_DEP_1) | instid1(SALU_CYCLE_1)
	s_and_b32 s6, s6, s7
	s_delay_alu instid0(SALU_CYCLE_1)
	s_and_not1_b32 vcc_lo, exec_lo, s6
	s_mov_b64 s[6:7], 0
	s_cbranch_vccnz .LBB340_19
; %bb.1:
	s_load_b32 s0, s[0:1], 0xd3c
	v_add_co_u32 v11, s1, s10, v0
	s_delay_alu instid0(VALU_DEP_1) | instskip(SKIP_1) | instid1(VALU_DEP_3)
	v_add_co_ci_u32_e64 v12, null, s11, 0, s1
	v_cmp_gt_u64_e64 s1, 0x10000, s[4:5]
	v_add_co_u32 v1, vcc_lo, s2, v11
	s_delay_alu instid0(VALU_DEP_3) | instskip(SKIP_2) | instid1(VALU_DEP_3)
	v_add_co_ci_u32_e32 v2, vcc_lo, s3, v12, vcc_lo
	s_waitcnt lgkmcnt(0)
	s_and_b32 s0, s0, 0xffff
	s_and_b32 s1, s1, exec_lo
	s_mul_i32 s13, s0, 3
	s_cselect_b32 s9, s5, 0
	s_cselect_b32 s8, s4, 0x10000
	s_lshl_b32 s1, s0, 1
	s_lshl_b32 s12, s0, 2
	s_add_u32 s14, s10, s13
	v_add_co_u32 v3, s13, s13, v0
	s_delay_alu instid0(VALU_DEP_1)
	v_add_co_ci_u32_e64 v4, null, 0, 0, s13
	s_addc_u32 s13, s11, 0
	s_add_u32 s14, s2, s14
	s_addc_u32 s13, s3, s13
	s_add_u32 s10, s10, s1
	;; [unrolled: 2-line block ×3, first 2 shown]
	v_add_co_u32 v9, s1, s1, v0
	s_addc_u32 s11, s3, s11
	v_add_co_ci_u32_e64 v10, null, 0, 0, s1
	s_add_u32 s1, s2, s0
	v_add_co_u32 v5, s14, s14, v0
	v_add_co_u32 v7, s10, s10, v0
	s_addc_u32 s2, s3, 0
	v_add_co_u32 v11, vcc_lo, s1, v11
	v_add_co_u32 v13, s0, v0, s0
	v_add_co_ci_u32_e64 v6, null, s13, 0, s14
	v_add_co_ci_u32_e64 v8, null, s11, 0, s10
	v_add_co_ci_u32_e32 v12, vcc_lo, s2, v12, vcc_lo
	v_add_co_ci_u32_e64 v14, null, 0, 0, s0
	s_branch .LBB340_3
.LBB340_2:                              ;   in Loop: Header=BB340_3 Depth=1
	s_or_b32 exec_lo, exec_lo, s0
	s_add_u32 s6, s6, s12
	s_addc_u32 s7, s7, 0
	s_delay_alu instid0(SALU_CYCLE_1) | instskip(SKIP_1) | instid1(VALU_DEP_1)
	v_cmp_lt_i64_e64 s0, s[6:7], s[4:5]
	v_cmp_gt_u64_e64 s1, 0x10000, s[6:7]
	s_and_b32 s0, s0, s1
	s_delay_alu instid0(SALU_CYCLE_1)
	s_and_b32 vcc_lo, exec_lo, s0
	s_cbranch_vccz .LBB340_19
.LBB340_3:                              ; =>This Inner Loop Header: Depth=1
	s_waitcnt vmcnt(0)
	v_add_co_u32 v15, s0, v0, s6
	s_delay_alu instid0(VALU_DEP_1) | instskip(NEXT) | instid1(VALU_DEP_1)
	v_add_co_ci_u32_e64 v16, null, 0, s7, s0
	v_cmp_gt_u64_e32 vcc_lo, s[8:9], v[15:16]
	v_mov_b32_e32 v15, 0
	s_and_saveexec_b32 s1, vcc_lo
	s_cbranch_execz .LBB340_5
; %bb.4:                                ;   in Loop: Header=BB340_3 Depth=1
	v_add_co_u32 v15, s0, v1, s6
	s_delay_alu instid0(VALU_DEP_1)
	v_add_co_ci_u32_e64 v16, s0, s7, v2, s0
	global_load_u8 v15, v[15:16], off
.LBB340_5:                              ;   in Loop: Header=BB340_3 Depth=1
	s_or_b32 exec_lo, exec_lo, s1
	v_add_co_u32 v16, s0, v13, s6
	s_delay_alu instid0(VALU_DEP_1) | instskip(NEXT) | instid1(VALU_DEP_1)
	v_add_co_ci_u32_e64 v17, s0, s7, v14, s0
	v_cmp_gt_u64_e64 s0, s[8:9], v[16:17]
	v_mov_b32_e32 v17, 0
	s_delay_alu instid0(VALU_DEP_2)
	s_and_saveexec_b32 s2, s0
	s_cbranch_execz .LBB340_7
; %bb.6:                                ;   in Loop: Header=BB340_3 Depth=1
	v_add_co_u32 v16, s1, v11, s6
	s_delay_alu instid0(VALU_DEP_1)
	v_add_co_ci_u32_e64 v17, s1, s7, v12, s1
	global_load_u8 v17, v[16:17], off
.LBB340_7:                              ;   in Loop: Header=BB340_3 Depth=1
	s_or_b32 exec_lo, exec_lo, s2
	v_add_co_u32 v18, s1, v9, s6
	s_delay_alu instid0(VALU_DEP_1) | instskip(SKIP_1) | instid1(VALU_DEP_2)
	v_add_co_ci_u32_e64 v19, s1, s7, v10, s1
	v_mov_b32_e32 v16, 0
	v_cmp_gt_u64_e64 s1, s[8:9], v[18:19]
	v_mov_b32_e32 v18, 0
	s_delay_alu instid0(VALU_DEP_2)
	s_and_saveexec_b32 s3, s1
	s_cbranch_execz .LBB340_9
; %bb.8:                                ;   in Loop: Header=BB340_3 Depth=1
	v_add_co_u32 v18, s2, v7, s6
	s_delay_alu instid0(VALU_DEP_1)
	v_add_co_ci_u32_e64 v19, s2, s7, v8, s2
	global_load_u8 v18, v[18:19], off
.LBB340_9:                              ;   in Loop: Header=BB340_3 Depth=1
	s_or_b32 exec_lo, exec_lo, s3
	v_add_co_u32 v19, s2, v3, s6
	s_delay_alu instid0(VALU_DEP_1) | instskip(NEXT) | instid1(VALU_DEP_1)
	v_add_co_ci_u32_e64 v20, s2, s7, v4, s2
	v_cmp_gt_u64_e64 s2, s[8:9], v[19:20]
	s_delay_alu instid0(VALU_DEP_1)
	s_and_saveexec_b32 s10, s2
	s_cbranch_execnz .LBB340_14
; %bb.10:                               ;   in Loop: Header=BB340_3 Depth=1
	s_or_b32 exec_lo, exec_lo, s10
	s_and_saveexec_b32 s3, vcc_lo
	s_cbranch_execnz .LBB340_15
.LBB340_11:                             ;   in Loop: Header=BB340_3 Depth=1
	s_or_b32 exec_lo, exec_lo, s3
	s_and_saveexec_b32 s3, s0
	s_cbranch_execnz .LBB340_16
.LBB340_12:                             ;   in Loop: Header=BB340_3 Depth=1
	s_or_b32 exec_lo, exec_lo, s3
	s_and_saveexec_b32 s0, s1
	s_cbranch_execnz .LBB340_17
.LBB340_13:                             ;   in Loop: Header=BB340_3 Depth=1
	s_or_b32 exec_lo, exec_lo, s0
	s_and_saveexec_b32 s0, s2
	s_cbranch_execz .LBB340_2
	s_branch .LBB340_18
.LBB340_14:                             ;   in Loop: Header=BB340_3 Depth=1
	v_add_co_u32 v19, s3, v5, s6
	s_delay_alu instid0(VALU_DEP_1)
	v_add_co_ci_u32_e64 v20, s3, s7, v6, s3
	global_load_u8 v16, v[19:20], off
	s_or_b32 exec_lo, exec_lo, s10
	s_and_saveexec_b32 s3, vcc_lo
	s_cbranch_execz .LBB340_11
.LBB340_15:                             ;   in Loop: Header=BB340_3 Depth=1
	v_add_co_u32 v19, vcc_lo, v1, s6
	v_add_co_ci_u32_e32 v20, vcc_lo, s7, v2, vcc_lo
	s_waitcnt vmcnt(0)
	global_store_b8 v[19:20], v15, off
	s_or_b32 exec_lo, exec_lo, s3
	s_and_saveexec_b32 s3, s0
	s_cbranch_execz .LBB340_12
.LBB340_16:                             ;   in Loop: Header=BB340_3 Depth=1
	v_add_co_u32 v19, vcc_lo, v11, s6
	v_add_co_ci_u32_e32 v20, vcc_lo, s7, v12, vcc_lo
	s_waitcnt vmcnt(0)
	global_store_b8 v[19:20], v17, off
	s_or_b32 exec_lo, exec_lo, s3
	s_and_saveexec_b32 s0, s1
	s_cbranch_execz .LBB340_13
.LBB340_17:                             ;   in Loop: Header=BB340_3 Depth=1
	v_add_co_u32 v19, vcc_lo, v7, s6
	v_add_co_ci_u32_e32 v20, vcc_lo, s7, v8, vcc_lo
	s_waitcnt vmcnt(0)
	global_store_b8 v[19:20], v18, off
	s_or_b32 exec_lo, exec_lo, s0
	s_and_saveexec_b32 s0, s2
	s_cbranch_execz .LBB340_2
.LBB340_18:                             ;   in Loop: Header=BB340_3 Depth=1
	s_waitcnt vmcnt(0)
	v_add_co_u32 v17, vcc_lo, v5, s6
	v_add_co_ci_u32_e32 v18, vcc_lo, s7, v6, vcc_lo
	global_store_b8 v[17:18], v16, off
	s_branch .LBB340_2
.LBB340_19:
	s_nop 0
	s_sendmsg sendmsg(MSG_DEALLOC_VGPRS)
	s_endpgm
	.section	.rodata,"a",@progbits
	.p2align	6, 0x0
	.amdhsa_kernel _ZN2at6native12_GLOBAL__N_125multi_tensor_apply_kernelINS1_18TensorListMetadataILi1EEENS1_14UnaryOpFunctorIhLi1ELi1ELi0EEEJNS0_3AbsIhEEEEEvT_T0_DpT1_
		.amdhsa_group_segment_fixed_size 0
		.amdhsa_private_segment_fixed_size 0
		.amdhsa_kernarg_size 3632
		.amdhsa_user_sgpr_count 15
		.amdhsa_user_sgpr_dispatch_ptr 0
		.amdhsa_user_sgpr_queue_ptr 0
		.amdhsa_user_sgpr_kernarg_segment_ptr 1
		.amdhsa_user_sgpr_dispatch_id 0
		.amdhsa_user_sgpr_private_segment_size 0
		.amdhsa_wavefront_size32 1
		.amdhsa_uses_dynamic_stack 0
		.amdhsa_enable_private_segment 0
		.amdhsa_system_sgpr_workgroup_id_x 1
		.amdhsa_system_sgpr_workgroup_id_y 0
		.amdhsa_system_sgpr_workgroup_id_z 0
		.amdhsa_system_sgpr_workgroup_info 0
		.amdhsa_system_vgpr_workitem_id 0
		.amdhsa_next_free_vgpr 21
		.amdhsa_next_free_sgpr 16
		.amdhsa_reserve_vcc 1
		.amdhsa_float_round_mode_32 0
		.amdhsa_float_round_mode_16_64 0
		.amdhsa_float_denorm_mode_32 3
		.amdhsa_float_denorm_mode_16_64 3
		.amdhsa_dx10_clamp 1
		.amdhsa_ieee_mode 1
		.amdhsa_fp16_overflow 0
		.amdhsa_workgroup_processor_mode 1
		.amdhsa_memory_ordered 1
		.amdhsa_forward_progress 0
		.amdhsa_shared_vgpr_count 0
		.amdhsa_exception_fp_ieee_invalid_op 0
		.amdhsa_exception_fp_denorm_src 0
		.amdhsa_exception_fp_ieee_div_zero 0
		.amdhsa_exception_fp_ieee_overflow 0
		.amdhsa_exception_fp_ieee_underflow 0
		.amdhsa_exception_fp_ieee_inexact 0
		.amdhsa_exception_int_div_zero 0
	.end_amdhsa_kernel
	.section	.text._ZN2at6native12_GLOBAL__N_125multi_tensor_apply_kernelINS1_18TensorListMetadataILi1EEENS1_14UnaryOpFunctorIhLi1ELi1ELi0EEEJNS0_3AbsIhEEEEEvT_T0_DpT1_,"axG",@progbits,_ZN2at6native12_GLOBAL__N_125multi_tensor_apply_kernelINS1_18TensorListMetadataILi1EEENS1_14UnaryOpFunctorIhLi1ELi1ELi0EEEJNS0_3AbsIhEEEEEvT_T0_DpT1_,comdat
.Lfunc_end340:
	.size	_ZN2at6native12_GLOBAL__N_125multi_tensor_apply_kernelINS1_18TensorListMetadataILi1EEENS1_14UnaryOpFunctorIhLi1ELi1ELi0EEEJNS0_3AbsIhEEEEEvT_T0_DpT1_, .Lfunc_end340-_ZN2at6native12_GLOBAL__N_125multi_tensor_apply_kernelINS1_18TensorListMetadataILi1EEENS1_14UnaryOpFunctorIhLi1ELi1ELi0EEEJNS0_3AbsIhEEEEEvT_T0_DpT1_
                                        ; -- End function
	.section	.AMDGPU.csdata,"",@progbits
; Kernel info:
; codeLenInByte = 952
; NumSgprs: 18
; NumVgprs: 21
; ScratchSize: 0
; MemoryBound: 0
; FloatMode: 240
; IeeeMode: 1
; LDSByteSize: 0 bytes/workgroup (compile time only)
; SGPRBlocks: 2
; VGPRBlocks: 2
; NumSGPRsForWavesPerEU: 18
; NumVGPRsForWavesPerEU: 21
; Occupancy: 16
; WaveLimiterHint : 0
; COMPUTE_PGM_RSRC2:SCRATCH_EN: 0
; COMPUTE_PGM_RSRC2:USER_SGPR: 15
; COMPUTE_PGM_RSRC2:TRAP_HANDLER: 0
; COMPUTE_PGM_RSRC2:TGID_X_EN: 1
; COMPUTE_PGM_RSRC2:TGID_Y_EN: 0
; COMPUTE_PGM_RSRC2:TGID_Z_EN: 0
; COMPUTE_PGM_RSRC2:TIDIG_COMP_CNT: 0
	.section	.text._ZN2at6native12_GLOBAL__N_125multi_tensor_apply_kernelINS1_18TensorListMetadataILi1EEENS1_14UnaryOpFunctorIaLi1ELi1ELi0EEEJNS0_3AbsIaEEEEEvT_T0_DpT1_,"axG",@progbits,_ZN2at6native12_GLOBAL__N_125multi_tensor_apply_kernelINS1_18TensorListMetadataILi1EEENS1_14UnaryOpFunctorIaLi1ELi1ELi0EEEJNS0_3AbsIaEEEEEvT_T0_DpT1_,comdat
	.globl	_ZN2at6native12_GLOBAL__N_125multi_tensor_apply_kernelINS1_18TensorListMetadataILi1EEENS1_14UnaryOpFunctorIaLi1ELi1ELi0EEEJNS0_3AbsIaEEEEEvT_T0_DpT1_ ; -- Begin function _ZN2at6native12_GLOBAL__N_125multi_tensor_apply_kernelINS1_18TensorListMetadataILi1EEENS1_14UnaryOpFunctorIaLi1ELi1ELi0EEEJNS0_3AbsIaEEEEEvT_T0_DpT1_
	.p2align	8
	.type	_ZN2at6native12_GLOBAL__N_125multi_tensor_apply_kernelINS1_18TensorListMetadataILi1EEENS1_14UnaryOpFunctorIaLi1ELi1ELi0EEEJNS0_3AbsIaEEEEEvT_T0_DpT1_,@function
_ZN2at6native12_GLOBAL__N_125multi_tensor_apply_kernelINS1_18TensorListMetadataILi1EEENS1_14UnaryOpFunctorIaLi1ELi1ELi0EEEJNS0_3AbsIaEEEEEvT_T0_DpT1_: ; @_ZN2at6native12_GLOBAL__N_125multi_tensor_apply_kernelINS1_18TensorListMetadataILi1EEENS1_14UnaryOpFunctorIaLi1ELi1ELi0EEEJNS0_3AbsIaEEEEEvT_T0_DpT1_
; %bb.0:
	v_mov_b32_e32 v1, s15
	s_add_u32 s2, s0, s15
	s_mul_hi_u32 s3, s15, 3
	s_mul_i32 s15, s15, 3
	s_addc_u32 s4, s1, 0
	global_load_u8 v1, v1, s[0:1] offset:1760
	s_add_u32 s2, s2, s15
	s_addc_u32 s3, s4, s3
	s_load_b32 s4, s[2:3], 0x820
	s_waitcnt vmcnt(0)
	v_readfirstlane_b32 s5, v1
	s_delay_alu instid0(VALU_DEP_1)
	s_lshl_b32 s5, s5, 3
	s_clause 0x1
	s_load_b64 s[2:3], s[0:1], s5 offset:0x0
	s_load_b64 s[8:9], s[0:1], s5 offset:0x370
	s_waitcnt lgkmcnt(0)
	s_ashr_i32 s5, s4, 31
	s_delay_alu instid0(SALU_CYCLE_1) | instskip(NEXT) | instid1(SALU_CYCLE_1)
	s_lshl_b64 s[4:5], s[4:5], 16
	s_add_u32 s12, s2, s4
	s_addc_u32 s13, s3, s5
	s_sub_u32 s6, s8, s4
	s_subb_u32 s7, s9, s5
	s_or_b32 s8, s8, s12
	s_delay_alu instid0(SALU_CYCLE_1) | instskip(NEXT) | instid1(SALU_CYCLE_1)
	s_and_b32 s8, s8, 3
	s_cmp_eq_u32 s8, 0
	s_cbranch_scc1 .LBB341_21
; %bb.1:
	v_cmp_lt_i64_e64 s8, s[6:7], 1
	s_delay_alu instid0(VALU_DEP_1)
	s_and_b32 vcc_lo, exec_lo, s8
	s_cbranch_vccnz .LBB341_20
; %bb.2:
	s_load_b32 s8, s[0:1], 0xd3c
	v_add_co_u32 v11, s9, s4, v0
	s_delay_alu instid0(VALU_DEP_1) | instskip(SKIP_1) | instid1(VALU_DEP_3)
	v_add_co_ci_u32_e64 v12, null, s5, 0, s9
	v_cmp_gt_u64_e64 s9, 0x10000, s[6:7]
	v_add_co_u32 v1, vcc_lo, s2, v11
	s_delay_alu instid0(VALU_DEP_3) | instskip(SKIP_2) | instid1(VALU_DEP_3)
	v_add_co_ci_u32_e32 v2, vcc_lo, s3, v12, vcc_lo
	s_waitcnt lgkmcnt(0)
	s_and_b32 s10, s8, 0xffff
	s_and_b32 s8, s9, exec_lo
	s_mul_i32 s15, s10, 3
	s_cselect_b32 s9, s7, 0
	s_cselect_b32 s8, s6, 0x10000
	s_lshl_b32 s11, s10, 1
	s_lshl_b32 s14, s10, 2
	s_add_u32 s16, s4, s15
	v_add_co_u32 v3, s15, s15, v0
	s_delay_alu instid0(VALU_DEP_1)
	v_add_co_ci_u32_e64 v4, null, 0, 0, s15
	s_addc_u32 s15, s5, 0
	s_add_u32 s16, s2, s16
	s_addc_u32 s15, s3, s15
	s_add_u32 s4, s4, s11
	s_addc_u32 s5, s5, 0
	s_add_u32 s4, s2, s4
	s_addc_u32 s5, s3, s5
	v_add_co_u32 v7, s4, s4, v0
	s_add_u32 s2, s2, s10
	v_add_co_u32 v5, s16, s16, v0
	v_add_co_ci_u32_e64 v8, null, s5, 0, s4
	v_add_co_u32 v9, s4, s11, v0
	s_addc_u32 s3, s3, 0
	v_add_co_u32 v11, vcc_lo, s2, v11
	v_add_co_u32 v13, s2, v0, s10
	v_add_co_ci_u32_e64 v6, null, s15, 0, s16
	v_add_co_ci_u32_e64 v10, null, 0, 0, s4
	v_add_co_ci_u32_e32 v12, vcc_lo, s3, v12, vcc_lo
	v_add_co_ci_u32_e64 v14, null, 0, 0, s2
	s_mov_b64 s[10:11], 0
	s_branch .LBB341_4
.LBB341_3:                              ;   in Loop: Header=BB341_4 Depth=1
	s_or_b32 exec_lo, exec_lo, s2
	s_add_u32 s10, s10, s14
	s_addc_u32 s11, s11, 0
	s_delay_alu instid0(SALU_CYCLE_1) | instskip(SKIP_1) | instid1(VALU_DEP_1)
	v_cmp_lt_i64_e64 s2, s[10:11], s[6:7]
	v_cmp_gt_u64_e64 s3, 0x10000, s[10:11]
	s_and_b32 s2, s2, s3
	s_delay_alu instid0(SALU_CYCLE_1)
	s_and_b32 vcc_lo, exec_lo, s2
	s_cbranch_vccz .LBB341_20
.LBB341_4:                              ; =>This Inner Loop Header: Depth=1
	s_waitcnt vmcnt(0)
	v_add_co_u32 v15, s2, v0, s10
	s_delay_alu instid0(VALU_DEP_1) | instskip(NEXT) | instid1(VALU_DEP_1)
	v_add_co_ci_u32_e64 v16, null, 0, s11, s2
	v_cmp_gt_u64_e32 vcc_lo, s[8:9], v[15:16]
	v_mov_b32_e32 v16, 0
	s_and_saveexec_b32 s3, vcc_lo
	s_cbranch_execz .LBB341_6
; %bb.5:                                ;   in Loop: Header=BB341_4 Depth=1
	v_add_co_u32 v15, s2, v1, s10
	s_delay_alu instid0(VALU_DEP_1)
	v_add_co_ci_u32_e64 v16, s2, s11, v2, s2
	global_load_u8 v16, v[15:16], off
.LBB341_6:                              ;   in Loop: Header=BB341_4 Depth=1
	s_or_b32 exec_lo, exec_lo, s3
	v_add_co_u32 v17, s2, v13, s10
	s_delay_alu instid0(VALU_DEP_1) | instskip(NEXT) | instid1(VALU_DEP_1)
	v_add_co_ci_u32_e64 v18, s2, s11, v14, s2
	v_cmp_gt_u64_e64 s2, s[8:9], v[17:18]
	v_mov_b32_e32 v17, 0
	s_delay_alu instid0(VALU_DEP_2)
	s_and_saveexec_b32 s4, s2
	s_cbranch_execz .LBB341_8
; %bb.7:                                ;   in Loop: Header=BB341_4 Depth=1
	v_add_co_u32 v17, s3, v11, s10
	s_delay_alu instid0(VALU_DEP_1)
	v_add_co_ci_u32_e64 v18, s3, s11, v12, s3
	global_load_u8 v17, v[17:18], off
.LBB341_8:                              ;   in Loop: Header=BB341_4 Depth=1
	s_or_b32 exec_lo, exec_lo, s4
	v_add_co_u32 v18, s3, v9, s10
	s_delay_alu instid0(VALU_DEP_1) | instskip(SKIP_1) | instid1(VALU_DEP_2)
	v_add_co_ci_u32_e64 v19, s3, s11, v10, s3
	v_mov_b32_e32 v15, 0
	v_cmp_gt_u64_e64 s3, s[8:9], v[18:19]
	v_mov_b32_e32 v18, 0
	s_delay_alu instid0(VALU_DEP_2)
	s_and_saveexec_b32 s5, s3
	s_cbranch_execz .LBB341_10
; %bb.9:                                ;   in Loop: Header=BB341_4 Depth=1
	v_add_co_u32 v18, s4, v7, s10
	s_delay_alu instid0(VALU_DEP_1)
	v_add_co_ci_u32_e64 v19, s4, s11, v8, s4
	global_load_u8 v18, v[18:19], off
.LBB341_10:                             ;   in Loop: Header=BB341_4 Depth=1
	s_or_b32 exec_lo, exec_lo, s5
	v_add_co_u32 v19, s4, v3, s10
	s_delay_alu instid0(VALU_DEP_1) | instskip(NEXT) | instid1(VALU_DEP_1)
	v_add_co_ci_u32_e64 v20, s4, s11, v4, s4
	v_cmp_gt_u64_e64 s4, s[8:9], v[19:20]
	s_delay_alu instid0(VALU_DEP_1)
	s_and_saveexec_b32 s15, s4
	s_cbranch_execnz .LBB341_15
; %bb.11:                               ;   in Loop: Header=BB341_4 Depth=1
	s_or_b32 exec_lo, exec_lo, s15
	s_and_saveexec_b32 s5, vcc_lo
	s_cbranch_execnz .LBB341_16
.LBB341_12:                             ;   in Loop: Header=BB341_4 Depth=1
	s_or_b32 exec_lo, exec_lo, s5
	s_and_saveexec_b32 s5, s2
	s_cbranch_execnz .LBB341_17
.LBB341_13:                             ;   in Loop: Header=BB341_4 Depth=1
	s_or_b32 exec_lo, exec_lo, s5
	s_and_saveexec_b32 s2, s3
	s_cbranch_execnz .LBB341_18
.LBB341_14:                             ;   in Loop: Header=BB341_4 Depth=1
	s_or_b32 exec_lo, exec_lo, s2
	s_and_saveexec_b32 s2, s4
	s_cbranch_execz .LBB341_3
	s_branch .LBB341_19
.LBB341_15:                             ;   in Loop: Header=BB341_4 Depth=1
	v_add_co_u32 v19, s5, v5, s10
	s_delay_alu instid0(VALU_DEP_1)
	v_add_co_ci_u32_e64 v20, s5, s11, v6, s5
	global_load_u8 v15, v[19:20], off
	s_or_b32 exec_lo, exec_lo, s15
	s_and_saveexec_b32 s5, vcc_lo
	s_cbranch_execz .LBB341_12
.LBB341_16:                             ;   in Loop: Header=BB341_4 Depth=1
	s_waitcnt vmcnt(0)
	v_bfe_i32 v16, v16, 0, 8
	v_add_co_u32 v19, vcc_lo, v1, s10
	v_add_co_ci_u32_e32 v20, vcc_lo, s11, v2, vcc_lo
	s_delay_alu instid0(VALU_DEP_3) | instskip(NEXT) | instid1(VALU_DEP_1)
	v_sub_nc_u16 v21, 0, v16
	v_max_i16 v16, v16, v21
	global_store_b8 v[19:20], v16, off
	s_or_b32 exec_lo, exec_lo, s5
	s_and_saveexec_b32 s5, s2
	s_cbranch_execz .LBB341_13
.LBB341_17:                             ;   in Loop: Header=BB341_4 Depth=1
	s_waitcnt vmcnt(0)
	v_bfe_i32 v16, v17, 0, 8
	s_delay_alu instid0(VALU_DEP_1) | instskip(NEXT) | instid1(VALU_DEP_1)
	v_sub_nc_u16 v17, 0, v16
	v_max_i16 v19, v16, v17
	v_add_co_u32 v16, vcc_lo, v11, s10
	v_add_co_ci_u32_e32 v17, vcc_lo, s11, v12, vcc_lo
	global_store_b8 v[16:17], v19, off
	s_or_b32 exec_lo, exec_lo, s5
	s_and_saveexec_b32 s2, s3
	s_cbranch_execz .LBB341_14
.LBB341_18:                             ;   in Loop: Header=BB341_4 Depth=1
	s_waitcnt vmcnt(0)
	v_bfe_i32 v16, v18, 0, 8
	s_delay_alu instid0(VALU_DEP_1) | instskip(NEXT) | instid1(VALU_DEP_1)
	v_sub_nc_u16 v17, 0, v16
	v_max_i16 v18, v16, v17
	v_add_co_u32 v16, vcc_lo, v7, s10
	v_add_co_ci_u32_e32 v17, vcc_lo, s11, v8, vcc_lo
	global_store_b8 v[16:17], v18, off
	s_or_b32 exec_lo, exec_lo, s2
	s_and_saveexec_b32 s2, s4
	s_cbranch_execz .LBB341_3
.LBB341_19:                             ;   in Loop: Header=BB341_4 Depth=1
	s_waitcnt vmcnt(0)
	v_bfe_i32 v15, v15, 0, 8
	s_delay_alu instid0(VALU_DEP_1) | instskip(NEXT) | instid1(VALU_DEP_1)
	v_sub_nc_u16 v16, 0, v15
	v_max_i16 v17, v15, v16
	v_add_co_u32 v15, vcc_lo, v5, s10
	v_add_co_ci_u32_e32 v16, vcc_lo, s11, v6, vcc_lo
	global_store_b8 v[15:16], v17, off
	s_branch .LBB341_3
.LBB341_20:
	s_cbranch_execz .LBB341_22
	s_branch .LBB341_25
.LBB341_21:
.LBB341_22:
	v_dual_mov_b32 v1, 0 :: v_dual_lshlrev_b32 v0, 2, v0
	s_mov_b32 s2, exec_lo
	s_delay_alu instid0(VALU_DEP_1)
	v_cmpx_gt_i64_e64 s[6:7], v[0:1]
	s_cbranch_execz .LBB341_25
; %bb.23:
	s_load_b32 s0, s[0:1], 0xd3c
	s_mov_b32 s2, 0
	s_waitcnt lgkmcnt(0)
	s_and_b32 s0, s0, 0xffff
	s_delay_alu instid0(SALU_CYCLE_1)
	s_lshl_b32 s1, s0, 2
.LBB341_24:                             ; =>This Inner Loop Header: Depth=1
	v_add_co_u32 v2, vcc_lo, s12, v0
	v_add_co_ci_u32_e32 v3, vcc_lo, s13, v1, vcc_lo
	v_add_co_u32 v0, vcc_lo, s1, v0
	v_add_co_ci_u32_e32 v1, vcc_lo, 0, v1, vcc_lo
	global_load_b32 v4, v[2:3], off
	v_cmp_le_i64_e32 vcc_lo, s[6:7], v[0:1]
	v_cmp_lt_u64_e64 s0, 0xffff, v[0:1]
	s_delay_alu instid0(VALU_DEP_1) | instskip(NEXT) | instid1(SALU_CYCLE_1)
	s_or_b32 s0, vcc_lo, s0
	s_and_b32 s0, exec_lo, s0
	s_delay_alu instid0(SALU_CYCLE_1)
	s_or_b32 s2, s0, s2
	s_waitcnt vmcnt(0)
	v_lshrrev_b32_e32 v5, 16, v4
	v_ashrrev_i16 v6, 8, v4
	v_lshrrev_b32_e32 v7, 24, v4
	v_bfe_i32 v4, v4, 0, 8
	s_delay_alu instid0(VALU_DEP_4) | instskip(NEXT) | instid1(VALU_DEP_4)
	v_bfe_i32 v5, v5, 0, 8
	v_sub_nc_u16 v8, 0, v6
	s_delay_alu instid0(VALU_DEP_4) | instskip(NEXT) | instid1(VALU_DEP_4)
	v_bfe_i32 v7, v7, 0, 8
	v_sub_nc_u16 v10, 0, v4
	s_delay_alu instid0(VALU_DEP_4) | instskip(NEXT) | instid1(VALU_DEP_4)
	v_sub_nc_u16 v9, 0, v5
	v_max_i16 v6, v6, v8
	s_delay_alu instid0(VALU_DEP_4) | instskip(NEXT) | instid1(VALU_DEP_4)
	v_sub_nc_u16 v8, 0, v7
	v_max_i16 v4, v4, v10
	s_delay_alu instid0(VALU_DEP_4) | instskip(NEXT) | instid1(VALU_DEP_4)
	v_max_i16 v5, v5, v9
	v_and_b32_e32 v6, 0xffff, v6
	s_delay_alu instid0(VALU_DEP_4) | instskip(NEXT) | instid1(VALU_DEP_4)
	v_max_i16 v7, v7, v8
	v_and_b32_e32 v4, 0xffff, v4
	s_delay_alu instid0(VALU_DEP_4) | instskip(NEXT) | instid1(VALU_DEP_4)
	v_lshlrev_b32_e32 v5, 16, v5
	v_lshlrev_b32_e32 v6, 8, v6
	s_delay_alu instid0(VALU_DEP_2) | instskip(NEXT) | instid1(VALU_DEP_1)
	v_lshl_or_b32 v5, v7, 24, v5
	v_or3_b32 v4, v5, v6, v4
	global_store_b32 v[2:3], v4, off
	s_and_not1_b32 exec_lo, exec_lo, s2
	s_cbranch_execnz .LBB341_24
.LBB341_25:
	s_nop 0
	s_sendmsg sendmsg(MSG_DEALLOC_VGPRS)
	s_endpgm
	.section	.rodata,"a",@progbits
	.p2align	6, 0x0
	.amdhsa_kernel _ZN2at6native12_GLOBAL__N_125multi_tensor_apply_kernelINS1_18TensorListMetadataILi1EEENS1_14UnaryOpFunctorIaLi1ELi1ELi0EEEJNS0_3AbsIaEEEEEvT_T0_DpT1_
		.amdhsa_group_segment_fixed_size 0
		.amdhsa_private_segment_fixed_size 0
		.amdhsa_kernarg_size 3632
		.amdhsa_user_sgpr_count 15
		.amdhsa_user_sgpr_dispatch_ptr 0
		.amdhsa_user_sgpr_queue_ptr 0
		.amdhsa_user_sgpr_kernarg_segment_ptr 1
		.amdhsa_user_sgpr_dispatch_id 0
		.amdhsa_user_sgpr_private_segment_size 0
		.amdhsa_wavefront_size32 1
		.amdhsa_uses_dynamic_stack 0
		.amdhsa_enable_private_segment 0
		.amdhsa_system_sgpr_workgroup_id_x 1
		.amdhsa_system_sgpr_workgroup_id_y 0
		.amdhsa_system_sgpr_workgroup_id_z 0
		.amdhsa_system_sgpr_workgroup_info 0
		.amdhsa_system_vgpr_workitem_id 0
		.amdhsa_next_free_vgpr 22
		.amdhsa_next_free_sgpr 17
		.amdhsa_reserve_vcc 1
		.amdhsa_float_round_mode_32 0
		.amdhsa_float_round_mode_16_64 0
		.amdhsa_float_denorm_mode_32 3
		.amdhsa_float_denorm_mode_16_64 3
		.amdhsa_dx10_clamp 1
		.amdhsa_ieee_mode 1
		.amdhsa_fp16_overflow 0
		.amdhsa_workgroup_processor_mode 1
		.amdhsa_memory_ordered 1
		.amdhsa_forward_progress 0
		.amdhsa_shared_vgpr_count 0
		.amdhsa_exception_fp_ieee_invalid_op 0
		.amdhsa_exception_fp_denorm_src 0
		.amdhsa_exception_fp_ieee_div_zero 0
		.amdhsa_exception_fp_ieee_overflow 0
		.amdhsa_exception_fp_ieee_underflow 0
		.amdhsa_exception_fp_ieee_inexact 0
		.amdhsa_exception_int_div_zero 0
	.end_amdhsa_kernel
	.section	.text._ZN2at6native12_GLOBAL__N_125multi_tensor_apply_kernelINS1_18TensorListMetadataILi1EEENS1_14UnaryOpFunctorIaLi1ELi1ELi0EEEJNS0_3AbsIaEEEEEvT_T0_DpT1_,"axG",@progbits,_ZN2at6native12_GLOBAL__N_125multi_tensor_apply_kernelINS1_18TensorListMetadataILi1EEENS1_14UnaryOpFunctorIaLi1ELi1ELi0EEEJNS0_3AbsIaEEEEEvT_T0_DpT1_,comdat
.Lfunc_end341:
	.size	_ZN2at6native12_GLOBAL__N_125multi_tensor_apply_kernelINS1_18TensorListMetadataILi1EEENS1_14UnaryOpFunctorIaLi1ELi1ELi0EEEJNS0_3AbsIaEEEEEvT_T0_DpT1_, .Lfunc_end341-_ZN2at6native12_GLOBAL__N_125multi_tensor_apply_kernelINS1_18TensorListMetadataILi1EEENS1_14UnaryOpFunctorIaLi1ELi1ELi0EEEJNS0_3AbsIaEEEEEvT_T0_DpT1_
                                        ; -- End function
	.section	.AMDGPU.csdata,"",@progbits
; Kernel info:
; codeLenInByte = 1396
; NumSgprs: 19
; NumVgprs: 22
; ScratchSize: 0
; MemoryBound: 0
; FloatMode: 240
; IeeeMode: 1
; LDSByteSize: 0 bytes/workgroup (compile time only)
; SGPRBlocks: 2
; VGPRBlocks: 2
; NumSGPRsForWavesPerEU: 19
; NumVGPRsForWavesPerEU: 22
; Occupancy: 16
; WaveLimiterHint : 0
; COMPUTE_PGM_RSRC2:SCRATCH_EN: 0
; COMPUTE_PGM_RSRC2:USER_SGPR: 15
; COMPUTE_PGM_RSRC2:TRAP_HANDLER: 0
; COMPUTE_PGM_RSRC2:TGID_X_EN: 1
; COMPUTE_PGM_RSRC2:TGID_Y_EN: 0
; COMPUTE_PGM_RSRC2:TGID_Z_EN: 0
; COMPUTE_PGM_RSRC2:TIDIG_COMP_CNT: 0
	.section	.text._ZN2at6native12_GLOBAL__N_125multi_tensor_apply_kernelINS1_18TensorListMetadataILi1EEENS1_14UnaryOpFunctorIiLi1ELi1ELi0EEEJNS0_3AbsIiEEEEEvT_T0_DpT1_,"axG",@progbits,_ZN2at6native12_GLOBAL__N_125multi_tensor_apply_kernelINS1_18TensorListMetadataILi1EEENS1_14UnaryOpFunctorIiLi1ELi1ELi0EEEJNS0_3AbsIiEEEEEvT_T0_DpT1_,comdat
	.globl	_ZN2at6native12_GLOBAL__N_125multi_tensor_apply_kernelINS1_18TensorListMetadataILi1EEENS1_14UnaryOpFunctorIiLi1ELi1ELi0EEEJNS0_3AbsIiEEEEEvT_T0_DpT1_ ; -- Begin function _ZN2at6native12_GLOBAL__N_125multi_tensor_apply_kernelINS1_18TensorListMetadataILi1EEENS1_14UnaryOpFunctorIiLi1ELi1ELi0EEEJNS0_3AbsIiEEEEEvT_T0_DpT1_
	.p2align	8
	.type	_ZN2at6native12_GLOBAL__N_125multi_tensor_apply_kernelINS1_18TensorListMetadataILi1EEENS1_14UnaryOpFunctorIiLi1ELi1ELi0EEEJNS0_3AbsIiEEEEEvT_T0_DpT1_,@function
_ZN2at6native12_GLOBAL__N_125multi_tensor_apply_kernelINS1_18TensorListMetadataILi1EEENS1_14UnaryOpFunctorIiLi1ELi1ELi0EEEJNS0_3AbsIiEEEEEvT_T0_DpT1_: ; @_ZN2at6native12_GLOBAL__N_125multi_tensor_apply_kernelINS1_18TensorListMetadataILi1EEENS1_14UnaryOpFunctorIiLi1ELi1ELi0EEEJNS0_3AbsIiEEEEEvT_T0_DpT1_
; %bb.0:
	v_mov_b32_e32 v1, s15
	s_add_u32 s2, s0, s15
	s_mul_hi_u32 s3, s15, 3
	s_mul_i32 s15, s15, 3
	s_addc_u32 s4, s1, 0
	global_load_u8 v1, v1, s[0:1] offset:1760
	s_add_u32 s2, s2, s15
	s_addc_u32 s3, s4, s3
	s_mov_b32 s13, 0
	s_load_b32 s2, s[2:3], 0x820
	s_waitcnt vmcnt(0)
	v_readfirstlane_b32 s5, v1
	s_delay_alu instid0(VALU_DEP_1)
	s_lshl_b32 s3, s5, 3
	s_clause 0x1
	s_load_b64 s[8:9], s[0:1], s3 offset:0x0
	s_load_b64 s[4:5], s[0:1], s3 offset:0x370
	s_waitcnt lgkmcnt(0)
	s_ashr_i32 s3, s2, 31
	s_delay_alu instid0(SALU_CYCLE_1)
	s_lshl_b64 s[10:11], s[2:3], 18
	s_lshl_b64 s[2:3], s[2:3], 16
	s_and_b32 s12, s8, 15
	s_sub_u32 s6, s4, s2
	s_subb_u32 s7, s5, s3
	s_and_b32 s2, s4, 3
	s_mov_b32 s3, s13
	s_delay_alu instid0(SALU_CYCLE_1) | instskip(NEXT) | instid1(SALU_CYCLE_1)
	s_or_b64 s[2:3], s[12:13], s[2:3]
	s_cmp_eq_u64 s[2:3], 0
	s_cbranch_scc1 .LBB342_21
; %bb.1:
	v_cmp_lt_i64_e64 s2, s[6:7], 1
	s_delay_alu instid0(VALU_DEP_1)
	s_and_b32 vcc_lo, exec_lo, s2
	s_cbranch_vccnz .LBB342_20
; %bb.2:
	s_load_b32 s2, s[0:1], 0xd3c
	v_cmp_gt_u64_e64 s3, 0x10000, s[6:7]
	v_lshlrev_b32_e32 v1, 2, v0
	s_waitcnt lgkmcnt(0)
	s_and_b32 s2, s2, 0xffff
	s_delay_alu instid0(VALU_DEP_2)
	s_and_b32 s3, s3, exec_lo
	v_add_co_u32 v5, s5, v0, s2
	s_cselect_b32 s13, s7, 0
	s_cselect_b32 s12, s6, 0x10000
	s_lshl_b32 s3, s2, 1
	s_lshl_b32 s16, s2, 2
	v_lshlrev_b32_e32 v3, 2, v5
	v_add_co_ci_u32_e64 v6, null, 0, 0, s5
	s_add_u32 s5, s8, s10
	v_add_co_u32 v9, s3, s3, v0
	s_mul_i32 s4, s2, 3
	s_addc_u32 s14, s9, s11
	v_add_co_ci_u32_e64 v10, null, 0, 0, s3
	v_add_co_u32 v1, s3, s5, v1
	v_add_co_u32 v7, s4, s4, v0
	v_add_co_ci_u32_e64 v2, null, s14, 0, s3
	v_add_co_u32 v3, s3, s5, v3
	v_add_co_ci_u32_e64 v8, null, 0, 0, s4
	v_add_co_ci_u32_e64 v4, null, s14, 0, s3
	s_lshl_b32 s17, s2, 4
	s_mul_i32 s18, s2, 12
	s_lshl_b32 s19, s2, 3
	s_mov_b64 s[14:15], 0
	s_branch .LBB342_4
.LBB342_3:                              ;   in Loop: Header=BB342_4 Depth=1
	s_or_b32 exec_lo, exec_lo, s2
	s_add_u32 s14, s14, s16
	s_addc_u32 s15, s15, 0
	v_add_co_u32 v1, vcc_lo, v1, s17
	v_cmp_lt_i64_e64 s2, s[14:15], s[6:7]
	v_cmp_gt_u64_e64 s3, 0x10000, s[14:15]
	v_add_co_ci_u32_e32 v2, vcc_lo, 0, v2, vcc_lo
	v_add_co_u32 v3, vcc_lo, v3, s17
	v_add_co_ci_u32_e32 v4, vcc_lo, 0, v4, vcc_lo
	s_delay_alu instid0(VALU_DEP_4) | instskip(NEXT) | instid1(SALU_CYCLE_1)
	s_and_b32 s2, s2, s3
	s_and_b32 vcc_lo, exec_lo, s2
	s_cbranch_vccz .LBB342_20
.LBB342_4:                              ; =>This Inner Loop Header: Depth=1
	s_waitcnt vmcnt(0)
	v_add_co_u32 v11, s2, v0, s14
	s_delay_alu instid0(VALU_DEP_1) | instskip(NEXT) | instid1(VALU_DEP_1)
	v_add_co_ci_u32_e64 v12, null, 0, s15, s2
	v_cmp_gt_u64_e32 vcc_lo, s[12:13], v[11:12]
	v_mov_b32_e32 v11, 0
	s_and_saveexec_b32 s2, vcc_lo
	s_cbranch_execz .LBB342_6
; %bb.5:                                ;   in Loop: Header=BB342_4 Depth=1
	global_load_b32 v11, v[1:2], off
.LBB342_6:                              ;   in Loop: Header=BB342_4 Depth=1
	s_or_b32 exec_lo, exec_lo, s2
	v_add_co_u32 v12, s2, v5, s14
	s_delay_alu instid0(VALU_DEP_1) | instskip(NEXT) | instid1(VALU_DEP_1)
	v_add_co_ci_u32_e64 v13, s2, s15, v6, s2
	v_cmp_gt_u64_e64 s2, s[12:13], v[12:13]
	v_mov_b32_e32 v13, 0
	s_delay_alu instid0(VALU_DEP_2)
	s_and_saveexec_b32 s3, s2
	s_cbranch_execz .LBB342_8
; %bb.7:                                ;   in Loop: Header=BB342_4 Depth=1
	global_load_b32 v13, v[3:4], off
.LBB342_8:                              ;   in Loop: Header=BB342_4 Depth=1
	s_or_b32 exec_lo, exec_lo, s3
	v_add_co_u32 v14, s3, v9, s14
	s_delay_alu instid0(VALU_DEP_1) | instskip(SKIP_1) | instid1(VALU_DEP_2)
	v_add_co_ci_u32_e64 v15, s3, s15, v10, s3
	v_mov_b32_e32 v12, 0
	v_cmp_gt_u64_e64 s3, s[12:13], v[14:15]
	v_mov_b32_e32 v14, 0
	s_delay_alu instid0(VALU_DEP_2)
	s_and_saveexec_b32 s5, s3
	s_cbranch_execz .LBB342_10
; %bb.9:                                ;   in Loop: Header=BB342_4 Depth=1
	v_add_co_u32 v14, s4, v1, s19
	s_delay_alu instid0(VALU_DEP_1)
	v_add_co_ci_u32_e64 v15, s4, 0, v2, s4
	global_load_b32 v14, v[14:15], off
.LBB342_10:                             ;   in Loop: Header=BB342_4 Depth=1
	s_or_b32 exec_lo, exec_lo, s5
	v_add_co_u32 v15, s4, v7, s14
	s_delay_alu instid0(VALU_DEP_1) | instskip(NEXT) | instid1(VALU_DEP_1)
	v_add_co_ci_u32_e64 v16, s4, s15, v8, s4
	v_cmp_gt_u64_e64 s4, s[12:13], v[15:16]
	s_delay_alu instid0(VALU_DEP_1)
	s_and_saveexec_b32 s20, s4
	s_cbranch_execnz .LBB342_15
; %bb.11:                               ;   in Loop: Header=BB342_4 Depth=1
	s_or_b32 exec_lo, exec_lo, s20
	s_and_saveexec_b32 s5, vcc_lo
	s_cbranch_execnz .LBB342_16
.LBB342_12:                             ;   in Loop: Header=BB342_4 Depth=1
	s_or_b32 exec_lo, exec_lo, s5
	s_and_saveexec_b32 s5, s2
	s_cbranch_execnz .LBB342_17
.LBB342_13:                             ;   in Loop: Header=BB342_4 Depth=1
	s_or_b32 exec_lo, exec_lo, s5
	s_and_saveexec_b32 s2, s3
	s_cbranch_execnz .LBB342_18
.LBB342_14:                             ;   in Loop: Header=BB342_4 Depth=1
	s_or_b32 exec_lo, exec_lo, s2
	s_and_saveexec_b32 s2, s4
	s_cbranch_execz .LBB342_3
	s_branch .LBB342_19
.LBB342_15:                             ;   in Loop: Header=BB342_4 Depth=1
	v_add_co_u32 v15, s5, v1, s18
	s_delay_alu instid0(VALU_DEP_1)
	v_add_co_ci_u32_e64 v16, s5, 0, v2, s5
	global_load_b32 v12, v[15:16], off
	s_or_b32 exec_lo, exec_lo, s20
	s_and_saveexec_b32 s5, vcc_lo
	s_cbranch_execz .LBB342_12
.LBB342_16:                             ;   in Loop: Header=BB342_4 Depth=1
	s_waitcnt vmcnt(0)
	v_sub_nc_u32_e32 v15, 0, v11
	s_delay_alu instid0(VALU_DEP_1)
	v_max_i32_e32 v11, v11, v15
	global_store_b32 v[1:2], v11, off
	s_or_b32 exec_lo, exec_lo, s5
	s_and_saveexec_b32 s5, s2
	s_cbranch_execz .LBB342_13
.LBB342_17:                             ;   in Loop: Header=BB342_4 Depth=1
	s_waitcnt vmcnt(0)
	v_sub_nc_u32_e32 v11, 0, v13
	s_delay_alu instid0(VALU_DEP_1)
	v_max_i32_e32 v11, v13, v11
	global_store_b32 v[3:4], v11, off
	s_or_b32 exec_lo, exec_lo, s5
	s_and_saveexec_b32 s2, s3
	s_cbranch_execz .LBB342_14
.LBB342_18:                             ;   in Loop: Header=BB342_4 Depth=1
	s_waitcnt vmcnt(0)
	v_sub_nc_u32_e32 v11, 0, v14
	v_add_co_u32 v13, vcc_lo, v1, s19
	s_delay_alu instid0(VALU_DEP_2)
	v_max_i32_e32 v11, v14, v11
	v_add_co_ci_u32_e32 v14, vcc_lo, 0, v2, vcc_lo
	global_store_b32 v[13:14], v11, off
	s_or_b32 exec_lo, exec_lo, s2
	s_and_saveexec_b32 s2, s4
	s_cbranch_execz .LBB342_3
.LBB342_19:                             ;   in Loop: Header=BB342_4 Depth=1
	s_waitcnt vmcnt(0)
	v_sub_nc_u32_e32 v11, 0, v12
	s_delay_alu instid0(VALU_DEP_1)
	v_max_i32_e32 v13, v12, v11
	v_add_co_u32 v11, vcc_lo, v1, s18
	v_add_co_ci_u32_e32 v12, vcc_lo, 0, v2, vcc_lo
	global_store_b32 v[11:12], v13, off
	s_branch .LBB342_3
.LBB342_20:
	s_cbranch_execz .LBB342_22
	s_branch .LBB342_25
.LBB342_21:
.LBB342_22:
	v_dual_mov_b32 v2, 0 :: v_dual_lshlrev_b32 v1, 2, v0
	s_mov_b32 s2, 0
	s_mov_b32 s3, exec_lo
	s_delay_alu instid0(VALU_DEP_1)
	v_cmpx_gt_i64_e64 s[6:7], v[1:2]
	s_cbranch_execz .LBB342_25
; %bb.23:
	s_load_b32 s0, s[0:1], 0xd3c
	v_lshlrev_b32_e32 v1, 4, v0
	s_waitcnt lgkmcnt(0)
	s_and_b32 s0, s0, 0xffff
	s_delay_alu instid0(SALU_CYCLE_1) | instskip(SKIP_3) | instid1(VALU_DEP_1)
	s_lshl_b32 s3, s0, 2
	s_add_u32 s1, s8, s10
	s_addc_u32 s4, s9, s11
	v_add_co_u32 v3, s1, s1, v1
	v_add_co_ci_u32_e64 v4, null, s4, 0, s1
	v_add_lshl_u32 v1, v0, s0, 2
	s_delay_alu instid0(VALU_DEP_3) | instskip(NEXT) | instid1(VALU_DEP_3)
	v_add_co_u32 v3, vcc_lo, v3, 8
	v_add_co_ci_u32_e32 v4, vcc_lo, 0, v4, vcc_lo
	s_lshl_b32 s4, s0, 4
	.p2align	6
.LBB342_24:                             ; =>This Inner Loop Header: Depth=1
	global_load_b128 v[5:8], v[3:4], off offset:-8
	v_cmp_le_i64_e32 vcc_lo, s[6:7], v[1:2]
	v_cmp_lt_u64_e64 s0, 0xffff, v[1:2]
	v_add_co_u32 v1, s1, v1, s3
	s_delay_alu instid0(VALU_DEP_1) | instskip(NEXT) | instid1(VALU_DEP_3)
	v_add_co_ci_u32_e64 v2, s1, 0, v2, s1
	s_or_b32 s0, vcc_lo, s0
	s_delay_alu instid0(SALU_CYCLE_1) | instskip(NEXT) | instid1(SALU_CYCLE_1)
	s_and_b32 s0, exec_lo, s0
	s_or_b32 s2, s0, s2
	s_waitcnt vmcnt(0)
	v_sub_nc_u32_e32 v0, 0, v5
	v_sub_nc_u32_e32 v9, 0, v6
	;; [unrolled: 1-line block ×4, first 2 shown]
	s_delay_alu instid0(VALU_DEP_4) | instskip(NEXT) | instid1(VALU_DEP_4)
	v_max_i32_e32 v5, v5, v0
	v_max_i32_e32 v6, v6, v9
	s_delay_alu instid0(VALU_DEP_4) | instskip(NEXT) | instid1(VALU_DEP_4)
	v_max_i32_e32 v7, v7, v10
	v_max_i32_e32 v8, v8, v11
	global_store_b128 v[3:4], v[5:8], off offset:-8
	v_add_co_u32 v3, vcc_lo, v3, s4
	v_add_co_ci_u32_e32 v4, vcc_lo, 0, v4, vcc_lo
	s_and_not1_b32 exec_lo, exec_lo, s2
	s_cbranch_execnz .LBB342_24
.LBB342_25:
	s_nop 0
	s_sendmsg sendmsg(MSG_DEALLOC_VGPRS)
	s_endpgm
	.section	.rodata,"a",@progbits
	.p2align	6, 0x0
	.amdhsa_kernel _ZN2at6native12_GLOBAL__N_125multi_tensor_apply_kernelINS1_18TensorListMetadataILi1EEENS1_14UnaryOpFunctorIiLi1ELi1ELi0EEEJNS0_3AbsIiEEEEEvT_T0_DpT1_
		.amdhsa_group_segment_fixed_size 0
		.amdhsa_private_segment_fixed_size 0
		.amdhsa_kernarg_size 3632
		.amdhsa_user_sgpr_count 15
		.amdhsa_user_sgpr_dispatch_ptr 0
		.amdhsa_user_sgpr_queue_ptr 0
		.amdhsa_user_sgpr_kernarg_segment_ptr 1
		.amdhsa_user_sgpr_dispatch_id 0
		.amdhsa_user_sgpr_private_segment_size 0
		.amdhsa_wavefront_size32 1
		.amdhsa_uses_dynamic_stack 0
		.amdhsa_enable_private_segment 0
		.amdhsa_system_sgpr_workgroup_id_x 1
		.amdhsa_system_sgpr_workgroup_id_y 0
		.amdhsa_system_sgpr_workgroup_id_z 0
		.amdhsa_system_sgpr_workgroup_info 0
		.amdhsa_system_vgpr_workitem_id 0
		.amdhsa_next_free_vgpr 17
		.amdhsa_next_free_sgpr 21
		.amdhsa_reserve_vcc 1
		.amdhsa_float_round_mode_32 0
		.amdhsa_float_round_mode_16_64 0
		.amdhsa_float_denorm_mode_32 3
		.amdhsa_float_denorm_mode_16_64 3
		.amdhsa_dx10_clamp 1
		.amdhsa_ieee_mode 1
		.amdhsa_fp16_overflow 0
		.amdhsa_workgroup_processor_mode 1
		.amdhsa_memory_ordered 1
		.amdhsa_forward_progress 0
		.amdhsa_shared_vgpr_count 0
		.amdhsa_exception_fp_ieee_invalid_op 0
		.amdhsa_exception_fp_denorm_src 0
		.amdhsa_exception_fp_ieee_div_zero 0
		.amdhsa_exception_fp_ieee_overflow 0
		.amdhsa_exception_fp_ieee_underflow 0
		.amdhsa_exception_fp_ieee_inexact 0
		.amdhsa_exception_int_div_zero 0
	.end_amdhsa_kernel
	.section	.text._ZN2at6native12_GLOBAL__N_125multi_tensor_apply_kernelINS1_18TensorListMetadataILi1EEENS1_14UnaryOpFunctorIiLi1ELi1ELi0EEEJNS0_3AbsIiEEEEEvT_T0_DpT1_,"axG",@progbits,_ZN2at6native12_GLOBAL__N_125multi_tensor_apply_kernelINS1_18TensorListMetadataILi1EEENS1_14UnaryOpFunctorIiLi1ELi1ELi0EEEJNS0_3AbsIiEEEEEvT_T0_DpT1_,comdat
.Lfunc_end342:
	.size	_ZN2at6native12_GLOBAL__N_125multi_tensor_apply_kernelINS1_18TensorListMetadataILi1EEENS1_14UnaryOpFunctorIiLi1ELi1ELi0EEEJNS0_3AbsIiEEEEEvT_T0_DpT1_, .Lfunc_end342-_ZN2at6native12_GLOBAL__N_125multi_tensor_apply_kernelINS1_18TensorListMetadataILi1EEENS1_14UnaryOpFunctorIiLi1ELi1ELi0EEEJNS0_3AbsIiEEEEEvT_T0_DpT1_
                                        ; -- End function
	.section	.AMDGPU.csdata,"",@progbits
; Kernel info:
; codeLenInByte = 1160
; NumSgprs: 23
; NumVgprs: 17
; ScratchSize: 0
; MemoryBound: 0
; FloatMode: 240
; IeeeMode: 1
; LDSByteSize: 0 bytes/workgroup (compile time only)
; SGPRBlocks: 2
; VGPRBlocks: 2
; NumSGPRsForWavesPerEU: 23
; NumVGPRsForWavesPerEU: 17
; Occupancy: 16
; WaveLimiterHint : 0
; COMPUTE_PGM_RSRC2:SCRATCH_EN: 0
; COMPUTE_PGM_RSRC2:USER_SGPR: 15
; COMPUTE_PGM_RSRC2:TRAP_HANDLER: 0
; COMPUTE_PGM_RSRC2:TGID_X_EN: 1
; COMPUTE_PGM_RSRC2:TGID_Y_EN: 0
; COMPUTE_PGM_RSRC2:TGID_Z_EN: 0
; COMPUTE_PGM_RSRC2:TIDIG_COMP_CNT: 0
	.section	.text._ZN2at6native12_GLOBAL__N_125multi_tensor_apply_kernelINS1_18TensorListMetadataILi1EEENS1_14UnaryOpFunctorIlLi1ELi1ELi0EEEJNS0_3AbsIlEEEEEvT_T0_DpT1_,"axG",@progbits,_ZN2at6native12_GLOBAL__N_125multi_tensor_apply_kernelINS1_18TensorListMetadataILi1EEENS1_14UnaryOpFunctorIlLi1ELi1ELi0EEEJNS0_3AbsIlEEEEEvT_T0_DpT1_,comdat
	.globl	_ZN2at6native12_GLOBAL__N_125multi_tensor_apply_kernelINS1_18TensorListMetadataILi1EEENS1_14UnaryOpFunctorIlLi1ELi1ELi0EEEJNS0_3AbsIlEEEEEvT_T0_DpT1_ ; -- Begin function _ZN2at6native12_GLOBAL__N_125multi_tensor_apply_kernelINS1_18TensorListMetadataILi1EEENS1_14UnaryOpFunctorIlLi1ELi1ELi0EEEJNS0_3AbsIlEEEEEvT_T0_DpT1_
	.p2align	8
	.type	_ZN2at6native12_GLOBAL__N_125multi_tensor_apply_kernelINS1_18TensorListMetadataILi1EEENS1_14UnaryOpFunctorIlLi1ELi1ELi0EEEJNS0_3AbsIlEEEEEvT_T0_DpT1_,@function
_ZN2at6native12_GLOBAL__N_125multi_tensor_apply_kernelINS1_18TensorListMetadataILi1EEENS1_14UnaryOpFunctorIlLi1ELi1ELi0EEEJNS0_3AbsIlEEEEEvT_T0_DpT1_: ; @_ZN2at6native12_GLOBAL__N_125multi_tensor_apply_kernelINS1_18TensorListMetadataILi1EEENS1_14UnaryOpFunctorIlLi1ELi1ELi0EEEJNS0_3AbsIlEEEEEvT_T0_DpT1_
; %bb.0:
	v_mov_b32_e32 v1, s15
	s_add_u32 s2, s0, s15
	s_mul_hi_u32 s3, s15, 3
	s_mul_i32 s15, s15, 3
	s_addc_u32 s4, s1, 0
	global_load_u8 v1, v1, s[0:1] offset:1760
	s_add_u32 s2, s2, s15
	s_addc_u32 s3, s4, s3
	s_mov_b32 s13, 0
	s_load_b32 s2, s[2:3], 0x820
	s_waitcnt vmcnt(0)
	v_readfirstlane_b32 s5, v1
	s_delay_alu instid0(VALU_DEP_1)
	s_lshl_b32 s3, s5, 3
	s_clause 0x1
	s_load_b64 s[8:9], s[0:1], s3 offset:0x0
	s_load_b64 s[4:5], s[0:1], s3 offset:0x370
	s_waitcnt lgkmcnt(0)
	s_ashr_i32 s3, s2, 31
	s_delay_alu instid0(SALU_CYCLE_1)
	s_lshl_b64 s[10:11], s[2:3], 19
	s_lshl_b64 s[2:3], s[2:3], 16
	s_and_b32 s12, s8, 31
	s_sub_u32 s6, s4, s2
	s_subb_u32 s7, s5, s3
	s_and_b32 s2, s4, 3
	s_mov_b32 s3, s13
	s_delay_alu instid0(SALU_CYCLE_1) | instskip(NEXT) | instid1(SALU_CYCLE_1)
	s_or_b64 s[2:3], s[12:13], s[2:3]
	s_cmp_eq_u64 s[2:3], 0
	s_cbranch_scc1 .LBB343_21
; %bb.1:
	v_cmp_lt_i64_e64 s2, s[6:7], 1
	s_delay_alu instid0(VALU_DEP_1)
	s_and_b32 vcc_lo, exec_lo, s2
	s_cbranch_vccnz .LBB343_20
; %bb.2:
	s_load_b32 s2, s[0:1], 0xd3c
	v_cmp_gt_u64_e64 s3, 0x10000, s[6:7]
	v_lshlrev_b32_e32 v1, 3, v0
	s_waitcnt lgkmcnt(0)
	s_and_b32 s2, s2, 0xffff
	s_delay_alu instid0(VALU_DEP_2)
	s_and_b32 s3, s3, exec_lo
	v_add_co_u32 v13, s5, v0, s2
	s_cselect_b32 s13, s7, 0
	s_cselect_b32 s12, s6, 0x10000
	s_lshl_b32 s3, s2, 1
	s_lshl_b32 s16, s2, 2
	v_lshlrev_b32_e32 v3, 3, v13
	v_add_co_ci_u32_e64 v14, null, 0, 0, s5
	s_add_u32 s5, s8, s10
	v_add_co_u32 v17, s3, s3, v0
	s_mul_i32 s4, s2, 3
	s_addc_u32 s14, s9, s11
	v_add_co_ci_u32_e64 v18, null, 0, 0, s3
	v_add_co_u32 v1, s3, s5, v1
	v_add_co_u32 v15, s4, s4, v0
	v_add_co_ci_u32_e64 v2, null, s14, 0, s3
	v_add_co_u32 v3, s3, s5, v3
	v_add_co_ci_u32_e64 v16, null, 0, 0, s4
	v_add_co_ci_u32_e64 v4, null, s14, 0, s3
	s_lshl_b32 s17, s2, 5
	s_mul_i32 s18, s2, 24
	s_lshl_b32 s19, s2, 4
	s_mov_b64 s[14:15], 0
	s_branch .LBB343_4
.LBB343_3:                              ;   in Loop: Header=BB343_4 Depth=1
	s_or_b32 exec_lo, exec_lo, s2
	s_add_u32 s14, s14, s16
	s_addc_u32 s15, s15, 0
	v_add_co_u32 v1, vcc_lo, v1, s17
	v_cmp_lt_i64_e64 s2, s[14:15], s[6:7]
	v_cmp_gt_u64_e64 s3, 0x10000, s[14:15]
	v_add_co_ci_u32_e32 v2, vcc_lo, 0, v2, vcc_lo
	v_add_co_u32 v3, vcc_lo, v3, s17
	v_add_co_ci_u32_e32 v4, vcc_lo, 0, v4, vcc_lo
	s_delay_alu instid0(VALU_DEP_4) | instskip(NEXT) | instid1(SALU_CYCLE_1)
	s_and_b32 s2, s2, s3
	s_and_b32 vcc_lo, exec_lo, s2
	s_cbranch_vccz .LBB343_20
.LBB343_4:                              ; =>This Inner Loop Header: Depth=1
	s_waitcnt vmcnt(0)
	v_add_co_u32 v7, s2, v0, s14
	s_delay_alu instid0(VALU_DEP_1) | instskip(SKIP_2) | instid1(VALU_DEP_3)
	v_add_co_ci_u32_e64 v8, null, 0, s15, s2
	v_mov_b32_e32 v5, 0
	v_mov_b32_e32 v6, 0
	v_cmp_gt_u64_e32 vcc_lo, s[12:13], v[7:8]
	s_delay_alu instid0(VALU_DEP_2)
	v_dual_mov_b32 v10, v6 :: v_dual_mov_b32 v9, v5
	s_and_saveexec_b32 s2, vcc_lo
	s_cbranch_execz .LBB343_6
; %bb.5:                                ;   in Loop: Header=BB343_4 Depth=1
	global_load_b64 v[9:10], v[1:2], off
.LBB343_6:                              ;   in Loop: Header=BB343_4 Depth=1
	s_or_b32 exec_lo, exec_lo, s2
	v_add_co_u32 v7, s2, v13, s14
	s_delay_alu instid0(VALU_DEP_1) | instskip(NEXT) | instid1(VALU_DEP_1)
	v_add_co_ci_u32_e64 v8, s2, s15, v14, s2
	v_cmp_gt_u64_e64 s2, s[12:13], v[7:8]
	s_delay_alu instid0(VALU_DEP_1)
	s_and_saveexec_b32 s3, s2
	s_cbranch_execz .LBB343_8
; %bb.7:                                ;   in Loop: Header=BB343_4 Depth=1
	global_load_b64 v[5:6], v[3:4], off
.LBB343_8:                              ;   in Loop: Header=BB343_4 Depth=1
	s_or_b32 exec_lo, exec_lo, s3
	v_add_co_u32 v11, s3, v17, s14
	s_delay_alu instid0(VALU_DEP_1) | instskip(SKIP_2) | instid1(VALU_DEP_3)
	v_add_co_ci_u32_e64 v12, s3, s15, v18, s3
	v_mov_b32_e32 v7, 0
	v_mov_b32_e32 v8, 0
	v_cmp_gt_u64_e64 s3, s[12:13], v[11:12]
	s_delay_alu instid0(VALU_DEP_2) | instskip(NEXT) | instid1(VALU_DEP_2)
	v_dual_mov_b32 v12, v8 :: v_dual_mov_b32 v11, v7
	s_and_saveexec_b32 s5, s3
	s_cbranch_execz .LBB343_10
; %bb.9:                                ;   in Loop: Header=BB343_4 Depth=1
	v_add_co_u32 v11, s4, v1, s19
	s_delay_alu instid0(VALU_DEP_1)
	v_add_co_ci_u32_e64 v12, s4, 0, v2, s4
	global_load_b64 v[11:12], v[11:12], off
.LBB343_10:                             ;   in Loop: Header=BB343_4 Depth=1
	s_or_b32 exec_lo, exec_lo, s5
	v_add_co_u32 v19, s4, v15, s14
	s_delay_alu instid0(VALU_DEP_1) | instskip(NEXT) | instid1(VALU_DEP_1)
	v_add_co_ci_u32_e64 v20, s4, s15, v16, s4
	v_cmp_gt_u64_e64 s4, s[12:13], v[19:20]
	s_delay_alu instid0(VALU_DEP_1)
	s_and_saveexec_b32 s20, s4
	s_cbranch_execnz .LBB343_15
; %bb.11:                               ;   in Loop: Header=BB343_4 Depth=1
	s_or_b32 exec_lo, exec_lo, s20
	s_and_saveexec_b32 s5, vcc_lo
	s_cbranch_execnz .LBB343_16
.LBB343_12:                             ;   in Loop: Header=BB343_4 Depth=1
	s_or_b32 exec_lo, exec_lo, s5
	s_and_saveexec_b32 s5, s2
	s_cbranch_execnz .LBB343_17
.LBB343_13:                             ;   in Loop: Header=BB343_4 Depth=1
	s_or_b32 exec_lo, exec_lo, s5
	s_and_saveexec_b32 s2, s3
	s_cbranch_execnz .LBB343_18
.LBB343_14:                             ;   in Loop: Header=BB343_4 Depth=1
	s_or_b32 exec_lo, exec_lo, s2
	s_and_saveexec_b32 s2, s4
	s_cbranch_execz .LBB343_3
	s_branch .LBB343_19
.LBB343_15:                             ;   in Loop: Header=BB343_4 Depth=1
	v_add_co_u32 v7, s5, v1, s18
	s_delay_alu instid0(VALU_DEP_1)
	v_add_co_ci_u32_e64 v8, s5, 0, v2, s5
	global_load_b64 v[7:8], v[7:8], off
	s_or_b32 exec_lo, exec_lo, s20
	s_and_saveexec_b32 s5, vcc_lo
	s_cbranch_execz .LBB343_12
.LBB343_16:                             ;   in Loop: Header=BB343_4 Depth=1
	s_waitcnt vmcnt(0)
	v_ashrrev_i32_e32 v19, 31, v10
	s_delay_alu instid0(VALU_DEP_1) | instskip(SKIP_1) | instid1(VALU_DEP_2)
	v_xor_b32_e32 v9, v9, v19
	v_xor_b32_e32 v10, v10, v19
	v_sub_co_u32 v9, vcc_lo, v9, v19
	s_delay_alu instid0(VALU_DEP_2)
	v_sub_co_ci_u32_e32 v10, vcc_lo, v10, v19, vcc_lo
	global_store_b64 v[1:2], v[9:10], off
	s_or_b32 exec_lo, exec_lo, s5
	s_and_saveexec_b32 s5, s2
	s_cbranch_execz .LBB343_13
.LBB343_17:                             ;   in Loop: Header=BB343_4 Depth=1
	s_waitcnt vmcnt(0)
	v_ashrrev_i32_e32 v9, 31, v6
	s_delay_alu instid0(VALU_DEP_1) | instskip(SKIP_1) | instid1(VALU_DEP_2)
	v_xor_b32_e32 v5, v5, v9
	v_xor_b32_e32 v6, v6, v9
	v_sub_co_u32 v5, vcc_lo, v5, v9
	s_delay_alu instid0(VALU_DEP_2)
	v_sub_co_ci_u32_e32 v6, vcc_lo, v6, v9, vcc_lo
	global_store_b64 v[3:4], v[5:6], off
	s_or_b32 exec_lo, exec_lo, s5
	s_and_saveexec_b32 s2, s3
	s_cbranch_execz .LBB343_14
.LBB343_18:                             ;   in Loop: Header=BB343_4 Depth=1
	s_waitcnt vmcnt(0)
	v_ashrrev_i32_e32 v6, 31, v12
	s_delay_alu instid0(VALU_DEP_1) | instskip(SKIP_1) | instid1(VALU_DEP_2)
	v_xor_b32_e32 v5, v11, v6
	v_xor_b32_e32 v9, v12, v6
	v_sub_co_u32 v5, vcc_lo, v5, v6
	s_delay_alu instid0(VALU_DEP_2)
	v_sub_co_ci_u32_e32 v6, vcc_lo, v9, v6, vcc_lo
	v_add_co_u32 v9, vcc_lo, v1, s19
	v_add_co_ci_u32_e32 v10, vcc_lo, 0, v2, vcc_lo
	global_store_b64 v[9:10], v[5:6], off
	s_or_b32 exec_lo, exec_lo, s2
	s_and_saveexec_b32 s2, s4
	s_cbranch_execz .LBB343_3
.LBB343_19:                             ;   in Loop: Header=BB343_4 Depth=1
	s_waitcnt vmcnt(0)
	v_ashrrev_i32_e32 v6, 31, v8
	s_delay_alu instid0(VALU_DEP_1) | instskip(SKIP_1) | instid1(VALU_DEP_2)
	v_xor_b32_e32 v5, v7, v6
	v_xor_b32_e32 v7, v8, v6
	v_sub_co_u32 v5, vcc_lo, v5, v6
	s_delay_alu instid0(VALU_DEP_2)
	v_sub_co_ci_u32_e32 v6, vcc_lo, v7, v6, vcc_lo
	v_add_co_u32 v7, vcc_lo, v1, s18
	v_add_co_ci_u32_e32 v8, vcc_lo, 0, v2, vcc_lo
	global_store_b64 v[7:8], v[5:6], off
	s_branch .LBB343_3
.LBB343_20:
	s_cbranch_execz .LBB343_22
	s_branch .LBB343_25
.LBB343_21:
.LBB343_22:
	v_dual_mov_b32 v2, 0 :: v_dual_lshlrev_b32 v1, 2, v0
	s_mov_b32 s2, 0
	s_mov_b32 s3, exec_lo
	s_delay_alu instid0(VALU_DEP_1)
	v_cmpx_gt_i64_e64 s[6:7], v[1:2]
	s_cbranch_execz .LBB343_25
; %bb.23:
	s_load_b32 s0, s[0:1], 0xd3c
	v_lshlrev_b32_e32 v1, 5, v0
	s_waitcnt lgkmcnt(0)
	s_and_b32 s0, s0, 0xffff
	s_delay_alu instid0(SALU_CYCLE_1) | instskip(SKIP_3) | instid1(VALU_DEP_1)
	s_lshl_b32 s3, s0, 2
	s_add_u32 s1, s8, s10
	s_addc_u32 s4, s9, s11
	v_add_co_u32 v3, s1, s1, v1
	v_add_co_ci_u32_e64 v4, null, s4, 0, s1
	v_add_lshl_u32 v1, v0, s0, 2
	s_delay_alu instid0(VALU_DEP_3) | instskip(NEXT) | instid1(VALU_DEP_3)
	v_add_co_u32 v3, vcc_lo, v3, 16
	v_add_co_ci_u32_e32 v4, vcc_lo, 0, v4, vcc_lo
	s_lshl_b32 s4, s0, 5
.LBB343_24:                             ; =>This Inner Loop Header: Depth=1
	s_clause 0x1
	global_load_b128 v[5:8], v[3:4], off offset:-16
	global_load_b128 v[9:12], v[3:4], off
	v_cmp_le_i64_e32 vcc_lo, s[6:7], v[1:2]
	v_cmp_lt_u64_e64 s0, 0xffff, v[1:2]
	s_delay_alu instid0(VALU_DEP_1) | instskip(NEXT) | instid1(SALU_CYCLE_1)
	s_or_b32 s0, vcc_lo, s0
	s_and_b32 s0, exec_lo, s0
	s_delay_alu instid0(SALU_CYCLE_1)
	s_or_b32 s2, s0, s2
	s_waitcnt vmcnt(1)
	v_ashrrev_i32_e32 v0, 31, v6
	v_ashrrev_i32_e32 v13, 31, v8
	s_waitcnt vmcnt(0)
	v_ashrrev_i32_e32 v14, 31, v10
	v_ashrrev_i32_e32 v15, 31, v12
	v_xor_b32_e32 v5, v5, v0
	v_xor_b32_e32 v6, v6, v0
	;; [unrolled: 1-line block ×5, first 2 shown]
	v_sub_co_u32 v5, s1, v5, v0
	s_delay_alu instid0(VALU_DEP_1)
	v_sub_co_ci_u32_e64 v6, s1, v6, v0, s1
	v_xor_b32_e32 v10, v10, v14
	v_sub_co_u32 v7, s1, v7, v13
	v_xor_b32_e32 v11, v11, v15
	v_sub_co_ci_u32_e64 v8, s1, v8, v13, s1
	v_xor_b32_e32 v12, v12, v15
	v_sub_co_u32 v9, s1, v9, v14
	s_delay_alu instid0(VALU_DEP_1) | instskip(SKIP_1) | instid1(VALU_DEP_1)
	v_sub_co_ci_u32_e64 v10, s1, v10, v14, s1
	v_sub_co_u32 v11, s1, v11, v15
	v_sub_co_ci_u32_e64 v12, s1, v12, v15, s1
	v_add_co_u32 v1, s1, v1, s3
	s_clause 0x1
	global_store_b128 v[3:4], v[5:8], off offset:-16
	global_store_b128 v[3:4], v[9:12], off
	v_add_co_u32 v3, vcc_lo, v3, s4
	v_add_co_ci_u32_e64 v2, s1, 0, v2, s1
	v_add_co_ci_u32_e32 v4, vcc_lo, 0, v4, vcc_lo
	s_and_not1_b32 exec_lo, exec_lo, s2
	s_cbranch_execnz .LBB343_24
.LBB343_25:
	s_nop 0
	s_sendmsg sendmsg(MSG_DEALLOC_VGPRS)
	s_endpgm
	.section	.rodata,"a",@progbits
	.p2align	6, 0x0
	.amdhsa_kernel _ZN2at6native12_GLOBAL__N_125multi_tensor_apply_kernelINS1_18TensorListMetadataILi1EEENS1_14UnaryOpFunctorIlLi1ELi1ELi0EEEJNS0_3AbsIlEEEEEvT_T0_DpT1_
		.amdhsa_group_segment_fixed_size 0
		.amdhsa_private_segment_fixed_size 0
		.amdhsa_kernarg_size 3632
		.amdhsa_user_sgpr_count 15
		.amdhsa_user_sgpr_dispatch_ptr 0
		.amdhsa_user_sgpr_queue_ptr 0
		.amdhsa_user_sgpr_kernarg_segment_ptr 1
		.amdhsa_user_sgpr_dispatch_id 0
		.amdhsa_user_sgpr_private_segment_size 0
		.amdhsa_wavefront_size32 1
		.amdhsa_uses_dynamic_stack 0
		.amdhsa_enable_private_segment 0
		.amdhsa_system_sgpr_workgroup_id_x 1
		.amdhsa_system_sgpr_workgroup_id_y 0
		.amdhsa_system_sgpr_workgroup_id_z 0
		.amdhsa_system_sgpr_workgroup_info 0
		.amdhsa_system_vgpr_workitem_id 0
		.amdhsa_next_free_vgpr 21
		.amdhsa_next_free_sgpr 21
		.amdhsa_reserve_vcc 1
		.amdhsa_float_round_mode_32 0
		.amdhsa_float_round_mode_16_64 0
		.amdhsa_float_denorm_mode_32 3
		.amdhsa_float_denorm_mode_16_64 3
		.amdhsa_dx10_clamp 1
		.amdhsa_ieee_mode 1
		.amdhsa_fp16_overflow 0
		.amdhsa_workgroup_processor_mode 1
		.amdhsa_memory_ordered 1
		.amdhsa_forward_progress 0
		.amdhsa_shared_vgpr_count 0
		.amdhsa_exception_fp_ieee_invalid_op 0
		.amdhsa_exception_fp_denorm_src 0
		.amdhsa_exception_fp_ieee_div_zero 0
		.amdhsa_exception_fp_ieee_overflow 0
		.amdhsa_exception_fp_ieee_underflow 0
		.amdhsa_exception_fp_ieee_inexact 0
		.amdhsa_exception_int_div_zero 0
	.end_amdhsa_kernel
	.section	.text._ZN2at6native12_GLOBAL__N_125multi_tensor_apply_kernelINS1_18TensorListMetadataILi1EEENS1_14UnaryOpFunctorIlLi1ELi1ELi0EEEJNS0_3AbsIlEEEEEvT_T0_DpT1_,"axG",@progbits,_ZN2at6native12_GLOBAL__N_125multi_tensor_apply_kernelINS1_18TensorListMetadataILi1EEENS1_14UnaryOpFunctorIlLi1ELi1ELi0EEEJNS0_3AbsIlEEEEEvT_T0_DpT1_,comdat
.Lfunc_end343:
	.size	_ZN2at6native12_GLOBAL__N_125multi_tensor_apply_kernelINS1_18TensorListMetadataILi1EEENS1_14UnaryOpFunctorIlLi1ELi1ELi0EEEJNS0_3AbsIlEEEEEvT_T0_DpT1_, .Lfunc_end343-_ZN2at6native12_GLOBAL__N_125multi_tensor_apply_kernelINS1_18TensorListMetadataILi1EEENS1_14UnaryOpFunctorIlLi1ELi1ELi0EEEJNS0_3AbsIlEEEEEvT_T0_DpT1_
                                        ; -- End function
	.section	.AMDGPU.csdata,"",@progbits
; Kernel info:
; codeLenInByte = 1368
; NumSgprs: 23
; NumVgprs: 21
; ScratchSize: 0
; MemoryBound: 0
; FloatMode: 240
; IeeeMode: 1
; LDSByteSize: 0 bytes/workgroup (compile time only)
; SGPRBlocks: 2
; VGPRBlocks: 2
; NumSGPRsForWavesPerEU: 23
; NumVGPRsForWavesPerEU: 21
; Occupancy: 16
; WaveLimiterHint : 0
; COMPUTE_PGM_RSRC2:SCRATCH_EN: 0
; COMPUTE_PGM_RSRC2:USER_SGPR: 15
; COMPUTE_PGM_RSRC2:TRAP_HANDLER: 0
; COMPUTE_PGM_RSRC2:TGID_X_EN: 1
; COMPUTE_PGM_RSRC2:TGID_Y_EN: 0
; COMPUTE_PGM_RSRC2:TGID_Z_EN: 0
; COMPUTE_PGM_RSRC2:TIDIG_COMP_CNT: 0
	.section	.text._ZN2at6native12_GLOBAL__N_125multi_tensor_apply_kernelINS1_18TensorListMetadataILi1EEENS1_14UnaryOpFunctorIsLi1ELi1ELi0EEEJNS0_3AbsIsEEEEEvT_T0_DpT1_,"axG",@progbits,_ZN2at6native12_GLOBAL__N_125multi_tensor_apply_kernelINS1_18TensorListMetadataILi1EEENS1_14UnaryOpFunctorIsLi1ELi1ELi0EEEJNS0_3AbsIsEEEEEvT_T0_DpT1_,comdat
	.globl	_ZN2at6native12_GLOBAL__N_125multi_tensor_apply_kernelINS1_18TensorListMetadataILi1EEENS1_14UnaryOpFunctorIsLi1ELi1ELi0EEEJNS0_3AbsIsEEEEEvT_T0_DpT1_ ; -- Begin function _ZN2at6native12_GLOBAL__N_125multi_tensor_apply_kernelINS1_18TensorListMetadataILi1EEENS1_14UnaryOpFunctorIsLi1ELi1ELi0EEEJNS0_3AbsIsEEEEEvT_T0_DpT1_
	.p2align	8
	.type	_ZN2at6native12_GLOBAL__N_125multi_tensor_apply_kernelINS1_18TensorListMetadataILi1EEENS1_14UnaryOpFunctorIsLi1ELi1ELi0EEEJNS0_3AbsIsEEEEEvT_T0_DpT1_,@function
_ZN2at6native12_GLOBAL__N_125multi_tensor_apply_kernelINS1_18TensorListMetadataILi1EEENS1_14UnaryOpFunctorIsLi1ELi1ELi0EEEJNS0_3AbsIsEEEEEvT_T0_DpT1_: ; @_ZN2at6native12_GLOBAL__N_125multi_tensor_apply_kernelINS1_18TensorListMetadataILi1EEENS1_14UnaryOpFunctorIsLi1ELi1ELi0EEEJNS0_3AbsIsEEEEEvT_T0_DpT1_
; %bb.0:
	v_mov_b32_e32 v1, s15
	s_add_u32 s2, s0, s15
	s_mul_hi_u32 s3, s15, 3
	s_mul_i32 s15, s15, 3
	s_addc_u32 s4, s1, 0
	global_load_u8 v1, v1, s[0:1] offset:1760
	s_add_u32 s2, s2, s15
	s_addc_u32 s3, s4, s3
	s_mov_b32 s13, 0
	s_load_b32 s2, s[2:3], 0x820
	s_waitcnt vmcnt(0)
	v_readfirstlane_b32 s5, v1
	s_delay_alu instid0(VALU_DEP_1)
	s_lshl_b32 s3, s5, 3
	s_clause 0x1
	s_load_b64 s[8:9], s[0:1], s3 offset:0x0
	s_load_b64 s[4:5], s[0:1], s3 offset:0x370
	s_waitcnt lgkmcnt(0)
	s_ashr_i32 s3, s2, 31
	s_delay_alu instid0(SALU_CYCLE_1)
	s_lshl_b64 s[10:11], s[2:3], 17
	s_lshl_b64 s[2:3], s[2:3], 16
	s_and_b32 s12, s8, 7
	s_sub_u32 s6, s4, s2
	s_subb_u32 s7, s5, s3
	s_and_b32 s2, s4, 3
	s_mov_b32 s3, s13
	s_delay_alu instid0(SALU_CYCLE_1) | instskip(NEXT) | instid1(SALU_CYCLE_1)
	s_or_b64 s[2:3], s[12:13], s[2:3]
	s_cmp_eq_u64 s[2:3], 0
	s_cbranch_scc1 .LBB344_21
; %bb.1:
	v_cmp_lt_i64_e64 s2, s[6:7], 1
	s_delay_alu instid0(VALU_DEP_1)
	s_and_b32 vcc_lo, exec_lo, s2
	s_cbranch_vccnz .LBB344_20
; %bb.2:
	s_load_b32 s2, s[0:1], 0xd3c
	v_cmp_gt_u64_e64 s3, 0x10000, s[6:7]
	v_lshlrev_b32_e32 v1, 1, v0
	s_waitcnt lgkmcnt(0)
	s_and_b32 s2, s2, 0xffff
	s_delay_alu instid0(VALU_DEP_2)
	s_and_b32 s3, s3, exec_lo
	v_add_co_u32 v5, s5, v0, s2
	s_cselect_b32 s13, s7, 0
	s_cselect_b32 s12, s6, 0x10000
	s_lshl_b32 s3, s2, 1
	s_lshl_b32 s16, s2, 2
	v_lshlrev_b32_e32 v3, 1, v5
	v_add_co_ci_u32_e64 v6, null, 0, 0, s5
	s_add_u32 s5, s8, s10
	v_add_co_u32 v9, s3, s3, v0
	s_mul_i32 s4, s2, 3
	s_addc_u32 s14, s9, s11
	v_add_co_ci_u32_e64 v10, null, 0, 0, s3
	v_add_co_u32 v1, s3, s5, v1
	v_add_co_u32 v7, s4, s4, v0
	v_add_co_ci_u32_e64 v2, null, s14, 0, s3
	v_add_co_u32 v3, s3, s5, v3
	v_add_co_ci_u32_e64 v8, null, 0, 0, s4
	v_add_co_ci_u32_e64 v4, null, s14, 0, s3
	s_lshl_b32 s17, s2, 3
	s_mul_i32 s18, s2, 6
	s_mov_b64 s[14:15], 0
	s_branch .LBB344_4
.LBB344_3:                              ;   in Loop: Header=BB344_4 Depth=1
	s_or_b32 exec_lo, exec_lo, s2
	s_add_u32 s14, s14, s16
	s_addc_u32 s15, s15, 0
	v_add_co_u32 v1, vcc_lo, v1, s17
	v_cmp_lt_i64_e64 s2, s[14:15], s[6:7]
	v_cmp_gt_u64_e64 s3, 0x10000, s[14:15]
	v_add_co_ci_u32_e32 v2, vcc_lo, 0, v2, vcc_lo
	v_add_co_u32 v3, vcc_lo, v3, s17
	v_add_co_ci_u32_e32 v4, vcc_lo, 0, v4, vcc_lo
	s_delay_alu instid0(VALU_DEP_4) | instskip(NEXT) | instid1(SALU_CYCLE_1)
	s_and_b32 s2, s2, s3
	s_and_b32 vcc_lo, exec_lo, s2
	s_cbranch_vccz .LBB344_20
.LBB344_4:                              ; =>This Inner Loop Header: Depth=1
	s_waitcnt vmcnt(0)
	v_add_co_u32 v11, s2, v0, s14
	s_delay_alu instid0(VALU_DEP_1) | instskip(NEXT) | instid1(VALU_DEP_1)
	v_add_co_ci_u32_e64 v12, null, 0, s15, s2
	v_cmp_gt_u64_e32 vcc_lo, s[12:13], v[11:12]
	v_mov_b32_e32 v11, 0
	s_and_saveexec_b32 s2, vcc_lo
	s_cbranch_execz .LBB344_6
; %bb.5:                                ;   in Loop: Header=BB344_4 Depth=1
	global_load_u16 v11, v[1:2], off
.LBB344_6:                              ;   in Loop: Header=BB344_4 Depth=1
	s_or_b32 exec_lo, exec_lo, s2
	v_add_co_u32 v12, s2, v5, s14
	s_delay_alu instid0(VALU_DEP_1) | instskip(NEXT) | instid1(VALU_DEP_1)
	v_add_co_ci_u32_e64 v13, s2, s15, v6, s2
	v_cmp_gt_u64_e64 s2, s[12:13], v[12:13]
	v_mov_b32_e32 v13, 0
	s_delay_alu instid0(VALU_DEP_2)
	s_and_saveexec_b32 s3, s2
	s_cbranch_execz .LBB344_8
; %bb.7:                                ;   in Loop: Header=BB344_4 Depth=1
	global_load_u16 v13, v[3:4], off
.LBB344_8:                              ;   in Loop: Header=BB344_4 Depth=1
	s_or_b32 exec_lo, exec_lo, s3
	v_add_co_u32 v14, s3, v9, s14
	s_delay_alu instid0(VALU_DEP_1) | instskip(SKIP_1) | instid1(VALU_DEP_2)
	v_add_co_ci_u32_e64 v15, s3, s15, v10, s3
	v_mov_b32_e32 v12, 0
	v_cmp_gt_u64_e64 s3, s[12:13], v[14:15]
	v_mov_b32_e32 v14, 0
	s_delay_alu instid0(VALU_DEP_2)
	s_and_saveexec_b32 s5, s3
	s_cbranch_execz .LBB344_10
; %bb.9:                                ;   in Loop: Header=BB344_4 Depth=1
	v_add_co_u32 v14, s4, v1, s16
	s_delay_alu instid0(VALU_DEP_1)
	v_add_co_ci_u32_e64 v15, s4, 0, v2, s4
	global_load_u16 v14, v[14:15], off
.LBB344_10:                             ;   in Loop: Header=BB344_4 Depth=1
	s_or_b32 exec_lo, exec_lo, s5
	v_add_co_u32 v15, s4, v7, s14
	s_delay_alu instid0(VALU_DEP_1) | instskip(NEXT) | instid1(VALU_DEP_1)
	v_add_co_ci_u32_e64 v16, s4, s15, v8, s4
	v_cmp_gt_u64_e64 s4, s[12:13], v[15:16]
	s_delay_alu instid0(VALU_DEP_1)
	s_and_saveexec_b32 s19, s4
	s_cbranch_execnz .LBB344_15
; %bb.11:                               ;   in Loop: Header=BB344_4 Depth=1
	s_or_b32 exec_lo, exec_lo, s19
	s_and_saveexec_b32 s5, vcc_lo
	s_cbranch_execnz .LBB344_16
.LBB344_12:                             ;   in Loop: Header=BB344_4 Depth=1
	s_or_b32 exec_lo, exec_lo, s5
	s_and_saveexec_b32 s5, s2
	s_cbranch_execnz .LBB344_17
.LBB344_13:                             ;   in Loop: Header=BB344_4 Depth=1
	s_or_b32 exec_lo, exec_lo, s5
	s_and_saveexec_b32 s2, s3
	s_cbranch_execnz .LBB344_18
.LBB344_14:                             ;   in Loop: Header=BB344_4 Depth=1
	s_or_b32 exec_lo, exec_lo, s2
	s_and_saveexec_b32 s2, s4
	s_cbranch_execz .LBB344_3
	s_branch .LBB344_19
.LBB344_15:                             ;   in Loop: Header=BB344_4 Depth=1
	v_add_co_u32 v15, s5, v1, s18
	s_delay_alu instid0(VALU_DEP_1)
	v_add_co_ci_u32_e64 v16, s5, 0, v2, s5
	global_load_u16 v12, v[15:16], off
	s_or_b32 exec_lo, exec_lo, s19
	s_and_saveexec_b32 s5, vcc_lo
	s_cbranch_execz .LBB344_12
.LBB344_16:                             ;   in Loop: Header=BB344_4 Depth=1
	s_waitcnt vmcnt(0)
	v_sub_nc_u16 v15, 0, v11
	s_delay_alu instid0(VALU_DEP_1)
	v_max_i16 v11, v11, v15
	global_store_b16 v[1:2], v11, off
	s_or_b32 exec_lo, exec_lo, s5
	s_and_saveexec_b32 s5, s2
	s_cbranch_execz .LBB344_13
.LBB344_17:                             ;   in Loop: Header=BB344_4 Depth=1
	s_waitcnt vmcnt(0)
	v_sub_nc_u16 v11, 0, v13
	s_delay_alu instid0(VALU_DEP_1)
	v_max_i16 v11, v13, v11
	global_store_b16 v[3:4], v11, off
	s_or_b32 exec_lo, exec_lo, s5
	s_and_saveexec_b32 s2, s3
	s_cbranch_execz .LBB344_14
.LBB344_18:                             ;   in Loop: Header=BB344_4 Depth=1
	s_waitcnt vmcnt(0)
	v_sub_nc_u16 v11, 0, v14
	v_add_co_u32 v13, vcc_lo, v1, s16
	s_delay_alu instid0(VALU_DEP_2)
	v_max_i16 v11, v14, v11
	v_add_co_ci_u32_e32 v14, vcc_lo, 0, v2, vcc_lo
	global_store_b16 v[13:14], v11, off
	s_or_b32 exec_lo, exec_lo, s2
	s_and_saveexec_b32 s2, s4
	s_cbranch_execz .LBB344_3
.LBB344_19:                             ;   in Loop: Header=BB344_4 Depth=1
	s_waitcnt vmcnt(0)
	v_sub_nc_u16 v11, 0, v12
	s_delay_alu instid0(VALU_DEP_1)
	v_max_i16 v13, v12, v11
	v_add_co_u32 v11, vcc_lo, v1, s18
	v_add_co_ci_u32_e32 v12, vcc_lo, 0, v2, vcc_lo
	global_store_b16 v[11:12], v13, off
	s_branch .LBB344_3
.LBB344_20:
	s_cbranch_execz .LBB344_22
	s_branch .LBB344_25
.LBB344_21:
.LBB344_22:
	v_dual_mov_b32 v2, 0 :: v_dual_lshlrev_b32 v1, 2, v0
	s_mov_b32 s2, 0
	s_mov_b32 s3, exec_lo
	s_delay_alu instid0(VALU_DEP_1)
	v_cmpx_gt_i64_e64 s[6:7], v[1:2]
	s_cbranch_execz .LBB344_25
; %bb.23:
	s_load_b32 s0, s[0:1], 0xd3c
	v_lshlrev_b32_e32 v1, 3, v0
	s_waitcnt lgkmcnt(0)
	s_and_b32 s0, s0, 0xffff
	s_add_u32 s1, s8, s10
	s_addc_u32 s3, s9, s11
	v_add_co_u32 v3, s1, s1, v1
	s_delay_alu instid0(VALU_DEP_1)
	v_add_co_ci_u32_e64 v4, null, s3, 0, s1
	v_add_lshl_u32 v1, v0, s0, 2
	s_lshl_b32 s3, s0, 3
	s_lshl_b32 s4, s0, 2
	s_set_inst_prefetch_distance 0x1
	.p2align	6
.LBB344_24:                             ; =>This Inner Loop Header: Depth=1
	global_load_b64 v[5:6], v[3:4], off
	v_cmp_le_i64_e32 vcc_lo, s[6:7], v[1:2]
	v_cmp_lt_u64_e64 s0, 0xffff, v[1:2]
	v_add_co_u32 v1, s1, v1, s4
	s_delay_alu instid0(VALU_DEP_1) | instskip(NEXT) | instid1(VALU_DEP_3)
	v_add_co_ci_u32_e64 v2, s1, 0, v2, s1
	s_or_b32 s0, vcc_lo, s0
	s_delay_alu instid0(SALU_CYCLE_1) | instskip(NEXT) | instid1(SALU_CYCLE_1)
	s_and_b32 s0, exec_lo, s0
	s_or_b32 s2, s0, s2
	s_waitcnt vmcnt(0)
	v_lshrrev_b32_e32 v0, 16, v6
	v_lshrrev_b32_e32 v7, 16, v5
	v_sub_nc_u16 v8, 0, v6
	v_sub_nc_u16 v9, 0, v5
	s_delay_alu instid0(VALU_DEP_4) | instskip(NEXT) | instid1(VALU_DEP_4)
	v_sub_nc_u16 v10, 0, v0
	v_sub_nc_u16 v11, 0, v7
	s_delay_alu instid0(VALU_DEP_4) | instskip(NEXT) | instid1(VALU_DEP_4)
	v_max_i16 v6, v6, v8
	v_max_i16 v5, v5, v9
	s_delay_alu instid0(VALU_DEP_4) | instskip(NEXT) | instid1(VALU_DEP_4)
	v_max_i16 v0, v0, v10
	v_max_i16 v7, v7, v11
	s_delay_alu instid0(VALU_DEP_4) | instskip(NEXT) | instid1(VALU_DEP_4)
	v_and_b32_e32 v6, 0xffff, v6
	v_and_b32_e32 v5, 0xffff, v5
	s_delay_alu instid0(VALU_DEP_4) | instskip(NEXT) | instid1(VALU_DEP_4)
	v_lshlrev_b32_e32 v0, 16, v0
	v_lshlrev_b32_e32 v7, 16, v7
	s_delay_alu instid0(VALU_DEP_2) | instskip(NEXT) | instid1(VALU_DEP_2)
	v_or_b32_e32 v6, v0, v6
	v_or_b32_e32 v5, v7, v5
	global_store_b64 v[3:4], v[5:6], off
	v_add_co_u32 v3, vcc_lo, v3, s3
	v_add_co_ci_u32_e32 v4, vcc_lo, 0, v4, vcc_lo
	s_and_not1_b32 exec_lo, exec_lo, s2
	s_cbranch_execnz .LBB344_24
.LBB344_25:
	s_set_inst_prefetch_distance 0x2
	s_nop 0
	s_sendmsg sendmsg(MSG_DEALLOC_VGPRS)
	s_endpgm
	.section	.rodata,"a",@progbits
	.p2align	6, 0x0
	.amdhsa_kernel _ZN2at6native12_GLOBAL__N_125multi_tensor_apply_kernelINS1_18TensorListMetadataILi1EEENS1_14UnaryOpFunctorIsLi1ELi1ELi0EEEJNS0_3AbsIsEEEEEvT_T0_DpT1_
		.amdhsa_group_segment_fixed_size 0
		.amdhsa_private_segment_fixed_size 0
		.amdhsa_kernarg_size 3632
		.amdhsa_user_sgpr_count 15
		.amdhsa_user_sgpr_dispatch_ptr 0
		.amdhsa_user_sgpr_queue_ptr 0
		.amdhsa_user_sgpr_kernarg_segment_ptr 1
		.amdhsa_user_sgpr_dispatch_id 0
		.amdhsa_user_sgpr_private_segment_size 0
		.amdhsa_wavefront_size32 1
		.amdhsa_uses_dynamic_stack 0
		.amdhsa_enable_private_segment 0
		.amdhsa_system_sgpr_workgroup_id_x 1
		.amdhsa_system_sgpr_workgroup_id_y 0
		.amdhsa_system_sgpr_workgroup_id_z 0
		.amdhsa_system_sgpr_workgroup_info 0
		.amdhsa_system_vgpr_workitem_id 0
		.amdhsa_next_free_vgpr 17
		.amdhsa_next_free_sgpr 20
		.amdhsa_reserve_vcc 1
		.amdhsa_float_round_mode_32 0
		.amdhsa_float_round_mode_16_64 0
		.amdhsa_float_denorm_mode_32 3
		.amdhsa_float_denorm_mode_16_64 3
		.amdhsa_dx10_clamp 1
		.amdhsa_ieee_mode 1
		.amdhsa_fp16_overflow 0
		.amdhsa_workgroup_processor_mode 1
		.amdhsa_memory_ordered 1
		.amdhsa_forward_progress 0
		.amdhsa_shared_vgpr_count 0
		.amdhsa_exception_fp_ieee_invalid_op 0
		.amdhsa_exception_fp_denorm_src 0
		.amdhsa_exception_fp_ieee_div_zero 0
		.amdhsa_exception_fp_ieee_overflow 0
		.amdhsa_exception_fp_ieee_underflow 0
		.amdhsa_exception_fp_ieee_inexact 0
		.amdhsa_exception_int_div_zero 0
	.end_amdhsa_kernel
	.section	.text._ZN2at6native12_GLOBAL__N_125multi_tensor_apply_kernelINS1_18TensorListMetadataILi1EEENS1_14UnaryOpFunctorIsLi1ELi1ELi0EEEJNS0_3AbsIsEEEEEvT_T0_DpT1_,"axG",@progbits,_ZN2at6native12_GLOBAL__N_125multi_tensor_apply_kernelINS1_18TensorListMetadataILi1EEENS1_14UnaryOpFunctorIsLi1ELi1ELi0EEEJNS0_3AbsIsEEEEEvT_T0_DpT1_,comdat
.Lfunc_end344:
	.size	_ZN2at6native12_GLOBAL__N_125multi_tensor_apply_kernelINS1_18TensorListMetadataILi1EEENS1_14UnaryOpFunctorIsLi1ELi1ELi0EEEJNS0_3AbsIsEEEEEvT_T0_DpT1_, .Lfunc_end344-_ZN2at6native12_GLOBAL__N_125multi_tensor_apply_kernelINS1_18TensorListMetadataILi1EEENS1_14UnaryOpFunctorIsLi1ELi1ELi0EEEJNS0_3AbsIsEEEEEvT_T0_DpT1_
                                        ; -- End function
	.section	.AMDGPU.csdata,"",@progbits
; Kernel info:
; codeLenInByte = 1268
; NumSgprs: 22
; NumVgprs: 17
; ScratchSize: 0
; MemoryBound: 0
; FloatMode: 240
; IeeeMode: 1
; LDSByteSize: 0 bytes/workgroup (compile time only)
; SGPRBlocks: 2
; VGPRBlocks: 2
; NumSGPRsForWavesPerEU: 22
; NumVGPRsForWavesPerEU: 17
; Occupancy: 16
; WaveLimiterHint : 0
; COMPUTE_PGM_RSRC2:SCRATCH_EN: 0
; COMPUTE_PGM_RSRC2:USER_SGPR: 15
; COMPUTE_PGM_RSRC2:TRAP_HANDLER: 0
; COMPUTE_PGM_RSRC2:TGID_X_EN: 1
; COMPUTE_PGM_RSRC2:TGID_Y_EN: 0
; COMPUTE_PGM_RSRC2:TGID_Z_EN: 0
; COMPUTE_PGM_RSRC2:TIDIG_COMP_CNT: 0
	.section	.text._ZN2at6native12_GLOBAL__N_125multi_tensor_apply_kernelINS1_18TensorListMetadataILi1EEENS1_14UnaryOpFunctorIdLi1ELi1ELi0EEEJNS0_3AbsIdEEEEEvT_T0_DpT1_,"axG",@progbits,_ZN2at6native12_GLOBAL__N_125multi_tensor_apply_kernelINS1_18TensorListMetadataILi1EEENS1_14UnaryOpFunctorIdLi1ELi1ELi0EEEJNS0_3AbsIdEEEEEvT_T0_DpT1_,comdat
	.globl	_ZN2at6native12_GLOBAL__N_125multi_tensor_apply_kernelINS1_18TensorListMetadataILi1EEENS1_14UnaryOpFunctorIdLi1ELi1ELi0EEEJNS0_3AbsIdEEEEEvT_T0_DpT1_ ; -- Begin function _ZN2at6native12_GLOBAL__N_125multi_tensor_apply_kernelINS1_18TensorListMetadataILi1EEENS1_14UnaryOpFunctorIdLi1ELi1ELi0EEEJNS0_3AbsIdEEEEEvT_T0_DpT1_
	.p2align	8
	.type	_ZN2at6native12_GLOBAL__N_125multi_tensor_apply_kernelINS1_18TensorListMetadataILi1EEENS1_14UnaryOpFunctorIdLi1ELi1ELi0EEEJNS0_3AbsIdEEEEEvT_T0_DpT1_,@function
_ZN2at6native12_GLOBAL__N_125multi_tensor_apply_kernelINS1_18TensorListMetadataILi1EEENS1_14UnaryOpFunctorIdLi1ELi1ELi0EEEJNS0_3AbsIdEEEEEvT_T0_DpT1_: ; @_ZN2at6native12_GLOBAL__N_125multi_tensor_apply_kernelINS1_18TensorListMetadataILi1EEENS1_14UnaryOpFunctorIdLi1ELi1ELi0EEEJNS0_3AbsIdEEEEEvT_T0_DpT1_
; %bb.0:
	v_mov_b32_e32 v1, s15
	s_add_u32 s2, s0, s15
	s_mul_hi_u32 s3, s15, 3
	s_mul_i32 s15, s15, 3
	s_addc_u32 s4, s1, 0
	global_load_u8 v1, v1, s[0:1] offset:1760
	s_add_u32 s2, s2, s15
	s_addc_u32 s3, s4, s3
	s_mov_b32 s13, 0
	s_load_b32 s2, s[2:3], 0x820
	s_waitcnt vmcnt(0)
	v_readfirstlane_b32 s5, v1
	s_delay_alu instid0(VALU_DEP_1)
	s_lshl_b32 s3, s5, 3
	s_clause 0x1
	s_load_b64 s[8:9], s[0:1], s3 offset:0x0
	s_load_b64 s[4:5], s[0:1], s3 offset:0x370
	s_waitcnt lgkmcnt(0)
	s_ashr_i32 s3, s2, 31
	s_delay_alu instid0(SALU_CYCLE_1)
	s_lshl_b64 s[10:11], s[2:3], 19
	s_lshl_b64 s[2:3], s[2:3], 16
	s_and_b32 s12, s8, 31
	s_sub_u32 s6, s4, s2
	s_subb_u32 s7, s5, s3
	s_and_b32 s2, s4, 3
	s_mov_b32 s3, s13
	s_delay_alu instid0(SALU_CYCLE_1) | instskip(NEXT) | instid1(SALU_CYCLE_1)
	s_or_b64 s[2:3], s[12:13], s[2:3]
	s_cmp_eq_u64 s[2:3], 0
	s_cbranch_scc1 .LBB345_21
; %bb.1:
	v_cmp_lt_i64_e64 s2, s[6:7], 1
	s_delay_alu instid0(VALU_DEP_1)
	s_and_b32 vcc_lo, exec_lo, s2
	s_cbranch_vccnz .LBB345_20
; %bb.2:
	s_load_b32 s2, s[0:1], 0xd3c
	v_cmp_gt_u64_e64 s3, 0x10000, s[6:7]
	v_lshlrev_b32_e32 v1, 3, v0
	s_waitcnt lgkmcnt(0)
	s_and_b32 s2, s2, 0xffff
	s_delay_alu instid0(VALU_DEP_2)
	s_and_b32 s3, s3, exec_lo
	v_add_co_u32 v13, s5, v0, s2
	s_cselect_b32 s13, s7, 0
	s_cselect_b32 s12, s6, 0x10000
	s_lshl_b32 s3, s2, 1
	s_lshl_b32 s16, s2, 2
	v_lshlrev_b32_e32 v3, 3, v13
	v_add_co_ci_u32_e64 v14, null, 0, 0, s5
	s_add_u32 s5, s8, s10
	v_add_co_u32 v17, s3, s3, v0
	s_mul_i32 s4, s2, 3
	s_addc_u32 s14, s9, s11
	v_add_co_ci_u32_e64 v18, null, 0, 0, s3
	v_add_co_u32 v1, s3, s5, v1
	v_add_co_u32 v15, s4, s4, v0
	v_add_co_ci_u32_e64 v2, null, s14, 0, s3
	v_add_co_u32 v3, s3, s5, v3
	v_add_co_ci_u32_e64 v16, null, 0, 0, s4
	v_add_co_ci_u32_e64 v4, null, s14, 0, s3
	s_lshl_b32 s17, s2, 5
	s_mul_i32 s18, s2, 24
	s_lshl_b32 s19, s2, 4
	s_mov_b64 s[14:15], 0
	s_branch .LBB345_4
.LBB345_3:                              ;   in Loop: Header=BB345_4 Depth=1
	s_or_b32 exec_lo, exec_lo, s2
	s_add_u32 s14, s14, s16
	s_addc_u32 s15, s15, 0
	v_add_co_u32 v1, vcc_lo, v1, s17
	v_cmp_lt_i64_e64 s2, s[14:15], s[6:7]
	v_cmp_gt_u64_e64 s3, 0x10000, s[14:15]
	v_add_co_ci_u32_e32 v2, vcc_lo, 0, v2, vcc_lo
	v_add_co_u32 v3, vcc_lo, v3, s17
	v_add_co_ci_u32_e32 v4, vcc_lo, 0, v4, vcc_lo
	s_delay_alu instid0(VALU_DEP_4) | instskip(NEXT) | instid1(SALU_CYCLE_1)
	s_and_b32 s2, s2, s3
	s_and_b32 vcc_lo, exec_lo, s2
	s_cbranch_vccz .LBB345_20
.LBB345_4:                              ; =>This Inner Loop Header: Depth=1
	s_waitcnt vmcnt(0)
	v_add_co_u32 v7, s2, v0, s14
	s_delay_alu instid0(VALU_DEP_1) | instskip(SKIP_2) | instid1(VALU_DEP_3)
	v_add_co_ci_u32_e64 v8, null, 0, s15, s2
	v_mov_b32_e32 v5, 0
	v_mov_b32_e32 v6, 0
	v_cmp_gt_u64_e32 vcc_lo, s[12:13], v[7:8]
	s_delay_alu instid0(VALU_DEP_2)
	v_dual_mov_b32 v10, v6 :: v_dual_mov_b32 v9, v5
	s_and_saveexec_b32 s2, vcc_lo
	s_cbranch_execz .LBB345_6
; %bb.5:                                ;   in Loop: Header=BB345_4 Depth=1
	global_load_b64 v[9:10], v[1:2], off
.LBB345_6:                              ;   in Loop: Header=BB345_4 Depth=1
	s_or_b32 exec_lo, exec_lo, s2
	v_add_co_u32 v7, s2, v13, s14
	s_delay_alu instid0(VALU_DEP_1) | instskip(NEXT) | instid1(VALU_DEP_1)
	v_add_co_ci_u32_e64 v8, s2, s15, v14, s2
	v_cmp_gt_u64_e64 s2, s[12:13], v[7:8]
	s_delay_alu instid0(VALU_DEP_1)
	s_and_saveexec_b32 s3, s2
	s_cbranch_execz .LBB345_8
; %bb.7:                                ;   in Loop: Header=BB345_4 Depth=1
	global_load_b64 v[5:6], v[3:4], off
.LBB345_8:                              ;   in Loop: Header=BB345_4 Depth=1
	s_or_b32 exec_lo, exec_lo, s3
	v_add_co_u32 v11, s3, v17, s14
	s_delay_alu instid0(VALU_DEP_1) | instskip(SKIP_2) | instid1(VALU_DEP_3)
	v_add_co_ci_u32_e64 v12, s3, s15, v18, s3
	v_mov_b32_e32 v7, 0
	v_mov_b32_e32 v8, 0
	v_cmp_gt_u64_e64 s3, s[12:13], v[11:12]
	s_delay_alu instid0(VALU_DEP_2) | instskip(NEXT) | instid1(VALU_DEP_2)
	v_dual_mov_b32 v12, v8 :: v_dual_mov_b32 v11, v7
	s_and_saveexec_b32 s5, s3
	s_cbranch_execz .LBB345_10
; %bb.9:                                ;   in Loop: Header=BB345_4 Depth=1
	v_add_co_u32 v11, s4, v1, s19
	s_delay_alu instid0(VALU_DEP_1)
	v_add_co_ci_u32_e64 v12, s4, 0, v2, s4
	global_load_b64 v[11:12], v[11:12], off
.LBB345_10:                             ;   in Loop: Header=BB345_4 Depth=1
	s_or_b32 exec_lo, exec_lo, s5
	v_add_co_u32 v19, s4, v15, s14
	s_delay_alu instid0(VALU_DEP_1) | instskip(NEXT) | instid1(VALU_DEP_1)
	v_add_co_ci_u32_e64 v20, s4, s15, v16, s4
	v_cmp_gt_u64_e64 s4, s[12:13], v[19:20]
	s_delay_alu instid0(VALU_DEP_1)
	s_and_saveexec_b32 s20, s4
	s_cbranch_execnz .LBB345_15
; %bb.11:                               ;   in Loop: Header=BB345_4 Depth=1
	s_or_b32 exec_lo, exec_lo, s20
	s_and_saveexec_b32 s5, vcc_lo
	s_cbranch_execnz .LBB345_16
.LBB345_12:                             ;   in Loop: Header=BB345_4 Depth=1
	s_or_b32 exec_lo, exec_lo, s5
	s_and_saveexec_b32 s5, s2
	s_cbranch_execnz .LBB345_17
.LBB345_13:                             ;   in Loop: Header=BB345_4 Depth=1
	s_or_b32 exec_lo, exec_lo, s5
	s_and_saveexec_b32 s2, s3
	s_cbranch_execnz .LBB345_18
.LBB345_14:                             ;   in Loop: Header=BB345_4 Depth=1
	s_or_b32 exec_lo, exec_lo, s2
	s_and_saveexec_b32 s2, s4
	s_cbranch_execz .LBB345_3
	s_branch .LBB345_19
.LBB345_15:                             ;   in Loop: Header=BB345_4 Depth=1
	v_add_co_u32 v7, s5, v1, s18
	s_delay_alu instid0(VALU_DEP_1)
	v_add_co_ci_u32_e64 v8, s5, 0, v2, s5
	global_load_b64 v[7:8], v[7:8], off
	s_or_b32 exec_lo, exec_lo, s20
	s_and_saveexec_b32 s5, vcc_lo
	s_cbranch_execz .LBB345_12
.LBB345_16:                             ;   in Loop: Header=BB345_4 Depth=1
	s_waitcnt vmcnt(0)
	v_and_b32_e32 v10, 0x7fffffff, v10
	global_store_b64 v[1:2], v[9:10], off
	s_or_b32 exec_lo, exec_lo, s5
	s_and_saveexec_b32 s5, s2
	s_cbranch_execz .LBB345_13
.LBB345_17:                             ;   in Loop: Header=BB345_4 Depth=1
	s_waitcnt vmcnt(0)
	v_and_b32_e32 v6, 0x7fffffff, v6
	global_store_b64 v[3:4], v[5:6], off
	s_or_b32 exec_lo, exec_lo, s5
	s_and_saveexec_b32 s2, s3
	s_cbranch_execz .LBB345_14
.LBB345_18:                             ;   in Loop: Header=BB345_4 Depth=1
	s_waitcnt vmcnt(0)
	v_add_co_u32 v5, vcc_lo, v1, s19
	v_and_b32_e32 v12, 0x7fffffff, v12
	v_add_co_ci_u32_e32 v6, vcc_lo, 0, v2, vcc_lo
	global_store_b64 v[5:6], v[11:12], off
	s_or_b32 exec_lo, exec_lo, s2
	s_and_saveexec_b32 s2, s4
	s_cbranch_execz .LBB345_3
.LBB345_19:                             ;   in Loop: Header=BB345_4 Depth=1
	s_waitcnt vmcnt(0)
	v_add_co_u32 v5, vcc_lo, v1, s18
	v_and_b32_e32 v8, 0x7fffffff, v8
	v_add_co_ci_u32_e32 v6, vcc_lo, 0, v2, vcc_lo
	global_store_b64 v[5:6], v[7:8], off
	s_branch .LBB345_3
.LBB345_20:
	s_cbranch_execz .LBB345_22
	s_branch .LBB345_25
.LBB345_21:
.LBB345_22:
	v_dual_mov_b32 v2, 0 :: v_dual_lshlrev_b32 v1, 2, v0
	s_mov_b32 s2, 0
	s_mov_b32 s3, exec_lo
	s_delay_alu instid0(VALU_DEP_1)
	v_cmpx_gt_i64_e64 s[6:7], v[1:2]
	s_cbranch_execz .LBB345_25
; %bb.23:
	s_load_b32 s0, s[0:1], 0xd3c
	v_lshlrev_b32_e32 v1, 5, v0
	s_waitcnt lgkmcnt(0)
	s_and_b32 s0, s0, 0xffff
	s_delay_alu instid0(SALU_CYCLE_1) | instskip(SKIP_3) | instid1(VALU_DEP_1)
	s_lshl_b32 s3, s0, 2
	s_add_u32 s1, s8, s10
	s_addc_u32 s4, s9, s11
	v_add_co_u32 v3, s1, s1, v1
	v_add_co_ci_u32_e64 v4, null, s4, 0, s1
	v_add_lshl_u32 v1, v0, s0, 2
	s_delay_alu instid0(VALU_DEP_3) | instskip(NEXT) | instid1(VALU_DEP_3)
	v_add_co_u32 v3, vcc_lo, v3, 16
	v_add_co_ci_u32_e32 v4, vcc_lo, 0, v4, vcc_lo
	s_lshl_b32 s4, s0, 5
	.p2align	6
.LBB345_24:                             ; =>This Inner Loop Header: Depth=1
	s_clause 0x1
	global_load_b128 v[5:8], v[3:4], off offset:-16
	global_load_b128 v[9:12], v[3:4], off
	v_cmp_le_i64_e32 vcc_lo, s[6:7], v[1:2]
	v_cmp_lt_u64_e64 s0, 0xffff, v[1:2]
	v_add_co_u32 v1, s1, v1, s3
	s_delay_alu instid0(VALU_DEP_1) | instskip(NEXT) | instid1(VALU_DEP_3)
	v_add_co_ci_u32_e64 v2, s1, 0, v2, s1
	s_or_b32 s0, vcc_lo, s0
	s_delay_alu instid0(SALU_CYCLE_1) | instskip(NEXT) | instid1(SALU_CYCLE_1)
	s_and_b32 s0, exec_lo, s0
	s_or_b32 s2, s0, s2
	s_waitcnt vmcnt(1)
	v_and_b32_e32 v6, 0x7fffffff, v6
	v_and_b32_e32 v8, 0x7fffffff, v8
	s_waitcnt vmcnt(0)
	v_and_b32_e32 v10, 0x7fffffff, v10
	v_and_b32_e32 v12, 0x7fffffff, v12
	s_clause 0x1
	global_store_b128 v[3:4], v[5:8], off offset:-16
	global_store_b128 v[3:4], v[9:12], off
	v_add_co_u32 v3, vcc_lo, v3, s4
	v_add_co_ci_u32_e32 v4, vcc_lo, 0, v4, vcc_lo
	s_and_not1_b32 exec_lo, exec_lo, s2
	s_cbranch_execnz .LBB345_24
.LBB345_25:
	s_nop 0
	s_sendmsg sendmsg(MSG_DEALLOC_VGPRS)
	s_endpgm
	.section	.rodata,"a",@progbits
	.p2align	6, 0x0
	.amdhsa_kernel _ZN2at6native12_GLOBAL__N_125multi_tensor_apply_kernelINS1_18TensorListMetadataILi1EEENS1_14UnaryOpFunctorIdLi1ELi1ELi0EEEJNS0_3AbsIdEEEEEvT_T0_DpT1_
		.amdhsa_group_segment_fixed_size 0
		.amdhsa_private_segment_fixed_size 0
		.amdhsa_kernarg_size 3632
		.amdhsa_user_sgpr_count 15
		.amdhsa_user_sgpr_dispatch_ptr 0
		.amdhsa_user_sgpr_queue_ptr 0
		.amdhsa_user_sgpr_kernarg_segment_ptr 1
		.amdhsa_user_sgpr_dispatch_id 0
		.amdhsa_user_sgpr_private_segment_size 0
		.amdhsa_wavefront_size32 1
		.amdhsa_uses_dynamic_stack 0
		.amdhsa_enable_private_segment 0
		.amdhsa_system_sgpr_workgroup_id_x 1
		.amdhsa_system_sgpr_workgroup_id_y 0
		.amdhsa_system_sgpr_workgroup_id_z 0
		.amdhsa_system_sgpr_workgroup_info 0
		.amdhsa_system_vgpr_workitem_id 0
		.amdhsa_next_free_vgpr 21
		.amdhsa_next_free_sgpr 21
		.amdhsa_reserve_vcc 1
		.amdhsa_float_round_mode_32 0
		.amdhsa_float_round_mode_16_64 0
		.amdhsa_float_denorm_mode_32 3
		.amdhsa_float_denorm_mode_16_64 3
		.amdhsa_dx10_clamp 1
		.amdhsa_ieee_mode 1
		.amdhsa_fp16_overflow 0
		.amdhsa_workgroup_processor_mode 1
		.amdhsa_memory_ordered 1
		.amdhsa_forward_progress 0
		.amdhsa_shared_vgpr_count 0
		.amdhsa_exception_fp_ieee_invalid_op 0
		.amdhsa_exception_fp_denorm_src 0
		.amdhsa_exception_fp_ieee_div_zero 0
		.amdhsa_exception_fp_ieee_overflow 0
		.amdhsa_exception_fp_ieee_underflow 0
		.amdhsa_exception_fp_ieee_inexact 0
		.amdhsa_exception_int_div_zero 0
	.end_amdhsa_kernel
	.section	.text._ZN2at6native12_GLOBAL__N_125multi_tensor_apply_kernelINS1_18TensorListMetadataILi1EEENS1_14UnaryOpFunctorIdLi1ELi1ELi0EEEJNS0_3AbsIdEEEEEvT_T0_DpT1_,"axG",@progbits,_ZN2at6native12_GLOBAL__N_125multi_tensor_apply_kernelINS1_18TensorListMetadataILi1EEENS1_14UnaryOpFunctorIdLi1ELi1ELi0EEEJNS0_3AbsIdEEEEEvT_T0_DpT1_,comdat
.Lfunc_end345:
	.size	_ZN2at6native12_GLOBAL__N_125multi_tensor_apply_kernelINS1_18TensorListMetadataILi1EEENS1_14UnaryOpFunctorIdLi1ELi1ELi0EEEJNS0_3AbsIdEEEEEvT_T0_DpT1_, .Lfunc_end345-_ZN2at6native12_GLOBAL__N_125multi_tensor_apply_kernelINS1_18TensorListMetadataILi1EEENS1_14UnaryOpFunctorIdLi1ELi1ELi0EEEJNS0_3AbsIdEEEEEvT_T0_DpT1_
                                        ; -- End function
	.section	.AMDGPU.csdata,"",@progbits
; Kernel info:
; codeLenInByte = 1184
; NumSgprs: 23
; NumVgprs: 21
; ScratchSize: 0
; MemoryBound: 0
; FloatMode: 240
; IeeeMode: 1
; LDSByteSize: 0 bytes/workgroup (compile time only)
; SGPRBlocks: 2
; VGPRBlocks: 2
; NumSGPRsForWavesPerEU: 23
; NumVGPRsForWavesPerEU: 21
; Occupancy: 16
; WaveLimiterHint : 0
; COMPUTE_PGM_RSRC2:SCRATCH_EN: 0
; COMPUTE_PGM_RSRC2:USER_SGPR: 15
; COMPUTE_PGM_RSRC2:TRAP_HANDLER: 0
; COMPUTE_PGM_RSRC2:TGID_X_EN: 1
; COMPUTE_PGM_RSRC2:TGID_Y_EN: 0
; COMPUTE_PGM_RSRC2:TGID_Z_EN: 0
; COMPUTE_PGM_RSRC2:TIDIG_COMP_CNT: 0
	.section	.text._ZN2at6native12_GLOBAL__N_125multi_tensor_apply_kernelINS1_18TensorListMetadataILi1EEENS1_14UnaryOpFunctorIfLi1ELi1ELi0EEEJNS0_3AbsIfEEEEEvT_T0_DpT1_,"axG",@progbits,_ZN2at6native12_GLOBAL__N_125multi_tensor_apply_kernelINS1_18TensorListMetadataILi1EEENS1_14UnaryOpFunctorIfLi1ELi1ELi0EEEJNS0_3AbsIfEEEEEvT_T0_DpT1_,comdat
	.globl	_ZN2at6native12_GLOBAL__N_125multi_tensor_apply_kernelINS1_18TensorListMetadataILi1EEENS1_14UnaryOpFunctorIfLi1ELi1ELi0EEEJNS0_3AbsIfEEEEEvT_T0_DpT1_ ; -- Begin function _ZN2at6native12_GLOBAL__N_125multi_tensor_apply_kernelINS1_18TensorListMetadataILi1EEENS1_14UnaryOpFunctorIfLi1ELi1ELi0EEEJNS0_3AbsIfEEEEEvT_T0_DpT1_
	.p2align	8
	.type	_ZN2at6native12_GLOBAL__N_125multi_tensor_apply_kernelINS1_18TensorListMetadataILi1EEENS1_14UnaryOpFunctorIfLi1ELi1ELi0EEEJNS0_3AbsIfEEEEEvT_T0_DpT1_,@function
_ZN2at6native12_GLOBAL__N_125multi_tensor_apply_kernelINS1_18TensorListMetadataILi1EEENS1_14UnaryOpFunctorIfLi1ELi1ELi0EEEJNS0_3AbsIfEEEEEvT_T0_DpT1_: ; @_ZN2at6native12_GLOBAL__N_125multi_tensor_apply_kernelINS1_18TensorListMetadataILi1EEENS1_14UnaryOpFunctorIfLi1ELi1ELi0EEEJNS0_3AbsIfEEEEEvT_T0_DpT1_
; %bb.0:
	v_mov_b32_e32 v1, s15
	s_add_u32 s2, s0, s15
	s_mul_hi_u32 s3, s15, 3
	s_mul_i32 s15, s15, 3
	s_addc_u32 s4, s1, 0
	global_load_u8 v1, v1, s[0:1] offset:1760
	s_add_u32 s2, s2, s15
	s_addc_u32 s3, s4, s3
	s_mov_b32 s13, 0
	s_load_b32 s2, s[2:3], 0x820
	s_waitcnt vmcnt(0)
	v_readfirstlane_b32 s5, v1
	s_delay_alu instid0(VALU_DEP_1)
	s_lshl_b32 s3, s5, 3
	s_clause 0x1
	s_load_b64 s[8:9], s[0:1], s3 offset:0x0
	s_load_b64 s[4:5], s[0:1], s3 offset:0x370
	s_waitcnt lgkmcnt(0)
	s_ashr_i32 s3, s2, 31
	s_delay_alu instid0(SALU_CYCLE_1)
	s_lshl_b64 s[10:11], s[2:3], 18
	s_lshl_b64 s[2:3], s[2:3], 16
	s_and_b32 s12, s8, 15
	s_sub_u32 s6, s4, s2
	s_subb_u32 s7, s5, s3
	s_and_b32 s2, s4, 3
	s_mov_b32 s3, s13
	s_delay_alu instid0(SALU_CYCLE_1) | instskip(NEXT) | instid1(SALU_CYCLE_1)
	s_or_b64 s[2:3], s[12:13], s[2:3]
	s_cmp_eq_u64 s[2:3], 0
	s_cbranch_scc1 .LBB346_21
; %bb.1:
	v_cmp_lt_i64_e64 s2, s[6:7], 1
	s_delay_alu instid0(VALU_DEP_1)
	s_and_b32 vcc_lo, exec_lo, s2
	s_cbranch_vccnz .LBB346_20
; %bb.2:
	s_load_b32 s2, s[0:1], 0xd3c
	v_cmp_gt_u64_e64 s3, 0x10000, s[6:7]
	v_lshlrev_b32_e32 v1, 2, v0
	s_waitcnt lgkmcnt(0)
	s_and_b32 s2, s2, 0xffff
	s_delay_alu instid0(VALU_DEP_2)
	s_and_b32 s3, s3, exec_lo
	v_add_co_u32 v5, s5, v0, s2
	s_cselect_b32 s13, s7, 0
	s_cselect_b32 s12, s6, 0x10000
	s_lshl_b32 s3, s2, 1
	s_lshl_b32 s16, s2, 2
	v_lshlrev_b32_e32 v3, 2, v5
	v_add_co_ci_u32_e64 v6, null, 0, 0, s5
	s_add_u32 s5, s8, s10
	v_add_co_u32 v9, s3, s3, v0
	s_mul_i32 s4, s2, 3
	s_addc_u32 s14, s9, s11
	v_add_co_ci_u32_e64 v10, null, 0, 0, s3
	v_add_co_u32 v1, s3, s5, v1
	v_add_co_u32 v7, s4, s4, v0
	v_add_co_ci_u32_e64 v2, null, s14, 0, s3
	v_add_co_u32 v3, s3, s5, v3
	v_add_co_ci_u32_e64 v8, null, 0, 0, s4
	v_add_co_ci_u32_e64 v4, null, s14, 0, s3
	s_lshl_b32 s17, s2, 4
	s_mul_i32 s18, s2, 12
	s_lshl_b32 s19, s2, 3
	s_mov_b64 s[14:15], 0
	s_branch .LBB346_4
.LBB346_3:                              ;   in Loop: Header=BB346_4 Depth=1
	s_or_b32 exec_lo, exec_lo, s2
	s_add_u32 s14, s14, s16
	s_addc_u32 s15, s15, 0
	v_add_co_u32 v1, vcc_lo, v1, s17
	v_cmp_lt_i64_e64 s2, s[14:15], s[6:7]
	v_cmp_gt_u64_e64 s3, 0x10000, s[14:15]
	v_add_co_ci_u32_e32 v2, vcc_lo, 0, v2, vcc_lo
	v_add_co_u32 v3, vcc_lo, v3, s17
	v_add_co_ci_u32_e32 v4, vcc_lo, 0, v4, vcc_lo
	s_delay_alu instid0(VALU_DEP_4) | instskip(NEXT) | instid1(SALU_CYCLE_1)
	s_and_b32 s2, s2, s3
	s_and_b32 vcc_lo, exec_lo, s2
	s_cbranch_vccz .LBB346_20
.LBB346_4:                              ; =>This Inner Loop Header: Depth=1
	s_waitcnt vmcnt(0)
	v_add_co_u32 v11, s2, v0, s14
	s_delay_alu instid0(VALU_DEP_1) | instskip(NEXT) | instid1(VALU_DEP_1)
	v_add_co_ci_u32_e64 v12, null, 0, s15, s2
	v_cmp_gt_u64_e32 vcc_lo, s[12:13], v[11:12]
	v_mov_b32_e32 v11, 0
	s_and_saveexec_b32 s2, vcc_lo
	s_cbranch_execz .LBB346_6
; %bb.5:                                ;   in Loop: Header=BB346_4 Depth=1
	global_load_b32 v11, v[1:2], off
.LBB346_6:                              ;   in Loop: Header=BB346_4 Depth=1
	s_or_b32 exec_lo, exec_lo, s2
	v_add_co_u32 v12, s2, v5, s14
	s_delay_alu instid0(VALU_DEP_1) | instskip(NEXT) | instid1(VALU_DEP_1)
	v_add_co_ci_u32_e64 v13, s2, s15, v6, s2
	v_cmp_gt_u64_e64 s2, s[12:13], v[12:13]
	v_mov_b32_e32 v13, 0
	s_delay_alu instid0(VALU_DEP_2)
	s_and_saveexec_b32 s3, s2
	s_cbranch_execz .LBB346_8
; %bb.7:                                ;   in Loop: Header=BB346_4 Depth=1
	global_load_b32 v13, v[3:4], off
.LBB346_8:                              ;   in Loop: Header=BB346_4 Depth=1
	s_or_b32 exec_lo, exec_lo, s3
	v_add_co_u32 v14, s3, v9, s14
	s_delay_alu instid0(VALU_DEP_1) | instskip(SKIP_1) | instid1(VALU_DEP_2)
	v_add_co_ci_u32_e64 v15, s3, s15, v10, s3
	v_mov_b32_e32 v12, 0
	v_cmp_gt_u64_e64 s3, s[12:13], v[14:15]
	v_mov_b32_e32 v14, 0
	s_delay_alu instid0(VALU_DEP_2)
	s_and_saveexec_b32 s5, s3
	s_cbranch_execz .LBB346_10
; %bb.9:                                ;   in Loop: Header=BB346_4 Depth=1
	v_add_co_u32 v14, s4, v1, s19
	s_delay_alu instid0(VALU_DEP_1)
	v_add_co_ci_u32_e64 v15, s4, 0, v2, s4
	global_load_b32 v14, v[14:15], off
.LBB346_10:                             ;   in Loop: Header=BB346_4 Depth=1
	s_or_b32 exec_lo, exec_lo, s5
	v_add_co_u32 v15, s4, v7, s14
	s_delay_alu instid0(VALU_DEP_1) | instskip(NEXT) | instid1(VALU_DEP_1)
	v_add_co_ci_u32_e64 v16, s4, s15, v8, s4
	v_cmp_gt_u64_e64 s4, s[12:13], v[15:16]
	s_delay_alu instid0(VALU_DEP_1)
	s_and_saveexec_b32 s20, s4
	s_cbranch_execnz .LBB346_15
; %bb.11:                               ;   in Loop: Header=BB346_4 Depth=1
	s_or_b32 exec_lo, exec_lo, s20
	s_and_saveexec_b32 s5, vcc_lo
	s_cbranch_execnz .LBB346_16
.LBB346_12:                             ;   in Loop: Header=BB346_4 Depth=1
	s_or_b32 exec_lo, exec_lo, s5
	s_and_saveexec_b32 s5, s2
	s_cbranch_execnz .LBB346_17
.LBB346_13:                             ;   in Loop: Header=BB346_4 Depth=1
	s_or_b32 exec_lo, exec_lo, s5
	s_and_saveexec_b32 s2, s3
	s_cbranch_execnz .LBB346_18
.LBB346_14:                             ;   in Loop: Header=BB346_4 Depth=1
	s_or_b32 exec_lo, exec_lo, s2
	s_and_saveexec_b32 s2, s4
	s_cbranch_execz .LBB346_3
	s_branch .LBB346_19
.LBB346_15:                             ;   in Loop: Header=BB346_4 Depth=1
	v_add_co_u32 v15, s5, v1, s18
	s_delay_alu instid0(VALU_DEP_1)
	v_add_co_ci_u32_e64 v16, s5, 0, v2, s5
	global_load_b32 v12, v[15:16], off
	s_or_b32 exec_lo, exec_lo, s20
	s_and_saveexec_b32 s5, vcc_lo
	s_cbranch_execz .LBB346_12
.LBB346_16:                             ;   in Loop: Header=BB346_4 Depth=1
	s_waitcnt vmcnt(0)
	v_and_b32_e32 v11, 0x7fffffff, v11
	global_store_b32 v[1:2], v11, off
	s_or_b32 exec_lo, exec_lo, s5
	s_and_saveexec_b32 s5, s2
	s_cbranch_execz .LBB346_13
.LBB346_17:                             ;   in Loop: Header=BB346_4 Depth=1
	s_waitcnt vmcnt(0)
	v_and_b32_e32 v11, 0x7fffffff, v13
	global_store_b32 v[3:4], v11, off
	s_or_b32 exec_lo, exec_lo, s5
	s_and_saveexec_b32 s2, s3
	s_cbranch_execz .LBB346_14
.LBB346_18:                             ;   in Loop: Header=BB346_4 Depth=1
	s_waitcnt vmcnt(0)
	v_add_co_u32 v13, vcc_lo, v1, s19
	v_and_b32_e32 v11, 0x7fffffff, v14
	v_add_co_ci_u32_e32 v14, vcc_lo, 0, v2, vcc_lo
	global_store_b32 v[13:14], v11, off
	s_or_b32 exec_lo, exec_lo, s2
	s_and_saveexec_b32 s2, s4
	s_cbranch_execz .LBB346_3
.LBB346_19:                             ;   in Loop: Header=BB346_4 Depth=1
	s_waitcnt vmcnt(0)
	v_add_co_u32 v11, vcc_lo, v1, s18
	v_and_b32_e32 v13, 0x7fffffff, v12
	v_add_co_ci_u32_e32 v12, vcc_lo, 0, v2, vcc_lo
	global_store_b32 v[11:12], v13, off
	s_branch .LBB346_3
.LBB346_20:
	s_cbranch_execz .LBB346_22
	s_branch .LBB346_25
.LBB346_21:
.LBB346_22:
	v_dual_mov_b32 v2, 0 :: v_dual_lshlrev_b32 v1, 2, v0
	s_mov_b32 s2, 0
	s_mov_b32 s3, exec_lo
	s_delay_alu instid0(VALU_DEP_1)
	v_cmpx_gt_i64_e64 s[6:7], v[1:2]
	s_cbranch_execz .LBB346_25
; %bb.23:
	s_load_b32 s0, s[0:1], 0xd3c
	v_lshlrev_b32_e32 v1, 4, v0
	s_waitcnt lgkmcnt(0)
	s_and_b32 s0, s0, 0xffff
	s_delay_alu instid0(SALU_CYCLE_1) | instskip(SKIP_3) | instid1(VALU_DEP_1)
	s_lshl_b32 s3, s0, 2
	s_add_u32 s1, s8, s10
	s_addc_u32 s4, s9, s11
	v_add_co_u32 v3, s1, s1, v1
	v_add_co_ci_u32_e64 v4, null, s4, 0, s1
	v_add_lshl_u32 v1, v0, s0, 2
	s_delay_alu instid0(VALU_DEP_3) | instskip(NEXT) | instid1(VALU_DEP_3)
	v_add_co_u32 v3, vcc_lo, v3, 8
	v_add_co_ci_u32_e32 v4, vcc_lo, 0, v4, vcc_lo
	s_lshl_b32 s4, s0, 4
	.p2align	6
.LBB346_24:                             ; =>This Inner Loop Header: Depth=1
	global_load_b128 v[5:8], v[3:4], off offset:-8
	v_cmp_le_i64_e32 vcc_lo, s[6:7], v[1:2]
	v_cmp_lt_u64_e64 s0, 0xffff, v[1:2]
	v_add_co_u32 v1, s1, v1, s3
	s_delay_alu instid0(VALU_DEP_1) | instskip(NEXT) | instid1(VALU_DEP_3)
	v_add_co_ci_u32_e64 v2, s1, 0, v2, s1
	s_or_b32 s0, vcc_lo, s0
	s_delay_alu instid0(SALU_CYCLE_1) | instskip(NEXT) | instid1(SALU_CYCLE_1)
	s_and_b32 s0, exec_lo, s0
	s_or_b32 s2, s0, s2
	s_waitcnt vmcnt(0)
	v_and_b32_e32 v5, 0x7fffffff, v5
	v_and_b32_e32 v6, 0x7fffffff, v6
	;; [unrolled: 1-line block ×4, first 2 shown]
	global_store_b128 v[3:4], v[5:8], off offset:-8
	v_add_co_u32 v3, vcc_lo, v3, s4
	v_add_co_ci_u32_e32 v4, vcc_lo, 0, v4, vcc_lo
	s_and_not1_b32 exec_lo, exec_lo, s2
	s_cbranch_execnz .LBB346_24
.LBB346_25:
	s_nop 0
	s_sendmsg sendmsg(MSG_DEALLOC_VGPRS)
	s_endpgm
	.section	.rodata,"a",@progbits
	.p2align	6, 0x0
	.amdhsa_kernel _ZN2at6native12_GLOBAL__N_125multi_tensor_apply_kernelINS1_18TensorListMetadataILi1EEENS1_14UnaryOpFunctorIfLi1ELi1ELi0EEEJNS0_3AbsIfEEEEEvT_T0_DpT1_
		.amdhsa_group_segment_fixed_size 0
		.amdhsa_private_segment_fixed_size 0
		.amdhsa_kernarg_size 3632
		.amdhsa_user_sgpr_count 15
		.amdhsa_user_sgpr_dispatch_ptr 0
		.amdhsa_user_sgpr_queue_ptr 0
		.amdhsa_user_sgpr_kernarg_segment_ptr 1
		.amdhsa_user_sgpr_dispatch_id 0
		.amdhsa_user_sgpr_private_segment_size 0
		.amdhsa_wavefront_size32 1
		.amdhsa_uses_dynamic_stack 0
		.amdhsa_enable_private_segment 0
		.amdhsa_system_sgpr_workgroup_id_x 1
		.amdhsa_system_sgpr_workgroup_id_y 0
		.amdhsa_system_sgpr_workgroup_id_z 0
		.amdhsa_system_sgpr_workgroup_info 0
		.amdhsa_system_vgpr_workitem_id 0
		.amdhsa_next_free_vgpr 17
		.amdhsa_next_free_sgpr 21
		.amdhsa_reserve_vcc 1
		.amdhsa_float_round_mode_32 0
		.amdhsa_float_round_mode_16_64 0
		.amdhsa_float_denorm_mode_32 3
		.amdhsa_float_denorm_mode_16_64 3
		.amdhsa_dx10_clamp 1
		.amdhsa_ieee_mode 1
		.amdhsa_fp16_overflow 0
		.amdhsa_workgroup_processor_mode 1
		.amdhsa_memory_ordered 1
		.amdhsa_forward_progress 0
		.amdhsa_shared_vgpr_count 0
		.amdhsa_exception_fp_ieee_invalid_op 0
		.amdhsa_exception_fp_denorm_src 0
		.amdhsa_exception_fp_ieee_div_zero 0
		.amdhsa_exception_fp_ieee_overflow 0
		.amdhsa_exception_fp_ieee_underflow 0
		.amdhsa_exception_fp_ieee_inexact 0
		.amdhsa_exception_int_div_zero 0
	.end_amdhsa_kernel
	.section	.text._ZN2at6native12_GLOBAL__N_125multi_tensor_apply_kernelINS1_18TensorListMetadataILi1EEENS1_14UnaryOpFunctorIfLi1ELi1ELi0EEEJNS0_3AbsIfEEEEEvT_T0_DpT1_,"axG",@progbits,_ZN2at6native12_GLOBAL__N_125multi_tensor_apply_kernelINS1_18TensorListMetadataILi1EEENS1_14UnaryOpFunctorIfLi1ELi1ELi0EEEJNS0_3AbsIfEEEEEvT_T0_DpT1_,comdat
.Lfunc_end346:
	.size	_ZN2at6native12_GLOBAL__N_125multi_tensor_apply_kernelINS1_18TensorListMetadataILi1EEENS1_14UnaryOpFunctorIfLi1ELi1ELi0EEEJNS0_3AbsIfEEEEEvT_T0_DpT1_, .Lfunc_end346-_ZN2at6native12_GLOBAL__N_125multi_tensor_apply_kernelINS1_18TensorListMetadataILi1EEENS1_14UnaryOpFunctorIfLi1ELi1ELi0EEEJNS0_3AbsIfEEEEEvT_T0_DpT1_
                                        ; -- End function
	.section	.AMDGPU.csdata,"",@progbits
; Kernel info:
; codeLenInByte = 1136
; NumSgprs: 23
; NumVgprs: 17
; ScratchSize: 0
; MemoryBound: 0
; FloatMode: 240
; IeeeMode: 1
; LDSByteSize: 0 bytes/workgroup (compile time only)
; SGPRBlocks: 2
; VGPRBlocks: 2
; NumSGPRsForWavesPerEU: 23
; NumVGPRsForWavesPerEU: 17
; Occupancy: 16
; WaveLimiterHint : 0
; COMPUTE_PGM_RSRC2:SCRATCH_EN: 0
; COMPUTE_PGM_RSRC2:USER_SGPR: 15
; COMPUTE_PGM_RSRC2:TRAP_HANDLER: 0
; COMPUTE_PGM_RSRC2:TGID_X_EN: 1
; COMPUTE_PGM_RSRC2:TGID_Y_EN: 0
; COMPUTE_PGM_RSRC2:TGID_Z_EN: 0
; COMPUTE_PGM_RSRC2:TIDIG_COMP_CNT: 0
	.section	.text._ZN2at6native12_GLOBAL__N_125multi_tensor_apply_kernelINS1_18TensorListMetadataILi1EEENS1_14UnaryOpFunctorIN3c107complexIdEELi1ELi1ELi0EEEJNS0_3AbsIS8_EEEEEvT_T0_DpT1_,"axG",@progbits,_ZN2at6native12_GLOBAL__N_125multi_tensor_apply_kernelINS1_18TensorListMetadataILi1EEENS1_14UnaryOpFunctorIN3c107complexIdEELi1ELi1ELi0EEEJNS0_3AbsIS8_EEEEEvT_T0_DpT1_,comdat
	.globl	_ZN2at6native12_GLOBAL__N_125multi_tensor_apply_kernelINS1_18TensorListMetadataILi1EEENS1_14UnaryOpFunctorIN3c107complexIdEELi1ELi1ELi0EEEJNS0_3AbsIS8_EEEEEvT_T0_DpT1_ ; -- Begin function _ZN2at6native12_GLOBAL__N_125multi_tensor_apply_kernelINS1_18TensorListMetadataILi1EEENS1_14UnaryOpFunctorIN3c107complexIdEELi1ELi1ELi0EEEJNS0_3AbsIS8_EEEEEvT_T0_DpT1_
	.p2align	8
	.type	_ZN2at6native12_GLOBAL__N_125multi_tensor_apply_kernelINS1_18TensorListMetadataILi1EEENS1_14UnaryOpFunctorIN3c107complexIdEELi1ELi1ELi0EEEJNS0_3AbsIS8_EEEEEvT_T0_DpT1_,@function
_ZN2at6native12_GLOBAL__N_125multi_tensor_apply_kernelINS1_18TensorListMetadataILi1EEENS1_14UnaryOpFunctorIN3c107complexIdEELi1ELi1ELi0EEEJNS0_3AbsIS8_EEEEEvT_T0_DpT1_: ; @_ZN2at6native12_GLOBAL__N_125multi_tensor_apply_kernelINS1_18TensorListMetadataILi1EEENS1_14UnaryOpFunctorIN3c107complexIdEELi1ELi1ELi0EEEJNS0_3AbsIS8_EEEEEvT_T0_DpT1_
; %bb.0:
	v_mov_b32_e32 v1, s15
	s_add_u32 s2, s0, s15
	s_mul_hi_u32 s3, s15, 3
	s_mul_i32 s15, s15, 3
	s_addc_u32 s4, s1, 0
	global_load_u8 v1, v1, s[0:1] offset:1760
	s_add_u32 s2, s2, s15
	s_addc_u32 s3, s4, s3
	s_mov_b32 s13, 0
	s_load_b32 s2, s[2:3], 0x820
	s_waitcnt vmcnt(0)
	v_readfirstlane_b32 s5, v1
	s_delay_alu instid0(VALU_DEP_1)
	s_lshl_b32 s3, s5, 3
	s_clause 0x1
	s_load_b64 s[8:9], s[0:1], s3 offset:0x0
	s_load_b64 s[4:5], s[0:1], s3 offset:0x370
	s_waitcnt lgkmcnt(0)
	s_ashr_i32 s3, s2, 31
	s_delay_alu instid0(SALU_CYCLE_1) | instskip(NEXT) | instid1(SALU_CYCLE_1)
	s_lshl_b64 s[10:11], s[2:3], 20
	s_add_u32 s16, s8, s10
	s_addc_u32 s17, s9, s11
	s_lshl_b64 s[2:3], s[2:3], 16
	s_and_b32 s12, s16, 63
	s_sub_u32 s6, s4, s2
	s_subb_u32 s7, s5, s3
	s_and_b32 s2, s4, 3
	s_mov_b32 s3, s13
	s_delay_alu instid0(SALU_CYCLE_1) | instskip(NEXT) | instid1(SALU_CYCLE_1)
	s_or_b64 s[2:3], s[12:13], s[2:3]
	s_cmp_eq_u64 s[2:3], 0
	s_cbranch_scc1 .LBB347_21
; %bb.1:
	v_cmp_lt_i64_e64 s2, s[6:7], 1
	s_delay_alu instid0(VALU_DEP_1)
	s_and_b32 vcc_lo, exec_lo, s2
	s_cbranch_vccnz .LBB347_20
; %bb.2:
	s_load_b32 s2, s[0:1], 0xd3c
	v_mov_b32_e32 v3, 0
	v_cmp_gt_u64_e64 s3, 0x10000, s[6:7]
	v_lshlrev_b32_e32 v21, 4, v0
	s_mov_b64 s[14:15], 0
	s_delay_alu instid0(VALU_DEP_3)
	v_mov_b32_e32 v22, v3
	s_waitcnt lgkmcnt(0)
	s_and_b32 s2, s2, 0xffff
	s_and_b32 s3, s3, exec_lo
	v_add_co_u32 v25, s5, v0, s2
	v_mad_u64_u32 v[23:24], null, s2, 48, v[21:22]
	s_cselect_b32 s13, s7, 0
	s_cselect_b32 s12, s6, 0x10000
	v_add_co_ci_u32_e64 v26, null, 0, 0, s5
	s_lshl_b32 s5, s2, 5
	s_lshl_b32 s3, s2, 1
	v_add_co_u32 v1, s5, s5, v21
	s_mul_i32 s4, s2, 3
	v_add_co_u32 v31, s3, s3, v0
	v_add_co_u32 v22, s4, s4, v0
	s_delay_alu instid0(VALU_DEP_1)
	v_add_co_ci_u32_e64 v27, null, 0, 0, s4
	v_add_co_ci_u32_e64 v28, null, 0, 0, s5
	v_lshlrev_b32_e32 v29, 4, v25
	v_or_b32_e32 v30, 8, v1
	v_or_b32_e32 v23, 8, v23
	v_add_co_ci_u32_e64 v32, null, 0, 0, s3
	s_lshl_b32 s18, s2, 2
	s_lshl_b32 s19, s2, 6
	s_branch .LBB347_4
.LBB347_3:                              ;   in Loop: Header=BB347_4 Depth=1
	s_or_b32 exec_lo, exec_lo, s2
	s_add_u32 s14, s14, s18
	s_addc_u32 s15, s15, 0
	s_delay_alu instid0(SALU_CYCLE_1) | instskip(SKIP_1) | instid1(VALU_DEP_1)
	v_cmp_lt_i64_e64 s2, s[14:15], s[6:7]
	v_cmp_gt_u64_e64 s3, 0x10000, s[14:15]
	s_and_b32 s2, s2, s3
	s_add_u32 s16, s16, s19
	s_addc_u32 s17, s17, 0
	s_and_b32 vcc_lo, exec_lo, s2
	s_cbranch_vccz .LBB347_20
.LBB347_4:                              ; =>This Inner Loop Header: Depth=1
	v_add_co_u32 v1, s2, v0, s14
	s_delay_alu instid0(VALU_DEP_1) | instskip(SKIP_3) | instid1(VALU_DEP_3)
	v_add_co_ci_u32_e64 v2, null, 0, s15, s2
	s_waitcnt vmcnt(0)
	v_mov_b32_e32 v11, 0
	v_mov_b32_e32 v12, 0
	v_cmp_gt_u64_e64 s4, s[12:13], v[1:2]
	s_delay_alu instid0(VALU_DEP_2) | instskip(SKIP_1) | instid1(VALU_DEP_3)
	v_dual_mov_b32 v20, v12 :: v_dual_mov_b32 v19, v11
	v_dual_mov_b32 v18, v12 :: v_dual_mov_b32 v17, v11
	s_and_saveexec_b32 s2, s4
	s_cbranch_execz .LBB347_6
; %bb.5:                                ;   in Loop: Header=BB347_4 Depth=1
	v_add_co_u32 v1, s3, s16, v21
	s_delay_alu instid0(VALU_DEP_1)
	v_add_co_ci_u32_e64 v2, null, s17, 0, s3
	global_load_b128 v[17:20], v[1:2], off
.LBB347_6:                              ;   in Loop: Header=BB347_4 Depth=1
	s_or_b32 exec_lo, exec_lo, s2
	v_add_co_u32 v1, vcc_lo, v25, s14
	v_add_co_ci_u32_e32 v2, vcc_lo, s15, v26, vcc_lo
	v_dual_mov_b32 v9, v11 :: v_dual_mov_b32 v10, v12
	s_delay_alu instid0(VALU_DEP_2) | instskip(NEXT) | instid1(VALU_DEP_1)
	v_cmp_gt_u64_e64 s3, s[12:13], v[1:2]
	s_and_saveexec_b32 s2, s3
	s_cbranch_execz .LBB347_8
; %bb.7:                                ;   in Loop: Header=BB347_4 Depth=1
	v_add_co_u32 v1, s5, s16, v29
	s_delay_alu instid0(VALU_DEP_1)
	v_add_co_ci_u32_e64 v2, null, s17, 0, s5
	global_load_b128 v[9:12], v[1:2], off
.LBB347_8:                              ;   in Loop: Header=BB347_4 Depth=1
	s_or_b32 exec_lo, exec_lo, s2
	v_add_co_u32 v1, vcc_lo, v31, s14
	v_add_co_ci_u32_e32 v2, vcc_lo, s15, v32, vcc_lo
	v_mov_b32_e32 v7, 0
	v_mov_b32_e32 v8, 0
	s_delay_alu instid0(VALU_DEP_3) | instskip(NEXT) | instid1(VALU_DEP_2)
	v_cmp_gt_u64_e64 s2, s[12:13], v[1:2]
	v_dual_mov_b32 v16, v8 :: v_dual_mov_b32 v15, v7
	v_dual_mov_b32 v14, v8 :: v_dual_mov_b32 v13, v7
	s_delay_alu instid0(VALU_DEP_3)
	s_and_saveexec_b32 s5, s2
	s_cbranch_execz .LBB347_10
; %bb.9:                                ;   in Loop: Header=BB347_4 Depth=1
	v_add_co_u32 v1, vcc_lo, s16, v30
	v_add_co_ci_u32_e32 v2, vcc_lo, s17, v28, vcc_lo
	global_load_b128 v[13:16], v[1:2], off offset:-8
.LBB347_10:                             ;   in Loop: Header=BB347_4 Depth=1
	s_or_b32 exec_lo, exec_lo, s5
	v_add_co_u32 v1, vcc_lo, v22, s14
	v_add_co_ci_u32_e32 v2, vcc_lo, s15, v27, vcc_lo
	v_dual_mov_b32 v5, v7 :: v_dual_mov_b32 v6, v8
	s_delay_alu instid0(VALU_DEP_2)
	v_cmp_gt_u64_e32 vcc_lo, s[12:13], v[1:2]
	s_and_saveexec_b32 s20, vcc_lo
	s_cbranch_execnz .LBB347_15
; %bb.11:                               ;   in Loop: Header=BB347_4 Depth=1
	s_or_b32 exec_lo, exec_lo, s20
	s_and_saveexec_b32 s5, s4
	s_cbranch_execnz .LBB347_16
.LBB347_12:                             ;   in Loop: Header=BB347_4 Depth=1
	s_or_b32 exec_lo, exec_lo, s5
	s_and_saveexec_b32 s4, s3
	s_cbranch_execnz .LBB347_17
.LBB347_13:                             ;   in Loop: Header=BB347_4 Depth=1
	s_or_b32 exec_lo, exec_lo, s4
	s_and_saveexec_b32 s3, s2
	s_cbranch_execnz .LBB347_18
.LBB347_14:                             ;   in Loop: Header=BB347_4 Depth=1
	s_or_b32 exec_lo, exec_lo, s3
	s_and_saveexec_b32 s2, vcc_lo
	s_cbranch_execz .LBB347_3
	s_branch .LBB347_19
.LBB347_15:                             ;   in Loop: Header=BB347_4 Depth=1
	v_add_co_u32 v1, s5, s16, v23
	s_delay_alu instid0(VALU_DEP_1)
	v_add_co_ci_u32_e64 v2, s5, s17, v24, s5
	global_load_b128 v[5:8], v[1:2], off offset:-8
	s_or_b32 exec_lo, exec_lo, s20
	s_and_saveexec_b32 s5, s4
	s_cbranch_execz .LBB347_12
.LBB347_16:                             ;   in Loop: Header=BB347_4 Depth=1
	s_waitcnt vmcnt(0)
	v_max_f64 v[1:2], |v[19:20]|, |v[19:20]|
	v_max_f64 v[33:34], |v[17:18]|, |v[17:18]|
	v_cmp_class_f64_e64 s20, v[17:18], 0x204
	v_cmp_class_f64_e64 s21, v[19:20], 0x204
	s_delay_alu instid0(VALU_DEP_3) | instskip(NEXT) | instid1(VALU_DEP_1)
	v_max_f64 v[1:2], v[33:34], v[1:2]
	v_frexp_exp_i32_f64_e32 v4, v[1:2]
	s_delay_alu instid0(VALU_DEP_1) | instskip(NEXT) | instid1(VALU_DEP_1)
	v_sub_nc_u32_e32 v33, 0, v4
	v_ldexp_f64 v[1:2], |v[19:20]|, v33
	v_ldexp_f64 v[33:34], |v[17:18]|, v33
	s_delay_alu instid0(VALU_DEP_2) | instskip(NEXT) | instid1(VALU_DEP_1)
	v_mul_f64 v[1:2], v[1:2], v[1:2]
	v_fma_f64 v[1:2], v[33:34], v[33:34], v[1:2]
	s_delay_alu instid0(VALU_DEP_1) | instskip(SKIP_4) | instid1(VALU_DEP_1)
	v_rsq_f64_e32 v[33:34], v[1:2]
	v_cmp_eq_f64_e64 s4, 0, v[1:2]
	s_waitcnt_depctr 0xfff
	v_mul_f64 v[35:36], v[1:2], v[33:34]
	v_mul_f64 v[33:34], v[33:34], 0.5
	v_fma_f64 v[37:38], -v[33:34], v[35:36], 0.5
	s_delay_alu instid0(VALU_DEP_1) | instskip(SKIP_1) | instid1(VALU_DEP_2)
	v_fma_f64 v[35:36], v[35:36], v[37:38], v[35:36]
	v_fma_f64 v[33:34], v[33:34], v[37:38], v[33:34]
	v_fma_f64 v[37:38], -v[35:36], v[35:36], v[1:2]
	s_delay_alu instid0(VALU_DEP_1) | instskip(NEXT) | instid1(VALU_DEP_1)
	v_fma_f64 v[33:34], v[37:38], v[33:34], v[35:36]
	v_cndmask_b32_e64 v2, v34, v2, s4
	s_delay_alu instid0(VALU_DEP_2) | instskip(SKIP_1) | instid1(VALU_DEP_2)
	v_cndmask_b32_e64 v1, v33, v1, s4
	v_cmp_o_f64_e64 s4, v[17:18], v[19:20]
	v_ldexp_f64 v[1:2], v[1:2], v4
	v_mov_b32_e32 v4, v3
	s_delay_alu instid0(VALU_DEP_2) | instskip(NEXT) | instid1(VALU_DEP_3)
	v_cndmask_b32_e64 v1, 0, v1, s4
	v_cndmask_b32_e64 v2, 0x7ff80000, v2, s4
	v_add_co_u32 v17, s4, s16, v21
	s_delay_alu instid0(VALU_DEP_1)
	v_add_co_ci_u32_e64 v18, null, s17, 0, s4
	s_or_b32 s4, s21, s20
	s_delay_alu instid0(VALU_DEP_3) | instid1(SALU_CYCLE_1)
	v_cndmask_b32_e64 v2, v2, 0x7ff00000, s4
	v_cndmask_b32_e64 v1, v1, 0, s4
	global_store_b128 v[17:18], v[1:4], off
	s_or_b32 exec_lo, exec_lo, s5
	s_and_saveexec_b32 s4, s3
	s_cbranch_execz .LBB347_13
.LBB347_17:                             ;   in Loop: Header=BB347_4 Depth=1
	s_waitcnt vmcnt(0)
	v_max_f64 v[1:2], |v[11:12]|, |v[11:12]|
	v_max_f64 v[17:18], |v[9:10]|, |v[9:10]|
	v_cmp_class_f64_e64 s5, v[9:10], 0x204
	v_cmp_class_f64_e64 s20, v[11:12], 0x204
	s_delay_alu instid0(VALU_DEP_3) | instskip(NEXT) | instid1(VALU_DEP_1)
	v_max_f64 v[1:2], v[17:18], v[1:2]
	v_frexp_exp_i32_f64_e32 v4, v[1:2]
	s_delay_alu instid0(VALU_DEP_1) | instskip(NEXT) | instid1(VALU_DEP_1)
	v_sub_nc_u32_e32 v17, 0, v4
	v_ldexp_f64 v[1:2], |v[11:12]|, v17
	v_ldexp_f64 v[17:18], |v[9:10]|, v17
	s_delay_alu instid0(VALU_DEP_2) | instskip(NEXT) | instid1(VALU_DEP_1)
	v_mul_f64 v[1:2], v[1:2], v[1:2]
	v_fma_f64 v[1:2], v[17:18], v[17:18], v[1:2]
	s_delay_alu instid0(VALU_DEP_1) | instskip(SKIP_4) | instid1(VALU_DEP_1)
	v_rsq_f64_e32 v[17:18], v[1:2]
	v_cmp_eq_f64_e64 s3, 0, v[1:2]
	s_waitcnt_depctr 0xfff
	v_mul_f64 v[19:20], v[1:2], v[17:18]
	v_mul_f64 v[17:18], v[17:18], 0.5
	v_fma_f64 v[33:34], -v[17:18], v[19:20], 0.5
	s_delay_alu instid0(VALU_DEP_1) | instskip(SKIP_1) | instid1(VALU_DEP_2)
	v_fma_f64 v[19:20], v[19:20], v[33:34], v[19:20]
	v_fma_f64 v[17:18], v[17:18], v[33:34], v[17:18]
	v_fma_f64 v[33:34], -v[19:20], v[19:20], v[1:2]
	s_delay_alu instid0(VALU_DEP_1) | instskip(NEXT) | instid1(VALU_DEP_1)
	v_fma_f64 v[17:18], v[33:34], v[17:18], v[19:20]
	v_cndmask_b32_e64 v2, v18, v2, s3
	s_delay_alu instid0(VALU_DEP_2) | instskip(SKIP_1) | instid1(VALU_DEP_2)
	v_cndmask_b32_e64 v1, v17, v1, s3
	v_cmp_o_f64_e64 s3, v[9:10], v[11:12]
	v_ldexp_f64 v[1:2], v[1:2], v4
	v_mov_b32_e32 v4, v3
	s_delay_alu instid0(VALU_DEP_2) | instskip(NEXT) | instid1(VALU_DEP_3)
	v_cndmask_b32_e64 v1, 0, v1, s3
	v_cndmask_b32_e64 v2, 0x7ff80000, v2, s3
	v_add_co_u32 v9, s3, s16, v29
	s_delay_alu instid0(VALU_DEP_1)
	v_add_co_ci_u32_e64 v10, null, s17, 0, s3
	s_or_b32 s3, s20, s5
	s_delay_alu instid0(VALU_DEP_3) | instid1(SALU_CYCLE_1)
	v_cndmask_b32_e64 v2, v2, 0x7ff00000, s3
	v_cndmask_b32_e64 v1, v1, 0, s3
	global_store_b128 v[9:10], v[1:4], off
	s_or_b32 exec_lo, exec_lo, s4
	s_and_saveexec_b32 s3, s2
	s_cbranch_execz .LBB347_14
.LBB347_18:                             ;   in Loop: Header=BB347_4 Depth=1
	s_waitcnt vmcnt(0)
	v_max_f64 v[1:2], |v[15:16]|, |v[15:16]|
	v_max_f64 v[9:10], |v[13:14]|, |v[13:14]|
	v_cmp_class_f64_e64 s4, v[13:14], 0x204
	v_cmp_class_f64_e64 s5, v[15:16], 0x204
	s_delay_alu instid0(VALU_DEP_3) | instskip(NEXT) | instid1(VALU_DEP_1)
	v_max_f64 v[1:2], v[9:10], v[1:2]
	v_frexp_exp_i32_f64_e32 v4, v[1:2]
	s_delay_alu instid0(VALU_DEP_1) | instskip(NEXT) | instid1(VALU_DEP_1)
	v_sub_nc_u32_e32 v9, 0, v4
	v_ldexp_f64 v[1:2], |v[15:16]|, v9
	v_ldexp_f64 v[9:10], |v[13:14]|, v9
	s_delay_alu instid0(VALU_DEP_2) | instskip(NEXT) | instid1(VALU_DEP_1)
	v_mul_f64 v[1:2], v[1:2], v[1:2]
	v_fma_f64 v[1:2], v[9:10], v[9:10], v[1:2]
	s_delay_alu instid0(VALU_DEP_1) | instskip(SKIP_4) | instid1(VALU_DEP_1)
	v_rsq_f64_e32 v[9:10], v[1:2]
	v_cmp_eq_f64_e64 s2, 0, v[1:2]
	s_waitcnt_depctr 0xfff
	v_mul_f64 v[11:12], v[1:2], v[9:10]
	v_mul_f64 v[9:10], v[9:10], 0.5
	v_fma_f64 v[17:18], -v[9:10], v[11:12], 0.5
	s_delay_alu instid0(VALU_DEP_1) | instskip(SKIP_1) | instid1(VALU_DEP_2)
	v_fma_f64 v[11:12], v[11:12], v[17:18], v[11:12]
	v_fma_f64 v[9:10], v[9:10], v[17:18], v[9:10]
	v_fma_f64 v[17:18], -v[11:12], v[11:12], v[1:2]
	s_delay_alu instid0(VALU_DEP_1) | instskip(NEXT) | instid1(VALU_DEP_1)
	v_fma_f64 v[9:10], v[17:18], v[9:10], v[11:12]
	v_cndmask_b32_e64 v2, v10, v2, s2
	s_delay_alu instid0(VALU_DEP_2) | instskip(SKIP_1) | instid1(VALU_DEP_2)
	v_cndmask_b32_e64 v1, v9, v1, s2
	v_cmp_o_f64_e64 s2, v[13:14], v[15:16]
	v_ldexp_f64 v[1:2], v[1:2], v4
	v_mov_b32_e32 v4, v3
	s_delay_alu instid0(VALU_DEP_2) | instskip(NEXT) | instid1(VALU_DEP_3)
	v_cndmask_b32_e64 v1, 0, v1, s2
	v_cndmask_b32_e64 v2, 0x7ff80000, v2, s2
	v_add_co_u32 v9, s2, s16, v30
	s_delay_alu instid0(VALU_DEP_1)
	v_add_co_ci_u32_e64 v10, s2, s17, v28, s2
	s_or_b32 s2, s5, s4
	s_delay_alu instid0(VALU_DEP_3) | instid1(SALU_CYCLE_1)
	v_cndmask_b32_e64 v2, v2, 0x7ff00000, s2
	v_cndmask_b32_e64 v1, v1, 0, s2
	global_store_b128 v[9:10], v[1:4], off offset:-8
	s_or_b32 exec_lo, exec_lo, s3
	s_and_saveexec_b32 s2, vcc_lo
	s_cbranch_execz .LBB347_3
.LBB347_19:                             ;   in Loop: Header=BB347_4 Depth=1
	s_waitcnt vmcnt(0)
	v_max_f64 v[1:2], |v[7:8]|, |v[7:8]|
	v_max_f64 v[9:10], |v[5:6]|, |v[5:6]|
	v_cmp_class_f64_e64 s3, v[5:6], 0x204
	v_cmp_class_f64_e64 s4, v[7:8], 0x204
	s_delay_alu instid0(VALU_DEP_3) | instskip(NEXT) | instid1(VALU_DEP_2)
	v_max_f64 v[1:2], v[9:10], v[1:2]
	s_or_b32 s3, s4, s3
	s_delay_alu instid0(VALU_DEP_1) | instskip(NEXT) | instid1(VALU_DEP_1)
	v_frexp_exp_i32_f64_e32 v4, v[1:2]
	v_sub_nc_u32_e32 v9, 0, v4
	s_delay_alu instid0(VALU_DEP_1) | instskip(SKIP_1) | instid1(VALU_DEP_2)
	v_ldexp_f64 v[1:2], |v[7:8]|, v9
	v_ldexp_f64 v[9:10], |v[5:6]|, v9
	v_mul_f64 v[1:2], v[1:2], v[1:2]
	s_delay_alu instid0(VALU_DEP_1) | instskip(NEXT) | instid1(VALU_DEP_1)
	v_fma_f64 v[1:2], v[9:10], v[9:10], v[1:2]
	v_rsq_f64_e32 v[9:10], v[1:2]
	v_cmp_eq_f64_e32 vcc_lo, 0, v[1:2]
	s_waitcnt_depctr 0xfff
	v_mul_f64 v[11:12], v[1:2], v[9:10]
	v_mul_f64 v[9:10], v[9:10], 0.5
	s_delay_alu instid0(VALU_DEP_1) | instskip(NEXT) | instid1(VALU_DEP_1)
	v_fma_f64 v[13:14], -v[9:10], v[11:12], 0.5
	v_fma_f64 v[11:12], v[11:12], v[13:14], v[11:12]
	v_fma_f64 v[9:10], v[9:10], v[13:14], v[9:10]
	s_delay_alu instid0(VALU_DEP_2) | instskip(NEXT) | instid1(VALU_DEP_1)
	v_fma_f64 v[13:14], -v[11:12], v[11:12], v[1:2]
	v_fma_f64 v[9:10], v[13:14], v[9:10], v[11:12]
	s_delay_alu instid0(VALU_DEP_1) | instskip(SKIP_1) | instid1(VALU_DEP_2)
	v_dual_cndmask_b32 v2, v10, v2 :: v_dual_cndmask_b32 v1, v9, v1
	v_cmp_o_f64_e32 vcc_lo, v[5:6], v[7:8]
	v_ldexp_f64 v[1:2], v[1:2], v4
	s_delay_alu instid0(VALU_DEP_1) | instskip(NEXT) | instid1(VALU_DEP_2)
	v_dual_mov_b32 v4, v3 :: v_dual_cndmask_b32 v1, 0, v1
	v_cndmask_b32_e32 v2, 0x7ff80000, v2, vcc_lo
	v_add_co_u32 v5, vcc_lo, s16, v23
	v_add_co_ci_u32_e32 v6, vcc_lo, s17, v24, vcc_lo
	s_delay_alu instid0(VALU_DEP_3)
	v_cndmask_b32_e64 v2, v2, 0x7ff00000, s3
	v_cndmask_b32_e64 v1, v1, 0, s3
	global_store_b128 v[5:6], v[1:4], off offset:-8
	s_branch .LBB347_3
.LBB347_20:
	s_cbranch_execz .LBB347_22
	s_branch .LBB347_25
.LBB347_21:
.LBB347_22:
	v_dual_mov_b32 v2, 0 :: v_dual_lshlrev_b32 v1, 2, v0
	s_mov_b32 s12, 0
	s_mov_b32 s2, exec_lo
	s_delay_alu instid0(VALU_DEP_1)
	v_cmpx_gt_i64_e64 s[6:7], v[1:2]
	s_cbranch_execz .LBB347_25
; %bb.23:
	s_load_b32 s0, s[0:1], 0xd3c
	s_waitcnt lgkmcnt(0)
	s_and_b32 s0, s0, 0xffff
	s_delay_alu instid0(SALU_CYCLE_1)
	v_add_lshl_u32 v1, v0, s0, 2
	v_lshlrev_b32_e32 v3, 6, v0
	s_lshl_b32 s13, s0, 2
	s_add_u32 s1, s8, s10
	s_waitcnt vmcnt(0)
	v_dual_mov_b32 v7, v2 :: v_dual_mov_b32 v6, v1
	s_addc_u32 s2, s9, s11
	v_add_co_u32 v4, s1, s1, v3
	s_delay_alu instid0(VALU_DEP_1)
	v_add_co_ci_u32_e64 v5, null, s2, 0, s1
	s_lshl_b32 s8, s0, 6
.LBB347_24:                             ; =>This Inner Loop Header: Depth=1
	s_clause 0x3
	global_load_b128 v[8:11], v[4:5], off
	global_load_b128 v[12:15], v[4:5], off offset:16
	global_load_b128 v[16:19], v[4:5], off offset:32
	;; [unrolled: 1-line block ×3, first 2 shown]
	v_cmp_le_i64_e64 s3, s[6:7], v[6:7]
	v_cmp_lt_u64_e64 s4, 0xffff, v[6:7]
	v_add_co_u32 v6, s5, v6, s13
	s_delay_alu instid0(VALU_DEP_1)
	v_add_co_ci_u32_e64 v7, s5, 0, v7, s5
	s_waitcnt vmcnt(3)
	v_max_f64 v[0:1], |v[10:11]|, |v[10:11]|
	v_max_f64 v[24:25], |v[8:9]|, |v[8:9]|
	s_waitcnt vmcnt(2)
	v_max_f64 v[26:27], |v[14:15]|, |v[14:15]|
	v_max_f64 v[28:29], |v[12:13]|, |v[12:13]|
	;; [unrolled: 3-line block ×4, first 2 shown]
	v_cmp_class_f64_e64 s9, v[8:9], 0x204
	v_cmp_class_f64_e64 s10, v[10:11], 0x204
	;; [unrolled: 1-line block ×8, first 2 shown]
	v_max_f64 v[0:1], v[24:25], v[0:1]
	v_max_f64 v[24:25], v[28:29], v[26:27]
	;; [unrolled: 1-line block ×4, first 2 shown]
	s_delay_alu instid0(VALU_DEP_4) | instskip(NEXT) | instid1(VALU_DEP_4)
	v_frexp_exp_i32_f64_e32 v3, v[0:1]
	v_frexp_exp_i32_f64_e32 v54, v[24:25]
	s_delay_alu instid0(VALU_DEP_4) | instskip(NEXT) | instid1(VALU_DEP_4)
	v_frexp_exp_i32_f64_e32 v55, v[26:27]
	v_frexp_exp_i32_f64_e32 v56, v[28:29]
	s_delay_alu instid0(VALU_DEP_4) | instskip(NEXT) | instid1(VALU_DEP_4)
	v_sub_nc_u32_e32 v30, 0, v3
	v_sub_nc_u32_e32 v32, 0, v54
	s_delay_alu instid0(VALU_DEP_4) | instskip(NEXT) | instid1(VALU_DEP_3)
	v_sub_nc_u32_e32 v34, 0, v55
	v_ldexp_f64 v[0:1], |v[10:11]|, v30
	v_sub_nc_u32_e32 v36, 0, v56
	s_delay_alu instid0(VALU_DEP_4)
	v_ldexp_f64 v[24:25], |v[14:15]|, v32
	v_ldexp_f64 v[30:31], |v[8:9]|, v30
	;; [unrolled: 1-line block ×7, first 2 shown]
	v_mul_f64 v[0:1], v[0:1], v[0:1]
	v_mul_f64 v[24:25], v[24:25], v[24:25]
	;; [unrolled: 1-line block ×4, first 2 shown]
	s_delay_alu instid0(VALU_DEP_4) | instskip(NEXT) | instid1(VALU_DEP_4)
	v_fma_f64 v[0:1], v[30:31], v[30:31], v[0:1]
	v_fma_f64 v[24:25], v[32:33], v[32:33], v[24:25]
	s_delay_alu instid0(VALU_DEP_4) | instskip(NEXT) | instid1(VALU_DEP_4)
	v_fma_f64 v[26:27], v[34:35], v[34:35], v[26:27]
	v_fma_f64 v[28:29], v[36:37], v[36:37], v[28:29]
	s_delay_alu instid0(VALU_DEP_4) | instskip(SKIP_1) | instid1(VALU_DEP_4)
	v_rsq_f64_e32 v[30:31], v[0:1]
	v_cmp_eq_f64_e32 vcc_lo, 0, v[0:1]
	v_rsq_f64_e32 v[32:33], v[24:25]
	v_cmp_eq_f64_e64 s0, 0, v[24:25]
	s_delay_alu instid0(VALU_DEP_4) | instskip(SKIP_1) | instid1(VALU_DEP_4)
	v_rsq_f64_e32 v[34:35], v[26:27]
	v_cmp_eq_f64_e64 s1, 0, v[26:27]
	v_rsq_f64_e32 v[36:37], v[28:29]
	v_cmp_eq_f64_e64 s2, 0, v[28:29]
	v_mul_f64 v[38:39], v[0:1], v[30:31]
	v_mul_f64 v[30:31], v[30:31], 0.5
	s_delay_alu instid0(TRANS32_DEP_3) | instskip(SKIP_1) | instid1(TRANS32_DEP_2)
	v_mul_f64 v[40:41], v[24:25], v[32:33]
	v_mul_f64 v[32:33], v[32:33], 0.5
	v_mul_f64 v[42:43], v[26:27], v[34:35]
	v_mul_f64 v[34:35], v[34:35], 0.5
	s_delay_alu instid0(TRANS32_DEP_1) | instskip(SKIP_4) | instid1(VALU_DEP_4)
	v_mul_f64 v[44:45], v[28:29], v[36:37]
	v_mul_f64 v[36:37], v[36:37], 0.5
	v_fma_f64 v[46:47], -v[30:31], v[38:39], 0.5
	v_fma_f64 v[48:49], -v[32:33], v[40:41], 0.5
	;; [unrolled: 1-line block ×4, first 2 shown]
	s_delay_alu instid0(VALU_DEP_4)
	v_fma_f64 v[38:39], v[38:39], v[46:47], v[38:39]
	v_fma_f64 v[30:31], v[30:31], v[46:47], v[30:31]
	;; [unrolled: 1-line block ×8, first 2 shown]
	v_fma_f64 v[46:47], -v[38:39], v[38:39], v[0:1]
	v_fma_f64 v[48:49], -v[40:41], v[40:41], v[24:25]
	;; [unrolled: 1-line block ×4, first 2 shown]
	s_delay_alu instid0(VALU_DEP_4) | instskip(NEXT) | instid1(VALU_DEP_4)
	v_fma_f64 v[30:31], v[46:47], v[30:31], v[38:39]
	v_fma_f64 v[32:33], v[48:49], v[32:33], v[40:41]
	s_delay_alu instid0(VALU_DEP_4) | instskip(NEXT) | instid1(VALU_DEP_4)
	v_fma_f64 v[34:35], v[50:51], v[34:35], v[42:43]
	v_fma_f64 v[36:37], v[52:53], v[36:37], v[44:45]
	s_delay_alu instid0(VALU_DEP_4) | instskip(NEXT) | instid1(VALU_DEP_4)
	v_dual_cndmask_b32 v1, v31, v1 :: v_dual_cndmask_b32 v0, v30, v0
	v_cndmask_b32_e64 v25, v33, v25, s0
	v_cndmask_b32_e64 v24, v32, v24, s0
	;; [unrolled: 1-line block ×4, first 2 shown]
	v_ldexp_f64 v[0:1], v[0:1], v3
	v_cmp_o_f64_e32 vcc_lo, v[8:9], v[10:11]
	v_cndmask_b32_e64 v29, v37, v29, s2
	v_cndmask_b32_e64 v28, v36, v28, s2
	v_ldexp_f64 v[8:9], v[24:25], v54
	v_cmp_o_f64_e64 s0, v[12:13], v[14:15]
	v_ldexp_f64 v[24:25], v[26:27], v55
	v_cmp_o_f64_e64 s1, v[16:17], v[18:19]
	;; [unrolled: 2-line block ×3, first 2 shown]
	v_mov_b32_e32 v3, v2
	v_mov_b32_e32 v10, v2
	;; [unrolled: 1-line block ×7, first 2 shown]
	v_cndmask_b32_e32 v1, 0x7ff80000, v1, vcc_lo
	v_cndmask_b32_e32 v0, 0, v0, vcc_lo
	v_cndmask_b32_e64 v8, 0, v8, s0
	v_cndmask_b32_e64 v9, 0x7ff80000, v9, s0
	s_or_b32 s0, s9, s10
	v_cndmask_b32_e64 v12, 0, v24, s1
	v_cndmask_b32_e64 v13, 0x7ff80000, v25, s1
	;; [unrolled: 1-line block ×4, first 2 shown]
	s_or_b32 s0, s11, s14
	v_cndmask_b32_e64 v16, 0, v26, s2
	v_cndmask_b32_e64 v17, 0x7ff80000, v27, s2
	;; [unrolled: 1-line block ×4, first 2 shown]
	s_or_b32 s0, s15, s16
	s_delay_alu instid0(SALU_CYCLE_1) | instskip(SKIP_2) | instid1(SALU_CYCLE_1)
	v_cndmask_b32_e64 v13, v13, 0x7ff00000, s0
	v_cndmask_b32_e64 v12, v12, 0, s0
	s_or_b32 s0, s17, s18
	v_cndmask_b32_e64 v17, v17, 0x7ff00000, s0
	v_cndmask_b32_e64 v16, v16, 0, s0
	s_clause 0x3
	global_store_b128 v[4:5], v[0:3], off
	global_store_b128 v[4:5], v[8:11], off offset:16
	global_store_b128 v[4:5], v[12:15], off offset:32
	;; [unrolled: 1-line block ×3, first 2 shown]
	v_add_co_u32 v4, vcc_lo, v4, s8
	s_or_b32 s0, s3, s4
	v_add_co_ci_u32_e32 v5, vcc_lo, 0, v5, vcc_lo
	s_and_b32 s0, exec_lo, s0
	s_delay_alu instid0(SALU_CYCLE_1) | instskip(NEXT) | instid1(SALU_CYCLE_1)
	s_or_b32 s12, s0, s12
	s_and_not1_b32 exec_lo, exec_lo, s12
	s_cbranch_execnz .LBB347_24
.LBB347_25:
	s_nop 0
	s_sendmsg sendmsg(MSG_DEALLOC_VGPRS)
	s_endpgm
	.section	.rodata,"a",@progbits
	.p2align	6, 0x0
	.amdhsa_kernel _ZN2at6native12_GLOBAL__N_125multi_tensor_apply_kernelINS1_18TensorListMetadataILi1EEENS1_14UnaryOpFunctorIN3c107complexIdEELi1ELi1ELi0EEEJNS0_3AbsIS8_EEEEEvT_T0_DpT1_
		.amdhsa_group_segment_fixed_size 0
		.amdhsa_private_segment_fixed_size 0
		.amdhsa_kernarg_size 3632
		.amdhsa_user_sgpr_count 15
		.amdhsa_user_sgpr_dispatch_ptr 0
		.amdhsa_user_sgpr_queue_ptr 0
		.amdhsa_user_sgpr_kernarg_segment_ptr 1
		.amdhsa_user_sgpr_dispatch_id 0
		.amdhsa_user_sgpr_private_segment_size 0
		.amdhsa_wavefront_size32 1
		.amdhsa_uses_dynamic_stack 0
		.amdhsa_enable_private_segment 0
		.amdhsa_system_sgpr_workgroup_id_x 1
		.amdhsa_system_sgpr_workgroup_id_y 0
		.amdhsa_system_sgpr_workgroup_id_z 0
		.amdhsa_system_sgpr_workgroup_info 0
		.amdhsa_system_vgpr_workitem_id 0
		.amdhsa_next_free_vgpr 57
		.amdhsa_next_free_sgpr 22
		.amdhsa_reserve_vcc 1
		.amdhsa_float_round_mode_32 0
		.amdhsa_float_round_mode_16_64 0
		.amdhsa_float_denorm_mode_32 3
		.amdhsa_float_denorm_mode_16_64 3
		.amdhsa_dx10_clamp 1
		.amdhsa_ieee_mode 1
		.amdhsa_fp16_overflow 0
		.amdhsa_workgroup_processor_mode 1
		.amdhsa_memory_ordered 1
		.amdhsa_forward_progress 0
		.amdhsa_shared_vgpr_count 0
		.amdhsa_exception_fp_ieee_invalid_op 0
		.amdhsa_exception_fp_denorm_src 0
		.amdhsa_exception_fp_ieee_div_zero 0
		.amdhsa_exception_fp_ieee_overflow 0
		.amdhsa_exception_fp_ieee_underflow 0
		.amdhsa_exception_fp_ieee_inexact 0
		.amdhsa_exception_int_div_zero 0
	.end_amdhsa_kernel
	.section	.text._ZN2at6native12_GLOBAL__N_125multi_tensor_apply_kernelINS1_18TensorListMetadataILi1EEENS1_14UnaryOpFunctorIN3c107complexIdEELi1ELi1ELi0EEEJNS0_3AbsIS8_EEEEEvT_T0_DpT1_,"axG",@progbits,_ZN2at6native12_GLOBAL__N_125multi_tensor_apply_kernelINS1_18TensorListMetadataILi1EEENS1_14UnaryOpFunctorIN3c107complexIdEELi1ELi1ELi0EEEJNS0_3AbsIS8_EEEEEvT_T0_DpT1_,comdat
.Lfunc_end347:
	.size	_ZN2at6native12_GLOBAL__N_125multi_tensor_apply_kernelINS1_18TensorListMetadataILi1EEENS1_14UnaryOpFunctorIN3c107complexIdEELi1ELi1ELi0EEEJNS0_3AbsIS8_EEEEEvT_T0_DpT1_, .Lfunc_end347-_ZN2at6native12_GLOBAL__N_125multi_tensor_apply_kernelINS1_18TensorListMetadataILi1EEENS1_14UnaryOpFunctorIN3c107complexIdEELi1ELi1ELi0EEEJNS0_3AbsIS8_EEEEEvT_T0_DpT1_
                                        ; -- End function
	.section	.AMDGPU.csdata,"",@progbits
; Kernel info:
; codeLenInByte = 3324
; NumSgprs: 24
; NumVgprs: 57
; ScratchSize: 0
; MemoryBound: 1
; FloatMode: 240
; IeeeMode: 1
; LDSByteSize: 0 bytes/workgroup (compile time only)
; SGPRBlocks: 2
; VGPRBlocks: 7
; NumSGPRsForWavesPerEU: 24
; NumVGPRsForWavesPerEU: 57
; Occupancy: 16
; WaveLimiterHint : 0
; COMPUTE_PGM_RSRC2:SCRATCH_EN: 0
; COMPUTE_PGM_RSRC2:USER_SGPR: 15
; COMPUTE_PGM_RSRC2:TRAP_HANDLER: 0
; COMPUTE_PGM_RSRC2:TGID_X_EN: 1
; COMPUTE_PGM_RSRC2:TGID_Y_EN: 0
; COMPUTE_PGM_RSRC2:TGID_Z_EN: 0
; COMPUTE_PGM_RSRC2:TIDIG_COMP_CNT: 0
	.section	.text._ZN2at6native12_GLOBAL__N_125multi_tensor_apply_kernelINS1_18TensorListMetadataILi1EEENS1_14UnaryOpFunctorIN3c107complexIfEELi1ELi1ELi0EEEJNS0_3AbsIS8_EEEEEvT_T0_DpT1_,"axG",@progbits,_ZN2at6native12_GLOBAL__N_125multi_tensor_apply_kernelINS1_18TensorListMetadataILi1EEENS1_14UnaryOpFunctorIN3c107complexIfEELi1ELi1ELi0EEEJNS0_3AbsIS8_EEEEEvT_T0_DpT1_,comdat
	.globl	_ZN2at6native12_GLOBAL__N_125multi_tensor_apply_kernelINS1_18TensorListMetadataILi1EEENS1_14UnaryOpFunctorIN3c107complexIfEELi1ELi1ELi0EEEJNS0_3AbsIS8_EEEEEvT_T0_DpT1_ ; -- Begin function _ZN2at6native12_GLOBAL__N_125multi_tensor_apply_kernelINS1_18TensorListMetadataILi1EEENS1_14UnaryOpFunctorIN3c107complexIfEELi1ELi1ELi0EEEJNS0_3AbsIS8_EEEEEvT_T0_DpT1_
	.p2align	8
	.type	_ZN2at6native12_GLOBAL__N_125multi_tensor_apply_kernelINS1_18TensorListMetadataILi1EEENS1_14UnaryOpFunctorIN3c107complexIfEELi1ELi1ELi0EEEJNS0_3AbsIS8_EEEEEvT_T0_DpT1_,@function
_ZN2at6native12_GLOBAL__N_125multi_tensor_apply_kernelINS1_18TensorListMetadataILi1EEENS1_14UnaryOpFunctorIN3c107complexIfEELi1ELi1ELi0EEEJNS0_3AbsIS8_EEEEEvT_T0_DpT1_: ; @_ZN2at6native12_GLOBAL__N_125multi_tensor_apply_kernelINS1_18TensorListMetadataILi1EEENS1_14UnaryOpFunctorIN3c107complexIfEELi1ELi1ELi0EEEJNS0_3AbsIS8_EEEEEvT_T0_DpT1_
; %bb.0:
	v_mov_b32_e32 v1, s15
	s_add_u32 s2, s0, s15
	s_mul_hi_u32 s3, s15, 3
	s_mul_i32 s15, s15, 3
	s_addc_u32 s4, s1, 0
	global_load_u8 v1, v1, s[0:1] offset:1760
	s_add_u32 s2, s2, s15
	s_addc_u32 s3, s4, s3
	s_mov_b32 s13, 0
	s_load_b32 s2, s[2:3], 0x820
	s_waitcnt vmcnt(0)
	v_readfirstlane_b32 s5, v1
	s_delay_alu instid0(VALU_DEP_1)
	s_lshl_b32 s3, s5, 3
	s_clause 0x1
	s_load_b64 s[8:9], s[0:1], s3 offset:0x0
	s_load_b64 s[4:5], s[0:1], s3 offset:0x370
	s_waitcnt lgkmcnt(0)
	s_ashr_i32 s3, s2, 31
	s_delay_alu instid0(SALU_CYCLE_1) | instskip(NEXT) | instid1(SALU_CYCLE_1)
	s_lshl_b64 s[10:11], s[2:3], 19
	s_add_u32 s16, s8, s10
	s_addc_u32 s17, s9, s11
	s_lshl_b64 s[2:3], s[2:3], 16
	s_and_b32 s12, s16, 31
	s_sub_u32 s6, s4, s2
	s_subb_u32 s7, s5, s3
	s_and_b32 s2, s4, 3
	s_mov_b32 s3, s13
	s_delay_alu instid0(SALU_CYCLE_1) | instskip(NEXT) | instid1(SALU_CYCLE_1)
	s_or_b64 s[2:3], s[12:13], s[2:3]
	s_cmp_eq_u64 s[2:3], 0
	s_cbranch_scc1 .LBB348_21
; %bb.1:
	v_cmp_lt_i64_e64 s2, s[6:7], 1
	s_delay_alu instid0(VALU_DEP_1)
	s_and_b32 vcc_lo, exec_lo, s2
	s_cbranch_vccnz .LBB348_20
; %bb.2:
	s_load_b32 s2, s[0:1], 0xd3c
	v_dual_mov_b32 v2, 0 :: v_dual_lshlrev_b32 v3, 3, v0
	v_cmp_gt_u64_e64 s3, 0x10000, s[6:7]
	s_delay_alu instid0(VALU_DEP_2) | instskip(SKIP_2) | instid1(VALU_DEP_2)
	v_mov_b32_e32 v4, v2
	s_waitcnt lgkmcnt(0)
	s_and_b32 s2, s2, 0xffff
	s_and_b32 s3, s3, exec_lo
	s_mul_i32 s4, s2, 3
	v_mad_u64_u32 v[5:6], null, s2, 24, v[3:4]
	v_add_co_u32 v4, s14, v0, s2
	s_cselect_b32 s13, s7, 0
	s_cselect_b32 s12, s6, 0x10000
	s_lshl_b32 s3, s2, 1
	s_lshl_b32 s5, s2, 4
	v_add_co_u32 v15, s4, s4, v0
	s_delay_alu instid0(VALU_DEP_1)
	v_add_co_ci_u32_e64 v16, null, 0, 0, s4
	v_add_co_u32 v17, s4, s5, v3
	v_add_co_u32 v19, s3, s3, v0
	v_add_co_ci_u32_e64 v18, null, 0, 0, s4
	v_add_co_ci_u32_e64 v20, null, 0, 0, s3
	;; [unrolled: 1-line block ×3, first 2 shown]
	v_lshlrev_b32_e32 v22, 3, v4
	s_lshl_b32 s18, s2, 2
	s_lshl_b32 s19, s2, 5
	s_mov_b64 s[14:15], 0
	s_branch .LBB348_4
.LBB348_3:                              ;   in Loop: Header=BB348_4 Depth=1
	s_or_b32 exec_lo, exec_lo, s2
	s_add_u32 s14, s14, s18
	s_addc_u32 s15, s15, 0
	s_delay_alu instid0(SALU_CYCLE_1) | instskip(SKIP_1) | instid1(VALU_DEP_1)
	v_cmp_lt_i64_e64 s2, s[14:15], s[6:7]
	v_cmp_gt_u64_e64 s3, 0x10000, s[14:15]
	s_and_b32 s2, s2, s3
	s_add_u32 s16, s16, s19
	s_addc_u32 s17, s17, 0
	s_and_b32 vcc_lo, exec_lo, s2
	s_cbranch_vccz .LBB348_20
.LBB348_4:                              ; =>This Inner Loop Header: Depth=1
	s_waitcnt vmcnt(0)
	v_add_co_u32 v7, s2, v0, s14
	s_delay_alu instid0(VALU_DEP_1) | instskip(SKIP_1) | instid1(VALU_DEP_2)
	v_add_co_ci_u32_e64 v8, null, 0, s15, s2
	v_dual_mov_b32 v14, 0 :: v_dual_mov_b32 v13, 0
	v_cmp_gt_u64_e64 s4, s[12:13], v[7:8]
	s_delay_alu instid0(VALU_DEP_1)
	s_and_saveexec_b32 s2, s4
	s_cbranch_execz .LBB348_6
; %bb.5:                                ;   in Loop: Header=BB348_4 Depth=1
	v_add_co_u32 v7, s3, s16, v3
	s_delay_alu instid0(VALU_DEP_1)
	v_add_co_ci_u32_e64 v8, null, s17, 0, s3
	global_load_b64 v[13:14], v[7:8], off
.LBB348_6:                              ;   in Loop: Header=BB348_4 Depth=1
	s_or_b32 exec_lo, exec_lo, s2
	v_add_co_u32 v9, vcc_lo, v4, s14
	v_add_co_ci_u32_e32 v10, vcc_lo, s15, v21, vcc_lo
	v_dual_mov_b32 v8, 0 :: v_dual_mov_b32 v11, 0
	v_mov_b32_e32 v12, 0
	s_delay_alu instid0(VALU_DEP_3) | instskip(NEXT) | instid1(VALU_DEP_1)
	v_cmp_gt_u64_e64 s3, s[12:13], v[9:10]
	s_and_saveexec_b32 s2, s3
	s_cbranch_execz .LBB348_8
; %bb.7:                                ;   in Loop: Header=BB348_4 Depth=1
	v_add_co_u32 v9, s5, s16, v22
	s_delay_alu instid0(VALU_DEP_1)
	v_add_co_ci_u32_e64 v10, null, s17, 0, s5
	global_load_b64 v[11:12], v[9:10], off
.LBB348_8:                              ;   in Loop: Header=BB348_4 Depth=1
	s_or_b32 exec_lo, exec_lo, s2
	v_add_co_u32 v9, vcc_lo, v19, s14
	v_add_co_ci_u32_e32 v10, vcc_lo, s15, v20, vcc_lo
	v_mov_b32_e32 v7, 0
	s_delay_alu instid0(VALU_DEP_2) | instskip(NEXT) | instid1(VALU_DEP_1)
	v_cmp_gt_u64_e64 s2, s[12:13], v[9:10]
	s_and_saveexec_b32 s5, s2
	s_cbranch_execz .LBB348_10
; %bb.9:                                ;   in Loop: Header=BB348_4 Depth=1
	v_add_co_u32 v7, vcc_lo, s16, v17
	v_add_co_ci_u32_e32 v8, vcc_lo, s17, v18, vcc_lo
	global_load_b64 v[7:8], v[7:8], off
.LBB348_10:                             ;   in Loop: Header=BB348_4 Depth=1
	s_or_b32 exec_lo, exec_lo, s5
	v_add_co_u32 v9, vcc_lo, v15, s14
	v_add_co_ci_u32_e32 v10, vcc_lo, s15, v16, vcc_lo
	s_delay_alu instid0(VALU_DEP_1)
	v_cmp_gt_u64_e32 vcc_lo, s[12:13], v[9:10]
	v_dual_mov_b32 v10, 0 :: v_dual_mov_b32 v9, 0
	s_and_saveexec_b32 s20, vcc_lo
	s_cbranch_execnz .LBB348_15
; %bb.11:                               ;   in Loop: Header=BB348_4 Depth=1
	s_or_b32 exec_lo, exec_lo, s20
	s_and_saveexec_b32 s5, s4
	s_cbranch_execnz .LBB348_16
.LBB348_12:                             ;   in Loop: Header=BB348_4 Depth=1
	s_or_b32 exec_lo, exec_lo, s5
	s_and_saveexec_b32 s4, s3
	s_cbranch_execnz .LBB348_17
.LBB348_13:                             ;   in Loop: Header=BB348_4 Depth=1
	s_or_b32 exec_lo, exec_lo, s4
	s_and_saveexec_b32 s3, s2
	s_cbranch_execnz .LBB348_18
.LBB348_14:                             ;   in Loop: Header=BB348_4 Depth=1
	s_or_b32 exec_lo, exec_lo, s3
	s_and_saveexec_b32 s2, vcc_lo
	s_cbranch_execz .LBB348_3
	s_branch .LBB348_19
.LBB348_15:                             ;   in Loop: Header=BB348_4 Depth=1
	v_add_co_u32 v9, s5, s16, v5
	s_delay_alu instid0(VALU_DEP_1)
	v_add_co_ci_u32_e64 v10, s5, s17, v6, s5
	global_load_b64 v[9:10], v[9:10], off
	s_or_b32 exec_lo, exec_lo, s20
	s_and_saveexec_b32 s5, s4
	s_cbranch_execz .LBB348_12
.LBB348_16:                             ;   in Loop: Header=BB348_4 Depth=1
	s_waitcnt vmcnt(0)
	v_max_f32_e64 v1, |v14|, |v14|
	v_max_f32_e64 v23, |v13|, |v13|
	s_delay_alu instid0(VALU_DEP_1) | instskip(NEXT) | instid1(VALU_DEP_1)
	v_max_f32_e32 v1, v23, v1
	v_cvt_f64_f32_e32 v[23:24], v1
	s_delay_alu instid0(VALU_DEP_1) | instskip(NEXT) | instid1(VALU_DEP_1)
	v_frexp_exp_i32_f64_e32 v23, v[23:24]
	v_sub_nc_u32_e32 v24, 0, v23
	s_delay_alu instid0(VALU_DEP_1) | instskip(SKIP_1) | instid1(VALU_DEP_2)
	v_ldexp_f32 v14, |v14|, v24
	v_ldexp_f32 v13, |v13|, v24
	v_mul_f32_e32 v14, v14, v14
	v_cmp_neq_f32_e64 s4, 0x7f800000, v1
	s_delay_alu instid0(VALU_DEP_2) | instskip(NEXT) | instid1(VALU_DEP_1)
	v_fmac_f32_e32 v14, v13, v13
	v_sqrt_f32_e32 v13, v14
	s_waitcnt_depctr 0xfff
	v_ldexp_f32 v13, v13, v23
	s_delay_alu instid0(VALU_DEP_1) | instskip(SKIP_1) | instid1(VALU_DEP_1)
	v_cndmask_b32_e64 v1, 0x7f800000, v13, s4
	v_add_co_u32 v13, s4, s16, v3
	v_add_co_ci_u32_e64 v14, null, s17, 0, s4
	global_store_b64 v[13:14], v[1:2], off
	s_or_b32 exec_lo, exec_lo, s5
	s_and_saveexec_b32 s4, s3
	s_cbranch_execz .LBB348_13
.LBB348_17:                             ;   in Loop: Header=BB348_4 Depth=1
	s_waitcnt vmcnt(0)
	v_max_f32_e64 v1, |v12|, |v12|
	v_max_f32_e64 v13, |v11|, |v11|
	s_delay_alu instid0(VALU_DEP_1) | instskip(NEXT) | instid1(VALU_DEP_1)
	v_max_f32_e32 v1, v13, v1
	v_cvt_f64_f32_e32 v[13:14], v1
	s_delay_alu instid0(VALU_DEP_1) | instskip(NEXT) | instid1(VALU_DEP_1)
	v_frexp_exp_i32_f64_e32 v13, v[13:14]
	v_sub_nc_u32_e32 v14, 0, v13
	s_delay_alu instid0(VALU_DEP_1) | instskip(SKIP_1) | instid1(VALU_DEP_2)
	v_ldexp_f32 v12, |v12|, v14
	v_ldexp_f32 v11, |v11|, v14
	v_mul_f32_e32 v12, v12, v12
	v_cmp_neq_f32_e64 s3, 0x7f800000, v1
	s_delay_alu instid0(VALU_DEP_2) | instskip(NEXT) | instid1(VALU_DEP_1)
	v_fmac_f32_e32 v12, v11, v11
	v_sqrt_f32_e32 v11, v12
	s_waitcnt_depctr 0xfff
	v_ldexp_f32 v11, v11, v13
	s_delay_alu instid0(VALU_DEP_1) | instskip(SKIP_1) | instid1(VALU_DEP_1)
	v_cndmask_b32_e64 v1, 0x7f800000, v11, s3
	v_add_co_u32 v11, s3, s16, v22
	v_add_co_ci_u32_e64 v12, null, s17, 0, s3
	global_store_b64 v[11:12], v[1:2], off
	s_or_b32 exec_lo, exec_lo, s4
	s_and_saveexec_b32 s3, s2
	s_cbranch_execz .LBB348_14
.LBB348_18:                             ;   in Loop: Header=BB348_4 Depth=1
	s_waitcnt vmcnt(0)
	v_max_f32_e64 v1, |v8|, |v8|
	v_max_f32_e64 v11, |v7|, |v7|
	s_delay_alu instid0(VALU_DEP_1) | instskip(NEXT) | instid1(VALU_DEP_1)
	v_max_f32_e32 v1, v11, v1
	v_cvt_f64_f32_e32 v[11:12], v1
	s_delay_alu instid0(VALU_DEP_1) | instskip(NEXT) | instid1(VALU_DEP_1)
	v_frexp_exp_i32_f64_e32 v11, v[11:12]
	v_sub_nc_u32_e32 v12, 0, v11
	s_delay_alu instid0(VALU_DEP_1) | instskip(SKIP_1) | instid1(VALU_DEP_2)
	v_ldexp_f32 v8, |v8|, v12
	v_ldexp_f32 v7, |v7|, v12
	v_mul_f32_e32 v8, v8, v8
	v_cmp_neq_f32_e64 s2, 0x7f800000, v1
	s_delay_alu instid0(VALU_DEP_2) | instskip(NEXT) | instid1(VALU_DEP_1)
	v_fmac_f32_e32 v8, v7, v7
	v_sqrt_f32_e32 v7, v8
	s_waitcnt_depctr 0xfff
	v_ldexp_f32 v7, v7, v11
	s_delay_alu instid0(VALU_DEP_1) | instskip(SKIP_1) | instid1(VALU_DEP_1)
	v_cndmask_b32_e64 v1, 0x7f800000, v7, s2
	v_add_co_u32 v7, s2, s16, v17
	v_add_co_ci_u32_e64 v8, s2, s17, v18, s2
	global_store_b64 v[7:8], v[1:2], off
	s_or_b32 exec_lo, exec_lo, s3
	s_and_saveexec_b32 s2, vcc_lo
	s_cbranch_execz .LBB348_3
.LBB348_19:                             ;   in Loop: Header=BB348_4 Depth=1
	s_waitcnt vmcnt(0)
	v_max_f32_e64 v1, |v10|, |v10|
	v_max_f32_e64 v7, |v9|, |v9|
	s_delay_alu instid0(VALU_DEP_1) | instskip(NEXT) | instid1(VALU_DEP_1)
	v_max_f32_e32 v1, v7, v1
	v_cvt_f64_f32_e32 v[7:8], v1
	v_cmp_neq_f32_e32 vcc_lo, 0x7f800000, v1
	s_delay_alu instid0(VALU_DEP_2) | instskip(NEXT) | instid1(VALU_DEP_1)
	v_frexp_exp_i32_f64_e32 v7, v[7:8]
	v_sub_nc_u32_e32 v8, 0, v7
	s_delay_alu instid0(VALU_DEP_1) | instskip(SKIP_1) | instid1(VALU_DEP_2)
	v_ldexp_f32 v10, |v10|, v8
	v_ldexp_f32 v8, |v9|, v8
	v_mul_f32_e32 v9, v10, v10
	s_delay_alu instid0(VALU_DEP_1) | instskip(NEXT) | instid1(VALU_DEP_1)
	v_fmac_f32_e32 v9, v8, v8
	v_sqrt_f32_e32 v8, v9
	s_waitcnt_depctr 0xfff
	v_ldexp_f32 v7, v8, v7
	s_delay_alu instid0(VALU_DEP_1)
	v_cndmask_b32_e32 v1, 0x7f800000, v7, vcc_lo
	v_add_co_u32 v7, vcc_lo, s16, v5
	v_add_co_ci_u32_e32 v8, vcc_lo, s17, v6, vcc_lo
	global_store_b64 v[7:8], v[1:2], off
	s_branch .LBB348_3
.LBB348_20:
	s_cbranch_execz .LBB348_22
	s_branch .LBB348_25
.LBB348_21:
.LBB348_22:
	v_dual_mov_b32 v2, 0 :: v_dual_lshlrev_b32 v1, 2, v0
	s_mov_b32 s2, 0
	s_mov_b32 s3, exec_lo
	s_delay_alu instid0(VALU_DEP_1)
	v_cmpx_gt_i64_e64 s[6:7], v[1:2]
	s_cbranch_execz .LBB348_25
; %bb.23:
	s_load_b32 s0, s[0:1], 0xd3c
	s_waitcnt lgkmcnt(0)
	s_and_b32 s0, s0, 0xffff
	s_delay_alu instid0(SALU_CYCLE_1)
	v_add_lshl_u32 v1, v0, s0, 2
	s_waitcnt vmcnt(0)
	v_dual_mov_b32 v8, v2 :: v_dual_lshlrev_b32 v3, 5, v0
	s_lshl_b32 s3, s0, 2
	s_add_u32 s1, s8, s10
	s_addc_u32 s4, s9, s11
	s_delay_alu instid0(VALU_DEP_1) | instskip(NEXT) | instid1(VALU_DEP_1)
	v_add_co_u32 v5, s1, s1, v3
	v_add_co_ci_u32_e64 v6, null, s4, 0, s1
	v_mov_b32_e32 v7, v1
	s_lshl_b32 s4, s0, 5
.LBB348_24:                             ; =>This Inner Loop Header: Depth=1
	s_clause 0x1
	global_load_b128 v[9:12], v[5:6], off
	global_load_b128 v[13:16], v[5:6], off offset:16
	v_cmp_le_i64_e32 vcc_lo, s[6:7], v[7:8]
	v_cmp_lt_u64_e64 s0, 0xffff, v[7:8]
	s_delay_alu instid0(VALU_DEP_1) | instskip(NEXT) | instid1(SALU_CYCLE_1)
	s_or_b32 s0, vcc_lo, s0
	s_and_b32 s0, exec_lo, s0
	s_delay_alu instid0(SALU_CYCLE_1)
	s_or_b32 s2, s0, s2
	s_waitcnt vmcnt(1)
	v_max_f32_e64 v0, |v10|, |v10|
	v_max_f32_e64 v1, |v9|, |v9|
	;; [unrolled: 1-line block ×4, first 2 shown]
	s_waitcnt vmcnt(0)
	v_max_f32_e64 v17, |v14|, |v14|
	v_max_f32_e64 v18, |v13|, |v13|
	v_max_f32_e32 v21, v1, v0
	v_max_f32_e64 v19, |v16|, |v16|
	v_max_f32_e32 v22, v4, v3
	;; [unrolled: 2-line block ×3, first 2 shown]
	v_cvt_f64_f32_e32 v[0:1], v21
	v_cmp_neq_f32_e64 s1, 0x7f800000, v21
	v_cvt_f64_f32_e32 v[3:4], v22
	v_max_f32_e32 v24, v20, v19
	v_cvt_f64_f32_e32 v[17:18], v23
	s_delay_alu instid0(VALU_DEP_2) | instskip(SKIP_2) | instid1(VALU_DEP_4)
	v_cvt_f64_f32_e32 v[19:20], v24
	v_frexp_exp_i32_f64_e32 v0, v[0:1]
	v_frexp_exp_i32_f64_e32 v1, v[3:4]
	;; [unrolled: 1-line block ×3, first 2 shown]
	s_delay_alu instid0(VALU_DEP_4) | instskip(NEXT) | instid1(VALU_DEP_4)
	v_frexp_exp_i32_f64_e32 v17, v[19:20]
	v_sub_nc_u32_e32 v4, 0, v0
	s_delay_alu instid0(VALU_DEP_4) | instskip(NEXT) | instid1(VALU_DEP_4)
	v_sub_nc_u32_e32 v18, 0, v1
	v_sub_nc_u32_e32 v19, 0, v3
	s_delay_alu instid0(VALU_DEP_3) | instskip(SKIP_1) | instid1(VALU_DEP_4)
	v_ldexp_f32 v9, |v9|, v4
	v_ldexp_f32 v4, |v10|, v4
	;; [unrolled: 1-line block ×4, first 2 shown]
	v_sub_nc_u32_e32 v20, 0, v17
	v_ldexp_f32 v12, |v13|, v19
	v_mul_f32_e32 v4, v4, v4
	v_ldexp_f32 v13, |v14|, v19
	v_mul_f32_e32 v11, v11, v11
	v_ldexp_f32 v14, |v16|, v20
	v_ldexp_f32 v15, |v15|, v20
	v_fmac_f32_e32 v4, v9, v9
	v_mul_f32_e32 v13, v13, v13
	v_fmac_f32_e32 v11, v10, v10
	v_mul_f32_e32 v14, v14, v14
	v_mov_b32_e32 v10, v2
	v_sqrt_f32_e32 v9, v4
	v_fmac_f32_e32 v13, v12, v12
	v_sqrt_f32_e32 v11, v11
	v_fmac_f32_e32 v14, v15, v15
	v_mov_b32_e32 v4, v2
	v_mov_b32_e32 v12, v2
	v_sqrt_f32_e32 v13, v13
	s_delay_alu instid0(VALU_DEP_3) | instskip(SKIP_1) | instid1(TRANS32_DEP_3)
	v_sqrt_f32_e32 v14, v14
	v_ldexp_f32 v0, v9, v0
	v_ldexp_f32 v9, v11, v1
	s_delay_alu instid0(VALU_DEP_2)
	v_cndmask_b32_e64 v1, 0x7f800000, v0, s1
	v_cmp_neq_f32_e64 s1, 0x7f800000, v22
	s_waitcnt_depctr 0xfff
	v_ldexp_f32 v11, v13, v3
	v_ldexp_f32 v13, v14, v17
	v_cndmask_b32_e64 v3, 0x7f800000, v9, s1
	v_cmp_neq_f32_e64 s1, 0x7f800000, v23
	s_delay_alu instid0(VALU_DEP_1) | instskip(SKIP_1) | instid1(VALU_DEP_1)
	v_cndmask_b32_e64 v9, 0x7f800000, v11, s1
	v_cmp_neq_f32_e64 s1, 0x7f800000, v24
	v_cndmask_b32_e64 v11, 0x7f800000, v13, s1
	v_add_co_u32 v7, s1, v7, s3
	s_clause 0x1
	global_store_b128 v[5:6], v[1:4], off
	global_store_b128 v[5:6], v[9:12], off offset:16
	v_add_co_u32 v5, vcc_lo, v5, s4
	v_add_co_ci_u32_e64 v8, s1, 0, v8, s1
	v_add_co_ci_u32_e32 v6, vcc_lo, 0, v6, vcc_lo
	s_and_not1_b32 exec_lo, exec_lo, s2
	s_cbranch_execnz .LBB348_24
.LBB348_25:
	s_nop 0
	s_sendmsg sendmsg(MSG_DEALLOC_VGPRS)
	s_endpgm
	.section	.rodata,"a",@progbits
	.p2align	6, 0x0
	.amdhsa_kernel _ZN2at6native12_GLOBAL__N_125multi_tensor_apply_kernelINS1_18TensorListMetadataILi1EEENS1_14UnaryOpFunctorIN3c107complexIfEELi1ELi1ELi0EEEJNS0_3AbsIS8_EEEEEvT_T0_DpT1_
		.amdhsa_group_segment_fixed_size 0
		.amdhsa_private_segment_fixed_size 0
		.amdhsa_kernarg_size 3632
		.amdhsa_user_sgpr_count 15
		.amdhsa_user_sgpr_dispatch_ptr 0
		.amdhsa_user_sgpr_queue_ptr 0
		.amdhsa_user_sgpr_kernarg_segment_ptr 1
		.amdhsa_user_sgpr_dispatch_id 0
		.amdhsa_user_sgpr_private_segment_size 0
		.amdhsa_wavefront_size32 1
		.amdhsa_uses_dynamic_stack 0
		.amdhsa_enable_private_segment 0
		.amdhsa_system_sgpr_workgroup_id_x 1
		.amdhsa_system_sgpr_workgroup_id_y 0
		.amdhsa_system_sgpr_workgroup_id_z 0
		.amdhsa_system_sgpr_workgroup_info 0
		.amdhsa_system_vgpr_workitem_id 0
		.amdhsa_next_free_vgpr 25
		.amdhsa_next_free_sgpr 21
		.amdhsa_reserve_vcc 1
		.amdhsa_float_round_mode_32 0
		.amdhsa_float_round_mode_16_64 0
		.amdhsa_float_denorm_mode_32 3
		.amdhsa_float_denorm_mode_16_64 3
		.amdhsa_dx10_clamp 1
		.amdhsa_ieee_mode 1
		.amdhsa_fp16_overflow 0
		.amdhsa_workgroup_processor_mode 1
		.amdhsa_memory_ordered 1
		.amdhsa_forward_progress 0
		.amdhsa_shared_vgpr_count 0
		.amdhsa_exception_fp_ieee_invalid_op 0
		.amdhsa_exception_fp_denorm_src 0
		.amdhsa_exception_fp_ieee_div_zero 0
		.amdhsa_exception_fp_ieee_overflow 0
		.amdhsa_exception_fp_ieee_underflow 0
		.amdhsa_exception_fp_ieee_inexact 0
		.amdhsa_exception_int_div_zero 0
	.end_amdhsa_kernel
	.section	.text._ZN2at6native12_GLOBAL__N_125multi_tensor_apply_kernelINS1_18TensorListMetadataILi1EEENS1_14UnaryOpFunctorIN3c107complexIfEELi1ELi1ELi0EEEJNS0_3AbsIS8_EEEEEvT_T0_DpT1_,"axG",@progbits,_ZN2at6native12_GLOBAL__N_125multi_tensor_apply_kernelINS1_18TensorListMetadataILi1EEENS1_14UnaryOpFunctorIN3c107complexIfEELi1ELi1ELi0EEEJNS0_3AbsIS8_EEEEEvT_T0_DpT1_,comdat
.Lfunc_end348:
	.size	_ZN2at6native12_GLOBAL__N_125multi_tensor_apply_kernelINS1_18TensorListMetadataILi1EEENS1_14UnaryOpFunctorIN3c107complexIfEELi1ELi1ELi0EEEJNS0_3AbsIS8_EEEEEvT_T0_DpT1_, .Lfunc_end348-_ZN2at6native12_GLOBAL__N_125multi_tensor_apply_kernelINS1_18TensorListMetadataILi1EEENS1_14UnaryOpFunctorIN3c107complexIfEELi1ELi1ELi0EEEJNS0_3AbsIS8_EEEEEvT_T0_DpT1_
                                        ; -- End function
	.section	.AMDGPU.csdata,"",@progbits
; Kernel info:
; codeLenInByte = 2016
; NumSgprs: 23
; NumVgprs: 25
; ScratchSize: 0
; MemoryBound: 0
; FloatMode: 240
; IeeeMode: 1
; LDSByteSize: 0 bytes/workgroup (compile time only)
; SGPRBlocks: 2
; VGPRBlocks: 3
; NumSGPRsForWavesPerEU: 23
; NumVGPRsForWavesPerEU: 25
; Occupancy: 16
; WaveLimiterHint : 0
; COMPUTE_PGM_RSRC2:SCRATCH_EN: 0
; COMPUTE_PGM_RSRC2:USER_SGPR: 15
; COMPUTE_PGM_RSRC2:TRAP_HANDLER: 0
; COMPUTE_PGM_RSRC2:TGID_X_EN: 1
; COMPUTE_PGM_RSRC2:TGID_Y_EN: 0
; COMPUTE_PGM_RSRC2:TGID_Z_EN: 0
; COMPUTE_PGM_RSRC2:TIDIG_COMP_CNT: 0
	.section	.text._ZN2at6native12_GLOBAL__N_125multi_tensor_apply_kernelINS1_18TensorListMetadataILi1EEENS1_14UnaryOpFunctorIN3c104HalfELi1ELi1ELi0EEEJNS0_3AbsIfEEEEEvT_T0_DpT1_,"axG",@progbits,_ZN2at6native12_GLOBAL__N_125multi_tensor_apply_kernelINS1_18TensorListMetadataILi1EEENS1_14UnaryOpFunctorIN3c104HalfELi1ELi1ELi0EEEJNS0_3AbsIfEEEEEvT_T0_DpT1_,comdat
	.globl	_ZN2at6native12_GLOBAL__N_125multi_tensor_apply_kernelINS1_18TensorListMetadataILi1EEENS1_14UnaryOpFunctorIN3c104HalfELi1ELi1ELi0EEEJNS0_3AbsIfEEEEEvT_T0_DpT1_ ; -- Begin function _ZN2at6native12_GLOBAL__N_125multi_tensor_apply_kernelINS1_18TensorListMetadataILi1EEENS1_14UnaryOpFunctorIN3c104HalfELi1ELi1ELi0EEEJNS0_3AbsIfEEEEEvT_T0_DpT1_
	.p2align	8
	.type	_ZN2at6native12_GLOBAL__N_125multi_tensor_apply_kernelINS1_18TensorListMetadataILi1EEENS1_14UnaryOpFunctorIN3c104HalfELi1ELi1ELi0EEEJNS0_3AbsIfEEEEEvT_T0_DpT1_,@function
_ZN2at6native12_GLOBAL__N_125multi_tensor_apply_kernelINS1_18TensorListMetadataILi1EEENS1_14UnaryOpFunctorIN3c104HalfELi1ELi1ELi0EEEJNS0_3AbsIfEEEEEvT_T0_DpT1_: ; @_ZN2at6native12_GLOBAL__N_125multi_tensor_apply_kernelINS1_18TensorListMetadataILi1EEENS1_14UnaryOpFunctorIN3c104HalfELi1ELi1ELi0EEEJNS0_3AbsIfEEEEEvT_T0_DpT1_
; %bb.0:
	v_mov_b32_e32 v1, s15
	s_add_u32 s2, s0, s15
	s_mul_hi_u32 s3, s15, 3
	s_mul_i32 s15, s15, 3
	s_addc_u32 s4, s1, 0
	global_load_u8 v1, v1, s[0:1] offset:1760
	s_add_u32 s2, s2, s15
	s_addc_u32 s3, s4, s3
	s_mov_b32 s13, 0
	s_load_b32 s2, s[2:3], 0x820
	s_waitcnt vmcnt(0)
	v_readfirstlane_b32 s5, v1
	s_delay_alu instid0(VALU_DEP_1)
	s_lshl_b32 s3, s5, 3
	s_clause 0x1
	s_load_b64 s[8:9], s[0:1], s3 offset:0x0
	s_load_b64 s[4:5], s[0:1], s3 offset:0x370
	s_waitcnt lgkmcnt(0)
	s_ashr_i32 s3, s2, 31
	s_delay_alu instid0(SALU_CYCLE_1)
	s_lshl_b64 s[10:11], s[2:3], 17
	s_lshl_b64 s[2:3], s[2:3], 16
	s_and_b32 s12, s8, 7
	s_sub_u32 s6, s4, s2
	s_subb_u32 s7, s5, s3
	s_and_b32 s2, s4, 3
	s_mov_b32 s3, s13
	s_delay_alu instid0(SALU_CYCLE_1) | instskip(NEXT) | instid1(SALU_CYCLE_1)
	s_or_b64 s[2:3], s[12:13], s[2:3]
	s_cmp_eq_u64 s[2:3], 0
	s_cbranch_scc1 .LBB349_21
; %bb.1:
	v_cmp_lt_i64_e64 s2, s[6:7], 1
	s_delay_alu instid0(VALU_DEP_1)
	s_and_b32 vcc_lo, exec_lo, s2
	s_cbranch_vccnz .LBB349_20
; %bb.2:
	s_load_b32 s2, s[0:1], 0xd3c
	v_cmp_gt_u64_e64 s3, 0x10000, s[6:7]
	v_lshlrev_b32_e32 v1, 1, v0
	s_waitcnt lgkmcnt(0)
	s_and_b32 s2, s2, 0xffff
	s_delay_alu instid0(VALU_DEP_2)
	s_and_b32 s3, s3, exec_lo
	v_add_co_u32 v5, s5, v0, s2
	s_cselect_b32 s13, s7, 0
	s_cselect_b32 s12, s6, 0x10000
	s_lshl_b32 s3, s2, 1
	s_lshl_b32 s16, s2, 2
	v_lshlrev_b32_e32 v3, 1, v5
	v_add_co_ci_u32_e64 v6, null, 0, 0, s5
	s_add_u32 s5, s8, s10
	v_add_co_u32 v9, s3, s3, v0
	s_mul_i32 s4, s2, 3
	s_addc_u32 s14, s9, s11
	v_add_co_ci_u32_e64 v10, null, 0, 0, s3
	v_add_co_u32 v1, s3, s5, v1
	v_add_co_u32 v7, s4, s4, v0
	v_add_co_ci_u32_e64 v2, null, s14, 0, s3
	v_add_co_u32 v3, s3, s5, v3
	v_add_co_ci_u32_e64 v8, null, 0, 0, s4
	v_add_co_ci_u32_e64 v4, null, s14, 0, s3
	s_lshl_b32 s17, s2, 3
	s_mul_i32 s18, s2, 6
	s_mov_b64 s[14:15], 0
	s_branch .LBB349_4
.LBB349_3:                              ;   in Loop: Header=BB349_4 Depth=1
	s_or_b32 exec_lo, exec_lo, s2
	s_add_u32 s14, s14, s16
	s_addc_u32 s15, s15, 0
	v_add_co_u32 v1, vcc_lo, v1, s17
	v_cmp_lt_i64_e64 s2, s[14:15], s[6:7]
	v_cmp_gt_u64_e64 s3, 0x10000, s[14:15]
	v_add_co_ci_u32_e32 v2, vcc_lo, 0, v2, vcc_lo
	v_add_co_u32 v3, vcc_lo, v3, s17
	v_add_co_ci_u32_e32 v4, vcc_lo, 0, v4, vcc_lo
	s_delay_alu instid0(VALU_DEP_4) | instskip(NEXT) | instid1(SALU_CYCLE_1)
	s_and_b32 s2, s2, s3
	s_and_b32 vcc_lo, exec_lo, s2
	s_cbranch_vccz .LBB349_20
.LBB349_4:                              ; =>This Inner Loop Header: Depth=1
	s_waitcnt vmcnt(0)
	v_add_co_u32 v11, s2, v0, s14
	s_delay_alu instid0(VALU_DEP_1) | instskip(NEXT) | instid1(VALU_DEP_1)
	v_add_co_ci_u32_e64 v12, null, 0, s15, s2
	v_cmp_gt_u64_e32 vcc_lo, s[12:13], v[11:12]
	v_mov_b32_e32 v11, 0
	s_and_saveexec_b32 s2, vcc_lo
	s_cbranch_execz .LBB349_6
; %bb.5:                                ;   in Loop: Header=BB349_4 Depth=1
	global_load_u16 v11, v[1:2], off
.LBB349_6:                              ;   in Loop: Header=BB349_4 Depth=1
	s_or_b32 exec_lo, exec_lo, s2
	v_add_co_u32 v12, s2, v5, s14
	s_delay_alu instid0(VALU_DEP_1) | instskip(NEXT) | instid1(VALU_DEP_1)
	v_add_co_ci_u32_e64 v13, s2, s15, v6, s2
	v_cmp_gt_u64_e64 s2, s[12:13], v[12:13]
	v_mov_b32_e32 v13, 0
	s_delay_alu instid0(VALU_DEP_2)
	s_and_saveexec_b32 s3, s2
	s_cbranch_execz .LBB349_8
; %bb.7:                                ;   in Loop: Header=BB349_4 Depth=1
	global_load_u16 v13, v[3:4], off
.LBB349_8:                              ;   in Loop: Header=BB349_4 Depth=1
	s_or_b32 exec_lo, exec_lo, s3
	v_add_co_u32 v14, s3, v9, s14
	s_delay_alu instid0(VALU_DEP_1) | instskip(SKIP_1) | instid1(VALU_DEP_2)
	v_add_co_ci_u32_e64 v15, s3, s15, v10, s3
	v_mov_b32_e32 v12, 0
	v_cmp_gt_u64_e64 s3, s[12:13], v[14:15]
	v_mov_b32_e32 v14, 0
	s_delay_alu instid0(VALU_DEP_2)
	s_and_saveexec_b32 s5, s3
	s_cbranch_execz .LBB349_10
; %bb.9:                                ;   in Loop: Header=BB349_4 Depth=1
	v_add_co_u32 v14, s4, v1, s16
	s_delay_alu instid0(VALU_DEP_1)
	v_add_co_ci_u32_e64 v15, s4, 0, v2, s4
	global_load_u16 v14, v[14:15], off
.LBB349_10:                             ;   in Loop: Header=BB349_4 Depth=1
	s_or_b32 exec_lo, exec_lo, s5
	v_add_co_u32 v15, s4, v7, s14
	s_delay_alu instid0(VALU_DEP_1) | instskip(NEXT) | instid1(VALU_DEP_1)
	v_add_co_ci_u32_e64 v16, s4, s15, v8, s4
	v_cmp_gt_u64_e64 s4, s[12:13], v[15:16]
	s_delay_alu instid0(VALU_DEP_1)
	s_and_saveexec_b32 s19, s4
	s_cbranch_execnz .LBB349_15
; %bb.11:                               ;   in Loop: Header=BB349_4 Depth=1
	s_or_b32 exec_lo, exec_lo, s19
	s_and_saveexec_b32 s5, vcc_lo
	s_cbranch_execnz .LBB349_16
.LBB349_12:                             ;   in Loop: Header=BB349_4 Depth=1
	s_or_b32 exec_lo, exec_lo, s5
	s_and_saveexec_b32 s5, s2
	s_cbranch_execnz .LBB349_17
.LBB349_13:                             ;   in Loop: Header=BB349_4 Depth=1
	s_or_b32 exec_lo, exec_lo, s5
	s_and_saveexec_b32 s2, s3
	s_cbranch_execnz .LBB349_18
.LBB349_14:                             ;   in Loop: Header=BB349_4 Depth=1
	s_or_b32 exec_lo, exec_lo, s2
	s_and_saveexec_b32 s2, s4
	s_cbranch_execz .LBB349_3
	s_branch .LBB349_19
.LBB349_15:                             ;   in Loop: Header=BB349_4 Depth=1
	v_add_co_u32 v15, s5, v1, s18
	s_delay_alu instid0(VALU_DEP_1)
	v_add_co_ci_u32_e64 v16, s5, 0, v2, s5
	global_load_u16 v12, v[15:16], off
	s_or_b32 exec_lo, exec_lo, s19
	s_and_saveexec_b32 s5, vcc_lo
	s_cbranch_execz .LBB349_12
.LBB349_16:                             ;   in Loop: Header=BB349_4 Depth=1
	s_waitcnt vmcnt(0)
	v_and_b32_e32 v11, 0x7fff, v11
	global_store_b16 v[1:2], v11, off
	s_or_b32 exec_lo, exec_lo, s5
	s_and_saveexec_b32 s5, s2
	s_cbranch_execz .LBB349_13
.LBB349_17:                             ;   in Loop: Header=BB349_4 Depth=1
	s_waitcnt vmcnt(0)
	v_and_b32_e32 v11, 0x7fff, v13
	global_store_b16 v[3:4], v11, off
	s_or_b32 exec_lo, exec_lo, s5
	s_and_saveexec_b32 s2, s3
	s_cbranch_execz .LBB349_14
.LBB349_18:                             ;   in Loop: Header=BB349_4 Depth=1
	s_waitcnt vmcnt(0)
	v_add_co_u32 v13, vcc_lo, v1, s16
	v_and_b32_e32 v11, 0x7fff, v14
	v_add_co_ci_u32_e32 v14, vcc_lo, 0, v2, vcc_lo
	global_store_b16 v[13:14], v11, off
	s_or_b32 exec_lo, exec_lo, s2
	s_and_saveexec_b32 s2, s4
	s_cbranch_execz .LBB349_3
.LBB349_19:                             ;   in Loop: Header=BB349_4 Depth=1
	s_waitcnt vmcnt(0)
	v_add_co_u32 v11, vcc_lo, v1, s18
	v_and_b32_e32 v13, 0x7fff, v12
	v_add_co_ci_u32_e32 v12, vcc_lo, 0, v2, vcc_lo
	global_store_b16 v[11:12], v13, off
	s_branch .LBB349_3
.LBB349_20:
	s_cbranch_execz .LBB349_22
	s_branch .LBB349_25
.LBB349_21:
.LBB349_22:
	v_dual_mov_b32 v2, 0 :: v_dual_lshlrev_b32 v1, 2, v0
	s_mov_b32 s2, 0
	s_mov_b32 s3, exec_lo
	s_delay_alu instid0(VALU_DEP_1)
	v_cmpx_gt_i64_e64 s[6:7], v[1:2]
	s_cbranch_execz .LBB349_25
; %bb.23:
	s_load_b32 s0, s[0:1], 0xd3c
	v_lshlrev_b32_e32 v1, 3, v0
	s_waitcnt lgkmcnt(0)
	s_and_b32 s0, s0, 0xffff
	s_add_u32 s1, s8, s10
	s_addc_u32 s3, s9, s11
	v_add_co_u32 v1, s1, s1, v1
	s_delay_alu instid0(VALU_DEP_1) | instskip(SKIP_1) | instid1(VALU_DEP_2)
	v_add_co_ci_u32_e64 v4, null, s3, 0, s1
	s_lshl_b32 s3, s0, 3
	v_add_co_u32 v3, vcc_lo, v1, 4
	s_delay_alu instid0(VALU_DEP_2)
	v_add_co_ci_u32_e32 v4, vcc_lo, 0, v4, vcc_lo
	v_add_lshl_u32 v1, v0, s0, 2
	s_lshl_b32 s4, s0, 2
	.p2align	6
.LBB349_24:                             ; =>This Inner Loop Header: Depth=1
	global_load_b64 v[5:6], v[3:4], off offset:-4
	v_cmp_le_i64_e32 vcc_lo, s[6:7], v[1:2]
	v_cmp_lt_u64_e64 s0, 0xffff, v[1:2]
	v_add_co_u32 v1, s1, v1, s4
	s_delay_alu instid0(VALU_DEP_1) | instskip(NEXT) | instid1(VALU_DEP_3)
	v_add_co_ci_u32_e64 v2, s1, 0, v2, s1
	s_or_b32 s0, vcc_lo, s0
	s_delay_alu instid0(SALU_CYCLE_1) | instskip(NEXT) | instid1(SALU_CYCLE_1)
	s_and_b32 s0, exec_lo, s0
	s_or_b32 s2, s0, s2
	s_waitcnt vmcnt(0)
	v_and_b32_e32 v5, 0x7fff7fff, v5
	v_and_b32_e32 v6, 0x7fff7fff, v6
	global_store_b64 v[3:4], v[5:6], off offset:-4
	v_add_co_u32 v3, vcc_lo, v3, s3
	v_add_co_ci_u32_e32 v4, vcc_lo, 0, v4, vcc_lo
	s_and_not1_b32 exec_lo, exec_lo, s2
	s_cbranch_execnz .LBB349_24
.LBB349_25:
	s_nop 0
	s_sendmsg sendmsg(MSG_DEALLOC_VGPRS)
	s_endpgm
	.section	.rodata,"a",@progbits
	.p2align	6, 0x0
	.amdhsa_kernel _ZN2at6native12_GLOBAL__N_125multi_tensor_apply_kernelINS1_18TensorListMetadataILi1EEENS1_14UnaryOpFunctorIN3c104HalfELi1ELi1ELi0EEEJNS0_3AbsIfEEEEEvT_T0_DpT1_
		.amdhsa_group_segment_fixed_size 0
		.amdhsa_private_segment_fixed_size 0
		.amdhsa_kernarg_size 3632
		.amdhsa_user_sgpr_count 15
		.amdhsa_user_sgpr_dispatch_ptr 0
		.amdhsa_user_sgpr_queue_ptr 0
		.amdhsa_user_sgpr_kernarg_segment_ptr 1
		.amdhsa_user_sgpr_dispatch_id 0
		.amdhsa_user_sgpr_private_segment_size 0
		.amdhsa_wavefront_size32 1
		.amdhsa_uses_dynamic_stack 0
		.amdhsa_enable_private_segment 0
		.amdhsa_system_sgpr_workgroup_id_x 1
		.amdhsa_system_sgpr_workgroup_id_y 0
		.amdhsa_system_sgpr_workgroup_id_z 0
		.amdhsa_system_sgpr_workgroup_info 0
		.amdhsa_system_vgpr_workitem_id 0
		.amdhsa_next_free_vgpr 17
		.amdhsa_next_free_sgpr 20
		.amdhsa_reserve_vcc 1
		.amdhsa_float_round_mode_32 0
		.amdhsa_float_round_mode_16_64 0
		.amdhsa_float_denorm_mode_32 3
		.amdhsa_float_denorm_mode_16_64 3
		.amdhsa_dx10_clamp 1
		.amdhsa_ieee_mode 1
		.amdhsa_fp16_overflow 0
		.amdhsa_workgroup_processor_mode 1
		.amdhsa_memory_ordered 1
		.amdhsa_forward_progress 0
		.amdhsa_shared_vgpr_count 0
		.amdhsa_exception_fp_ieee_invalid_op 0
		.amdhsa_exception_fp_denorm_src 0
		.amdhsa_exception_fp_ieee_div_zero 0
		.amdhsa_exception_fp_ieee_overflow 0
		.amdhsa_exception_fp_ieee_underflow 0
		.amdhsa_exception_fp_ieee_inexact 0
		.amdhsa_exception_int_div_zero 0
	.end_amdhsa_kernel
	.section	.text._ZN2at6native12_GLOBAL__N_125multi_tensor_apply_kernelINS1_18TensorListMetadataILi1EEENS1_14UnaryOpFunctorIN3c104HalfELi1ELi1ELi0EEEJNS0_3AbsIfEEEEEvT_T0_DpT1_,"axG",@progbits,_ZN2at6native12_GLOBAL__N_125multi_tensor_apply_kernelINS1_18TensorListMetadataILi1EEENS1_14UnaryOpFunctorIN3c104HalfELi1ELi1ELi0EEEJNS0_3AbsIfEEEEEvT_T0_DpT1_,comdat
.Lfunc_end349:
	.size	_ZN2at6native12_GLOBAL__N_125multi_tensor_apply_kernelINS1_18TensorListMetadataILi1EEENS1_14UnaryOpFunctorIN3c104HalfELi1ELi1ELi0EEEJNS0_3AbsIfEEEEEvT_T0_DpT1_, .Lfunc_end349-_ZN2at6native12_GLOBAL__N_125multi_tensor_apply_kernelINS1_18TensorListMetadataILi1EEENS1_14UnaryOpFunctorIN3c104HalfELi1ELi1ELi0EEEJNS0_3AbsIfEEEEEvT_T0_DpT1_
                                        ; -- End function
	.section	.AMDGPU.csdata,"",@progbits
; Kernel info:
; codeLenInByte = 1116
; NumSgprs: 22
; NumVgprs: 17
; ScratchSize: 0
; MemoryBound: 0
; FloatMode: 240
; IeeeMode: 1
; LDSByteSize: 0 bytes/workgroup (compile time only)
; SGPRBlocks: 2
; VGPRBlocks: 2
; NumSGPRsForWavesPerEU: 22
; NumVGPRsForWavesPerEU: 17
; Occupancy: 16
; WaveLimiterHint : 0
; COMPUTE_PGM_RSRC2:SCRATCH_EN: 0
; COMPUTE_PGM_RSRC2:USER_SGPR: 15
; COMPUTE_PGM_RSRC2:TRAP_HANDLER: 0
; COMPUTE_PGM_RSRC2:TGID_X_EN: 1
; COMPUTE_PGM_RSRC2:TGID_Y_EN: 0
; COMPUTE_PGM_RSRC2:TGID_Z_EN: 0
; COMPUTE_PGM_RSRC2:TIDIG_COMP_CNT: 0
	.section	.text._ZN2at6native12_GLOBAL__N_125multi_tensor_apply_kernelINS1_18TensorListMetadataILi1EEENS1_14UnaryOpFunctorIN3c108BFloat16ELi1ELi1ELi0EEEJNS0_3AbsIfEEEEEvT_T0_DpT1_,"axG",@progbits,_ZN2at6native12_GLOBAL__N_125multi_tensor_apply_kernelINS1_18TensorListMetadataILi1EEENS1_14UnaryOpFunctorIN3c108BFloat16ELi1ELi1ELi0EEEJNS0_3AbsIfEEEEEvT_T0_DpT1_,comdat
	.globl	_ZN2at6native12_GLOBAL__N_125multi_tensor_apply_kernelINS1_18TensorListMetadataILi1EEENS1_14UnaryOpFunctorIN3c108BFloat16ELi1ELi1ELi0EEEJNS0_3AbsIfEEEEEvT_T0_DpT1_ ; -- Begin function _ZN2at6native12_GLOBAL__N_125multi_tensor_apply_kernelINS1_18TensorListMetadataILi1EEENS1_14UnaryOpFunctorIN3c108BFloat16ELi1ELi1ELi0EEEJNS0_3AbsIfEEEEEvT_T0_DpT1_
	.p2align	8
	.type	_ZN2at6native12_GLOBAL__N_125multi_tensor_apply_kernelINS1_18TensorListMetadataILi1EEENS1_14UnaryOpFunctorIN3c108BFloat16ELi1ELi1ELi0EEEJNS0_3AbsIfEEEEEvT_T0_DpT1_,@function
_ZN2at6native12_GLOBAL__N_125multi_tensor_apply_kernelINS1_18TensorListMetadataILi1EEENS1_14UnaryOpFunctorIN3c108BFloat16ELi1ELi1ELi0EEEJNS0_3AbsIfEEEEEvT_T0_DpT1_: ; @_ZN2at6native12_GLOBAL__N_125multi_tensor_apply_kernelINS1_18TensorListMetadataILi1EEENS1_14UnaryOpFunctorIN3c108BFloat16ELi1ELi1ELi0EEEJNS0_3AbsIfEEEEEvT_T0_DpT1_
; %bb.0:
	v_mov_b32_e32 v1, s15
	s_add_u32 s2, s0, s15
	s_mul_hi_u32 s3, s15, 3
	s_mul_i32 s15, s15, 3
	s_addc_u32 s4, s1, 0
	global_load_u8 v1, v1, s[0:1] offset:1760
	s_add_u32 s2, s2, s15
	s_addc_u32 s3, s4, s3
	s_mov_b32 s13, 0
	s_load_b32 s2, s[2:3], 0x820
	s_waitcnt vmcnt(0)
	v_readfirstlane_b32 s5, v1
	s_delay_alu instid0(VALU_DEP_1)
	s_lshl_b32 s3, s5, 3
	s_clause 0x1
	s_load_b64 s[8:9], s[0:1], s3 offset:0x0
	s_load_b64 s[4:5], s[0:1], s3 offset:0x370
	s_waitcnt lgkmcnt(0)
	s_ashr_i32 s3, s2, 31
	s_delay_alu instid0(SALU_CYCLE_1)
	s_lshl_b64 s[10:11], s[2:3], 17
	s_lshl_b64 s[2:3], s[2:3], 16
	s_and_b32 s12, s8, 7
	s_sub_u32 s6, s4, s2
	s_subb_u32 s7, s5, s3
	s_and_b32 s2, s4, 3
	s_mov_b32 s3, s13
	s_delay_alu instid0(SALU_CYCLE_1) | instskip(NEXT) | instid1(SALU_CYCLE_1)
	s_or_b64 s[2:3], s[12:13], s[2:3]
	s_cmp_eq_u64 s[2:3], 0
	s_cbranch_scc1 .LBB350_21
; %bb.1:
	v_cmp_lt_i64_e64 s2, s[6:7], 1
	s_delay_alu instid0(VALU_DEP_1)
	s_and_b32 vcc_lo, exec_lo, s2
	s_cbranch_vccnz .LBB350_20
; %bb.2:
	s_load_b32 s2, s[0:1], 0xd3c
	v_cmp_gt_u64_e64 s3, 0x10000, s[6:7]
	v_lshlrev_b32_e32 v1, 1, v0
	s_waitcnt lgkmcnt(0)
	s_and_b32 s2, s2, 0xffff
	s_delay_alu instid0(VALU_DEP_2)
	s_and_b32 s3, s3, exec_lo
	v_add_co_u32 v5, s5, v0, s2
	s_cselect_b32 s13, s7, 0
	s_cselect_b32 s12, s6, 0x10000
	s_lshl_b32 s3, s2, 1
	s_lshl_b32 s16, s2, 2
	v_lshlrev_b32_e32 v3, 1, v5
	v_add_co_ci_u32_e64 v6, null, 0, 0, s5
	s_add_u32 s5, s8, s10
	v_add_co_u32 v9, s3, s3, v0
	s_mul_i32 s4, s2, 3
	s_addc_u32 s14, s9, s11
	v_add_co_ci_u32_e64 v10, null, 0, 0, s3
	v_add_co_u32 v1, s3, s5, v1
	v_add_co_u32 v7, s4, s4, v0
	v_add_co_ci_u32_e64 v2, null, s14, 0, s3
	v_add_co_u32 v3, s3, s5, v3
	v_add_co_ci_u32_e64 v8, null, 0, 0, s4
	v_add_co_ci_u32_e64 v4, null, s14, 0, s3
	s_lshl_b32 s17, s2, 3
	s_mul_i32 s18, s2, 6
	s_mov_b64 s[14:15], 0
	s_branch .LBB350_4
.LBB350_3:                              ;   in Loop: Header=BB350_4 Depth=1
	s_or_b32 exec_lo, exec_lo, s2
	s_add_u32 s14, s14, s16
	s_addc_u32 s15, s15, 0
	v_add_co_u32 v1, vcc_lo, v1, s17
	v_cmp_lt_i64_e64 s2, s[14:15], s[6:7]
	v_cmp_gt_u64_e64 s3, 0x10000, s[14:15]
	v_add_co_ci_u32_e32 v2, vcc_lo, 0, v2, vcc_lo
	v_add_co_u32 v3, vcc_lo, v3, s17
	v_add_co_ci_u32_e32 v4, vcc_lo, 0, v4, vcc_lo
	s_delay_alu instid0(VALU_DEP_4) | instskip(NEXT) | instid1(SALU_CYCLE_1)
	s_and_b32 s2, s2, s3
	s_and_b32 vcc_lo, exec_lo, s2
	s_cbranch_vccz .LBB350_20
.LBB350_4:                              ; =>This Inner Loop Header: Depth=1
	s_waitcnt vmcnt(0)
	v_add_co_u32 v11, s2, v0, s14
	s_delay_alu instid0(VALU_DEP_1) | instskip(NEXT) | instid1(VALU_DEP_1)
	v_add_co_ci_u32_e64 v12, null, 0, s15, s2
	v_cmp_gt_u64_e32 vcc_lo, s[12:13], v[11:12]
	v_mov_b32_e32 v12, 0
	s_and_saveexec_b32 s2, vcc_lo
	s_cbranch_execz .LBB350_6
; %bb.5:                                ;   in Loop: Header=BB350_4 Depth=1
	global_load_u16 v12, v[1:2], off
.LBB350_6:                              ;   in Loop: Header=BB350_4 Depth=1
	s_or_b32 exec_lo, exec_lo, s2
	v_add_co_u32 v13, s2, v5, s14
	s_delay_alu instid0(VALU_DEP_1) | instskip(NEXT) | instid1(VALU_DEP_1)
	v_add_co_ci_u32_e64 v14, s2, s15, v6, s2
	v_cmp_gt_u64_e64 s2, s[12:13], v[13:14]
	v_mov_b32_e32 v13, 0
	s_delay_alu instid0(VALU_DEP_2)
	s_and_saveexec_b32 s3, s2
	s_cbranch_execz .LBB350_8
; %bb.7:                                ;   in Loop: Header=BB350_4 Depth=1
	global_load_u16 v13, v[3:4], off
.LBB350_8:                              ;   in Loop: Header=BB350_4 Depth=1
	s_or_b32 exec_lo, exec_lo, s3
	v_add_co_u32 v14, s3, v9, s14
	s_delay_alu instid0(VALU_DEP_1) | instskip(SKIP_1) | instid1(VALU_DEP_2)
	v_add_co_ci_u32_e64 v15, s3, s15, v10, s3
	v_mov_b32_e32 v11, 0
	v_cmp_gt_u64_e64 s3, s[12:13], v[14:15]
	v_mov_b32_e32 v14, 0
	s_delay_alu instid0(VALU_DEP_2)
	s_and_saveexec_b32 s5, s3
	s_cbranch_execz .LBB350_10
; %bb.9:                                ;   in Loop: Header=BB350_4 Depth=1
	v_add_co_u32 v14, s4, v1, s16
	s_delay_alu instid0(VALU_DEP_1)
	v_add_co_ci_u32_e64 v15, s4, 0, v2, s4
	global_load_u16 v14, v[14:15], off
.LBB350_10:                             ;   in Loop: Header=BB350_4 Depth=1
	s_or_b32 exec_lo, exec_lo, s5
	v_add_co_u32 v15, s4, v7, s14
	s_delay_alu instid0(VALU_DEP_1) | instskip(NEXT) | instid1(VALU_DEP_1)
	v_add_co_ci_u32_e64 v16, s4, s15, v8, s4
	v_cmp_gt_u64_e64 s4, s[12:13], v[15:16]
	s_delay_alu instid0(VALU_DEP_1)
	s_and_saveexec_b32 s19, s4
	s_cbranch_execnz .LBB350_15
; %bb.11:                               ;   in Loop: Header=BB350_4 Depth=1
	s_or_b32 exec_lo, exec_lo, s19
	s_and_saveexec_b32 s5, vcc_lo
	s_cbranch_execnz .LBB350_16
.LBB350_12:                             ;   in Loop: Header=BB350_4 Depth=1
	s_or_b32 exec_lo, exec_lo, s5
	s_and_saveexec_b32 s5, s2
	s_cbranch_execnz .LBB350_17
.LBB350_13:                             ;   in Loop: Header=BB350_4 Depth=1
	s_or_b32 exec_lo, exec_lo, s5
	s_and_saveexec_b32 s2, s3
	s_cbranch_execnz .LBB350_18
.LBB350_14:                             ;   in Loop: Header=BB350_4 Depth=1
	s_or_b32 exec_lo, exec_lo, s2
	s_and_saveexec_b32 s2, s4
	s_cbranch_execz .LBB350_3
	s_branch .LBB350_19
.LBB350_15:                             ;   in Loop: Header=BB350_4 Depth=1
	v_add_co_u32 v15, s5, v1, s18
	s_delay_alu instid0(VALU_DEP_1)
	v_add_co_ci_u32_e64 v16, s5, 0, v2, s5
	global_load_u16 v11, v[15:16], off
	s_or_b32 exec_lo, exec_lo, s19
	s_and_saveexec_b32 s5, vcc_lo
	s_cbranch_execz .LBB350_12
.LBB350_16:                             ;   in Loop: Header=BB350_4 Depth=1
	s_waitcnt vmcnt(0)
	v_lshlrev_b32_e32 v12, 16, v12
	s_delay_alu instid0(VALU_DEP_1) | instskip(SKIP_1) | instid1(VALU_DEP_2)
	v_and_b32_e32 v15, 0x7fffffff, v12
	v_cmp_o_f32_e32 vcc_lo, v12, v12
	v_bfe_u32 v16, v15, 16, 1
	s_delay_alu instid0(VALU_DEP_1) | instskip(NEXT) | instid1(VALU_DEP_1)
	v_add3_u32 v15, v15, v16, 0x7fff
	v_lshrrev_b32_e32 v15, 16, v15
	s_delay_alu instid0(VALU_DEP_1)
	v_cndmask_b32_e32 v12, 0x7fc0, v15, vcc_lo
	global_store_b16 v[1:2], v12, off
	s_or_b32 exec_lo, exec_lo, s5
	s_and_saveexec_b32 s5, s2
	s_cbranch_execz .LBB350_13
.LBB350_17:                             ;   in Loop: Header=BB350_4 Depth=1
	s_waitcnt vmcnt(0)
	v_lshlrev_b32_e32 v12, 16, v13
	s_delay_alu instid0(VALU_DEP_1) | instskip(SKIP_1) | instid1(VALU_DEP_2)
	v_and_b32_e32 v13, 0x7fffffff, v12
	v_cmp_o_f32_e32 vcc_lo, v12, v12
	v_bfe_u32 v15, v13, 16, 1
	s_delay_alu instid0(VALU_DEP_1) | instskip(NEXT) | instid1(VALU_DEP_1)
	v_add3_u32 v13, v13, v15, 0x7fff
	v_lshrrev_b32_e32 v13, 16, v13
	s_delay_alu instid0(VALU_DEP_1)
	v_cndmask_b32_e32 v12, 0x7fc0, v13, vcc_lo
	global_store_b16 v[3:4], v12, off
	s_or_b32 exec_lo, exec_lo, s5
	s_and_saveexec_b32 s2, s3
	s_cbranch_execz .LBB350_14
.LBB350_18:                             ;   in Loop: Header=BB350_4 Depth=1
	s_waitcnt vmcnt(0)
	v_lshlrev_b32_e32 v12, 16, v14
	s_delay_alu instid0(VALU_DEP_1) | instskip(SKIP_1) | instid1(VALU_DEP_2)
	v_and_b32_e32 v13, 0x7fffffff, v12
	v_cmp_o_f32_e32 vcc_lo, v12, v12
	v_bfe_u32 v14, v13, 16, 1
	s_delay_alu instid0(VALU_DEP_1) | instskip(NEXT) | instid1(VALU_DEP_1)
	v_add3_u32 v13, v13, v14, 0x7fff
	v_lshrrev_b32_e32 v13, 16, v13
	s_delay_alu instid0(VALU_DEP_1)
	v_cndmask_b32_e32 v14, 0x7fc0, v13, vcc_lo
	v_add_co_u32 v12, vcc_lo, v1, s16
	v_add_co_ci_u32_e32 v13, vcc_lo, 0, v2, vcc_lo
	global_store_b16 v[12:13], v14, off
	s_or_b32 exec_lo, exec_lo, s2
	s_and_saveexec_b32 s2, s4
	s_cbranch_execz .LBB350_3
.LBB350_19:                             ;   in Loop: Header=BB350_4 Depth=1
	s_waitcnt vmcnt(0)
	v_lshlrev_b32_e32 v11, 16, v11
	s_delay_alu instid0(VALU_DEP_1) | instskip(SKIP_1) | instid1(VALU_DEP_2)
	v_and_b32_e32 v12, 0x7fffffff, v11
	v_cmp_o_f32_e32 vcc_lo, v11, v11
	v_bfe_u32 v13, v12, 16, 1
	s_delay_alu instid0(VALU_DEP_1) | instskip(NEXT) | instid1(VALU_DEP_1)
	v_add3_u32 v12, v12, v13, 0x7fff
	v_lshrrev_b32_e32 v12, 16, v12
	s_delay_alu instid0(VALU_DEP_1)
	v_cndmask_b32_e32 v13, 0x7fc0, v12, vcc_lo
	v_add_co_u32 v11, vcc_lo, v1, s18
	v_add_co_ci_u32_e32 v12, vcc_lo, 0, v2, vcc_lo
	global_store_b16 v[11:12], v13, off
	s_branch .LBB350_3
.LBB350_20:
	s_cbranch_execz .LBB350_22
	s_branch .LBB350_25
.LBB350_21:
.LBB350_22:
	v_dual_mov_b32 v2, 0 :: v_dual_lshlrev_b32 v1, 2, v0
	s_mov_b32 s2, 0
	s_mov_b32 s3, exec_lo
	s_delay_alu instid0(VALU_DEP_1)
	v_cmpx_gt_i64_e64 s[6:7], v[1:2]
	s_cbranch_execz .LBB350_25
; %bb.23:
	s_load_b32 s0, s[0:1], 0xd3c
	v_lshlrev_b32_e32 v1, 3, v0
	s_waitcnt lgkmcnt(0)
	s_and_b32 s0, s0, 0xffff
	s_add_u32 s1, s8, s10
	s_addc_u32 s3, s9, s11
	v_add_co_u32 v3, s1, s1, v1
	s_delay_alu instid0(VALU_DEP_1)
	v_add_co_ci_u32_e64 v4, null, s3, 0, s1
	v_add_lshl_u32 v1, v0, s0, 2
	s_lshl_b32 s3, s0, 3
	s_lshl_b32 s4, s0, 2
.LBB350_24:                             ; =>This Inner Loop Header: Depth=1
	global_load_b64 v[5:6], v[3:4], off
	v_cmp_lt_u64_e64 s0, 0xffff, v[1:2]
	s_waitcnt vmcnt(0)
	v_alignbit_b32 v0, v6, v5, 16
	v_and_b32_e32 v6, 0xffff0000, v6
	v_and_b32_e32 v7, 0xffff0000, v5
	s_delay_alu instid0(VALU_DEP_3) | instskip(NEXT) | instid1(VALU_DEP_3)
	v_and_b32_e32 v0, 0xffff0000, v0
	v_and_b32_e32 v10, 0x7fffffff, v6
	s_delay_alu instid0(VALU_DEP_3) | instskip(SKIP_1) | instid1(VALU_DEP_4)
	v_and_b32_e32 v8, 0x7fffffff, v7
	v_cmp_o_f32_e32 vcc_lo, v7, v7
	v_and_b32_e32 v11, 0x7fffffff, v0
	s_delay_alu instid0(VALU_DEP_4) | instskip(NEXT) | instid1(VALU_DEP_4)
	v_bfe_u32 v14, v10, 16, 1
	v_bfe_u32 v12, v8, 16, 1
	s_delay_alu instid0(VALU_DEP_3) | instskip(NEXT) | instid1(VALU_DEP_3)
	v_bfe_u32 v15, v11, 16, 1
	v_add3_u32 v10, v10, v14, 0x7fff
	s_delay_alu instid0(VALU_DEP_3) | instskip(NEXT) | instid1(VALU_DEP_3)
	v_add3_u32 v8, v8, v12, 0x7fff
	v_add3_u32 v11, v11, v15, 0x7fff
	s_delay_alu instid0(VALU_DEP_3) | instskip(SKIP_1) | instid1(VALU_DEP_4)
	v_and_b32_e32 v10, 0xffff0000, v10
	v_lshlrev_b32_e32 v5, 16, v5
	v_and_b32_e32 v8, 0xffff0000, v8
	s_delay_alu instid0(VALU_DEP_4) | instskip(NEXT) | instid1(VALU_DEP_3)
	v_lshrrev_b32_e32 v11, 16, v11
	v_and_b32_e32 v9, 0x7fffffff, v5
	s_delay_alu instid0(VALU_DEP_3) | instskip(SKIP_1) | instid1(VALU_DEP_3)
	v_cndmask_b32_e32 v7, 0x7fc00000, v8, vcc_lo
	v_cmp_o_f32_e32 vcc_lo, v5, v5
	v_bfe_u32 v13, v9, 16, 1
	s_delay_alu instid0(VALU_DEP_1) | instskip(NEXT) | instid1(VALU_DEP_1)
	v_add3_u32 v9, v9, v13, 0x7fff
	v_lshrrev_b32_e32 v9, 16, v9
	s_delay_alu instid0(VALU_DEP_1) | instskip(SKIP_1) | instid1(VALU_DEP_2)
	v_cndmask_b32_e32 v5, 0x7fc0, v9, vcc_lo
	v_cmp_o_f32_e32 vcc_lo, v6, v6
	v_or_b32_e32 v5, v5, v7
	v_cndmask_b32_e32 v6, 0x7fc00000, v10, vcc_lo
	v_cmp_o_f32_e32 vcc_lo, v0, v0
	s_delay_alu instid0(VALU_DEP_3) | instskip(SKIP_3) | instid1(VALU_DEP_1)
	v_or3_b32 v5, v5, 0, 0
	v_cndmask_b32_e32 v0, 0x7fc0, v11, vcc_lo
	v_cmp_le_i64_e32 vcc_lo, s[6:7], v[1:2]
	v_add_co_u32 v1, s1, v1, s4
	v_add_co_ci_u32_e64 v2, s1, 0, v2, s1
	s_delay_alu instid0(VALU_DEP_4) | instskip(SKIP_1) | instid1(SALU_CYCLE_1)
	v_or3_b32 v6, 0, v0, v6
	s_or_b32 s0, vcc_lo, s0
	s_and_b32 s0, exec_lo, s0
	global_store_b64 v[3:4], v[5:6], off
	v_add_co_u32 v3, vcc_lo, v3, s3
	v_add_co_ci_u32_e32 v4, vcc_lo, 0, v4, vcc_lo
	s_or_b32 s2, s0, s2
	s_delay_alu instid0(SALU_CYCLE_1)
	s_and_not1_b32 exec_lo, exec_lo, s2
	s_cbranch_execnz .LBB350_24
.LBB350_25:
	s_nop 0
	s_sendmsg sendmsg(MSG_DEALLOC_VGPRS)
	s_endpgm
	.section	.rodata,"a",@progbits
	.p2align	6, 0x0
	.amdhsa_kernel _ZN2at6native12_GLOBAL__N_125multi_tensor_apply_kernelINS1_18TensorListMetadataILi1EEENS1_14UnaryOpFunctorIN3c108BFloat16ELi1ELi1ELi0EEEJNS0_3AbsIfEEEEEvT_T0_DpT1_
		.amdhsa_group_segment_fixed_size 0
		.amdhsa_private_segment_fixed_size 0
		.amdhsa_kernarg_size 3632
		.amdhsa_user_sgpr_count 15
		.amdhsa_user_sgpr_dispatch_ptr 0
		.amdhsa_user_sgpr_queue_ptr 0
		.amdhsa_user_sgpr_kernarg_segment_ptr 1
		.amdhsa_user_sgpr_dispatch_id 0
		.amdhsa_user_sgpr_private_segment_size 0
		.amdhsa_wavefront_size32 1
		.amdhsa_uses_dynamic_stack 0
		.amdhsa_enable_private_segment 0
		.amdhsa_system_sgpr_workgroup_id_x 1
		.amdhsa_system_sgpr_workgroup_id_y 0
		.amdhsa_system_sgpr_workgroup_id_z 0
		.amdhsa_system_sgpr_workgroup_info 0
		.amdhsa_system_vgpr_workitem_id 0
		.amdhsa_next_free_vgpr 17
		.amdhsa_next_free_sgpr 20
		.amdhsa_reserve_vcc 1
		.amdhsa_float_round_mode_32 0
		.amdhsa_float_round_mode_16_64 0
		.amdhsa_float_denorm_mode_32 3
		.amdhsa_float_denorm_mode_16_64 3
		.amdhsa_dx10_clamp 1
		.amdhsa_ieee_mode 1
		.amdhsa_fp16_overflow 0
		.amdhsa_workgroup_processor_mode 1
		.amdhsa_memory_ordered 1
		.amdhsa_forward_progress 0
		.amdhsa_shared_vgpr_count 0
		.amdhsa_exception_fp_ieee_invalid_op 0
		.amdhsa_exception_fp_denorm_src 0
		.amdhsa_exception_fp_ieee_div_zero 0
		.amdhsa_exception_fp_ieee_overflow 0
		.amdhsa_exception_fp_ieee_underflow 0
		.amdhsa_exception_fp_ieee_inexact 0
		.amdhsa_exception_int_div_zero 0
	.end_amdhsa_kernel
	.section	.text._ZN2at6native12_GLOBAL__N_125multi_tensor_apply_kernelINS1_18TensorListMetadataILi1EEENS1_14UnaryOpFunctorIN3c108BFloat16ELi1ELi1ELi0EEEJNS0_3AbsIfEEEEEvT_T0_DpT1_,"axG",@progbits,_ZN2at6native12_GLOBAL__N_125multi_tensor_apply_kernelINS1_18TensorListMetadataILi1EEENS1_14UnaryOpFunctorIN3c108BFloat16ELi1ELi1ELi0EEEJNS0_3AbsIfEEEEEvT_T0_DpT1_,comdat
.Lfunc_end350:
	.size	_ZN2at6native12_GLOBAL__N_125multi_tensor_apply_kernelINS1_18TensorListMetadataILi1EEENS1_14UnaryOpFunctorIN3c108BFloat16ELi1ELi1ELi0EEEJNS0_3AbsIfEEEEEvT_T0_DpT1_, .Lfunc_end350-_ZN2at6native12_GLOBAL__N_125multi_tensor_apply_kernelINS1_18TensorListMetadataILi1EEENS1_14UnaryOpFunctorIN3c108BFloat16ELi1ELi1ELi0EEEJNS0_3AbsIfEEEEEvT_T0_DpT1_
                                        ; -- End function
	.section	.AMDGPU.csdata,"",@progbits
; Kernel info:
; codeLenInByte = 1576
; NumSgprs: 22
; NumVgprs: 17
; ScratchSize: 0
; MemoryBound: 0
; FloatMode: 240
; IeeeMode: 1
; LDSByteSize: 0 bytes/workgroup (compile time only)
; SGPRBlocks: 2
; VGPRBlocks: 2
; NumSGPRsForWavesPerEU: 22
; NumVGPRsForWavesPerEU: 17
; Occupancy: 16
; WaveLimiterHint : 0
; COMPUTE_PGM_RSRC2:SCRATCH_EN: 0
; COMPUTE_PGM_RSRC2:USER_SGPR: 15
; COMPUTE_PGM_RSRC2:TRAP_HANDLER: 0
; COMPUTE_PGM_RSRC2:TGID_X_EN: 1
; COMPUTE_PGM_RSRC2:TGID_Y_EN: 0
; COMPUTE_PGM_RSRC2:TGID_Z_EN: 0
; COMPUTE_PGM_RSRC2:TIDIG_COMP_CNT: 0
	.section	.text._ZN2at6native12_GLOBAL__N_125multi_tensor_apply_kernelINS1_18TensorListMetadataILi1EEENS1_14UnaryOpFunctorIbLi1ELi1ELi0EEEJNS0_3AbsIbEEEEEvT_T0_DpT1_,"axG",@progbits,_ZN2at6native12_GLOBAL__N_125multi_tensor_apply_kernelINS1_18TensorListMetadataILi1EEENS1_14UnaryOpFunctorIbLi1ELi1ELi0EEEJNS0_3AbsIbEEEEEvT_T0_DpT1_,comdat
	.globl	_ZN2at6native12_GLOBAL__N_125multi_tensor_apply_kernelINS1_18TensorListMetadataILi1EEENS1_14UnaryOpFunctorIbLi1ELi1ELi0EEEJNS0_3AbsIbEEEEEvT_T0_DpT1_ ; -- Begin function _ZN2at6native12_GLOBAL__N_125multi_tensor_apply_kernelINS1_18TensorListMetadataILi1EEENS1_14UnaryOpFunctorIbLi1ELi1ELi0EEEJNS0_3AbsIbEEEEEvT_T0_DpT1_
	.p2align	8
	.type	_ZN2at6native12_GLOBAL__N_125multi_tensor_apply_kernelINS1_18TensorListMetadataILi1EEENS1_14UnaryOpFunctorIbLi1ELi1ELi0EEEJNS0_3AbsIbEEEEEvT_T0_DpT1_,@function
_ZN2at6native12_GLOBAL__N_125multi_tensor_apply_kernelINS1_18TensorListMetadataILi1EEENS1_14UnaryOpFunctorIbLi1ELi1ELi0EEEJNS0_3AbsIbEEEEEvT_T0_DpT1_: ; @_ZN2at6native12_GLOBAL__N_125multi_tensor_apply_kernelINS1_18TensorListMetadataILi1EEENS1_14UnaryOpFunctorIbLi1ELi1ELi0EEEJNS0_3AbsIbEEEEEvT_T0_DpT1_
; %bb.0:
	v_mov_b32_e32 v1, s15
	s_add_u32 s2, s0, s15
	s_mul_hi_u32 s3, s15, 3
	s_mul_i32 s15, s15, 3
	s_addc_u32 s4, s1, 0
	global_load_u8 v1, v1, s[0:1] offset:1760
	s_add_u32 s2, s2, s15
	s_addc_u32 s3, s4, s3
	s_load_b32 s4, s[2:3], 0x820
	s_waitcnt vmcnt(0)
	v_readfirstlane_b32 s5, v1
	s_delay_alu instid0(VALU_DEP_1)
	s_lshl_b32 s2, s5, 3
	s_waitcnt lgkmcnt(0)
	s_ashr_i32 s5, s4, 31
	s_clause 0x1
	s_load_b64 s[6:7], s[0:1], s2 offset:0x370
	s_load_b64 s[2:3], s[0:1], s2 offset:0x0
	s_lshl_b64 s[10:11], s[4:5], 16
	s_waitcnt lgkmcnt(0)
	s_sub_u32 s4, s6, s10
	s_subb_u32 s5, s7, s11
	s_or_b32 s6, s6, s2
	v_cmp_gt_i64_e64 s7, s[4:5], 0
	s_and_b32 s6, s6, 3
	s_delay_alu instid0(SALU_CYCLE_1)
	s_cmp_lg_u32 s6, 0
	s_cselect_b32 s6, -1, 0
	s_delay_alu instid0(VALU_DEP_1) | instid1(SALU_CYCLE_1)
	s_and_b32 s6, s6, s7
	s_delay_alu instid0(SALU_CYCLE_1)
	s_and_not1_b32 vcc_lo, exec_lo, s6
	s_mov_b64 s[6:7], 0
	s_cbranch_vccnz .LBB351_19
; %bb.1:
	s_load_b32 s0, s[0:1], 0xd3c
	v_add_co_u32 v11, s1, s10, v0
	s_delay_alu instid0(VALU_DEP_1) | instskip(SKIP_1) | instid1(VALU_DEP_3)
	v_add_co_ci_u32_e64 v12, null, s11, 0, s1
	v_cmp_gt_u64_e64 s1, 0x10000, s[4:5]
	v_add_co_u32 v1, vcc_lo, s2, v11
	s_delay_alu instid0(VALU_DEP_3) | instskip(SKIP_2) | instid1(VALU_DEP_3)
	v_add_co_ci_u32_e32 v2, vcc_lo, s3, v12, vcc_lo
	s_waitcnt lgkmcnt(0)
	s_and_b32 s0, s0, 0xffff
	s_and_b32 s1, s1, exec_lo
	s_mul_i32 s13, s0, 3
	s_cselect_b32 s9, s5, 0
	s_cselect_b32 s8, s4, 0x10000
	s_lshl_b32 s1, s0, 1
	s_lshl_b32 s12, s0, 2
	s_add_u32 s14, s10, s13
	v_add_co_u32 v3, s13, s13, v0
	s_delay_alu instid0(VALU_DEP_1)
	v_add_co_ci_u32_e64 v4, null, 0, 0, s13
	s_addc_u32 s13, s11, 0
	s_add_u32 s14, s2, s14
	s_addc_u32 s13, s3, s13
	s_add_u32 s10, s10, s1
	s_addc_u32 s11, s11, 0
	s_add_u32 s10, s2, s10
	v_add_co_u32 v9, s1, s1, v0
	s_addc_u32 s11, s3, s11
	v_add_co_ci_u32_e64 v10, null, 0, 0, s1
	s_add_u32 s1, s2, s0
	v_add_co_u32 v5, s14, s14, v0
	v_add_co_u32 v7, s10, s10, v0
	s_addc_u32 s2, s3, 0
	v_add_co_u32 v11, vcc_lo, s1, v11
	v_add_co_u32 v13, s0, v0, s0
	v_add_co_ci_u32_e64 v6, null, s13, 0, s14
	v_add_co_ci_u32_e64 v8, null, s11, 0, s10
	v_add_co_ci_u32_e32 v12, vcc_lo, s2, v12, vcc_lo
	v_add_co_ci_u32_e64 v14, null, 0, 0, s0
	s_branch .LBB351_3
.LBB351_2:                              ;   in Loop: Header=BB351_3 Depth=1
	s_or_b32 exec_lo, exec_lo, s0
	s_add_u32 s6, s6, s12
	s_addc_u32 s7, s7, 0
	s_delay_alu instid0(SALU_CYCLE_1) | instskip(SKIP_1) | instid1(VALU_DEP_1)
	v_cmp_lt_i64_e64 s0, s[6:7], s[4:5]
	v_cmp_gt_u64_e64 s1, 0x10000, s[6:7]
	s_and_b32 s0, s0, s1
	s_delay_alu instid0(SALU_CYCLE_1)
	s_and_b32 vcc_lo, exec_lo, s0
	s_cbranch_vccz .LBB351_19
.LBB351_3:                              ; =>This Inner Loop Header: Depth=1
	s_waitcnt vmcnt(0)
	v_add_co_u32 v15, s0, v0, s6
	s_delay_alu instid0(VALU_DEP_1) | instskip(NEXT) | instid1(VALU_DEP_1)
	v_add_co_ci_u32_e64 v16, null, 0, s7, s0
	v_cmp_gt_u64_e32 vcc_lo, s[8:9], v[15:16]
	v_mov_b32_e32 v15, 0
	s_and_saveexec_b32 s1, vcc_lo
	s_cbranch_execz .LBB351_5
; %bb.4:                                ;   in Loop: Header=BB351_3 Depth=1
	v_add_co_u32 v15, s0, v1, s6
	s_delay_alu instid0(VALU_DEP_1)
	v_add_co_ci_u32_e64 v16, s0, s7, v2, s0
	global_load_u8 v15, v[15:16], off
.LBB351_5:                              ;   in Loop: Header=BB351_3 Depth=1
	s_or_b32 exec_lo, exec_lo, s1
	v_add_co_u32 v16, s0, v13, s6
	s_delay_alu instid0(VALU_DEP_1) | instskip(NEXT) | instid1(VALU_DEP_1)
	v_add_co_ci_u32_e64 v17, s0, s7, v14, s0
	v_cmp_gt_u64_e64 s0, s[8:9], v[16:17]
	v_mov_b32_e32 v17, 0
	s_delay_alu instid0(VALU_DEP_2)
	s_and_saveexec_b32 s2, s0
	s_cbranch_execz .LBB351_7
; %bb.6:                                ;   in Loop: Header=BB351_3 Depth=1
	v_add_co_u32 v16, s1, v11, s6
	s_delay_alu instid0(VALU_DEP_1)
	v_add_co_ci_u32_e64 v17, s1, s7, v12, s1
	global_load_u8 v17, v[16:17], off
.LBB351_7:                              ;   in Loop: Header=BB351_3 Depth=1
	s_or_b32 exec_lo, exec_lo, s2
	v_add_co_u32 v18, s1, v9, s6
	s_delay_alu instid0(VALU_DEP_1) | instskip(SKIP_1) | instid1(VALU_DEP_2)
	v_add_co_ci_u32_e64 v19, s1, s7, v10, s1
	v_mov_b32_e32 v16, 0
	v_cmp_gt_u64_e64 s1, s[8:9], v[18:19]
	v_mov_b32_e32 v18, 0
	s_delay_alu instid0(VALU_DEP_2)
	s_and_saveexec_b32 s3, s1
	s_cbranch_execz .LBB351_9
; %bb.8:                                ;   in Loop: Header=BB351_3 Depth=1
	v_add_co_u32 v18, s2, v7, s6
	s_delay_alu instid0(VALU_DEP_1)
	v_add_co_ci_u32_e64 v19, s2, s7, v8, s2
	global_load_u8 v18, v[18:19], off
.LBB351_9:                              ;   in Loop: Header=BB351_3 Depth=1
	s_or_b32 exec_lo, exec_lo, s3
	v_add_co_u32 v19, s2, v3, s6
	s_delay_alu instid0(VALU_DEP_1) | instskip(NEXT) | instid1(VALU_DEP_1)
	v_add_co_ci_u32_e64 v20, s2, s7, v4, s2
	v_cmp_gt_u64_e64 s2, s[8:9], v[19:20]
	s_delay_alu instid0(VALU_DEP_1)
	s_and_saveexec_b32 s10, s2
	s_cbranch_execnz .LBB351_14
; %bb.10:                               ;   in Loop: Header=BB351_3 Depth=1
	s_or_b32 exec_lo, exec_lo, s10
	s_and_saveexec_b32 s3, vcc_lo
	s_cbranch_execnz .LBB351_15
.LBB351_11:                             ;   in Loop: Header=BB351_3 Depth=1
	s_or_b32 exec_lo, exec_lo, s3
	s_and_saveexec_b32 s3, s0
	s_cbranch_execnz .LBB351_16
.LBB351_12:                             ;   in Loop: Header=BB351_3 Depth=1
	s_or_b32 exec_lo, exec_lo, s3
	s_and_saveexec_b32 s0, s1
	s_cbranch_execnz .LBB351_17
.LBB351_13:                             ;   in Loop: Header=BB351_3 Depth=1
	s_or_b32 exec_lo, exec_lo, s0
	s_and_saveexec_b32 s0, s2
	s_cbranch_execz .LBB351_2
	s_branch .LBB351_18
.LBB351_14:                             ;   in Loop: Header=BB351_3 Depth=1
	v_add_co_u32 v19, s3, v5, s6
	s_delay_alu instid0(VALU_DEP_1)
	v_add_co_ci_u32_e64 v20, s3, s7, v6, s3
	global_load_u8 v16, v[19:20], off
	s_or_b32 exec_lo, exec_lo, s10
	s_and_saveexec_b32 s3, vcc_lo
	s_cbranch_execz .LBB351_11
.LBB351_15:                             ;   in Loop: Header=BB351_3 Depth=1
	v_add_co_u32 v19, vcc_lo, v1, s6
	v_add_co_ci_u32_e32 v20, vcc_lo, s7, v2, vcc_lo
	s_waitcnt vmcnt(0)
	global_store_b8 v[19:20], v15, off
	s_or_b32 exec_lo, exec_lo, s3
	s_and_saveexec_b32 s3, s0
	s_cbranch_execz .LBB351_12
.LBB351_16:                             ;   in Loop: Header=BB351_3 Depth=1
	v_add_co_u32 v19, vcc_lo, v11, s6
	v_add_co_ci_u32_e32 v20, vcc_lo, s7, v12, vcc_lo
	s_waitcnt vmcnt(0)
	global_store_b8 v[19:20], v17, off
	s_or_b32 exec_lo, exec_lo, s3
	s_and_saveexec_b32 s0, s1
	s_cbranch_execz .LBB351_13
.LBB351_17:                             ;   in Loop: Header=BB351_3 Depth=1
	v_add_co_u32 v19, vcc_lo, v7, s6
	v_add_co_ci_u32_e32 v20, vcc_lo, s7, v8, vcc_lo
	s_waitcnt vmcnt(0)
	global_store_b8 v[19:20], v18, off
	s_or_b32 exec_lo, exec_lo, s0
	s_and_saveexec_b32 s0, s2
	s_cbranch_execz .LBB351_2
.LBB351_18:                             ;   in Loop: Header=BB351_3 Depth=1
	s_waitcnt vmcnt(0)
	v_add_co_u32 v17, vcc_lo, v5, s6
	v_add_co_ci_u32_e32 v18, vcc_lo, s7, v6, vcc_lo
	global_store_b8 v[17:18], v16, off
	s_branch .LBB351_2
.LBB351_19:
	s_nop 0
	s_sendmsg sendmsg(MSG_DEALLOC_VGPRS)
	s_endpgm
	.section	.rodata,"a",@progbits
	.p2align	6, 0x0
	.amdhsa_kernel _ZN2at6native12_GLOBAL__N_125multi_tensor_apply_kernelINS1_18TensorListMetadataILi1EEENS1_14UnaryOpFunctorIbLi1ELi1ELi0EEEJNS0_3AbsIbEEEEEvT_T0_DpT1_
		.amdhsa_group_segment_fixed_size 0
		.amdhsa_private_segment_fixed_size 0
		.amdhsa_kernarg_size 3632
		.amdhsa_user_sgpr_count 15
		.amdhsa_user_sgpr_dispatch_ptr 0
		.amdhsa_user_sgpr_queue_ptr 0
		.amdhsa_user_sgpr_kernarg_segment_ptr 1
		.amdhsa_user_sgpr_dispatch_id 0
		.amdhsa_user_sgpr_private_segment_size 0
		.amdhsa_wavefront_size32 1
		.amdhsa_uses_dynamic_stack 0
		.amdhsa_enable_private_segment 0
		.amdhsa_system_sgpr_workgroup_id_x 1
		.amdhsa_system_sgpr_workgroup_id_y 0
		.amdhsa_system_sgpr_workgroup_id_z 0
		.amdhsa_system_sgpr_workgroup_info 0
		.amdhsa_system_vgpr_workitem_id 0
		.amdhsa_next_free_vgpr 21
		.amdhsa_next_free_sgpr 16
		.amdhsa_reserve_vcc 1
		.amdhsa_float_round_mode_32 0
		.amdhsa_float_round_mode_16_64 0
		.amdhsa_float_denorm_mode_32 3
		.amdhsa_float_denorm_mode_16_64 3
		.amdhsa_dx10_clamp 1
		.amdhsa_ieee_mode 1
		.amdhsa_fp16_overflow 0
		.amdhsa_workgroup_processor_mode 1
		.amdhsa_memory_ordered 1
		.amdhsa_forward_progress 0
		.amdhsa_shared_vgpr_count 0
		.amdhsa_exception_fp_ieee_invalid_op 0
		.amdhsa_exception_fp_denorm_src 0
		.amdhsa_exception_fp_ieee_div_zero 0
		.amdhsa_exception_fp_ieee_overflow 0
		.amdhsa_exception_fp_ieee_underflow 0
		.amdhsa_exception_fp_ieee_inexact 0
		.amdhsa_exception_int_div_zero 0
	.end_amdhsa_kernel
	.section	.text._ZN2at6native12_GLOBAL__N_125multi_tensor_apply_kernelINS1_18TensorListMetadataILi1EEENS1_14UnaryOpFunctorIbLi1ELi1ELi0EEEJNS0_3AbsIbEEEEEvT_T0_DpT1_,"axG",@progbits,_ZN2at6native12_GLOBAL__N_125multi_tensor_apply_kernelINS1_18TensorListMetadataILi1EEENS1_14UnaryOpFunctorIbLi1ELi1ELi0EEEJNS0_3AbsIbEEEEEvT_T0_DpT1_,comdat
.Lfunc_end351:
	.size	_ZN2at6native12_GLOBAL__N_125multi_tensor_apply_kernelINS1_18TensorListMetadataILi1EEENS1_14UnaryOpFunctorIbLi1ELi1ELi0EEEJNS0_3AbsIbEEEEEvT_T0_DpT1_, .Lfunc_end351-_ZN2at6native12_GLOBAL__N_125multi_tensor_apply_kernelINS1_18TensorListMetadataILi1EEENS1_14UnaryOpFunctorIbLi1ELi1ELi0EEEJNS0_3AbsIbEEEEEvT_T0_DpT1_
                                        ; -- End function
	.section	.AMDGPU.csdata,"",@progbits
; Kernel info:
; codeLenInByte = 952
; NumSgprs: 18
; NumVgprs: 21
; ScratchSize: 0
; MemoryBound: 0
; FloatMode: 240
; IeeeMode: 1
; LDSByteSize: 0 bytes/workgroup (compile time only)
; SGPRBlocks: 2
; VGPRBlocks: 2
; NumSGPRsForWavesPerEU: 18
; NumVGPRsForWavesPerEU: 21
; Occupancy: 16
; WaveLimiterHint : 0
; COMPUTE_PGM_RSRC2:SCRATCH_EN: 0
; COMPUTE_PGM_RSRC2:USER_SGPR: 15
; COMPUTE_PGM_RSRC2:TRAP_HANDLER: 0
; COMPUTE_PGM_RSRC2:TGID_X_EN: 1
; COMPUTE_PGM_RSRC2:TGID_Y_EN: 0
; COMPUTE_PGM_RSRC2:TGID_Z_EN: 0
; COMPUTE_PGM_RSRC2:TIDIG_COMP_CNT: 0
	.section	.text._ZN2at6native12_GLOBAL__N_125multi_tensor_apply_kernelINS1_18TensorListMetadataILi1EEENS1_11ZeroFunctorIhLi1ELi1ELi0EEEJEEEvT_T0_DpT1_,"axG",@progbits,_ZN2at6native12_GLOBAL__N_125multi_tensor_apply_kernelINS1_18TensorListMetadataILi1EEENS1_11ZeroFunctorIhLi1ELi1ELi0EEEJEEEvT_T0_DpT1_,comdat
	.globl	_ZN2at6native12_GLOBAL__N_125multi_tensor_apply_kernelINS1_18TensorListMetadataILi1EEENS1_11ZeroFunctorIhLi1ELi1ELi0EEEJEEEvT_T0_DpT1_ ; -- Begin function _ZN2at6native12_GLOBAL__N_125multi_tensor_apply_kernelINS1_18TensorListMetadataILi1EEENS1_11ZeroFunctorIhLi1ELi1ELi0EEEJEEEvT_T0_DpT1_
	.p2align	8
	.type	_ZN2at6native12_GLOBAL__N_125multi_tensor_apply_kernelINS1_18TensorListMetadataILi1EEENS1_11ZeroFunctorIhLi1ELi1ELi0EEEJEEEvT_T0_DpT1_,@function
_ZN2at6native12_GLOBAL__N_125multi_tensor_apply_kernelINS1_18TensorListMetadataILi1EEENS1_11ZeroFunctorIhLi1ELi1ELi0EEEJEEEvT_T0_DpT1_: ; @_ZN2at6native12_GLOBAL__N_125multi_tensor_apply_kernelINS1_18TensorListMetadataILi1EEENS1_11ZeroFunctorIhLi1ELi1ELi0EEEJEEEvT_T0_DpT1_
; %bb.0:
	v_mov_b32_e32 v1, s15
	s_add_u32 s2, s0, s15
	s_mul_hi_u32 s3, s15, 3
	s_mul_i32 s15, s15, 3
	s_addc_u32 s4, s1, 0
	global_load_u8 v1, v1, s[0:1] offset:1760
	s_add_u32 s2, s2, s15
	s_addc_u32 s3, s4, s3
	s_load_b32 s2, s[2:3], 0x820
	s_waitcnt vmcnt(0)
	v_readfirstlane_b32 s5, v1
	s_delay_alu instid0(VALU_DEP_1)
	s_lshl_b32 s3, s5, 3
	s_clause 0x1
	s_load_b64 s[6:7], s[0:1], s3 offset:0x0
	s_load_b64 s[4:5], s[0:1], s3 offset:0x370
	s_waitcnt lgkmcnt(0)
	s_ashr_i32 s3, s2, 31
	s_delay_alu instid0(SALU_CYCLE_1) | instskip(NEXT) | instid1(SALU_CYCLE_1)
	s_lshl_b64 s[8:9], s[2:3], 16
	s_add_u32 s10, s6, s8
	s_addc_u32 s11, s7, s9
	s_sub_u32 s2, s4, s8
	s_subb_u32 s3, s5, s9
	s_or_b32 s4, s4, s10
	s_delay_alu instid0(SALU_CYCLE_1) | instskip(NEXT) | instid1(SALU_CYCLE_1)
	s_and_b32 s4, s4, 3
	s_cmp_eq_u32 s4, 0
	s_cbranch_scc1 .LBB352_13
; %bb.1:
	v_cmp_lt_i64_e64 s4, s[2:3], 1
	s_delay_alu instid0(VALU_DEP_1)
	s_and_b32 vcc_lo, exec_lo, s4
	s_cbranch_vccnz .LBB352_12
; %bb.2:
	s_load_b32 s4, s[0:1], 0xd3c
	v_add_co_u32 v12, s5, s8, v0
	s_delay_alu instid0(VALU_DEP_1) | instskip(SKIP_1) | instid1(VALU_DEP_3)
	v_add_co_ci_u32_e64 v13, null, s9, 0, s5
	v_cmp_gt_u64_e64 s5, 0x10000, s[2:3]
	v_add_co_u32 v2, vcc_lo, s6, v12
	s_delay_alu instid0(VALU_DEP_3)
	v_add_co_ci_u32_e32 v3, vcc_lo, s7, v13, vcc_lo
	v_mov_b32_e32 v1, 0
	s_waitcnt lgkmcnt(0)
	s_and_b32 s13, s4, 0xffff
	s_and_b32 s4, s5, exec_lo
	s_mul_i32 s15, s13, 3
	s_cselect_b32 s5, s3, 0
	s_cselect_b32 s4, s2, 0x10000
	s_lshl_b32 s14, s13, 1
	s_lshl_b32 s12, s13, 2
	s_add_u32 s16, s8, s15
	v_add_co_u32 v4, s15, s15, v0
	s_delay_alu instid0(VALU_DEP_1)
	v_add_co_ci_u32_e64 v5, null, 0, 0, s15
	s_addc_u32 s15, s9, 0
	s_add_u32 s16, s6, s16
	s_addc_u32 s15, s7, s15
	s_add_u32 s8, s8, s14
	;; [unrolled: 2-line block ×3, first 2 shown]
	s_addc_u32 s9, s7, s9
	v_add_co_u32 v8, s8, s8, v0
	s_add_u32 s6, s6, s13
	v_add_co_u32 v6, s16, s16, v0
	v_add_co_ci_u32_e64 v9, null, s9, 0, s8
	v_add_co_u32 v10, s8, s14, v0
	s_addc_u32 s7, s7, 0
	v_add_co_u32 v12, vcc_lo, s6, v12
	v_add_co_u32 v14, s6, v0, s13
	v_add_co_ci_u32_e64 v7, null, s15, 0, s16
	v_add_co_ci_u32_e64 v11, null, 0, 0, s8
	v_add_co_ci_u32_e32 v13, vcc_lo, s7, v13, vcc_lo
	v_add_co_ci_u32_e64 v15, null, 0, 0, s6
	s_mov_b64 s[6:7], 0
	s_branch .LBB352_4
.LBB352_3:                              ;   in Loop: Header=BB352_4 Depth=1
	s_or_b32 exec_lo, exec_lo, s8
	s_add_u32 s6, s6, s12
	s_addc_u32 s7, s7, 0
	s_delay_alu instid0(SALU_CYCLE_1) | instskip(SKIP_1) | instid1(VALU_DEP_1)
	v_cmp_lt_i64_e64 s8, s[6:7], s[2:3]
	v_cmp_gt_u64_e64 s9, 0x10000, s[6:7]
	s_and_b32 s8, s8, s9
	s_delay_alu instid0(SALU_CYCLE_1)
	s_and_b32 vcc_lo, exec_lo, s8
	s_cbranch_vccz .LBB352_12
.LBB352_4:                              ; =>This Inner Loop Header: Depth=1
	v_add_co_u32 v16, s8, v0, s6
	s_delay_alu instid0(VALU_DEP_1) | instskip(SKIP_1) | instid1(VALU_DEP_1)
	v_add_co_ci_u32_e64 v17, null, 0, s7, s8
	s_mov_b32 s8, exec_lo
	v_cmpx_gt_u64_e64 s[4:5], v[16:17]
	s_cbranch_execz .LBB352_6
; %bb.5:                                ;   in Loop: Header=BB352_4 Depth=1
	v_add_co_u32 v16, vcc_lo, v2, s6
	v_add_co_ci_u32_e32 v17, vcc_lo, s7, v3, vcc_lo
	global_store_b8 v[16:17], v1, off
.LBB352_6:                              ;   in Loop: Header=BB352_4 Depth=1
	s_or_b32 exec_lo, exec_lo, s8
	v_add_co_u32 v16, vcc_lo, v14, s6
	v_add_co_ci_u32_e32 v17, vcc_lo, s7, v15, vcc_lo
	s_mov_b32 s8, exec_lo
	s_delay_alu instid0(VALU_DEP_1)
	v_cmpx_gt_u64_e64 s[4:5], v[16:17]
	s_cbranch_execz .LBB352_8
; %bb.7:                                ;   in Loop: Header=BB352_4 Depth=1
	v_add_co_u32 v16, vcc_lo, v12, s6
	v_add_co_ci_u32_e32 v17, vcc_lo, s7, v13, vcc_lo
	global_store_b8 v[16:17], v1, off
.LBB352_8:                              ;   in Loop: Header=BB352_4 Depth=1
	s_or_b32 exec_lo, exec_lo, s8
	v_add_co_u32 v16, vcc_lo, v10, s6
	v_add_co_ci_u32_e32 v17, vcc_lo, s7, v11, vcc_lo
	s_mov_b32 s8, exec_lo
	s_delay_alu instid0(VALU_DEP_1)
	v_cmpx_gt_u64_e64 s[4:5], v[16:17]
	s_cbranch_execz .LBB352_10
; %bb.9:                                ;   in Loop: Header=BB352_4 Depth=1
	v_add_co_u32 v16, vcc_lo, v8, s6
	v_add_co_ci_u32_e32 v17, vcc_lo, s7, v9, vcc_lo
	global_store_b8 v[16:17], v1, off
.LBB352_10:                             ;   in Loop: Header=BB352_4 Depth=1
	s_or_b32 exec_lo, exec_lo, s8
	v_add_co_u32 v16, vcc_lo, v4, s6
	v_add_co_ci_u32_e32 v17, vcc_lo, s7, v5, vcc_lo
	s_mov_b32 s8, exec_lo
	s_delay_alu instid0(VALU_DEP_1)
	v_cmpx_gt_u64_e64 s[4:5], v[16:17]
	s_cbranch_execz .LBB352_3
; %bb.11:                               ;   in Loop: Header=BB352_4 Depth=1
	v_add_co_u32 v16, vcc_lo, v6, s6
	v_add_co_ci_u32_e32 v17, vcc_lo, s7, v7, vcc_lo
	global_store_b8 v[16:17], v1, off
	s_branch .LBB352_3
.LBB352_12:
	s_cbranch_execz .LBB352_14
	s_branch .LBB352_17
.LBB352_13:
.LBB352_14:
	v_dual_mov_b32 v1, 0 :: v_dual_lshlrev_b32 v0, 2, v0
	s_mov_b32 s4, exec_lo
	s_delay_alu instid0(VALU_DEP_1)
	v_cmpx_gt_i64_e64 s[2:3], v[0:1]
	s_cbranch_execz .LBB352_17
; %bb.15:
	s_load_b32 s0, s[0:1], 0xd3c
	v_dual_mov_b32 v3, v1 :: v_dual_mov_b32 v2, v0
	s_mov_b32 s4, 0
	s_waitcnt lgkmcnt(0)
	s_and_b32 s0, s0, 0xffff
	s_delay_alu instid0(SALU_CYCLE_1)
	s_lshl_b32 s1, s0, 2
	.p2align	6
.LBB352_16:                             ; =>This Inner Loop Header: Depth=1
	v_add_co_u32 v4, vcc_lo, s10, v2
	v_add_co_ci_u32_e32 v5, vcc_lo, s11, v3, vcc_lo
	v_add_co_u32 v2, vcc_lo, s1, v2
	v_add_co_ci_u32_e32 v3, vcc_lo, 0, v3, vcc_lo
	global_store_b32 v[4:5], v1, off
	v_cmp_le_i64_e32 vcc_lo, s[2:3], v[2:3]
	v_cmp_lt_u64_e64 s0, 0xffff, v[2:3]
	s_delay_alu instid0(VALU_DEP_1) | instskip(NEXT) | instid1(SALU_CYCLE_1)
	s_or_b32 s0, vcc_lo, s0
	s_and_b32 s0, exec_lo, s0
	s_delay_alu instid0(SALU_CYCLE_1) | instskip(NEXT) | instid1(SALU_CYCLE_1)
	s_or_b32 s4, s0, s4
	s_and_not1_b32 exec_lo, exec_lo, s4
	s_cbranch_execnz .LBB352_16
.LBB352_17:
	s_nop 0
	s_sendmsg sendmsg(MSG_DEALLOC_VGPRS)
	s_endpgm
	.section	.rodata,"a",@progbits
	.p2align	6, 0x0
	.amdhsa_kernel _ZN2at6native12_GLOBAL__N_125multi_tensor_apply_kernelINS1_18TensorListMetadataILi1EEENS1_11ZeroFunctorIhLi1ELi1ELi0EEEJEEEvT_T0_DpT1_
		.amdhsa_group_segment_fixed_size 0
		.amdhsa_private_segment_fixed_size 0
		.amdhsa_kernarg_size 3632
		.amdhsa_user_sgpr_count 15
		.amdhsa_user_sgpr_dispatch_ptr 0
		.amdhsa_user_sgpr_queue_ptr 0
		.amdhsa_user_sgpr_kernarg_segment_ptr 1
		.amdhsa_user_sgpr_dispatch_id 0
		.amdhsa_user_sgpr_private_segment_size 0
		.amdhsa_wavefront_size32 1
		.amdhsa_uses_dynamic_stack 0
		.amdhsa_enable_private_segment 0
		.amdhsa_system_sgpr_workgroup_id_x 1
		.amdhsa_system_sgpr_workgroup_id_y 0
		.amdhsa_system_sgpr_workgroup_id_z 0
		.amdhsa_system_sgpr_workgroup_info 0
		.amdhsa_system_vgpr_workitem_id 0
		.amdhsa_next_free_vgpr 18
		.amdhsa_next_free_sgpr 17
		.amdhsa_reserve_vcc 1
		.amdhsa_float_round_mode_32 0
		.amdhsa_float_round_mode_16_64 0
		.amdhsa_float_denorm_mode_32 3
		.amdhsa_float_denorm_mode_16_64 3
		.amdhsa_dx10_clamp 1
		.amdhsa_ieee_mode 1
		.amdhsa_fp16_overflow 0
		.amdhsa_workgroup_processor_mode 1
		.amdhsa_memory_ordered 1
		.amdhsa_forward_progress 0
		.amdhsa_shared_vgpr_count 0
		.amdhsa_exception_fp_ieee_invalid_op 0
		.amdhsa_exception_fp_denorm_src 0
		.amdhsa_exception_fp_ieee_div_zero 0
		.amdhsa_exception_fp_ieee_overflow 0
		.amdhsa_exception_fp_ieee_underflow 0
		.amdhsa_exception_fp_ieee_inexact 0
		.amdhsa_exception_int_div_zero 0
	.end_amdhsa_kernel
	.section	.text._ZN2at6native12_GLOBAL__N_125multi_tensor_apply_kernelINS1_18TensorListMetadataILi1EEENS1_11ZeroFunctorIhLi1ELi1ELi0EEEJEEEvT_T0_DpT1_,"axG",@progbits,_ZN2at6native12_GLOBAL__N_125multi_tensor_apply_kernelINS1_18TensorListMetadataILi1EEENS1_11ZeroFunctorIhLi1ELi1ELi0EEEJEEEvT_T0_DpT1_,comdat
.Lfunc_end352:
	.size	_ZN2at6native12_GLOBAL__N_125multi_tensor_apply_kernelINS1_18TensorListMetadataILi1EEENS1_11ZeroFunctorIhLi1ELi1ELi0EEEJEEEvT_T0_DpT1_, .Lfunc_end352-_ZN2at6native12_GLOBAL__N_125multi_tensor_apply_kernelINS1_18TensorListMetadataILi1EEENS1_11ZeroFunctorIhLi1ELi1ELi0EEEJEEEvT_T0_DpT1_
                                        ; -- End function
	.section	.AMDGPU.csdata,"",@progbits
; Kernel info:
; codeLenInByte = 840
; NumSgprs: 19
; NumVgprs: 18
; ScratchSize: 0
; MemoryBound: 0
; FloatMode: 240
; IeeeMode: 1
; LDSByteSize: 0 bytes/workgroup (compile time only)
; SGPRBlocks: 2
; VGPRBlocks: 2
; NumSGPRsForWavesPerEU: 19
; NumVGPRsForWavesPerEU: 18
; Occupancy: 16
; WaveLimiterHint : 0
; COMPUTE_PGM_RSRC2:SCRATCH_EN: 0
; COMPUTE_PGM_RSRC2:USER_SGPR: 15
; COMPUTE_PGM_RSRC2:TRAP_HANDLER: 0
; COMPUTE_PGM_RSRC2:TGID_X_EN: 1
; COMPUTE_PGM_RSRC2:TGID_Y_EN: 0
; COMPUTE_PGM_RSRC2:TGID_Z_EN: 0
; COMPUTE_PGM_RSRC2:TIDIG_COMP_CNT: 0
	.section	.text._ZN2at6native12_GLOBAL__N_125multi_tensor_apply_kernelINS1_18TensorListMetadataILi1EEENS1_11ZeroFunctorIaLi1ELi1ELi0EEEJEEEvT_T0_DpT1_,"axG",@progbits,_ZN2at6native12_GLOBAL__N_125multi_tensor_apply_kernelINS1_18TensorListMetadataILi1EEENS1_11ZeroFunctorIaLi1ELi1ELi0EEEJEEEvT_T0_DpT1_,comdat
	.globl	_ZN2at6native12_GLOBAL__N_125multi_tensor_apply_kernelINS1_18TensorListMetadataILi1EEENS1_11ZeroFunctorIaLi1ELi1ELi0EEEJEEEvT_T0_DpT1_ ; -- Begin function _ZN2at6native12_GLOBAL__N_125multi_tensor_apply_kernelINS1_18TensorListMetadataILi1EEENS1_11ZeroFunctorIaLi1ELi1ELi0EEEJEEEvT_T0_DpT1_
	.p2align	8
	.type	_ZN2at6native12_GLOBAL__N_125multi_tensor_apply_kernelINS1_18TensorListMetadataILi1EEENS1_11ZeroFunctorIaLi1ELi1ELi0EEEJEEEvT_T0_DpT1_,@function
_ZN2at6native12_GLOBAL__N_125multi_tensor_apply_kernelINS1_18TensorListMetadataILi1EEENS1_11ZeroFunctorIaLi1ELi1ELi0EEEJEEEvT_T0_DpT1_: ; @_ZN2at6native12_GLOBAL__N_125multi_tensor_apply_kernelINS1_18TensorListMetadataILi1EEENS1_11ZeroFunctorIaLi1ELi1ELi0EEEJEEEvT_T0_DpT1_
; %bb.0:
	v_mov_b32_e32 v1, s15
	s_add_u32 s2, s0, s15
	s_mul_hi_u32 s3, s15, 3
	s_mul_i32 s15, s15, 3
	s_addc_u32 s4, s1, 0
	global_load_u8 v1, v1, s[0:1] offset:1760
	s_add_u32 s2, s2, s15
	s_addc_u32 s3, s4, s3
	s_load_b32 s2, s[2:3], 0x820
	s_waitcnt vmcnt(0)
	v_readfirstlane_b32 s5, v1
	s_delay_alu instid0(VALU_DEP_1)
	s_lshl_b32 s3, s5, 3
	s_clause 0x1
	s_load_b64 s[6:7], s[0:1], s3 offset:0x0
	s_load_b64 s[4:5], s[0:1], s3 offset:0x370
	s_waitcnt lgkmcnt(0)
	s_ashr_i32 s3, s2, 31
	s_delay_alu instid0(SALU_CYCLE_1) | instskip(NEXT) | instid1(SALU_CYCLE_1)
	s_lshl_b64 s[8:9], s[2:3], 16
	s_add_u32 s10, s6, s8
	s_addc_u32 s11, s7, s9
	s_sub_u32 s2, s4, s8
	s_subb_u32 s3, s5, s9
	s_or_b32 s4, s4, s10
	s_delay_alu instid0(SALU_CYCLE_1) | instskip(NEXT) | instid1(SALU_CYCLE_1)
	s_and_b32 s4, s4, 3
	s_cmp_eq_u32 s4, 0
	s_cbranch_scc1 .LBB353_13
; %bb.1:
	v_cmp_lt_i64_e64 s4, s[2:3], 1
	s_delay_alu instid0(VALU_DEP_1)
	s_and_b32 vcc_lo, exec_lo, s4
	s_cbranch_vccnz .LBB353_12
; %bb.2:
	s_load_b32 s4, s[0:1], 0xd3c
	v_add_co_u32 v12, s5, s8, v0
	s_delay_alu instid0(VALU_DEP_1) | instskip(SKIP_1) | instid1(VALU_DEP_3)
	v_add_co_ci_u32_e64 v13, null, s9, 0, s5
	v_cmp_gt_u64_e64 s5, 0x10000, s[2:3]
	v_add_co_u32 v2, vcc_lo, s6, v12
	s_delay_alu instid0(VALU_DEP_3)
	v_add_co_ci_u32_e32 v3, vcc_lo, s7, v13, vcc_lo
	v_mov_b32_e32 v1, 0
	s_waitcnt lgkmcnt(0)
	s_and_b32 s13, s4, 0xffff
	s_and_b32 s4, s5, exec_lo
	s_mul_i32 s15, s13, 3
	s_cselect_b32 s5, s3, 0
	s_cselect_b32 s4, s2, 0x10000
	s_lshl_b32 s14, s13, 1
	s_lshl_b32 s12, s13, 2
	s_add_u32 s16, s8, s15
	v_add_co_u32 v4, s15, s15, v0
	s_delay_alu instid0(VALU_DEP_1)
	v_add_co_ci_u32_e64 v5, null, 0, 0, s15
	s_addc_u32 s15, s9, 0
	s_add_u32 s16, s6, s16
	s_addc_u32 s15, s7, s15
	s_add_u32 s8, s8, s14
	s_addc_u32 s9, s9, 0
	s_add_u32 s8, s6, s8
	s_addc_u32 s9, s7, s9
	v_add_co_u32 v8, s8, s8, v0
	s_add_u32 s6, s6, s13
	v_add_co_u32 v6, s16, s16, v0
	v_add_co_ci_u32_e64 v9, null, s9, 0, s8
	v_add_co_u32 v10, s8, s14, v0
	s_addc_u32 s7, s7, 0
	v_add_co_u32 v12, vcc_lo, s6, v12
	v_add_co_u32 v14, s6, v0, s13
	v_add_co_ci_u32_e64 v7, null, s15, 0, s16
	v_add_co_ci_u32_e64 v11, null, 0, 0, s8
	v_add_co_ci_u32_e32 v13, vcc_lo, s7, v13, vcc_lo
	v_add_co_ci_u32_e64 v15, null, 0, 0, s6
	s_mov_b64 s[6:7], 0
	s_branch .LBB353_4
.LBB353_3:                              ;   in Loop: Header=BB353_4 Depth=1
	s_or_b32 exec_lo, exec_lo, s8
	s_add_u32 s6, s6, s12
	s_addc_u32 s7, s7, 0
	s_delay_alu instid0(SALU_CYCLE_1) | instskip(SKIP_1) | instid1(VALU_DEP_1)
	v_cmp_lt_i64_e64 s8, s[6:7], s[2:3]
	v_cmp_gt_u64_e64 s9, 0x10000, s[6:7]
	s_and_b32 s8, s8, s9
	s_delay_alu instid0(SALU_CYCLE_1)
	s_and_b32 vcc_lo, exec_lo, s8
	s_cbranch_vccz .LBB353_12
.LBB353_4:                              ; =>This Inner Loop Header: Depth=1
	v_add_co_u32 v16, s8, v0, s6
	s_delay_alu instid0(VALU_DEP_1) | instskip(SKIP_1) | instid1(VALU_DEP_1)
	v_add_co_ci_u32_e64 v17, null, 0, s7, s8
	s_mov_b32 s8, exec_lo
	v_cmpx_gt_u64_e64 s[4:5], v[16:17]
	s_cbranch_execz .LBB353_6
; %bb.5:                                ;   in Loop: Header=BB353_4 Depth=1
	v_add_co_u32 v16, vcc_lo, v2, s6
	v_add_co_ci_u32_e32 v17, vcc_lo, s7, v3, vcc_lo
	global_store_b8 v[16:17], v1, off
.LBB353_6:                              ;   in Loop: Header=BB353_4 Depth=1
	s_or_b32 exec_lo, exec_lo, s8
	v_add_co_u32 v16, vcc_lo, v14, s6
	v_add_co_ci_u32_e32 v17, vcc_lo, s7, v15, vcc_lo
	s_mov_b32 s8, exec_lo
	s_delay_alu instid0(VALU_DEP_1)
	v_cmpx_gt_u64_e64 s[4:5], v[16:17]
	s_cbranch_execz .LBB353_8
; %bb.7:                                ;   in Loop: Header=BB353_4 Depth=1
	v_add_co_u32 v16, vcc_lo, v12, s6
	v_add_co_ci_u32_e32 v17, vcc_lo, s7, v13, vcc_lo
	global_store_b8 v[16:17], v1, off
.LBB353_8:                              ;   in Loop: Header=BB353_4 Depth=1
	s_or_b32 exec_lo, exec_lo, s8
	v_add_co_u32 v16, vcc_lo, v10, s6
	v_add_co_ci_u32_e32 v17, vcc_lo, s7, v11, vcc_lo
	s_mov_b32 s8, exec_lo
	s_delay_alu instid0(VALU_DEP_1)
	v_cmpx_gt_u64_e64 s[4:5], v[16:17]
	s_cbranch_execz .LBB353_10
; %bb.9:                                ;   in Loop: Header=BB353_4 Depth=1
	v_add_co_u32 v16, vcc_lo, v8, s6
	v_add_co_ci_u32_e32 v17, vcc_lo, s7, v9, vcc_lo
	global_store_b8 v[16:17], v1, off
.LBB353_10:                             ;   in Loop: Header=BB353_4 Depth=1
	s_or_b32 exec_lo, exec_lo, s8
	v_add_co_u32 v16, vcc_lo, v4, s6
	v_add_co_ci_u32_e32 v17, vcc_lo, s7, v5, vcc_lo
	s_mov_b32 s8, exec_lo
	s_delay_alu instid0(VALU_DEP_1)
	v_cmpx_gt_u64_e64 s[4:5], v[16:17]
	s_cbranch_execz .LBB353_3
; %bb.11:                               ;   in Loop: Header=BB353_4 Depth=1
	v_add_co_u32 v16, vcc_lo, v6, s6
	v_add_co_ci_u32_e32 v17, vcc_lo, s7, v7, vcc_lo
	global_store_b8 v[16:17], v1, off
	s_branch .LBB353_3
.LBB353_12:
	s_cbranch_execz .LBB353_14
	s_branch .LBB353_17
.LBB353_13:
.LBB353_14:
	v_dual_mov_b32 v1, 0 :: v_dual_lshlrev_b32 v0, 2, v0
	s_mov_b32 s4, exec_lo
	s_delay_alu instid0(VALU_DEP_1)
	v_cmpx_gt_i64_e64 s[2:3], v[0:1]
	s_cbranch_execz .LBB353_17
; %bb.15:
	s_load_b32 s0, s[0:1], 0xd3c
	v_dual_mov_b32 v3, v1 :: v_dual_mov_b32 v2, v0
	s_mov_b32 s4, 0
	s_waitcnt lgkmcnt(0)
	s_and_b32 s0, s0, 0xffff
	s_delay_alu instid0(SALU_CYCLE_1)
	s_lshl_b32 s1, s0, 2
	.p2align	6
.LBB353_16:                             ; =>This Inner Loop Header: Depth=1
	v_add_co_u32 v4, vcc_lo, s10, v2
	v_add_co_ci_u32_e32 v5, vcc_lo, s11, v3, vcc_lo
	v_add_co_u32 v2, vcc_lo, s1, v2
	v_add_co_ci_u32_e32 v3, vcc_lo, 0, v3, vcc_lo
	global_store_b32 v[4:5], v1, off
	v_cmp_le_i64_e32 vcc_lo, s[2:3], v[2:3]
	v_cmp_lt_u64_e64 s0, 0xffff, v[2:3]
	s_delay_alu instid0(VALU_DEP_1) | instskip(NEXT) | instid1(SALU_CYCLE_1)
	s_or_b32 s0, vcc_lo, s0
	s_and_b32 s0, exec_lo, s0
	s_delay_alu instid0(SALU_CYCLE_1) | instskip(NEXT) | instid1(SALU_CYCLE_1)
	s_or_b32 s4, s0, s4
	s_and_not1_b32 exec_lo, exec_lo, s4
	s_cbranch_execnz .LBB353_16
.LBB353_17:
	s_nop 0
	s_sendmsg sendmsg(MSG_DEALLOC_VGPRS)
	s_endpgm
	.section	.rodata,"a",@progbits
	.p2align	6, 0x0
	.amdhsa_kernel _ZN2at6native12_GLOBAL__N_125multi_tensor_apply_kernelINS1_18TensorListMetadataILi1EEENS1_11ZeroFunctorIaLi1ELi1ELi0EEEJEEEvT_T0_DpT1_
		.amdhsa_group_segment_fixed_size 0
		.amdhsa_private_segment_fixed_size 0
		.amdhsa_kernarg_size 3632
		.amdhsa_user_sgpr_count 15
		.amdhsa_user_sgpr_dispatch_ptr 0
		.amdhsa_user_sgpr_queue_ptr 0
		.amdhsa_user_sgpr_kernarg_segment_ptr 1
		.amdhsa_user_sgpr_dispatch_id 0
		.amdhsa_user_sgpr_private_segment_size 0
		.amdhsa_wavefront_size32 1
		.amdhsa_uses_dynamic_stack 0
		.amdhsa_enable_private_segment 0
		.amdhsa_system_sgpr_workgroup_id_x 1
		.amdhsa_system_sgpr_workgroup_id_y 0
		.amdhsa_system_sgpr_workgroup_id_z 0
		.amdhsa_system_sgpr_workgroup_info 0
		.amdhsa_system_vgpr_workitem_id 0
		.amdhsa_next_free_vgpr 18
		.amdhsa_next_free_sgpr 17
		.amdhsa_reserve_vcc 1
		.amdhsa_float_round_mode_32 0
		.amdhsa_float_round_mode_16_64 0
		.amdhsa_float_denorm_mode_32 3
		.amdhsa_float_denorm_mode_16_64 3
		.amdhsa_dx10_clamp 1
		.amdhsa_ieee_mode 1
		.amdhsa_fp16_overflow 0
		.amdhsa_workgroup_processor_mode 1
		.amdhsa_memory_ordered 1
		.amdhsa_forward_progress 0
		.amdhsa_shared_vgpr_count 0
		.amdhsa_exception_fp_ieee_invalid_op 0
		.amdhsa_exception_fp_denorm_src 0
		.amdhsa_exception_fp_ieee_div_zero 0
		.amdhsa_exception_fp_ieee_overflow 0
		.amdhsa_exception_fp_ieee_underflow 0
		.amdhsa_exception_fp_ieee_inexact 0
		.amdhsa_exception_int_div_zero 0
	.end_amdhsa_kernel
	.section	.text._ZN2at6native12_GLOBAL__N_125multi_tensor_apply_kernelINS1_18TensorListMetadataILi1EEENS1_11ZeroFunctorIaLi1ELi1ELi0EEEJEEEvT_T0_DpT1_,"axG",@progbits,_ZN2at6native12_GLOBAL__N_125multi_tensor_apply_kernelINS1_18TensorListMetadataILi1EEENS1_11ZeroFunctorIaLi1ELi1ELi0EEEJEEEvT_T0_DpT1_,comdat
.Lfunc_end353:
	.size	_ZN2at6native12_GLOBAL__N_125multi_tensor_apply_kernelINS1_18TensorListMetadataILi1EEENS1_11ZeroFunctorIaLi1ELi1ELi0EEEJEEEvT_T0_DpT1_, .Lfunc_end353-_ZN2at6native12_GLOBAL__N_125multi_tensor_apply_kernelINS1_18TensorListMetadataILi1EEENS1_11ZeroFunctorIaLi1ELi1ELi0EEEJEEEvT_T0_DpT1_
                                        ; -- End function
	.section	.AMDGPU.csdata,"",@progbits
; Kernel info:
; codeLenInByte = 840
; NumSgprs: 19
; NumVgprs: 18
; ScratchSize: 0
; MemoryBound: 0
; FloatMode: 240
; IeeeMode: 1
; LDSByteSize: 0 bytes/workgroup (compile time only)
; SGPRBlocks: 2
; VGPRBlocks: 2
; NumSGPRsForWavesPerEU: 19
; NumVGPRsForWavesPerEU: 18
; Occupancy: 16
; WaveLimiterHint : 0
; COMPUTE_PGM_RSRC2:SCRATCH_EN: 0
; COMPUTE_PGM_RSRC2:USER_SGPR: 15
; COMPUTE_PGM_RSRC2:TRAP_HANDLER: 0
; COMPUTE_PGM_RSRC2:TGID_X_EN: 1
; COMPUTE_PGM_RSRC2:TGID_Y_EN: 0
; COMPUTE_PGM_RSRC2:TGID_Z_EN: 0
; COMPUTE_PGM_RSRC2:TIDIG_COMP_CNT: 0
	.section	.text._ZN2at6native12_GLOBAL__N_125multi_tensor_apply_kernelINS1_18TensorListMetadataILi1EEENS1_11ZeroFunctorIiLi1ELi1ELi0EEEJEEEvT_T0_DpT1_,"axG",@progbits,_ZN2at6native12_GLOBAL__N_125multi_tensor_apply_kernelINS1_18TensorListMetadataILi1EEENS1_11ZeroFunctorIiLi1ELi1ELi0EEEJEEEvT_T0_DpT1_,comdat
	.globl	_ZN2at6native12_GLOBAL__N_125multi_tensor_apply_kernelINS1_18TensorListMetadataILi1EEENS1_11ZeroFunctorIiLi1ELi1ELi0EEEJEEEvT_T0_DpT1_ ; -- Begin function _ZN2at6native12_GLOBAL__N_125multi_tensor_apply_kernelINS1_18TensorListMetadataILi1EEENS1_11ZeroFunctorIiLi1ELi1ELi0EEEJEEEvT_T0_DpT1_
	.p2align	8
	.type	_ZN2at6native12_GLOBAL__N_125multi_tensor_apply_kernelINS1_18TensorListMetadataILi1EEENS1_11ZeroFunctorIiLi1ELi1ELi0EEEJEEEvT_T0_DpT1_,@function
_ZN2at6native12_GLOBAL__N_125multi_tensor_apply_kernelINS1_18TensorListMetadataILi1EEENS1_11ZeroFunctorIiLi1ELi1ELi0EEEJEEEvT_T0_DpT1_: ; @_ZN2at6native12_GLOBAL__N_125multi_tensor_apply_kernelINS1_18TensorListMetadataILi1EEENS1_11ZeroFunctorIiLi1ELi1ELi0EEEJEEEvT_T0_DpT1_
; %bb.0:
	v_mov_b32_e32 v1, s15
	s_add_u32 s2, s0, s15
	s_mul_hi_u32 s3, s15, 3
	s_mul_i32 s15, s15, 3
	s_addc_u32 s4, s1, 0
	global_load_u8 v1, v1, s[0:1] offset:1760
	s_add_u32 s2, s2, s15
	s_addc_u32 s3, s4, s3
	s_mov_b32 s11, 0
	s_load_b32 s2, s[2:3], 0x820
	s_waitcnt vmcnt(0)
	v_readfirstlane_b32 s5, v1
	s_delay_alu instid0(VALU_DEP_1)
	s_lshl_b32 s3, s5, 3
	s_clause 0x1
	s_load_b64 s[4:5], s[0:1], s3 offset:0x0
	s_load_b64 s[8:9], s[0:1], s3 offset:0x370
	s_waitcnt lgkmcnt(0)
	s_ashr_i32 s3, s2, 31
	s_delay_alu instid0(SALU_CYCLE_1)
	s_lshl_b64 s[6:7], s[2:3], 18
	s_lshl_b64 s[2:3], s[2:3], 16
	s_and_b32 s10, s4, 15
	s_sub_u32 s2, s8, s2
	s_subb_u32 s3, s9, s3
	s_and_b32 s8, s8, 3
	s_mov_b32 s9, s11
	s_delay_alu instid0(SALU_CYCLE_1) | instskip(NEXT) | instid1(SALU_CYCLE_1)
	s_or_b64 s[8:9], s[10:11], s[8:9]
	s_cmp_eq_u64 s[8:9], 0
	s_cbranch_scc1 .LBB354_13
; %bb.1:
	v_cmp_lt_i64_e64 s8, s[2:3], 1
	s_delay_alu instid0(VALU_DEP_1)
	s_and_b32 vcc_lo, exec_lo, s8
	s_cbranch_vccnz .LBB354_12
; %bb.2:
	s_load_b32 s8, s[0:1], 0xd3c
	v_cmp_gt_u64_e64 s9, 0x10000, s[2:3]
	v_lshlrev_b32_e32 v1, 2, v0
	v_mov_b32_e32 v5, 0
	s_waitcnt lgkmcnt(0)
	s_and_b32 s10, s8, 0xffff
	s_delay_alu instid0(VALU_DEP_3)
	s_and_b32 s8, s9, exec_lo
	v_add_co_u32 v6, s13, v0, s10
	s_cselect_b32 s9, s3, 0
	s_cselect_b32 s8, s2, 0x10000
	s_lshl_b32 s11, s10, 1
	s_lshl_b32 s12, s10, 2
	v_lshlrev_b32_e32 v3, 2, v6
	s_add_u32 s15, s4, s6
	v_add_co_u32 v10, s11, s11, v0
	s_mul_i32 s14, s10, 3
	s_addc_u32 s16, s5, s7
	v_add_co_ci_u32_e64 v11, null, 0, 0, s11
	v_add_co_u32 v1, s11, s15, v1
	v_add_co_u32 v8, s14, s14, v0
	v_add_co_ci_u32_e64 v2, null, s16, 0, s11
	v_add_co_u32 v3, s11, s15, v3
	v_add_co_ci_u32_e64 v7, null, 0, 0, s13
	v_add_co_ci_u32_e64 v9, null, 0, 0, s14
	;; [unrolled: 1-line block ×3, first 2 shown]
	s_lshl_b32 s13, s10, 4
	s_mul_i32 s14, s10, 12
	s_lshl_b32 s15, s10, 3
	s_mov_b64 s[10:11], 0
	s_branch .LBB354_4
.LBB354_3:                              ;   in Loop: Header=BB354_4 Depth=1
	s_or_b32 exec_lo, exec_lo, s16
	s_add_u32 s10, s10, s12
	s_addc_u32 s11, s11, 0
	v_add_co_u32 v1, vcc_lo, v1, s13
	v_cmp_lt_i64_e64 s16, s[10:11], s[2:3]
	v_cmp_gt_u64_e64 s17, 0x10000, s[10:11]
	v_add_co_ci_u32_e32 v2, vcc_lo, 0, v2, vcc_lo
	v_add_co_u32 v3, vcc_lo, v3, s13
	v_add_co_ci_u32_e32 v4, vcc_lo, 0, v4, vcc_lo
	s_delay_alu instid0(VALU_DEP_4) | instskip(NEXT) | instid1(SALU_CYCLE_1)
	s_and_b32 s16, s16, s17
	s_and_b32 vcc_lo, exec_lo, s16
	s_cbranch_vccz .LBB354_12
.LBB354_4:                              ; =>This Inner Loop Header: Depth=1
	v_add_co_u32 v12, s16, v0, s10
	s_delay_alu instid0(VALU_DEP_1) | instskip(SKIP_1) | instid1(VALU_DEP_1)
	v_add_co_ci_u32_e64 v13, null, 0, s11, s16
	s_mov_b32 s16, exec_lo
	v_cmpx_gt_u64_e64 s[8:9], v[12:13]
	s_cbranch_execz .LBB354_6
; %bb.5:                                ;   in Loop: Header=BB354_4 Depth=1
	global_store_b32 v[1:2], v5, off
.LBB354_6:                              ;   in Loop: Header=BB354_4 Depth=1
	s_or_b32 exec_lo, exec_lo, s16
	v_add_co_u32 v12, vcc_lo, v6, s10
	v_add_co_ci_u32_e32 v13, vcc_lo, s11, v7, vcc_lo
	s_mov_b32 s16, exec_lo
	s_delay_alu instid0(VALU_DEP_1)
	v_cmpx_gt_u64_e64 s[8:9], v[12:13]
	s_cbranch_execz .LBB354_8
; %bb.7:                                ;   in Loop: Header=BB354_4 Depth=1
	global_store_b32 v[3:4], v5, off
.LBB354_8:                              ;   in Loop: Header=BB354_4 Depth=1
	s_or_b32 exec_lo, exec_lo, s16
	v_add_co_u32 v12, vcc_lo, v10, s10
	v_add_co_ci_u32_e32 v13, vcc_lo, s11, v11, vcc_lo
	s_mov_b32 s16, exec_lo
	s_delay_alu instid0(VALU_DEP_1)
	v_cmpx_gt_u64_e64 s[8:9], v[12:13]
	s_cbranch_execz .LBB354_10
; %bb.9:                                ;   in Loop: Header=BB354_4 Depth=1
	v_add_co_u32 v12, vcc_lo, v1, s15
	v_add_co_ci_u32_e32 v13, vcc_lo, 0, v2, vcc_lo
	global_store_b32 v[12:13], v5, off
.LBB354_10:                             ;   in Loop: Header=BB354_4 Depth=1
	s_or_b32 exec_lo, exec_lo, s16
	v_add_co_u32 v12, vcc_lo, v8, s10
	v_add_co_ci_u32_e32 v13, vcc_lo, s11, v9, vcc_lo
	s_mov_b32 s16, exec_lo
	s_delay_alu instid0(VALU_DEP_1)
	v_cmpx_gt_u64_e64 s[8:9], v[12:13]
	s_cbranch_execz .LBB354_3
; %bb.11:                               ;   in Loop: Header=BB354_4 Depth=1
	v_add_co_u32 v12, vcc_lo, v1, s14
	v_add_co_ci_u32_e32 v13, vcc_lo, 0, v2, vcc_lo
	global_store_b32 v[12:13], v5, off
	s_branch .LBB354_3
.LBB354_12:
	s_cbranch_execz .LBB354_14
	s_branch .LBB354_17
.LBB354_13:
.LBB354_14:
	v_dual_mov_b32 v1, 0 :: v_dual_lshlrev_b32 v2, 2, v0
	s_mov_b32 s8, 0
	s_mov_b32 s9, exec_lo
	s_delay_alu instid0(VALU_DEP_1) | instskip(NEXT) | instid1(VALU_DEP_1)
	v_mov_b32_e32 v3, v1
	v_cmpx_gt_i64_e64 s[2:3], v[2:3]
	s_cbranch_execz .LBB354_17
; %bb.15:
	s_load_b32 s0, s[0:1], 0xd3c
	v_dual_mov_b32 v3, v1 :: v_dual_lshlrev_b32 v4, 4, v0
	v_mov_b32_e32 v6, v1
	v_mov_b32_e32 v2, v1
	s_waitcnt lgkmcnt(0)
	s_and_b32 s0, s0, 0xffff
	s_delay_alu instid0(SALU_CYCLE_1) | instskip(SKIP_3) | instid1(VALU_DEP_1)
	s_lshl_b32 s9, s0, 2
	s_add_u32 s1, s4, s6
	s_addc_u32 s4, s5, s7
	v_add_co_u32 v4, s1, s1, v4
	v_add_co_ci_u32_e64 v8, null, s4, 0, s1
	v_add_lshl_u32 v5, v0, s0, 2
	s_delay_alu instid0(VALU_DEP_3) | instskip(NEXT) | instid1(VALU_DEP_3)
	v_add_co_u32 v7, vcc_lo, v4, 8
	v_add_co_ci_u32_e32 v8, vcc_lo, 0, v8, vcc_lo
	v_mov_b32_e32 v4, v1
	s_lshl_b32 s4, s0, 4
	.p2align	6
.LBB354_16:                             ; =>This Inner Loop Header: Depth=1
	v_cmp_le_i64_e32 vcc_lo, s[2:3], v[5:6]
	v_cmp_lt_u64_e64 s0, 0xffff, v[5:6]
	v_add_co_u32 v5, s1, v5, s9
	s_delay_alu instid0(VALU_DEP_1)
	v_add_co_ci_u32_e64 v6, s1, 0, v6, s1
	global_store_b128 v[7:8], v[1:4], off offset:-8
	v_add_co_u32 v7, s1, v7, s4
	s_or_b32 s0, vcc_lo, s0
	v_add_co_ci_u32_e64 v8, vcc_lo, 0, v8, s1
	s_and_b32 s0, exec_lo, s0
	s_delay_alu instid0(SALU_CYCLE_1) | instskip(NEXT) | instid1(SALU_CYCLE_1)
	s_or_b32 s8, s0, s8
	s_and_not1_b32 exec_lo, exec_lo, s8
	s_cbranch_execnz .LBB354_16
.LBB354_17:
	s_nop 0
	s_sendmsg sendmsg(MSG_DEALLOC_VGPRS)
	s_endpgm
	.section	.rodata,"a",@progbits
	.p2align	6, 0x0
	.amdhsa_kernel _ZN2at6native12_GLOBAL__N_125multi_tensor_apply_kernelINS1_18TensorListMetadataILi1EEENS1_11ZeroFunctorIiLi1ELi1ELi0EEEJEEEvT_T0_DpT1_
		.amdhsa_group_segment_fixed_size 0
		.amdhsa_private_segment_fixed_size 0
		.amdhsa_kernarg_size 3632
		.amdhsa_user_sgpr_count 15
		.amdhsa_user_sgpr_dispatch_ptr 0
		.amdhsa_user_sgpr_queue_ptr 0
		.amdhsa_user_sgpr_kernarg_segment_ptr 1
		.amdhsa_user_sgpr_dispatch_id 0
		.amdhsa_user_sgpr_private_segment_size 0
		.amdhsa_wavefront_size32 1
		.amdhsa_uses_dynamic_stack 0
		.amdhsa_enable_private_segment 0
		.amdhsa_system_sgpr_workgroup_id_x 1
		.amdhsa_system_sgpr_workgroup_id_y 0
		.amdhsa_system_sgpr_workgroup_id_z 0
		.amdhsa_system_sgpr_workgroup_info 0
		.amdhsa_system_vgpr_workitem_id 0
		.amdhsa_next_free_vgpr 14
		.amdhsa_next_free_sgpr 18
		.amdhsa_reserve_vcc 1
		.amdhsa_float_round_mode_32 0
		.amdhsa_float_round_mode_16_64 0
		.amdhsa_float_denorm_mode_32 3
		.amdhsa_float_denorm_mode_16_64 3
		.amdhsa_dx10_clamp 1
		.amdhsa_ieee_mode 1
		.amdhsa_fp16_overflow 0
		.amdhsa_workgroup_processor_mode 1
		.amdhsa_memory_ordered 1
		.amdhsa_forward_progress 0
		.amdhsa_shared_vgpr_count 0
		.amdhsa_exception_fp_ieee_invalid_op 0
		.amdhsa_exception_fp_denorm_src 0
		.amdhsa_exception_fp_ieee_div_zero 0
		.amdhsa_exception_fp_ieee_overflow 0
		.amdhsa_exception_fp_ieee_underflow 0
		.amdhsa_exception_fp_ieee_inexact 0
		.amdhsa_exception_int_div_zero 0
	.end_amdhsa_kernel
	.section	.text._ZN2at6native12_GLOBAL__N_125multi_tensor_apply_kernelINS1_18TensorListMetadataILi1EEENS1_11ZeroFunctorIiLi1ELi1ELi0EEEJEEEvT_T0_DpT1_,"axG",@progbits,_ZN2at6native12_GLOBAL__N_125multi_tensor_apply_kernelINS1_18TensorListMetadataILi1EEENS1_11ZeroFunctorIiLi1ELi1ELi0EEEJEEEvT_T0_DpT1_,comdat
.Lfunc_end354:
	.size	_ZN2at6native12_GLOBAL__N_125multi_tensor_apply_kernelINS1_18TensorListMetadataILi1EEENS1_11ZeroFunctorIiLi1ELi1ELi0EEEJEEEvT_T0_DpT1_, .Lfunc_end354-_ZN2at6native12_GLOBAL__N_125multi_tensor_apply_kernelINS1_18TensorListMetadataILi1EEENS1_11ZeroFunctorIiLi1ELi1ELi0EEEJEEEvT_T0_DpT1_
                                        ; -- End function
	.section	.AMDGPU.csdata,"",@progbits
; Kernel info:
; codeLenInByte = 860
; NumSgprs: 20
; NumVgprs: 14
; ScratchSize: 0
; MemoryBound: 0
; FloatMode: 240
; IeeeMode: 1
; LDSByteSize: 0 bytes/workgroup (compile time only)
; SGPRBlocks: 2
; VGPRBlocks: 1
; NumSGPRsForWavesPerEU: 20
; NumVGPRsForWavesPerEU: 14
; Occupancy: 16
; WaveLimiterHint : 0
; COMPUTE_PGM_RSRC2:SCRATCH_EN: 0
; COMPUTE_PGM_RSRC2:USER_SGPR: 15
; COMPUTE_PGM_RSRC2:TRAP_HANDLER: 0
; COMPUTE_PGM_RSRC2:TGID_X_EN: 1
; COMPUTE_PGM_RSRC2:TGID_Y_EN: 0
; COMPUTE_PGM_RSRC2:TGID_Z_EN: 0
; COMPUTE_PGM_RSRC2:TIDIG_COMP_CNT: 0
	.section	.text._ZN2at6native12_GLOBAL__N_125multi_tensor_apply_kernelINS1_18TensorListMetadataILi1EEENS1_11ZeroFunctorIlLi1ELi1ELi0EEEJEEEvT_T0_DpT1_,"axG",@progbits,_ZN2at6native12_GLOBAL__N_125multi_tensor_apply_kernelINS1_18TensorListMetadataILi1EEENS1_11ZeroFunctorIlLi1ELi1ELi0EEEJEEEvT_T0_DpT1_,comdat
	.globl	_ZN2at6native12_GLOBAL__N_125multi_tensor_apply_kernelINS1_18TensorListMetadataILi1EEENS1_11ZeroFunctorIlLi1ELi1ELi0EEEJEEEvT_T0_DpT1_ ; -- Begin function _ZN2at6native12_GLOBAL__N_125multi_tensor_apply_kernelINS1_18TensorListMetadataILi1EEENS1_11ZeroFunctorIlLi1ELi1ELi0EEEJEEEvT_T0_DpT1_
	.p2align	8
	.type	_ZN2at6native12_GLOBAL__N_125multi_tensor_apply_kernelINS1_18TensorListMetadataILi1EEENS1_11ZeroFunctorIlLi1ELi1ELi0EEEJEEEvT_T0_DpT1_,@function
_ZN2at6native12_GLOBAL__N_125multi_tensor_apply_kernelINS1_18TensorListMetadataILi1EEENS1_11ZeroFunctorIlLi1ELi1ELi0EEEJEEEvT_T0_DpT1_: ; @_ZN2at6native12_GLOBAL__N_125multi_tensor_apply_kernelINS1_18TensorListMetadataILi1EEENS1_11ZeroFunctorIlLi1ELi1ELi0EEEJEEEvT_T0_DpT1_
; %bb.0:
	v_mov_b32_e32 v1, s15
	s_add_u32 s2, s0, s15
	s_mul_hi_u32 s3, s15, 3
	s_mul_i32 s15, s15, 3
	s_addc_u32 s4, s1, 0
	global_load_u8 v1, v1, s[0:1] offset:1760
	s_add_u32 s2, s2, s15
	s_addc_u32 s3, s4, s3
	s_mov_b32 s7, 0
	s_load_b32 s2, s[2:3], 0x820
	s_waitcnt vmcnt(0)
	v_readfirstlane_b32 s5, v1
	s_delay_alu instid0(VALU_DEP_1)
	s_lshl_b32 s3, s5, 3
	s_clause 0x1
	s_load_b64 s[8:9], s[0:1], s3 offset:0x0
	s_load_b64 s[4:5], s[0:1], s3 offset:0x370
	s_waitcnt lgkmcnt(0)
	s_ashr_i32 s3, s2, 31
	s_delay_alu instid0(SALU_CYCLE_1)
	s_lshl_b64 s[10:11], s[2:3], 19
	s_lshl_b64 s[2:3], s[2:3], 16
	s_and_b32 s6, s8, 31
	s_sub_u32 s2, s4, s2
	s_subb_u32 s3, s5, s3
	s_and_b32 s4, s4, 3
	s_mov_b32 s5, s7
	s_delay_alu instid0(SALU_CYCLE_1) | instskip(NEXT) | instid1(SALU_CYCLE_1)
	s_or_b64 s[4:5], s[6:7], s[4:5]
	s_cmp_eq_u64 s[4:5], 0
	s_cbranch_scc1 .LBB355_13
; %bb.1:
	v_cmp_lt_i64_e64 s4, s[2:3], 1
	s_delay_alu instid0(VALU_DEP_1)
	s_and_b32 vcc_lo, exec_lo, s4
	s_cbranch_vccnz .LBB355_12
; %bb.2:
	s_load_b32 s4, s[0:1], 0xd3c
	v_cmp_gt_u64_e64 s5, 0x10000, s[2:3]
	v_dual_mov_b32 v1, 0 :: v_dual_lshlrev_b32 v2, 3, v0
	s_waitcnt lgkmcnt(0)
	s_and_b32 s6, s4, 0xffff
	s_delay_alu instid0(VALU_DEP_2)
	s_and_b32 s4, s5, exec_lo
	v_add_co_u32 v7, s13, v0, s6
	s_cselect_b32 s5, s3, 0
	s_cselect_b32 s4, s2, 0x10000
	s_lshl_b32 s7, s6, 1
	s_lshl_b32 s12, s6, 2
	v_lshlrev_b32_e32 v5, 3, v7
	s_add_u32 s15, s8, s10
	v_add_co_u32 v11, s7, s7, v0
	s_mul_i32 s14, s6, 3
	s_addc_u32 s16, s9, s11
	v_add_co_ci_u32_e64 v12, null, 0, 0, s7
	v_add_co_u32 v3, s7, s15, v2
	v_add_co_u32 v9, s14, s14, v0
	v_add_co_ci_u32_e64 v4, null, s16, 0, s7
	v_add_co_u32 v5, s7, s15, v5
	v_add_co_ci_u32_e64 v8, null, 0, 0, s13
	v_add_co_ci_u32_e64 v10, null, 0, 0, s14
	;; [unrolled: 1-line block ×3, first 2 shown]
	s_lshl_b32 s13, s6, 5
	s_mul_i32 s14, s6, 24
	s_lshl_b32 s15, s6, 4
	s_mov_b64 s[6:7], 0
	s_branch .LBB355_4
.LBB355_3:                              ;   in Loop: Header=BB355_4 Depth=1
	s_or_b32 exec_lo, exec_lo, s16
	s_add_u32 s6, s6, s12
	s_addc_u32 s7, s7, 0
	v_add_co_u32 v3, vcc_lo, v3, s13
	v_cmp_lt_i64_e64 s16, s[6:7], s[2:3]
	v_cmp_gt_u64_e64 s17, 0x10000, s[6:7]
	v_add_co_ci_u32_e32 v4, vcc_lo, 0, v4, vcc_lo
	v_add_co_u32 v5, vcc_lo, v5, s13
	v_add_co_ci_u32_e32 v6, vcc_lo, 0, v6, vcc_lo
	s_delay_alu instid0(VALU_DEP_4) | instskip(NEXT) | instid1(SALU_CYCLE_1)
	s_and_b32 s16, s16, s17
	s_and_b32 vcc_lo, exec_lo, s16
	s_cbranch_vccz .LBB355_12
.LBB355_4:                              ; =>This Inner Loop Header: Depth=1
	v_add_co_u32 v13, s16, v0, s6
	s_delay_alu instid0(VALU_DEP_1) | instskip(SKIP_1) | instid1(VALU_DEP_1)
	v_add_co_ci_u32_e64 v14, null, 0, s7, s16
	s_mov_b32 s16, exec_lo
	v_cmpx_gt_u64_e64 s[4:5], v[13:14]
	s_cbranch_execz .LBB355_6
; %bb.5:                                ;   in Loop: Header=BB355_4 Depth=1
	v_mov_b32_e32 v2, v1
	global_store_b64 v[3:4], v[1:2], off
.LBB355_6:                              ;   in Loop: Header=BB355_4 Depth=1
	s_or_b32 exec_lo, exec_lo, s16
	v_add_co_u32 v13, vcc_lo, v7, s6
	v_add_co_ci_u32_e32 v14, vcc_lo, s7, v8, vcc_lo
	s_mov_b32 s16, exec_lo
	s_delay_alu instid0(VALU_DEP_1)
	v_cmpx_gt_u64_e64 s[4:5], v[13:14]
	s_cbranch_execz .LBB355_8
; %bb.7:                                ;   in Loop: Header=BB355_4 Depth=1
	v_mov_b32_e32 v2, v1
	global_store_b64 v[5:6], v[1:2], off
.LBB355_8:                              ;   in Loop: Header=BB355_4 Depth=1
	s_or_b32 exec_lo, exec_lo, s16
	v_add_co_u32 v13, vcc_lo, v11, s6
	v_add_co_ci_u32_e32 v14, vcc_lo, s7, v12, vcc_lo
	s_mov_b32 s16, exec_lo
	s_delay_alu instid0(VALU_DEP_1)
	v_cmpx_gt_u64_e64 s[4:5], v[13:14]
	s_cbranch_execz .LBB355_10
; %bb.9:                                ;   in Loop: Header=BB355_4 Depth=1
	v_add_co_u32 v13, vcc_lo, v3, s15
	v_add_co_ci_u32_e32 v14, vcc_lo, 0, v4, vcc_lo
	v_mov_b32_e32 v2, v1
	global_store_b64 v[13:14], v[1:2], off
.LBB355_10:                             ;   in Loop: Header=BB355_4 Depth=1
	s_or_b32 exec_lo, exec_lo, s16
	v_add_co_u32 v13, vcc_lo, v9, s6
	v_add_co_ci_u32_e32 v14, vcc_lo, s7, v10, vcc_lo
	s_mov_b32 s16, exec_lo
	s_delay_alu instid0(VALU_DEP_1)
	v_cmpx_gt_u64_e64 s[4:5], v[13:14]
	s_cbranch_execz .LBB355_3
; %bb.11:                               ;   in Loop: Header=BB355_4 Depth=1
	v_add_co_u32 v13, vcc_lo, v3, s14
	v_add_co_ci_u32_e32 v14, vcc_lo, 0, v4, vcc_lo
	v_mov_b32_e32 v2, v1
	global_store_b64 v[13:14], v[1:2], off
	s_branch .LBB355_3
.LBB355_12:
	s_cbranch_execz .LBB355_14
	s_branch .LBB355_17
.LBB355_13:
.LBB355_14:
	v_dual_mov_b32 v5, 0 :: v_dual_lshlrev_b32 v4, 2, v0
	s_mov_b32 s4, 0
	s_mov_b32 s5, exec_lo
	s_delay_alu instid0(VALU_DEP_1)
	v_cmpx_gt_i64_e64 s[2:3], v[4:5]
	s_cbranch_execz .LBB355_17
; %bb.15:
	s_load_b32 s0, s[0:1], 0xd3c
	s_mov_b32 s5, s4
	s_mov_b32 s6, s4
	;; [unrolled: 1-line block ×3, first 2 shown]
	v_lshlrev_b32_e32 v1, 5, v0
	s_waitcnt lgkmcnt(0)
	s_and_b32 s0, s0, 0xffff
	s_delay_alu instid0(SALU_CYCLE_1) | instskip(SKIP_3) | instid1(VALU_DEP_1)
	s_lshl_b32 s12, s0, 2
	s_add_u32 s1, s8, s10
	s_addc_u32 s8, s9, s11
	v_add_co_u32 v1, s1, s1, v1
	v_add_co_ci_u32_e64 v2, null, s8, 0, s1
	v_add_lshl_u32 v4, v0, s0, 2
	s_delay_alu instid0(VALU_DEP_3) | instskip(NEXT) | instid1(VALU_DEP_3)
	v_add_co_u32 v6, vcc_lo, v1, 16
	v_add_co_ci_u32_e32 v7, vcc_lo, 0, v2, vcc_lo
	v_dual_mov_b32 v0, s4 :: v_dual_mov_b32 v1, s5
	v_dual_mov_b32 v2, s6 :: v_dual_mov_b32 v3, s7
	s_lshl_b32 s5, s0, 5
	.p2align	6
.LBB355_16:                             ; =>This Inner Loop Header: Depth=1
	v_cmp_le_i64_e32 vcc_lo, s[2:3], v[4:5]
	v_cmp_lt_u64_e64 s0, 0xffff, v[4:5]
	v_add_co_u32 v4, s1, v4, s12
	s_delay_alu instid0(VALU_DEP_1)
	v_add_co_ci_u32_e64 v5, s1, 0, v5, s1
	s_clause 0x1
	global_store_b128 v[6:7], v[0:3], off offset:-16
	global_store_b128 v[6:7], v[0:3], off
	v_add_co_u32 v6, s1, v6, s5
	s_or_b32 s0, vcc_lo, s0
	v_add_co_ci_u32_e64 v7, vcc_lo, 0, v7, s1
	s_and_b32 s0, exec_lo, s0
	s_delay_alu instid0(SALU_CYCLE_1) | instskip(NEXT) | instid1(SALU_CYCLE_1)
	s_or_b32 s4, s0, s4
	s_and_not1_b32 exec_lo, exec_lo, s4
	s_cbranch_execnz .LBB355_16
.LBB355_17:
	s_nop 0
	s_sendmsg sendmsg(MSG_DEALLOC_VGPRS)
	s_endpgm
	.section	.rodata,"a",@progbits
	.p2align	6, 0x0
	.amdhsa_kernel _ZN2at6native12_GLOBAL__N_125multi_tensor_apply_kernelINS1_18TensorListMetadataILi1EEENS1_11ZeroFunctorIlLi1ELi1ELi0EEEJEEEvT_T0_DpT1_
		.amdhsa_group_segment_fixed_size 0
		.amdhsa_private_segment_fixed_size 0
		.amdhsa_kernarg_size 3632
		.amdhsa_user_sgpr_count 15
		.amdhsa_user_sgpr_dispatch_ptr 0
		.amdhsa_user_sgpr_queue_ptr 0
		.amdhsa_user_sgpr_kernarg_segment_ptr 1
		.amdhsa_user_sgpr_dispatch_id 0
		.amdhsa_user_sgpr_private_segment_size 0
		.amdhsa_wavefront_size32 1
		.amdhsa_uses_dynamic_stack 0
		.amdhsa_enable_private_segment 0
		.amdhsa_system_sgpr_workgroup_id_x 1
		.amdhsa_system_sgpr_workgroup_id_y 0
		.amdhsa_system_sgpr_workgroup_id_z 0
		.amdhsa_system_sgpr_workgroup_info 0
		.amdhsa_system_vgpr_workitem_id 0
		.amdhsa_next_free_vgpr 15
		.amdhsa_next_free_sgpr 18
		.amdhsa_reserve_vcc 1
		.amdhsa_float_round_mode_32 0
		.amdhsa_float_round_mode_16_64 0
		.amdhsa_float_denorm_mode_32 3
		.amdhsa_float_denorm_mode_16_64 3
		.amdhsa_dx10_clamp 1
		.amdhsa_ieee_mode 1
		.amdhsa_fp16_overflow 0
		.amdhsa_workgroup_processor_mode 1
		.amdhsa_memory_ordered 1
		.amdhsa_forward_progress 0
		.amdhsa_shared_vgpr_count 0
		.amdhsa_exception_fp_ieee_invalid_op 0
		.amdhsa_exception_fp_denorm_src 0
		.amdhsa_exception_fp_ieee_div_zero 0
		.amdhsa_exception_fp_ieee_overflow 0
		.amdhsa_exception_fp_ieee_underflow 0
		.amdhsa_exception_fp_ieee_inexact 0
		.amdhsa_exception_int_div_zero 0
	.end_amdhsa_kernel
	.section	.text._ZN2at6native12_GLOBAL__N_125multi_tensor_apply_kernelINS1_18TensorListMetadataILi1EEENS1_11ZeroFunctorIlLi1ELi1ELi0EEEJEEEvT_T0_DpT1_,"axG",@progbits,_ZN2at6native12_GLOBAL__N_125multi_tensor_apply_kernelINS1_18TensorListMetadataILi1EEENS1_11ZeroFunctorIlLi1ELi1ELi0EEEJEEEvT_T0_DpT1_,comdat
.Lfunc_end355:
	.size	_ZN2at6native12_GLOBAL__N_125multi_tensor_apply_kernelINS1_18TensorListMetadataILi1EEENS1_11ZeroFunctorIlLi1ELi1ELi0EEEJEEEvT_T0_DpT1_, .Lfunc_end355-_ZN2at6native12_GLOBAL__N_125multi_tensor_apply_kernelINS1_18TensorListMetadataILi1EEENS1_11ZeroFunctorIlLi1ELi1ELi0EEEJEEEvT_T0_DpT1_
                                        ; -- End function
	.section	.AMDGPU.csdata,"",@progbits
; Kernel info:
; codeLenInByte = 896
; NumSgprs: 20
; NumVgprs: 15
; ScratchSize: 0
; MemoryBound: 0
; FloatMode: 240
; IeeeMode: 1
; LDSByteSize: 0 bytes/workgroup (compile time only)
; SGPRBlocks: 2
; VGPRBlocks: 1
; NumSGPRsForWavesPerEU: 20
; NumVGPRsForWavesPerEU: 15
; Occupancy: 16
; WaveLimiterHint : 0
; COMPUTE_PGM_RSRC2:SCRATCH_EN: 0
; COMPUTE_PGM_RSRC2:USER_SGPR: 15
; COMPUTE_PGM_RSRC2:TRAP_HANDLER: 0
; COMPUTE_PGM_RSRC2:TGID_X_EN: 1
; COMPUTE_PGM_RSRC2:TGID_Y_EN: 0
; COMPUTE_PGM_RSRC2:TGID_Z_EN: 0
; COMPUTE_PGM_RSRC2:TIDIG_COMP_CNT: 0
	.section	.text._ZN2at6native12_GLOBAL__N_125multi_tensor_apply_kernelINS1_18TensorListMetadataILi1EEENS1_11ZeroFunctorIsLi1ELi1ELi0EEEJEEEvT_T0_DpT1_,"axG",@progbits,_ZN2at6native12_GLOBAL__N_125multi_tensor_apply_kernelINS1_18TensorListMetadataILi1EEENS1_11ZeroFunctorIsLi1ELi1ELi0EEEJEEEvT_T0_DpT1_,comdat
	.globl	_ZN2at6native12_GLOBAL__N_125multi_tensor_apply_kernelINS1_18TensorListMetadataILi1EEENS1_11ZeroFunctorIsLi1ELi1ELi0EEEJEEEvT_T0_DpT1_ ; -- Begin function _ZN2at6native12_GLOBAL__N_125multi_tensor_apply_kernelINS1_18TensorListMetadataILi1EEENS1_11ZeroFunctorIsLi1ELi1ELi0EEEJEEEvT_T0_DpT1_
	.p2align	8
	.type	_ZN2at6native12_GLOBAL__N_125multi_tensor_apply_kernelINS1_18TensorListMetadataILi1EEENS1_11ZeroFunctorIsLi1ELi1ELi0EEEJEEEvT_T0_DpT1_,@function
_ZN2at6native12_GLOBAL__N_125multi_tensor_apply_kernelINS1_18TensorListMetadataILi1EEENS1_11ZeroFunctorIsLi1ELi1ELi0EEEJEEEvT_T0_DpT1_: ; @_ZN2at6native12_GLOBAL__N_125multi_tensor_apply_kernelINS1_18TensorListMetadataILi1EEENS1_11ZeroFunctorIsLi1ELi1ELi0EEEJEEEvT_T0_DpT1_
; %bb.0:
	v_mov_b32_e32 v1, s15
	s_add_u32 s2, s0, s15
	s_mul_hi_u32 s3, s15, 3
	s_mul_i32 s15, s15, 3
	s_addc_u32 s4, s1, 0
	global_load_u8 v1, v1, s[0:1] offset:1760
	s_add_u32 s2, s2, s15
	s_addc_u32 s3, s4, s3
	s_mov_b32 s11, 0
	s_load_b32 s2, s[2:3], 0x820
	s_waitcnt vmcnt(0)
	v_readfirstlane_b32 s5, v1
	s_delay_alu instid0(VALU_DEP_1)
	s_lshl_b32 s3, s5, 3
	s_clause 0x1
	s_load_b64 s[4:5], s[0:1], s3 offset:0x0
	s_load_b64 s[8:9], s[0:1], s3 offset:0x370
	s_waitcnt lgkmcnt(0)
	s_ashr_i32 s3, s2, 31
	s_delay_alu instid0(SALU_CYCLE_1)
	s_lshl_b64 s[6:7], s[2:3], 17
	s_lshl_b64 s[2:3], s[2:3], 16
	s_and_b32 s10, s4, 7
	s_sub_u32 s2, s8, s2
	s_subb_u32 s3, s9, s3
	s_and_b32 s8, s8, 3
	s_mov_b32 s9, s11
	s_delay_alu instid0(SALU_CYCLE_1) | instskip(NEXT) | instid1(SALU_CYCLE_1)
	s_or_b64 s[8:9], s[10:11], s[8:9]
	s_cmp_eq_u64 s[8:9], 0
	s_cbranch_scc1 .LBB356_13
; %bb.1:
	v_cmp_lt_i64_e64 s8, s[2:3], 1
	s_delay_alu instid0(VALU_DEP_1)
	s_and_b32 vcc_lo, exec_lo, s8
	s_cbranch_vccnz .LBB356_12
; %bb.2:
	s_load_b32 s8, s[0:1], 0xd3c
	v_cmp_gt_u64_e64 s9, 0x10000, s[2:3]
	v_lshlrev_b32_e32 v1, 1, v0
	v_mov_b32_e32 v5, 0
	s_waitcnt lgkmcnt(0)
	s_and_b32 s10, s8, 0xffff
	s_delay_alu instid0(VALU_DEP_3)
	s_and_b32 s8, s9, exec_lo
	v_add_co_u32 v6, s14, v0, s10
	s_cselect_b32 s9, s3, 0
	s_cselect_b32 s8, s2, 0x10000
	s_lshl_b32 s11, s10, 1
	s_lshl_b32 s12, s10, 2
	v_lshlrev_b32_e32 v3, 1, v6
	v_add_co_ci_u32_e64 v7, null, 0, 0, s14
	s_add_u32 s14, s4, s6
	v_add_co_u32 v10, s11, s11, v0
	s_mul_i32 s13, s10, 3
	s_addc_u32 s15, s5, s7
	v_add_co_ci_u32_e64 v11, null, 0, 0, s11
	v_add_co_u32 v1, s11, s14, v1
	v_add_co_u32 v8, s13, s13, v0
	v_add_co_ci_u32_e64 v2, null, s15, 0, s11
	v_add_co_u32 v3, s11, s14, v3
	v_add_co_ci_u32_e64 v9, null, 0, 0, s13
	v_add_co_ci_u32_e64 v4, null, s15, 0, s11
	s_lshl_b32 s13, s10, 3
	s_mul_i32 s14, s10, 6
	s_mov_b64 s[10:11], 0
	s_branch .LBB356_4
.LBB356_3:                              ;   in Loop: Header=BB356_4 Depth=1
	s_or_b32 exec_lo, exec_lo, s15
	s_add_u32 s10, s10, s12
	s_addc_u32 s11, s11, 0
	v_add_co_u32 v1, vcc_lo, v1, s13
	v_cmp_lt_i64_e64 s15, s[10:11], s[2:3]
	v_cmp_gt_u64_e64 s16, 0x10000, s[10:11]
	v_add_co_ci_u32_e32 v2, vcc_lo, 0, v2, vcc_lo
	v_add_co_u32 v3, vcc_lo, v3, s13
	v_add_co_ci_u32_e32 v4, vcc_lo, 0, v4, vcc_lo
	s_delay_alu instid0(VALU_DEP_4) | instskip(NEXT) | instid1(SALU_CYCLE_1)
	s_and_b32 s15, s15, s16
	s_and_b32 vcc_lo, exec_lo, s15
	s_cbranch_vccz .LBB356_12
.LBB356_4:                              ; =>This Inner Loop Header: Depth=1
	v_add_co_u32 v12, s15, v0, s10
	s_delay_alu instid0(VALU_DEP_1) | instskip(SKIP_1) | instid1(VALU_DEP_1)
	v_add_co_ci_u32_e64 v13, null, 0, s11, s15
	s_mov_b32 s15, exec_lo
	v_cmpx_gt_u64_e64 s[8:9], v[12:13]
	s_cbranch_execz .LBB356_6
; %bb.5:                                ;   in Loop: Header=BB356_4 Depth=1
	global_store_b16 v[1:2], v5, off
.LBB356_6:                              ;   in Loop: Header=BB356_4 Depth=1
	s_or_b32 exec_lo, exec_lo, s15
	v_add_co_u32 v12, vcc_lo, v6, s10
	v_add_co_ci_u32_e32 v13, vcc_lo, s11, v7, vcc_lo
	s_mov_b32 s15, exec_lo
	s_delay_alu instid0(VALU_DEP_1)
	v_cmpx_gt_u64_e64 s[8:9], v[12:13]
	s_cbranch_execz .LBB356_8
; %bb.7:                                ;   in Loop: Header=BB356_4 Depth=1
	global_store_b16 v[3:4], v5, off
.LBB356_8:                              ;   in Loop: Header=BB356_4 Depth=1
	s_or_b32 exec_lo, exec_lo, s15
	v_add_co_u32 v12, vcc_lo, v10, s10
	v_add_co_ci_u32_e32 v13, vcc_lo, s11, v11, vcc_lo
	s_mov_b32 s15, exec_lo
	s_delay_alu instid0(VALU_DEP_1)
	v_cmpx_gt_u64_e64 s[8:9], v[12:13]
	s_cbranch_execz .LBB356_10
; %bb.9:                                ;   in Loop: Header=BB356_4 Depth=1
	v_add_co_u32 v12, vcc_lo, v1, s12
	v_add_co_ci_u32_e32 v13, vcc_lo, 0, v2, vcc_lo
	global_store_b16 v[12:13], v5, off
.LBB356_10:                             ;   in Loop: Header=BB356_4 Depth=1
	s_or_b32 exec_lo, exec_lo, s15
	v_add_co_u32 v12, vcc_lo, v8, s10
	v_add_co_ci_u32_e32 v13, vcc_lo, s11, v9, vcc_lo
	s_mov_b32 s15, exec_lo
	s_delay_alu instid0(VALU_DEP_1)
	v_cmpx_gt_u64_e64 s[8:9], v[12:13]
	s_cbranch_execz .LBB356_3
; %bb.11:                               ;   in Loop: Header=BB356_4 Depth=1
	v_add_co_u32 v12, vcc_lo, v1, s14
	v_add_co_ci_u32_e32 v13, vcc_lo, 0, v2, vcc_lo
	global_store_b16 v[12:13], v5, off
	s_branch .LBB356_3
.LBB356_12:
	s_cbranch_execz .LBB356_14
	s_branch .LBB356_17
.LBB356_13:
.LBB356_14:
	v_dual_mov_b32 v1, 0 :: v_dual_lshlrev_b32 v2, 2, v0
	s_mov_b32 s8, 0
	s_mov_b32 s9, exec_lo
	s_delay_alu instid0(VALU_DEP_1) | instskip(NEXT) | instid1(VALU_DEP_1)
	v_mov_b32_e32 v3, v1
	v_cmpx_gt_i64_e64 s[2:3], v[2:3]
	s_cbranch_execz .LBB356_17
; %bb.15:
	s_load_b32 s0, s[0:1], 0xd3c
	v_lshlrev_b32_e32 v2, 3, v0
	v_mov_b32_e32 v4, v1
	s_waitcnt lgkmcnt(0)
	s_and_b32 s0, s0, 0xffff
	s_add_u32 s1, s4, s6
	s_addc_u32 s4, s5, s7
	v_add_co_u32 v5, s1, s1, v2
	v_add_lshl_u32 v3, v0, s0, 2
	v_add_co_ci_u32_e64 v6, null, s4, 0, s1
	v_mov_b32_e32 v2, v1
	s_lshl_b32 s4, s0, 3
	s_lshl_b32 s5, s0, 2
	.p2align	6
.LBB356_16:                             ; =>This Inner Loop Header: Depth=1
	v_cmp_le_i64_e32 vcc_lo, s[2:3], v[3:4]
	v_cmp_lt_u64_e64 s0, 0xffff, v[3:4]
	global_store_b64 v[5:6], v[1:2], off
	v_add_co_u32 v5, s1, v5, s4
	s_delay_alu instid0(VALU_DEP_1) | instskip(SKIP_4) | instid1(SALU_CYCLE_1)
	v_add_co_ci_u32_e64 v6, s1, 0, v6, s1
	v_add_co_u32 v3, s1, v3, s5
	s_or_b32 s0, vcc_lo, s0
	v_add_co_ci_u32_e64 v4, vcc_lo, 0, v4, s1
	s_and_b32 s0, exec_lo, s0
	s_or_b32 s8, s0, s8
	s_delay_alu instid0(SALU_CYCLE_1)
	s_and_not1_b32 exec_lo, exec_lo, s8
	s_cbranch_execnz .LBB356_16
.LBB356_17:
	s_nop 0
	s_sendmsg sendmsg(MSG_DEALLOC_VGPRS)
	s_endpgm
	.section	.rodata,"a",@progbits
	.p2align	6, 0x0
	.amdhsa_kernel _ZN2at6native12_GLOBAL__N_125multi_tensor_apply_kernelINS1_18TensorListMetadataILi1EEENS1_11ZeroFunctorIsLi1ELi1ELi0EEEJEEEvT_T0_DpT1_
		.amdhsa_group_segment_fixed_size 0
		.amdhsa_private_segment_fixed_size 0
		.amdhsa_kernarg_size 3632
		.amdhsa_user_sgpr_count 15
		.amdhsa_user_sgpr_dispatch_ptr 0
		.amdhsa_user_sgpr_queue_ptr 0
		.amdhsa_user_sgpr_kernarg_segment_ptr 1
		.amdhsa_user_sgpr_dispatch_id 0
		.amdhsa_user_sgpr_private_segment_size 0
		.amdhsa_wavefront_size32 1
		.amdhsa_uses_dynamic_stack 0
		.amdhsa_enable_private_segment 0
		.amdhsa_system_sgpr_workgroup_id_x 1
		.amdhsa_system_sgpr_workgroup_id_y 0
		.amdhsa_system_sgpr_workgroup_id_z 0
		.amdhsa_system_sgpr_workgroup_info 0
		.amdhsa_system_vgpr_workitem_id 0
		.amdhsa_next_free_vgpr 14
		.amdhsa_next_free_sgpr 17
		.amdhsa_reserve_vcc 1
		.amdhsa_float_round_mode_32 0
		.amdhsa_float_round_mode_16_64 0
		.amdhsa_float_denorm_mode_32 3
		.amdhsa_float_denorm_mode_16_64 3
		.amdhsa_dx10_clamp 1
		.amdhsa_ieee_mode 1
		.amdhsa_fp16_overflow 0
		.amdhsa_workgroup_processor_mode 1
		.amdhsa_memory_ordered 1
		.amdhsa_forward_progress 0
		.amdhsa_shared_vgpr_count 0
		.amdhsa_exception_fp_ieee_invalid_op 0
		.amdhsa_exception_fp_denorm_src 0
		.amdhsa_exception_fp_ieee_div_zero 0
		.amdhsa_exception_fp_ieee_overflow 0
		.amdhsa_exception_fp_ieee_underflow 0
		.amdhsa_exception_fp_ieee_inexact 0
		.amdhsa_exception_int_div_zero 0
	.end_amdhsa_kernel
	.section	.text._ZN2at6native12_GLOBAL__N_125multi_tensor_apply_kernelINS1_18TensorListMetadataILi1EEENS1_11ZeroFunctorIsLi1ELi1ELi0EEEJEEEvT_T0_DpT1_,"axG",@progbits,_ZN2at6native12_GLOBAL__N_125multi_tensor_apply_kernelINS1_18TensorListMetadataILi1EEENS1_11ZeroFunctorIsLi1ELi1ELi0EEEJEEEvT_T0_DpT1_,comdat
.Lfunc_end356:
	.size	_ZN2at6native12_GLOBAL__N_125multi_tensor_apply_kernelINS1_18TensorListMetadataILi1EEENS1_11ZeroFunctorIsLi1ELi1ELi0EEEJEEEvT_T0_DpT1_, .Lfunc_end356-_ZN2at6native12_GLOBAL__N_125multi_tensor_apply_kernelINS1_18TensorListMetadataILi1EEENS1_11ZeroFunctorIsLi1ELi1ELi0EEEJEEEvT_T0_DpT1_
                                        ; -- End function
	.section	.AMDGPU.csdata,"",@progbits
; Kernel info:
; codeLenInByte = 828
; NumSgprs: 19
; NumVgprs: 14
; ScratchSize: 0
; MemoryBound: 0
; FloatMode: 240
; IeeeMode: 1
; LDSByteSize: 0 bytes/workgroup (compile time only)
; SGPRBlocks: 2
; VGPRBlocks: 1
; NumSGPRsForWavesPerEU: 19
; NumVGPRsForWavesPerEU: 14
; Occupancy: 16
; WaveLimiterHint : 0
; COMPUTE_PGM_RSRC2:SCRATCH_EN: 0
; COMPUTE_PGM_RSRC2:USER_SGPR: 15
; COMPUTE_PGM_RSRC2:TRAP_HANDLER: 0
; COMPUTE_PGM_RSRC2:TGID_X_EN: 1
; COMPUTE_PGM_RSRC2:TGID_Y_EN: 0
; COMPUTE_PGM_RSRC2:TGID_Z_EN: 0
; COMPUTE_PGM_RSRC2:TIDIG_COMP_CNT: 0
	.section	.text._ZN2at6native12_GLOBAL__N_125multi_tensor_apply_kernelINS1_18TensorListMetadataILi1EEENS1_11ZeroFunctorIdLi1ELi1ELi0EEEJEEEvT_T0_DpT1_,"axG",@progbits,_ZN2at6native12_GLOBAL__N_125multi_tensor_apply_kernelINS1_18TensorListMetadataILi1EEENS1_11ZeroFunctorIdLi1ELi1ELi0EEEJEEEvT_T0_DpT1_,comdat
	.globl	_ZN2at6native12_GLOBAL__N_125multi_tensor_apply_kernelINS1_18TensorListMetadataILi1EEENS1_11ZeroFunctorIdLi1ELi1ELi0EEEJEEEvT_T0_DpT1_ ; -- Begin function _ZN2at6native12_GLOBAL__N_125multi_tensor_apply_kernelINS1_18TensorListMetadataILi1EEENS1_11ZeroFunctorIdLi1ELi1ELi0EEEJEEEvT_T0_DpT1_
	.p2align	8
	.type	_ZN2at6native12_GLOBAL__N_125multi_tensor_apply_kernelINS1_18TensorListMetadataILi1EEENS1_11ZeroFunctorIdLi1ELi1ELi0EEEJEEEvT_T0_DpT1_,@function
_ZN2at6native12_GLOBAL__N_125multi_tensor_apply_kernelINS1_18TensorListMetadataILi1EEENS1_11ZeroFunctorIdLi1ELi1ELi0EEEJEEEvT_T0_DpT1_: ; @_ZN2at6native12_GLOBAL__N_125multi_tensor_apply_kernelINS1_18TensorListMetadataILi1EEENS1_11ZeroFunctorIdLi1ELi1ELi0EEEJEEEvT_T0_DpT1_
; %bb.0:
	v_mov_b32_e32 v1, s15
	s_add_u32 s2, s0, s15
	s_mul_hi_u32 s3, s15, 3
	s_mul_i32 s15, s15, 3
	s_addc_u32 s4, s1, 0
	global_load_u8 v1, v1, s[0:1] offset:1760
	s_add_u32 s2, s2, s15
	s_addc_u32 s3, s4, s3
	s_mov_b32 s7, 0
	s_load_b32 s2, s[2:3], 0x820
	s_waitcnt vmcnt(0)
	v_readfirstlane_b32 s5, v1
	s_delay_alu instid0(VALU_DEP_1)
	s_lshl_b32 s3, s5, 3
	s_clause 0x1
	s_load_b64 s[8:9], s[0:1], s3 offset:0x0
	s_load_b64 s[4:5], s[0:1], s3 offset:0x370
	s_waitcnt lgkmcnt(0)
	s_ashr_i32 s3, s2, 31
	s_delay_alu instid0(SALU_CYCLE_1)
	s_lshl_b64 s[10:11], s[2:3], 19
	s_lshl_b64 s[2:3], s[2:3], 16
	s_and_b32 s6, s8, 31
	s_sub_u32 s2, s4, s2
	s_subb_u32 s3, s5, s3
	s_and_b32 s4, s4, 3
	s_mov_b32 s5, s7
	s_delay_alu instid0(SALU_CYCLE_1) | instskip(NEXT) | instid1(SALU_CYCLE_1)
	s_or_b64 s[4:5], s[6:7], s[4:5]
	s_cmp_eq_u64 s[4:5], 0
	s_cbranch_scc1 .LBB357_13
; %bb.1:
	v_cmp_lt_i64_e64 s4, s[2:3], 1
	s_delay_alu instid0(VALU_DEP_1)
	s_and_b32 vcc_lo, exec_lo, s4
	s_cbranch_vccnz .LBB357_12
; %bb.2:
	s_load_b32 s4, s[0:1], 0xd3c
	v_cmp_gt_u64_e64 s5, 0x10000, s[2:3]
	v_dual_mov_b32 v1, 0 :: v_dual_lshlrev_b32 v2, 3, v0
	s_waitcnt lgkmcnt(0)
	s_and_b32 s6, s4, 0xffff
	s_delay_alu instid0(VALU_DEP_2)
	s_and_b32 s4, s5, exec_lo
	v_add_co_u32 v7, s13, v0, s6
	s_cselect_b32 s5, s3, 0
	s_cselect_b32 s4, s2, 0x10000
	s_lshl_b32 s7, s6, 1
	s_lshl_b32 s12, s6, 2
	v_lshlrev_b32_e32 v5, 3, v7
	s_add_u32 s15, s8, s10
	v_add_co_u32 v11, s7, s7, v0
	s_mul_i32 s14, s6, 3
	s_addc_u32 s16, s9, s11
	v_add_co_ci_u32_e64 v12, null, 0, 0, s7
	v_add_co_u32 v3, s7, s15, v2
	v_add_co_u32 v9, s14, s14, v0
	v_add_co_ci_u32_e64 v4, null, s16, 0, s7
	v_add_co_u32 v5, s7, s15, v5
	v_add_co_ci_u32_e64 v8, null, 0, 0, s13
	v_add_co_ci_u32_e64 v10, null, 0, 0, s14
	;; [unrolled: 1-line block ×3, first 2 shown]
	s_lshl_b32 s13, s6, 5
	s_mul_i32 s14, s6, 24
	s_lshl_b32 s15, s6, 4
	s_mov_b64 s[6:7], 0
	s_branch .LBB357_4
.LBB357_3:                              ;   in Loop: Header=BB357_4 Depth=1
	s_or_b32 exec_lo, exec_lo, s16
	s_add_u32 s6, s6, s12
	s_addc_u32 s7, s7, 0
	v_add_co_u32 v3, vcc_lo, v3, s13
	v_cmp_lt_i64_e64 s16, s[6:7], s[2:3]
	v_cmp_gt_u64_e64 s17, 0x10000, s[6:7]
	v_add_co_ci_u32_e32 v4, vcc_lo, 0, v4, vcc_lo
	v_add_co_u32 v5, vcc_lo, v5, s13
	v_add_co_ci_u32_e32 v6, vcc_lo, 0, v6, vcc_lo
	s_delay_alu instid0(VALU_DEP_4) | instskip(NEXT) | instid1(SALU_CYCLE_1)
	s_and_b32 s16, s16, s17
	s_and_b32 vcc_lo, exec_lo, s16
	s_cbranch_vccz .LBB357_12
.LBB357_4:                              ; =>This Inner Loop Header: Depth=1
	v_add_co_u32 v13, s16, v0, s6
	s_delay_alu instid0(VALU_DEP_1) | instskip(SKIP_1) | instid1(VALU_DEP_1)
	v_add_co_ci_u32_e64 v14, null, 0, s7, s16
	s_mov_b32 s16, exec_lo
	v_cmpx_gt_u64_e64 s[4:5], v[13:14]
	s_cbranch_execz .LBB357_6
; %bb.5:                                ;   in Loop: Header=BB357_4 Depth=1
	v_mov_b32_e32 v2, v1
	global_store_b64 v[3:4], v[1:2], off
.LBB357_6:                              ;   in Loop: Header=BB357_4 Depth=1
	s_or_b32 exec_lo, exec_lo, s16
	v_add_co_u32 v13, vcc_lo, v7, s6
	v_add_co_ci_u32_e32 v14, vcc_lo, s7, v8, vcc_lo
	s_mov_b32 s16, exec_lo
	s_delay_alu instid0(VALU_DEP_1)
	v_cmpx_gt_u64_e64 s[4:5], v[13:14]
	s_cbranch_execz .LBB357_8
; %bb.7:                                ;   in Loop: Header=BB357_4 Depth=1
	v_mov_b32_e32 v2, v1
	global_store_b64 v[5:6], v[1:2], off
.LBB357_8:                              ;   in Loop: Header=BB357_4 Depth=1
	s_or_b32 exec_lo, exec_lo, s16
	v_add_co_u32 v13, vcc_lo, v11, s6
	v_add_co_ci_u32_e32 v14, vcc_lo, s7, v12, vcc_lo
	s_mov_b32 s16, exec_lo
	s_delay_alu instid0(VALU_DEP_1)
	v_cmpx_gt_u64_e64 s[4:5], v[13:14]
	s_cbranch_execz .LBB357_10
; %bb.9:                                ;   in Loop: Header=BB357_4 Depth=1
	v_add_co_u32 v13, vcc_lo, v3, s15
	v_add_co_ci_u32_e32 v14, vcc_lo, 0, v4, vcc_lo
	v_mov_b32_e32 v2, v1
	global_store_b64 v[13:14], v[1:2], off
.LBB357_10:                             ;   in Loop: Header=BB357_4 Depth=1
	s_or_b32 exec_lo, exec_lo, s16
	v_add_co_u32 v13, vcc_lo, v9, s6
	v_add_co_ci_u32_e32 v14, vcc_lo, s7, v10, vcc_lo
	s_mov_b32 s16, exec_lo
	s_delay_alu instid0(VALU_DEP_1)
	v_cmpx_gt_u64_e64 s[4:5], v[13:14]
	s_cbranch_execz .LBB357_3
; %bb.11:                               ;   in Loop: Header=BB357_4 Depth=1
	v_add_co_u32 v13, vcc_lo, v3, s14
	v_add_co_ci_u32_e32 v14, vcc_lo, 0, v4, vcc_lo
	v_mov_b32_e32 v2, v1
	global_store_b64 v[13:14], v[1:2], off
	s_branch .LBB357_3
.LBB357_12:
	s_cbranch_execz .LBB357_14
	s_branch .LBB357_17
.LBB357_13:
.LBB357_14:
	v_dual_mov_b32 v5, 0 :: v_dual_lshlrev_b32 v4, 2, v0
	s_mov_b32 s4, 0
	s_mov_b32 s5, exec_lo
	s_delay_alu instid0(VALU_DEP_1)
	v_cmpx_gt_i64_e64 s[2:3], v[4:5]
	s_cbranch_execz .LBB357_17
; %bb.15:
	s_load_b32 s0, s[0:1], 0xd3c
	s_mov_b32 s5, s4
	s_mov_b32 s6, s4
	s_mov_b32 s7, s4
	v_lshlrev_b32_e32 v1, 5, v0
	s_waitcnt lgkmcnt(0)
	s_and_b32 s0, s0, 0xffff
	s_delay_alu instid0(SALU_CYCLE_1) | instskip(SKIP_3) | instid1(VALU_DEP_1)
	s_lshl_b32 s12, s0, 2
	s_add_u32 s1, s8, s10
	s_addc_u32 s8, s9, s11
	v_add_co_u32 v1, s1, s1, v1
	v_add_co_ci_u32_e64 v2, null, s8, 0, s1
	v_add_lshl_u32 v4, v0, s0, 2
	s_delay_alu instid0(VALU_DEP_3) | instskip(NEXT) | instid1(VALU_DEP_3)
	v_add_co_u32 v6, vcc_lo, v1, 16
	v_add_co_ci_u32_e32 v7, vcc_lo, 0, v2, vcc_lo
	v_dual_mov_b32 v0, s4 :: v_dual_mov_b32 v1, s5
	v_dual_mov_b32 v2, s6 :: v_dual_mov_b32 v3, s7
	s_lshl_b32 s5, s0, 5
	.p2align	6
.LBB357_16:                             ; =>This Inner Loop Header: Depth=1
	v_cmp_le_i64_e32 vcc_lo, s[2:3], v[4:5]
	v_cmp_lt_u64_e64 s0, 0xffff, v[4:5]
	v_add_co_u32 v4, s1, v4, s12
	s_delay_alu instid0(VALU_DEP_1)
	v_add_co_ci_u32_e64 v5, s1, 0, v5, s1
	s_clause 0x1
	global_store_b128 v[6:7], v[0:3], off offset:-16
	global_store_b128 v[6:7], v[0:3], off
	v_add_co_u32 v6, s1, v6, s5
	s_or_b32 s0, vcc_lo, s0
	v_add_co_ci_u32_e64 v7, vcc_lo, 0, v7, s1
	s_and_b32 s0, exec_lo, s0
	s_delay_alu instid0(SALU_CYCLE_1) | instskip(NEXT) | instid1(SALU_CYCLE_1)
	s_or_b32 s4, s0, s4
	s_and_not1_b32 exec_lo, exec_lo, s4
	s_cbranch_execnz .LBB357_16
.LBB357_17:
	s_nop 0
	s_sendmsg sendmsg(MSG_DEALLOC_VGPRS)
	s_endpgm
	.section	.rodata,"a",@progbits
	.p2align	6, 0x0
	.amdhsa_kernel _ZN2at6native12_GLOBAL__N_125multi_tensor_apply_kernelINS1_18TensorListMetadataILi1EEENS1_11ZeroFunctorIdLi1ELi1ELi0EEEJEEEvT_T0_DpT1_
		.amdhsa_group_segment_fixed_size 0
		.amdhsa_private_segment_fixed_size 0
		.amdhsa_kernarg_size 3632
		.amdhsa_user_sgpr_count 15
		.amdhsa_user_sgpr_dispatch_ptr 0
		.amdhsa_user_sgpr_queue_ptr 0
		.amdhsa_user_sgpr_kernarg_segment_ptr 1
		.amdhsa_user_sgpr_dispatch_id 0
		.amdhsa_user_sgpr_private_segment_size 0
		.amdhsa_wavefront_size32 1
		.amdhsa_uses_dynamic_stack 0
		.amdhsa_enable_private_segment 0
		.amdhsa_system_sgpr_workgroup_id_x 1
		.amdhsa_system_sgpr_workgroup_id_y 0
		.amdhsa_system_sgpr_workgroup_id_z 0
		.amdhsa_system_sgpr_workgroup_info 0
		.amdhsa_system_vgpr_workitem_id 0
		.amdhsa_next_free_vgpr 15
		.amdhsa_next_free_sgpr 18
		.amdhsa_reserve_vcc 1
		.amdhsa_float_round_mode_32 0
		.amdhsa_float_round_mode_16_64 0
		.amdhsa_float_denorm_mode_32 3
		.amdhsa_float_denorm_mode_16_64 3
		.amdhsa_dx10_clamp 1
		.amdhsa_ieee_mode 1
		.amdhsa_fp16_overflow 0
		.amdhsa_workgroup_processor_mode 1
		.amdhsa_memory_ordered 1
		.amdhsa_forward_progress 0
		.amdhsa_shared_vgpr_count 0
		.amdhsa_exception_fp_ieee_invalid_op 0
		.amdhsa_exception_fp_denorm_src 0
		.amdhsa_exception_fp_ieee_div_zero 0
		.amdhsa_exception_fp_ieee_overflow 0
		.amdhsa_exception_fp_ieee_underflow 0
		.amdhsa_exception_fp_ieee_inexact 0
		.amdhsa_exception_int_div_zero 0
	.end_amdhsa_kernel
	.section	.text._ZN2at6native12_GLOBAL__N_125multi_tensor_apply_kernelINS1_18TensorListMetadataILi1EEENS1_11ZeroFunctorIdLi1ELi1ELi0EEEJEEEvT_T0_DpT1_,"axG",@progbits,_ZN2at6native12_GLOBAL__N_125multi_tensor_apply_kernelINS1_18TensorListMetadataILi1EEENS1_11ZeroFunctorIdLi1ELi1ELi0EEEJEEEvT_T0_DpT1_,comdat
.Lfunc_end357:
	.size	_ZN2at6native12_GLOBAL__N_125multi_tensor_apply_kernelINS1_18TensorListMetadataILi1EEENS1_11ZeroFunctorIdLi1ELi1ELi0EEEJEEEvT_T0_DpT1_, .Lfunc_end357-_ZN2at6native12_GLOBAL__N_125multi_tensor_apply_kernelINS1_18TensorListMetadataILi1EEENS1_11ZeroFunctorIdLi1ELi1ELi0EEEJEEEvT_T0_DpT1_
                                        ; -- End function
	.section	.AMDGPU.csdata,"",@progbits
; Kernel info:
; codeLenInByte = 896
; NumSgprs: 20
; NumVgprs: 15
; ScratchSize: 0
; MemoryBound: 0
; FloatMode: 240
; IeeeMode: 1
; LDSByteSize: 0 bytes/workgroup (compile time only)
; SGPRBlocks: 2
; VGPRBlocks: 1
; NumSGPRsForWavesPerEU: 20
; NumVGPRsForWavesPerEU: 15
; Occupancy: 16
; WaveLimiterHint : 0
; COMPUTE_PGM_RSRC2:SCRATCH_EN: 0
; COMPUTE_PGM_RSRC2:USER_SGPR: 15
; COMPUTE_PGM_RSRC2:TRAP_HANDLER: 0
; COMPUTE_PGM_RSRC2:TGID_X_EN: 1
; COMPUTE_PGM_RSRC2:TGID_Y_EN: 0
; COMPUTE_PGM_RSRC2:TGID_Z_EN: 0
; COMPUTE_PGM_RSRC2:TIDIG_COMP_CNT: 0
	.section	.text._ZN2at6native12_GLOBAL__N_125multi_tensor_apply_kernelINS1_18TensorListMetadataILi1EEENS1_11ZeroFunctorIfLi1ELi1ELi0EEEJEEEvT_T0_DpT1_,"axG",@progbits,_ZN2at6native12_GLOBAL__N_125multi_tensor_apply_kernelINS1_18TensorListMetadataILi1EEENS1_11ZeroFunctorIfLi1ELi1ELi0EEEJEEEvT_T0_DpT1_,comdat
	.globl	_ZN2at6native12_GLOBAL__N_125multi_tensor_apply_kernelINS1_18TensorListMetadataILi1EEENS1_11ZeroFunctorIfLi1ELi1ELi0EEEJEEEvT_T0_DpT1_ ; -- Begin function _ZN2at6native12_GLOBAL__N_125multi_tensor_apply_kernelINS1_18TensorListMetadataILi1EEENS1_11ZeroFunctorIfLi1ELi1ELi0EEEJEEEvT_T0_DpT1_
	.p2align	8
	.type	_ZN2at6native12_GLOBAL__N_125multi_tensor_apply_kernelINS1_18TensorListMetadataILi1EEENS1_11ZeroFunctorIfLi1ELi1ELi0EEEJEEEvT_T0_DpT1_,@function
_ZN2at6native12_GLOBAL__N_125multi_tensor_apply_kernelINS1_18TensorListMetadataILi1EEENS1_11ZeroFunctorIfLi1ELi1ELi0EEEJEEEvT_T0_DpT1_: ; @_ZN2at6native12_GLOBAL__N_125multi_tensor_apply_kernelINS1_18TensorListMetadataILi1EEENS1_11ZeroFunctorIfLi1ELi1ELi0EEEJEEEvT_T0_DpT1_
; %bb.0:
	v_mov_b32_e32 v1, s15
	s_add_u32 s2, s0, s15
	s_mul_hi_u32 s3, s15, 3
	s_mul_i32 s15, s15, 3
	s_addc_u32 s4, s1, 0
	global_load_u8 v1, v1, s[0:1] offset:1760
	s_add_u32 s2, s2, s15
	s_addc_u32 s3, s4, s3
	s_mov_b32 s11, 0
	s_load_b32 s2, s[2:3], 0x820
	s_waitcnt vmcnt(0)
	v_readfirstlane_b32 s5, v1
	s_delay_alu instid0(VALU_DEP_1)
	s_lshl_b32 s3, s5, 3
	s_clause 0x1
	s_load_b64 s[4:5], s[0:1], s3 offset:0x0
	s_load_b64 s[8:9], s[0:1], s3 offset:0x370
	s_waitcnt lgkmcnt(0)
	s_ashr_i32 s3, s2, 31
	s_delay_alu instid0(SALU_CYCLE_1)
	s_lshl_b64 s[6:7], s[2:3], 18
	s_lshl_b64 s[2:3], s[2:3], 16
	s_and_b32 s10, s4, 15
	s_sub_u32 s2, s8, s2
	s_subb_u32 s3, s9, s3
	s_and_b32 s8, s8, 3
	s_mov_b32 s9, s11
	s_delay_alu instid0(SALU_CYCLE_1) | instskip(NEXT) | instid1(SALU_CYCLE_1)
	s_or_b64 s[8:9], s[10:11], s[8:9]
	s_cmp_eq_u64 s[8:9], 0
	s_cbranch_scc1 .LBB358_13
; %bb.1:
	v_cmp_lt_i64_e64 s8, s[2:3], 1
	s_delay_alu instid0(VALU_DEP_1)
	s_and_b32 vcc_lo, exec_lo, s8
	s_cbranch_vccnz .LBB358_12
; %bb.2:
	s_load_b32 s8, s[0:1], 0xd3c
	v_cmp_gt_u64_e64 s9, 0x10000, s[2:3]
	v_lshlrev_b32_e32 v1, 2, v0
	v_mov_b32_e32 v5, 0
	s_waitcnt lgkmcnt(0)
	s_and_b32 s10, s8, 0xffff
	s_delay_alu instid0(VALU_DEP_3)
	s_and_b32 s8, s9, exec_lo
	v_add_co_u32 v6, s13, v0, s10
	s_cselect_b32 s9, s3, 0
	s_cselect_b32 s8, s2, 0x10000
	s_lshl_b32 s11, s10, 1
	s_lshl_b32 s12, s10, 2
	v_lshlrev_b32_e32 v3, 2, v6
	s_add_u32 s15, s4, s6
	v_add_co_u32 v10, s11, s11, v0
	s_mul_i32 s14, s10, 3
	s_addc_u32 s16, s5, s7
	v_add_co_ci_u32_e64 v11, null, 0, 0, s11
	v_add_co_u32 v1, s11, s15, v1
	v_add_co_u32 v8, s14, s14, v0
	v_add_co_ci_u32_e64 v2, null, s16, 0, s11
	v_add_co_u32 v3, s11, s15, v3
	v_add_co_ci_u32_e64 v7, null, 0, 0, s13
	v_add_co_ci_u32_e64 v9, null, 0, 0, s14
	;; [unrolled: 1-line block ×3, first 2 shown]
	s_lshl_b32 s13, s10, 4
	s_mul_i32 s14, s10, 12
	s_lshl_b32 s15, s10, 3
	s_mov_b64 s[10:11], 0
	s_branch .LBB358_4
.LBB358_3:                              ;   in Loop: Header=BB358_4 Depth=1
	s_or_b32 exec_lo, exec_lo, s16
	s_add_u32 s10, s10, s12
	s_addc_u32 s11, s11, 0
	v_add_co_u32 v1, vcc_lo, v1, s13
	v_cmp_lt_i64_e64 s16, s[10:11], s[2:3]
	v_cmp_gt_u64_e64 s17, 0x10000, s[10:11]
	v_add_co_ci_u32_e32 v2, vcc_lo, 0, v2, vcc_lo
	v_add_co_u32 v3, vcc_lo, v3, s13
	v_add_co_ci_u32_e32 v4, vcc_lo, 0, v4, vcc_lo
	s_delay_alu instid0(VALU_DEP_4) | instskip(NEXT) | instid1(SALU_CYCLE_1)
	s_and_b32 s16, s16, s17
	s_and_b32 vcc_lo, exec_lo, s16
	s_cbranch_vccz .LBB358_12
.LBB358_4:                              ; =>This Inner Loop Header: Depth=1
	v_add_co_u32 v12, s16, v0, s10
	s_delay_alu instid0(VALU_DEP_1) | instskip(SKIP_1) | instid1(VALU_DEP_1)
	v_add_co_ci_u32_e64 v13, null, 0, s11, s16
	s_mov_b32 s16, exec_lo
	v_cmpx_gt_u64_e64 s[8:9], v[12:13]
	s_cbranch_execz .LBB358_6
; %bb.5:                                ;   in Loop: Header=BB358_4 Depth=1
	global_store_b32 v[1:2], v5, off
.LBB358_6:                              ;   in Loop: Header=BB358_4 Depth=1
	s_or_b32 exec_lo, exec_lo, s16
	v_add_co_u32 v12, vcc_lo, v6, s10
	v_add_co_ci_u32_e32 v13, vcc_lo, s11, v7, vcc_lo
	s_mov_b32 s16, exec_lo
	s_delay_alu instid0(VALU_DEP_1)
	v_cmpx_gt_u64_e64 s[8:9], v[12:13]
	s_cbranch_execz .LBB358_8
; %bb.7:                                ;   in Loop: Header=BB358_4 Depth=1
	global_store_b32 v[3:4], v5, off
.LBB358_8:                              ;   in Loop: Header=BB358_4 Depth=1
	s_or_b32 exec_lo, exec_lo, s16
	v_add_co_u32 v12, vcc_lo, v10, s10
	v_add_co_ci_u32_e32 v13, vcc_lo, s11, v11, vcc_lo
	s_mov_b32 s16, exec_lo
	s_delay_alu instid0(VALU_DEP_1)
	v_cmpx_gt_u64_e64 s[8:9], v[12:13]
	s_cbranch_execz .LBB358_10
; %bb.9:                                ;   in Loop: Header=BB358_4 Depth=1
	v_add_co_u32 v12, vcc_lo, v1, s15
	v_add_co_ci_u32_e32 v13, vcc_lo, 0, v2, vcc_lo
	global_store_b32 v[12:13], v5, off
.LBB358_10:                             ;   in Loop: Header=BB358_4 Depth=1
	s_or_b32 exec_lo, exec_lo, s16
	v_add_co_u32 v12, vcc_lo, v8, s10
	v_add_co_ci_u32_e32 v13, vcc_lo, s11, v9, vcc_lo
	s_mov_b32 s16, exec_lo
	s_delay_alu instid0(VALU_DEP_1)
	v_cmpx_gt_u64_e64 s[8:9], v[12:13]
	s_cbranch_execz .LBB358_3
; %bb.11:                               ;   in Loop: Header=BB358_4 Depth=1
	v_add_co_u32 v12, vcc_lo, v1, s14
	v_add_co_ci_u32_e32 v13, vcc_lo, 0, v2, vcc_lo
	global_store_b32 v[12:13], v5, off
	s_branch .LBB358_3
.LBB358_12:
	s_cbranch_execz .LBB358_14
	s_branch .LBB358_17
.LBB358_13:
.LBB358_14:
	v_dual_mov_b32 v1, 0 :: v_dual_lshlrev_b32 v2, 2, v0
	s_mov_b32 s8, 0
	s_mov_b32 s9, exec_lo
	s_delay_alu instid0(VALU_DEP_1) | instskip(NEXT) | instid1(VALU_DEP_1)
	v_mov_b32_e32 v3, v1
	v_cmpx_gt_i64_e64 s[2:3], v[2:3]
	s_cbranch_execz .LBB358_17
; %bb.15:
	s_load_b32 s0, s[0:1], 0xd3c
	v_dual_mov_b32 v3, v1 :: v_dual_lshlrev_b32 v4, 4, v0
	v_mov_b32_e32 v6, v1
	v_mov_b32_e32 v2, v1
	s_waitcnt lgkmcnt(0)
	s_and_b32 s0, s0, 0xffff
	s_delay_alu instid0(SALU_CYCLE_1) | instskip(SKIP_3) | instid1(VALU_DEP_1)
	s_lshl_b32 s9, s0, 2
	s_add_u32 s1, s4, s6
	s_addc_u32 s4, s5, s7
	v_add_co_u32 v4, s1, s1, v4
	v_add_co_ci_u32_e64 v8, null, s4, 0, s1
	v_add_lshl_u32 v5, v0, s0, 2
	s_delay_alu instid0(VALU_DEP_3) | instskip(NEXT) | instid1(VALU_DEP_3)
	v_add_co_u32 v7, vcc_lo, v4, 8
	v_add_co_ci_u32_e32 v8, vcc_lo, 0, v8, vcc_lo
	v_mov_b32_e32 v4, v1
	s_lshl_b32 s4, s0, 4
	.p2align	6
.LBB358_16:                             ; =>This Inner Loop Header: Depth=1
	v_cmp_le_i64_e32 vcc_lo, s[2:3], v[5:6]
	v_cmp_lt_u64_e64 s0, 0xffff, v[5:6]
	v_add_co_u32 v5, s1, v5, s9
	s_delay_alu instid0(VALU_DEP_1)
	v_add_co_ci_u32_e64 v6, s1, 0, v6, s1
	global_store_b128 v[7:8], v[1:4], off offset:-8
	v_add_co_u32 v7, s1, v7, s4
	s_or_b32 s0, vcc_lo, s0
	v_add_co_ci_u32_e64 v8, vcc_lo, 0, v8, s1
	s_and_b32 s0, exec_lo, s0
	s_delay_alu instid0(SALU_CYCLE_1) | instskip(NEXT) | instid1(SALU_CYCLE_1)
	s_or_b32 s8, s0, s8
	s_and_not1_b32 exec_lo, exec_lo, s8
	s_cbranch_execnz .LBB358_16
.LBB358_17:
	s_nop 0
	s_sendmsg sendmsg(MSG_DEALLOC_VGPRS)
	s_endpgm
	.section	.rodata,"a",@progbits
	.p2align	6, 0x0
	.amdhsa_kernel _ZN2at6native12_GLOBAL__N_125multi_tensor_apply_kernelINS1_18TensorListMetadataILi1EEENS1_11ZeroFunctorIfLi1ELi1ELi0EEEJEEEvT_T0_DpT1_
		.amdhsa_group_segment_fixed_size 0
		.amdhsa_private_segment_fixed_size 0
		.amdhsa_kernarg_size 3632
		.amdhsa_user_sgpr_count 15
		.amdhsa_user_sgpr_dispatch_ptr 0
		.amdhsa_user_sgpr_queue_ptr 0
		.amdhsa_user_sgpr_kernarg_segment_ptr 1
		.amdhsa_user_sgpr_dispatch_id 0
		.amdhsa_user_sgpr_private_segment_size 0
		.amdhsa_wavefront_size32 1
		.amdhsa_uses_dynamic_stack 0
		.amdhsa_enable_private_segment 0
		.amdhsa_system_sgpr_workgroup_id_x 1
		.amdhsa_system_sgpr_workgroup_id_y 0
		.amdhsa_system_sgpr_workgroup_id_z 0
		.amdhsa_system_sgpr_workgroup_info 0
		.amdhsa_system_vgpr_workitem_id 0
		.amdhsa_next_free_vgpr 14
		.amdhsa_next_free_sgpr 18
		.amdhsa_reserve_vcc 1
		.amdhsa_float_round_mode_32 0
		.amdhsa_float_round_mode_16_64 0
		.amdhsa_float_denorm_mode_32 3
		.amdhsa_float_denorm_mode_16_64 3
		.amdhsa_dx10_clamp 1
		.amdhsa_ieee_mode 1
		.amdhsa_fp16_overflow 0
		.amdhsa_workgroup_processor_mode 1
		.amdhsa_memory_ordered 1
		.amdhsa_forward_progress 0
		.amdhsa_shared_vgpr_count 0
		.amdhsa_exception_fp_ieee_invalid_op 0
		.amdhsa_exception_fp_denorm_src 0
		.amdhsa_exception_fp_ieee_div_zero 0
		.amdhsa_exception_fp_ieee_overflow 0
		.amdhsa_exception_fp_ieee_underflow 0
		.amdhsa_exception_fp_ieee_inexact 0
		.amdhsa_exception_int_div_zero 0
	.end_amdhsa_kernel
	.section	.text._ZN2at6native12_GLOBAL__N_125multi_tensor_apply_kernelINS1_18TensorListMetadataILi1EEENS1_11ZeroFunctorIfLi1ELi1ELi0EEEJEEEvT_T0_DpT1_,"axG",@progbits,_ZN2at6native12_GLOBAL__N_125multi_tensor_apply_kernelINS1_18TensorListMetadataILi1EEENS1_11ZeroFunctorIfLi1ELi1ELi0EEEJEEEvT_T0_DpT1_,comdat
.Lfunc_end358:
	.size	_ZN2at6native12_GLOBAL__N_125multi_tensor_apply_kernelINS1_18TensorListMetadataILi1EEENS1_11ZeroFunctorIfLi1ELi1ELi0EEEJEEEvT_T0_DpT1_, .Lfunc_end358-_ZN2at6native12_GLOBAL__N_125multi_tensor_apply_kernelINS1_18TensorListMetadataILi1EEENS1_11ZeroFunctorIfLi1ELi1ELi0EEEJEEEvT_T0_DpT1_
                                        ; -- End function
	.section	.AMDGPU.csdata,"",@progbits
; Kernel info:
; codeLenInByte = 860
; NumSgprs: 20
; NumVgprs: 14
; ScratchSize: 0
; MemoryBound: 0
; FloatMode: 240
; IeeeMode: 1
; LDSByteSize: 0 bytes/workgroup (compile time only)
; SGPRBlocks: 2
; VGPRBlocks: 1
; NumSGPRsForWavesPerEU: 20
; NumVGPRsForWavesPerEU: 14
; Occupancy: 16
; WaveLimiterHint : 0
; COMPUTE_PGM_RSRC2:SCRATCH_EN: 0
; COMPUTE_PGM_RSRC2:USER_SGPR: 15
; COMPUTE_PGM_RSRC2:TRAP_HANDLER: 0
; COMPUTE_PGM_RSRC2:TGID_X_EN: 1
; COMPUTE_PGM_RSRC2:TGID_Y_EN: 0
; COMPUTE_PGM_RSRC2:TGID_Z_EN: 0
; COMPUTE_PGM_RSRC2:TIDIG_COMP_CNT: 0
	.section	.text._ZN2at6native12_GLOBAL__N_125multi_tensor_apply_kernelINS1_18TensorListMetadataILi1EEENS1_11ZeroFunctorIN3c107complexIdEELi1ELi1ELi0EEEJEEEvT_T0_DpT1_,"axG",@progbits,_ZN2at6native12_GLOBAL__N_125multi_tensor_apply_kernelINS1_18TensorListMetadataILi1EEENS1_11ZeroFunctorIN3c107complexIdEELi1ELi1ELi0EEEJEEEvT_T0_DpT1_,comdat
	.globl	_ZN2at6native12_GLOBAL__N_125multi_tensor_apply_kernelINS1_18TensorListMetadataILi1EEENS1_11ZeroFunctorIN3c107complexIdEELi1ELi1ELi0EEEJEEEvT_T0_DpT1_ ; -- Begin function _ZN2at6native12_GLOBAL__N_125multi_tensor_apply_kernelINS1_18TensorListMetadataILi1EEENS1_11ZeroFunctorIN3c107complexIdEELi1ELi1ELi0EEEJEEEvT_T0_DpT1_
	.p2align	8
	.type	_ZN2at6native12_GLOBAL__N_125multi_tensor_apply_kernelINS1_18TensorListMetadataILi1EEENS1_11ZeroFunctorIN3c107complexIdEELi1ELi1ELi0EEEJEEEvT_T0_DpT1_,@function
_ZN2at6native12_GLOBAL__N_125multi_tensor_apply_kernelINS1_18TensorListMetadataILi1EEENS1_11ZeroFunctorIN3c107complexIdEELi1ELi1ELi0EEEJEEEvT_T0_DpT1_: ; @_ZN2at6native12_GLOBAL__N_125multi_tensor_apply_kernelINS1_18TensorListMetadataILi1EEENS1_11ZeroFunctorIN3c107complexIdEELi1ELi1ELi0EEEJEEEvT_T0_DpT1_
; %bb.0:
	v_mov_b32_e32 v1, s15
	s_add_u32 s2, s0, s15
	s_mul_hi_u32 s3, s15, 3
	s_mul_i32 s15, s15, 3
	s_addc_u32 s4, s1, 0
	global_load_u8 v1, v1, s[0:1] offset:1760
	s_add_u32 s2, s2, s15
	s_addc_u32 s3, s4, s3
	s_mov_b32 s7, 0
	s_load_b32 s2, s[2:3], 0x820
	s_waitcnt vmcnt(0)
	v_readfirstlane_b32 s5, v1
	s_delay_alu instid0(VALU_DEP_1)
	s_lshl_b32 s3, s5, 3
	s_clause 0x1
	s_load_b64 s[8:9], s[0:1], s3 offset:0x0
	s_load_b64 s[4:5], s[0:1], s3 offset:0x370
	s_waitcnt lgkmcnt(0)
	s_ashr_i32 s3, s2, 31
	s_delay_alu instid0(SALU_CYCLE_1) | instskip(NEXT) | instid1(SALU_CYCLE_1)
	s_lshl_b64 s[10:11], s[2:3], 20
	s_add_u32 s12, s8, s10
	s_addc_u32 s13, s9, s11
	s_lshl_b64 s[2:3], s[2:3], 16
	s_and_b32 s6, s12, 63
	s_sub_u32 s2, s4, s2
	s_subb_u32 s3, s5, s3
	s_and_b32 s4, s4, 3
	s_mov_b32 s5, s7
	s_delay_alu instid0(SALU_CYCLE_1) | instskip(NEXT) | instid1(SALU_CYCLE_1)
	s_or_b64 s[4:5], s[6:7], s[4:5]
	s_cmp_eq_u64 s[4:5], 0
	s_cbranch_scc1 .LBB359_13
; %bb.1:
	v_cmp_lt_i64_e64 s4, s[2:3], 1
	s_delay_alu instid0(VALU_DEP_1)
	s_and_b32 vcc_lo, exec_lo, s4
	s_cbranch_vccnz .LBB359_12
; %bb.2:
	s_load_b32 s4, s[0:1], 0xd3c
	v_mov_b32_e32 v1, 0
	v_cmp_gt_u64_e64 s5, 0x10000, s[2:3]
	s_delay_alu instid0(VALU_DEP_2) | instskip(SKIP_2) | instid1(VALU_DEP_2)
	v_dual_mov_b32 v6, v1 :: v_dual_lshlrev_b32 v5, 4, v0
	s_waitcnt lgkmcnt(0)
	s_and_b32 s6, s4, 0xffff
	s_and_b32 s4, s5, exec_lo
	v_add_co_u32 v9, s15, v0, s6
	v_mad_u64_u32 v[7:8], null, s6, 48, v[5:6]
	s_cselect_b32 s5, s3, 0
	s_cselect_b32 s4, s2, 0x10000
	v_add_co_ci_u32_e64 v10, null, 0, 0, s15
	s_lshl_b32 s15, s6, 5
	s_lshl_b32 s7, s6, 1
	v_add_co_u32 v2, s15, s15, v5
	s_mul_i32 s14, s6, 3
	v_add_co_u32 v15, s7, s7, v0
	v_add_co_u32 v6, s14, s14, v0
	s_delay_alu instid0(VALU_DEP_1)
	v_add_co_ci_u32_e64 v11, null, 0, 0, s14
	v_add_co_ci_u32_e64 v12, null, 0, 0, s15
	v_lshlrev_b32_e32 v13, 4, v9
	v_or_b32_e32 v14, 8, v2
	v_or_b32_e32 v7, 8, v7
	v_add_co_ci_u32_e64 v16, null, 0, 0, s7
	s_lshl_b32 s14, s6, 2
	s_lshl_b32 s15, s6, 6
	s_mov_b64 s[6:7], 0
	s_branch .LBB359_4
.LBB359_3:                              ;   in Loop: Header=BB359_4 Depth=1
	s_or_b32 exec_lo, exec_lo, s16
	s_add_u32 s6, s6, s14
	s_addc_u32 s7, s7, 0
	s_delay_alu instid0(SALU_CYCLE_1) | instskip(SKIP_1) | instid1(VALU_DEP_1)
	v_cmp_lt_i64_e64 s16, s[6:7], s[2:3]
	v_cmp_gt_u64_e64 s17, 0x10000, s[6:7]
	s_and_b32 s16, s16, s17
	s_add_u32 s12, s12, s15
	s_addc_u32 s13, s13, 0
	s_and_b32 vcc_lo, exec_lo, s16
	s_cbranch_vccz .LBB359_12
.LBB359_4:                              ; =>This Inner Loop Header: Depth=1
	v_add_co_u32 v2, s16, v0, s6
	s_delay_alu instid0(VALU_DEP_1) | instskip(SKIP_1) | instid1(VALU_DEP_1)
	v_add_co_ci_u32_e64 v3, null, 0, s7, s16
	s_mov_b32 s16, exec_lo
	v_cmpx_gt_u64_e64 s[4:5], v[2:3]
	s_cbranch_execz .LBB359_6
; %bb.5:                                ;   in Loop: Header=BB359_4 Depth=1
	v_add_co_u32 v17, s17, s12, v5
	s_delay_alu instid0(VALU_DEP_1)
	v_add_co_ci_u32_e64 v18, null, s13, 0, s17
	v_mov_b32_e32 v2, v1
	v_mov_b32_e32 v3, v1
	;; [unrolled: 1-line block ×3, first 2 shown]
	global_store_b128 v[17:18], v[1:4], off
.LBB359_6:                              ;   in Loop: Header=BB359_4 Depth=1
	s_or_b32 exec_lo, exec_lo, s16
	v_add_co_u32 v2, vcc_lo, v9, s6
	v_add_co_ci_u32_e32 v3, vcc_lo, s7, v10, vcc_lo
	s_mov_b32 s16, exec_lo
	s_delay_alu instid0(VALU_DEP_1)
	v_cmpx_gt_u64_e64 s[4:5], v[2:3]
	s_cbranch_execz .LBB359_8
; %bb.7:                                ;   in Loop: Header=BB359_4 Depth=1
	v_add_co_u32 v17, s17, s12, v13
	s_delay_alu instid0(VALU_DEP_1)
	v_add_co_ci_u32_e64 v18, null, s13, 0, s17
	v_mov_b32_e32 v2, v1
	v_mov_b32_e32 v3, v1
	;; [unrolled: 1-line block ×3, first 2 shown]
	global_store_b128 v[17:18], v[1:4], off
.LBB359_8:                              ;   in Loop: Header=BB359_4 Depth=1
	s_or_b32 exec_lo, exec_lo, s16
	v_add_co_u32 v2, vcc_lo, v15, s6
	v_add_co_ci_u32_e32 v3, vcc_lo, s7, v16, vcc_lo
	s_mov_b32 s16, exec_lo
	s_delay_alu instid0(VALU_DEP_1)
	v_cmpx_gt_u64_e64 s[4:5], v[2:3]
	s_cbranch_execz .LBB359_10
; %bb.9:                                ;   in Loop: Header=BB359_4 Depth=1
	v_add_co_u32 v17, vcc_lo, s12, v14
	v_add_co_ci_u32_e32 v18, vcc_lo, s13, v12, vcc_lo
	v_mov_b32_e32 v2, v1
	v_mov_b32_e32 v3, v1
	;; [unrolled: 1-line block ×3, first 2 shown]
	global_store_b128 v[17:18], v[1:4], off offset:-8
.LBB359_10:                             ;   in Loop: Header=BB359_4 Depth=1
	s_or_b32 exec_lo, exec_lo, s16
	v_add_co_u32 v2, vcc_lo, v6, s6
	v_add_co_ci_u32_e32 v3, vcc_lo, s7, v11, vcc_lo
	s_mov_b32 s16, exec_lo
	s_delay_alu instid0(VALU_DEP_1)
	v_cmpx_gt_u64_e64 s[4:5], v[2:3]
	s_cbranch_execz .LBB359_3
; %bb.11:                               ;   in Loop: Header=BB359_4 Depth=1
	v_add_co_u32 v17, vcc_lo, s12, v7
	v_add_co_ci_u32_e32 v18, vcc_lo, s13, v8, vcc_lo
	v_mov_b32_e32 v2, v1
	v_mov_b32_e32 v3, v1
	;; [unrolled: 1-line block ×3, first 2 shown]
	global_store_b128 v[17:18], v[1:4], off offset:-8
	s_branch .LBB359_3
.LBB359_12:
	s_cbranch_execz .LBB359_14
	s_branch .LBB359_17
.LBB359_13:
.LBB359_14:
	v_dual_mov_b32 v5, 0 :: v_dual_lshlrev_b32 v4, 2, v0
	s_mov_b32 s4, 0
	s_mov_b32 s5, exec_lo
	s_delay_alu instid0(VALU_DEP_1)
	v_cmpx_gt_i64_e64 s[2:3], v[4:5]
	s_cbranch_execz .LBB359_17
; %bb.15:
	s_load_b32 s0, s[0:1], 0xd3c
	s_mov_b32 s5, s4
	s_mov_b32 s6, s4
	;; [unrolled: 1-line block ×3, first 2 shown]
	v_lshlrev_b32_e32 v1, 6, v0
	s_waitcnt lgkmcnt(0)
	s_and_b32 s0, s0, 0xffff
	s_delay_alu instid0(SALU_CYCLE_1)
	s_lshl_b32 s12, s0, 2
	s_add_u32 s1, s8, s10
	s_addc_u32 s8, s9, s11
	v_add_co_u32 v6, s1, s1, v1
	v_add_lshl_u32 v4, v0, s0, 2
	v_dual_mov_b32 v0, s4 :: v_dual_mov_b32 v1, s5
	v_add_co_ci_u32_e64 v7, null, s8, 0, s1
	v_dual_mov_b32 v2, s6 :: v_dual_mov_b32 v3, s7
	s_lshl_b32 s5, s0, 6
	.p2align	6
.LBB359_16:                             ; =>This Inner Loop Header: Depth=1
	v_cmp_le_i64_e32 vcc_lo, s[2:3], v[4:5]
	v_cmp_lt_u64_e64 s0, 0xffff, v[4:5]
	v_add_co_u32 v4, s1, v4, s12
	s_delay_alu instid0(VALU_DEP_1)
	v_add_co_ci_u32_e64 v5, s1, 0, v5, s1
	s_clause 0x3
	global_store_b128 v[6:7], v[0:3], off
	global_store_b128 v[6:7], v[0:3], off offset:16
	global_store_b128 v[6:7], v[0:3], off offset:32
	;; [unrolled: 1-line block ×3, first 2 shown]
	v_add_co_u32 v6, s1, v6, s5
	s_or_b32 s0, vcc_lo, s0
	v_add_co_ci_u32_e64 v7, vcc_lo, 0, v7, s1
	s_and_b32 s0, exec_lo, s0
	s_delay_alu instid0(SALU_CYCLE_1) | instskip(NEXT) | instid1(SALU_CYCLE_1)
	s_or_b32 s4, s0, s4
	s_and_not1_b32 exec_lo, exec_lo, s4
	s_cbranch_execnz .LBB359_16
.LBB359_17:
	s_nop 0
	s_sendmsg sendmsg(MSG_DEALLOC_VGPRS)
	s_endpgm
	.section	.rodata,"a",@progbits
	.p2align	6, 0x0
	.amdhsa_kernel _ZN2at6native12_GLOBAL__N_125multi_tensor_apply_kernelINS1_18TensorListMetadataILi1EEENS1_11ZeroFunctorIN3c107complexIdEELi1ELi1ELi0EEEJEEEvT_T0_DpT1_
		.amdhsa_group_segment_fixed_size 0
		.amdhsa_private_segment_fixed_size 0
		.amdhsa_kernarg_size 3632
		.amdhsa_user_sgpr_count 15
		.amdhsa_user_sgpr_dispatch_ptr 0
		.amdhsa_user_sgpr_queue_ptr 0
		.amdhsa_user_sgpr_kernarg_segment_ptr 1
		.amdhsa_user_sgpr_dispatch_id 0
		.amdhsa_user_sgpr_private_segment_size 0
		.amdhsa_wavefront_size32 1
		.amdhsa_uses_dynamic_stack 0
		.amdhsa_enable_private_segment 0
		.amdhsa_system_sgpr_workgroup_id_x 1
		.amdhsa_system_sgpr_workgroup_id_y 0
		.amdhsa_system_sgpr_workgroup_id_z 0
		.amdhsa_system_sgpr_workgroup_info 0
		.amdhsa_system_vgpr_workitem_id 0
		.amdhsa_next_free_vgpr 19
		.amdhsa_next_free_sgpr 18
		.amdhsa_reserve_vcc 1
		.amdhsa_float_round_mode_32 0
		.amdhsa_float_round_mode_16_64 0
		.amdhsa_float_denorm_mode_32 3
		.amdhsa_float_denorm_mode_16_64 3
		.amdhsa_dx10_clamp 1
		.amdhsa_ieee_mode 1
		.amdhsa_fp16_overflow 0
		.amdhsa_workgroup_processor_mode 1
		.amdhsa_memory_ordered 1
		.amdhsa_forward_progress 0
		.amdhsa_shared_vgpr_count 0
		.amdhsa_exception_fp_ieee_invalid_op 0
		.amdhsa_exception_fp_denorm_src 0
		.amdhsa_exception_fp_ieee_div_zero 0
		.amdhsa_exception_fp_ieee_overflow 0
		.amdhsa_exception_fp_ieee_underflow 0
		.amdhsa_exception_fp_ieee_inexact 0
		.amdhsa_exception_int_div_zero 0
	.end_amdhsa_kernel
	.section	.text._ZN2at6native12_GLOBAL__N_125multi_tensor_apply_kernelINS1_18TensorListMetadataILi1EEENS1_11ZeroFunctorIN3c107complexIdEELi1ELi1ELi0EEEJEEEvT_T0_DpT1_,"axG",@progbits,_ZN2at6native12_GLOBAL__N_125multi_tensor_apply_kernelINS1_18TensorListMetadataILi1EEENS1_11ZeroFunctorIN3c107complexIdEELi1ELi1ELi0EEEJEEEvT_T0_DpT1_,comdat
.Lfunc_end359:
	.size	_ZN2at6native12_GLOBAL__N_125multi_tensor_apply_kernelINS1_18TensorListMetadataILi1EEENS1_11ZeroFunctorIN3c107complexIdEELi1ELi1ELi0EEEJEEEvT_T0_DpT1_, .Lfunc_end359-_ZN2at6native12_GLOBAL__N_125multi_tensor_apply_kernelINS1_18TensorListMetadataILi1EEENS1_11ZeroFunctorIN3c107complexIdEELi1ELi1ELi0EEEJEEEvT_T0_DpT1_
                                        ; -- End function
	.section	.AMDGPU.csdata,"",@progbits
; Kernel info:
; codeLenInByte = 956
; NumSgprs: 20
; NumVgprs: 19
; ScratchSize: 0
; MemoryBound: 0
; FloatMode: 240
; IeeeMode: 1
; LDSByteSize: 0 bytes/workgroup (compile time only)
; SGPRBlocks: 2
; VGPRBlocks: 2
; NumSGPRsForWavesPerEU: 20
; NumVGPRsForWavesPerEU: 19
; Occupancy: 16
; WaveLimiterHint : 0
; COMPUTE_PGM_RSRC2:SCRATCH_EN: 0
; COMPUTE_PGM_RSRC2:USER_SGPR: 15
; COMPUTE_PGM_RSRC2:TRAP_HANDLER: 0
; COMPUTE_PGM_RSRC2:TGID_X_EN: 1
; COMPUTE_PGM_RSRC2:TGID_Y_EN: 0
; COMPUTE_PGM_RSRC2:TGID_Z_EN: 0
; COMPUTE_PGM_RSRC2:TIDIG_COMP_CNT: 0
	.section	.text._ZN2at6native12_GLOBAL__N_125multi_tensor_apply_kernelINS1_18TensorListMetadataILi1EEENS1_11ZeroFunctorIN3c107complexIfEELi1ELi1ELi0EEEJEEEvT_T0_DpT1_,"axG",@progbits,_ZN2at6native12_GLOBAL__N_125multi_tensor_apply_kernelINS1_18TensorListMetadataILi1EEENS1_11ZeroFunctorIN3c107complexIfEELi1ELi1ELi0EEEJEEEvT_T0_DpT1_,comdat
	.globl	_ZN2at6native12_GLOBAL__N_125multi_tensor_apply_kernelINS1_18TensorListMetadataILi1EEENS1_11ZeroFunctorIN3c107complexIfEELi1ELi1ELi0EEEJEEEvT_T0_DpT1_ ; -- Begin function _ZN2at6native12_GLOBAL__N_125multi_tensor_apply_kernelINS1_18TensorListMetadataILi1EEENS1_11ZeroFunctorIN3c107complexIfEELi1ELi1ELi0EEEJEEEvT_T0_DpT1_
	.p2align	8
	.type	_ZN2at6native12_GLOBAL__N_125multi_tensor_apply_kernelINS1_18TensorListMetadataILi1EEENS1_11ZeroFunctorIN3c107complexIfEELi1ELi1ELi0EEEJEEEvT_T0_DpT1_,@function
_ZN2at6native12_GLOBAL__N_125multi_tensor_apply_kernelINS1_18TensorListMetadataILi1EEENS1_11ZeroFunctorIN3c107complexIfEELi1ELi1ELi0EEEJEEEvT_T0_DpT1_: ; @_ZN2at6native12_GLOBAL__N_125multi_tensor_apply_kernelINS1_18TensorListMetadataILi1EEENS1_11ZeroFunctorIN3c107complexIfEELi1ELi1ELi0EEEJEEEvT_T0_DpT1_
; %bb.0:
	v_mov_b32_e32 v1, s15
	s_add_u32 s2, s0, s15
	s_mul_hi_u32 s3, s15, 3
	s_mul_i32 s15, s15, 3
	s_addc_u32 s4, s1, 0
	global_load_u8 v1, v1, s[0:1] offset:1760
	s_add_u32 s2, s2, s15
	s_addc_u32 s3, s4, s3
	s_mov_b32 s7, 0
	s_load_b32 s2, s[2:3], 0x820
	s_waitcnt vmcnt(0)
	v_readfirstlane_b32 s5, v1
	s_delay_alu instid0(VALU_DEP_1)
	s_lshl_b32 s3, s5, 3
	s_clause 0x1
	s_load_b64 s[8:9], s[0:1], s3 offset:0x0
	s_load_b64 s[4:5], s[0:1], s3 offset:0x370
	s_waitcnt lgkmcnt(0)
	s_ashr_i32 s3, s2, 31
	s_delay_alu instid0(SALU_CYCLE_1) | instskip(NEXT) | instid1(SALU_CYCLE_1)
	s_lshl_b64 s[10:11], s[2:3], 19
	s_add_u32 s12, s8, s10
	s_addc_u32 s13, s9, s11
	s_lshl_b64 s[2:3], s[2:3], 16
	s_and_b32 s6, s12, 31
	s_sub_u32 s2, s4, s2
	s_subb_u32 s3, s5, s3
	s_and_b32 s4, s4, 3
	s_mov_b32 s5, s7
	s_delay_alu instid0(SALU_CYCLE_1) | instskip(NEXT) | instid1(SALU_CYCLE_1)
	s_or_b64 s[4:5], s[6:7], s[4:5]
	s_cmp_eq_u64 s[4:5], 0
	s_cbranch_scc1 .LBB360_13
; %bb.1:
	v_cmp_lt_i64_e64 s4, s[2:3], 1
	s_delay_alu instid0(VALU_DEP_1)
	s_and_b32 vcc_lo, exec_lo, s4
	s_cbranch_vccnz .LBB360_12
; %bb.2:
	s_load_b32 s4, s[0:1], 0xd3c
	v_mov_b32_e32 v1, 0
	v_cmp_gt_u64_e64 s5, 0x10000, s[2:3]
	s_delay_alu instid0(VALU_DEP_2) | instskip(SKIP_2) | instid1(VALU_DEP_2)
	v_dual_mov_b32 v4, v1 :: v_dual_lshlrev_b32 v3, 3, v0
	s_waitcnt lgkmcnt(0)
	s_and_b32 s6, s4, 0xffff
	s_and_b32 s4, s5, exec_lo
	v_add_co_u32 v7, s15, v0, s6
	v_mad_u64_u32 v[5:6], null, s6, 24, v[3:4]
	s_cselect_b32 s5, s3, 0
	s_cselect_b32 s4, s2, 0x10000
	v_add_co_ci_u32_e64 v8, null, 0, 0, s15
	s_lshl_b32 s15, s6, 4
	s_lshl_b32 s7, s6, 1
	v_add_co_u32 v2, s15, s15, v3
	s_mul_i32 s14, s6, 3
	v_add_co_u32 v13, s7, s7, v0
	v_add_co_u32 v4, s14, s14, v0
	s_delay_alu instid0(VALU_DEP_1)
	v_add_co_ci_u32_e64 v9, null, 0, 0, s14
	v_add_co_ci_u32_e64 v10, null, 0, 0, s15
	v_lshlrev_b32_e32 v11, 3, v7
	v_or_b32_e32 v12, 4, v2
	v_or_b32_e32 v5, 4, v5
	v_add_co_ci_u32_e64 v14, null, 0, 0, s7
	s_lshl_b32 s14, s6, 2
	s_lshl_b32 s15, s6, 5
	s_mov_b64 s[6:7], 0
	s_branch .LBB360_4
.LBB360_3:                              ;   in Loop: Header=BB360_4 Depth=1
	s_or_b32 exec_lo, exec_lo, s16
	s_add_u32 s6, s6, s14
	s_addc_u32 s7, s7, 0
	s_delay_alu instid0(SALU_CYCLE_1) | instskip(SKIP_1) | instid1(VALU_DEP_1)
	v_cmp_lt_i64_e64 s16, s[6:7], s[2:3]
	v_cmp_gt_u64_e64 s17, 0x10000, s[6:7]
	s_and_b32 s16, s16, s17
	s_add_u32 s12, s12, s15
	s_addc_u32 s13, s13, 0
	s_and_b32 vcc_lo, exec_lo, s16
	s_cbranch_vccz .LBB360_12
.LBB360_4:                              ; =>This Inner Loop Header: Depth=1
	v_add_co_u32 v15, s16, v0, s6
	s_delay_alu instid0(VALU_DEP_1) | instskip(SKIP_1) | instid1(VALU_DEP_1)
	v_add_co_ci_u32_e64 v16, null, 0, s7, s16
	s_mov_b32 s16, exec_lo
	v_cmpx_gt_u64_e64 s[4:5], v[15:16]
	s_cbranch_execz .LBB360_6
; %bb.5:                                ;   in Loop: Header=BB360_4 Depth=1
	v_add_co_u32 v15, s17, s12, v3
	s_delay_alu instid0(VALU_DEP_1)
	v_add_co_ci_u32_e64 v16, null, s13, 0, s17
	v_mov_b32_e32 v2, v1
	global_store_b64 v[15:16], v[1:2], off
.LBB360_6:                              ;   in Loop: Header=BB360_4 Depth=1
	s_or_b32 exec_lo, exec_lo, s16
	v_add_co_u32 v15, vcc_lo, v7, s6
	v_add_co_ci_u32_e32 v16, vcc_lo, s7, v8, vcc_lo
	s_mov_b32 s16, exec_lo
	s_delay_alu instid0(VALU_DEP_1)
	v_cmpx_gt_u64_e64 s[4:5], v[15:16]
	s_cbranch_execz .LBB360_8
; %bb.7:                                ;   in Loop: Header=BB360_4 Depth=1
	v_add_co_u32 v15, s17, s12, v11
	s_delay_alu instid0(VALU_DEP_1)
	v_add_co_ci_u32_e64 v16, null, s13, 0, s17
	v_mov_b32_e32 v2, v1
	global_store_b64 v[15:16], v[1:2], off
.LBB360_8:                              ;   in Loop: Header=BB360_4 Depth=1
	s_or_b32 exec_lo, exec_lo, s16
	v_add_co_u32 v15, vcc_lo, v13, s6
	v_add_co_ci_u32_e32 v16, vcc_lo, s7, v14, vcc_lo
	s_mov_b32 s16, exec_lo
	s_delay_alu instid0(VALU_DEP_1)
	v_cmpx_gt_u64_e64 s[4:5], v[15:16]
	s_cbranch_execz .LBB360_10
; %bb.9:                                ;   in Loop: Header=BB360_4 Depth=1
	v_add_co_u32 v15, vcc_lo, s12, v12
	v_add_co_ci_u32_e32 v16, vcc_lo, s13, v10, vcc_lo
	v_mov_b32_e32 v2, v1
	global_store_b64 v[15:16], v[1:2], off offset:-4
.LBB360_10:                             ;   in Loop: Header=BB360_4 Depth=1
	s_or_b32 exec_lo, exec_lo, s16
	v_add_co_u32 v15, vcc_lo, v4, s6
	v_add_co_ci_u32_e32 v16, vcc_lo, s7, v9, vcc_lo
	s_mov_b32 s16, exec_lo
	s_delay_alu instid0(VALU_DEP_1)
	v_cmpx_gt_u64_e64 s[4:5], v[15:16]
	s_cbranch_execz .LBB360_3
; %bb.11:                               ;   in Loop: Header=BB360_4 Depth=1
	v_add_co_u32 v15, vcc_lo, s12, v5
	v_add_co_ci_u32_e32 v16, vcc_lo, s13, v6, vcc_lo
	v_mov_b32_e32 v2, v1
	global_store_b64 v[15:16], v[1:2], off offset:-4
	s_branch .LBB360_3
.LBB360_12:
	s_cbranch_execz .LBB360_14
	s_branch .LBB360_17
.LBB360_13:
.LBB360_14:
	v_dual_mov_b32 v5, 0 :: v_dual_lshlrev_b32 v4, 2, v0
	s_mov_b32 s4, 0
	s_mov_b32 s5, exec_lo
	s_delay_alu instid0(VALU_DEP_1)
	v_cmpx_gt_i64_e64 s[2:3], v[4:5]
	s_cbranch_execz .LBB360_17
; %bb.15:
	s_load_b32 s0, s[0:1], 0xd3c
	s_mov_b32 s5, s4
	s_mov_b32 s6, s4
	;; [unrolled: 1-line block ×3, first 2 shown]
	v_lshlrev_b32_e32 v1, 5, v0
	s_waitcnt lgkmcnt(0)
	s_and_b32 s0, s0, 0xffff
	s_delay_alu instid0(SALU_CYCLE_1)
	s_lshl_b32 s12, s0, 2
	s_add_u32 s1, s8, s10
	s_addc_u32 s8, s9, s11
	v_add_co_u32 v6, s1, s1, v1
	v_add_lshl_u32 v4, v0, s0, 2
	v_dual_mov_b32 v0, s4 :: v_dual_mov_b32 v1, s5
	v_add_co_ci_u32_e64 v7, null, s8, 0, s1
	v_dual_mov_b32 v2, s6 :: v_dual_mov_b32 v3, s7
	s_lshl_b32 s5, s0, 5
	.p2align	6
.LBB360_16:                             ; =>This Inner Loop Header: Depth=1
	v_cmp_le_i64_e32 vcc_lo, s[2:3], v[4:5]
	v_cmp_lt_u64_e64 s0, 0xffff, v[4:5]
	v_add_co_u32 v4, s1, v4, s12
	s_delay_alu instid0(VALU_DEP_1)
	v_add_co_ci_u32_e64 v5, s1, 0, v5, s1
	s_clause 0x1
	global_store_b128 v[6:7], v[0:3], off
	global_store_b128 v[6:7], v[0:3], off offset:16
	v_add_co_u32 v6, s1, v6, s5
	s_or_b32 s0, vcc_lo, s0
	v_add_co_ci_u32_e64 v7, vcc_lo, 0, v7, s1
	s_and_b32 s0, exec_lo, s0
	s_delay_alu instid0(SALU_CYCLE_1) | instskip(NEXT) | instid1(SALU_CYCLE_1)
	s_or_b32 s4, s0, s4
	s_and_not1_b32 exec_lo, exec_lo, s4
	s_cbranch_execnz .LBB360_16
.LBB360_17:
	s_nop 0
	s_sendmsg sendmsg(MSG_DEALLOC_VGPRS)
	s_endpgm
	.section	.rodata,"a",@progbits
	.p2align	6, 0x0
	.amdhsa_kernel _ZN2at6native12_GLOBAL__N_125multi_tensor_apply_kernelINS1_18TensorListMetadataILi1EEENS1_11ZeroFunctorIN3c107complexIfEELi1ELi1ELi0EEEJEEEvT_T0_DpT1_
		.amdhsa_group_segment_fixed_size 0
		.amdhsa_private_segment_fixed_size 0
		.amdhsa_kernarg_size 3632
		.amdhsa_user_sgpr_count 15
		.amdhsa_user_sgpr_dispatch_ptr 0
		.amdhsa_user_sgpr_queue_ptr 0
		.amdhsa_user_sgpr_kernarg_segment_ptr 1
		.amdhsa_user_sgpr_dispatch_id 0
		.amdhsa_user_sgpr_private_segment_size 0
		.amdhsa_wavefront_size32 1
		.amdhsa_uses_dynamic_stack 0
		.amdhsa_enable_private_segment 0
		.amdhsa_system_sgpr_workgroup_id_x 1
		.amdhsa_system_sgpr_workgroup_id_y 0
		.amdhsa_system_sgpr_workgroup_id_z 0
		.amdhsa_system_sgpr_workgroup_info 0
		.amdhsa_system_vgpr_workitem_id 0
		.amdhsa_next_free_vgpr 17
		.amdhsa_next_free_sgpr 18
		.amdhsa_reserve_vcc 1
		.amdhsa_float_round_mode_32 0
		.amdhsa_float_round_mode_16_64 0
		.amdhsa_float_denorm_mode_32 3
		.amdhsa_float_denorm_mode_16_64 3
		.amdhsa_dx10_clamp 1
		.amdhsa_ieee_mode 1
		.amdhsa_fp16_overflow 0
		.amdhsa_workgroup_processor_mode 1
		.amdhsa_memory_ordered 1
		.amdhsa_forward_progress 0
		.amdhsa_shared_vgpr_count 0
		.amdhsa_exception_fp_ieee_invalid_op 0
		.amdhsa_exception_fp_denorm_src 0
		.amdhsa_exception_fp_ieee_div_zero 0
		.amdhsa_exception_fp_ieee_overflow 0
		.amdhsa_exception_fp_ieee_underflow 0
		.amdhsa_exception_fp_ieee_inexact 0
		.amdhsa_exception_int_div_zero 0
	.end_amdhsa_kernel
	.section	.text._ZN2at6native12_GLOBAL__N_125multi_tensor_apply_kernelINS1_18TensorListMetadataILi1EEENS1_11ZeroFunctorIN3c107complexIfEELi1ELi1ELi0EEEJEEEvT_T0_DpT1_,"axG",@progbits,_ZN2at6native12_GLOBAL__N_125multi_tensor_apply_kernelINS1_18TensorListMetadataILi1EEENS1_11ZeroFunctorIN3c107complexIfEELi1ELi1ELi0EEEJEEEvT_T0_DpT1_,comdat
.Lfunc_end360:
	.size	_ZN2at6native12_GLOBAL__N_125multi_tensor_apply_kernelINS1_18TensorListMetadataILi1EEENS1_11ZeroFunctorIN3c107complexIfEELi1ELi1ELi0EEEJEEEvT_T0_DpT1_, .Lfunc_end360-_ZN2at6native12_GLOBAL__N_125multi_tensor_apply_kernelINS1_18TensorListMetadataILi1EEENS1_11ZeroFunctorIN3c107complexIfEELi1ELi1ELi0EEEJEEEvT_T0_DpT1_
                                        ; -- End function
	.section	.AMDGPU.csdata,"",@progbits
; Kernel info:
; codeLenInByte = 908
; NumSgprs: 20
; NumVgprs: 17
; ScratchSize: 0
; MemoryBound: 0
; FloatMode: 240
; IeeeMode: 1
; LDSByteSize: 0 bytes/workgroup (compile time only)
; SGPRBlocks: 2
; VGPRBlocks: 2
; NumSGPRsForWavesPerEU: 20
; NumVGPRsForWavesPerEU: 17
; Occupancy: 16
; WaveLimiterHint : 0
; COMPUTE_PGM_RSRC2:SCRATCH_EN: 0
; COMPUTE_PGM_RSRC2:USER_SGPR: 15
; COMPUTE_PGM_RSRC2:TRAP_HANDLER: 0
; COMPUTE_PGM_RSRC2:TGID_X_EN: 1
; COMPUTE_PGM_RSRC2:TGID_Y_EN: 0
; COMPUTE_PGM_RSRC2:TGID_Z_EN: 0
; COMPUTE_PGM_RSRC2:TIDIG_COMP_CNT: 0
	.section	.text._ZN2at6native12_GLOBAL__N_125multi_tensor_apply_kernelINS1_18TensorListMetadataILi1EEENS1_11ZeroFunctorIN3c104HalfELi1ELi1ELi0EEEJEEEvT_T0_DpT1_,"axG",@progbits,_ZN2at6native12_GLOBAL__N_125multi_tensor_apply_kernelINS1_18TensorListMetadataILi1EEENS1_11ZeroFunctorIN3c104HalfELi1ELi1ELi0EEEJEEEvT_T0_DpT1_,comdat
	.globl	_ZN2at6native12_GLOBAL__N_125multi_tensor_apply_kernelINS1_18TensorListMetadataILi1EEENS1_11ZeroFunctorIN3c104HalfELi1ELi1ELi0EEEJEEEvT_T0_DpT1_ ; -- Begin function _ZN2at6native12_GLOBAL__N_125multi_tensor_apply_kernelINS1_18TensorListMetadataILi1EEENS1_11ZeroFunctorIN3c104HalfELi1ELi1ELi0EEEJEEEvT_T0_DpT1_
	.p2align	8
	.type	_ZN2at6native12_GLOBAL__N_125multi_tensor_apply_kernelINS1_18TensorListMetadataILi1EEENS1_11ZeroFunctorIN3c104HalfELi1ELi1ELi0EEEJEEEvT_T0_DpT1_,@function
_ZN2at6native12_GLOBAL__N_125multi_tensor_apply_kernelINS1_18TensorListMetadataILi1EEENS1_11ZeroFunctorIN3c104HalfELi1ELi1ELi0EEEJEEEvT_T0_DpT1_: ; @_ZN2at6native12_GLOBAL__N_125multi_tensor_apply_kernelINS1_18TensorListMetadataILi1EEENS1_11ZeroFunctorIN3c104HalfELi1ELi1ELi0EEEJEEEvT_T0_DpT1_
; %bb.0:
	v_mov_b32_e32 v1, s15
	s_add_u32 s2, s0, s15
	s_mul_hi_u32 s3, s15, 3
	s_mul_i32 s15, s15, 3
	s_addc_u32 s4, s1, 0
	global_load_u8 v1, v1, s[0:1] offset:1760
	s_add_u32 s2, s2, s15
	s_addc_u32 s3, s4, s3
	s_mov_b32 s11, 0
	s_load_b32 s2, s[2:3], 0x820
	s_waitcnt vmcnt(0)
	v_readfirstlane_b32 s5, v1
	s_delay_alu instid0(VALU_DEP_1)
	s_lshl_b32 s3, s5, 3
	s_clause 0x1
	s_load_b64 s[4:5], s[0:1], s3 offset:0x0
	s_load_b64 s[8:9], s[0:1], s3 offset:0x370
	s_waitcnt lgkmcnt(0)
	s_ashr_i32 s3, s2, 31
	s_delay_alu instid0(SALU_CYCLE_1)
	s_lshl_b64 s[6:7], s[2:3], 17
	s_lshl_b64 s[2:3], s[2:3], 16
	s_and_b32 s10, s4, 7
	s_sub_u32 s2, s8, s2
	s_subb_u32 s3, s9, s3
	s_and_b32 s8, s8, 3
	s_mov_b32 s9, s11
	s_delay_alu instid0(SALU_CYCLE_1) | instskip(NEXT) | instid1(SALU_CYCLE_1)
	s_or_b64 s[8:9], s[10:11], s[8:9]
	s_cmp_eq_u64 s[8:9], 0
	s_cbranch_scc1 .LBB361_13
; %bb.1:
	v_cmp_lt_i64_e64 s8, s[2:3], 1
	s_delay_alu instid0(VALU_DEP_1)
	s_and_b32 vcc_lo, exec_lo, s8
	s_cbranch_vccnz .LBB361_12
; %bb.2:
	s_load_b32 s8, s[0:1], 0xd3c
	v_cmp_gt_u64_e64 s9, 0x10000, s[2:3]
	v_lshlrev_b32_e32 v1, 1, v0
	v_mov_b32_e32 v5, 0
	s_waitcnt lgkmcnt(0)
	s_and_b32 s10, s8, 0xffff
	s_delay_alu instid0(VALU_DEP_3)
	s_and_b32 s8, s9, exec_lo
	v_add_co_u32 v6, s14, v0, s10
	s_cselect_b32 s9, s3, 0
	s_cselect_b32 s8, s2, 0x10000
	s_lshl_b32 s11, s10, 1
	s_lshl_b32 s12, s10, 2
	v_lshlrev_b32_e32 v3, 1, v6
	v_add_co_ci_u32_e64 v7, null, 0, 0, s14
	s_add_u32 s14, s4, s6
	v_add_co_u32 v10, s11, s11, v0
	s_mul_i32 s13, s10, 3
	s_addc_u32 s15, s5, s7
	v_add_co_ci_u32_e64 v11, null, 0, 0, s11
	v_add_co_u32 v1, s11, s14, v1
	v_add_co_u32 v8, s13, s13, v0
	v_add_co_ci_u32_e64 v2, null, s15, 0, s11
	v_add_co_u32 v3, s11, s14, v3
	v_add_co_ci_u32_e64 v9, null, 0, 0, s13
	v_add_co_ci_u32_e64 v4, null, s15, 0, s11
	s_lshl_b32 s13, s10, 3
	s_mul_i32 s14, s10, 6
	s_mov_b64 s[10:11], 0
	s_branch .LBB361_4
.LBB361_3:                              ;   in Loop: Header=BB361_4 Depth=1
	s_or_b32 exec_lo, exec_lo, s15
	s_add_u32 s10, s10, s12
	s_addc_u32 s11, s11, 0
	v_add_co_u32 v1, vcc_lo, v1, s13
	v_cmp_lt_i64_e64 s15, s[10:11], s[2:3]
	v_cmp_gt_u64_e64 s16, 0x10000, s[10:11]
	v_add_co_ci_u32_e32 v2, vcc_lo, 0, v2, vcc_lo
	v_add_co_u32 v3, vcc_lo, v3, s13
	v_add_co_ci_u32_e32 v4, vcc_lo, 0, v4, vcc_lo
	s_delay_alu instid0(VALU_DEP_4) | instskip(NEXT) | instid1(SALU_CYCLE_1)
	s_and_b32 s15, s15, s16
	s_and_b32 vcc_lo, exec_lo, s15
	s_cbranch_vccz .LBB361_12
.LBB361_4:                              ; =>This Inner Loop Header: Depth=1
	v_add_co_u32 v12, s15, v0, s10
	s_delay_alu instid0(VALU_DEP_1) | instskip(SKIP_1) | instid1(VALU_DEP_1)
	v_add_co_ci_u32_e64 v13, null, 0, s11, s15
	s_mov_b32 s15, exec_lo
	v_cmpx_gt_u64_e64 s[8:9], v[12:13]
	s_cbranch_execz .LBB361_6
; %bb.5:                                ;   in Loop: Header=BB361_4 Depth=1
	global_store_b16 v[1:2], v5, off
.LBB361_6:                              ;   in Loop: Header=BB361_4 Depth=1
	s_or_b32 exec_lo, exec_lo, s15
	v_add_co_u32 v12, vcc_lo, v6, s10
	v_add_co_ci_u32_e32 v13, vcc_lo, s11, v7, vcc_lo
	s_mov_b32 s15, exec_lo
	s_delay_alu instid0(VALU_DEP_1)
	v_cmpx_gt_u64_e64 s[8:9], v[12:13]
	s_cbranch_execz .LBB361_8
; %bb.7:                                ;   in Loop: Header=BB361_4 Depth=1
	global_store_b16 v[3:4], v5, off
.LBB361_8:                              ;   in Loop: Header=BB361_4 Depth=1
	s_or_b32 exec_lo, exec_lo, s15
	v_add_co_u32 v12, vcc_lo, v10, s10
	v_add_co_ci_u32_e32 v13, vcc_lo, s11, v11, vcc_lo
	s_mov_b32 s15, exec_lo
	s_delay_alu instid0(VALU_DEP_1)
	v_cmpx_gt_u64_e64 s[8:9], v[12:13]
	s_cbranch_execz .LBB361_10
; %bb.9:                                ;   in Loop: Header=BB361_4 Depth=1
	v_add_co_u32 v12, vcc_lo, v1, s12
	v_add_co_ci_u32_e32 v13, vcc_lo, 0, v2, vcc_lo
	global_store_b16 v[12:13], v5, off
.LBB361_10:                             ;   in Loop: Header=BB361_4 Depth=1
	s_or_b32 exec_lo, exec_lo, s15
	v_add_co_u32 v12, vcc_lo, v8, s10
	v_add_co_ci_u32_e32 v13, vcc_lo, s11, v9, vcc_lo
	s_mov_b32 s15, exec_lo
	s_delay_alu instid0(VALU_DEP_1)
	v_cmpx_gt_u64_e64 s[8:9], v[12:13]
	s_cbranch_execz .LBB361_3
; %bb.11:                               ;   in Loop: Header=BB361_4 Depth=1
	v_add_co_u32 v12, vcc_lo, v1, s14
	v_add_co_ci_u32_e32 v13, vcc_lo, 0, v2, vcc_lo
	global_store_b16 v[12:13], v5, off
	s_branch .LBB361_3
.LBB361_12:
	s_cbranch_execz .LBB361_14
	s_branch .LBB361_17
.LBB361_13:
.LBB361_14:
	v_dual_mov_b32 v1, 0 :: v_dual_lshlrev_b32 v2, 2, v0
	s_mov_b32 s8, 0
	s_mov_b32 s9, exec_lo
	s_delay_alu instid0(VALU_DEP_1) | instskip(NEXT) | instid1(VALU_DEP_1)
	v_mov_b32_e32 v3, v1
	v_cmpx_gt_i64_e64 s[2:3], v[2:3]
	s_cbranch_execz .LBB361_17
; %bb.15:
	s_load_b32 s0, s[0:1], 0xd3c
	v_lshlrev_b32_e32 v2, 3, v0
	v_mov_b32_e32 v4, v1
	s_waitcnt lgkmcnt(0)
	s_and_b32 s0, s0, 0xffff
	s_add_u32 s1, s4, s6
	s_addc_u32 s4, s5, s7
	v_add_co_u32 v5, s1, s1, v2
	v_add_lshl_u32 v3, v0, s0, 2
	v_add_co_ci_u32_e64 v6, null, s4, 0, s1
	v_mov_b32_e32 v2, v1
	s_lshl_b32 s4, s0, 3
	s_lshl_b32 s5, s0, 2
	.p2align	6
.LBB361_16:                             ; =>This Inner Loop Header: Depth=1
	v_cmp_le_i64_e32 vcc_lo, s[2:3], v[3:4]
	v_cmp_lt_u64_e64 s0, 0xffff, v[3:4]
	global_store_b64 v[5:6], v[1:2], off
	v_add_co_u32 v5, s1, v5, s4
	s_delay_alu instid0(VALU_DEP_1) | instskip(SKIP_4) | instid1(SALU_CYCLE_1)
	v_add_co_ci_u32_e64 v6, s1, 0, v6, s1
	v_add_co_u32 v3, s1, v3, s5
	s_or_b32 s0, vcc_lo, s0
	v_add_co_ci_u32_e64 v4, vcc_lo, 0, v4, s1
	s_and_b32 s0, exec_lo, s0
	s_or_b32 s8, s0, s8
	s_delay_alu instid0(SALU_CYCLE_1)
	s_and_not1_b32 exec_lo, exec_lo, s8
	s_cbranch_execnz .LBB361_16
.LBB361_17:
	s_nop 0
	s_sendmsg sendmsg(MSG_DEALLOC_VGPRS)
	s_endpgm
	.section	.rodata,"a",@progbits
	.p2align	6, 0x0
	.amdhsa_kernel _ZN2at6native12_GLOBAL__N_125multi_tensor_apply_kernelINS1_18TensorListMetadataILi1EEENS1_11ZeroFunctorIN3c104HalfELi1ELi1ELi0EEEJEEEvT_T0_DpT1_
		.amdhsa_group_segment_fixed_size 0
		.amdhsa_private_segment_fixed_size 0
		.amdhsa_kernarg_size 3632
		.amdhsa_user_sgpr_count 15
		.amdhsa_user_sgpr_dispatch_ptr 0
		.amdhsa_user_sgpr_queue_ptr 0
		.amdhsa_user_sgpr_kernarg_segment_ptr 1
		.amdhsa_user_sgpr_dispatch_id 0
		.amdhsa_user_sgpr_private_segment_size 0
		.amdhsa_wavefront_size32 1
		.amdhsa_uses_dynamic_stack 0
		.amdhsa_enable_private_segment 0
		.amdhsa_system_sgpr_workgroup_id_x 1
		.amdhsa_system_sgpr_workgroup_id_y 0
		.amdhsa_system_sgpr_workgroup_id_z 0
		.amdhsa_system_sgpr_workgroup_info 0
		.amdhsa_system_vgpr_workitem_id 0
		.amdhsa_next_free_vgpr 14
		.amdhsa_next_free_sgpr 17
		.amdhsa_reserve_vcc 1
		.amdhsa_float_round_mode_32 0
		.amdhsa_float_round_mode_16_64 0
		.amdhsa_float_denorm_mode_32 3
		.amdhsa_float_denorm_mode_16_64 3
		.amdhsa_dx10_clamp 1
		.amdhsa_ieee_mode 1
		.amdhsa_fp16_overflow 0
		.amdhsa_workgroup_processor_mode 1
		.amdhsa_memory_ordered 1
		.amdhsa_forward_progress 0
		.amdhsa_shared_vgpr_count 0
		.amdhsa_exception_fp_ieee_invalid_op 0
		.amdhsa_exception_fp_denorm_src 0
		.amdhsa_exception_fp_ieee_div_zero 0
		.amdhsa_exception_fp_ieee_overflow 0
		.amdhsa_exception_fp_ieee_underflow 0
		.amdhsa_exception_fp_ieee_inexact 0
		.amdhsa_exception_int_div_zero 0
	.end_amdhsa_kernel
	.section	.text._ZN2at6native12_GLOBAL__N_125multi_tensor_apply_kernelINS1_18TensorListMetadataILi1EEENS1_11ZeroFunctorIN3c104HalfELi1ELi1ELi0EEEJEEEvT_T0_DpT1_,"axG",@progbits,_ZN2at6native12_GLOBAL__N_125multi_tensor_apply_kernelINS1_18TensorListMetadataILi1EEENS1_11ZeroFunctorIN3c104HalfELi1ELi1ELi0EEEJEEEvT_T0_DpT1_,comdat
.Lfunc_end361:
	.size	_ZN2at6native12_GLOBAL__N_125multi_tensor_apply_kernelINS1_18TensorListMetadataILi1EEENS1_11ZeroFunctorIN3c104HalfELi1ELi1ELi0EEEJEEEvT_T0_DpT1_, .Lfunc_end361-_ZN2at6native12_GLOBAL__N_125multi_tensor_apply_kernelINS1_18TensorListMetadataILi1EEENS1_11ZeroFunctorIN3c104HalfELi1ELi1ELi0EEEJEEEvT_T0_DpT1_
                                        ; -- End function
	.section	.AMDGPU.csdata,"",@progbits
; Kernel info:
; codeLenInByte = 828
; NumSgprs: 19
; NumVgprs: 14
; ScratchSize: 0
; MemoryBound: 0
; FloatMode: 240
; IeeeMode: 1
; LDSByteSize: 0 bytes/workgroup (compile time only)
; SGPRBlocks: 2
; VGPRBlocks: 1
; NumSGPRsForWavesPerEU: 19
; NumVGPRsForWavesPerEU: 14
; Occupancy: 16
; WaveLimiterHint : 0
; COMPUTE_PGM_RSRC2:SCRATCH_EN: 0
; COMPUTE_PGM_RSRC2:USER_SGPR: 15
; COMPUTE_PGM_RSRC2:TRAP_HANDLER: 0
; COMPUTE_PGM_RSRC2:TGID_X_EN: 1
; COMPUTE_PGM_RSRC2:TGID_Y_EN: 0
; COMPUTE_PGM_RSRC2:TGID_Z_EN: 0
; COMPUTE_PGM_RSRC2:TIDIG_COMP_CNT: 0
	.section	.text._ZN2at6native12_GLOBAL__N_125multi_tensor_apply_kernelINS1_18TensorListMetadataILi1EEENS1_11ZeroFunctorIN3c108BFloat16ELi1ELi1ELi0EEEJEEEvT_T0_DpT1_,"axG",@progbits,_ZN2at6native12_GLOBAL__N_125multi_tensor_apply_kernelINS1_18TensorListMetadataILi1EEENS1_11ZeroFunctorIN3c108BFloat16ELi1ELi1ELi0EEEJEEEvT_T0_DpT1_,comdat
	.globl	_ZN2at6native12_GLOBAL__N_125multi_tensor_apply_kernelINS1_18TensorListMetadataILi1EEENS1_11ZeroFunctorIN3c108BFloat16ELi1ELi1ELi0EEEJEEEvT_T0_DpT1_ ; -- Begin function _ZN2at6native12_GLOBAL__N_125multi_tensor_apply_kernelINS1_18TensorListMetadataILi1EEENS1_11ZeroFunctorIN3c108BFloat16ELi1ELi1ELi0EEEJEEEvT_T0_DpT1_
	.p2align	8
	.type	_ZN2at6native12_GLOBAL__N_125multi_tensor_apply_kernelINS1_18TensorListMetadataILi1EEENS1_11ZeroFunctorIN3c108BFloat16ELi1ELi1ELi0EEEJEEEvT_T0_DpT1_,@function
_ZN2at6native12_GLOBAL__N_125multi_tensor_apply_kernelINS1_18TensorListMetadataILi1EEENS1_11ZeroFunctorIN3c108BFloat16ELi1ELi1ELi0EEEJEEEvT_T0_DpT1_: ; @_ZN2at6native12_GLOBAL__N_125multi_tensor_apply_kernelINS1_18TensorListMetadataILi1EEENS1_11ZeroFunctorIN3c108BFloat16ELi1ELi1ELi0EEEJEEEvT_T0_DpT1_
; %bb.0:
	v_mov_b32_e32 v1, s15
	s_add_u32 s2, s0, s15
	s_mul_hi_u32 s3, s15, 3
	s_mul_i32 s15, s15, 3
	s_addc_u32 s4, s1, 0
	global_load_u8 v1, v1, s[0:1] offset:1760
	s_add_u32 s2, s2, s15
	s_addc_u32 s3, s4, s3
	s_mov_b32 s11, 0
	s_load_b32 s2, s[2:3], 0x820
	s_waitcnt vmcnt(0)
	v_readfirstlane_b32 s5, v1
	s_delay_alu instid0(VALU_DEP_1)
	s_lshl_b32 s3, s5, 3
	s_clause 0x1
	s_load_b64 s[4:5], s[0:1], s3 offset:0x0
	s_load_b64 s[8:9], s[0:1], s3 offset:0x370
	s_waitcnt lgkmcnt(0)
	s_ashr_i32 s3, s2, 31
	s_delay_alu instid0(SALU_CYCLE_1)
	s_lshl_b64 s[6:7], s[2:3], 17
	s_lshl_b64 s[2:3], s[2:3], 16
	s_and_b32 s10, s4, 7
	s_sub_u32 s2, s8, s2
	s_subb_u32 s3, s9, s3
	s_and_b32 s8, s8, 3
	s_mov_b32 s9, s11
	s_delay_alu instid0(SALU_CYCLE_1) | instskip(NEXT) | instid1(SALU_CYCLE_1)
	s_or_b64 s[8:9], s[10:11], s[8:9]
	s_cmp_eq_u64 s[8:9], 0
	s_cbranch_scc1 .LBB362_13
; %bb.1:
	v_cmp_lt_i64_e64 s8, s[2:3], 1
	s_delay_alu instid0(VALU_DEP_1)
	s_and_b32 vcc_lo, exec_lo, s8
	s_cbranch_vccnz .LBB362_12
; %bb.2:
	s_load_b32 s8, s[0:1], 0xd3c
	v_cmp_gt_u64_e64 s9, 0x10000, s[2:3]
	v_lshlrev_b32_e32 v1, 1, v0
	v_mov_b32_e32 v5, 0
	s_waitcnt lgkmcnt(0)
	s_and_b32 s10, s8, 0xffff
	s_delay_alu instid0(VALU_DEP_3)
	s_and_b32 s8, s9, exec_lo
	v_add_co_u32 v6, s14, v0, s10
	s_cselect_b32 s9, s3, 0
	s_cselect_b32 s8, s2, 0x10000
	s_lshl_b32 s11, s10, 1
	s_lshl_b32 s12, s10, 2
	v_lshlrev_b32_e32 v3, 1, v6
	v_add_co_ci_u32_e64 v7, null, 0, 0, s14
	s_add_u32 s14, s4, s6
	v_add_co_u32 v10, s11, s11, v0
	s_mul_i32 s13, s10, 3
	s_addc_u32 s15, s5, s7
	v_add_co_ci_u32_e64 v11, null, 0, 0, s11
	v_add_co_u32 v1, s11, s14, v1
	v_add_co_u32 v8, s13, s13, v0
	v_add_co_ci_u32_e64 v2, null, s15, 0, s11
	v_add_co_u32 v3, s11, s14, v3
	v_add_co_ci_u32_e64 v9, null, 0, 0, s13
	v_add_co_ci_u32_e64 v4, null, s15, 0, s11
	s_lshl_b32 s13, s10, 3
	s_mul_i32 s14, s10, 6
	s_mov_b64 s[10:11], 0
	s_branch .LBB362_4
.LBB362_3:                              ;   in Loop: Header=BB362_4 Depth=1
	s_or_b32 exec_lo, exec_lo, s15
	s_add_u32 s10, s10, s12
	s_addc_u32 s11, s11, 0
	v_add_co_u32 v1, vcc_lo, v1, s13
	v_cmp_lt_i64_e64 s15, s[10:11], s[2:3]
	v_cmp_gt_u64_e64 s16, 0x10000, s[10:11]
	v_add_co_ci_u32_e32 v2, vcc_lo, 0, v2, vcc_lo
	v_add_co_u32 v3, vcc_lo, v3, s13
	v_add_co_ci_u32_e32 v4, vcc_lo, 0, v4, vcc_lo
	s_delay_alu instid0(VALU_DEP_4) | instskip(NEXT) | instid1(SALU_CYCLE_1)
	s_and_b32 s15, s15, s16
	s_and_b32 vcc_lo, exec_lo, s15
	s_cbranch_vccz .LBB362_12
.LBB362_4:                              ; =>This Inner Loop Header: Depth=1
	v_add_co_u32 v12, s15, v0, s10
	s_delay_alu instid0(VALU_DEP_1) | instskip(SKIP_1) | instid1(VALU_DEP_1)
	v_add_co_ci_u32_e64 v13, null, 0, s11, s15
	s_mov_b32 s15, exec_lo
	v_cmpx_gt_u64_e64 s[8:9], v[12:13]
	s_cbranch_execz .LBB362_6
; %bb.5:                                ;   in Loop: Header=BB362_4 Depth=1
	global_store_b16 v[1:2], v5, off
.LBB362_6:                              ;   in Loop: Header=BB362_4 Depth=1
	s_or_b32 exec_lo, exec_lo, s15
	v_add_co_u32 v12, vcc_lo, v6, s10
	v_add_co_ci_u32_e32 v13, vcc_lo, s11, v7, vcc_lo
	s_mov_b32 s15, exec_lo
	s_delay_alu instid0(VALU_DEP_1)
	v_cmpx_gt_u64_e64 s[8:9], v[12:13]
	s_cbranch_execz .LBB362_8
; %bb.7:                                ;   in Loop: Header=BB362_4 Depth=1
	global_store_b16 v[3:4], v5, off
.LBB362_8:                              ;   in Loop: Header=BB362_4 Depth=1
	s_or_b32 exec_lo, exec_lo, s15
	v_add_co_u32 v12, vcc_lo, v10, s10
	v_add_co_ci_u32_e32 v13, vcc_lo, s11, v11, vcc_lo
	s_mov_b32 s15, exec_lo
	s_delay_alu instid0(VALU_DEP_1)
	v_cmpx_gt_u64_e64 s[8:9], v[12:13]
	s_cbranch_execz .LBB362_10
; %bb.9:                                ;   in Loop: Header=BB362_4 Depth=1
	v_add_co_u32 v12, vcc_lo, v1, s12
	v_add_co_ci_u32_e32 v13, vcc_lo, 0, v2, vcc_lo
	global_store_b16 v[12:13], v5, off
.LBB362_10:                             ;   in Loop: Header=BB362_4 Depth=1
	s_or_b32 exec_lo, exec_lo, s15
	v_add_co_u32 v12, vcc_lo, v8, s10
	v_add_co_ci_u32_e32 v13, vcc_lo, s11, v9, vcc_lo
	s_mov_b32 s15, exec_lo
	s_delay_alu instid0(VALU_DEP_1)
	v_cmpx_gt_u64_e64 s[8:9], v[12:13]
	s_cbranch_execz .LBB362_3
; %bb.11:                               ;   in Loop: Header=BB362_4 Depth=1
	v_add_co_u32 v12, vcc_lo, v1, s14
	v_add_co_ci_u32_e32 v13, vcc_lo, 0, v2, vcc_lo
	global_store_b16 v[12:13], v5, off
	s_branch .LBB362_3
.LBB362_12:
	s_cbranch_execz .LBB362_14
	s_branch .LBB362_17
.LBB362_13:
.LBB362_14:
	v_dual_mov_b32 v1, 0 :: v_dual_lshlrev_b32 v2, 2, v0
	s_mov_b32 s8, 0
	s_mov_b32 s9, exec_lo
	s_delay_alu instid0(VALU_DEP_1) | instskip(NEXT) | instid1(VALU_DEP_1)
	v_mov_b32_e32 v3, v1
	v_cmpx_gt_i64_e64 s[2:3], v[2:3]
	s_cbranch_execz .LBB362_17
; %bb.15:
	s_load_b32 s0, s[0:1], 0xd3c
	v_lshlrev_b32_e32 v2, 3, v0
	v_mov_b32_e32 v4, v1
	s_waitcnt lgkmcnt(0)
	s_and_b32 s0, s0, 0xffff
	s_add_u32 s1, s4, s6
	s_addc_u32 s4, s5, s7
	v_add_co_u32 v5, s1, s1, v2
	v_add_lshl_u32 v3, v0, s0, 2
	v_add_co_ci_u32_e64 v6, null, s4, 0, s1
	v_mov_b32_e32 v2, v1
	s_lshl_b32 s4, s0, 3
	s_lshl_b32 s5, s0, 2
	.p2align	6
.LBB362_16:                             ; =>This Inner Loop Header: Depth=1
	v_cmp_le_i64_e32 vcc_lo, s[2:3], v[3:4]
	v_cmp_lt_u64_e64 s0, 0xffff, v[3:4]
	global_store_b64 v[5:6], v[1:2], off
	v_add_co_u32 v5, s1, v5, s4
	s_delay_alu instid0(VALU_DEP_1) | instskip(SKIP_4) | instid1(SALU_CYCLE_1)
	v_add_co_ci_u32_e64 v6, s1, 0, v6, s1
	v_add_co_u32 v3, s1, v3, s5
	s_or_b32 s0, vcc_lo, s0
	v_add_co_ci_u32_e64 v4, vcc_lo, 0, v4, s1
	s_and_b32 s0, exec_lo, s0
	s_or_b32 s8, s0, s8
	s_delay_alu instid0(SALU_CYCLE_1)
	s_and_not1_b32 exec_lo, exec_lo, s8
	s_cbranch_execnz .LBB362_16
.LBB362_17:
	s_nop 0
	s_sendmsg sendmsg(MSG_DEALLOC_VGPRS)
	s_endpgm
	.section	.rodata,"a",@progbits
	.p2align	6, 0x0
	.amdhsa_kernel _ZN2at6native12_GLOBAL__N_125multi_tensor_apply_kernelINS1_18TensorListMetadataILi1EEENS1_11ZeroFunctorIN3c108BFloat16ELi1ELi1ELi0EEEJEEEvT_T0_DpT1_
		.amdhsa_group_segment_fixed_size 0
		.amdhsa_private_segment_fixed_size 0
		.amdhsa_kernarg_size 3632
		.amdhsa_user_sgpr_count 15
		.amdhsa_user_sgpr_dispatch_ptr 0
		.amdhsa_user_sgpr_queue_ptr 0
		.amdhsa_user_sgpr_kernarg_segment_ptr 1
		.amdhsa_user_sgpr_dispatch_id 0
		.amdhsa_user_sgpr_private_segment_size 0
		.amdhsa_wavefront_size32 1
		.amdhsa_uses_dynamic_stack 0
		.amdhsa_enable_private_segment 0
		.amdhsa_system_sgpr_workgroup_id_x 1
		.amdhsa_system_sgpr_workgroup_id_y 0
		.amdhsa_system_sgpr_workgroup_id_z 0
		.amdhsa_system_sgpr_workgroup_info 0
		.amdhsa_system_vgpr_workitem_id 0
		.amdhsa_next_free_vgpr 14
		.amdhsa_next_free_sgpr 17
		.amdhsa_reserve_vcc 1
		.amdhsa_float_round_mode_32 0
		.amdhsa_float_round_mode_16_64 0
		.amdhsa_float_denorm_mode_32 3
		.amdhsa_float_denorm_mode_16_64 3
		.amdhsa_dx10_clamp 1
		.amdhsa_ieee_mode 1
		.amdhsa_fp16_overflow 0
		.amdhsa_workgroup_processor_mode 1
		.amdhsa_memory_ordered 1
		.amdhsa_forward_progress 0
		.amdhsa_shared_vgpr_count 0
		.amdhsa_exception_fp_ieee_invalid_op 0
		.amdhsa_exception_fp_denorm_src 0
		.amdhsa_exception_fp_ieee_div_zero 0
		.amdhsa_exception_fp_ieee_overflow 0
		.amdhsa_exception_fp_ieee_underflow 0
		.amdhsa_exception_fp_ieee_inexact 0
		.amdhsa_exception_int_div_zero 0
	.end_amdhsa_kernel
	.section	.text._ZN2at6native12_GLOBAL__N_125multi_tensor_apply_kernelINS1_18TensorListMetadataILi1EEENS1_11ZeroFunctorIN3c108BFloat16ELi1ELi1ELi0EEEJEEEvT_T0_DpT1_,"axG",@progbits,_ZN2at6native12_GLOBAL__N_125multi_tensor_apply_kernelINS1_18TensorListMetadataILi1EEENS1_11ZeroFunctorIN3c108BFloat16ELi1ELi1ELi0EEEJEEEvT_T0_DpT1_,comdat
.Lfunc_end362:
	.size	_ZN2at6native12_GLOBAL__N_125multi_tensor_apply_kernelINS1_18TensorListMetadataILi1EEENS1_11ZeroFunctorIN3c108BFloat16ELi1ELi1ELi0EEEJEEEvT_T0_DpT1_, .Lfunc_end362-_ZN2at6native12_GLOBAL__N_125multi_tensor_apply_kernelINS1_18TensorListMetadataILi1EEENS1_11ZeroFunctorIN3c108BFloat16ELi1ELi1ELi0EEEJEEEvT_T0_DpT1_
                                        ; -- End function
	.section	.AMDGPU.csdata,"",@progbits
; Kernel info:
; codeLenInByte = 828
; NumSgprs: 19
; NumVgprs: 14
; ScratchSize: 0
; MemoryBound: 0
; FloatMode: 240
; IeeeMode: 1
; LDSByteSize: 0 bytes/workgroup (compile time only)
; SGPRBlocks: 2
; VGPRBlocks: 1
; NumSGPRsForWavesPerEU: 19
; NumVGPRsForWavesPerEU: 14
; Occupancy: 16
; WaveLimiterHint : 0
; COMPUTE_PGM_RSRC2:SCRATCH_EN: 0
; COMPUTE_PGM_RSRC2:USER_SGPR: 15
; COMPUTE_PGM_RSRC2:TRAP_HANDLER: 0
; COMPUTE_PGM_RSRC2:TGID_X_EN: 1
; COMPUTE_PGM_RSRC2:TGID_Y_EN: 0
; COMPUTE_PGM_RSRC2:TGID_Z_EN: 0
; COMPUTE_PGM_RSRC2:TIDIG_COMP_CNT: 0
	.section	.text._ZN2at6native12_GLOBAL__N_125multi_tensor_apply_kernelINS1_18TensorListMetadataILi1EEENS1_11ZeroFunctorIbLi1ELi1ELi0EEEJEEEvT_T0_DpT1_,"axG",@progbits,_ZN2at6native12_GLOBAL__N_125multi_tensor_apply_kernelINS1_18TensorListMetadataILi1EEENS1_11ZeroFunctorIbLi1ELi1ELi0EEEJEEEvT_T0_DpT1_,comdat
	.globl	_ZN2at6native12_GLOBAL__N_125multi_tensor_apply_kernelINS1_18TensorListMetadataILi1EEENS1_11ZeroFunctorIbLi1ELi1ELi0EEEJEEEvT_T0_DpT1_ ; -- Begin function _ZN2at6native12_GLOBAL__N_125multi_tensor_apply_kernelINS1_18TensorListMetadataILi1EEENS1_11ZeroFunctorIbLi1ELi1ELi0EEEJEEEvT_T0_DpT1_
	.p2align	8
	.type	_ZN2at6native12_GLOBAL__N_125multi_tensor_apply_kernelINS1_18TensorListMetadataILi1EEENS1_11ZeroFunctorIbLi1ELi1ELi0EEEJEEEvT_T0_DpT1_,@function
_ZN2at6native12_GLOBAL__N_125multi_tensor_apply_kernelINS1_18TensorListMetadataILi1EEENS1_11ZeroFunctorIbLi1ELi1ELi0EEEJEEEvT_T0_DpT1_: ; @_ZN2at6native12_GLOBAL__N_125multi_tensor_apply_kernelINS1_18TensorListMetadataILi1EEENS1_11ZeroFunctorIbLi1ELi1ELi0EEEJEEEvT_T0_DpT1_
; %bb.0:
	v_mov_b32_e32 v1, s15
	s_add_u32 s2, s0, s15
	s_mul_hi_u32 s3, s15, 3
	s_mul_i32 s15, s15, 3
	s_addc_u32 s4, s1, 0
	global_load_u8 v1, v1, s[0:1] offset:1760
	s_add_u32 s2, s2, s15
	s_addc_u32 s3, s4, s3
	s_load_b32 s2, s[2:3], 0x820
	s_waitcnt vmcnt(0)
	v_readfirstlane_b32 s5, v1
	s_delay_alu instid0(VALU_DEP_1)
	s_lshl_b32 s3, s5, 3
	s_clause 0x1
	s_load_b64 s[6:7], s[0:1], s3 offset:0x0
	s_load_b64 s[4:5], s[0:1], s3 offset:0x370
	s_waitcnt lgkmcnt(0)
	s_ashr_i32 s3, s2, 31
	s_delay_alu instid0(SALU_CYCLE_1) | instskip(NEXT) | instid1(SALU_CYCLE_1)
	s_lshl_b64 s[8:9], s[2:3], 16
	s_add_u32 s10, s6, s8
	s_addc_u32 s11, s7, s9
	s_sub_u32 s2, s4, s8
	s_subb_u32 s3, s5, s9
	s_or_b32 s4, s4, s10
	s_delay_alu instid0(SALU_CYCLE_1) | instskip(NEXT) | instid1(SALU_CYCLE_1)
	s_and_b32 s4, s4, 3
	s_cmp_eq_u32 s4, 0
	s_cbranch_scc1 .LBB363_13
; %bb.1:
	v_cmp_lt_i64_e64 s4, s[2:3], 1
	s_delay_alu instid0(VALU_DEP_1)
	s_and_b32 vcc_lo, exec_lo, s4
	s_cbranch_vccnz .LBB363_12
; %bb.2:
	s_load_b32 s4, s[0:1], 0xd3c
	v_add_co_u32 v12, s5, s8, v0
	s_delay_alu instid0(VALU_DEP_1) | instskip(SKIP_1) | instid1(VALU_DEP_3)
	v_add_co_ci_u32_e64 v13, null, s9, 0, s5
	v_cmp_gt_u64_e64 s5, 0x10000, s[2:3]
	v_add_co_u32 v2, vcc_lo, s6, v12
	s_delay_alu instid0(VALU_DEP_3)
	v_add_co_ci_u32_e32 v3, vcc_lo, s7, v13, vcc_lo
	v_mov_b32_e32 v1, 0
	s_waitcnt lgkmcnt(0)
	s_and_b32 s13, s4, 0xffff
	s_and_b32 s4, s5, exec_lo
	s_mul_i32 s15, s13, 3
	s_cselect_b32 s5, s3, 0
	s_cselect_b32 s4, s2, 0x10000
	s_lshl_b32 s14, s13, 1
	s_lshl_b32 s12, s13, 2
	s_add_u32 s16, s8, s15
	v_add_co_u32 v4, s15, s15, v0
	s_delay_alu instid0(VALU_DEP_1)
	v_add_co_ci_u32_e64 v5, null, 0, 0, s15
	s_addc_u32 s15, s9, 0
	s_add_u32 s16, s6, s16
	s_addc_u32 s15, s7, s15
	s_add_u32 s8, s8, s14
	;; [unrolled: 2-line block ×3, first 2 shown]
	s_addc_u32 s9, s7, s9
	v_add_co_u32 v8, s8, s8, v0
	s_add_u32 s6, s6, s13
	v_add_co_u32 v6, s16, s16, v0
	v_add_co_ci_u32_e64 v9, null, s9, 0, s8
	v_add_co_u32 v10, s8, s14, v0
	s_addc_u32 s7, s7, 0
	v_add_co_u32 v12, vcc_lo, s6, v12
	v_add_co_u32 v14, s6, v0, s13
	v_add_co_ci_u32_e64 v7, null, s15, 0, s16
	v_add_co_ci_u32_e64 v11, null, 0, 0, s8
	v_add_co_ci_u32_e32 v13, vcc_lo, s7, v13, vcc_lo
	v_add_co_ci_u32_e64 v15, null, 0, 0, s6
	s_mov_b64 s[6:7], 0
	s_branch .LBB363_4
.LBB363_3:                              ;   in Loop: Header=BB363_4 Depth=1
	s_or_b32 exec_lo, exec_lo, s8
	s_add_u32 s6, s6, s12
	s_addc_u32 s7, s7, 0
	s_delay_alu instid0(SALU_CYCLE_1) | instskip(SKIP_1) | instid1(VALU_DEP_1)
	v_cmp_lt_i64_e64 s8, s[6:7], s[2:3]
	v_cmp_gt_u64_e64 s9, 0x10000, s[6:7]
	s_and_b32 s8, s8, s9
	s_delay_alu instid0(SALU_CYCLE_1)
	s_and_b32 vcc_lo, exec_lo, s8
	s_cbranch_vccz .LBB363_12
.LBB363_4:                              ; =>This Inner Loop Header: Depth=1
	v_add_co_u32 v16, s8, v0, s6
	s_delay_alu instid0(VALU_DEP_1) | instskip(SKIP_1) | instid1(VALU_DEP_1)
	v_add_co_ci_u32_e64 v17, null, 0, s7, s8
	s_mov_b32 s8, exec_lo
	v_cmpx_gt_u64_e64 s[4:5], v[16:17]
	s_cbranch_execz .LBB363_6
; %bb.5:                                ;   in Loop: Header=BB363_4 Depth=1
	v_add_co_u32 v16, vcc_lo, v2, s6
	v_add_co_ci_u32_e32 v17, vcc_lo, s7, v3, vcc_lo
	global_store_b8 v[16:17], v1, off
.LBB363_6:                              ;   in Loop: Header=BB363_4 Depth=1
	s_or_b32 exec_lo, exec_lo, s8
	v_add_co_u32 v16, vcc_lo, v14, s6
	v_add_co_ci_u32_e32 v17, vcc_lo, s7, v15, vcc_lo
	s_mov_b32 s8, exec_lo
	s_delay_alu instid0(VALU_DEP_1)
	v_cmpx_gt_u64_e64 s[4:5], v[16:17]
	s_cbranch_execz .LBB363_8
; %bb.7:                                ;   in Loop: Header=BB363_4 Depth=1
	v_add_co_u32 v16, vcc_lo, v12, s6
	v_add_co_ci_u32_e32 v17, vcc_lo, s7, v13, vcc_lo
	global_store_b8 v[16:17], v1, off
.LBB363_8:                              ;   in Loop: Header=BB363_4 Depth=1
	s_or_b32 exec_lo, exec_lo, s8
	v_add_co_u32 v16, vcc_lo, v10, s6
	v_add_co_ci_u32_e32 v17, vcc_lo, s7, v11, vcc_lo
	s_mov_b32 s8, exec_lo
	s_delay_alu instid0(VALU_DEP_1)
	v_cmpx_gt_u64_e64 s[4:5], v[16:17]
	s_cbranch_execz .LBB363_10
; %bb.9:                                ;   in Loop: Header=BB363_4 Depth=1
	v_add_co_u32 v16, vcc_lo, v8, s6
	v_add_co_ci_u32_e32 v17, vcc_lo, s7, v9, vcc_lo
	global_store_b8 v[16:17], v1, off
.LBB363_10:                             ;   in Loop: Header=BB363_4 Depth=1
	s_or_b32 exec_lo, exec_lo, s8
	v_add_co_u32 v16, vcc_lo, v4, s6
	v_add_co_ci_u32_e32 v17, vcc_lo, s7, v5, vcc_lo
	s_mov_b32 s8, exec_lo
	s_delay_alu instid0(VALU_DEP_1)
	v_cmpx_gt_u64_e64 s[4:5], v[16:17]
	s_cbranch_execz .LBB363_3
; %bb.11:                               ;   in Loop: Header=BB363_4 Depth=1
	v_add_co_u32 v16, vcc_lo, v6, s6
	v_add_co_ci_u32_e32 v17, vcc_lo, s7, v7, vcc_lo
	global_store_b8 v[16:17], v1, off
	s_branch .LBB363_3
.LBB363_12:
	s_cbranch_execz .LBB363_14
	s_branch .LBB363_17
.LBB363_13:
.LBB363_14:
	v_dual_mov_b32 v1, 0 :: v_dual_lshlrev_b32 v0, 2, v0
	s_mov_b32 s4, exec_lo
	s_delay_alu instid0(VALU_DEP_1)
	v_cmpx_gt_i64_e64 s[2:3], v[0:1]
	s_cbranch_execz .LBB363_17
; %bb.15:
	s_load_b32 s0, s[0:1], 0xd3c
	v_dual_mov_b32 v3, v1 :: v_dual_mov_b32 v2, v0
	s_mov_b32 s4, 0
	s_waitcnt lgkmcnt(0)
	s_and_b32 s0, s0, 0xffff
	s_delay_alu instid0(SALU_CYCLE_1)
	s_lshl_b32 s1, s0, 2
	.p2align	6
.LBB363_16:                             ; =>This Inner Loop Header: Depth=1
	v_add_co_u32 v4, vcc_lo, s10, v2
	v_add_co_ci_u32_e32 v5, vcc_lo, s11, v3, vcc_lo
	v_add_co_u32 v2, vcc_lo, s1, v2
	v_add_co_ci_u32_e32 v3, vcc_lo, 0, v3, vcc_lo
	global_store_b32 v[4:5], v1, off
	v_cmp_le_i64_e32 vcc_lo, s[2:3], v[2:3]
	v_cmp_lt_u64_e64 s0, 0xffff, v[2:3]
	s_delay_alu instid0(VALU_DEP_1) | instskip(NEXT) | instid1(SALU_CYCLE_1)
	s_or_b32 s0, vcc_lo, s0
	s_and_b32 s0, exec_lo, s0
	s_delay_alu instid0(SALU_CYCLE_1) | instskip(NEXT) | instid1(SALU_CYCLE_1)
	s_or_b32 s4, s0, s4
	s_and_not1_b32 exec_lo, exec_lo, s4
	s_cbranch_execnz .LBB363_16
.LBB363_17:
	s_nop 0
	s_sendmsg sendmsg(MSG_DEALLOC_VGPRS)
	s_endpgm
	.section	.rodata,"a",@progbits
	.p2align	6, 0x0
	.amdhsa_kernel _ZN2at6native12_GLOBAL__N_125multi_tensor_apply_kernelINS1_18TensorListMetadataILi1EEENS1_11ZeroFunctorIbLi1ELi1ELi0EEEJEEEvT_T0_DpT1_
		.amdhsa_group_segment_fixed_size 0
		.amdhsa_private_segment_fixed_size 0
		.amdhsa_kernarg_size 3632
		.amdhsa_user_sgpr_count 15
		.amdhsa_user_sgpr_dispatch_ptr 0
		.amdhsa_user_sgpr_queue_ptr 0
		.amdhsa_user_sgpr_kernarg_segment_ptr 1
		.amdhsa_user_sgpr_dispatch_id 0
		.amdhsa_user_sgpr_private_segment_size 0
		.amdhsa_wavefront_size32 1
		.amdhsa_uses_dynamic_stack 0
		.amdhsa_enable_private_segment 0
		.amdhsa_system_sgpr_workgroup_id_x 1
		.amdhsa_system_sgpr_workgroup_id_y 0
		.amdhsa_system_sgpr_workgroup_id_z 0
		.amdhsa_system_sgpr_workgroup_info 0
		.amdhsa_system_vgpr_workitem_id 0
		.amdhsa_next_free_vgpr 18
		.amdhsa_next_free_sgpr 17
		.amdhsa_reserve_vcc 1
		.amdhsa_float_round_mode_32 0
		.amdhsa_float_round_mode_16_64 0
		.amdhsa_float_denorm_mode_32 3
		.amdhsa_float_denorm_mode_16_64 3
		.amdhsa_dx10_clamp 1
		.amdhsa_ieee_mode 1
		.amdhsa_fp16_overflow 0
		.amdhsa_workgroup_processor_mode 1
		.amdhsa_memory_ordered 1
		.amdhsa_forward_progress 0
		.amdhsa_shared_vgpr_count 0
		.amdhsa_exception_fp_ieee_invalid_op 0
		.amdhsa_exception_fp_denorm_src 0
		.amdhsa_exception_fp_ieee_div_zero 0
		.amdhsa_exception_fp_ieee_overflow 0
		.amdhsa_exception_fp_ieee_underflow 0
		.amdhsa_exception_fp_ieee_inexact 0
		.amdhsa_exception_int_div_zero 0
	.end_amdhsa_kernel
	.section	.text._ZN2at6native12_GLOBAL__N_125multi_tensor_apply_kernelINS1_18TensorListMetadataILi1EEENS1_11ZeroFunctorIbLi1ELi1ELi0EEEJEEEvT_T0_DpT1_,"axG",@progbits,_ZN2at6native12_GLOBAL__N_125multi_tensor_apply_kernelINS1_18TensorListMetadataILi1EEENS1_11ZeroFunctorIbLi1ELi1ELi0EEEJEEEvT_T0_DpT1_,comdat
.Lfunc_end363:
	.size	_ZN2at6native12_GLOBAL__N_125multi_tensor_apply_kernelINS1_18TensorListMetadataILi1EEENS1_11ZeroFunctorIbLi1ELi1ELi0EEEJEEEvT_T0_DpT1_, .Lfunc_end363-_ZN2at6native12_GLOBAL__N_125multi_tensor_apply_kernelINS1_18TensorListMetadataILi1EEENS1_11ZeroFunctorIbLi1ELi1ELi0EEEJEEEvT_T0_DpT1_
                                        ; -- End function
	.section	.AMDGPU.csdata,"",@progbits
; Kernel info:
; codeLenInByte = 840
; NumSgprs: 19
; NumVgprs: 18
; ScratchSize: 0
; MemoryBound: 0
; FloatMode: 240
; IeeeMode: 1
; LDSByteSize: 0 bytes/workgroup (compile time only)
; SGPRBlocks: 2
; VGPRBlocks: 2
; NumSGPRsForWavesPerEU: 19
; NumVGPRsForWavesPerEU: 18
; Occupancy: 16
; WaveLimiterHint : 0
; COMPUTE_PGM_RSRC2:SCRATCH_EN: 0
; COMPUTE_PGM_RSRC2:USER_SGPR: 15
; COMPUTE_PGM_RSRC2:TRAP_HANDLER: 0
; COMPUTE_PGM_RSRC2:TGID_X_EN: 1
; COMPUTE_PGM_RSRC2:TGID_Y_EN: 0
; COMPUTE_PGM_RSRC2:TGID_Z_EN: 0
; COMPUTE_PGM_RSRC2:TIDIG_COMP_CNT: 0
	.text
	.p2alignl 7, 3214868480
	.fill 96, 4, 3214868480
	.type	__hip_cuid_dc5acdfc0c039446,@object ; @__hip_cuid_dc5acdfc0c039446
	.section	.bss,"aw",@nobits
	.globl	__hip_cuid_dc5acdfc0c039446
__hip_cuid_dc5acdfc0c039446:
	.byte	0                               ; 0x0
	.size	__hip_cuid_dc5acdfc0c039446, 1

	.ident	"AMD clang version 19.0.0git (https://github.com/RadeonOpenCompute/llvm-project roc-6.4.0 25133 c7fe45cf4b819c5991fe208aaa96edf142730f1d)"
	.section	".note.GNU-stack","",@progbits
	.addrsig
	.addrsig_sym __hip_cuid_dc5acdfc0c039446
	.amdgpu_metadata
---
amdhsa.kernels:
  - .args:
      - .offset:         0
        .size:           3144
        .value_kind:     by_value
      - .offset:         3144
        .size:           1
        .value_kind:     by_value
      - .offset:         3145
        .size:           1
        .value_kind:     by_value
      - .offset:         3152
        .size:           4
        .value_kind:     hidden_block_count_x
      - .offset:         3156
        .size:           4
        .value_kind:     hidden_block_count_y
      - .offset:         3160
        .size:           4
        .value_kind:     hidden_block_count_z
      - .offset:         3164
        .size:           2
        .value_kind:     hidden_group_size_x
      - .offset:         3166
        .size:           2
        .value_kind:     hidden_group_size_y
      - .offset:         3168
        .size:           2
        .value_kind:     hidden_group_size_z
      - .offset:         3170
        .size:           2
        .value_kind:     hidden_remainder_x
      - .offset:         3172
        .size:           2
        .value_kind:     hidden_remainder_y
      - .offset:         3174
        .size:           2
        .value_kind:     hidden_remainder_z
      - .offset:         3192
        .size:           8
        .value_kind:     hidden_global_offset_x
      - .offset:         3200
        .size:           8
        .value_kind:     hidden_global_offset_y
      - .offset:         3208
        .size:           8
        .value_kind:     hidden_global_offset_z
      - .offset:         3216
        .size:           2
        .value_kind:     hidden_grid_dims
    .group_segment_fixed_size: 0
    .kernarg_segment_align: 8
    .kernarg_segment_size: 3408
    .language:       OpenCL C
    .language_version:
      - 2
      - 0
    .max_flat_workgroup_size: 512
    .name:           _ZN2at6native12_GLOBAL__N_125multi_tensor_apply_kernelINS1_18TensorListMetadataILi2EEENS1_14UnaryOpFunctorIdLi2ELi1ELi1EEEJNS0_4ErfcIdEEEEEvT_T0_DpT1_
    .private_segment_fixed_size: 0
    .sgpr_count:     100
    .sgpr_spill_count: 0
    .symbol:         _ZN2at6native12_GLOBAL__N_125multi_tensor_apply_kernelINS1_18TensorListMetadataILi2EEENS1_14UnaryOpFunctorIdLi2ELi1ELi1EEEJNS0_4ErfcIdEEEEEvT_T0_DpT1_.kd
    .uniform_work_group_size: 1
    .uses_dynamic_stack: false
    .vgpr_count:     92
    .vgpr_spill_count: 0
    .wavefront_size: 32
    .workgroup_processor_mode: 1
  - .args:
      - .offset:         0
        .size:           3144
        .value_kind:     by_value
      - .offset:         3144
        .size:           1
        .value_kind:     by_value
      - .offset:         3145
        .size:           1
        .value_kind:     by_value
      - .offset:         3152
        .size:           4
        .value_kind:     hidden_block_count_x
      - .offset:         3156
        .size:           4
        .value_kind:     hidden_block_count_y
      - .offset:         3160
        .size:           4
        .value_kind:     hidden_block_count_z
      - .offset:         3164
        .size:           2
        .value_kind:     hidden_group_size_x
      - .offset:         3166
        .size:           2
        .value_kind:     hidden_group_size_y
      - .offset:         3168
        .size:           2
        .value_kind:     hidden_group_size_z
      - .offset:         3170
        .size:           2
        .value_kind:     hidden_remainder_x
      - .offset:         3172
        .size:           2
        .value_kind:     hidden_remainder_y
      - .offset:         3174
        .size:           2
        .value_kind:     hidden_remainder_z
      - .offset:         3192
        .size:           8
        .value_kind:     hidden_global_offset_x
      - .offset:         3200
        .size:           8
        .value_kind:     hidden_global_offset_y
      - .offset:         3208
        .size:           8
        .value_kind:     hidden_global_offset_z
      - .offset:         3216
        .size:           2
        .value_kind:     hidden_grid_dims
    .group_segment_fixed_size: 0
    .kernarg_segment_align: 8
    .kernarg_segment_size: 3408
    .language:       OpenCL C
    .language_version:
      - 2
      - 0
    .max_flat_workgroup_size: 512
    .name:           _ZN2at6native12_GLOBAL__N_125multi_tensor_apply_kernelINS1_18TensorListMetadataILi2EEENS1_14UnaryOpFunctorIfLi2ELi1ELi1EEEJNS0_4ErfcIfEEEEEvT_T0_DpT1_
    .private_segment_fixed_size: 0
    .sgpr_count:     26
    .sgpr_spill_count: 0
    .symbol:         _ZN2at6native12_GLOBAL__N_125multi_tensor_apply_kernelINS1_18TensorListMetadataILi2EEENS1_14UnaryOpFunctorIfLi2ELi1ELi1EEEJNS0_4ErfcIfEEEEEvT_T0_DpT1_.kd
    .uniform_work_group_size: 1
    .uses_dynamic_stack: false
    .vgpr_count:     46
    .vgpr_spill_count: 0
    .wavefront_size: 32
    .workgroup_processor_mode: 1
  - .args:
      - .offset:         0
        .size:           3144
        .value_kind:     by_value
      - .offset:         3144
        .size:           1
        .value_kind:     by_value
      - .offset:         3145
        .size:           1
        .value_kind:     by_value
      - .offset:         3152
        .size:           4
        .value_kind:     hidden_block_count_x
      - .offset:         3156
        .size:           4
        .value_kind:     hidden_block_count_y
      - .offset:         3160
        .size:           4
        .value_kind:     hidden_block_count_z
      - .offset:         3164
        .size:           2
        .value_kind:     hidden_group_size_x
      - .offset:         3166
        .size:           2
        .value_kind:     hidden_group_size_y
      - .offset:         3168
        .size:           2
        .value_kind:     hidden_group_size_z
      - .offset:         3170
        .size:           2
        .value_kind:     hidden_remainder_x
      - .offset:         3172
        .size:           2
        .value_kind:     hidden_remainder_y
      - .offset:         3174
        .size:           2
        .value_kind:     hidden_remainder_z
      - .offset:         3192
        .size:           8
        .value_kind:     hidden_global_offset_x
      - .offset:         3200
        .size:           8
        .value_kind:     hidden_global_offset_y
      - .offset:         3208
        .size:           8
        .value_kind:     hidden_global_offset_z
      - .offset:         3216
        .size:           2
        .value_kind:     hidden_grid_dims
    .group_segment_fixed_size: 0
    .kernarg_segment_align: 8
    .kernarg_segment_size: 3408
    .language:       OpenCL C
    .language_version:
      - 2
      - 0
    .max_flat_workgroup_size: 512
    .name:           _ZN2at6native12_GLOBAL__N_125multi_tensor_apply_kernelINS1_18TensorListMetadataILi2EEENS1_14UnaryOpFunctorIN3c104HalfELi2ELi1ELi1EEEJNS0_4ErfcIfEEEEEvT_T0_DpT1_
    .private_segment_fixed_size: 0
    .sgpr_count:     26
    .sgpr_spill_count: 0
    .symbol:         _ZN2at6native12_GLOBAL__N_125multi_tensor_apply_kernelINS1_18TensorListMetadataILi2EEENS1_14UnaryOpFunctorIN3c104HalfELi2ELi1ELi1EEEJNS0_4ErfcIfEEEEEvT_T0_DpT1_.kd
    .uniform_work_group_size: 1
    .uses_dynamic_stack: false
    .vgpr_count:     50
    .vgpr_spill_count: 0
    .wavefront_size: 32
    .workgroup_processor_mode: 1
  - .args:
      - .offset:         0
        .size:           3144
        .value_kind:     by_value
      - .offset:         3144
        .size:           1
        .value_kind:     by_value
      - .offset:         3145
        .size:           1
        .value_kind:     by_value
      - .offset:         3152
        .size:           4
        .value_kind:     hidden_block_count_x
      - .offset:         3156
        .size:           4
        .value_kind:     hidden_block_count_y
      - .offset:         3160
        .size:           4
        .value_kind:     hidden_block_count_z
      - .offset:         3164
        .size:           2
        .value_kind:     hidden_group_size_x
      - .offset:         3166
        .size:           2
        .value_kind:     hidden_group_size_y
      - .offset:         3168
        .size:           2
        .value_kind:     hidden_group_size_z
      - .offset:         3170
        .size:           2
        .value_kind:     hidden_remainder_x
      - .offset:         3172
        .size:           2
        .value_kind:     hidden_remainder_y
      - .offset:         3174
        .size:           2
        .value_kind:     hidden_remainder_z
      - .offset:         3192
        .size:           8
        .value_kind:     hidden_global_offset_x
      - .offset:         3200
        .size:           8
        .value_kind:     hidden_global_offset_y
      - .offset:         3208
        .size:           8
        .value_kind:     hidden_global_offset_z
      - .offset:         3216
        .size:           2
        .value_kind:     hidden_grid_dims
    .group_segment_fixed_size: 0
    .kernarg_segment_align: 8
    .kernarg_segment_size: 3408
    .language:       OpenCL C
    .language_version:
      - 2
      - 0
    .max_flat_workgroup_size: 512
    .name:           _ZN2at6native12_GLOBAL__N_125multi_tensor_apply_kernelINS1_18TensorListMetadataILi2EEENS1_14UnaryOpFunctorIN3c108BFloat16ELi2ELi1ELi1EEEJNS0_4ErfcIfEEEEEvT_T0_DpT1_
    .private_segment_fixed_size: 0
    .sgpr_count:     23
    .sgpr_spill_count: 0
    .symbol:         _ZN2at6native12_GLOBAL__N_125multi_tensor_apply_kernelINS1_18TensorListMetadataILi2EEENS1_14UnaryOpFunctorIN3c108BFloat16ELi2ELi1ELi1EEEJNS0_4ErfcIfEEEEEvT_T0_DpT1_.kd
    .uniform_work_group_size: 1
    .uses_dynamic_stack: false
    .vgpr_count:     47
    .vgpr_spill_count: 0
    .wavefront_size: 32
    .workgroup_processor_mode: 1
  - .args:
      - .offset:         0
        .size:           3368
        .value_kind:     by_value
      - .offset:         3368
        .size:           1
        .value_kind:     by_value
      - .offset:         3369
        .size:           1
        .value_kind:     by_value
      - .offset:         3376
        .size:           4
        .value_kind:     hidden_block_count_x
      - .offset:         3380
        .size:           4
        .value_kind:     hidden_block_count_y
      - .offset:         3384
        .size:           4
        .value_kind:     hidden_block_count_z
      - .offset:         3388
        .size:           2
        .value_kind:     hidden_group_size_x
      - .offset:         3390
        .size:           2
        .value_kind:     hidden_group_size_y
      - .offset:         3392
        .size:           2
        .value_kind:     hidden_group_size_z
      - .offset:         3394
        .size:           2
        .value_kind:     hidden_remainder_x
      - .offset:         3396
        .size:           2
        .value_kind:     hidden_remainder_y
      - .offset:         3398
        .size:           2
        .value_kind:     hidden_remainder_z
      - .offset:         3416
        .size:           8
        .value_kind:     hidden_global_offset_x
      - .offset:         3424
        .size:           8
        .value_kind:     hidden_global_offset_y
      - .offset:         3432
        .size:           8
        .value_kind:     hidden_global_offset_z
      - .offset:         3440
        .size:           2
        .value_kind:     hidden_grid_dims
    .group_segment_fixed_size: 0
    .kernarg_segment_align: 8
    .kernarg_segment_size: 3632
    .language:       OpenCL C
    .language_version:
      - 2
      - 0
    .max_flat_workgroup_size: 512
    .name:           _ZN2at6native12_GLOBAL__N_125multi_tensor_apply_kernelINS1_18TensorListMetadataILi1EEENS1_14UnaryOpFunctorIdLi1ELi1ELi0EEEJNS0_4ErfcIdEEEEEvT_T0_DpT1_
    .private_segment_fixed_size: 0
    .sgpr_count:     96
    .sgpr_spill_count: 0
    .symbol:         _ZN2at6native12_GLOBAL__N_125multi_tensor_apply_kernelINS1_18TensorListMetadataILi1EEENS1_14UnaryOpFunctorIdLi1ELi1ELi0EEEJNS0_4ErfcIdEEEEEvT_T0_DpT1_.kd
    .uniform_work_group_size: 1
    .uses_dynamic_stack: false
    .vgpr_count:     92
    .vgpr_spill_count: 0
    .wavefront_size: 32
    .workgroup_processor_mode: 1
  - .args:
      - .offset:         0
        .size:           3368
        .value_kind:     by_value
      - .offset:         3368
        .size:           1
        .value_kind:     by_value
      - .offset:         3369
        .size:           1
        .value_kind:     by_value
      - .offset:         3376
        .size:           4
        .value_kind:     hidden_block_count_x
      - .offset:         3380
        .size:           4
        .value_kind:     hidden_block_count_y
      - .offset:         3384
        .size:           4
        .value_kind:     hidden_block_count_z
      - .offset:         3388
        .size:           2
        .value_kind:     hidden_group_size_x
      - .offset:         3390
        .size:           2
        .value_kind:     hidden_group_size_y
      - .offset:         3392
        .size:           2
        .value_kind:     hidden_group_size_z
      - .offset:         3394
        .size:           2
        .value_kind:     hidden_remainder_x
      - .offset:         3396
        .size:           2
        .value_kind:     hidden_remainder_y
      - .offset:         3398
        .size:           2
        .value_kind:     hidden_remainder_z
      - .offset:         3416
        .size:           8
        .value_kind:     hidden_global_offset_x
      - .offset:         3424
        .size:           8
        .value_kind:     hidden_global_offset_y
      - .offset:         3432
        .size:           8
        .value_kind:     hidden_global_offset_z
      - .offset:         3440
        .size:           2
        .value_kind:     hidden_grid_dims
    .group_segment_fixed_size: 0
    .kernarg_segment_align: 8
    .kernarg_segment_size: 3632
    .language:       OpenCL C
    .language_version:
      - 2
      - 0
    .max_flat_workgroup_size: 512
    .name:           _ZN2at6native12_GLOBAL__N_125multi_tensor_apply_kernelINS1_18TensorListMetadataILi1EEENS1_14UnaryOpFunctorIfLi1ELi1ELi0EEEJNS0_4ErfcIfEEEEEvT_T0_DpT1_
    .private_segment_fixed_size: 0
    .sgpr_count:     24
    .sgpr_spill_count: 0
    .symbol:         _ZN2at6native12_GLOBAL__N_125multi_tensor_apply_kernelINS1_18TensorListMetadataILi1EEENS1_14UnaryOpFunctorIfLi1ELi1ELi0EEEJNS0_4ErfcIfEEEEEvT_T0_DpT1_.kd
    .uniform_work_group_size: 1
    .uses_dynamic_stack: false
    .vgpr_count:     44
    .vgpr_spill_count: 0
    .wavefront_size: 32
    .workgroup_processor_mode: 1
  - .args:
      - .offset:         0
        .size:           3368
        .value_kind:     by_value
      - .offset:         3368
        .size:           1
        .value_kind:     by_value
      - .offset:         3369
        .size:           1
        .value_kind:     by_value
      - .offset:         3376
        .size:           4
        .value_kind:     hidden_block_count_x
      - .offset:         3380
        .size:           4
        .value_kind:     hidden_block_count_y
      - .offset:         3384
        .size:           4
        .value_kind:     hidden_block_count_z
      - .offset:         3388
        .size:           2
        .value_kind:     hidden_group_size_x
      - .offset:         3390
        .size:           2
        .value_kind:     hidden_group_size_y
      - .offset:         3392
        .size:           2
        .value_kind:     hidden_group_size_z
      - .offset:         3394
        .size:           2
        .value_kind:     hidden_remainder_x
      - .offset:         3396
        .size:           2
        .value_kind:     hidden_remainder_y
      - .offset:         3398
        .size:           2
        .value_kind:     hidden_remainder_z
      - .offset:         3416
        .size:           8
        .value_kind:     hidden_global_offset_x
      - .offset:         3424
        .size:           8
        .value_kind:     hidden_global_offset_y
      - .offset:         3432
        .size:           8
        .value_kind:     hidden_global_offset_z
      - .offset:         3440
        .size:           2
        .value_kind:     hidden_grid_dims
    .group_segment_fixed_size: 0
    .kernarg_segment_align: 8
    .kernarg_segment_size: 3632
    .language:       OpenCL C
    .language_version:
      - 2
      - 0
    .max_flat_workgroup_size: 512
    .name:           _ZN2at6native12_GLOBAL__N_125multi_tensor_apply_kernelINS1_18TensorListMetadataILi1EEENS1_14UnaryOpFunctorIN3c104HalfELi1ELi1ELi0EEEJNS0_4ErfcIfEEEEEvT_T0_DpT1_
    .private_segment_fixed_size: 0
    .sgpr_count:     24
    .sgpr_spill_count: 0
    .symbol:         _ZN2at6native12_GLOBAL__N_125multi_tensor_apply_kernelINS1_18TensorListMetadataILi1EEENS1_14UnaryOpFunctorIN3c104HalfELi1ELi1ELi0EEEJNS0_4ErfcIfEEEEEvT_T0_DpT1_.kd
    .uniform_work_group_size: 1
    .uses_dynamic_stack: false
    .vgpr_count:     48
    .vgpr_spill_count: 0
    .wavefront_size: 32
    .workgroup_processor_mode: 1
  - .args:
      - .offset:         0
        .size:           3368
        .value_kind:     by_value
      - .offset:         3368
        .size:           1
        .value_kind:     by_value
      - .offset:         3369
        .size:           1
        .value_kind:     by_value
      - .offset:         3376
        .size:           4
        .value_kind:     hidden_block_count_x
      - .offset:         3380
        .size:           4
        .value_kind:     hidden_block_count_y
      - .offset:         3384
        .size:           4
        .value_kind:     hidden_block_count_z
      - .offset:         3388
        .size:           2
        .value_kind:     hidden_group_size_x
      - .offset:         3390
        .size:           2
        .value_kind:     hidden_group_size_y
      - .offset:         3392
        .size:           2
        .value_kind:     hidden_group_size_z
      - .offset:         3394
        .size:           2
        .value_kind:     hidden_remainder_x
      - .offset:         3396
        .size:           2
        .value_kind:     hidden_remainder_y
      - .offset:         3398
        .size:           2
        .value_kind:     hidden_remainder_z
      - .offset:         3416
        .size:           8
        .value_kind:     hidden_global_offset_x
      - .offset:         3424
        .size:           8
        .value_kind:     hidden_global_offset_y
      - .offset:         3432
        .size:           8
        .value_kind:     hidden_global_offset_z
      - .offset:         3440
        .size:           2
        .value_kind:     hidden_grid_dims
    .group_segment_fixed_size: 0
    .kernarg_segment_align: 8
    .kernarg_segment_size: 3632
    .language:       OpenCL C
    .language_version:
      - 2
      - 0
    .max_flat_workgroup_size: 512
    .name:           _ZN2at6native12_GLOBAL__N_125multi_tensor_apply_kernelINS1_18TensorListMetadataILi1EEENS1_14UnaryOpFunctorIN3c108BFloat16ELi1ELi1ELi0EEEJNS0_4ErfcIfEEEEEvT_T0_DpT1_
    .private_segment_fixed_size: 0
    .sgpr_count:     23
    .sgpr_spill_count: 0
    .symbol:         _ZN2at6native12_GLOBAL__N_125multi_tensor_apply_kernelINS1_18TensorListMetadataILi1EEENS1_14UnaryOpFunctorIN3c108BFloat16ELi1ELi1ELi0EEEJNS0_4ErfcIfEEEEEvT_T0_DpT1_.kd
    .uniform_work_group_size: 1
    .uses_dynamic_stack: false
    .vgpr_count:     44
    .vgpr_spill_count: 0
    .wavefront_size: 32
    .workgroup_processor_mode: 1
  - .args:
      - .offset:         0
        .size:           3144
        .value_kind:     by_value
      - .offset:         3144
        .size:           1
        .value_kind:     by_value
      - .offset:         3145
        .size:           1
        .value_kind:     by_value
      - .offset:         3152
        .size:           4
        .value_kind:     hidden_block_count_x
      - .offset:         3156
        .size:           4
        .value_kind:     hidden_block_count_y
      - .offset:         3160
        .size:           4
        .value_kind:     hidden_block_count_z
      - .offset:         3164
        .size:           2
        .value_kind:     hidden_group_size_x
      - .offset:         3166
        .size:           2
        .value_kind:     hidden_group_size_y
      - .offset:         3168
        .size:           2
        .value_kind:     hidden_group_size_z
      - .offset:         3170
        .size:           2
        .value_kind:     hidden_remainder_x
      - .offset:         3172
        .size:           2
        .value_kind:     hidden_remainder_y
      - .offset:         3174
        .size:           2
        .value_kind:     hidden_remainder_z
      - .offset:         3192
        .size:           8
        .value_kind:     hidden_global_offset_x
      - .offset:         3200
        .size:           8
        .value_kind:     hidden_global_offset_y
      - .offset:         3208
        .size:           8
        .value_kind:     hidden_global_offset_z
      - .offset:         3216
        .size:           2
        .value_kind:     hidden_grid_dims
    .group_segment_fixed_size: 0
    .kernarg_segment_align: 8
    .kernarg_segment_size: 3408
    .language:       OpenCL C
    .language_version:
      - 2
      - 0
    .max_flat_workgroup_size: 512
    .name:           _ZN2at6native12_GLOBAL__N_125multi_tensor_apply_kernelINS1_18TensorListMetadataILi2EEENS1_14UnaryOpFunctorIdLi2ELi1ELi1EEEJNS0_6LgammaIdEEEEEvT_T0_DpT1_
    .private_segment_fixed_size: 0
    .sgpr_count:     107
    .sgpr_spill_count: 1
    .symbol:         _ZN2at6native12_GLOBAL__N_125multi_tensor_apply_kernelINS1_18TensorListMetadataILi2EEENS1_14UnaryOpFunctorIdLi2ELi1ELi1EEEJNS0_6LgammaIdEEEEEvT_T0_DpT1_.kd
    .uniform_work_group_size: 1
    .uses_dynamic_stack: false
    .vgpr_count:     68
    .vgpr_spill_count: 0
    .wavefront_size: 32
    .workgroup_processor_mode: 1
  - .args:
      - .offset:         0
        .size:           3144
        .value_kind:     by_value
      - .offset:         3144
        .size:           1
        .value_kind:     by_value
      - .offset:         3145
        .size:           1
        .value_kind:     by_value
      - .offset:         3152
        .size:           4
        .value_kind:     hidden_block_count_x
      - .offset:         3156
        .size:           4
        .value_kind:     hidden_block_count_y
      - .offset:         3160
        .size:           4
        .value_kind:     hidden_block_count_z
      - .offset:         3164
        .size:           2
        .value_kind:     hidden_group_size_x
      - .offset:         3166
        .size:           2
        .value_kind:     hidden_group_size_y
      - .offset:         3168
        .size:           2
        .value_kind:     hidden_group_size_z
      - .offset:         3170
        .size:           2
        .value_kind:     hidden_remainder_x
      - .offset:         3172
        .size:           2
        .value_kind:     hidden_remainder_y
      - .offset:         3174
        .size:           2
        .value_kind:     hidden_remainder_z
      - .offset:         3192
        .size:           8
        .value_kind:     hidden_global_offset_x
      - .offset:         3200
        .size:           8
        .value_kind:     hidden_global_offset_y
      - .offset:         3208
        .size:           8
        .value_kind:     hidden_global_offset_z
      - .offset:         3216
        .size:           2
        .value_kind:     hidden_grid_dims
    .group_segment_fixed_size: 0
    .kernarg_segment_align: 8
    .kernarg_segment_size: 3408
    .language:       OpenCL C
    .language_version:
      - 2
      - 0
    .max_flat_workgroup_size: 512
    .name:           _ZN2at6native12_GLOBAL__N_125multi_tensor_apply_kernelINS1_18TensorListMetadataILi2EEENS1_14UnaryOpFunctorIfLi2ELi1ELi1EEEJNS0_6LgammaIfEEEEEvT_T0_DpT1_
    .private_segment_fixed_size: 0
    .sgpr_count:     42
    .sgpr_spill_count: 0
    .symbol:         _ZN2at6native12_GLOBAL__N_125multi_tensor_apply_kernelINS1_18TensorListMetadataILi2EEENS1_14UnaryOpFunctorIfLi2ELi1ELi1EEEJNS0_6LgammaIfEEEEEvT_T0_DpT1_.kd
    .uniform_work_group_size: 1
    .uses_dynamic_stack: false
    .vgpr_count:     38
    .vgpr_spill_count: 0
    .wavefront_size: 32
    .workgroup_processor_mode: 1
  - .args:
      - .offset:         0
        .size:           3144
        .value_kind:     by_value
      - .offset:         3144
        .size:           1
        .value_kind:     by_value
      - .offset:         3145
        .size:           1
        .value_kind:     by_value
      - .offset:         3152
        .size:           4
        .value_kind:     hidden_block_count_x
      - .offset:         3156
        .size:           4
        .value_kind:     hidden_block_count_y
      - .offset:         3160
        .size:           4
        .value_kind:     hidden_block_count_z
      - .offset:         3164
        .size:           2
        .value_kind:     hidden_group_size_x
      - .offset:         3166
        .size:           2
        .value_kind:     hidden_group_size_y
      - .offset:         3168
        .size:           2
        .value_kind:     hidden_group_size_z
      - .offset:         3170
        .size:           2
        .value_kind:     hidden_remainder_x
      - .offset:         3172
        .size:           2
        .value_kind:     hidden_remainder_y
      - .offset:         3174
        .size:           2
        .value_kind:     hidden_remainder_z
      - .offset:         3192
        .size:           8
        .value_kind:     hidden_global_offset_x
      - .offset:         3200
        .size:           8
        .value_kind:     hidden_global_offset_y
      - .offset:         3208
        .size:           8
        .value_kind:     hidden_global_offset_z
      - .offset:         3216
        .size:           2
        .value_kind:     hidden_grid_dims
    .group_segment_fixed_size: 0
    .kernarg_segment_align: 8
    .kernarg_segment_size: 3408
    .language:       OpenCL C
    .language_version:
      - 2
      - 0
    .max_flat_workgroup_size: 512
    .name:           _ZN2at6native12_GLOBAL__N_125multi_tensor_apply_kernelINS1_18TensorListMetadataILi2EEENS1_14UnaryOpFunctorIN3c104HalfELi2ELi1ELi1EEEJNS0_6LgammaIfEEEEEvT_T0_DpT1_
    .private_segment_fixed_size: 0
    .sgpr_count:     42
    .sgpr_spill_count: 0
    .symbol:         _ZN2at6native12_GLOBAL__N_125multi_tensor_apply_kernelINS1_18TensorListMetadataILi2EEENS1_14UnaryOpFunctorIN3c104HalfELi2ELi1ELi1EEEJNS0_6LgammaIfEEEEEvT_T0_DpT1_.kd
    .uniform_work_group_size: 1
    .uses_dynamic_stack: false
    .vgpr_count:     42
    .vgpr_spill_count: 0
    .wavefront_size: 32
    .workgroup_processor_mode: 1
  - .args:
      - .offset:         0
        .size:           3144
        .value_kind:     by_value
      - .offset:         3144
        .size:           1
        .value_kind:     by_value
      - .offset:         3145
        .size:           1
        .value_kind:     by_value
      - .offset:         3152
        .size:           4
        .value_kind:     hidden_block_count_x
      - .offset:         3156
        .size:           4
        .value_kind:     hidden_block_count_y
      - .offset:         3160
        .size:           4
        .value_kind:     hidden_block_count_z
      - .offset:         3164
        .size:           2
        .value_kind:     hidden_group_size_x
      - .offset:         3166
        .size:           2
        .value_kind:     hidden_group_size_y
      - .offset:         3168
        .size:           2
        .value_kind:     hidden_group_size_z
      - .offset:         3170
        .size:           2
        .value_kind:     hidden_remainder_x
      - .offset:         3172
        .size:           2
        .value_kind:     hidden_remainder_y
      - .offset:         3174
        .size:           2
        .value_kind:     hidden_remainder_z
      - .offset:         3192
        .size:           8
        .value_kind:     hidden_global_offset_x
      - .offset:         3200
        .size:           8
        .value_kind:     hidden_global_offset_y
      - .offset:         3208
        .size:           8
        .value_kind:     hidden_global_offset_z
      - .offset:         3216
        .size:           2
        .value_kind:     hidden_grid_dims
    .group_segment_fixed_size: 0
    .kernarg_segment_align: 8
    .kernarg_segment_size: 3408
    .language:       OpenCL C
    .language_version:
      - 2
      - 0
    .max_flat_workgroup_size: 512
    .name:           _ZN2at6native12_GLOBAL__N_125multi_tensor_apply_kernelINS1_18TensorListMetadataILi2EEENS1_14UnaryOpFunctorIN3c108BFloat16ELi2ELi1ELi1EEEJNS0_6LgammaIfEEEEEvT_T0_DpT1_
    .private_segment_fixed_size: 0
    .sgpr_count:     38
    .sgpr_spill_count: 0
    .symbol:         _ZN2at6native12_GLOBAL__N_125multi_tensor_apply_kernelINS1_18TensorListMetadataILi2EEENS1_14UnaryOpFunctorIN3c108BFloat16ELi2ELi1ELi1EEEJNS0_6LgammaIfEEEEEvT_T0_DpT1_.kd
    .uniform_work_group_size: 1
    .uses_dynamic_stack: false
    .vgpr_count:     38
    .vgpr_spill_count: 0
    .wavefront_size: 32
    .workgroup_processor_mode: 1
  - .args:
      - .offset:         0
        .size:           3368
        .value_kind:     by_value
      - .offset:         3368
        .size:           1
        .value_kind:     by_value
      - .offset:         3369
        .size:           1
        .value_kind:     by_value
      - .offset:         3376
        .size:           4
        .value_kind:     hidden_block_count_x
      - .offset:         3380
        .size:           4
        .value_kind:     hidden_block_count_y
      - .offset:         3384
        .size:           4
        .value_kind:     hidden_block_count_z
      - .offset:         3388
        .size:           2
        .value_kind:     hidden_group_size_x
      - .offset:         3390
        .size:           2
        .value_kind:     hidden_group_size_y
      - .offset:         3392
        .size:           2
        .value_kind:     hidden_group_size_z
      - .offset:         3394
        .size:           2
        .value_kind:     hidden_remainder_x
      - .offset:         3396
        .size:           2
        .value_kind:     hidden_remainder_y
      - .offset:         3398
        .size:           2
        .value_kind:     hidden_remainder_z
      - .offset:         3416
        .size:           8
        .value_kind:     hidden_global_offset_x
      - .offset:         3424
        .size:           8
        .value_kind:     hidden_global_offset_y
      - .offset:         3432
        .size:           8
        .value_kind:     hidden_global_offset_z
      - .offset:         3440
        .size:           2
        .value_kind:     hidden_grid_dims
    .group_segment_fixed_size: 0
    .kernarg_segment_align: 8
    .kernarg_segment_size: 3632
    .language:       OpenCL C
    .language_version:
      - 2
      - 0
    .max_flat_workgroup_size: 512
    .name:           _ZN2at6native12_GLOBAL__N_125multi_tensor_apply_kernelINS1_18TensorListMetadataILi1EEENS1_14UnaryOpFunctorIdLi1ELi1ELi0EEEJNS0_6LgammaIdEEEEEvT_T0_DpT1_
    .private_segment_fixed_size: 0
    .sgpr_count:     107
    .sgpr_spill_count: 0
    .symbol:         _ZN2at6native12_GLOBAL__N_125multi_tensor_apply_kernelINS1_18TensorListMetadataILi1EEENS1_14UnaryOpFunctorIdLi1ELi1ELi0EEEJNS0_6LgammaIdEEEEEvT_T0_DpT1_.kd
    .uniform_work_group_size: 1
    .uses_dynamic_stack: false
    .vgpr_count:     55
    .vgpr_spill_count: 0
    .wavefront_size: 32
    .workgroup_processor_mode: 1
  - .args:
      - .offset:         0
        .size:           3368
        .value_kind:     by_value
      - .offset:         3368
        .size:           1
        .value_kind:     by_value
      - .offset:         3369
        .size:           1
        .value_kind:     by_value
      - .offset:         3376
        .size:           4
        .value_kind:     hidden_block_count_x
      - .offset:         3380
        .size:           4
        .value_kind:     hidden_block_count_y
      - .offset:         3384
        .size:           4
        .value_kind:     hidden_block_count_z
      - .offset:         3388
        .size:           2
        .value_kind:     hidden_group_size_x
      - .offset:         3390
        .size:           2
        .value_kind:     hidden_group_size_y
      - .offset:         3392
        .size:           2
        .value_kind:     hidden_group_size_z
      - .offset:         3394
        .size:           2
        .value_kind:     hidden_remainder_x
      - .offset:         3396
        .size:           2
        .value_kind:     hidden_remainder_y
      - .offset:         3398
        .size:           2
        .value_kind:     hidden_remainder_z
      - .offset:         3416
        .size:           8
        .value_kind:     hidden_global_offset_x
      - .offset:         3424
        .size:           8
        .value_kind:     hidden_global_offset_y
      - .offset:         3432
        .size:           8
        .value_kind:     hidden_global_offset_z
      - .offset:         3440
        .size:           2
        .value_kind:     hidden_grid_dims
    .group_segment_fixed_size: 0
    .kernarg_segment_align: 8
    .kernarg_segment_size: 3632
    .language:       OpenCL C
    .language_version:
      - 2
      - 0
    .max_flat_workgroup_size: 512
    .name:           _ZN2at6native12_GLOBAL__N_125multi_tensor_apply_kernelINS1_18TensorListMetadataILi1EEENS1_14UnaryOpFunctorIfLi1ELi1ELi0EEEJNS0_6LgammaIfEEEEEvT_T0_DpT1_
    .private_segment_fixed_size: 0
    .sgpr_count:     44
    .sgpr_spill_count: 0
    .symbol:         _ZN2at6native12_GLOBAL__N_125multi_tensor_apply_kernelINS1_18TensorListMetadataILi1EEENS1_14UnaryOpFunctorIfLi1ELi1ELi0EEEJNS0_6LgammaIfEEEEEvT_T0_DpT1_.kd
    .uniform_work_group_size: 1
    .uses_dynamic_stack: false
    .vgpr_count:     26
    .vgpr_spill_count: 0
    .wavefront_size: 32
    .workgroup_processor_mode: 1
  - .args:
      - .offset:         0
        .size:           3368
        .value_kind:     by_value
      - .offset:         3368
        .size:           1
        .value_kind:     by_value
      - .offset:         3369
        .size:           1
        .value_kind:     by_value
      - .offset:         3376
        .size:           4
        .value_kind:     hidden_block_count_x
      - .offset:         3380
        .size:           4
        .value_kind:     hidden_block_count_y
      - .offset:         3384
        .size:           4
        .value_kind:     hidden_block_count_z
      - .offset:         3388
        .size:           2
        .value_kind:     hidden_group_size_x
      - .offset:         3390
        .size:           2
        .value_kind:     hidden_group_size_y
      - .offset:         3392
        .size:           2
        .value_kind:     hidden_group_size_z
      - .offset:         3394
        .size:           2
        .value_kind:     hidden_remainder_x
      - .offset:         3396
        .size:           2
        .value_kind:     hidden_remainder_y
      - .offset:         3398
        .size:           2
        .value_kind:     hidden_remainder_z
      - .offset:         3416
        .size:           8
        .value_kind:     hidden_global_offset_x
      - .offset:         3424
        .size:           8
        .value_kind:     hidden_global_offset_y
      - .offset:         3432
        .size:           8
        .value_kind:     hidden_global_offset_z
      - .offset:         3440
        .size:           2
        .value_kind:     hidden_grid_dims
    .group_segment_fixed_size: 0
    .kernarg_segment_align: 8
    .kernarg_segment_size: 3632
    .language:       OpenCL C
    .language_version:
      - 2
      - 0
    .max_flat_workgroup_size: 512
    .name:           _ZN2at6native12_GLOBAL__N_125multi_tensor_apply_kernelINS1_18TensorListMetadataILi1EEENS1_14UnaryOpFunctorIN3c104HalfELi1ELi1ELi0EEEJNS0_6LgammaIfEEEEEvT_T0_DpT1_
    .private_segment_fixed_size: 0
    .sgpr_count:     43
    .sgpr_spill_count: 0
    .symbol:         _ZN2at6native12_GLOBAL__N_125multi_tensor_apply_kernelINS1_18TensorListMetadataILi1EEENS1_14UnaryOpFunctorIN3c104HalfELi1ELi1ELi0EEEJNS0_6LgammaIfEEEEEvT_T0_DpT1_.kd
    .uniform_work_group_size: 1
    .uses_dynamic_stack: false
    .vgpr_count:     30
    .vgpr_spill_count: 0
    .wavefront_size: 32
    .workgroup_processor_mode: 1
  - .args:
      - .offset:         0
        .size:           3368
        .value_kind:     by_value
      - .offset:         3368
        .size:           1
        .value_kind:     by_value
      - .offset:         3369
        .size:           1
        .value_kind:     by_value
      - .offset:         3376
        .size:           4
        .value_kind:     hidden_block_count_x
      - .offset:         3380
        .size:           4
        .value_kind:     hidden_block_count_y
      - .offset:         3384
        .size:           4
        .value_kind:     hidden_block_count_z
      - .offset:         3388
        .size:           2
        .value_kind:     hidden_group_size_x
      - .offset:         3390
        .size:           2
        .value_kind:     hidden_group_size_y
      - .offset:         3392
        .size:           2
        .value_kind:     hidden_group_size_z
      - .offset:         3394
        .size:           2
        .value_kind:     hidden_remainder_x
      - .offset:         3396
        .size:           2
        .value_kind:     hidden_remainder_y
      - .offset:         3398
        .size:           2
        .value_kind:     hidden_remainder_z
      - .offset:         3416
        .size:           8
        .value_kind:     hidden_global_offset_x
      - .offset:         3424
        .size:           8
        .value_kind:     hidden_global_offset_y
      - .offset:         3432
        .size:           8
        .value_kind:     hidden_global_offset_z
      - .offset:         3440
        .size:           2
        .value_kind:     hidden_grid_dims
    .group_segment_fixed_size: 0
    .kernarg_segment_align: 8
    .kernarg_segment_size: 3632
    .language:       OpenCL C
    .language_version:
      - 2
      - 0
    .max_flat_workgroup_size: 512
    .name:           _ZN2at6native12_GLOBAL__N_125multi_tensor_apply_kernelINS1_18TensorListMetadataILi1EEENS1_14UnaryOpFunctorIN3c108BFloat16ELi1ELi1ELi0EEEJNS0_6LgammaIfEEEEEvT_T0_DpT1_
    .private_segment_fixed_size: 0
    .sgpr_count:     43
    .sgpr_spill_count: 0
    .symbol:         _ZN2at6native12_GLOBAL__N_125multi_tensor_apply_kernelINS1_18TensorListMetadataILi1EEENS1_14UnaryOpFunctorIN3c108BFloat16ELi1ELi1ELi0EEEJNS0_6LgammaIfEEEEEvT_T0_DpT1_.kd
    .uniform_work_group_size: 1
    .uses_dynamic_stack: false
    .vgpr_count:     26
    .vgpr_spill_count: 0
    .wavefront_size: 32
    .workgroup_processor_mode: 1
  - .args:
      - .offset:         0
        .size:           3144
        .value_kind:     by_value
      - .offset:         3144
        .size:           1
        .value_kind:     by_value
      - .offset:         3145
        .size:           1
        .value_kind:     by_value
      - .offset:         3152
        .size:           4
        .value_kind:     hidden_block_count_x
      - .offset:         3156
        .size:           4
        .value_kind:     hidden_block_count_y
      - .offset:         3160
        .size:           4
        .value_kind:     hidden_block_count_z
      - .offset:         3164
        .size:           2
        .value_kind:     hidden_group_size_x
      - .offset:         3166
        .size:           2
        .value_kind:     hidden_group_size_y
      - .offset:         3168
        .size:           2
        .value_kind:     hidden_group_size_z
      - .offset:         3170
        .size:           2
        .value_kind:     hidden_remainder_x
      - .offset:         3172
        .size:           2
        .value_kind:     hidden_remainder_y
      - .offset:         3174
        .size:           2
        .value_kind:     hidden_remainder_z
      - .offset:         3192
        .size:           8
        .value_kind:     hidden_global_offset_x
      - .offset:         3200
        .size:           8
        .value_kind:     hidden_global_offset_y
      - .offset:         3208
        .size:           8
        .value_kind:     hidden_global_offset_z
      - .offset:         3216
        .size:           2
        .value_kind:     hidden_grid_dims
    .group_segment_fixed_size: 0
    .kernarg_segment_align: 8
    .kernarg_segment_size: 3408
    .language:       OpenCL C
    .language_version:
      - 2
      - 0
    .max_flat_workgroup_size: 512
    .name:           _ZN2at6native12_GLOBAL__N_125multi_tensor_apply_kernelINS1_18TensorListMetadataILi2EEENS1_14UnaryOpFunctorIdLi2ELi1ELi1EEEJNS0_6TruncfIdEEEEEvT_T0_DpT1_
    .private_segment_fixed_size: 0
    .sgpr_count:     24
    .sgpr_spill_count: 0
    .symbol:         _ZN2at6native12_GLOBAL__N_125multi_tensor_apply_kernelINS1_18TensorListMetadataILi2EEENS1_14UnaryOpFunctorIdLi2ELi1ELi1EEEJNS0_6TruncfIdEEEEEvT_T0_DpT1_.kd
    .uniform_work_group_size: 1
    .uses_dynamic_stack: false
    .vgpr_count:     33
    .vgpr_spill_count: 0
    .wavefront_size: 32
    .workgroup_processor_mode: 1
  - .args:
      - .offset:         0
        .size:           3144
        .value_kind:     by_value
      - .offset:         3144
        .size:           1
        .value_kind:     by_value
      - .offset:         3145
        .size:           1
        .value_kind:     by_value
      - .offset:         3152
        .size:           4
        .value_kind:     hidden_block_count_x
      - .offset:         3156
        .size:           4
        .value_kind:     hidden_block_count_y
      - .offset:         3160
        .size:           4
        .value_kind:     hidden_block_count_z
      - .offset:         3164
        .size:           2
        .value_kind:     hidden_group_size_x
      - .offset:         3166
        .size:           2
        .value_kind:     hidden_group_size_y
      - .offset:         3168
        .size:           2
        .value_kind:     hidden_group_size_z
      - .offset:         3170
        .size:           2
        .value_kind:     hidden_remainder_x
      - .offset:         3172
        .size:           2
        .value_kind:     hidden_remainder_y
      - .offset:         3174
        .size:           2
        .value_kind:     hidden_remainder_z
      - .offset:         3192
        .size:           8
        .value_kind:     hidden_global_offset_x
      - .offset:         3200
        .size:           8
        .value_kind:     hidden_global_offset_y
      - .offset:         3208
        .size:           8
        .value_kind:     hidden_global_offset_z
      - .offset:         3216
        .size:           2
        .value_kind:     hidden_grid_dims
    .group_segment_fixed_size: 0
    .kernarg_segment_align: 8
    .kernarg_segment_size: 3408
    .language:       OpenCL C
    .language_version:
      - 2
      - 0
    .max_flat_workgroup_size: 512
    .name:           _ZN2at6native12_GLOBAL__N_125multi_tensor_apply_kernelINS1_18TensorListMetadataILi2EEENS1_14UnaryOpFunctorIfLi2ELi1ELi1EEEJNS0_6TruncfIfEEEEEvT_T0_DpT1_
    .private_segment_fixed_size: 0
    .sgpr_count:     24
    .sgpr_spill_count: 0
    .symbol:         _ZN2at6native12_GLOBAL__N_125multi_tensor_apply_kernelINS1_18TensorListMetadataILi2EEENS1_14UnaryOpFunctorIfLi2ELi1ELi1EEEJNS0_6TruncfIfEEEEEvT_T0_DpT1_.kd
    .uniform_work_group_size: 1
    .uses_dynamic_stack: false
    .vgpr_count:     29
    .vgpr_spill_count: 0
    .wavefront_size: 32
    .workgroup_processor_mode: 1
  - .args:
      - .offset:         0
        .size:           3144
        .value_kind:     by_value
      - .offset:         3144
        .size:           1
        .value_kind:     by_value
      - .offset:         3145
        .size:           1
        .value_kind:     by_value
      - .offset:         3152
        .size:           4
        .value_kind:     hidden_block_count_x
      - .offset:         3156
        .size:           4
        .value_kind:     hidden_block_count_y
      - .offset:         3160
        .size:           4
        .value_kind:     hidden_block_count_z
      - .offset:         3164
        .size:           2
        .value_kind:     hidden_group_size_x
      - .offset:         3166
        .size:           2
        .value_kind:     hidden_group_size_y
      - .offset:         3168
        .size:           2
        .value_kind:     hidden_group_size_z
      - .offset:         3170
        .size:           2
        .value_kind:     hidden_remainder_x
      - .offset:         3172
        .size:           2
        .value_kind:     hidden_remainder_y
      - .offset:         3174
        .size:           2
        .value_kind:     hidden_remainder_z
      - .offset:         3192
        .size:           8
        .value_kind:     hidden_global_offset_x
      - .offset:         3200
        .size:           8
        .value_kind:     hidden_global_offset_y
      - .offset:         3208
        .size:           8
        .value_kind:     hidden_global_offset_z
      - .offset:         3216
        .size:           2
        .value_kind:     hidden_grid_dims
    .group_segment_fixed_size: 0
    .kernarg_segment_align: 8
    .kernarg_segment_size: 3408
    .language:       OpenCL C
    .language_version:
      - 2
      - 0
    .max_flat_workgroup_size: 512
    .name:           _ZN2at6native12_GLOBAL__N_125multi_tensor_apply_kernelINS1_18TensorListMetadataILi2EEENS1_14UnaryOpFunctorIN3c104HalfELi2ELi1ELi1EEEJNS0_6TruncfIfEEEEEvT_T0_DpT1_
    .private_segment_fixed_size: 0
    .sgpr_count:     24
    .sgpr_spill_count: 0
    .symbol:         _ZN2at6native12_GLOBAL__N_125multi_tensor_apply_kernelINS1_18TensorListMetadataILi2EEENS1_14UnaryOpFunctorIN3c104HalfELi2ELi1ELi1EEEJNS0_6TruncfIfEEEEEvT_T0_DpT1_.kd
    .uniform_work_group_size: 1
    .uses_dynamic_stack: false
    .vgpr_count:     29
    .vgpr_spill_count: 0
    .wavefront_size: 32
    .workgroup_processor_mode: 1
  - .args:
      - .offset:         0
        .size:           3144
        .value_kind:     by_value
      - .offset:         3144
        .size:           1
        .value_kind:     by_value
      - .offset:         3145
        .size:           1
        .value_kind:     by_value
      - .offset:         3152
        .size:           4
        .value_kind:     hidden_block_count_x
      - .offset:         3156
        .size:           4
        .value_kind:     hidden_block_count_y
      - .offset:         3160
        .size:           4
        .value_kind:     hidden_block_count_z
      - .offset:         3164
        .size:           2
        .value_kind:     hidden_group_size_x
      - .offset:         3166
        .size:           2
        .value_kind:     hidden_group_size_y
      - .offset:         3168
        .size:           2
        .value_kind:     hidden_group_size_z
      - .offset:         3170
        .size:           2
        .value_kind:     hidden_remainder_x
      - .offset:         3172
        .size:           2
        .value_kind:     hidden_remainder_y
      - .offset:         3174
        .size:           2
        .value_kind:     hidden_remainder_z
      - .offset:         3192
        .size:           8
        .value_kind:     hidden_global_offset_x
      - .offset:         3200
        .size:           8
        .value_kind:     hidden_global_offset_y
      - .offset:         3208
        .size:           8
        .value_kind:     hidden_global_offset_z
      - .offset:         3216
        .size:           2
        .value_kind:     hidden_grid_dims
    .group_segment_fixed_size: 0
    .kernarg_segment_align: 8
    .kernarg_segment_size: 3408
    .language:       OpenCL C
    .language_version:
      - 2
      - 0
    .max_flat_workgroup_size: 512
    .name:           _ZN2at6native12_GLOBAL__N_125multi_tensor_apply_kernelINS1_18TensorListMetadataILi2EEENS1_14UnaryOpFunctorIN3c108BFloat16ELi2ELi1ELi1EEEJNS0_6TruncfIfEEEEEvT_T0_DpT1_
    .private_segment_fixed_size: 0
    .sgpr_count:     20
    .sgpr_spill_count: 0
    .symbol:         _ZN2at6native12_GLOBAL__N_125multi_tensor_apply_kernelINS1_18TensorListMetadataILi2EEENS1_14UnaryOpFunctorIN3c108BFloat16ELi2ELi1ELi1EEEJNS0_6TruncfIfEEEEEvT_T0_DpT1_.kd
    .uniform_work_group_size: 1
    .uses_dynamic_stack: false
    .vgpr_count:     29
    .vgpr_spill_count: 0
    .wavefront_size: 32
    .workgroup_processor_mode: 1
  - .args:
      - .offset:         0
        .size:           3368
        .value_kind:     by_value
      - .offset:         3368
        .size:           1
        .value_kind:     by_value
      - .offset:         3369
        .size:           1
        .value_kind:     by_value
      - .offset:         3376
        .size:           4
        .value_kind:     hidden_block_count_x
      - .offset:         3380
        .size:           4
        .value_kind:     hidden_block_count_y
      - .offset:         3384
        .size:           4
        .value_kind:     hidden_block_count_z
      - .offset:         3388
        .size:           2
        .value_kind:     hidden_group_size_x
      - .offset:         3390
        .size:           2
        .value_kind:     hidden_group_size_y
      - .offset:         3392
        .size:           2
        .value_kind:     hidden_group_size_z
      - .offset:         3394
        .size:           2
        .value_kind:     hidden_remainder_x
      - .offset:         3396
        .size:           2
        .value_kind:     hidden_remainder_y
      - .offset:         3398
        .size:           2
        .value_kind:     hidden_remainder_z
      - .offset:         3416
        .size:           8
        .value_kind:     hidden_global_offset_x
      - .offset:         3424
        .size:           8
        .value_kind:     hidden_global_offset_y
      - .offset:         3432
        .size:           8
        .value_kind:     hidden_global_offset_z
      - .offset:         3440
        .size:           2
        .value_kind:     hidden_grid_dims
    .group_segment_fixed_size: 0
    .kernarg_segment_align: 8
    .kernarg_segment_size: 3632
    .language:       OpenCL C
    .language_version:
      - 2
      - 0
    .max_flat_workgroup_size: 512
    .name:           _ZN2at6native12_GLOBAL__N_125multi_tensor_apply_kernelINS1_18TensorListMetadataILi1EEENS1_14UnaryOpFunctorIdLi1ELi1ELi0EEEJNS0_6TruncfIdEEEEEvT_T0_DpT1_
    .private_segment_fixed_size: 0
    .sgpr_count:     23
    .sgpr_spill_count: 0
    .symbol:         _ZN2at6native12_GLOBAL__N_125multi_tensor_apply_kernelINS1_18TensorListMetadataILi1EEENS1_14UnaryOpFunctorIdLi1ELi1ELi0EEEJNS0_6TruncfIdEEEEEvT_T0_DpT1_.kd
    .uniform_work_group_size: 1
    .uses_dynamic_stack: false
    .vgpr_count:     21
    .vgpr_spill_count: 0
    .wavefront_size: 32
    .workgroup_processor_mode: 1
  - .args:
      - .offset:         0
        .size:           3368
        .value_kind:     by_value
      - .offset:         3368
        .size:           1
        .value_kind:     by_value
      - .offset:         3369
        .size:           1
        .value_kind:     by_value
      - .offset:         3376
        .size:           4
        .value_kind:     hidden_block_count_x
      - .offset:         3380
        .size:           4
        .value_kind:     hidden_block_count_y
      - .offset:         3384
        .size:           4
        .value_kind:     hidden_block_count_z
      - .offset:         3388
        .size:           2
        .value_kind:     hidden_group_size_x
      - .offset:         3390
        .size:           2
        .value_kind:     hidden_group_size_y
      - .offset:         3392
        .size:           2
        .value_kind:     hidden_group_size_z
      - .offset:         3394
        .size:           2
        .value_kind:     hidden_remainder_x
      - .offset:         3396
        .size:           2
        .value_kind:     hidden_remainder_y
      - .offset:         3398
        .size:           2
        .value_kind:     hidden_remainder_z
      - .offset:         3416
        .size:           8
        .value_kind:     hidden_global_offset_x
      - .offset:         3424
        .size:           8
        .value_kind:     hidden_global_offset_y
      - .offset:         3432
        .size:           8
        .value_kind:     hidden_global_offset_z
      - .offset:         3440
        .size:           2
        .value_kind:     hidden_grid_dims
    .group_segment_fixed_size: 0
    .kernarg_segment_align: 8
    .kernarg_segment_size: 3632
    .language:       OpenCL C
    .language_version:
      - 2
      - 0
    .max_flat_workgroup_size: 512
    .name:           _ZN2at6native12_GLOBAL__N_125multi_tensor_apply_kernelINS1_18TensorListMetadataILi1EEENS1_14UnaryOpFunctorIfLi1ELi1ELi0EEEJNS0_6TruncfIfEEEEEvT_T0_DpT1_
    .private_segment_fixed_size: 0
    .sgpr_count:     23
    .sgpr_spill_count: 0
    .symbol:         _ZN2at6native12_GLOBAL__N_125multi_tensor_apply_kernelINS1_18TensorListMetadataILi1EEENS1_14UnaryOpFunctorIfLi1ELi1ELi0EEEJNS0_6TruncfIfEEEEEvT_T0_DpT1_.kd
    .uniform_work_group_size: 1
    .uses_dynamic_stack: false
    .vgpr_count:     17
    .vgpr_spill_count: 0
    .wavefront_size: 32
    .workgroup_processor_mode: 1
  - .args:
      - .offset:         0
        .size:           3368
        .value_kind:     by_value
      - .offset:         3368
        .size:           1
        .value_kind:     by_value
      - .offset:         3369
        .size:           1
        .value_kind:     by_value
      - .offset:         3376
        .size:           4
        .value_kind:     hidden_block_count_x
      - .offset:         3380
        .size:           4
        .value_kind:     hidden_block_count_y
      - .offset:         3384
        .size:           4
        .value_kind:     hidden_block_count_z
      - .offset:         3388
        .size:           2
        .value_kind:     hidden_group_size_x
      - .offset:         3390
        .size:           2
        .value_kind:     hidden_group_size_y
      - .offset:         3392
        .size:           2
        .value_kind:     hidden_group_size_z
      - .offset:         3394
        .size:           2
        .value_kind:     hidden_remainder_x
      - .offset:         3396
        .size:           2
        .value_kind:     hidden_remainder_y
      - .offset:         3398
        .size:           2
        .value_kind:     hidden_remainder_z
      - .offset:         3416
        .size:           8
        .value_kind:     hidden_global_offset_x
      - .offset:         3424
        .size:           8
        .value_kind:     hidden_global_offset_y
      - .offset:         3432
        .size:           8
        .value_kind:     hidden_global_offset_z
      - .offset:         3440
        .size:           2
        .value_kind:     hidden_grid_dims
    .group_segment_fixed_size: 0
    .kernarg_segment_align: 8
    .kernarg_segment_size: 3632
    .language:       OpenCL C
    .language_version:
      - 2
      - 0
    .max_flat_workgroup_size: 512
    .name:           _ZN2at6native12_GLOBAL__N_125multi_tensor_apply_kernelINS1_18TensorListMetadataILi1EEENS1_14UnaryOpFunctorIN3c104HalfELi1ELi1ELi0EEEJNS0_6TruncfIfEEEEEvT_T0_DpT1_
    .private_segment_fixed_size: 0
    .sgpr_count:     22
    .sgpr_spill_count: 0
    .symbol:         _ZN2at6native12_GLOBAL__N_125multi_tensor_apply_kernelINS1_18TensorListMetadataILi1EEENS1_14UnaryOpFunctorIN3c104HalfELi1ELi1ELi0EEEJNS0_6TruncfIfEEEEEvT_T0_DpT1_.kd
    .uniform_work_group_size: 1
    .uses_dynamic_stack: false
    .vgpr_count:     17
    .vgpr_spill_count: 0
    .wavefront_size: 32
    .workgroup_processor_mode: 1
  - .args:
      - .offset:         0
        .size:           3368
        .value_kind:     by_value
      - .offset:         3368
        .size:           1
        .value_kind:     by_value
      - .offset:         3369
        .size:           1
        .value_kind:     by_value
      - .offset:         3376
        .size:           4
        .value_kind:     hidden_block_count_x
      - .offset:         3380
        .size:           4
        .value_kind:     hidden_block_count_y
      - .offset:         3384
        .size:           4
        .value_kind:     hidden_block_count_z
      - .offset:         3388
        .size:           2
        .value_kind:     hidden_group_size_x
      - .offset:         3390
        .size:           2
        .value_kind:     hidden_group_size_y
      - .offset:         3392
        .size:           2
        .value_kind:     hidden_group_size_z
      - .offset:         3394
        .size:           2
        .value_kind:     hidden_remainder_x
      - .offset:         3396
        .size:           2
        .value_kind:     hidden_remainder_y
      - .offset:         3398
        .size:           2
        .value_kind:     hidden_remainder_z
      - .offset:         3416
        .size:           8
        .value_kind:     hidden_global_offset_x
      - .offset:         3424
        .size:           8
        .value_kind:     hidden_global_offset_y
      - .offset:         3432
        .size:           8
        .value_kind:     hidden_global_offset_z
      - .offset:         3440
        .size:           2
        .value_kind:     hidden_grid_dims
    .group_segment_fixed_size: 0
    .kernarg_segment_align: 8
    .kernarg_segment_size: 3632
    .language:       OpenCL C
    .language_version:
      - 2
      - 0
    .max_flat_workgroup_size: 512
    .name:           _ZN2at6native12_GLOBAL__N_125multi_tensor_apply_kernelINS1_18TensorListMetadataILi1EEENS1_14UnaryOpFunctorIN3c108BFloat16ELi1ELi1ELi0EEEJNS0_6TruncfIfEEEEEvT_T0_DpT1_
    .private_segment_fixed_size: 0
    .sgpr_count:     22
    .sgpr_spill_count: 0
    .symbol:         _ZN2at6native12_GLOBAL__N_125multi_tensor_apply_kernelINS1_18TensorListMetadataILi1EEENS1_14UnaryOpFunctorIN3c108BFloat16ELi1ELi1ELi0EEEJNS0_6TruncfIfEEEEEvT_T0_DpT1_.kd
    .uniform_work_group_size: 1
    .uses_dynamic_stack: false
    .vgpr_count:     17
    .vgpr_spill_count: 0
    .wavefront_size: 32
    .workgroup_processor_mode: 1
  - .args:
      - .offset:         0
        .size:           3144
        .value_kind:     by_value
      - .offset:         3144
        .size:           1
        .value_kind:     by_value
      - .offset:         3145
        .size:           1
        .value_kind:     by_value
      - .offset:         3152
        .size:           4
        .value_kind:     hidden_block_count_x
      - .offset:         3156
        .size:           4
        .value_kind:     hidden_block_count_y
      - .offset:         3160
        .size:           4
        .value_kind:     hidden_block_count_z
      - .offset:         3164
        .size:           2
        .value_kind:     hidden_group_size_x
      - .offset:         3166
        .size:           2
        .value_kind:     hidden_group_size_y
      - .offset:         3168
        .size:           2
        .value_kind:     hidden_group_size_z
      - .offset:         3170
        .size:           2
        .value_kind:     hidden_remainder_x
      - .offset:         3172
        .size:           2
        .value_kind:     hidden_remainder_y
      - .offset:         3174
        .size:           2
        .value_kind:     hidden_remainder_z
      - .offset:         3192
        .size:           8
        .value_kind:     hidden_global_offset_x
      - .offset:         3200
        .size:           8
        .value_kind:     hidden_global_offset_y
      - .offset:         3208
        .size:           8
        .value_kind:     hidden_global_offset_z
      - .offset:         3216
        .size:           2
        .value_kind:     hidden_grid_dims
    .group_segment_fixed_size: 0
    .kernarg_segment_align: 8
    .kernarg_segment_size: 3408
    .language:       OpenCL C
    .language_version:
      - 2
      - 0
    .max_flat_workgroup_size: 512
    .name:           _ZN2at6native12_GLOBAL__N_125multi_tensor_apply_kernelINS1_18TensorListMetadataILi2EEENS1_14UnaryOpFunctorIdLi2ELi1ELi1EEEJNS0_5FloorIdEEEEEvT_T0_DpT1_
    .private_segment_fixed_size: 0
    .sgpr_count:     24
    .sgpr_spill_count: 0
    .symbol:         _ZN2at6native12_GLOBAL__N_125multi_tensor_apply_kernelINS1_18TensorListMetadataILi2EEENS1_14UnaryOpFunctorIdLi2ELi1ELi1EEEJNS0_5FloorIdEEEEEvT_T0_DpT1_.kd
    .uniform_work_group_size: 1
    .uses_dynamic_stack: false
    .vgpr_count:     33
    .vgpr_spill_count: 0
    .wavefront_size: 32
    .workgroup_processor_mode: 1
  - .args:
      - .offset:         0
        .size:           3144
        .value_kind:     by_value
      - .offset:         3144
        .size:           1
        .value_kind:     by_value
      - .offset:         3145
        .size:           1
        .value_kind:     by_value
      - .offset:         3152
        .size:           4
        .value_kind:     hidden_block_count_x
      - .offset:         3156
        .size:           4
        .value_kind:     hidden_block_count_y
      - .offset:         3160
        .size:           4
        .value_kind:     hidden_block_count_z
      - .offset:         3164
        .size:           2
        .value_kind:     hidden_group_size_x
      - .offset:         3166
        .size:           2
        .value_kind:     hidden_group_size_y
      - .offset:         3168
        .size:           2
        .value_kind:     hidden_group_size_z
      - .offset:         3170
        .size:           2
        .value_kind:     hidden_remainder_x
      - .offset:         3172
        .size:           2
        .value_kind:     hidden_remainder_y
      - .offset:         3174
        .size:           2
        .value_kind:     hidden_remainder_z
      - .offset:         3192
        .size:           8
        .value_kind:     hidden_global_offset_x
      - .offset:         3200
        .size:           8
        .value_kind:     hidden_global_offset_y
      - .offset:         3208
        .size:           8
        .value_kind:     hidden_global_offset_z
      - .offset:         3216
        .size:           2
        .value_kind:     hidden_grid_dims
    .group_segment_fixed_size: 0
    .kernarg_segment_align: 8
    .kernarg_segment_size: 3408
    .language:       OpenCL C
    .language_version:
      - 2
      - 0
    .max_flat_workgroup_size: 512
    .name:           _ZN2at6native12_GLOBAL__N_125multi_tensor_apply_kernelINS1_18TensorListMetadataILi2EEENS1_14UnaryOpFunctorIfLi2ELi1ELi1EEEJNS0_5FloorIfEEEEEvT_T0_DpT1_
    .private_segment_fixed_size: 0
    .sgpr_count:     24
    .sgpr_spill_count: 0
    .symbol:         _ZN2at6native12_GLOBAL__N_125multi_tensor_apply_kernelINS1_18TensorListMetadataILi2EEENS1_14UnaryOpFunctorIfLi2ELi1ELi1EEEJNS0_5FloorIfEEEEEvT_T0_DpT1_.kd
    .uniform_work_group_size: 1
    .uses_dynamic_stack: false
    .vgpr_count:     29
    .vgpr_spill_count: 0
    .wavefront_size: 32
    .workgroup_processor_mode: 1
  - .args:
      - .offset:         0
        .size:           3144
        .value_kind:     by_value
      - .offset:         3144
        .size:           1
        .value_kind:     by_value
      - .offset:         3145
        .size:           1
        .value_kind:     by_value
      - .offset:         3152
        .size:           4
        .value_kind:     hidden_block_count_x
      - .offset:         3156
        .size:           4
        .value_kind:     hidden_block_count_y
      - .offset:         3160
        .size:           4
        .value_kind:     hidden_block_count_z
      - .offset:         3164
        .size:           2
        .value_kind:     hidden_group_size_x
      - .offset:         3166
        .size:           2
        .value_kind:     hidden_group_size_y
      - .offset:         3168
        .size:           2
        .value_kind:     hidden_group_size_z
      - .offset:         3170
        .size:           2
        .value_kind:     hidden_remainder_x
      - .offset:         3172
        .size:           2
        .value_kind:     hidden_remainder_y
      - .offset:         3174
        .size:           2
        .value_kind:     hidden_remainder_z
      - .offset:         3192
        .size:           8
        .value_kind:     hidden_global_offset_x
      - .offset:         3200
        .size:           8
        .value_kind:     hidden_global_offset_y
      - .offset:         3208
        .size:           8
        .value_kind:     hidden_global_offset_z
      - .offset:         3216
        .size:           2
        .value_kind:     hidden_grid_dims
    .group_segment_fixed_size: 0
    .kernarg_segment_align: 8
    .kernarg_segment_size: 3408
    .language:       OpenCL C
    .language_version:
      - 2
      - 0
    .max_flat_workgroup_size: 512
    .name:           _ZN2at6native12_GLOBAL__N_125multi_tensor_apply_kernelINS1_18TensorListMetadataILi2EEENS1_14UnaryOpFunctorIN3c104HalfELi2ELi1ELi1EEEJNS0_5FloorIfEEEEEvT_T0_DpT1_
    .private_segment_fixed_size: 0
    .sgpr_count:     24
    .sgpr_spill_count: 0
    .symbol:         _ZN2at6native12_GLOBAL__N_125multi_tensor_apply_kernelINS1_18TensorListMetadataILi2EEENS1_14UnaryOpFunctorIN3c104HalfELi2ELi1ELi1EEEJNS0_5FloorIfEEEEEvT_T0_DpT1_.kd
    .uniform_work_group_size: 1
    .uses_dynamic_stack: false
    .vgpr_count:     29
    .vgpr_spill_count: 0
    .wavefront_size: 32
    .workgroup_processor_mode: 1
  - .args:
      - .offset:         0
        .size:           3144
        .value_kind:     by_value
      - .offset:         3144
        .size:           1
        .value_kind:     by_value
      - .offset:         3145
        .size:           1
        .value_kind:     by_value
      - .offset:         3152
        .size:           4
        .value_kind:     hidden_block_count_x
      - .offset:         3156
        .size:           4
        .value_kind:     hidden_block_count_y
      - .offset:         3160
        .size:           4
        .value_kind:     hidden_block_count_z
      - .offset:         3164
        .size:           2
        .value_kind:     hidden_group_size_x
      - .offset:         3166
        .size:           2
        .value_kind:     hidden_group_size_y
      - .offset:         3168
        .size:           2
        .value_kind:     hidden_group_size_z
      - .offset:         3170
        .size:           2
        .value_kind:     hidden_remainder_x
      - .offset:         3172
        .size:           2
        .value_kind:     hidden_remainder_y
      - .offset:         3174
        .size:           2
        .value_kind:     hidden_remainder_z
      - .offset:         3192
        .size:           8
        .value_kind:     hidden_global_offset_x
      - .offset:         3200
        .size:           8
        .value_kind:     hidden_global_offset_y
      - .offset:         3208
        .size:           8
        .value_kind:     hidden_global_offset_z
      - .offset:         3216
        .size:           2
        .value_kind:     hidden_grid_dims
    .group_segment_fixed_size: 0
    .kernarg_segment_align: 8
    .kernarg_segment_size: 3408
    .language:       OpenCL C
    .language_version:
      - 2
      - 0
    .max_flat_workgroup_size: 512
    .name:           _ZN2at6native12_GLOBAL__N_125multi_tensor_apply_kernelINS1_18TensorListMetadataILi2EEENS1_14UnaryOpFunctorIN3c108BFloat16ELi2ELi1ELi1EEEJNS0_5FloorIfEEEEEvT_T0_DpT1_
    .private_segment_fixed_size: 0
    .sgpr_count:     20
    .sgpr_spill_count: 0
    .symbol:         _ZN2at6native12_GLOBAL__N_125multi_tensor_apply_kernelINS1_18TensorListMetadataILi2EEENS1_14UnaryOpFunctorIN3c108BFloat16ELi2ELi1ELi1EEEJNS0_5FloorIfEEEEEvT_T0_DpT1_.kd
    .uniform_work_group_size: 1
    .uses_dynamic_stack: false
    .vgpr_count:     29
    .vgpr_spill_count: 0
    .wavefront_size: 32
    .workgroup_processor_mode: 1
  - .args:
      - .offset:         0
        .size:           3368
        .value_kind:     by_value
      - .offset:         3368
        .size:           1
        .value_kind:     by_value
      - .offset:         3369
        .size:           1
        .value_kind:     by_value
      - .offset:         3376
        .size:           4
        .value_kind:     hidden_block_count_x
      - .offset:         3380
        .size:           4
        .value_kind:     hidden_block_count_y
      - .offset:         3384
        .size:           4
        .value_kind:     hidden_block_count_z
      - .offset:         3388
        .size:           2
        .value_kind:     hidden_group_size_x
      - .offset:         3390
        .size:           2
        .value_kind:     hidden_group_size_y
      - .offset:         3392
        .size:           2
        .value_kind:     hidden_group_size_z
      - .offset:         3394
        .size:           2
        .value_kind:     hidden_remainder_x
      - .offset:         3396
        .size:           2
        .value_kind:     hidden_remainder_y
      - .offset:         3398
        .size:           2
        .value_kind:     hidden_remainder_z
      - .offset:         3416
        .size:           8
        .value_kind:     hidden_global_offset_x
      - .offset:         3424
        .size:           8
        .value_kind:     hidden_global_offset_y
      - .offset:         3432
        .size:           8
        .value_kind:     hidden_global_offset_z
      - .offset:         3440
        .size:           2
        .value_kind:     hidden_grid_dims
    .group_segment_fixed_size: 0
    .kernarg_segment_align: 8
    .kernarg_segment_size: 3632
    .language:       OpenCL C
    .language_version:
      - 2
      - 0
    .max_flat_workgroup_size: 512
    .name:           _ZN2at6native12_GLOBAL__N_125multi_tensor_apply_kernelINS1_18TensorListMetadataILi1EEENS1_14UnaryOpFunctorIdLi1ELi1ELi0EEEJNS0_5FloorIdEEEEEvT_T0_DpT1_
    .private_segment_fixed_size: 0
    .sgpr_count:     23
    .sgpr_spill_count: 0
    .symbol:         _ZN2at6native12_GLOBAL__N_125multi_tensor_apply_kernelINS1_18TensorListMetadataILi1EEENS1_14UnaryOpFunctorIdLi1ELi1ELi0EEEJNS0_5FloorIdEEEEEvT_T0_DpT1_.kd
    .uniform_work_group_size: 1
    .uses_dynamic_stack: false
    .vgpr_count:     21
    .vgpr_spill_count: 0
    .wavefront_size: 32
    .workgroup_processor_mode: 1
  - .args:
      - .offset:         0
        .size:           3368
        .value_kind:     by_value
      - .offset:         3368
        .size:           1
        .value_kind:     by_value
      - .offset:         3369
        .size:           1
        .value_kind:     by_value
      - .offset:         3376
        .size:           4
        .value_kind:     hidden_block_count_x
      - .offset:         3380
        .size:           4
        .value_kind:     hidden_block_count_y
      - .offset:         3384
        .size:           4
        .value_kind:     hidden_block_count_z
      - .offset:         3388
        .size:           2
        .value_kind:     hidden_group_size_x
      - .offset:         3390
        .size:           2
        .value_kind:     hidden_group_size_y
      - .offset:         3392
        .size:           2
        .value_kind:     hidden_group_size_z
      - .offset:         3394
        .size:           2
        .value_kind:     hidden_remainder_x
      - .offset:         3396
        .size:           2
        .value_kind:     hidden_remainder_y
      - .offset:         3398
        .size:           2
        .value_kind:     hidden_remainder_z
      - .offset:         3416
        .size:           8
        .value_kind:     hidden_global_offset_x
      - .offset:         3424
        .size:           8
        .value_kind:     hidden_global_offset_y
      - .offset:         3432
        .size:           8
        .value_kind:     hidden_global_offset_z
      - .offset:         3440
        .size:           2
        .value_kind:     hidden_grid_dims
    .group_segment_fixed_size: 0
    .kernarg_segment_align: 8
    .kernarg_segment_size: 3632
    .language:       OpenCL C
    .language_version:
      - 2
      - 0
    .max_flat_workgroup_size: 512
    .name:           _ZN2at6native12_GLOBAL__N_125multi_tensor_apply_kernelINS1_18TensorListMetadataILi1EEENS1_14UnaryOpFunctorIfLi1ELi1ELi0EEEJNS0_5FloorIfEEEEEvT_T0_DpT1_
    .private_segment_fixed_size: 0
    .sgpr_count:     23
    .sgpr_spill_count: 0
    .symbol:         _ZN2at6native12_GLOBAL__N_125multi_tensor_apply_kernelINS1_18TensorListMetadataILi1EEENS1_14UnaryOpFunctorIfLi1ELi1ELi0EEEJNS0_5FloorIfEEEEEvT_T0_DpT1_.kd
    .uniform_work_group_size: 1
    .uses_dynamic_stack: false
    .vgpr_count:     17
    .vgpr_spill_count: 0
    .wavefront_size: 32
    .workgroup_processor_mode: 1
  - .args:
      - .offset:         0
        .size:           3368
        .value_kind:     by_value
      - .offset:         3368
        .size:           1
        .value_kind:     by_value
      - .offset:         3369
        .size:           1
        .value_kind:     by_value
      - .offset:         3376
        .size:           4
        .value_kind:     hidden_block_count_x
      - .offset:         3380
        .size:           4
        .value_kind:     hidden_block_count_y
      - .offset:         3384
        .size:           4
        .value_kind:     hidden_block_count_z
      - .offset:         3388
        .size:           2
        .value_kind:     hidden_group_size_x
      - .offset:         3390
        .size:           2
        .value_kind:     hidden_group_size_y
      - .offset:         3392
        .size:           2
        .value_kind:     hidden_group_size_z
      - .offset:         3394
        .size:           2
        .value_kind:     hidden_remainder_x
      - .offset:         3396
        .size:           2
        .value_kind:     hidden_remainder_y
      - .offset:         3398
        .size:           2
        .value_kind:     hidden_remainder_z
      - .offset:         3416
        .size:           8
        .value_kind:     hidden_global_offset_x
      - .offset:         3424
        .size:           8
        .value_kind:     hidden_global_offset_y
      - .offset:         3432
        .size:           8
        .value_kind:     hidden_global_offset_z
      - .offset:         3440
        .size:           2
        .value_kind:     hidden_grid_dims
    .group_segment_fixed_size: 0
    .kernarg_segment_align: 8
    .kernarg_segment_size: 3632
    .language:       OpenCL C
    .language_version:
      - 2
      - 0
    .max_flat_workgroup_size: 512
    .name:           _ZN2at6native12_GLOBAL__N_125multi_tensor_apply_kernelINS1_18TensorListMetadataILi1EEENS1_14UnaryOpFunctorIN3c104HalfELi1ELi1ELi0EEEJNS0_5FloorIfEEEEEvT_T0_DpT1_
    .private_segment_fixed_size: 0
    .sgpr_count:     22
    .sgpr_spill_count: 0
    .symbol:         _ZN2at6native12_GLOBAL__N_125multi_tensor_apply_kernelINS1_18TensorListMetadataILi1EEENS1_14UnaryOpFunctorIN3c104HalfELi1ELi1ELi0EEEJNS0_5FloorIfEEEEEvT_T0_DpT1_.kd
    .uniform_work_group_size: 1
    .uses_dynamic_stack: false
    .vgpr_count:     17
    .vgpr_spill_count: 0
    .wavefront_size: 32
    .workgroup_processor_mode: 1
  - .args:
      - .offset:         0
        .size:           3368
        .value_kind:     by_value
      - .offset:         3368
        .size:           1
        .value_kind:     by_value
      - .offset:         3369
        .size:           1
        .value_kind:     by_value
      - .offset:         3376
        .size:           4
        .value_kind:     hidden_block_count_x
      - .offset:         3380
        .size:           4
        .value_kind:     hidden_block_count_y
      - .offset:         3384
        .size:           4
        .value_kind:     hidden_block_count_z
      - .offset:         3388
        .size:           2
        .value_kind:     hidden_group_size_x
      - .offset:         3390
        .size:           2
        .value_kind:     hidden_group_size_y
      - .offset:         3392
        .size:           2
        .value_kind:     hidden_group_size_z
      - .offset:         3394
        .size:           2
        .value_kind:     hidden_remainder_x
      - .offset:         3396
        .size:           2
        .value_kind:     hidden_remainder_y
      - .offset:         3398
        .size:           2
        .value_kind:     hidden_remainder_z
      - .offset:         3416
        .size:           8
        .value_kind:     hidden_global_offset_x
      - .offset:         3424
        .size:           8
        .value_kind:     hidden_global_offset_y
      - .offset:         3432
        .size:           8
        .value_kind:     hidden_global_offset_z
      - .offset:         3440
        .size:           2
        .value_kind:     hidden_grid_dims
    .group_segment_fixed_size: 0
    .kernarg_segment_align: 8
    .kernarg_segment_size: 3632
    .language:       OpenCL C
    .language_version:
      - 2
      - 0
    .max_flat_workgroup_size: 512
    .name:           _ZN2at6native12_GLOBAL__N_125multi_tensor_apply_kernelINS1_18TensorListMetadataILi1EEENS1_14UnaryOpFunctorIN3c108BFloat16ELi1ELi1ELi0EEEJNS0_5FloorIfEEEEEvT_T0_DpT1_
    .private_segment_fixed_size: 0
    .sgpr_count:     22
    .sgpr_spill_count: 0
    .symbol:         _ZN2at6native12_GLOBAL__N_125multi_tensor_apply_kernelINS1_18TensorListMetadataILi1EEENS1_14UnaryOpFunctorIN3c108BFloat16ELi1ELi1ELi0EEEJNS0_5FloorIfEEEEEvT_T0_DpT1_.kd
    .uniform_work_group_size: 1
    .uses_dynamic_stack: false
    .vgpr_count:     17
    .vgpr_spill_count: 0
    .wavefront_size: 32
    .workgroup_processor_mode: 1
  - .args:
      - .offset:         0
        .size:           3144
        .value_kind:     by_value
      - .offset:         3144
        .size:           1
        .value_kind:     by_value
      - .offset:         3145
        .size:           1
        .value_kind:     by_value
      - .offset:         3152
        .size:           4
        .value_kind:     hidden_block_count_x
      - .offset:         3156
        .size:           4
        .value_kind:     hidden_block_count_y
      - .offset:         3160
        .size:           4
        .value_kind:     hidden_block_count_z
      - .offset:         3164
        .size:           2
        .value_kind:     hidden_group_size_x
      - .offset:         3166
        .size:           2
        .value_kind:     hidden_group_size_y
      - .offset:         3168
        .size:           2
        .value_kind:     hidden_group_size_z
      - .offset:         3170
        .size:           2
        .value_kind:     hidden_remainder_x
      - .offset:         3172
        .size:           2
        .value_kind:     hidden_remainder_y
      - .offset:         3174
        .size:           2
        .value_kind:     hidden_remainder_z
      - .offset:         3192
        .size:           8
        .value_kind:     hidden_global_offset_x
      - .offset:         3200
        .size:           8
        .value_kind:     hidden_global_offset_y
      - .offset:         3208
        .size:           8
        .value_kind:     hidden_global_offset_z
      - .offset:         3216
        .size:           2
        .value_kind:     hidden_grid_dims
    .group_segment_fixed_size: 0
    .kernarg_segment_align: 8
    .kernarg_segment_size: 3408
    .language:       OpenCL C
    .language_version:
      - 2
      - 0
    .max_flat_workgroup_size: 512
    .name:           _ZN2at6native12_GLOBAL__N_125multi_tensor_apply_kernelINS1_18TensorListMetadataILi2EEENS1_14UnaryOpFunctorIdLi2ELi1ELi1EEEJNS0_4CeilIdEEEEEvT_T0_DpT1_
    .private_segment_fixed_size: 0
    .sgpr_count:     24
    .sgpr_spill_count: 0
    .symbol:         _ZN2at6native12_GLOBAL__N_125multi_tensor_apply_kernelINS1_18TensorListMetadataILi2EEENS1_14UnaryOpFunctorIdLi2ELi1ELi1EEEJNS0_4CeilIdEEEEEvT_T0_DpT1_.kd
    .uniform_work_group_size: 1
    .uses_dynamic_stack: false
    .vgpr_count:     33
    .vgpr_spill_count: 0
    .wavefront_size: 32
    .workgroup_processor_mode: 1
  - .args:
      - .offset:         0
        .size:           3144
        .value_kind:     by_value
      - .offset:         3144
        .size:           1
        .value_kind:     by_value
      - .offset:         3145
        .size:           1
        .value_kind:     by_value
      - .offset:         3152
        .size:           4
        .value_kind:     hidden_block_count_x
      - .offset:         3156
        .size:           4
        .value_kind:     hidden_block_count_y
      - .offset:         3160
        .size:           4
        .value_kind:     hidden_block_count_z
      - .offset:         3164
        .size:           2
        .value_kind:     hidden_group_size_x
      - .offset:         3166
        .size:           2
        .value_kind:     hidden_group_size_y
      - .offset:         3168
        .size:           2
        .value_kind:     hidden_group_size_z
      - .offset:         3170
        .size:           2
        .value_kind:     hidden_remainder_x
      - .offset:         3172
        .size:           2
        .value_kind:     hidden_remainder_y
      - .offset:         3174
        .size:           2
        .value_kind:     hidden_remainder_z
      - .offset:         3192
        .size:           8
        .value_kind:     hidden_global_offset_x
      - .offset:         3200
        .size:           8
        .value_kind:     hidden_global_offset_y
      - .offset:         3208
        .size:           8
        .value_kind:     hidden_global_offset_z
      - .offset:         3216
        .size:           2
        .value_kind:     hidden_grid_dims
    .group_segment_fixed_size: 0
    .kernarg_segment_align: 8
    .kernarg_segment_size: 3408
    .language:       OpenCL C
    .language_version:
      - 2
      - 0
    .max_flat_workgroup_size: 512
    .name:           _ZN2at6native12_GLOBAL__N_125multi_tensor_apply_kernelINS1_18TensorListMetadataILi2EEENS1_14UnaryOpFunctorIfLi2ELi1ELi1EEEJNS0_4CeilIfEEEEEvT_T0_DpT1_
    .private_segment_fixed_size: 0
    .sgpr_count:     24
    .sgpr_spill_count: 0
    .symbol:         _ZN2at6native12_GLOBAL__N_125multi_tensor_apply_kernelINS1_18TensorListMetadataILi2EEENS1_14UnaryOpFunctorIfLi2ELi1ELi1EEEJNS0_4CeilIfEEEEEvT_T0_DpT1_.kd
    .uniform_work_group_size: 1
    .uses_dynamic_stack: false
    .vgpr_count:     29
    .vgpr_spill_count: 0
    .wavefront_size: 32
    .workgroup_processor_mode: 1
  - .args:
      - .offset:         0
        .size:           3144
        .value_kind:     by_value
      - .offset:         3144
        .size:           1
        .value_kind:     by_value
      - .offset:         3145
        .size:           1
        .value_kind:     by_value
      - .offset:         3152
        .size:           4
        .value_kind:     hidden_block_count_x
      - .offset:         3156
        .size:           4
        .value_kind:     hidden_block_count_y
      - .offset:         3160
        .size:           4
        .value_kind:     hidden_block_count_z
      - .offset:         3164
        .size:           2
        .value_kind:     hidden_group_size_x
      - .offset:         3166
        .size:           2
        .value_kind:     hidden_group_size_y
      - .offset:         3168
        .size:           2
        .value_kind:     hidden_group_size_z
      - .offset:         3170
        .size:           2
        .value_kind:     hidden_remainder_x
      - .offset:         3172
        .size:           2
        .value_kind:     hidden_remainder_y
      - .offset:         3174
        .size:           2
        .value_kind:     hidden_remainder_z
      - .offset:         3192
        .size:           8
        .value_kind:     hidden_global_offset_x
      - .offset:         3200
        .size:           8
        .value_kind:     hidden_global_offset_y
      - .offset:         3208
        .size:           8
        .value_kind:     hidden_global_offset_z
      - .offset:         3216
        .size:           2
        .value_kind:     hidden_grid_dims
    .group_segment_fixed_size: 0
    .kernarg_segment_align: 8
    .kernarg_segment_size: 3408
    .language:       OpenCL C
    .language_version:
      - 2
      - 0
    .max_flat_workgroup_size: 512
    .name:           _ZN2at6native12_GLOBAL__N_125multi_tensor_apply_kernelINS1_18TensorListMetadataILi2EEENS1_14UnaryOpFunctorIN3c104HalfELi2ELi1ELi1EEEJNS0_4CeilIfEEEEEvT_T0_DpT1_
    .private_segment_fixed_size: 0
    .sgpr_count:     24
    .sgpr_spill_count: 0
    .symbol:         _ZN2at6native12_GLOBAL__N_125multi_tensor_apply_kernelINS1_18TensorListMetadataILi2EEENS1_14UnaryOpFunctorIN3c104HalfELi2ELi1ELi1EEEJNS0_4CeilIfEEEEEvT_T0_DpT1_.kd
    .uniform_work_group_size: 1
    .uses_dynamic_stack: false
    .vgpr_count:     29
    .vgpr_spill_count: 0
    .wavefront_size: 32
    .workgroup_processor_mode: 1
  - .args:
      - .offset:         0
        .size:           3144
        .value_kind:     by_value
      - .offset:         3144
        .size:           1
        .value_kind:     by_value
      - .offset:         3145
        .size:           1
        .value_kind:     by_value
      - .offset:         3152
        .size:           4
        .value_kind:     hidden_block_count_x
      - .offset:         3156
        .size:           4
        .value_kind:     hidden_block_count_y
      - .offset:         3160
        .size:           4
        .value_kind:     hidden_block_count_z
      - .offset:         3164
        .size:           2
        .value_kind:     hidden_group_size_x
      - .offset:         3166
        .size:           2
        .value_kind:     hidden_group_size_y
      - .offset:         3168
        .size:           2
        .value_kind:     hidden_group_size_z
      - .offset:         3170
        .size:           2
        .value_kind:     hidden_remainder_x
      - .offset:         3172
        .size:           2
        .value_kind:     hidden_remainder_y
      - .offset:         3174
        .size:           2
        .value_kind:     hidden_remainder_z
      - .offset:         3192
        .size:           8
        .value_kind:     hidden_global_offset_x
      - .offset:         3200
        .size:           8
        .value_kind:     hidden_global_offset_y
      - .offset:         3208
        .size:           8
        .value_kind:     hidden_global_offset_z
      - .offset:         3216
        .size:           2
        .value_kind:     hidden_grid_dims
    .group_segment_fixed_size: 0
    .kernarg_segment_align: 8
    .kernarg_segment_size: 3408
    .language:       OpenCL C
    .language_version:
      - 2
      - 0
    .max_flat_workgroup_size: 512
    .name:           _ZN2at6native12_GLOBAL__N_125multi_tensor_apply_kernelINS1_18TensorListMetadataILi2EEENS1_14UnaryOpFunctorIN3c108BFloat16ELi2ELi1ELi1EEEJNS0_4CeilIfEEEEEvT_T0_DpT1_
    .private_segment_fixed_size: 0
    .sgpr_count:     20
    .sgpr_spill_count: 0
    .symbol:         _ZN2at6native12_GLOBAL__N_125multi_tensor_apply_kernelINS1_18TensorListMetadataILi2EEENS1_14UnaryOpFunctorIN3c108BFloat16ELi2ELi1ELi1EEEJNS0_4CeilIfEEEEEvT_T0_DpT1_.kd
    .uniform_work_group_size: 1
    .uses_dynamic_stack: false
    .vgpr_count:     29
    .vgpr_spill_count: 0
    .wavefront_size: 32
    .workgroup_processor_mode: 1
  - .args:
      - .offset:         0
        .size:           3368
        .value_kind:     by_value
      - .offset:         3368
        .size:           1
        .value_kind:     by_value
      - .offset:         3369
        .size:           1
        .value_kind:     by_value
      - .offset:         3376
        .size:           4
        .value_kind:     hidden_block_count_x
      - .offset:         3380
        .size:           4
        .value_kind:     hidden_block_count_y
      - .offset:         3384
        .size:           4
        .value_kind:     hidden_block_count_z
      - .offset:         3388
        .size:           2
        .value_kind:     hidden_group_size_x
      - .offset:         3390
        .size:           2
        .value_kind:     hidden_group_size_y
      - .offset:         3392
        .size:           2
        .value_kind:     hidden_group_size_z
      - .offset:         3394
        .size:           2
        .value_kind:     hidden_remainder_x
      - .offset:         3396
        .size:           2
        .value_kind:     hidden_remainder_y
      - .offset:         3398
        .size:           2
        .value_kind:     hidden_remainder_z
      - .offset:         3416
        .size:           8
        .value_kind:     hidden_global_offset_x
      - .offset:         3424
        .size:           8
        .value_kind:     hidden_global_offset_y
      - .offset:         3432
        .size:           8
        .value_kind:     hidden_global_offset_z
      - .offset:         3440
        .size:           2
        .value_kind:     hidden_grid_dims
    .group_segment_fixed_size: 0
    .kernarg_segment_align: 8
    .kernarg_segment_size: 3632
    .language:       OpenCL C
    .language_version:
      - 2
      - 0
    .max_flat_workgroup_size: 512
    .name:           _ZN2at6native12_GLOBAL__N_125multi_tensor_apply_kernelINS1_18TensorListMetadataILi1EEENS1_14UnaryOpFunctorIdLi1ELi1ELi0EEEJNS0_4CeilIdEEEEEvT_T0_DpT1_
    .private_segment_fixed_size: 0
    .sgpr_count:     23
    .sgpr_spill_count: 0
    .symbol:         _ZN2at6native12_GLOBAL__N_125multi_tensor_apply_kernelINS1_18TensorListMetadataILi1EEENS1_14UnaryOpFunctorIdLi1ELi1ELi0EEEJNS0_4CeilIdEEEEEvT_T0_DpT1_.kd
    .uniform_work_group_size: 1
    .uses_dynamic_stack: false
    .vgpr_count:     21
    .vgpr_spill_count: 0
    .wavefront_size: 32
    .workgroup_processor_mode: 1
  - .args:
      - .offset:         0
        .size:           3368
        .value_kind:     by_value
      - .offset:         3368
        .size:           1
        .value_kind:     by_value
      - .offset:         3369
        .size:           1
        .value_kind:     by_value
      - .offset:         3376
        .size:           4
        .value_kind:     hidden_block_count_x
      - .offset:         3380
        .size:           4
        .value_kind:     hidden_block_count_y
      - .offset:         3384
        .size:           4
        .value_kind:     hidden_block_count_z
      - .offset:         3388
        .size:           2
        .value_kind:     hidden_group_size_x
      - .offset:         3390
        .size:           2
        .value_kind:     hidden_group_size_y
      - .offset:         3392
        .size:           2
        .value_kind:     hidden_group_size_z
      - .offset:         3394
        .size:           2
        .value_kind:     hidden_remainder_x
      - .offset:         3396
        .size:           2
        .value_kind:     hidden_remainder_y
      - .offset:         3398
        .size:           2
        .value_kind:     hidden_remainder_z
      - .offset:         3416
        .size:           8
        .value_kind:     hidden_global_offset_x
      - .offset:         3424
        .size:           8
        .value_kind:     hidden_global_offset_y
      - .offset:         3432
        .size:           8
        .value_kind:     hidden_global_offset_z
      - .offset:         3440
        .size:           2
        .value_kind:     hidden_grid_dims
    .group_segment_fixed_size: 0
    .kernarg_segment_align: 8
    .kernarg_segment_size: 3632
    .language:       OpenCL C
    .language_version:
      - 2
      - 0
    .max_flat_workgroup_size: 512
    .name:           _ZN2at6native12_GLOBAL__N_125multi_tensor_apply_kernelINS1_18TensorListMetadataILi1EEENS1_14UnaryOpFunctorIfLi1ELi1ELi0EEEJNS0_4CeilIfEEEEEvT_T0_DpT1_
    .private_segment_fixed_size: 0
    .sgpr_count:     23
    .sgpr_spill_count: 0
    .symbol:         _ZN2at6native12_GLOBAL__N_125multi_tensor_apply_kernelINS1_18TensorListMetadataILi1EEENS1_14UnaryOpFunctorIfLi1ELi1ELi0EEEJNS0_4CeilIfEEEEEvT_T0_DpT1_.kd
    .uniform_work_group_size: 1
    .uses_dynamic_stack: false
    .vgpr_count:     17
    .vgpr_spill_count: 0
    .wavefront_size: 32
    .workgroup_processor_mode: 1
  - .args:
      - .offset:         0
        .size:           3368
        .value_kind:     by_value
      - .offset:         3368
        .size:           1
        .value_kind:     by_value
      - .offset:         3369
        .size:           1
        .value_kind:     by_value
      - .offset:         3376
        .size:           4
        .value_kind:     hidden_block_count_x
      - .offset:         3380
        .size:           4
        .value_kind:     hidden_block_count_y
      - .offset:         3384
        .size:           4
        .value_kind:     hidden_block_count_z
      - .offset:         3388
        .size:           2
        .value_kind:     hidden_group_size_x
      - .offset:         3390
        .size:           2
        .value_kind:     hidden_group_size_y
      - .offset:         3392
        .size:           2
        .value_kind:     hidden_group_size_z
      - .offset:         3394
        .size:           2
        .value_kind:     hidden_remainder_x
      - .offset:         3396
        .size:           2
        .value_kind:     hidden_remainder_y
      - .offset:         3398
        .size:           2
        .value_kind:     hidden_remainder_z
      - .offset:         3416
        .size:           8
        .value_kind:     hidden_global_offset_x
      - .offset:         3424
        .size:           8
        .value_kind:     hidden_global_offset_y
      - .offset:         3432
        .size:           8
        .value_kind:     hidden_global_offset_z
      - .offset:         3440
        .size:           2
        .value_kind:     hidden_grid_dims
    .group_segment_fixed_size: 0
    .kernarg_segment_align: 8
    .kernarg_segment_size: 3632
    .language:       OpenCL C
    .language_version:
      - 2
      - 0
    .max_flat_workgroup_size: 512
    .name:           _ZN2at6native12_GLOBAL__N_125multi_tensor_apply_kernelINS1_18TensorListMetadataILi1EEENS1_14UnaryOpFunctorIN3c104HalfELi1ELi1ELi0EEEJNS0_4CeilIfEEEEEvT_T0_DpT1_
    .private_segment_fixed_size: 0
    .sgpr_count:     22
    .sgpr_spill_count: 0
    .symbol:         _ZN2at6native12_GLOBAL__N_125multi_tensor_apply_kernelINS1_18TensorListMetadataILi1EEENS1_14UnaryOpFunctorIN3c104HalfELi1ELi1ELi0EEEJNS0_4CeilIfEEEEEvT_T0_DpT1_.kd
    .uniform_work_group_size: 1
    .uses_dynamic_stack: false
    .vgpr_count:     17
    .vgpr_spill_count: 0
    .wavefront_size: 32
    .workgroup_processor_mode: 1
  - .args:
      - .offset:         0
        .size:           3368
        .value_kind:     by_value
      - .offset:         3368
        .size:           1
        .value_kind:     by_value
      - .offset:         3369
        .size:           1
        .value_kind:     by_value
      - .offset:         3376
        .size:           4
        .value_kind:     hidden_block_count_x
      - .offset:         3380
        .size:           4
        .value_kind:     hidden_block_count_y
      - .offset:         3384
        .size:           4
        .value_kind:     hidden_block_count_z
      - .offset:         3388
        .size:           2
        .value_kind:     hidden_group_size_x
      - .offset:         3390
        .size:           2
        .value_kind:     hidden_group_size_y
      - .offset:         3392
        .size:           2
        .value_kind:     hidden_group_size_z
      - .offset:         3394
        .size:           2
        .value_kind:     hidden_remainder_x
      - .offset:         3396
        .size:           2
        .value_kind:     hidden_remainder_y
      - .offset:         3398
        .size:           2
        .value_kind:     hidden_remainder_z
      - .offset:         3416
        .size:           8
        .value_kind:     hidden_global_offset_x
      - .offset:         3424
        .size:           8
        .value_kind:     hidden_global_offset_y
      - .offset:         3432
        .size:           8
        .value_kind:     hidden_global_offset_z
      - .offset:         3440
        .size:           2
        .value_kind:     hidden_grid_dims
    .group_segment_fixed_size: 0
    .kernarg_segment_align: 8
    .kernarg_segment_size: 3632
    .language:       OpenCL C
    .language_version:
      - 2
      - 0
    .max_flat_workgroup_size: 512
    .name:           _ZN2at6native12_GLOBAL__N_125multi_tensor_apply_kernelINS1_18TensorListMetadataILi1EEENS1_14UnaryOpFunctorIN3c108BFloat16ELi1ELi1ELi0EEEJNS0_4CeilIfEEEEEvT_T0_DpT1_
    .private_segment_fixed_size: 0
    .sgpr_count:     22
    .sgpr_spill_count: 0
    .symbol:         _ZN2at6native12_GLOBAL__N_125multi_tensor_apply_kernelINS1_18TensorListMetadataILi1EEENS1_14UnaryOpFunctorIN3c108BFloat16ELi1ELi1ELi0EEEJNS0_4CeilIfEEEEEvT_T0_DpT1_.kd
    .uniform_work_group_size: 1
    .uses_dynamic_stack: false
    .vgpr_count:     17
    .vgpr_spill_count: 0
    .wavefront_size: 32
    .workgroup_processor_mode: 1
  - .args:
      - .offset:         0
        .size:           3144
        .value_kind:     by_value
      - .offset:         3144
        .size:           1
        .value_kind:     by_value
      - .offset:         3145
        .size:           1
        .value_kind:     by_value
      - .offset:         3152
        .size:           4
        .value_kind:     hidden_block_count_x
      - .offset:         3156
        .size:           4
        .value_kind:     hidden_block_count_y
      - .offset:         3160
        .size:           4
        .value_kind:     hidden_block_count_z
      - .offset:         3164
        .size:           2
        .value_kind:     hidden_group_size_x
      - .offset:         3166
        .size:           2
        .value_kind:     hidden_group_size_y
      - .offset:         3168
        .size:           2
        .value_kind:     hidden_group_size_z
      - .offset:         3170
        .size:           2
        .value_kind:     hidden_remainder_x
      - .offset:         3172
        .size:           2
        .value_kind:     hidden_remainder_y
      - .offset:         3174
        .size:           2
        .value_kind:     hidden_remainder_z
      - .offset:         3192
        .size:           8
        .value_kind:     hidden_global_offset_x
      - .offset:         3200
        .size:           8
        .value_kind:     hidden_global_offset_y
      - .offset:         3208
        .size:           8
        .value_kind:     hidden_global_offset_z
      - .offset:         3216
        .size:           2
        .value_kind:     hidden_grid_dims
    .group_segment_fixed_size: 0
    .kernarg_segment_align: 8
    .kernarg_segment_size: 3408
    .language:       OpenCL C
    .language_version:
      - 2
      - 0
    .max_flat_workgroup_size: 512
    .name:           _ZN2at6native12_GLOBAL__N_125multi_tensor_apply_kernelINS1_18TensorListMetadataILi2EEENS1_14UnaryOpFunctorIdLi2ELi1ELi1EEEJNS0_4AcosIdEEEEEvT_T0_DpT1_
    .private_segment_fixed_size: 0
    .sgpr_count:     53
    .sgpr_spill_count: 0
    .symbol:         _ZN2at6native12_GLOBAL__N_125multi_tensor_apply_kernelINS1_18TensorListMetadataILi2EEENS1_14UnaryOpFunctorIdLi2ELi1ELi1EEEJNS0_4AcosIdEEEEEvT_T0_DpT1_.kd
    .uniform_work_group_size: 1
    .uses_dynamic_stack: false
    .vgpr_count:     49
    .vgpr_spill_count: 0
    .wavefront_size: 32
    .workgroup_processor_mode: 1
  - .args:
      - .offset:         0
        .size:           3144
        .value_kind:     by_value
      - .offset:         3144
        .size:           1
        .value_kind:     by_value
      - .offset:         3145
        .size:           1
        .value_kind:     by_value
      - .offset:         3152
        .size:           4
        .value_kind:     hidden_block_count_x
      - .offset:         3156
        .size:           4
        .value_kind:     hidden_block_count_y
      - .offset:         3160
        .size:           4
        .value_kind:     hidden_block_count_z
      - .offset:         3164
        .size:           2
        .value_kind:     hidden_group_size_x
      - .offset:         3166
        .size:           2
        .value_kind:     hidden_group_size_y
      - .offset:         3168
        .size:           2
        .value_kind:     hidden_group_size_z
      - .offset:         3170
        .size:           2
        .value_kind:     hidden_remainder_x
      - .offset:         3172
        .size:           2
        .value_kind:     hidden_remainder_y
      - .offset:         3174
        .size:           2
        .value_kind:     hidden_remainder_z
      - .offset:         3192
        .size:           8
        .value_kind:     hidden_global_offset_x
      - .offset:         3200
        .size:           8
        .value_kind:     hidden_global_offset_y
      - .offset:         3208
        .size:           8
        .value_kind:     hidden_global_offset_z
      - .offset:         3216
        .size:           2
        .value_kind:     hidden_grid_dims
    .group_segment_fixed_size: 0
    .kernarg_segment_align: 8
    .kernarg_segment_size: 3408
    .language:       OpenCL C
    .language_version:
      - 2
      - 0
    .max_flat_workgroup_size: 512
    .name:           _ZN2at6native12_GLOBAL__N_125multi_tensor_apply_kernelINS1_18TensorListMetadataILi2EEENS1_14UnaryOpFunctorIfLi2ELi1ELi1EEEJNS0_4AcosIfEEEEEvT_T0_DpT1_
    .private_segment_fixed_size: 0
    .sgpr_count:     29
    .sgpr_spill_count: 0
    .symbol:         _ZN2at6native12_GLOBAL__N_125multi_tensor_apply_kernelINS1_18TensorListMetadataILi2EEENS1_14UnaryOpFunctorIfLi2ELi1ELi1EEEJNS0_4AcosIfEEEEEvT_T0_DpT1_.kd
    .uniform_work_group_size: 1
    .uses_dynamic_stack: false
    .vgpr_count:     30
    .vgpr_spill_count: 0
    .wavefront_size: 32
    .workgroup_processor_mode: 1
  - .args:
      - .offset:         0
        .size:           3144
        .value_kind:     by_value
      - .offset:         3144
        .size:           1
        .value_kind:     by_value
      - .offset:         3145
        .size:           1
        .value_kind:     by_value
      - .offset:         3152
        .size:           4
        .value_kind:     hidden_block_count_x
      - .offset:         3156
        .size:           4
        .value_kind:     hidden_block_count_y
      - .offset:         3160
        .size:           4
        .value_kind:     hidden_block_count_z
      - .offset:         3164
        .size:           2
        .value_kind:     hidden_group_size_x
      - .offset:         3166
        .size:           2
        .value_kind:     hidden_group_size_y
      - .offset:         3168
        .size:           2
        .value_kind:     hidden_group_size_z
      - .offset:         3170
        .size:           2
        .value_kind:     hidden_remainder_x
      - .offset:         3172
        .size:           2
        .value_kind:     hidden_remainder_y
      - .offset:         3174
        .size:           2
        .value_kind:     hidden_remainder_z
      - .offset:         3192
        .size:           8
        .value_kind:     hidden_global_offset_x
      - .offset:         3200
        .size:           8
        .value_kind:     hidden_global_offset_y
      - .offset:         3208
        .size:           8
        .value_kind:     hidden_global_offset_z
      - .offset:         3216
        .size:           2
        .value_kind:     hidden_grid_dims
    .group_segment_fixed_size: 0
    .kernarg_segment_align: 8
    .kernarg_segment_size: 3408
    .language:       OpenCL C
    .language_version:
      - 2
      - 0
    .max_flat_workgroup_size: 512
    .name:           _ZN2at6native12_GLOBAL__N_125multi_tensor_apply_kernelINS1_18TensorListMetadataILi2EEENS1_14UnaryOpFunctorIN3c107complexIdEELi2ELi1ELi1EEEJNS0_4AcosIS8_EEEEEvT_T0_DpT1_
    .private_segment_fixed_size: 24
    .sgpr_count:     46
    .sgpr_spill_count: 0
    .symbol:         _ZN2at6native12_GLOBAL__N_125multi_tensor_apply_kernelINS1_18TensorListMetadataILi2EEENS1_14UnaryOpFunctorIN3c107complexIdEELi2ELi1ELi1EEEJNS0_4AcosIS8_EEEEEvT_T0_DpT1_.kd
    .uniform_work_group_size: 1
    .uses_dynamic_stack: false
    .vgpr_count:     75
    .vgpr_spill_count: 0
    .wavefront_size: 32
    .workgroup_processor_mode: 1
  - .args:
      - .offset:         0
        .size:           3144
        .value_kind:     by_value
      - .offset:         3144
        .size:           1
        .value_kind:     by_value
      - .offset:         3145
        .size:           1
        .value_kind:     by_value
      - .offset:         3152
        .size:           4
        .value_kind:     hidden_block_count_x
      - .offset:         3156
        .size:           4
        .value_kind:     hidden_block_count_y
      - .offset:         3160
        .size:           4
        .value_kind:     hidden_block_count_z
      - .offset:         3164
        .size:           2
        .value_kind:     hidden_group_size_x
      - .offset:         3166
        .size:           2
        .value_kind:     hidden_group_size_y
      - .offset:         3168
        .size:           2
        .value_kind:     hidden_group_size_z
      - .offset:         3170
        .size:           2
        .value_kind:     hidden_remainder_x
      - .offset:         3172
        .size:           2
        .value_kind:     hidden_remainder_y
      - .offset:         3174
        .size:           2
        .value_kind:     hidden_remainder_z
      - .offset:         3192
        .size:           8
        .value_kind:     hidden_global_offset_x
      - .offset:         3200
        .size:           8
        .value_kind:     hidden_global_offset_y
      - .offset:         3208
        .size:           8
        .value_kind:     hidden_global_offset_z
      - .offset:         3216
        .size:           2
        .value_kind:     hidden_grid_dims
    .group_segment_fixed_size: 0
    .kernarg_segment_align: 8
    .kernarg_segment_size: 3408
    .language:       OpenCL C
    .language_version:
      - 2
      - 0
    .max_flat_workgroup_size: 512
    .name:           _ZN2at6native12_GLOBAL__N_125multi_tensor_apply_kernelINS1_18TensorListMetadataILi2EEENS1_14UnaryOpFunctorIN3c107complexIfEELi2ELi1ELi1EEEJNS0_4AcosIS8_EEEEEvT_T0_DpT1_
    .private_segment_fixed_size: 16
    .sgpr_count:     45
    .sgpr_spill_count: 0
    .symbol:         _ZN2at6native12_GLOBAL__N_125multi_tensor_apply_kernelINS1_18TensorListMetadataILi2EEENS1_14UnaryOpFunctorIN3c107complexIfEELi2ELi1ELi1EEEJNS0_4AcosIS8_EEEEEvT_T0_DpT1_.kd
    .uniform_work_group_size: 1
    .uses_dynamic_stack: false
    .vgpr_count:     50
    .vgpr_spill_count: 0
    .wavefront_size: 32
    .workgroup_processor_mode: 1
  - .args:
      - .offset:         0
        .size:           3144
        .value_kind:     by_value
      - .offset:         3144
        .size:           1
        .value_kind:     by_value
      - .offset:         3145
        .size:           1
        .value_kind:     by_value
      - .offset:         3152
        .size:           4
        .value_kind:     hidden_block_count_x
      - .offset:         3156
        .size:           4
        .value_kind:     hidden_block_count_y
      - .offset:         3160
        .size:           4
        .value_kind:     hidden_block_count_z
      - .offset:         3164
        .size:           2
        .value_kind:     hidden_group_size_x
      - .offset:         3166
        .size:           2
        .value_kind:     hidden_group_size_y
      - .offset:         3168
        .size:           2
        .value_kind:     hidden_group_size_z
      - .offset:         3170
        .size:           2
        .value_kind:     hidden_remainder_x
      - .offset:         3172
        .size:           2
        .value_kind:     hidden_remainder_y
      - .offset:         3174
        .size:           2
        .value_kind:     hidden_remainder_z
      - .offset:         3192
        .size:           8
        .value_kind:     hidden_global_offset_x
      - .offset:         3200
        .size:           8
        .value_kind:     hidden_global_offset_y
      - .offset:         3208
        .size:           8
        .value_kind:     hidden_global_offset_z
      - .offset:         3216
        .size:           2
        .value_kind:     hidden_grid_dims
    .group_segment_fixed_size: 0
    .kernarg_segment_align: 8
    .kernarg_segment_size: 3408
    .language:       OpenCL C
    .language_version:
      - 2
      - 0
    .max_flat_workgroup_size: 512
    .name:           _ZN2at6native12_GLOBAL__N_125multi_tensor_apply_kernelINS1_18TensorListMetadataILi2EEENS1_14UnaryOpFunctorIN3c104HalfELi2ELi1ELi1EEEJNS0_4AcosIfEEEEEvT_T0_DpT1_
    .private_segment_fixed_size: 0
    .sgpr_count:     30
    .sgpr_spill_count: 0
    .symbol:         _ZN2at6native12_GLOBAL__N_125multi_tensor_apply_kernelINS1_18TensorListMetadataILi2EEENS1_14UnaryOpFunctorIN3c104HalfELi2ELi1ELi1EEEJNS0_4AcosIfEEEEEvT_T0_DpT1_.kd
    .uniform_work_group_size: 1
    .uses_dynamic_stack: false
    .vgpr_count:     30
    .vgpr_spill_count: 0
    .wavefront_size: 32
    .workgroup_processor_mode: 1
  - .args:
      - .offset:         0
        .size:           3144
        .value_kind:     by_value
      - .offset:         3144
        .size:           1
        .value_kind:     by_value
      - .offset:         3145
        .size:           1
        .value_kind:     by_value
      - .offset:         3152
        .size:           4
        .value_kind:     hidden_block_count_x
      - .offset:         3156
        .size:           4
        .value_kind:     hidden_block_count_y
      - .offset:         3160
        .size:           4
        .value_kind:     hidden_block_count_z
      - .offset:         3164
        .size:           2
        .value_kind:     hidden_group_size_x
      - .offset:         3166
        .size:           2
        .value_kind:     hidden_group_size_y
      - .offset:         3168
        .size:           2
        .value_kind:     hidden_group_size_z
      - .offset:         3170
        .size:           2
        .value_kind:     hidden_remainder_x
      - .offset:         3172
        .size:           2
        .value_kind:     hidden_remainder_y
      - .offset:         3174
        .size:           2
        .value_kind:     hidden_remainder_z
      - .offset:         3192
        .size:           8
        .value_kind:     hidden_global_offset_x
      - .offset:         3200
        .size:           8
        .value_kind:     hidden_global_offset_y
      - .offset:         3208
        .size:           8
        .value_kind:     hidden_global_offset_z
      - .offset:         3216
        .size:           2
        .value_kind:     hidden_grid_dims
    .group_segment_fixed_size: 0
    .kernarg_segment_align: 8
    .kernarg_segment_size: 3408
    .language:       OpenCL C
    .language_version:
      - 2
      - 0
    .max_flat_workgroup_size: 512
    .name:           _ZN2at6native12_GLOBAL__N_125multi_tensor_apply_kernelINS1_18TensorListMetadataILi2EEENS1_14UnaryOpFunctorIN3c108BFloat16ELi2ELi1ELi1EEEJNS0_4AcosIfEEEEEvT_T0_DpT1_
    .private_segment_fixed_size: 0
    .sgpr_count:     26
    .sgpr_spill_count: 0
    .symbol:         _ZN2at6native12_GLOBAL__N_125multi_tensor_apply_kernelINS1_18TensorListMetadataILi2EEENS1_14UnaryOpFunctorIN3c108BFloat16ELi2ELi1ELi1EEEJNS0_4AcosIfEEEEEvT_T0_DpT1_.kd
    .uniform_work_group_size: 1
    .uses_dynamic_stack: false
    .vgpr_count:     30
    .vgpr_spill_count: 0
    .wavefront_size: 32
    .workgroup_processor_mode: 1
  - .args:
      - .offset:         0
        .size:           3368
        .value_kind:     by_value
      - .offset:         3368
        .size:           1
        .value_kind:     by_value
      - .offset:         3369
        .size:           1
        .value_kind:     by_value
      - .offset:         3376
        .size:           4
        .value_kind:     hidden_block_count_x
      - .offset:         3380
        .size:           4
        .value_kind:     hidden_block_count_y
      - .offset:         3384
        .size:           4
        .value_kind:     hidden_block_count_z
      - .offset:         3388
        .size:           2
        .value_kind:     hidden_group_size_x
      - .offset:         3390
        .size:           2
        .value_kind:     hidden_group_size_y
      - .offset:         3392
        .size:           2
        .value_kind:     hidden_group_size_z
      - .offset:         3394
        .size:           2
        .value_kind:     hidden_remainder_x
      - .offset:         3396
        .size:           2
        .value_kind:     hidden_remainder_y
      - .offset:         3398
        .size:           2
        .value_kind:     hidden_remainder_z
      - .offset:         3416
        .size:           8
        .value_kind:     hidden_global_offset_x
      - .offset:         3424
        .size:           8
        .value_kind:     hidden_global_offset_y
      - .offset:         3432
        .size:           8
        .value_kind:     hidden_global_offset_z
      - .offset:         3440
        .size:           2
        .value_kind:     hidden_grid_dims
    .group_segment_fixed_size: 0
    .kernarg_segment_align: 8
    .kernarg_segment_size: 3632
    .language:       OpenCL C
    .language_version:
      - 2
      - 0
    .max_flat_workgroup_size: 512
    .name:           _ZN2at6native12_GLOBAL__N_125multi_tensor_apply_kernelINS1_18TensorListMetadataILi1EEENS1_14UnaryOpFunctorIdLi1ELi1ELi0EEEJNS0_4AcosIdEEEEEvT_T0_DpT1_
    .private_segment_fixed_size: 0
    .sgpr_count:     54
    .sgpr_spill_count: 0
    .symbol:         _ZN2at6native12_GLOBAL__N_125multi_tensor_apply_kernelINS1_18TensorListMetadataILi1EEENS1_14UnaryOpFunctorIdLi1ELi1ELi0EEEJNS0_4AcosIdEEEEEvT_T0_DpT1_.kd
    .uniform_work_group_size: 1
    .uses_dynamic_stack: false
    .vgpr_count:     37
    .vgpr_spill_count: 0
    .wavefront_size: 32
    .workgroup_processor_mode: 1
  - .args:
      - .offset:         0
        .size:           3368
        .value_kind:     by_value
      - .offset:         3368
        .size:           1
        .value_kind:     by_value
      - .offset:         3369
        .size:           1
        .value_kind:     by_value
      - .offset:         3376
        .size:           4
        .value_kind:     hidden_block_count_x
      - .offset:         3380
        .size:           4
        .value_kind:     hidden_block_count_y
      - .offset:         3384
        .size:           4
        .value_kind:     hidden_block_count_z
      - .offset:         3388
        .size:           2
        .value_kind:     hidden_group_size_x
      - .offset:         3390
        .size:           2
        .value_kind:     hidden_group_size_y
      - .offset:         3392
        .size:           2
        .value_kind:     hidden_group_size_z
      - .offset:         3394
        .size:           2
        .value_kind:     hidden_remainder_x
      - .offset:         3396
        .size:           2
        .value_kind:     hidden_remainder_y
      - .offset:         3398
        .size:           2
        .value_kind:     hidden_remainder_z
      - .offset:         3416
        .size:           8
        .value_kind:     hidden_global_offset_x
      - .offset:         3424
        .size:           8
        .value_kind:     hidden_global_offset_y
      - .offset:         3432
        .size:           8
        .value_kind:     hidden_global_offset_z
      - .offset:         3440
        .size:           2
        .value_kind:     hidden_grid_dims
    .group_segment_fixed_size: 0
    .kernarg_segment_align: 8
    .kernarg_segment_size: 3632
    .language:       OpenCL C
    .language_version:
      - 2
      - 0
    .max_flat_workgroup_size: 512
    .name:           _ZN2at6native12_GLOBAL__N_125multi_tensor_apply_kernelINS1_18TensorListMetadataILi1EEENS1_14UnaryOpFunctorIfLi1ELi1ELi0EEEJNS0_4AcosIfEEEEEvT_T0_DpT1_
    .private_segment_fixed_size: 0
    .sgpr_count:     24
    .sgpr_spill_count: 0
    .symbol:         _ZN2at6native12_GLOBAL__N_125multi_tensor_apply_kernelINS1_18TensorListMetadataILi1EEENS1_14UnaryOpFunctorIfLi1ELi1ELi0EEEJNS0_4AcosIfEEEEEvT_T0_DpT1_.kd
    .uniform_work_group_size: 1
    .uses_dynamic_stack: false
    .vgpr_count:     20
    .vgpr_spill_count: 0
    .wavefront_size: 32
    .workgroup_processor_mode: 1
  - .args:
      - .offset:         0
        .size:           3368
        .value_kind:     by_value
      - .offset:         3368
        .size:           1
        .value_kind:     by_value
      - .offset:         3369
        .size:           1
        .value_kind:     by_value
      - .offset:         3376
        .size:           4
        .value_kind:     hidden_block_count_x
      - .offset:         3380
        .size:           4
        .value_kind:     hidden_block_count_y
      - .offset:         3384
        .size:           4
        .value_kind:     hidden_block_count_z
      - .offset:         3388
        .size:           2
        .value_kind:     hidden_group_size_x
      - .offset:         3390
        .size:           2
        .value_kind:     hidden_group_size_y
      - .offset:         3392
        .size:           2
        .value_kind:     hidden_group_size_z
      - .offset:         3394
        .size:           2
        .value_kind:     hidden_remainder_x
      - .offset:         3396
        .size:           2
        .value_kind:     hidden_remainder_y
      - .offset:         3398
        .size:           2
        .value_kind:     hidden_remainder_z
      - .offset:         3416
        .size:           8
        .value_kind:     hidden_global_offset_x
      - .offset:         3424
        .size:           8
        .value_kind:     hidden_global_offset_y
      - .offset:         3432
        .size:           8
        .value_kind:     hidden_global_offset_z
      - .offset:         3440
        .size:           2
        .value_kind:     hidden_grid_dims
    .group_segment_fixed_size: 0
    .kernarg_segment_align: 8
    .kernarg_segment_size: 3632
    .language:       OpenCL C
    .language_version:
      - 2
      - 0
    .max_flat_workgroup_size: 512
    .name:           _ZN2at6native12_GLOBAL__N_125multi_tensor_apply_kernelINS1_18TensorListMetadataILi1EEENS1_14UnaryOpFunctorIN3c107complexIdEELi1ELi1ELi0EEEJNS0_4AcosIS8_EEEEEvT_T0_DpT1_
    .private_segment_fixed_size: 24
    .sgpr_count:     46
    .sgpr_spill_count: 0
    .symbol:         _ZN2at6native12_GLOBAL__N_125multi_tensor_apply_kernelINS1_18TensorListMetadataILi1EEENS1_14UnaryOpFunctorIN3c107complexIdEELi1ELi1ELi0EEEJNS0_4AcosIS8_EEEEEvT_T0_DpT1_.kd
    .uniform_work_group_size: 1
    .uses_dynamic_stack: false
    .vgpr_count:     70
    .vgpr_spill_count: 0
    .wavefront_size: 32
    .workgroup_processor_mode: 1
  - .args:
      - .offset:         0
        .size:           3368
        .value_kind:     by_value
      - .offset:         3368
        .size:           1
        .value_kind:     by_value
      - .offset:         3369
        .size:           1
        .value_kind:     by_value
      - .offset:         3376
        .size:           4
        .value_kind:     hidden_block_count_x
      - .offset:         3380
        .size:           4
        .value_kind:     hidden_block_count_y
      - .offset:         3384
        .size:           4
        .value_kind:     hidden_block_count_z
      - .offset:         3388
        .size:           2
        .value_kind:     hidden_group_size_x
      - .offset:         3390
        .size:           2
        .value_kind:     hidden_group_size_y
      - .offset:         3392
        .size:           2
        .value_kind:     hidden_group_size_z
      - .offset:         3394
        .size:           2
        .value_kind:     hidden_remainder_x
      - .offset:         3396
        .size:           2
        .value_kind:     hidden_remainder_y
      - .offset:         3398
        .size:           2
        .value_kind:     hidden_remainder_z
      - .offset:         3416
        .size:           8
        .value_kind:     hidden_global_offset_x
      - .offset:         3424
        .size:           8
        .value_kind:     hidden_global_offset_y
      - .offset:         3432
        .size:           8
        .value_kind:     hidden_global_offset_z
      - .offset:         3440
        .size:           2
        .value_kind:     hidden_grid_dims
    .group_segment_fixed_size: 0
    .kernarg_segment_align: 8
    .kernarg_segment_size: 3632
    .language:       OpenCL C
    .language_version:
      - 2
      - 0
    .max_flat_workgroup_size: 512
    .name:           _ZN2at6native12_GLOBAL__N_125multi_tensor_apply_kernelINS1_18TensorListMetadataILi1EEENS1_14UnaryOpFunctorIN3c107complexIfEELi1ELi1ELi0EEEJNS0_4AcosIS8_EEEEEvT_T0_DpT1_
    .private_segment_fixed_size: 16
    .sgpr_count:     45
    .sgpr_spill_count: 0
    .symbol:         _ZN2at6native12_GLOBAL__N_125multi_tensor_apply_kernelINS1_18TensorListMetadataILi1EEENS1_14UnaryOpFunctorIN3c107complexIfEELi1ELi1ELi0EEEJNS0_4AcosIS8_EEEEEvT_T0_DpT1_.kd
    .uniform_work_group_size: 1
    .uses_dynamic_stack: false
    .vgpr_count:     45
    .vgpr_spill_count: 0
    .wavefront_size: 32
    .workgroup_processor_mode: 1
  - .args:
      - .offset:         0
        .size:           3368
        .value_kind:     by_value
      - .offset:         3368
        .size:           1
        .value_kind:     by_value
      - .offset:         3369
        .size:           1
        .value_kind:     by_value
      - .offset:         3376
        .size:           4
        .value_kind:     hidden_block_count_x
      - .offset:         3380
        .size:           4
        .value_kind:     hidden_block_count_y
      - .offset:         3384
        .size:           4
        .value_kind:     hidden_block_count_z
      - .offset:         3388
        .size:           2
        .value_kind:     hidden_group_size_x
      - .offset:         3390
        .size:           2
        .value_kind:     hidden_group_size_y
      - .offset:         3392
        .size:           2
        .value_kind:     hidden_group_size_z
      - .offset:         3394
        .size:           2
        .value_kind:     hidden_remainder_x
      - .offset:         3396
        .size:           2
        .value_kind:     hidden_remainder_y
      - .offset:         3398
        .size:           2
        .value_kind:     hidden_remainder_z
      - .offset:         3416
        .size:           8
        .value_kind:     hidden_global_offset_x
      - .offset:         3424
        .size:           8
        .value_kind:     hidden_global_offset_y
      - .offset:         3432
        .size:           8
        .value_kind:     hidden_global_offset_z
      - .offset:         3440
        .size:           2
        .value_kind:     hidden_grid_dims
    .group_segment_fixed_size: 0
    .kernarg_segment_align: 8
    .kernarg_segment_size: 3632
    .language:       OpenCL C
    .language_version:
      - 2
      - 0
    .max_flat_workgroup_size: 512
    .name:           _ZN2at6native12_GLOBAL__N_125multi_tensor_apply_kernelINS1_18TensorListMetadataILi1EEENS1_14UnaryOpFunctorIN3c104HalfELi1ELi1ELi0EEEJNS0_4AcosIfEEEEEvT_T0_DpT1_
    .private_segment_fixed_size: 0
    .sgpr_count:     25
    .sgpr_spill_count: 0
    .symbol:         _ZN2at6native12_GLOBAL__N_125multi_tensor_apply_kernelINS1_18TensorListMetadataILi1EEENS1_14UnaryOpFunctorIN3c104HalfELi1ELi1ELi0EEEJNS0_4AcosIfEEEEEvT_T0_DpT1_.kd
    .uniform_work_group_size: 1
    .uses_dynamic_stack: false
    .vgpr_count:     19
    .vgpr_spill_count: 0
    .wavefront_size: 32
    .workgroup_processor_mode: 1
  - .args:
      - .offset:         0
        .size:           3368
        .value_kind:     by_value
      - .offset:         3368
        .size:           1
        .value_kind:     by_value
      - .offset:         3369
        .size:           1
        .value_kind:     by_value
      - .offset:         3376
        .size:           4
        .value_kind:     hidden_block_count_x
      - .offset:         3380
        .size:           4
        .value_kind:     hidden_block_count_y
      - .offset:         3384
        .size:           4
        .value_kind:     hidden_block_count_z
      - .offset:         3388
        .size:           2
        .value_kind:     hidden_group_size_x
      - .offset:         3390
        .size:           2
        .value_kind:     hidden_group_size_y
      - .offset:         3392
        .size:           2
        .value_kind:     hidden_group_size_z
      - .offset:         3394
        .size:           2
        .value_kind:     hidden_remainder_x
      - .offset:         3396
        .size:           2
        .value_kind:     hidden_remainder_y
      - .offset:         3398
        .size:           2
        .value_kind:     hidden_remainder_z
      - .offset:         3416
        .size:           8
        .value_kind:     hidden_global_offset_x
      - .offset:         3424
        .size:           8
        .value_kind:     hidden_global_offset_y
      - .offset:         3432
        .size:           8
        .value_kind:     hidden_global_offset_z
      - .offset:         3440
        .size:           2
        .value_kind:     hidden_grid_dims
    .group_segment_fixed_size: 0
    .kernarg_segment_align: 8
    .kernarg_segment_size: 3632
    .language:       OpenCL C
    .language_version:
      - 2
      - 0
    .max_flat_workgroup_size: 512
    .name:           _ZN2at6native12_GLOBAL__N_125multi_tensor_apply_kernelINS1_18TensorListMetadataILi1EEENS1_14UnaryOpFunctorIN3c108BFloat16ELi1ELi1ELi0EEEJNS0_4AcosIfEEEEEvT_T0_DpT1_
    .private_segment_fixed_size: 0
    .sgpr_count:     23
    .sgpr_spill_count: 0
    .symbol:         _ZN2at6native12_GLOBAL__N_125multi_tensor_apply_kernelINS1_18TensorListMetadataILi1EEENS1_14UnaryOpFunctorIN3c108BFloat16ELi1ELi1ELi0EEEJNS0_4AcosIfEEEEEvT_T0_DpT1_.kd
    .uniform_work_group_size: 1
    .uses_dynamic_stack: false
    .vgpr_count:     19
    .vgpr_spill_count: 0
    .wavefront_size: 32
    .workgroup_processor_mode: 1
  - .args:
      - .offset:         0
        .size:           3144
        .value_kind:     by_value
      - .offset:         3144
        .size:           1
        .value_kind:     by_value
      - .offset:         3145
        .size:           1
        .value_kind:     by_value
      - .offset:         3152
        .size:           4
        .value_kind:     hidden_block_count_x
      - .offset:         3156
        .size:           4
        .value_kind:     hidden_block_count_y
      - .offset:         3160
        .size:           4
        .value_kind:     hidden_block_count_z
      - .offset:         3164
        .size:           2
        .value_kind:     hidden_group_size_x
      - .offset:         3166
        .size:           2
        .value_kind:     hidden_group_size_y
      - .offset:         3168
        .size:           2
        .value_kind:     hidden_group_size_z
      - .offset:         3170
        .size:           2
        .value_kind:     hidden_remainder_x
      - .offset:         3172
        .size:           2
        .value_kind:     hidden_remainder_y
      - .offset:         3174
        .size:           2
        .value_kind:     hidden_remainder_z
      - .offset:         3192
        .size:           8
        .value_kind:     hidden_global_offset_x
      - .offset:         3200
        .size:           8
        .value_kind:     hidden_global_offset_y
      - .offset:         3208
        .size:           8
        .value_kind:     hidden_global_offset_z
      - .offset:         3216
        .size:           2
        .value_kind:     hidden_grid_dims
    .group_segment_fixed_size: 0
    .kernarg_segment_align: 8
    .kernarg_segment_size: 3408
    .language:       OpenCL C
    .language_version:
      - 2
      - 0
    .max_flat_workgroup_size: 512
    .name:           _ZN2at6native12_GLOBAL__N_125multi_tensor_apply_kernelINS1_18TensorListMetadataILi2EEENS1_14UnaryOpFunctorIdLi2ELi1ELi1EEEJNS0_4AsinIdEEEEEvT_T0_DpT1_
    .private_segment_fixed_size: 0
    .sgpr_count:     51
    .sgpr_spill_count: 0
    .symbol:         _ZN2at6native12_GLOBAL__N_125multi_tensor_apply_kernelINS1_18TensorListMetadataILi2EEENS1_14UnaryOpFunctorIdLi2ELi1ELi1EEEJNS0_4AsinIdEEEEEvT_T0_DpT1_.kd
    .uniform_work_group_size: 1
    .uses_dynamic_stack: false
    .vgpr_count:     55
    .vgpr_spill_count: 0
    .wavefront_size: 32
    .workgroup_processor_mode: 1
  - .args:
      - .offset:         0
        .size:           3144
        .value_kind:     by_value
      - .offset:         3144
        .size:           1
        .value_kind:     by_value
      - .offset:         3145
        .size:           1
        .value_kind:     by_value
      - .offset:         3152
        .size:           4
        .value_kind:     hidden_block_count_x
      - .offset:         3156
        .size:           4
        .value_kind:     hidden_block_count_y
      - .offset:         3160
        .size:           4
        .value_kind:     hidden_block_count_z
      - .offset:         3164
        .size:           2
        .value_kind:     hidden_group_size_x
      - .offset:         3166
        .size:           2
        .value_kind:     hidden_group_size_y
      - .offset:         3168
        .size:           2
        .value_kind:     hidden_group_size_z
      - .offset:         3170
        .size:           2
        .value_kind:     hidden_remainder_x
      - .offset:         3172
        .size:           2
        .value_kind:     hidden_remainder_y
      - .offset:         3174
        .size:           2
        .value_kind:     hidden_remainder_z
      - .offset:         3192
        .size:           8
        .value_kind:     hidden_global_offset_x
      - .offset:         3200
        .size:           8
        .value_kind:     hidden_global_offset_y
      - .offset:         3208
        .size:           8
        .value_kind:     hidden_global_offset_z
      - .offset:         3216
        .size:           2
        .value_kind:     hidden_grid_dims
    .group_segment_fixed_size: 0
    .kernarg_segment_align: 8
    .kernarg_segment_size: 3408
    .language:       OpenCL C
    .language_version:
      - 2
      - 0
    .max_flat_workgroup_size: 512
    .name:           _ZN2at6native12_GLOBAL__N_125multi_tensor_apply_kernelINS1_18TensorListMetadataILi2EEENS1_14UnaryOpFunctorIfLi2ELi1ELi1EEEJNS0_4AsinIfEEEEEvT_T0_DpT1_
    .private_segment_fixed_size: 0
    .sgpr_count:     26
    .sgpr_spill_count: 0
    .symbol:         _ZN2at6native12_GLOBAL__N_125multi_tensor_apply_kernelINS1_18TensorListMetadataILi2EEENS1_14UnaryOpFunctorIfLi2ELi1ELi1EEEJNS0_4AsinIfEEEEEvT_T0_DpT1_.kd
    .uniform_work_group_size: 1
    .uses_dynamic_stack: false
    .vgpr_count:     30
    .vgpr_spill_count: 0
    .wavefront_size: 32
    .workgroup_processor_mode: 1
  - .args:
      - .offset:         0
        .size:           3144
        .value_kind:     by_value
      - .offset:         3144
        .size:           1
        .value_kind:     by_value
      - .offset:         3145
        .size:           1
        .value_kind:     by_value
      - .offset:         3152
        .size:           4
        .value_kind:     hidden_block_count_x
      - .offset:         3156
        .size:           4
        .value_kind:     hidden_block_count_y
      - .offset:         3160
        .size:           4
        .value_kind:     hidden_block_count_z
      - .offset:         3164
        .size:           2
        .value_kind:     hidden_group_size_x
      - .offset:         3166
        .size:           2
        .value_kind:     hidden_group_size_y
      - .offset:         3168
        .size:           2
        .value_kind:     hidden_group_size_z
      - .offset:         3170
        .size:           2
        .value_kind:     hidden_remainder_x
      - .offset:         3172
        .size:           2
        .value_kind:     hidden_remainder_y
      - .offset:         3174
        .size:           2
        .value_kind:     hidden_remainder_z
      - .offset:         3192
        .size:           8
        .value_kind:     hidden_global_offset_x
      - .offset:         3200
        .size:           8
        .value_kind:     hidden_global_offset_y
      - .offset:         3208
        .size:           8
        .value_kind:     hidden_global_offset_z
      - .offset:         3216
        .size:           2
        .value_kind:     hidden_grid_dims
    .group_segment_fixed_size: 0
    .kernarg_segment_align: 8
    .kernarg_segment_size: 3408
    .language:       OpenCL C
    .language_version:
      - 2
      - 0
    .max_flat_workgroup_size: 512
    .name:           _ZN2at6native12_GLOBAL__N_125multi_tensor_apply_kernelINS1_18TensorListMetadataILi2EEENS1_14UnaryOpFunctorIN3c107complexIdEELi2ELi1ELi1EEEJNS0_4AsinIS8_EEEEEvT_T0_DpT1_
    .private_segment_fixed_size: 12
    .sgpr_count:     44
    .sgpr_spill_count: 0
    .symbol:         _ZN2at6native12_GLOBAL__N_125multi_tensor_apply_kernelINS1_18TensorListMetadataILi2EEENS1_14UnaryOpFunctorIN3c107complexIdEELi2ELi1ELi1EEEJNS0_4AsinIS8_EEEEEvT_T0_DpT1_.kd
    .uniform_work_group_size: 1
    .uses_dynamic_stack: false
    .vgpr_count:     75
    .vgpr_spill_count: 0
    .wavefront_size: 32
    .workgroup_processor_mode: 1
  - .args:
      - .offset:         0
        .size:           3144
        .value_kind:     by_value
      - .offset:         3144
        .size:           1
        .value_kind:     by_value
      - .offset:         3145
        .size:           1
        .value_kind:     by_value
      - .offset:         3152
        .size:           4
        .value_kind:     hidden_block_count_x
      - .offset:         3156
        .size:           4
        .value_kind:     hidden_block_count_y
      - .offset:         3160
        .size:           4
        .value_kind:     hidden_block_count_z
      - .offset:         3164
        .size:           2
        .value_kind:     hidden_group_size_x
      - .offset:         3166
        .size:           2
        .value_kind:     hidden_group_size_y
      - .offset:         3168
        .size:           2
        .value_kind:     hidden_group_size_z
      - .offset:         3170
        .size:           2
        .value_kind:     hidden_remainder_x
      - .offset:         3172
        .size:           2
        .value_kind:     hidden_remainder_y
      - .offset:         3174
        .size:           2
        .value_kind:     hidden_remainder_z
      - .offset:         3192
        .size:           8
        .value_kind:     hidden_global_offset_x
      - .offset:         3200
        .size:           8
        .value_kind:     hidden_global_offset_y
      - .offset:         3208
        .size:           8
        .value_kind:     hidden_global_offset_z
      - .offset:         3216
        .size:           2
        .value_kind:     hidden_grid_dims
    .group_segment_fixed_size: 0
    .kernarg_segment_align: 8
    .kernarg_segment_size: 3408
    .language:       OpenCL C
    .language_version:
      - 2
      - 0
    .max_flat_workgroup_size: 512
    .name:           _ZN2at6native12_GLOBAL__N_125multi_tensor_apply_kernelINS1_18TensorListMetadataILi2EEENS1_14UnaryOpFunctorIN3c107complexIfEELi2ELi1ELi1EEEJNS0_4AsinIS8_EEEEEvT_T0_DpT1_
    .private_segment_fixed_size: 12
    .sgpr_count:     40
    .sgpr_spill_count: 0
    .symbol:         _ZN2at6native12_GLOBAL__N_125multi_tensor_apply_kernelINS1_18TensorListMetadataILi2EEENS1_14UnaryOpFunctorIN3c107complexIfEELi2ELi1ELi1EEEJNS0_4AsinIS8_EEEEEvT_T0_DpT1_.kd
    .uniform_work_group_size: 1
    .uses_dynamic_stack: false
    .vgpr_count:     47
    .vgpr_spill_count: 0
    .wavefront_size: 32
    .workgroup_processor_mode: 1
  - .args:
      - .offset:         0
        .size:           3144
        .value_kind:     by_value
      - .offset:         3144
        .size:           1
        .value_kind:     by_value
      - .offset:         3145
        .size:           1
        .value_kind:     by_value
      - .offset:         3152
        .size:           4
        .value_kind:     hidden_block_count_x
      - .offset:         3156
        .size:           4
        .value_kind:     hidden_block_count_y
      - .offset:         3160
        .size:           4
        .value_kind:     hidden_block_count_z
      - .offset:         3164
        .size:           2
        .value_kind:     hidden_group_size_x
      - .offset:         3166
        .size:           2
        .value_kind:     hidden_group_size_y
      - .offset:         3168
        .size:           2
        .value_kind:     hidden_group_size_z
      - .offset:         3170
        .size:           2
        .value_kind:     hidden_remainder_x
      - .offset:         3172
        .size:           2
        .value_kind:     hidden_remainder_y
      - .offset:         3174
        .size:           2
        .value_kind:     hidden_remainder_z
      - .offset:         3192
        .size:           8
        .value_kind:     hidden_global_offset_x
      - .offset:         3200
        .size:           8
        .value_kind:     hidden_global_offset_y
      - .offset:         3208
        .size:           8
        .value_kind:     hidden_global_offset_z
      - .offset:         3216
        .size:           2
        .value_kind:     hidden_grid_dims
    .group_segment_fixed_size: 0
    .kernarg_segment_align: 8
    .kernarg_segment_size: 3408
    .language:       OpenCL C
    .language_version:
      - 2
      - 0
    .max_flat_workgroup_size: 512
    .name:           _ZN2at6native12_GLOBAL__N_125multi_tensor_apply_kernelINS1_18TensorListMetadataILi2EEENS1_14UnaryOpFunctorIN3c104HalfELi2ELi1ELi1EEEJNS0_4AsinIfEEEEEvT_T0_DpT1_
    .private_segment_fixed_size: 0
    .sgpr_count:     26
    .sgpr_spill_count: 0
    .symbol:         _ZN2at6native12_GLOBAL__N_125multi_tensor_apply_kernelINS1_18TensorListMetadataILi2EEENS1_14UnaryOpFunctorIN3c104HalfELi2ELi1ELi1EEEJNS0_4AsinIfEEEEEvT_T0_DpT1_.kd
    .uniform_work_group_size: 1
    .uses_dynamic_stack: false
    .vgpr_count:     31
    .vgpr_spill_count: 0
    .wavefront_size: 32
    .workgroup_processor_mode: 1
  - .args:
      - .offset:         0
        .size:           3144
        .value_kind:     by_value
      - .offset:         3144
        .size:           1
        .value_kind:     by_value
      - .offset:         3145
        .size:           1
        .value_kind:     by_value
      - .offset:         3152
        .size:           4
        .value_kind:     hidden_block_count_x
      - .offset:         3156
        .size:           4
        .value_kind:     hidden_block_count_y
      - .offset:         3160
        .size:           4
        .value_kind:     hidden_block_count_z
      - .offset:         3164
        .size:           2
        .value_kind:     hidden_group_size_x
      - .offset:         3166
        .size:           2
        .value_kind:     hidden_group_size_y
      - .offset:         3168
        .size:           2
        .value_kind:     hidden_group_size_z
      - .offset:         3170
        .size:           2
        .value_kind:     hidden_remainder_x
      - .offset:         3172
        .size:           2
        .value_kind:     hidden_remainder_y
      - .offset:         3174
        .size:           2
        .value_kind:     hidden_remainder_z
      - .offset:         3192
        .size:           8
        .value_kind:     hidden_global_offset_x
      - .offset:         3200
        .size:           8
        .value_kind:     hidden_global_offset_y
      - .offset:         3208
        .size:           8
        .value_kind:     hidden_global_offset_z
      - .offset:         3216
        .size:           2
        .value_kind:     hidden_grid_dims
    .group_segment_fixed_size: 0
    .kernarg_segment_align: 8
    .kernarg_segment_size: 3408
    .language:       OpenCL C
    .language_version:
      - 2
      - 0
    .max_flat_workgroup_size: 512
    .name:           _ZN2at6native12_GLOBAL__N_125multi_tensor_apply_kernelINS1_18TensorListMetadataILi2EEENS1_14UnaryOpFunctorIN3c108BFloat16ELi2ELi1ELi1EEEJNS0_4AsinIfEEEEEvT_T0_DpT1_
    .private_segment_fixed_size: 0
    .sgpr_count:     22
    .sgpr_spill_count: 0
    .symbol:         _ZN2at6native12_GLOBAL__N_125multi_tensor_apply_kernelINS1_18TensorListMetadataILi2EEENS1_14UnaryOpFunctorIN3c108BFloat16ELi2ELi1ELi1EEEJNS0_4AsinIfEEEEEvT_T0_DpT1_.kd
    .uniform_work_group_size: 1
    .uses_dynamic_stack: false
    .vgpr_count:     30
    .vgpr_spill_count: 0
    .wavefront_size: 32
    .workgroup_processor_mode: 1
  - .args:
      - .offset:         0
        .size:           3368
        .value_kind:     by_value
      - .offset:         3368
        .size:           1
        .value_kind:     by_value
      - .offset:         3369
        .size:           1
        .value_kind:     by_value
      - .offset:         3376
        .size:           4
        .value_kind:     hidden_block_count_x
      - .offset:         3380
        .size:           4
        .value_kind:     hidden_block_count_y
      - .offset:         3384
        .size:           4
        .value_kind:     hidden_block_count_z
      - .offset:         3388
        .size:           2
        .value_kind:     hidden_group_size_x
      - .offset:         3390
        .size:           2
        .value_kind:     hidden_group_size_y
      - .offset:         3392
        .size:           2
        .value_kind:     hidden_group_size_z
      - .offset:         3394
        .size:           2
        .value_kind:     hidden_remainder_x
      - .offset:         3396
        .size:           2
        .value_kind:     hidden_remainder_y
      - .offset:         3398
        .size:           2
        .value_kind:     hidden_remainder_z
      - .offset:         3416
        .size:           8
        .value_kind:     hidden_global_offset_x
      - .offset:         3424
        .size:           8
        .value_kind:     hidden_global_offset_y
      - .offset:         3432
        .size:           8
        .value_kind:     hidden_global_offset_z
      - .offset:         3440
        .size:           2
        .value_kind:     hidden_grid_dims
    .group_segment_fixed_size: 0
    .kernarg_segment_align: 8
    .kernarg_segment_size: 3632
    .language:       OpenCL C
    .language_version:
      - 2
      - 0
    .max_flat_workgroup_size: 512
    .name:           _ZN2at6native12_GLOBAL__N_125multi_tensor_apply_kernelINS1_18TensorListMetadataILi1EEENS1_14UnaryOpFunctorIdLi1ELi1ELi0EEEJNS0_4AsinIdEEEEEvT_T0_DpT1_
    .private_segment_fixed_size: 0
    .sgpr_count:     52
    .sgpr_spill_count: 0
    .symbol:         _ZN2at6native12_GLOBAL__N_125multi_tensor_apply_kernelINS1_18TensorListMetadataILi1EEENS1_14UnaryOpFunctorIdLi1ELi1ELi0EEEJNS0_4AsinIdEEEEEvT_T0_DpT1_.kd
    .uniform_work_group_size: 1
    .uses_dynamic_stack: false
    .vgpr_count:     43
    .vgpr_spill_count: 0
    .wavefront_size: 32
    .workgroup_processor_mode: 1
  - .args:
      - .offset:         0
        .size:           3368
        .value_kind:     by_value
      - .offset:         3368
        .size:           1
        .value_kind:     by_value
      - .offset:         3369
        .size:           1
        .value_kind:     by_value
      - .offset:         3376
        .size:           4
        .value_kind:     hidden_block_count_x
      - .offset:         3380
        .size:           4
        .value_kind:     hidden_block_count_y
      - .offset:         3384
        .size:           4
        .value_kind:     hidden_block_count_z
      - .offset:         3388
        .size:           2
        .value_kind:     hidden_group_size_x
      - .offset:         3390
        .size:           2
        .value_kind:     hidden_group_size_y
      - .offset:         3392
        .size:           2
        .value_kind:     hidden_group_size_z
      - .offset:         3394
        .size:           2
        .value_kind:     hidden_remainder_x
      - .offset:         3396
        .size:           2
        .value_kind:     hidden_remainder_y
      - .offset:         3398
        .size:           2
        .value_kind:     hidden_remainder_z
      - .offset:         3416
        .size:           8
        .value_kind:     hidden_global_offset_x
      - .offset:         3424
        .size:           8
        .value_kind:     hidden_global_offset_y
      - .offset:         3432
        .size:           8
        .value_kind:     hidden_global_offset_z
      - .offset:         3440
        .size:           2
        .value_kind:     hidden_grid_dims
    .group_segment_fixed_size: 0
    .kernarg_segment_align: 8
    .kernarg_segment_size: 3632
    .language:       OpenCL C
    .language_version:
      - 2
      - 0
    .max_flat_workgroup_size: 512
    .name:           _ZN2at6native12_GLOBAL__N_125multi_tensor_apply_kernelINS1_18TensorListMetadataILi1EEENS1_14UnaryOpFunctorIfLi1ELi1ELi0EEEJNS0_4AsinIfEEEEEvT_T0_DpT1_
    .private_segment_fixed_size: 0
    .sgpr_count:     24
    .sgpr_spill_count: 0
    .symbol:         _ZN2at6native12_GLOBAL__N_125multi_tensor_apply_kernelINS1_18TensorListMetadataILi1EEENS1_14UnaryOpFunctorIfLi1ELi1ELi0EEEJNS0_4AsinIfEEEEEvT_T0_DpT1_.kd
    .uniform_work_group_size: 1
    .uses_dynamic_stack: false
    .vgpr_count:     20
    .vgpr_spill_count: 0
    .wavefront_size: 32
    .workgroup_processor_mode: 1
  - .args:
      - .offset:         0
        .size:           3368
        .value_kind:     by_value
      - .offset:         3368
        .size:           1
        .value_kind:     by_value
      - .offset:         3369
        .size:           1
        .value_kind:     by_value
      - .offset:         3376
        .size:           4
        .value_kind:     hidden_block_count_x
      - .offset:         3380
        .size:           4
        .value_kind:     hidden_block_count_y
      - .offset:         3384
        .size:           4
        .value_kind:     hidden_block_count_z
      - .offset:         3388
        .size:           2
        .value_kind:     hidden_group_size_x
      - .offset:         3390
        .size:           2
        .value_kind:     hidden_group_size_y
      - .offset:         3392
        .size:           2
        .value_kind:     hidden_group_size_z
      - .offset:         3394
        .size:           2
        .value_kind:     hidden_remainder_x
      - .offset:         3396
        .size:           2
        .value_kind:     hidden_remainder_y
      - .offset:         3398
        .size:           2
        .value_kind:     hidden_remainder_z
      - .offset:         3416
        .size:           8
        .value_kind:     hidden_global_offset_x
      - .offset:         3424
        .size:           8
        .value_kind:     hidden_global_offset_y
      - .offset:         3432
        .size:           8
        .value_kind:     hidden_global_offset_z
      - .offset:         3440
        .size:           2
        .value_kind:     hidden_grid_dims
    .group_segment_fixed_size: 0
    .kernarg_segment_align: 8
    .kernarg_segment_size: 3632
    .language:       OpenCL C
    .language_version:
      - 2
      - 0
    .max_flat_workgroup_size: 512
    .name:           _ZN2at6native12_GLOBAL__N_125multi_tensor_apply_kernelINS1_18TensorListMetadataILi1EEENS1_14UnaryOpFunctorIN3c107complexIdEELi1ELi1ELi0EEEJNS0_4AsinIS8_EEEEEvT_T0_DpT1_
    .private_segment_fixed_size: 12
    .sgpr_count:     44
    .sgpr_spill_count: 0
    .symbol:         _ZN2at6native12_GLOBAL__N_125multi_tensor_apply_kernelINS1_18TensorListMetadataILi1EEENS1_14UnaryOpFunctorIN3c107complexIdEELi1ELi1ELi0EEEJNS0_4AsinIS8_EEEEEvT_T0_DpT1_.kd
    .uniform_work_group_size: 1
    .uses_dynamic_stack: false
    .vgpr_count:     70
    .vgpr_spill_count: 0
    .wavefront_size: 32
    .workgroup_processor_mode: 1
  - .args:
      - .offset:         0
        .size:           3368
        .value_kind:     by_value
      - .offset:         3368
        .size:           1
        .value_kind:     by_value
      - .offset:         3369
        .size:           1
        .value_kind:     by_value
      - .offset:         3376
        .size:           4
        .value_kind:     hidden_block_count_x
      - .offset:         3380
        .size:           4
        .value_kind:     hidden_block_count_y
      - .offset:         3384
        .size:           4
        .value_kind:     hidden_block_count_z
      - .offset:         3388
        .size:           2
        .value_kind:     hidden_group_size_x
      - .offset:         3390
        .size:           2
        .value_kind:     hidden_group_size_y
      - .offset:         3392
        .size:           2
        .value_kind:     hidden_group_size_z
      - .offset:         3394
        .size:           2
        .value_kind:     hidden_remainder_x
      - .offset:         3396
        .size:           2
        .value_kind:     hidden_remainder_y
      - .offset:         3398
        .size:           2
        .value_kind:     hidden_remainder_z
      - .offset:         3416
        .size:           8
        .value_kind:     hidden_global_offset_x
      - .offset:         3424
        .size:           8
        .value_kind:     hidden_global_offset_y
      - .offset:         3432
        .size:           8
        .value_kind:     hidden_global_offset_z
      - .offset:         3440
        .size:           2
        .value_kind:     hidden_grid_dims
    .group_segment_fixed_size: 0
    .kernarg_segment_align: 8
    .kernarg_segment_size: 3632
    .language:       OpenCL C
    .language_version:
      - 2
      - 0
    .max_flat_workgroup_size: 512
    .name:           _ZN2at6native12_GLOBAL__N_125multi_tensor_apply_kernelINS1_18TensorListMetadataILi1EEENS1_14UnaryOpFunctorIN3c107complexIfEELi1ELi1ELi0EEEJNS0_4AsinIS8_EEEEEvT_T0_DpT1_
    .private_segment_fixed_size: 12
    .sgpr_count:     40
    .sgpr_spill_count: 0
    .symbol:         _ZN2at6native12_GLOBAL__N_125multi_tensor_apply_kernelINS1_18TensorListMetadataILi1EEENS1_14UnaryOpFunctorIN3c107complexIfEELi1ELi1ELi0EEEJNS0_4AsinIS8_EEEEEvT_T0_DpT1_.kd
    .uniform_work_group_size: 1
    .uses_dynamic_stack: false
    .vgpr_count:     42
    .vgpr_spill_count: 0
    .wavefront_size: 32
    .workgroup_processor_mode: 1
  - .args:
      - .offset:         0
        .size:           3368
        .value_kind:     by_value
      - .offset:         3368
        .size:           1
        .value_kind:     by_value
      - .offset:         3369
        .size:           1
        .value_kind:     by_value
      - .offset:         3376
        .size:           4
        .value_kind:     hidden_block_count_x
      - .offset:         3380
        .size:           4
        .value_kind:     hidden_block_count_y
      - .offset:         3384
        .size:           4
        .value_kind:     hidden_block_count_z
      - .offset:         3388
        .size:           2
        .value_kind:     hidden_group_size_x
      - .offset:         3390
        .size:           2
        .value_kind:     hidden_group_size_y
      - .offset:         3392
        .size:           2
        .value_kind:     hidden_group_size_z
      - .offset:         3394
        .size:           2
        .value_kind:     hidden_remainder_x
      - .offset:         3396
        .size:           2
        .value_kind:     hidden_remainder_y
      - .offset:         3398
        .size:           2
        .value_kind:     hidden_remainder_z
      - .offset:         3416
        .size:           8
        .value_kind:     hidden_global_offset_x
      - .offset:         3424
        .size:           8
        .value_kind:     hidden_global_offset_y
      - .offset:         3432
        .size:           8
        .value_kind:     hidden_global_offset_z
      - .offset:         3440
        .size:           2
        .value_kind:     hidden_grid_dims
    .group_segment_fixed_size: 0
    .kernarg_segment_align: 8
    .kernarg_segment_size: 3632
    .language:       OpenCL C
    .language_version:
      - 2
      - 0
    .max_flat_workgroup_size: 512
    .name:           _ZN2at6native12_GLOBAL__N_125multi_tensor_apply_kernelINS1_18TensorListMetadataILi1EEENS1_14UnaryOpFunctorIN3c104HalfELi1ELi1ELi0EEEJNS0_4AsinIfEEEEEvT_T0_DpT1_
    .private_segment_fixed_size: 0
    .sgpr_count:     25
    .sgpr_spill_count: 0
    .symbol:         _ZN2at6native12_GLOBAL__N_125multi_tensor_apply_kernelINS1_18TensorListMetadataILi1EEENS1_14UnaryOpFunctorIN3c104HalfELi1ELi1ELi0EEEJNS0_4AsinIfEEEEEvT_T0_DpT1_.kd
    .uniform_work_group_size: 1
    .uses_dynamic_stack: false
    .vgpr_count:     23
    .vgpr_spill_count: 0
    .wavefront_size: 32
    .workgroup_processor_mode: 1
  - .args:
      - .offset:         0
        .size:           3368
        .value_kind:     by_value
      - .offset:         3368
        .size:           1
        .value_kind:     by_value
      - .offset:         3369
        .size:           1
        .value_kind:     by_value
      - .offset:         3376
        .size:           4
        .value_kind:     hidden_block_count_x
      - .offset:         3380
        .size:           4
        .value_kind:     hidden_block_count_y
      - .offset:         3384
        .size:           4
        .value_kind:     hidden_block_count_z
      - .offset:         3388
        .size:           2
        .value_kind:     hidden_group_size_x
      - .offset:         3390
        .size:           2
        .value_kind:     hidden_group_size_y
      - .offset:         3392
        .size:           2
        .value_kind:     hidden_group_size_z
      - .offset:         3394
        .size:           2
        .value_kind:     hidden_remainder_x
      - .offset:         3396
        .size:           2
        .value_kind:     hidden_remainder_y
      - .offset:         3398
        .size:           2
        .value_kind:     hidden_remainder_z
      - .offset:         3416
        .size:           8
        .value_kind:     hidden_global_offset_x
      - .offset:         3424
        .size:           8
        .value_kind:     hidden_global_offset_y
      - .offset:         3432
        .size:           8
        .value_kind:     hidden_global_offset_z
      - .offset:         3440
        .size:           2
        .value_kind:     hidden_grid_dims
    .group_segment_fixed_size: 0
    .kernarg_segment_align: 8
    .kernarg_segment_size: 3632
    .language:       OpenCL C
    .language_version:
      - 2
      - 0
    .max_flat_workgroup_size: 512
    .name:           _ZN2at6native12_GLOBAL__N_125multi_tensor_apply_kernelINS1_18TensorListMetadataILi1EEENS1_14UnaryOpFunctorIN3c108BFloat16ELi1ELi1ELi0EEEJNS0_4AsinIfEEEEEvT_T0_DpT1_
    .private_segment_fixed_size: 0
    .sgpr_count:     23
    .sgpr_spill_count: 0
    .symbol:         _ZN2at6native12_GLOBAL__N_125multi_tensor_apply_kernelINS1_18TensorListMetadataILi1EEENS1_14UnaryOpFunctorIN3c108BFloat16ELi1ELi1ELi0EEEJNS0_4AsinIfEEEEEvT_T0_DpT1_.kd
    .uniform_work_group_size: 1
    .uses_dynamic_stack: false
    .vgpr_count:     19
    .vgpr_spill_count: 0
    .wavefront_size: 32
    .workgroup_processor_mode: 1
  - .args:
      - .offset:         0
        .size:           3144
        .value_kind:     by_value
      - .offset:         3144
        .size:           1
        .value_kind:     by_value
      - .offset:         3145
        .size:           1
        .value_kind:     by_value
      - .offset:         3152
        .size:           4
        .value_kind:     hidden_block_count_x
      - .offset:         3156
        .size:           4
        .value_kind:     hidden_block_count_y
      - .offset:         3160
        .size:           4
        .value_kind:     hidden_block_count_z
      - .offset:         3164
        .size:           2
        .value_kind:     hidden_group_size_x
      - .offset:         3166
        .size:           2
        .value_kind:     hidden_group_size_y
      - .offset:         3168
        .size:           2
        .value_kind:     hidden_group_size_z
      - .offset:         3170
        .size:           2
        .value_kind:     hidden_remainder_x
      - .offset:         3172
        .size:           2
        .value_kind:     hidden_remainder_y
      - .offset:         3174
        .size:           2
        .value_kind:     hidden_remainder_z
      - .offset:         3192
        .size:           8
        .value_kind:     hidden_global_offset_x
      - .offset:         3200
        .size:           8
        .value_kind:     hidden_global_offset_y
      - .offset:         3208
        .size:           8
        .value_kind:     hidden_global_offset_z
      - .offset:         3216
        .size:           2
        .value_kind:     hidden_grid_dims
    .group_segment_fixed_size: 0
    .kernarg_segment_align: 8
    .kernarg_segment_size: 3408
    .language:       OpenCL C
    .language_version:
      - 2
      - 0
    .max_flat_workgroup_size: 512
    .name:           _ZN2at6native12_GLOBAL__N_125multi_tensor_apply_kernelINS1_18TensorListMetadataILi2EEENS1_14UnaryOpFunctorIdLi2ELi1ELi1EEEJNS0_4AtanIdEEEEEvT_T0_DpT1_
    .private_segment_fixed_size: 0
    .sgpr_count:     71
    .sgpr_spill_count: 0
    .symbol:         _ZN2at6native12_GLOBAL__N_125multi_tensor_apply_kernelINS1_18TensorListMetadataILi2EEENS1_14UnaryOpFunctorIdLi2ELi1ELi1EEEJNS0_4AtanIdEEEEEvT_T0_DpT1_.kd
    .uniform_work_group_size: 1
    .uses_dynamic_stack: false
    .vgpr_count:     52
    .vgpr_spill_count: 0
    .wavefront_size: 32
    .workgroup_processor_mode: 1
  - .args:
      - .offset:         0
        .size:           3144
        .value_kind:     by_value
      - .offset:         3144
        .size:           1
        .value_kind:     by_value
      - .offset:         3145
        .size:           1
        .value_kind:     by_value
      - .offset:         3152
        .size:           4
        .value_kind:     hidden_block_count_x
      - .offset:         3156
        .size:           4
        .value_kind:     hidden_block_count_y
      - .offset:         3160
        .size:           4
        .value_kind:     hidden_block_count_z
      - .offset:         3164
        .size:           2
        .value_kind:     hidden_group_size_x
      - .offset:         3166
        .size:           2
        .value_kind:     hidden_group_size_y
      - .offset:         3168
        .size:           2
        .value_kind:     hidden_group_size_z
      - .offset:         3170
        .size:           2
        .value_kind:     hidden_remainder_x
      - .offset:         3172
        .size:           2
        .value_kind:     hidden_remainder_y
      - .offset:         3174
        .size:           2
        .value_kind:     hidden_remainder_z
      - .offset:         3192
        .size:           8
        .value_kind:     hidden_global_offset_x
      - .offset:         3200
        .size:           8
        .value_kind:     hidden_global_offset_y
      - .offset:         3208
        .size:           8
        .value_kind:     hidden_global_offset_z
      - .offset:         3216
        .size:           2
        .value_kind:     hidden_grid_dims
    .group_segment_fixed_size: 0
    .kernarg_segment_align: 8
    .kernarg_segment_size: 3408
    .language:       OpenCL C
    .language_version:
      - 2
      - 0
    .max_flat_workgroup_size: 512
    .name:           _ZN2at6native12_GLOBAL__N_125multi_tensor_apply_kernelINS1_18TensorListMetadataILi2EEENS1_14UnaryOpFunctorIfLi2ELi1ELi1EEEJNS0_4AtanIfEEEEEvT_T0_DpT1_
    .private_segment_fixed_size: 0
    .sgpr_count:     27
    .sgpr_spill_count: 0
    .symbol:         _ZN2at6native12_GLOBAL__N_125multi_tensor_apply_kernelINS1_18TensorListMetadataILi2EEENS1_14UnaryOpFunctorIfLi2ELi1ELi1EEEJNS0_4AtanIfEEEEEvT_T0_DpT1_.kd
    .uniform_work_group_size: 1
    .uses_dynamic_stack: false
    .vgpr_count:     30
    .vgpr_spill_count: 0
    .wavefront_size: 32
    .workgroup_processor_mode: 1
  - .args:
      - .offset:         0
        .size:           3144
        .value_kind:     by_value
      - .offset:         3144
        .size:           1
        .value_kind:     by_value
      - .offset:         3145
        .size:           1
        .value_kind:     by_value
      - .offset:         3152
        .size:           4
        .value_kind:     hidden_block_count_x
      - .offset:         3156
        .size:           4
        .value_kind:     hidden_block_count_y
      - .offset:         3160
        .size:           4
        .value_kind:     hidden_block_count_z
      - .offset:         3164
        .size:           2
        .value_kind:     hidden_group_size_x
      - .offset:         3166
        .size:           2
        .value_kind:     hidden_group_size_y
      - .offset:         3168
        .size:           2
        .value_kind:     hidden_group_size_z
      - .offset:         3170
        .size:           2
        .value_kind:     hidden_remainder_x
      - .offset:         3172
        .size:           2
        .value_kind:     hidden_remainder_y
      - .offset:         3174
        .size:           2
        .value_kind:     hidden_remainder_z
      - .offset:         3192
        .size:           8
        .value_kind:     hidden_global_offset_x
      - .offset:         3200
        .size:           8
        .value_kind:     hidden_global_offset_y
      - .offset:         3208
        .size:           8
        .value_kind:     hidden_global_offset_z
      - .offset:         3216
        .size:           2
        .value_kind:     hidden_grid_dims
    .group_segment_fixed_size: 0
    .kernarg_segment_align: 8
    .kernarg_segment_size: 3408
    .language:       OpenCL C
    .language_version:
      - 2
      - 0
    .max_flat_workgroup_size: 512
    .name:           _ZN2at6native12_GLOBAL__N_125multi_tensor_apply_kernelINS1_18TensorListMetadataILi2EEENS1_14UnaryOpFunctorIN3c107complexIdEELi2ELi1ELi1EEEJNS0_4AtanIS8_EEEEEvT_T0_DpT1_
    .private_segment_fixed_size: 0
    .sgpr_count:     105
    .sgpr_spill_count: 0
    .symbol:         _ZN2at6native12_GLOBAL__N_125multi_tensor_apply_kernelINS1_18TensorListMetadataILi2EEENS1_14UnaryOpFunctorIN3c107complexIdEELi2ELi1ELi1EEEJNS0_4AtanIS8_EEEEEvT_T0_DpT1_.kd
    .uniform_work_group_size: 1
    .uses_dynamic_stack: false
    .vgpr_count:     193
    .vgpr_spill_count: 0
    .wavefront_size: 32
    .workgroup_processor_mode: 1
  - .args:
      - .offset:         0
        .size:           3144
        .value_kind:     by_value
      - .offset:         3144
        .size:           1
        .value_kind:     by_value
      - .offset:         3145
        .size:           1
        .value_kind:     by_value
      - .offset:         3152
        .size:           4
        .value_kind:     hidden_block_count_x
      - .offset:         3156
        .size:           4
        .value_kind:     hidden_block_count_y
      - .offset:         3160
        .size:           4
        .value_kind:     hidden_block_count_z
      - .offset:         3164
        .size:           2
        .value_kind:     hidden_group_size_x
      - .offset:         3166
        .size:           2
        .value_kind:     hidden_group_size_y
      - .offset:         3168
        .size:           2
        .value_kind:     hidden_group_size_z
      - .offset:         3170
        .size:           2
        .value_kind:     hidden_remainder_x
      - .offset:         3172
        .size:           2
        .value_kind:     hidden_remainder_y
      - .offset:         3174
        .size:           2
        .value_kind:     hidden_remainder_z
      - .offset:         3192
        .size:           8
        .value_kind:     hidden_global_offset_x
      - .offset:         3200
        .size:           8
        .value_kind:     hidden_global_offset_y
      - .offset:         3208
        .size:           8
        .value_kind:     hidden_global_offset_z
      - .offset:         3216
        .size:           2
        .value_kind:     hidden_grid_dims
    .group_segment_fixed_size: 0
    .kernarg_segment_align: 8
    .kernarg_segment_size: 3408
    .language:       OpenCL C
    .language_version:
      - 2
      - 0
    .max_flat_workgroup_size: 512
    .name:           _ZN2at6native12_GLOBAL__N_125multi_tensor_apply_kernelINS1_18TensorListMetadataILi2EEENS1_14UnaryOpFunctorIN3c107complexIfEELi2ELi1ELi1EEEJNS0_4AtanIS8_EEEEEvT_T0_DpT1_
    .private_segment_fixed_size: 16
    .sgpr_count:     39
    .sgpr_spill_count: 0
    .symbol:         _ZN2at6native12_GLOBAL__N_125multi_tensor_apply_kernelINS1_18TensorListMetadataILi2EEENS1_14UnaryOpFunctorIN3c107complexIfEELi2ELi1ELi1EEEJNS0_4AtanIS8_EEEEEvT_T0_DpT1_.kd
    .uniform_work_group_size: 1
    .uses_dynamic_stack: false
    .vgpr_count:     45
    .vgpr_spill_count: 0
    .wavefront_size: 32
    .workgroup_processor_mode: 1
  - .args:
      - .offset:         0
        .size:           3144
        .value_kind:     by_value
      - .offset:         3144
        .size:           1
        .value_kind:     by_value
      - .offset:         3145
        .size:           1
        .value_kind:     by_value
      - .offset:         3152
        .size:           4
        .value_kind:     hidden_block_count_x
      - .offset:         3156
        .size:           4
        .value_kind:     hidden_block_count_y
      - .offset:         3160
        .size:           4
        .value_kind:     hidden_block_count_z
      - .offset:         3164
        .size:           2
        .value_kind:     hidden_group_size_x
      - .offset:         3166
        .size:           2
        .value_kind:     hidden_group_size_y
      - .offset:         3168
        .size:           2
        .value_kind:     hidden_group_size_z
      - .offset:         3170
        .size:           2
        .value_kind:     hidden_remainder_x
      - .offset:         3172
        .size:           2
        .value_kind:     hidden_remainder_y
      - .offset:         3174
        .size:           2
        .value_kind:     hidden_remainder_z
      - .offset:         3192
        .size:           8
        .value_kind:     hidden_global_offset_x
      - .offset:         3200
        .size:           8
        .value_kind:     hidden_global_offset_y
      - .offset:         3208
        .size:           8
        .value_kind:     hidden_global_offset_z
      - .offset:         3216
        .size:           2
        .value_kind:     hidden_grid_dims
    .group_segment_fixed_size: 0
    .kernarg_segment_align: 8
    .kernarg_segment_size: 3408
    .language:       OpenCL C
    .language_version:
      - 2
      - 0
    .max_flat_workgroup_size: 512
    .name:           _ZN2at6native12_GLOBAL__N_125multi_tensor_apply_kernelINS1_18TensorListMetadataILi2EEENS1_14UnaryOpFunctorIN3c104HalfELi2ELi1ELi1EEEJNS0_4AtanIfEEEEEvT_T0_DpT1_
    .private_segment_fixed_size: 0
    .sgpr_count:     27
    .sgpr_spill_count: 0
    .symbol:         _ZN2at6native12_GLOBAL__N_125multi_tensor_apply_kernelINS1_18TensorListMetadataILi2EEENS1_14UnaryOpFunctorIN3c104HalfELi2ELi1ELi1EEEJNS0_4AtanIfEEEEEvT_T0_DpT1_.kd
    .uniform_work_group_size: 1
    .uses_dynamic_stack: false
    .vgpr_count:     30
    .vgpr_spill_count: 0
    .wavefront_size: 32
    .workgroup_processor_mode: 1
  - .args:
      - .offset:         0
        .size:           3144
        .value_kind:     by_value
      - .offset:         3144
        .size:           1
        .value_kind:     by_value
      - .offset:         3145
        .size:           1
        .value_kind:     by_value
      - .offset:         3152
        .size:           4
        .value_kind:     hidden_block_count_x
      - .offset:         3156
        .size:           4
        .value_kind:     hidden_block_count_y
      - .offset:         3160
        .size:           4
        .value_kind:     hidden_block_count_z
      - .offset:         3164
        .size:           2
        .value_kind:     hidden_group_size_x
      - .offset:         3166
        .size:           2
        .value_kind:     hidden_group_size_y
      - .offset:         3168
        .size:           2
        .value_kind:     hidden_group_size_z
      - .offset:         3170
        .size:           2
        .value_kind:     hidden_remainder_x
      - .offset:         3172
        .size:           2
        .value_kind:     hidden_remainder_y
      - .offset:         3174
        .size:           2
        .value_kind:     hidden_remainder_z
      - .offset:         3192
        .size:           8
        .value_kind:     hidden_global_offset_x
      - .offset:         3200
        .size:           8
        .value_kind:     hidden_global_offset_y
      - .offset:         3208
        .size:           8
        .value_kind:     hidden_global_offset_z
      - .offset:         3216
        .size:           2
        .value_kind:     hidden_grid_dims
    .group_segment_fixed_size: 0
    .kernarg_segment_align: 8
    .kernarg_segment_size: 3408
    .language:       OpenCL C
    .language_version:
      - 2
      - 0
    .max_flat_workgroup_size: 512
    .name:           _ZN2at6native12_GLOBAL__N_125multi_tensor_apply_kernelINS1_18TensorListMetadataILi2EEENS1_14UnaryOpFunctorIN3c108BFloat16ELi2ELi1ELi1EEEJNS0_4AtanIfEEEEEvT_T0_DpT1_
    .private_segment_fixed_size: 0
    .sgpr_count:     23
    .sgpr_spill_count: 0
    .symbol:         _ZN2at6native12_GLOBAL__N_125multi_tensor_apply_kernelINS1_18TensorListMetadataILi2EEENS1_14UnaryOpFunctorIN3c108BFloat16ELi2ELi1ELi1EEEJNS0_4AtanIfEEEEEvT_T0_DpT1_.kd
    .uniform_work_group_size: 1
    .uses_dynamic_stack: false
    .vgpr_count:     30
    .vgpr_spill_count: 0
    .wavefront_size: 32
    .workgroup_processor_mode: 1
  - .args:
      - .offset:         0
        .size:           3368
        .value_kind:     by_value
      - .offset:         3368
        .size:           1
        .value_kind:     by_value
      - .offset:         3369
        .size:           1
        .value_kind:     by_value
      - .offset:         3376
        .size:           4
        .value_kind:     hidden_block_count_x
      - .offset:         3380
        .size:           4
        .value_kind:     hidden_block_count_y
      - .offset:         3384
        .size:           4
        .value_kind:     hidden_block_count_z
      - .offset:         3388
        .size:           2
        .value_kind:     hidden_group_size_x
      - .offset:         3390
        .size:           2
        .value_kind:     hidden_group_size_y
      - .offset:         3392
        .size:           2
        .value_kind:     hidden_group_size_z
      - .offset:         3394
        .size:           2
        .value_kind:     hidden_remainder_x
      - .offset:         3396
        .size:           2
        .value_kind:     hidden_remainder_y
      - .offset:         3398
        .size:           2
        .value_kind:     hidden_remainder_z
      - .offset:         3416
        .size:           8
        .value_kind:     hidden_global_offset_x
      - .offset:         3424
        .size:           8
        .value_kind:     hidden_global_offset_y
      - .offset:         3432
        .size:           8
        .value_kind:     hidden_global_offset_z
      - .offset:         3440
        .size:           2
        .value_kind:     hidden_grid_dims
    .group_segment_fixed_size: 0
    .kernarg_segment_align: 8
    .kernarg_segment_size: 3632
    .language:       OpenCL C
    .language_version:
      - 2
      - 0
    .max_flat_workgroup_size: 512
    .name:           _ZN2at6native12_GLOBAL__N_125multi_tensor_apply_kernelINS1_18TensorListMetadataILi1EEENS1_14UnaryOpFunctorIdLi1ELi1ELi0EEEJNS0_4AtanIdEEEEEvT_T0_DpT1_
    .private_segment_fixed_size: 0
    .sgpr_count:     68
    .sgpr_spill_count: 0
    .symbol:         _ZN2at6native12_GLOBAL__N_125multi_tensor_apply_kernelINS1_18TensorListMetadataILi1EEENS1_14UnaryOpFunctorIdLi1ELi1ELi0EEEJNS0_4AtanIdEEEEEvT_T0_DpT1_.kd
    .uniform_work_group_size: 1
    .uses_dynamic_stack: false
    .vgpr_count:     53
    .vgpr_spill_count: 0
    .wavefront_size: 32
    .workgroup_processor_mode: 1
  - .args:
      - .offset:         0
        .size:           3368
        .value_kind:     by_value
      - .offset:         3368
        .size:           1
        .value_kind:     by_value
      - .offset:         3369
        .size:           1
        .value_kind:     by_value
      - .offset:         3376
        .size:           4
        .value_kind:     hidden_block_count_x
      - .offset:         3380
        .size:           4
        .value_kind:     hidden_block_count_y
      - .offset:         3384
        .size:           4
        .value_kind:     hidden_block_count_z
      - .offset:         3388
        .size:           2
        .value_kind:     hidden_group_size_x
      - .offset:         3390
        .size:           2
        .value_kind:     hidden_group_size_y
      - .offset:         3392
        .size:           2
        .value_kind:     hidden_group_size_z
      - .offset:         3394
        .size:           2
        .value_kind:     hidden_remainder_x
      - .offset:         3396
        .size:           2
        .value_kind:     hidden_remainder_y
      - .offset:         3398
        .size:           2
        .value_kind:     hidden_remainder_z
      - .offset:         3416
        .size:           8
        .value_kind:     hidden_global_offset_x
      - .offset:         3424
        .size:           8
        .value_kind:     hidden_global_offset_y
      - .offset:         3432
        .size:           8
        .value_kind:     hidden_global_offset_z
      - .offset:         3440
        .size:           2
        .value_kind:     hidden_grid_dims
    .group_segment_fixed_size: 0
    .kernarg_segment_align: 8
    .kernarg_segment_size: 3632
    .language:       OpenCL C
    .language_version:
      - 2
      - 0
    .max_flat_workgroup_size: 512
    .name:           _ZN2at6native12_GLOBAL__N_125multi_tensor_apply_kernelINS1_18TensorListMetadataILi1EEENS1_14UnaryOpFunctorIfLi1ELi1ELi0EEEJNS0_4AtanIfEEEEEvT_T0_DpT1_
    .private_segment_fixed_size: 0
    .sgpr_count:     24
    .sgpr_spill_count: 0
    .symbol:         _ZN2at6native12_GLOBAL__N_125multi_tensor_apply_kernelINS1_18TensorListMetadataILi1EEENS1_14UnaryOpFunctorIfLi1ELi1ELi0EEEJNS0_4AtanIfEEEEEvT_T0_DpT1_.kd
    .uniform_work_group_size: 1
    .uses_dynamic_stack: false
    .vgpr_count:     20
    .vgpr_spill_count: 0
    .wavefront_size: 32
    .workgroup_processor_mode: 1
  - .args:
      - .offset:         0
        .size:           3368
        .value_kind:     by_value
      - .offset:         3368
        .size:           1
        .value_kind:     by_value
      - .offset:         3369
        .size:           1
        .value_kind:     by_value
      - .offset:         3376
        .size:           4
        .value_kind:     hidden_block_count_x
      - .offset:         3380
        .size:           4
        .value_kind:     hidden_block_count_y
      - .offset:         3384
        .size:           4
        .value_kind:     hidden_block_count_z
      - .offset:         3388
        .size:           2
        .value_kind:     hidden_group_size_x
      - .offset:         3390
        .size:           2
        .value_kind:     hidden_group_size_y
      - .offset:         3392
        .size:           2
        .value_kind:     hidden_group_size_z
      - .offset:         3394
        .size:           2
        .value_kind:     hidden_remainder_x
      - .offset:         3396
        .size:           2
        .value_kind:     hidden_remainder_y
      - .offset:         3398
        .size:           2
        .value_kind:     hidden_remainder_z
      - .offset:         3416
        .size:           8
        .value_kind:     hidden_global_offset_x
      - .offset:         3424
        .size:           8
        .value_kind:     hidden_global_offset_y
      - .offset:         3432
        .size:           8
        .value_kind:     hidden_global_offset_z
      - .offset:         3440
        .size:           2
        .value_kind:     hidden_grid_dims
    .group_segment_fixed_size: 0
    .kernarg_segment_align: 8
    .kernarg_segment_size: 3632
    .language:       OpenCL C
    .language_version:
      - 2
      - 0
    .max_flat_workgroup_size: 512
    .name:           _ZN2at6native12_GLOBAL__N_125multi_tensor_apply_kernelINS1_18TensorListMetadataILi1EEENS1_14UnaryOpFunctorIN3c107complexIdEELi1ELi1ELi0EEEJNS0_4AtanIS8_EEEEEvT_T0_DpT1_
    .private_segment_fixed_size: 0
    .sgpr_count:     92
    .sgpr_spill_count: 0
    .symbol:         _ZN2at6native12_GLOBAL__N_125multi_tensor_apply_kernelINS1_18TensorListMetadataILi1EEENS1_14UnaryOpFunctorIN3c107complexIdEELi1ELi1ELi0EEEJNS0_4AtanIS8_EEEEEvT_T0_DpT1_.kd
    .uniform_work_group_size: 1
    .uses_dynamic_stack: false
    .vgpr_count:     167
    .vgpr_spill_count: 0
    .wavefront_size: 32
    .workgroup_processor_mode: 1
  - .args:
      - .offset:         0
        .size:           3368
        .value_kind:     by_value
      - .offset:         3368
        .size:           1
        .value_kind:     by_value
      - .offset:         3369
        .size:           1
        .value_kind:     by_value
      - .offset:         3376
        .size:           4
        .value_kind:     hidden_block_count_x
      - .offset:         3380
        .size:           4
        .value_kind:     hidden_block_count_y
      - .offset:         3384
        .size:           4
        .value_kind:     hidden_block_count_z
      - .offset:         3388
        .size:           2
        .value_kind:     hidden_group_size_x
      - .offset:         3390
        .size:           2
        .value_kind:     hidden_group_size_y
      - .offset:         3392
        .size:           2
        .value_kind:     hidden_group_size_z
      - .offset:         3394
        .size:           2
        .value_kind:     hidden_remainder_x
      - .offset:         3396
        .size:           2
        .value_kind:     hidden_remainder_y
      - .offset:         3398
        .size:           2
        .value_kind:     hidden_remainder_z
      - .offset:         3416
        .size:           8
        .value_kind:     hidden_global_offset_x
      - .offset:         3424
        .size:           8
        .value_kind:     hidden_global_offset_y
      - .offset:         3432
        .size:           8
        .value_kind:     hidden_global_offset_z
      - .offset:         3440
        .size:           2
        .value_kind:     hidden_grid_dims
    .group_segment_fixed_size: 0
    .kernarg_segment_align: 8
    .kernarg_segment_size: 3632
    .language:       OpenCL C
    .language_version:
      - 2
      - 0
    .max_flat_workgroup_size: 512
    .name:           _ZN2at6native12_GLOBAL__N_125multi_tensor_apply_kernelINS1_18TensorListMetadataILi1EEENS1_14UnaryOpFunctorIN3c107complexIfEELi1ELi1ELi0EEEJNS0_4AtanIS8_EEEEEvT_T0_DpT1_
    .private_segment_fixed_size: 16
    .sgpr_count:     39
    .sgpr_spill_count: 0
    .symbol:         _ZN2at6native12_GLOBAL__N_125multi_tensor_apply_kernelINS1_18TensorListMetadataILi1EEENS1_14UnaryOpFunctorIN3c107complexIfEELi1ELi1ELi0EEEJNS0_4AtanIS8_EEEEEvT_T0_DpT1_.kd
    .uniform_work_group_size: 1
    .uses_dynamic_stack: false
    .vgpr_count:     40
    .vgpr_spill_count: 0
    .wavefront_size: 32
    .workgroup_processor_mode: 1
  - .args:
      - .offset:         0
        .size:           3368
        .value_kind:     by_value
      - .offset:         3368
        .size:           1
        .value_kind:     by_value
      - .offset:         3369
        .size:           1
        .value_kind:     by_value
      - .offset:         3376
        .size:           4
        .value_kind:     hidden_block_count_x
      - .offset:         3380
        .size:           4
        .value_kind:     hidden_block_count_y
      - .offset:         3384
        .size:           4
        .value_kind:     hidden_block_count_z
      - .offset:         3388
        .size:           2
        .value_kind:     hidden_group_size_x
      - .offset:         3390
        .size:           2
        .value_kind:     hidden_group_size_y
      - .offset:         3392
        .size:           2
        .value_kind:     hidden_group_size_z
      - .offset:         3394
        .size:           2
        .value_kind:     hidden_remainder_x
      - .offset:         3396
        .size:           2
        .value_kind:     hidden_remainder_y
      - .offset:         3398
        .size:           2
        .value_kind:     hidden_remainder_z
      - .offset:         3416
        .size:           8
        .value_kind:     hidden_global_offset_x
      - .offset:         3424
        .size:           8
        .value_kind:     hidden_global_offset_y
      - .offset:         3432
        .size:           8
        .value_kind:     hidden_global_offset_z
      - .offset:         3440
        .size:           2
        .value_kind:     hidden_grid_dims
    .group_segment_fixed_size: 0
    .kernarg_segment_align: 8
    .kernarg_segment_size: 3632
    .language:       OpenCL C
    .language_version:
      - 2
      - 0
    .max_flat_workgroup_size: 512
    .name:           _ZN2at6native12_GLOBAL__N_125multi_tensor_apply_kernelINS1_18TensorListMetadataILi1EEENS1_14UnaryOpFunctorIN3c104HalfELi1ELi1ELi0EEEJNS0_4AtanIfEEEEEvT_T0_DpT1_
    .private_segment_fixed_size: 0
    .sgpr_count:     23
    .sgpr_spill_count: 0
    .symbol:         _ZN2at6native12_GLOBAL__N_125multi_tensor_apply_kernelINS1_18TensorListMetadataILi1EEENS1_14UnaryOpFunctorIN3c104HalfELi1ELi1ELi0EEEJNS0_4AtanIfEEEEEvT_T0_DpT1_.kd
    .uniform_work_group_size: 1
    .uses_dynamic_stack: false
    .vgpr_count:     20
    .vgpr_spill_count: 0
    .wavefront_size: 32
    .workgroup_processor_mode: 1
  - .args:
      - .offset:         0
        .size:           3368
        .value_kind:     by_value
      - .offset:         3368
        .size:           1
        .value_kind:     by_value
      - .offset:         3369
        .size:           1
        .value_kind:     by_value
      - .offset:         3376
        .size:           4
        .value_kind:     hidden_block_count_x
      - .offset:         3380
        .size:           4
        .value_kind:     hidden_block_count_y
      - .offset:         3384
        .size:           4
        .value_kind:     hidden_block_count_z
      - .offset:         3388
        .size:           2
        .value_kind:     hidden_group_size_x
      - .offset:         3390
        .size:           2
        .value_kind:     hidden_group_size_y
      - .offset:         3392
        .size:           2
        .value_kind:     hidden_group_size_z
      - .offset:         3394
        .size:           2
        .value_kind:     hidden_remainder_x
      - .offset:         3396
        .size:           2
        .value_kind:     hidden_remainder_y
      - .offset:         3398
        .size:           2
        .value_kind:     hidden_remainder_z
      - .offset:         3416
        .size:           8
        .value_kind:     hidden_global_offset_x
      - .offset:         3424
        .size:           8
        .value_kind:     hidden_global_offset_y
      - .offset:         3432
        .size:           8
        .value_kind:     hidden_global_offset_z
      - .offset:         3440
        .size:           2
        .value_kind:     hidden_grid_dims
    .group_segment_fixed_size: 0
    .kernarg_segment_align: 8
    .kernarg_segment_size: 3632
    .language:       OpenCL C
    .language_version:
      - 2
      - 0
    .max_flat_workgroup_size: 512
    .name:           _ZN2at6native12_GLOBAL__N_125multi_tensor_apply_kernelINS1_18TensorListMetadataILi1EEENS1_14UnaryOpFunctorIN3c108BFloat16ELi1ELi1ELi0EEEJNS0_4AtanIfEEEEEvT_T0_DpT1_
    .private_segment_fixed_size: 0
    .sgpr_count:     23
    .sgpr_spill_count: 0
    .symbol:         _ZN2at6native12_GLOBAL__N_125multi_tensor_apply_kernelINS1_18TensorListMetadataILi1EEENS1_14UnaryOpFunctorIN3c108BFloat16ELi1ELi1ELi0EEEJNS0_4AtanIfEEEEEvT_T0_DpT1_.kd
    .uniform_work_group_size: 1
    .uses_dynamic_stack: false
    .vgpr_count:     20
    .vgpr_spill_count: 0
    .wavefront_size: 32
    .workgroup_processor_mode: 1
  - .args:
      - .offset:         0
        .size:           3144
        .value_kind:     by_value
      - .offset:         3144
        .size:           1
        .value_kind:     by_value
      - .offset:         3145
        .size:           1
        .value_kind:     by_value
      - .offset:         3152
        .size:           4
        .value_kind:     hidden_block_count_x
      - .offset:         3156
        .size:           4
        .value_kind:     hidden_block_count_y
      - .offset:         3160
        .size:           4
        .value_kind:     hidden_block_count_z
      - .offset:         3164
        .size:           2
        .value_kind:     hidden_group_size_x
      - .offset:         3166
        .size:           2
        .value_kind:     hidden_group_size_y
      - .offset:         3168
        .size:           2
        .value_kind:     hidden_group_size_z
      - .offset:         3170
        .size:           2
        .value_kind:     hidden_remainder_x
      - .offset:         3172
        .size:           2
        .value_kind:     hidden_remainder_y
      - .offset:         3174
        .size:           2
        .value_kind:     hidden_remainder_z
      - .offset:         3192
        .size:           8
        .value_kind:     hidden_global_offset_x
      - .offset:         3200
        .size:           8
        .value_kind:     hidden_global_offset_y
      - .offset:         3208
        .size:           8
        .value_kind:     hidden_global_offset_z
      - .offset:         3216
        .size:           2
        .value_kind:     hidden_grid_dims
    .group_segment_fixed_size: 0
    .kernarg_segment_align: 8
    .kernarg_segment_size: 3408
    .language:       OpenCL C
    .language_version:
      - 2
      - 0
    .max_flat_workgroup_size: 512
    .name:           _ZN2at6native12_GLOBAL__N_125multi_tensor_apply_kernelINS1_18TensorListMetadataILi2EEENS1_14UnaryOpFunctorIdLi2ELi1ELi1EEEJNS0_4CoshIdEEEEEvT_T0_DpT1_
    .private_segment_fixed_size: 0
    .sgpr_count:     63
    .sgpr_spill_count: 0
    .symbol:         _ZN2at6native12_GLOBAL__N_125multi_tensor_apply_kernelINS1_18TensorListMetadataILi2EEENS1_14UnaryOpFunctorIdLi2ELi1ELi1EEEJNS0_4CoshIdEEEEEvT_T0_DpT1_.kd
    .uniform_work_group_size: 1
    .uses_dynamic_stack: false
    .vgpr_count:     92
    .vgpr_spill_count: 0
    .wavefront_size: 32
    .workgroup_processor_mode: 1
  - .args:
      - .offset:         0
        .size:           3144
        .value_kind:     by_value
      - .offset:         3144
        .size:           1
        .value_kind:     by_value
      - .offset:         3145
        .size:           1
        .value_kind:     by_value
      - .offset:         3152
        .size:           4
        .value_kind:     hidden_block_count_x
      - .offset:         3156
        .size:           4
        .value_kind:     hidden_block_count_y
      - .offset:         3160
        .size:           4
        .value_kind:     hidden_block_count_z
      - .offset:         3164
        .size:           2
        .value_kind:     hidden_group_size_x
      - .offset:         3166
        .size:           2
        .value_kind:     hidden_group_size_y
      - .offset:         3168
        .size:           2
        .value_kind:     hidden_group_size_z
      - .offset:         3170
        .size:           2
        .value_kind:     hidden_remainder_x
      - .offset:         3172
        .size:           2
        .value_kind:     hidden_remainder_y
      - .offset:         3174
        .size:           2
        .value_kind:     hidden_remainder_z
      - .offset:         3192
        .size:           8
        .value_kind:     hidden_global_offset_x
      - .offset:         3200
        .size:           8
        .value_kind:     hidden_global_offset_y
      - .offset:         3208
        .size:           8
        .value_kind:     hidden_global_offset_z
      - .offset:         3216
        .size:           2
        .value_kind:     hidden_grid_dims
    .group_segment_fixed_size: 0
    .kernarg_segment_align: 8
    .kernarg_segment_size: 3408
    .language:       OpenCL C
    .language_version:
      - 2
      - 0
    .max_flat_workgroup_size: 512
    .name:           _ZN2at6native12_GLOBAL__N_125multi_tensor_apply_kernelINS1_18TensorListMetadataILi2EEENS1_14UnaryOpFunctorIfLi2ELi1ELi1EEEJNS0_4CoshIfEEEEEvT_T0_DpT1_
    .private_segment_fixed_size: 0
    .sgpr_count:     26
    .sgpr_spill_count: 0
    .symbol:         _ZN2at6native12_GLOBAL__N_125multi_tensor_apply_kernelINS1_18TensorListMetadataILi2EEENS1_14UnaryOpFunctorIfLi2ELi1ELi1EEEJNS0_4CoshIfEEEEEvT_T0_DpT1_.kd
    .uniform_work_group_size: 1
    .uses_dynamic_stack: false
    .vgpr_count:     54
    .vgpr_spill_count: 0
    .wavefront_size: 32
    .workgroup_processor_mode: 1
  - .args:
      - .offset:         0
        .size:           3144
        .value_kind:     by_value
      - .offset:         3144
        .size:           1
        .value_kind:     by_value
      - .offset:         3145
        .size:           1
        .value_kind:     by_value
      - .offset:         3152
        .size:           4
        .value_kind:     hidden_block_count_x
      - .offset:         3156
        .size:           4
        .value_kind:     hidden_block_count_y
      - .offset:         3160
        .size:           4
        .value_kind:     hidden_block_count_z
      - .offset:         3164
        .size:           2
        .value_kind:     hidden_group_size_x
      - .offset:         3166
        .size:           2
        .value_kind:     hidden_group_size_y
      - .offset:         3168
        .size:           2
        .value_kind:     hidden_group_size_z
      - .offset:         3170
        .size:           2
        .value_kind:     hidden_remainder_x
      - .offset:         3172
        .size:           2
        .value_kind:     hidden_remainder_y
      - .offset:         3174
        .size:           2
        .value_kind:     hidden_remainder_z
      - .offset:         3192
        .size:           8
        .value_kind:     hidden_global_offset_x
      - .offset:         3200
        .size:           8
        .value_kind:     hidden_global_offset_y
      - .offset:         3208
        .size:           8
        .value_kind:     hidden_global_offset_z
      - .offset:         3216
        .size:           2
        .value_kind:     hidden_grid_dims
    .group_segment_fixed_size: 0
    .kernarg_segment_align: 8
    .kernarg_segment_size: 3408
    .language:       OpenCL C
    .language_version:
      - 2
      - 0
    .max_flat_workgroup_size: 512
    .name:           _ZN2at6native12_GLOBAL__N_125multi_tensor_apply_kernelINS1_18TensorListMetadataILi2EEENS1_14UnaryOpFunctorIN3c107complexIdEELi2ELi1ELi1EEEJNS0_4CoshIS8_EEEEEvT_T0_DpT1_
    .private_segment_fixed_size: 0
    .sgpr_count:     44
    .sgpr_spill_count: 0
    .symbol:         _ZN2at6native12_GLOBAL__N_125multi_tensor_apply_kernelINS1_18TensorListMetadataILi2EEENS1_14UnaryOpFunctorIN3c107complexIdEELi2ELi1ELi1EEEJNS0_4CoshIS8_EEEEEvT_T0_DpT1_.kd
    .uniform_work_group_size: 1
    .uses_dynamic_stack: false
    .vgpr_count:     90
    .vgpr_spill_count: 0
    .wavefront_size: 32
    .workgroup_processor_mode: 1
  - .args:
      - .offset:         0
        .size:           3144
        .value_kind:     by_value
      - .offset:         3144
        .size:           1
        .value_kind:     by_value
      - .offset:         3145
        .size:           1
        .value_kind:     by_value
      - .offset:         3152
        .size:           4
        .value_kind:     hidden_block_count_x
      - .offset:         3156
        .size:           4
        .value_kind:     hidden_block_count_y
      - .offset:         3160
        .size:           4
        .value_kind:     hidden_block_count_z
      - .offset:         3164
        .size:           2
        .value_kind:     hidden_group_size_x
      - .offset:         3166
        .size:           2
        .value_kind:     hidden_group_size_y
      - .offset:         3168
        .size:           2
        .value_kind:     hidden_group_size_z
      - .offset:         3170
        .size:           2
        .value_kind:     hidden_remainder_x
      - .offset:         3172
        .size:           2
        .value_kind:     hidden_remainder_y
      - .offset:         3174
        .size:           2
        .value_kind:     hidden_remainder_z
      - .offset:         3192
        .size:           8
        .value_kind:     hidden_global_offset_x
      - .offset:         3200
        .size:           8
        .value_kind:     hidden_global_offset_y
      - .offset:         3208
        .size:           8
        .value_kind:     hidden_global_offset_z
      - .offset:         3216
        .size:           2
        .value_kind:     hidden_grid_dims
    .group_segment_fixed_size: 0
    .kernarg_segment_align: 8
    .kernarg_segment_size: 3408
    .language:       OpenCL C
    .language_version:
      - 2
      - 0
    .max_flat_workgroup_size: 512
    .name:           _ZN2at6native12_GLOBAL__N_125multi_tensor_apply_kernelINS1_18TensorListMetadataILi2EEENS1_14UnaryOpFunctorIN3c107complexIfEELi2ELi1ELi1EEEJNS0_4CoshIS8_EEEEEvT_T0_DpT1_
    .private_segment_fixed_size: 0
    .sgpr_count:     38
    .sgpr_spill_count: 0
    .symbol:         _ZN2at6native12_GLOBAL__N_125multi_tensor_apply_kernelINS1_18TensorListMetadataILi2EEENS1_14UnaryOpFunctorIN3c107complexIfEELi2ELi1ELi1EEEJNS0_4CoshIS8_EEEEEvT_T0_DpT1_.kd
    .uniform_work_group_size: 1
    .uses_dynamic_stack: false
    .vgpr_count:     45
    .vgpr_spill_count: 0
    .wavefront_size: 32
    .workgroup_processor_mode: 1
  - .args:
      - .offset:         0
        .size:           3144
        .value_kind:     by_value
      - .offset:         3144
        .size:           1
        .value_kind:     by_value
      - .offset:         3145
        .size:           1
        .value_kind:     by_value
      - .offset:         3152
        .size:           4
        .value_kind:     hidden_block_count_x
      - .offset:         3156
        .size:           4
        .value_kind:     hidden_block_count_y
      - .offset:         3160
        .size:           4
        .value_kind:     hidden_block_count_z
      - .offset:         3164
        .size:           2
        .value_kind:     hidden_group_size_x
      - .offset:         3166
        .size:           2
        .value_kind:     hidden_group_size_y
      - .offset:         3168
        .size:           2
        .value_kind:     hidden_group_size_z
      - .offset:         3170
        .size:           2
        .value_kind:     hidden_remainder_x
      - .offset:         3172
        .size:           2
        .value_kind:     hidden_remainder_y
      - .offset:         3174
        .size:           2
        .value_kind:     hidden_remainder_z
      - .offset:         3192
        .size:           8
        .value_kind:     hidden_global_offset_x
      - .offset:         3200
        .size:           8
        .value_kind:     hidden_global_offset_y
      - .offset:         3208
        .size:           8
        .value_kind:     hidden_global_offset_z
      - .offset:         3216
        .size:           2
        .value_kind:     hidden_grid_dims
    .group_segment_fixed_size: 0
    .kernarg_segment_align: 8
    .kernarg_segment_size: 3408
    .language:       OpenCL C
    .language_version:
      - 2
      - 0
    .max_flat_workgroup_size: 512
    .name:           _ZN2at6native12_GLOBAL__N_125multi_tensor_apply_kernelINS1_18TensorListMetadataILi2EEENS1_14UnaryOpFunctorIN3c104HalfELi2ELi1ELi1EEEJNS0_4CoshIfEEEEEvT_T0_DpT1_
    .private_segment_fixed_size: 0
    .sgpr_count:     24
    .sgpr_spill_count: 0
    .symbol:         _ZN2at6native12_GLOBAL__N_125multi_tensor_apply_kernelINS1_18TensorListMetadataILi2EEENS1_14UnaryOpFunctorIN3c104HalfELi2ELi1ELi1EEEJNS0_4CoshIfEEEEEvT_T0_DpT1_.kd
    .uniform_work_group_size: 1
    .uses_dynamic_stack: false
    .vgpr_count:     52
    .vgpr_spill_count: 0
    .wavefront_size: 32
    .workgroup_processor_mode: 1
  - .args:
      - .offset:         0
        .size:           3144
        .value_kind:     by_value
      - .offset:         3144
        .size:           1
        .value_kind:     by_value
      - .offset:         3145
        .size:           1
        .value_kind:     by_value
      - .offset:         3152
        .size:           4
        .value_kind:     hidden_block_count_x
      - .offset:         3156
        .size:           4
        .value_kind:     hidden_block_count_y
      - .offset:         3160
        .size:           4
        .value_kind:     hidden_block_count_z
      - .offset:         3164
        .size:           2
        .value_kind:     hidden_group_size_x
      - .offset:         3166
        .size:           2
        .value_kind:     hidden_group_size_y
      - .offset:         3168
        .size:           2
        .value_kind:     hidden_group_size_z
      - .offset:         3170
        .size:           2
        .value_kind:     hidden_remainder_x
      - .offset:         3172
        .size:           2
        .value_kind:     hidden_remainder_y
      - .offset:         3174
        .size:           2
        .value_kind:     hidden_remainder_z
      - .offset:         3192
        .size:           8
        .value_kind:     hidden_global_offset_x
      - .offset:         3200
        .size:           8
        .value_kind:     hidden_global_offset_y
      - .offset:         3208
        .size:           8
        .value_kind:     hidden_global_offset_z
      - .offset:         3216
        .size:           2
        .value_kind:     hidden_grid_dims
    .group_segment_fixed_size: 0
    .kernarg_segment_align: 8
    .kernarg_segment_size: 3408
    .language:       OpenCL C
    .language_version:
      - 2
      - 0
    .max_flat_workgroup_size: 512
    .name:           _ZN2at6native12_GLOBAL__N_125multi_tensor_apply_kernelINS1_18TensorListMetadataILi2EEENS1_14UnaryOpFunctorIN3c108BFloat16ELi2ELi1ELi1EEEJNS0_4CoshIfEEEEEvT_T0_DpT1_
    .private_segment_fixed_size: 0
    .sgpr_count:     22
    .sgpr_spill_count: 0
    .symbol:         _ZN2at6native12_GLOBAL__N_125multi_tensor_apply_kernelINS1_18TensorListMetadataILi2EEENS1_14UnaryOpFunctorIN3c108BFloat16ELi2ELi1ELi1EEEJNS0_4CoshIfEEEEEvT_T0_DpT1_.kd
    .uniform_work_group_size: 1
    .uses_dynamic_stack: false
    .vgpr_count:     54
    .vgpr_spill_count: 0
    .wavefront_size: 32
    .workgroup_processor_mode: 1
  - .args:
      - .offset:         0
        .size:           3368
        .value_kind:     by_value
      - .offset:         3368
        .size:           1
        .value_kind:     by_value
      - .offset:         3369
        .size:           1
        .value_kind:     by_value
      - .offset:         3376
        .size:           4
        .value_kind:     hidden_block_count_x
      - .offset:         3380
        .size:           4
        .value_kind:     hidden_block_count_y
      - .offset:         3384
        .size:           4
        .value_kind:     hidden_block_count_z
      - .offset:         3388
        .size:           2
        .value_kind:     hidden_group_size_x
      - .offset:         3390
        .size:           2
        .value_kind:     hidden_group_size_y
      - .offset:         3392
        .size:           2
        .value_kind:     hidden_group_size_z
      - .offset:         3394
        .size:           2
        .value_kind:     hidden_remainder_x
      - .offset:         3396
        .size:           2
        .value_kind:     hidden_remainder_y
      - .offset:         3398
        .size:           2
        .value_kind:     hidden_remainder_z
      - .offset:         3416
        .size:           8
        .value_kind:     hidden_global_offset_x
      - .offset:         3424
        .size:           8
        .value_kind:     hidden_global_offset_y
      - .offset:         3432
        .size:           8
        .value_kind:     hidden_global_offset_z
      - .offset:         3440
        .size:           2
        .value_kind:     hidden_grid_dims
    .group_segment_fixed_size: 0
    .kernarg_segment_align: 8
    .kernarg_segment_size: 3632
    .language:       OpenCL C
    .language_version:
      - 2
      - 0
    .max_flat_workgroup_size: 512
    .name:           _ZN2at6native12_GLOBAL__N_125multi_tensor_apply_kernelINS1_18TensorListMetadataILi1EEENS1_14UnaryOpFunctorIdLi1ELi1ELi0EEEJNS0_4CoshIdEEEEEvT_T0_DpT1_
    .private_segment_fixed_size: 0
    .sgpr_count:     59
    .sgpr_spill_count: 0
    .symbol:         _ZN2at6native12_GLOBAL__N_125multi_tensor_apply_kernelINS1_18TensorListMetadataILi1EEENS1_14UnaryOpFunctorIdLi1ELi1ELi0EEEJNS0_4CoshIdEEEEEvT_T0_DpT1_.kd
    .uniform_work_group_size: 1
    .uses_dynamic_stack: false
    .vgpr_count:     92
    .vgpr_spill_count: 0
    .wavefront_size: 32
    .workgroup_processor_mode: 1
  - .args:
      - .offset:         0
        .size:           3368
        .value_kind:     by_value
      - .offset:         3368
        .size:           1
        .value_kind:     by_value
      - .offset:         3369
        .size:           1
        .value_kind:     by_value
      - .offset:         3376
        .size:           4
        .value_kind:     hidden_block_count_x
      - .offset:         3380
        .size:           4
        .value_kind:     hidden_block_count_y
      - .offset:         3384
        .size:           4
        .value_kind:     hidden_block_count_z
      - .offset:         3388
        .size:           2
        .value_kind:     hidden_group_size_x
      - .offset:         3390
        .size:           2
        .value_kind:     hidden_group_size_y
      - .offset:         3392
        .size:           2
        .value_kind:     hidden_group_size_z
      - .offset:         3394
        .size:           2
        .value_kind:     hidden_remainder_x
      - .offset:         3396
        .size:           2
        .value_kind:     hidden_remainder_y
      - .offset:         3398
        .size:           2
        .value_kind:     hidden_remainder_z
      - .offset:         3416
        .size:           8
        .value_kind:     hidden_global_offset_x
      - .offset:         3424
        .size:           8
        .value_kind:     hidden_global_offset_y
      - .offset:         3432
        .size:           8
        .value_kind:     hidden_global_offset_z
      - .offset:         3440
        .size:           2
        .value_kind:     hidden_grid_dims
    .group_segment_fixed_size: 0
    .kernarg_segment_align: 8
    .kernarg_segment_size: 3632
    .language:       OpenCL C
    .language_version:
      - 2
      - 0
    .max_flat_workgroup_size: 512
    .name:           _ZN2at6native12_GLOBAL__N_125multi_tensor_apply_kernelINS1_18TensorListMetadataILi1EEENS1_14UnaryOpFunctorIfLi1ELi1ELi0EEEJNS0_4CoshIfEEEEEvT_T0_DpT1_
    .private_segment_fixed_size: 0
    .sgpr_count:     24
    .sgpr_spill_count: 0
    .symbol:         _ZN2at6native12_GLOBAL__N_125multi_tensor_apply_kernelINS1_18TensorListMetadataILi1EEENS1_14UnaryOpFunctorIfLi1ELi1ELi0EEEJNS0_4CoshIfEEEEEvT_T0_DpT1_.kd
    .uniform_work_group_size: 1
    .uses_dynamic_stack: false
    .vgpr_count:     55
    .vgpr_spill_count: 0
    .wavefront_size: 32
    .workgroup_processor_mode: 1
  - .args:
      - .offset:         0
        .size:           3368
        .value_kind:     by_value
      - .offset:         3368
        .size:           1
        .value_kind:     by_value
      - .offset:         3369
        .size:           1
        .value_kind:     by_value
      - .offset:         3376
        .size:           4
        .value_kind:     hidden_block_count_x
      - .offset:         3380
        .size:           4
        .value_kind:     hidden_block_count_y
      - .offset:         3384
        .size:           4
        .value_kind:     hidden_block_count_z
      - .offset:         3388
        .size:           2
        .value_kind:     hidden_group_size_x
      - .offset:         3390
        .size:           2
        .value_kind:     hidden_group_size_y
      - .offset:         3392
        .size:           2
        .value_kind:     hidden_group_size_z
      - .offset:         3394
        .size:           2
        .value_kind:     hidden_remainder_x
      - .offset:         3396
        .size:           2
        .value_kind:     hidden_remainder_y
      - .offset:         3398
        .size:           2
        .value_kind:     hidden_remainder_z
      - .offset:         3416
        .size:           8
        .value_kind:     hidden_global_offset_x
      - .offset:         3424
        .size:           8
        .value_kind:     hidden_global_offset_y
      - .offset:         3432
        .size:           8
        .value_kind:     hidden_global_offset_z
      - .offset:         3440
        .size:           2
        .value_kind:     hidden_grid_dims
    .group_segment_fixed_size: 0
    .kernarg_segment_align: 8
    .kernarg_segment_size: 3632
    .language:       OpenCL C
    .language_version:
      - 2
      - 0
    .max_flat_workgroup_size: 512
    .name:           _ZN2at6native12_GLOBAL__N_125multi_tensor_apply_kernelINS1_18TensorListMetadataILi1EEENS1_14UnaryOpFunctorIN3c107complexIdEELi1ELi1ELi0EEEJNS0_4CoshIS8_EEEEEvT_T0_DpT1_
    .private_segment_fixed_size: 0
    .sgpr_count:     43
    .sgpr_spill_count: 0
    .symbol:         _ZN2at6native12_GLOBAL__N_125multi_tensor_apply_kernelINS1_18TensorListMetadataILi1EEENS1_14UnaryOpFunctorIN3c107complexIdEELi1ELi1ELi0EEEJNS0_4CoshIS8_EEEEEvT_T0_DpT1_.kd
    .uniform_work_group_size: 1
    .uses_dynamic_stack: false
    .vgpr_count:     85
    .vgpr_spill_count: 0
    .wavefront_size: 32
    .workgroup_processor_mode: 1
  - .args:
      - .offset:         0
        .size:           3368
        .value_kind:     by_value
      - .offset:         3368
        .size:           1
        .value_kind:     by_value
      - .offset:         3369
        .size:           1
        .value_kind:     by_value
      - .offset:         3376
        .size:           4
        .value_kind:     hidden_block_count_x
      - .offset:         3380
        .size:           4
        .value_kind:     hidden_block_count_y
      - .offset:         3384
        .size:           4
        .value_kind:     hidden_block_count_z
      - .offset:         3388
        .size:           2
        .value_kind:     hidden_group_size_x
      - .offset:         3390
        .size:           2
        .value_kind:     hidden_group_size_y
      - .offset:         3392
        .size:           2
        .value_kind:     hidden_group_size_z
      - .offset:         3394
        .size:           2
        .value_kind:     hidden_remainder_x
      - .offset:         3396
        .size:           2
        .value_kind:     hidden_remainder_y
      - .offset:         3398
        .size:           2
        .value_kind:     hidden_remainder_z
      - .offset:         3416
        .size:           8
        .value_kind:     hidden_global_offset_x
      - .offset:         3424
        .size:           8
        .value_kind:     hidden_global_offset_y
      - .offset:         3432
        .size:           8
        .value_kind:     hidden_global_offset_z
      - .offset:         3440
        .size:           2
        .value_kind:     hidden_grid_dims
    .group_segment_fixed_size: 0
    .kernarg_segment_align: 8
    .kernarg_segment_size: 3632
    .language:       OpenCL C
    .language_version:
      - 2
      - 0
    .max_flat_workgroup_size: 512
    .name:           _ZN2at6native12_GLOBAL__N_125multi_tensor_apply_kernelINS1_18TensorListMetadataILi1EEENS1_14UnaryOpFunctorIN3c107complexIfEELi1ELi1ELi0EEEJNS0_4CoshIS8_EEEEEvT_T0_DpT1_
    .private_segment_fixed_size: 0
    .sgpr_count:     36
    .sgpr_spill_count: 0
    .symbol:         _ZN2at6native12_GLOBAL__N_125multi_tensor_apply_kernelINS1_18TensorListMetadataILi1EEENS1_14UnaryOpFunctorIN3c107complexIfEELi1ELi1ELi0EEEJNS0_4CoshIS8_EEEEEvT_T0_DpT1_.kd
    .uniform_work_group_size: 1
    .uses_dynamic_stack: false
    .vgpr_count:     40
    .vgpr_spill_count: 0
    .wavefront_size: 32
    .workgroup_processor_mode: 1
  - .args:
      - .offset:         0
        .size:           3368
        .value_kind:     by_value
      - .offset:         3368
        .size:           1
        .value_kind:     by_value
      - .offset:         3369
        .size:           1
        .value_kind:     by_value
      - .offset:         3376
        .size:           4
        .value_kind:     hidden_block_count_x
      - .offset:         3380
        .size:           4
        .value_kind:     hidden_block_count_y
      - .offset:         3384
        .size:           4
        .value_kind:     hidden_block_count_z
      - .offset:         3388
        .size:           2
        .value_kind:     hidden_group_size_x
      - .offset:         3390
        .size:           2
        .value_kind:     hidden_group_size_y
      - .offset:         3392
        .size:           2
        .value_kind:     hidden_group_size_z
      - .offset:         3394
        .size:           2
        .value_kind:     hidden_remainder_x
      - .offset:         3396
        .size:           2
        .value_kind:     hidden_remainder_y
      - .offset:         3398
        .size:           2
        .value_kind:     hidden_remainder_z
      - .offset:         3416
        .size:           8
        .value_kind:     hidden_global_offset_x
      - .offset:         3424
        .size:           8
        .value_kind:     hidden_global_offset_y
      - .offset:         3432
        .size:           8
        .value_kind:     hidden_global_offset_z
      - .offset:         3440
        .size:           2
        .value_kind:     hidden_grid_dims
    .group_segment_fixed_size: 0
    .kernarg_segment_align: 8
    .kernarg_segment_size: 3632
    .language:       OpenCL C
    .language_version:
      - 2
      - 0
    .max_flat_workgroup_size: 512
    .name:           _ZN2at6native12_GLOBAL__N_125multi_tensor_apply_kernelINS1_18TensorListMetadataILi1EEENS1_14UnaryOpFunctorIN3c104HalfELi1ELi1ELi0EEEJNS0_4CoshIfEEEEEvT_T0_DpT1_
    .private_segment_fixed_size: 0
    .sgpr_count:     23
    .sgpr_spill_count: 0
    .symbol:         _ZN2at6native12_GLOBAL__N_125multi_tensor_apply_kernelINS1_18TensorListMetadataILi1EEENS1_14UnaryOpFunctorIN3c104HalfELi1ELi1ELi0EEEJNS0_4CoshIfEEEEEvT_T0_DpT1_.kd
    .uniform_work_group_size: 1
    .uses_dynamic_stack: false
    .vgpr_count:     51
    .vgpr_spill_count: 0
    .wavefront_size: 32
    .workgroup_processor_mode: 1
  - .args:
      - .offset:         0
        .size:           3368
        .value_kind:     by_value
      - .offset:         3368
        .size:           1
        .value_kind:     by_value
      - .offset:         3369
        .size:           1
        .value_kind:     by_value
      - .offset:         3376
        .size:           4
        .value_kind:     hidden_block_count_x
      - .offset:         3380
        .size:           4
        .value_kind:     hidden_block_count_y
      - .offset:         3384
        .size:           4
        .value_kind:     hidden_block_count_z
      - .offset:         3388
        .size:           2
        .value_kind:     hidden_group_size_x
      - .offset:         3390
        .size:           2
        .value_kind:     hidden_group_size_y
      - .offset:         3392
        .size:           2
        .value_kind:     hidden_group_size_z
      - .offset:         3394
        .size:           2
        .value_kind:     hidden_remainder_x
      - .offset:         3396
        .size:           2
        .value_kind:     hidden_remainder_y
      - .offset:         3398
        .size:           2
        .value_kind:     hidden_remainder_z
      - .offset:         3416
        .size:           8
        .value_kind:     hidden_global_offset_x
      - .offset:         3424
        .size:           8
        .value_kind:     hidden_global_offset_y
      - .offset:         3432
        .size:           8
        .value_kind:     hidden_global_offset_z
      - .offset:         3440
        .size:           2
        .value_kind:     hidden_grid_dims
    .group_segment_fixed_size: 0
    .kernarg_segment_align: 8
    .kernarg_segment_size: 3632
    .language:       OpenCL C
    .language_version:
      - 2
      - 0
    .max_flat_workgroup_size: 512
    .name:           _ZN2at6native12_GLOBAL__N_125multi_tensor_apply_kernelINS1_18TensorListMetadataILi1EEENS1_14UnaryOpFunctorIN3c108BFloat16ELi1ELi1ELi0EEEJNS0_4CoshIfEEEEEvT_T0_DpT1_
    .private_segment_fixed_size: 0
    .sgpr_count:     23
    .sgpr_spill_count: 0
    .symbol:         _ZN2at6native12_GLOBAL__N_125multi_tensor_apply_kernelINS1_18TensorListMetadataILi1EEENS1_14UnaryOpFunctorIN3c108BFloat16ELi1ELi1ELi0EEEJNS0_4CoshIfEEEEEvT_T0_DpT1_.kd
    .uniform_work_group_size: 1
    .uses_dynamic_stack: false
    .vgpr_count:     52
    .vgpr_spill_count: 0
    .wavefront_size: 32
    .workgroup_processor_mode: 1
  - .args:
      - .offset:         0
        .size:           3144
        .value_kind:     by_value
      - .offset:         3144
        .size:           1
        .value_kind:     by_value
      - .offset:         3145
        .size:           1
        .value_kind:     by_value
      - .offset:         3152
        .size:           4
        .value_kind:     hidden_block_count_x
      - .offset:         3156
        .size:           4
        .value_kind:     hidden_block_count_y
      - .offset:         3160
        .size:           4
        .value_kind:     hidden_block_count_z
      - .offset:         3164
        .size:           2
        .value_kind:     hidden_group_size_x
      - .offset:         3166
        .size:           2
        .value_kind:     hidden_group_size_y
      - .offset:         3168
        .size:           2
        .value_kind:     hidden_group_size_z
      - .offset:         3170
        .size:           2
        .value_kind:     hidden_remainder_x
      - .offset:         3172
        .size:           2
        .value_kind:     hidden_remainder_y
      - .offset:         3174
        .size:           2
        .value_kind:     hidden_remainder_z
      - .offset:         3192
        .size:           8
        .value_kind:     hidden_global_offset_x
      - .offset:         3200
        .size:           8
        .value_kind:     hidden_global_offset_y
      - .offset:         3208
        .size:           8
        .value_kind:     hidden_global_offset_z
      - .offset:         3216
        .size:           2
        .value_kind:     hidden_grid_dims
    .group_segment_fixed_size: 0
    .kernarg_segment_align: 8
    .kernarg_segment_size: 3408
    .language:       OpenCL C
    .language_version:
      - 2
      - 0
    .max_flat_workgroup_size: 512
    .name:           _ZN2at6native12_GLOBAL__N_125multi_tensor_apply_kernelINS1_18TensorListMetadataILi2EEENS1_14UnaryOpFunctorIdLi2ELi1ELi1EEEJNS0_3TanIdEEEEEvT_T0_DpT1_
    .private_segment_fixed_size: 0
    .sgpr_count:     73
    .sgpr_spill_count: 0
    .symbol:         _ZN2at6native12_GLOBAL__N_125multi_tensor_apply_kernelINS1_18TensorListMetadataILi2EEENS1_14UnaryOpFunctorIdLi2ELi1ELi1EEEJNS0_3TanIdEEEEEvT_T0_DpT1_.kd
    .uniform_work_group_size: 1
    .uses_dynamic_stack: false
    .vgpr_count:     78
    .vgpr_spill_count: 0
    .wavefront_size: 32
    .workgroup_processor_mode: 1
  - .args:
      - .offset:         0
        .size:           3144
        .value_kind:     by_value
      - .offset:         3144
        .size:           1
        .value_kind:     by_value
      - .offset:         3145
        .size:           1
        .value_kind:     by_value
      - .offset:         3152
        .size:           4
        .value_kind:     hidden_block_count_x
      - .offset:         3156
        .size:           4
        .value_kind:     hidden_block_count_y
      - .offset:         3160
        .size:           4
        .value_kind:     hidden_block_count_z
      - .offset:         3164
        .size:           2
        .value_kind:     hidden_group_size_x
      - .offset:         3166
        .size:           2
        .value_kind:     hidden_group_size_y
      - .offset:         3168
        .size:           2
        .value_kind:     hidden_group_size_z
      - .offset:         3170
        .size:           2
        .value_kind:     hidden_remainder_x
      - .offset:         3172
        .size:           2
        .value_kind:     hidden_remainder_y
      - .offset:         3174
        .size:           2
        .value_kind:     hidden_remainder_z
      - .offset:         3192
        .size:           8
        .value_kind:     hidden_global_offset_x
      - .offset:         3200
        .size:           8
        .value_kind:     hidden_global_offset_y
      - .offset:         3208
        .size:           8
        .value_kind:     hidden_global_offset_z
      - .offset:         3216
        .size:           2
        .value_kind:     hidden_grid_dims
    .group_segment_fixed_size: 0
    .kernarg_segment_align: 8
    .kernarg_segment_size: 3408
    .language:       OpenCL C
    .language_version:
      - 2
      - 0
    .max_flat_workgroup_size: 512
    .name:           _ZN2at6native12_GLOBAL__N_125multi_tensor_apply_kernelINS1_18TensorListMetadataILi2EEENS1_14UnaryOpFunctorIfLi2ELi1ELi1EEEJNS0_3TanIfEEEEEvT_T0_DpT1_
    .private_segment_fixed_size: 0
    .sgpr_count:     27
    .sgpr_spill_count: 0
    .symbol:         _ZN2at6native12_GLOBAL__N_125multi_tensor_apply_kernelINS1_18TensorListMetadataILi2EEENS1_14UnaryOpFunctorIfLi2ELi1ELi1EEEJNS0_3TanIfEEEEEvT_T0_DpT1_.kd
    .uniform_work_group_size: 1
    .uses_dynamic_stack: false
    .vgpr_count:     49
    .vgpr_spill_count: 0
    .wavefront_size: 32
    .workgroup_processor_mode: 1
  - .args:
      - .offset:         0
        .size:           3144
        .value_kind:     by_value
      - .offset:         3144
        .size:           1
        .value_kind:     by_value
      - .offset:         3145
        .size:           1
        .value_kind:     by_value
      - .offset:         3152
        .size:           4
        .value_kind:     hidden_block_count_x
      - .offset:         3156
        .size:           4
        .value_kind:     hidden_block_count_y
      - .offset:         3160
        .size:           4
        .value_kind:     hidden_block_count_z
      - .offset:         3164
        .size:           2
        .value_kind:     hidden_group_size_x
      - .offset:         3166
        .size:           2
        .value_kind:     hidden_group_size_y
      - .offset:         3168
        .size:           2
        .value_kind:     hidden_group_size_z
      - .offset:         3170
        .size:           2
        .value_kind:     hidden_remainder_x
      - .offset:         3172
        .size:           2
        .value_kind:     hidden_remainder_y
      - .offset:         3174
        .size:           2
        .value_kind:     hidden_remainder_z
      - .offset:         3192
        .size:           8
        .value_kind:     hidden_global_offset_x
      - .offset:         3200
        .size:           8
        .value_kind:     hidden_global_offset_y
      - .offset:         3208
        .size:           8
        .value_kind:     hidden_global_offset_z
      - .offset:         3216
        .size:           2
        .value_kind:     hidden_grid_dims
    .group_segment_fixed_size: 0
    .kernarg_segment_align: 8
    .kernarg_segment_size: 3408
    .language:       OpenCL C
    .language_version:
      - 2
      - 0
    .max_flat_workgroup_size: 512
    .name:           _ZN2at6native12_GLOBAL__N_125multi_tensor_apply_kernelINS1_18TensorListMetadataILi2EEENS1_14UnaryOpFunctorIN3c107complexIdEELi2ELi1ELi1EEEJNS0_3TanIS8_EEEEEvT_T0_DpT1_
    .private_segment_fixed_size: 0
    .sgpr_count:     107
    .sgpr_spill_count: 1
    .symbol:         _ZN2at6native12_GLOBAL__N_125multi_tensor_apply_kernelINS1_18TensorListMetadataILi2EEENS1_14UnaryOpFunctorIN3c107complexIdEELi2ELi1ELi1EEEJNS0_3TanIS8_EEEEEvT_T0_DpT1_.kd
    .uniform_work_group_size: 1
    .uses_dynamic_stack: false
    .vgpr_count:     65
    .vgpr_spill_count: 0
    .wavefront_size: 32
    .workgroup_processor_mode: 1
  - .args:
      - .offset:         0
        .size:           3144
        .value_kind:     by_value
      - .offset:         3144
        .size:           1
        .value_kind:     by_value
      - .offset:         3145
        .size:           1
        .value_kind:     by_value
      - .offset:         3152
        .size:           4
        .value_kind:     hidden_block_count_x
      - .offset:         3156
        .size:           4
        .value_kind:     hidden_block_count_y
      - .offset:         3160
        .size:           4
        .value_kind:     hidden_block_count_z
      - .offset:         3164
        .size:           2
        .value_kind:     hidden_group_size_x
      - .offset:         3166
        .size:           2
        .value_kind:     hidden_group_size_y
      - .offset:         3168
        .size:           2
        .value_kind:     hidden_group_size_z
      - .offset:         3170
        .size:           2
        .value_kind:     hidden_remainder_x
      - .offset:         3172
        .size:           2
        .value_kind:     hidden_remainder_y
      - .offset:         3174
        .size:           2
        .value_kind:     hidden_remainder_z
      - .offset:         3192
        .size:           8
        .value_kind:     hidden_global_offset_x
      - .offset:         3200
        .size:           8
        .value_kind:     hidden_global_offset_y
      - .offset:         3208
        .size:           8
        .value_kind:     hidden_global_offset_z
      - .offset:         3216
        .size:           2
        .value_kind:     hidden_grid_dims
    .group_segment_fixed_size: 0
    .kernarg_segment_align: 8
    .kernarg_segment_size: 3408
    .language:       OpenCL C
    .language_version:
      - 2
      - 0
    .max_flat_workgroup_size: 512
    .name:           _ZN2at6native12_GLOBAL__N_125multi_tensor_apply_kernelINS1_18TensorListMetadataILi2EEENS1_14UnaryOpFunctorIN3c107complexIfEELi2ELi1ELi1EEEJNS0_3TanIS8_EEEEEvT_T0_DpT1_
    .private_segment_fixed_size: 0
    .sgpr_count:     34
    .sgpr_spill_count: 0
    .symbol:         _ZN2at6native12_GLOBAL__N_125multi_tensor_apply_kernelINS1_18TensorListMetadataILi2EEENS1_14UnaryOpFunctorIN3c107complexIfEELi2ELi1ELi1EEEJNS0_3TanIS8_EEEEEvT_T0_DpT1_.kd
    .uniform_work_group_size: 1
    .uses_dynamic_stack: false
    .vgpr_count:     42
    .vgpr_spill_count: 0
    .wavefront_size: 32
    .workgroup_processor_mode: 1
  - .args:
      - .offset:         0
        .size:           3144
        .value_kind:     by_value
      - .offset:         3144
        .size:           1
        .value_kind:     by_value
      - .offset:         3145
        .size:           1
        .value_kind:     by_value
      - .offset:         3152
        .size:           4
        .value_kind:     hidden_block_count_x
      - .offset:         3156
        .size:           4
        .value_kind:     hidden_block_count_y
      - .offset:         3160
        .size:           4
        .value_kind:     hidden_block_count_z
      - .offset:         3164
        .size:           2
        .value_kind:     hidden_group_size_x
      - .offset:         3166
        .size:           2
        .value_kind:     hidden_group_size_y
      - .offset:         3168
        .size:           2
        .value_kind:     hidden_group_size_z
      - .offset:         3170
        .size:           2
        .value_kind:     hidden_remainder_x
      - .offset:         3172
        .size:           2
        .value_kind:     hidden_remainder_y
      - .offset:         3174
        .size:           2
        .value_kind:     hidden_remainder_z
      - .offset:         3192
        .size:           8
        .value_kind:     hidden_global_offset_x
      - .offset:         3200
        .size:           8
        .value_kind:     hidden_global_offset_y
      - .offset:         3208
        .size:           8
        .value_kind:     hidden_global_offset_z
      - .offset:         3216
        .size:           2
        .value_kind:     hidden_grid_dims
    .group_segment_fixed_size: 0
    .kernarg_segment_align: 8
    .kernarg_segment_size: 3408
    .language:       OpenCL C
    .language_version:
      - 2
      - 0
    .max_flat_workgroup_size: 512
    .name:           _ZN2at6native12_GLOBAL__N_125multi_tensor_apply_kernelINS1_18TensorListMetadataILi2EEENS1_14UnaryOpFunctorIN3c104HalfELi2ELi1ELi1EEEJNS0_3TanIfEEEEEvT_T0_DpT1_
    .private_segment_fixed_size: 0
    .sgpr_count:     27
    .sgpr_spill_count: 0
    .symbol:         _ZN2at6native12_GLOBAL__N_125multi_tensor_apply_kernelINS1_18TensorListMetadataILi2EEENS1_14UnaryOpFunctorIN3c104HalfELi2ELi1ELi1EEEJNS0_3TanIfEEEEEvT_T0_DpT1_.kd
    .uniform_work_group_size: 1
    .uses_dynamic_stack: false
    .vgpr_count:     49
    .vgpr_spill_count: 0
    .wavefront_size: 32
    .workgroup_processor_mode: 1
  - .args:
      - .offset:         0
        .size:           3144
        .value_kind:     by_value
      - .offset:         3144
        .size:           1
        .value_kind:     by_value
      - .offset:         3145
        .size:           1
        .value_kind:     by_value
      - .offset:         3152
        .size:           4
        .value_kind:     hidden_block_count_x
      - .offset:         3156
        .size:           4
        .value_kind:     hidden_block_count_y
      - .offset:         3160
        .size:           4
        .value_kind:     hidden_block_count_z
      - .offset:         3164
        .size:           2
        .value_kind:     hidden_group_size_x
      - .offset:         3166
        .size:           2
        .value_kind:     hidden_group_size_y
      - .offset:         3168
        .size:           2
        .value_kind:     hidden_group_size_z
      - .offset:         3170
        .size:           2
        .value_kind:     hidden_remainder_x
      - .offset:         3172
        .size:           2
        .value_kind:     hidden_remainder_y
      - .offset:         3174
        .size:           2
        .value_kind:     hidden_remainder_z
      - .offset:         3192
        .size:           8
        .value_kind:     hidden_global_offset_x
      - .offset:         3200
        .size:           8
        .value_kind:     hidden_global_offset_y
      - .offset:         3208
        .size:           8
        .value_kind:     hidden_global_offset_z
      - .offset:         3216
        .size:           2
        .value_kind:     hidden_grid_dims
    .group_segment_fixed_size: 0
    .kernarg_segment_align: 8
    .kernarg_segment_size: 3408
    .language:       OpenCL C
    .language_version:
      - 2
      - 0
    .max_flat_workgroup_size: 512
    .name:           _ZN2at6native12_GLOBAL__N_125multi_tensor_apply_kernelINS1_18TensorListMetadataILi2EEENS1_14UnaryOpFunctorIN3c108BFloat16ELi2ELi1ELi1EEEJNS0_3TanIfEEEEEvT_T0_DpT1_
    .private_segment_fixed_size: 0
    .sgpr_count:     23
    .sgpr_spill_count: 0
    .symbol:         _ZN2at6native12_GLOBAL__N_125multi_tensor_apply_kernelINS1_18TensorListMetadataILi2EEENS1_14UnaryOpFunctorIN3c108BFloat16ELi2ELi1ELi1EEEJNS0_3TanIfEEEEEvT_T0_DpT1_.kd
    .uniform_work_group_size: 1
    .uses_dynamic_stack: false
    .vgpr_count:     49
    .vgpr_spill_count: 0
    .wavefront_size: 32
    .workgroup_processor_mode: 1
  - .args:
      - .offset:         0
        .size:           3368
        .value_kind:     by_value
      - .offset:         3368
        .size:           1
        .value_kind:     by_value
      - .offset:         3369
        .size:           1
        .value_kind:     by_value
      - .offset:         3376
        .size:           4
        .value_kind:     hidden_block_count_x
      - .offset:         3380
        .size:           4
        .value_kind:     hidden_block_count_y
      - .offset:         3384
        .size:           4
        .value_kind:     hidden_block_count_z
      - .offset:         3388
        .size:           2
        .value_kind:     hidden_group_size_x
      - .offset:         3390
        .size:           2
        .value_kind:     hidden_group_size_y
      - .offset:         3392
        .size:           2
        .value_kind:     hidden_group_size_z
      - .offset:         3394
        .size:           2
        .value_kind:     hidden_remainder_x
      - .offset:         3396
        .size:           2
        .value_kind:     hidden_remainder_y
      - .offset:         3398
        .size:           2
        .value_kind:     hidden_remainder_z
      - .offset:         3416
        .size:           8
        .value_kind:     hidden_global_offset_x
      - .offset:         3424
        .size:           8
        .value_kind:     hidden_global_offset_y
      - .offset:         3432
        .size:           8
        .value_kind:     hidden_global_offset_z
      - .offset:         3440
        .size:           2
        .value_kind:     hidden_grid_dims
    .group_segment_fixed_size: 0
    .kernarg_segment_align: 8
    .kernarg_segment_size: 3632
    .language:       OpenCL C
    .language_version:
      - 2
      - 0
    .max_flat_workgroup_size: 512
    .name:           _ZN2at6native12_GLOBAL__N_125multi_tensor_apply_kernelINS1_18TensorListMetadataILi1EEENS1_14UnaryOpFunctorIdLi1ELi1ELi0EEEJNS0_3TanIdEEEEEvT_T0_DpT1_
    .private_segment_fixed_size: 0
    .sgpr_count:     65
    .sgpr_spill_count: 0
    .symbol:         _ZN2at6native12_GLOBAL__N_125multi_tensor_apply_kernelINS1_18TensorListMetadataILi1EEENS1_14UnaryOpFunctorIdLi1ELi1ELi0EEEJNS0_3TanIdEEEEEvT_T0_DpT1_.kd
    .uniform_work_group_size: 1
    .uses_dynamic_stack: false
    .vgpr_count:     74
    .vgpr_spill_count: 0
    .wavefront_size: 32
    .workgroup_processor_mode: 1
  - .args:
      - .offset:         0
        .size:           3368
        .value_kind:     by_value
      - .offset:         3368
        .size:           1
        .value_kind:     by_value
      - .offset:         3369
        .size:           1
        .value_kind:     by_value
      - .offset:         3376
        .size:           4
        .value_kind:     hidden_block_count_x
      - .offset:         3380
        .size:           4
        .value_kind:     hidden_block_count_y
      - .offset:         3384
        .size:           4
        .value_kind:     hidden_block_count_z
      - .offset:         3388
        .size:           2
        .value_kind:     hidden_group_size_x
      - .offset:         3390
        .size:           2
        .value_kind:     hidden_group_size_y
      - .offset:         3392
        .size:           2
        .value_kind:     hidden_group_size_z
      - .offset:         3394
        .size:           2
        .value_kind:     hidden_remainder_x
      - .offset:         3396
        .size:           2
        .value_kind:     hidden_remainder_y
      - .offset:         3398
        .size:           2
        .value_kind:     hidden_remainder_z
      - .offset:         3416
        .size:           8
        .value_kind:     hidden_global_offset_x
      - .offset:         3424
        .size:           8
        .value_kind:     hidden_global_offset_y
      - .offset:         3432
        .size:           8
        .value_kind:     hidden_global_offset_z
      - .offset:         3440
        .size:           2
        .value_kind:     hidden_grid_dims
    .group_segment_fixed_size: 0
    .kernarg_segment_align: 8
    .kernarg_segment_size: 3632
    .language:       OpenCL C
    .language_version:
      - 2
      - 0
    .max_flat_workgroup_size: 512
    .name:           _ZN2at6native12_GLOBAL__N_125multi_tensor_apply_kernelINS1_18TensorListMetadataILi1EEENS1_14UnaryOpFunctorIfLi1ELi1ELi0EEEJNS0_3TanIfEEEEEvT_T0_DpT1_
    .private_segment_fixed_size: 0
    .sgpr_count:     29
    .sgpr_spill_count: 0
    .symbol:         _ZN2at6native12_GLOBAL__N_125multi_tensor_apply_kernelINS1_18TensorListMetadataILi1EEENS1_14UnaryOpFunctorIfLi1ELi1ELi0EEEJNS0_3TanIfEEEEEvT_T0_DpT1_.kd
    .uniform_work_group_size: 1
    .uses_dynamic_stack: false
    .vgpr_count:     37
    .vgpr_spill_count: 0
    .wavefront_size: 32
    .workgroup_processor_mode: 1
  - .args:
      - .offset:         0
        .size:           3368
        .value_kind:     by_value
      - .offset:         3368
        .size:           1
        .value_kind:     by_value
      - .offset:         3369
        .size:           1
        .value_kind:     by_value
      - .offset:         3376
        .size:           4
        .value_kind:     hidden_block_count_x
      - .offset:         3380
        .size:           4
        .value_kind:     hidden_block_count_y
      - .offset:         3384
        .size:           4
        .value_kind:     hidden_block_count_z
      - .offset:         3388
        .size:           2
        .value_kind:     hidden_group_size_x
      - .offset:         3390
        .size:           2
        .value_kind:     hidden_group_size_y
      - .offset:         3392
        .size:           2
        .value_kind:     hidden_group_size_z
      - .offset:         3394
        .size:           2
        .value_kind:     hidden_remainder_x
      - .offset:         3396
        .size:           2
        .value_kind:     hidden_remainder_y
      - .offset:         3398
        .size:           2
        .value_kind:     hidden_remainder_z
      - .offset:         3416
        .size:           8
        .value_kind:     hidden_global_offset_x
      - .offset:         3424
        .size:           8
        .value_kind:     hidden_global_offset_y
      - .offset:         3432
        .size:           8
        .value_kind:     hidden_global_offset_z
      - .offset:         3440
        .size:           2
        .value_kind:     hidden_grid_dims
    .group_segment_fixed_size: 0
    .kernarg_segment_align: 8
    .kernarg_segment_size: 3632
    .language:       OpenCL C
    .language_version:
      - 2
      - 0
    .max_flat_workgroup_size: 512
    .name:           _ZN2at6native12_GLOBAL__N_125multi_tensor_apply_kernelINS1_18TensorListMetadataILi1EEENS1_14UnaryOpFunctorIN3c107complexIdEELi1ELi1ELi0EEEJNS0_3TanIS8_EEEEEvT_T0_DpT1_
    .private_segment_fixed_size: 0
    .sgpr_count:     107
    .sgpr_spill_count: 2
    .symbol:         _ZN2at6native12_GLOBAL__N_125multi_tensor_apply_kernelINS1_18TensorListMetadataILi1EEENS1_14UnaryOpFunctorIN3c107complexIdEELi1ELi1ELi0EEEJNS0_3TanIS8_EEEEEvT_T0_DpT1_.kd
    .uniform_work_group_size: 1
    .uses_dynamic_stack: false
    .vgpr_count:     70
    .vgpr_spill_count: 0
    .wavefront_size: 32
    .workgroup_processor_mode: 1
  - .args:
      - .offset:         0
        .size:           3368
        .value_kind:     by_value
      - .offset:         3368
        .size:           1
        .value_kind:     by_value
      - .offset:         3369
        .size:           1
        .value_kind:     by_value
      - .offset:         3376
        .size:           4
        .value_kind:     hidden_block_count_x
      - .offset:         3380
        .size:           4
        .value_kind:     hidden_block_count_y
      - .offset:         3384
        .size:           4
        .value_kind:     hidden_block_count_z
      - .offset:         3388
        .size:           2
        .value_kind:     hidden_group_size_x
      - .offset:         3390
        .size:           2
        .value_kind:     hidden_group_size_y
      - .offset:         3392
        .size:           2
        .value_kind:     hidden_group_size_z
      - .offset:         3394
        .size:           2
        .value_kind:     hidden_remainder_x
      - .offset:         3396
        .size:           2
        .value_kind:     hidden_remainder_y
      - .offset:         3398
        .size:           2
        .value_kind:     hidden_remainder_z
      - .offset:         3416
        .size:           8
        .value_kind:     hidden_global_offset_x
      - .offset:         3424
        .size:           8
        .value_kind:     hidden_global_offset_y
      - .offset:         3432
        .size:           8
        .value_kind:     hidden_global_offset_z
      - .offset:         3440
        .size:           2
        .value_kind:     hidden_grid_dims
    .group_segment_fixed_size: 0
    .kernarg_segment_align: 8
    .kernarg_segment_size: 3632
    .language:       OpenCL C
    .language_version:
      - 2
      - 0
    .max_flat_workgroup_size: 512
    .name:           _ZN2at6native12_GLOBAL__N_125multi_tensor_apply_kernelINS1_18TensorListMetadataILi1EEENS1_14UnaryOpFunctorIN3c107complexIfEELi1ELi1ELi0EEEJNS0_3TanIS8_EEEEEvT_T0_DpT1_
    .private_segment_fixed_size: 0
    .sgpr_count:     37
    .sgpr_spill_count: 0
    .symbol:         _ZN2at6native12_GLOBAL__N_125multi_tensor_apply_kernelINS1_18TensorListMetadataILi1EEENS1_14UnaryOpFunctorIN3c107complexIfEELi1ELi1ELi0EEEJNS0_3TanIS8_EEEEEvT_T0_DpT1_.kd
    .uniform_work_group_size: 1
    .uses_dynamic_stack: false
    .vgpr_count:     37
    .vgpr_spill_count: 0
    .wavefront_size: 32
    .workgroup_processor_mode: 1
  - .args:
      - .offset:         0
        .size:           3368
        .value_kind:     by_value
      - .offset:         3368
        .size:           1
        .value_kind:     by_value
      - .offset:         3369
        .size:           1
        .value_kind:     by_value
      - .offset:         3376
        .size:           4
        .value_kind:     hidden_block_count_x
      - .offset:         3380
        .size:           4
        .value_kind:     hidden_block_count_y
      - .offset:         3384
        .size:           4
        .value_kind:     hidden_block_count_z
      - .offset:         3388
        .size:           2
        .value_kind:     hidden_group_size_x
      - .offset:         3390
        .size:           2
        .value_kind:     hidden_group_size_y
      - .offset:         3392
        .size:           2
        .value_kind:     hidden_group_size_z
      - .offset:         3394
        .size:           2
        .value_kind:     hidden_remainder_x
      - .offset:         3396
        .size:           2
        .value_kind:     hidden_remainder_y
      - .offset:         3398
        .size:           2
        .value_kind:     hidden_remainder_z
      - .offset:         3416
        .size:           8
        .value_kind:     hidden_global_offset_x
      - .offset:         3424
        .size:           8
        .value_kind:     hidden_global_offset_y
      - .offset:         3432
        .size:           8
        .value_kind:     hidden_global_offset_z
      - .offset:         3440
        .size:           2
        .value_kind:     hidden_grid_dims
    .group_segment_fixed_size: 0
    .kernarg_segment_align: 8
    .kernarg_segment_size: 3632
    .language:       OpenCL C
    .language_version:
      - 2
      - 0
    .max_flat_workgroup_size: 512
    .name:           _ZN2at6native12_GLOBAL__N_125multi_tensor_apply_kernelINS1_18TensorListMetadataILi1EEENS1_14UnaryOpFunctorIN3c104HalfELi1ELi1ELi0EEEJNS0_3TanIfEEEEEvT_T0_DpT1_
    .private_segment_fixed_size: 0
    .sgpr_count:     28
    .sgpr_spill_count: 0
    .symbol:         _ZN2at6native12_GLOBAL__N_125multi_tensor_apply_kernelINS1_18TensorListMetadataILi1EEENS1_14UnaryOpFunctorIN3c104HalfELi1ELi1ELi0EEEJNS0_3TanIfEEEEEvT_T0_DpT1_.kd
    .uniform_work_group_size: 1
    .uses_dynamic_stack: false
    .vgpr_count:     37
    .vgpr_spill_count: 0
    .wavefront_size: 32
    .workgroup_processor_mode: 1
  - .args:
      - .offset:         0
        .size:           3368
        .value_kind:     by_value
      - .offset:         3368
        .size:           1
        .value_kind:     by_value
      - .offset:         3369
        .size:           1
        .value_kind:     by_value
      - .offset:         3376
        .size:           4
        .value_kind:     hidden_block_count_x
      - .offset:         3380
        .size:           4
        .value_kind:     hidden_block_count_y
      - .offset:         3384
        .size:           4
        .value_kind:     hidden_block_count_z
      - .offset:         3388
        .size:           2
        .value_kind:     hidden_group_size_x
      - .offset:         3390
        .size:           2
        .value_kind:     hidden_group_size_y
      - .offset:         3392
        .size:           2
        .value_kind:     hidden_group_size_z
      - .offset:         3394
        .size:           2
        .value_kind:     hidden_remainder_x
      - .offset:         3396
        .size:           2
        .value_kind:     hidden_remainder_y
      - .offset:         3398
        .size:           2
        .value_kind:     hidden_remainder_z
      - .offset:         3416
        .size:           8
        .value_kind:     hidden_global_offset_x
      - .offset:         3424
        .size:           8
        .value_kind:     hidden_global_offset_y
      - .offset:         3432
        .size:           8
        .value_kind:     hidden_global_offset_z
      - .offset:         3440
        .size:           2
        .value_kind:     hidden_grid_dims
    .group_segment_fixed_size: 0
    .kernarg_segment_align: 8
    .kernarg_segment_size: 3632
    .language:       OpenCL C
    .language_version:
      - 2
      - 0
    .max_flat_workgroup_size: 512
    .name:           _ZN2at6native12_GLOBAL__N_125multi_tensor_apply_kernelINS1_18TensorListMetadataILi1EEENS1_14UnaryOpFunctorIN3c108BFloat16ELi1ELi1ELi0EEEJNS0_3TanIfEEEEEvT_T0_DpT1_
    .private_segment_fixed_size: 0
    .sgpr_count:     28
    .sgpr_spill_count: 0
    .symbol:         _ZN2at6native12_GLOBAL__N_125multi_tensor_apply_kernelINS1_18TensorListMetadataILi1EEENS1_14UnaryOpFunctorIN3c108BFloat16ELi1ELi1ELi0EEEJNS0_3TanIfEEEEEvT_T0_DpT1_.kd
    .uniform_work_group_size: 1
    .uses_dynamic_stack: false
    .vgpr_count:     37
    .vgpr_spill_count: 0
    .wavefront_size: 32
    .workgroup_processor_mode: 1
  - .args:
      - .offset:         0
        .size:           3144
        .value_kind:     by_value
      - .offset:         3144
        .size:           1
        .value_kind:     by_value
      - .offset:         3145
        .size:           1
        .value_kind:     by_value
      - .offset:         3152
        .size:           4
        .value_kind:     hidden_block_count_x
      - .offset:         3156
        .size:           4
        .value_kind:     hidden_block_count_y
      - .offset:         3160
        .size:           4
        .value_kind:     hidden_block_count_z
      - .offset:         3164
        .size:           2
        .value_kind:     hidden_group_size_x
      - .offset:         3166
        .size:           2
        .value_kind:     hidden_group_size_y
      - .offset:         3168
        .size:           2
        .value_kind:     hidden_group_size_z
      - .offset:         3170
        .size:           2
        .value_kind:     hidden_remainder_x
      - .offset:         3172
        .size:           2
        .value_kind:     hidden_remainder_y
      - .offset:         3174
        .size:           2
        .value_kind:     hidden_remainder_z
      - .offset:         3192
        .size:           8
        .value_kind:     hidden_global_offset_x
      - .offset:         3200
        .size:           8
        .value_kind:     hidden_global_offset_y
      - .offset:         3208
        .size:           8
        .value_kind:     hidden_global_offset_z
      - .offset:         3216
        .size:           2
        .value_kind:     hidden_grid_dims
    .group_segment_fixed_size: 0
    .kernarg_segment_align: 8
    .kernarg_segment_size: 3408
    .language:       OpenCL C
    .language_version:
      - 2
      - 0
    .max_flat_workgroup_size: 512
    .name:           _ZN2at6native12_GLOBAL__N_125multi_tensor_apply_kernelINS1_18TensorListMetadataILi2EEENS1_14UnaryOpFunctorIdLi2ELi1ELi1EEEJNS0_3SinIdEEEEEvT_T0_DpT1_
    .private_segment_fixed_size: 0
    .sgpr_count:     69
    .sgpr_spill_count: 0
    .symbol:         _ZN2at6native12_GLOBAL__N_125multi_tensor_apply_kernelINS1_18TensorListMetadataILi2EEENS1_14UnaryOpFunctorIdLi2ELi1ELi1EEEJNS0_3SinIdEEEEEvT_T0_DpT1_.kd
    .uniform_work_group_size: 1
    .uses_dynamic_stack: false
    .vgpr_count:     94
    .vgpr_spill_count: 0
    .wavefront_size: 32
    .workgroup_processor_mode: 1
  - .args:
      - .offset:         0
        .size:           3144
        .value_kind:     by_value
      - .offset:         3144
        .size:           1
        .value_kind:     by_value
      - .offset:         3145
        .size:           1
        .value_kind:     by_value
      - .offset:         3152
        .size:           4
        .value_kind:     hidden_block_count_x
      - .offset:         3156
        .size:           4
        .value_kind:     hidden_block_count_y
      - .offset:         3160
        .size:           4
        .value_kind:     hidden_block_count_z
      - .offset:         3164
        .size:           2
        .value_kind:     hidden_group_size_x
      - .offset:         3166
        .size:           2
        .value_kind:     hidden_group_size_y
      - .offset:         3168
        .size:           2
        .value_kind:     hidden_group_size_z
      - .offset:         3170
        .size:           2
        .value_kind:     hidden_remainder_x
      - .offset:         3172
        .size:           2
        .value_kind:     hidden_remainder_y
      - .offset:         3174
        .size:           2
        .value_kind:     hidden_remainder_z
      - .offset:         3192
        .size:           8
        .value_kind:     hidden_global_offset_x
      - .offset:         3200
        .size:           8
        .value_kind:     hidden_global_offset_y
      - .offset:         3208
        .size:           8
        .value_kind:     hidden_global_offset_z
      - .offset:         3216
        .size:           2
        .value_kind:     hidden_grid_dims
    .group_segment_fixed_size: 0
    .kernarg_segment_align: 8
    .kernarg_segment_size: 3408
    .language:       OpenCL C
    .language_version:
      - 2
      - 0
    .max_flat_workgroup_size: 512
    .name:           _ZN2at6native12_GLOBAL__N_125multi_tensor_apply_kernelINS1_18TensorListMetadataILi2EEENS1_14UnaryOpFunctorIfLi2ELi1ELi1EEEJNS0_3SinIfEEEEEvT_T0_DpT1_
    .private_segment_fixed_size: 0
    .sgpr_count:     27
    .sgpr_spill_count: 0
    .symbol:         _ZN2at6native12_GLOBAL__N_125multi_tensor_apply_kernelINS1_18TensorListMetadataILi2EEENS1_14UnaryOpFunctorIfLi2ELi1ELi1EEEJNS0_3SinIfEEEEEvT_T0_DpT1_.kd
    .uniform_work_group_size: 1
    .uses_dynamic_stack: false
    .vgpr_count:     49
    .vgpr_spill_count: 0
    .wavefront_size: 32
    .workgroup_processor_mode: 1
  - .args:
      - .offset:         0
        .size:           3144
        .value_kind:     by_value
      - .offset:         3144
        .size:           1
        .value_kind:     by_value
      - .offset:         3145
        .size:           1
        .value_kind:     by_value
      - .offset:         3152
        .size:           4
        .value_kind:     hidden_block_count_x
      - .offset:         3156
        .size:           4
        .value_kind:     hidden_block_count_y
      - .offset:         3160
        .size:           4
        .value_kind:     hidden_block_count_z
      - .offset:         3164
        .size:           2
        .value_kind:     hidden_group_size_x
      - .offset:         3166
        .size:           2
        .value_kind:     hidden_group_size_y
      - .offset:         3168
        .size:           2
        .value_kind:     hidden_group_size_z
      - .offset:         3170
        .size:           2
        .value_kind:     hidden_remainder_x
      - .offset:         3172
        .size:           2
        .value_kind:     hidden_remainder_y
      - .offset:         3174
        .size:           2
        .value_kind:     hidden_remainder_z
      - .offset:         3192
        .size:           8
        .value_kind:     hidden_global_offset_x
      - .offset:         3200
        .size:           8
        .value_kind:     hidden_global_offset_y
      - .offset:         3208
        .size:           8
        .value_kind:     hidden_global_offset_z
      - .offset:         3216
        .size:           2
        .value_kind:     hidden_grid_dims
    .group_segment_fixed_size: 0
    .kernarg_segment_align: 8
    .kernarg_segment_size: 3408
    .language:       OpenCL C
    .language_version:
      - 2
      - 0
    .max_flat_workgroup_size: 512
    .name:           _ZN2at6native12_GLOBAL__N_125multi_tensor_apply_kernelINS1_18TensorListMetadataILi2EEENS1_14UnaryOpFunctorIN3c107complexIdEELi2ELi1ELi1EEEJNS0_3SinIS8_EEEEEvT_T0_DpT1_
    .private_segment_fixed_size: 0
    .sgpr_count:     48
    .sgpr_spill_count: 0
    .symbol:         _ZN2at6native12_GLOBAL__N_125multi_tensor_apply_kernelINS1_18TensorListMetadataILi2EEENS1_14UnaryOpFunctorIN3c107complexIdEELi2ELi1ELi1EEEJNS0_3SinIS8_EEEEEvT_T0_DpT1_.kd
    .uniform_work_group_size: 1
    .uses_dynamic_stack: false
    .vgpr_count:     90
    .vgpr_spill_count: 0
    .wavefront_size: 32
    .workgroup_processor_mode: 1
  - .args:
      - .offset:         0
        .size:           3144
        .value_kind:     by_value
      - .offset:         3144
        .size:           1
        .value_kind:     by_value
      - .offset:         3145
        .size:           1
        .value_kind:     by_value
      - .offset:         3152
        .size:           4
        .value_kind:     hidden_block_count_x
      - .offset:         3156
        .size:           4
        .value_kind:     hidden_block_count_y
      - .offset:         3160
        .size:           4
        .value_kind:     hidden_block_count_z
      - .offset:         3164
        .size:           2
        .value_kind:     hidden_group_size_x
      - .offset:         3166
        .size:           2
        .value_kind:     hidden_group_size_y
      - .offset:         3168
        .size:           2
        .value_kind:     hidden_group_size_z
      - .offset:         3170
        .size:           2
        .value_kind:     hidden_remainder_x
      - .offset:         3172
        .size:           2
        .value_kind:     hidden_remainder_y
      - .offset:         3174
        .size:           2
        .value_kind:     hidden_remainder_z
      - .offset:         3192
        .size:           8
        .value_kind:     hidden_global_offset_x
      - .offset:         3200
        .size:           8
        .value_kind:     hidden_global_offset_y
      - .offset:         3208
        .size:           8
        .value_kind:     hidden_global_offset_z
      - .offset:         3216
        .size:           2
        .value_kind:     hidden_grid_dims
    .group_segment_fixed_size: 0
    .kernarg_segment_align: 8
    .kernarg_segment_size: 3408
    .language:       OpenCL C
    .language_version:
      - 2
      - 0
    .max_flat_workgroup_size: 512
    .name:           _ZN2at6native12_GLOBAL__N_125multi_tensor_apply_kernelINS1_18TensorListMetadataILi2EEENS1_14UnaryOpFunctorIN3c107complexIfEELi2ELi1ELi1EEEJNS0_3SinIS8_EEEEEvT_T0_DpT1_
    .private_segment_fixed_size: 0
    .sgpr_count:     38
    .sgpr_spill_count: 0
    .symbol:         _ZN2at6native12_GLOBAL__N_125multi_tensor_apply_kernelINS1_18TensorListMetadataILi2EEENS1_14UnaryOpFunctorIN3c107complexIfEELi2ELi1ELi1EEEJNS0_3SinIS8_EEEEEvT_T0_DpT1_.kd
    .uniform_work_group_size: 1
    .uses_dynamic_stack: false
    .vgpr_count:     45
    .vgpr_spill_count: 0
    .wavefront_size: 32
    .workgroup_processor_mode: 1
  - .args:
      - .offset:         0
        .size:           3144
        .value_kind:     by_value
      - .offset:         3144
        .size:           1
        .value_kind:     by_value
      - .offset:         3145
        .size:           1
        .value_kind:     by_value
      - .offset:         3152
        .size:           4
        .value_kind:     hidden_block_count_x
      - .offset:         3156
        .size:           4
        .value_kind:     hidden_block_count_y
      - .offset:         3160
        .size:           4
        .value_kind:     hidden_block_count_z
      - .offset:         3164
        .size:           2
        .value_kind:     hidden_group_size_x
      - .offset:         3166
        .size:           2
        .value_kind:     hidden_group_size_y
      - .offset:         3168
        .size:           2
        .value_kind:     hidden_group_size_z
      - .offset:         3170
        .size:           2
        .value_kind:     hidden_remainder_x
      - .offset:         3172
        .size:           2
        .value_kind:     hidden_remainder_y
      - .offset:         3174
        .size:           2
        .value_kind:     hidden_remainder_z
      - .offset:         3192
        .size:           8
        .value_kind:     hidden_global_offset_x
      - .offset:         3200
        .size:           8
        .value_kind:     hidden_global_offset_y
      - .offset:         3208
        .size:           8
        .value_kind:     hidden_global_offset_z
      - .offset:         3216
        .size:           2
        .value_kind:     hidden_grid_dims
    .group_segment_fixed_size: 0
    .kernarg_segment_align: 8
    .kernarg_segment_size: 3408
    .language:       OpenCL C
    .language_version:
      - 2
      - 0
    .max_flat_workgroup_size: 512
    .name:           _ZN2at6native12_GLOBAL__N_125multi_tensor_apply_kernelINS1_18TensorListMetadataILi2EEENS1_14UnaryOpFunctorIN3c104HalfELi2ELi1ELi1EEEJNS0_3SinIfEEEEEvT_T0_DpT1_
    .private_segment_fixed_size: 0
    .sgpr_count:     27
    .sgpr_spill_count: 0
    .symbol:         _ZN2at6native12_GLOBAL__N_125multi_tensor_apply_kernelINS1_18TensorListMetadataILi2EEENS1_14UnaryOpFunctorIN3c104HalfELi2ELi1ELi1EEEJNS0_3SinIfEEEEEvT_T0_DpT1_.kd
    .uniform_work_group_size: 1
    .uses_dynamic_stack: false
    .vgpr_count:     49
    .vgpr_spill_count: 0
    .wavefront_size: 32
    .workgroup_processor_mode: 1
  - .args:
      - .offset:         0
        .size:           3144
        .value_kind:     by_value
      - .offset:         3144
        .size:           1
        .value_kind:     by_value
      - .offset:         3145
        .size:           1
        .value_kind:     by_value
      - .offset:         3152
        .size:           4
        .value_kind:     hidden_block_count_x
      - .offset:         3156
        .size:           4
        .value_kind:     hidden_block_count_y
      - .offset:         3160
        .size:           4
        .value_kind:     hidden_block_count_z
      - .offset:         3164
        .size:           2
        .value_kind:     hidden_group_size_x
      - .offset:         3166
        .size:           2
        .value_kind:     hidden_group_size_y
      - .offset:         3168
        .size:           2
        .value_kind:     hidden_group_size_z
      - .offset:         3170
        .size:           2
        .value_kind:     hidden_remainder_x
      - .offset:         3172
        .size:           2
        .value_kind:     hidden_remainder_y
      - .offset:         3174
        .size:           2
        .value_kind:     hidden_remainder_z
      - .offset:         3192
        .size:           8
        .value_kind:     hidden_global_offset_x
      - .offset:         3200
        .size:           8
        .value_kind:     hidden_global_offset_y
      - .offset:         3208
        .size:           8
        .value_kind:     hidden_global_offset_z
      - .offset:         3216
        .size:           2
        .value_kind:     hidden_grid_dims
    .group_segment_fixed_size: 0
    .kernarg_segment_align: 8
    .kernarg_segment_size: 3408
    .language:       OpenCL C
    .language_version:
      - 2
      - 0
    .max_flat_workgroup_size: 512
    .name:           _ZN2at6native12_GLOBAL__N_125multi_tensor_apply_kernelINS1_18TensorListMetadataILi2EEENS1_14UnaryOpFunctorIN3c108BFloat16ELi2ELi1ELi1EEEJNS0_3SinIfEEEEEvT_T0_DpT1_
    .private_segment_fixed_size: 0
    .sgpr_count:     23
    .sgpr_spill_count: 0
    .symbol:         _ZN2at6native12_GLOBAL__N_125multi_tensor_apply_kernelINS1_18TensorListMetadataILi2EEENS1_14UnaryOpFunctorIN3c108BFloat16ELi2ELi1ELi1EEEJNS0_3SinIfEEEEEvT_T0_DpT1_.kd
    .uniform_work_group_size: 1
    .uses_dynamic_stack: false
    .vgpr_count:     49
    .vgpr_spill_count: 0
    .wavefront_size: 32
    .workgroup_processor_mode: 1
  - .args:
      - .offset:         0
        .size:           3368
        .value_kind:     by_value
      - .offset:         3368
        .size:           1
        .value_kind:     by_value
      - .offset:         3369
        .size:           1
        .value_kind:     by_value
      - .offset:         3376
        .size:           4
        .value_kind:     hidden_block_count_x
      - .offset:         3380
        .size:           4
        .value_kind:     hidden_block_count_y
      - .offset:         3384
        .size:           4
        .value_kind:     hidden_block_count_z
      - .offset:         3388
        .size:           2
        .value_kind:     hidden_group_size_x
      - .offset:         3390
        .size:           2
        .value_kind:     hidden_group_size_y
      - .offset:         3392
        .size:           2
        .value_kind:     hidden_group_size_z
      - .offset:         3394
        .size:           2
        .value_kind:     hidden_remainder_x
      - .offset:         3396
        .size:           2
        .value_kind:     hidden_remainder_y
      - .offset:         3398
        .size:           2
        .value_kind:     hidden_remainder_z
      - .offset:         3416
        .size:           8
        .value_kind:     hidden_global_offset_x
      - .offset:         3424
        .size:           8
        .value_kind:     hidden_global_offset_y
      - .offset:         3432
        .size:           8
        .value_kind:     hidden_global_offset_z
      - .offset:         3440
        .size:           2
        .value_kind:     hidden_grid_dims
    .group_segment_fixed_size: 0
    .kernarg_segment_align: 8
    .kernarg_segment_size: 3632
    .language:       OpenCL C
    .language_version:
      - 2
      - 0
    .max_flat_workgroup_size: 512
    .name:           _ZN2at6native12_GLOBAL__N_125multi_tensor_apply_kernelINS1_18TensorListMetadataILi1EEENS1_14UnaryOpFunctorIdLi1ELi1ELi0EEEJNS0_3SinIdEEEEEvT_T0_DpT1_
    .private_segment_fixed_size: 0
    .sgpr_count:     61
    .sgpr_spill_count: 0
    .symbol:         _ZN2at6native12_GLOBAL__N_125multi_tensor_apply_kernelINS1_18TensorListMetadataILi1EEENS1_14UnaryOpFunctorIdLi1ELi1ELi0EEEJNS0_3SinIdEEEEEvT_T0_DpT1_.kd
    .uniform_work_group_size: 1
    .uses_dynamic_stack: false
    .vgpr_count:     94
    .vgpr_spill_count: 0
    .wavefront_size: 32
    .workgroup_processor_mode: 1
  - .args:
      - .offset:         0
        .size:           3368
        .value_kind:     by_value
      - .offset:         3368
        .size:           1
        .value_kind:     by_value
      - .offset:         3369
        .size:           1
        .value_kind:     by_value
      - .offset:         3376
        .size:           4
        .value_kind:     hidden_block_count_x
      - .offset:         3380
        .size:           4
        .value_kind:     hidden_block_count_y
      - .offset:         3384
        .size:           4
        .value_kind:     hidden_block_count_z
      - .offset:         3388
        .size:           2
        .value_kind:     hidden_group_size_x
      - .offset:         3390
        .size:           2
        .value_kind:     hidden_group_size_y
      - .offset:         3392
        .size:           2
        .value_kind:     hidden_group_size_z
      - .offset:         3394
        .size:           2
        .value_kind:     hidden_remainder_x
      - .offset:         3396
        .size:           2
        .value_kind:     hidden_remainder_y
      - .offset:         3398
        .size:           2
        .value_kind:     hidden_remainder_z
      - .offset:         3416
        .size:           8
        .value_kind:     hidden_global_offset_x
      - .offset:         3424
        .size:           8
        .value_kind:     hidden_global_offset_y
      - .offset:         3432
        .size:           8
        .value_kind:     hidden_global_offset_z
      - .offset:         3440
        .size:           2
        .value_kind:     hidden_grid_dims
    .group_segment_fixed_size: 0
    .kernarg_segment_align: 8
    .kernarg_segment_size: 3632
    .language:       OpenCL C
    .language_version:
      - 2
      - 0
    .max_flat_workgroup_size: 512
    .name:           _ZN2at6native12_GLOBAL__N_125multi_tensor_apply_kernelINS1_18TensorListMetadataILi1EEENS1_14UnaryOpFunctorIfLi1ELi1ELi0EEEJNS0_3SinIfEEEEEvT_T0_DpT1_
    .private_segment_fixed_size: 0
    .sgpr_count:     29
    .sgpr_spill_count: 0
    .symbol:         _ZN2at6native12_GLOBAL__N_125multi_tensor_apply_kernelINS1_18TensorListMetadataILi1EEENS1_14UnaryOpFunctorIfLi1ELi1ELi0EEEJNS0_3SinIfEEEEEvT_T0_DpT1_.kd
    .uniform_work_group_size: 1
    .uses_dynamic_stack: false
    .vgpr_count:     37
    .vgpr_spill_count: 0
    .wavefront_size: 32
    .workgroup_processor_mode: 1
  - .args:
      - .offset:         0
        .size:           3368
        .value_kind:     by_value
      - .offset:         3368
        .size:           1
        .value_kind:     by_value
      - .offset:         3369
        .size:           1
        .value_kind:     by_value
      - .offset:         3376
        .size:           4
        .value_kind:     hidden_block_count_x
      - .offset:         3380
        .size:           4
        .value_kind:     hidden_block_count_y
      - .offset:         3384
        .size:           4
        .value_kind:     hidden_block_count_z
      - .offset:         3388
        .size:           2
        .value_kind:     hidden_group_size_x
      - .offset:         3390
        .size:           2
        .value_kind:     hidden_group_size_y
      - .offset:         3392
        .size:           2
        .value_kind:     hidden_group_size_z
      - .offset:         3394
        .size:           2
        .value_kind:     hidden_remainder_x
      - .offset:         3396
        .size:           2
        .value_kind:     hidden_remainder_y
      - .offset:         3398
        .size:           2
        .value_kind:     hidden_remainder_z
      - .offset:         3416
        .size:           8
        .value_kind:     hidden_global_offset_x
      - .offset:         3424
        .size:           8
        .value_kind:     hidden_global_offset_y
      - .offset:         3432
        .size:           8
        .value_kind:     hidden_global_offset_z
      - .offset:         3440
        .size:           2
        .value_kind:     hidden_grid_dims
    .group_segment_fixed_size: 0
    .kernarg_segment_align: 8
    .kernarg_segment_size: 3632
    .language:       OpenCL C
    .language_version:
      - 2
      - 0
    .max_flat_workgroup_size: 512
    .name:           _ZN2at6native12_GLOBAL__N_125multi_tensor_apply_kernelINS1_18TensorListMetadataILi1EEENS1_14UnaryOpFunctorIN3c107complexIdEELi1ELi1ELi0EEEJNS0_3SinIS8_EEEEEvT_T0_DpT1_
    .private_segment_fixed_size: 0
    .sgpr_count:     47
    .sgpr_spill_count: 0
    .symbol:         _ZN2at6native12_GLOBAL__N_125multi_tensor_apply_kernelINS1_18TensorListMetadataILi1EEENS1_14UnaryOpFunctorIN3c107complexIdEELi1ELi1ELi0EEEJNS0_3SinIS8_EEEEEvT_T0_DpT1_.kd
    .uniform_work_group_size: 1
    .uses_dynamic_stack: false
    .vgpr_count:     85
    .vgpr_spill_count: 0
    .wavefront_size: 32
    .workgroup_processor_mode: 1
  - .args:
      - .offset:         0
        .size:           3368
        .value_kind:     by_value
      - .offset:         3368
        .size:           1
        .value_kind:     by_value
      - .offset:         3369
        .size:           1
        .value_kind:     by_value
      - .offset:         3376
        .size:           4
        .value_kind:     hidden_block_count_x
      - .offset:         3380
        .size:           4
        .value_kind:     hidden_block_count_y
      - .offset:         3384
        .size:           4
        .value_kind:     hidden_block_count_z
      - .offset:         3388
        .size:           2
        .value_kind:     hidden_group_size_x
      - .offset:         3390
        .size:           2
        .value_kind:     hidden_group_size_y
      - .offset:         3392
        .size:           2
        .value_kind:     hidden_group_size_z
      - .offset:         3394
        .size:           2
        .value_kind:     hidden_remainder_x
      - .offset:         3396
        .size:           2
        .value_kind:     hidden_remainder_y
      - .offset:         3398
        .size:           2
        .value_kind:     hidden_remainder_z
      - .offset:         3416
        .size:           8
        .value_kind:     hidden_global_offset_x
      - .offset:         3424
        .size:           8
        .value_kind:     hidden_global_offset_y
      - .offset:         3432
        .size:           8
        .value_kind:     hidden_global_offset_z
      - .offset:         3440
        .size:           2
        .value_kind:     hidden_grid_dims
    .group_segment_fixed_size: 0
    .kernarg_segment_align: 8
    .kernarg_segment_size: 3632
    .language:       OpenCL C
    .language_version:
      - 2
      - 0
    .max_flat_workgroup_size: 512
    .name:           _ZN2at6native12_GLOBAL__N_125multi_tensor_apply_kernelINS1_18TensorListMetadataILi1EEENS1_14UnaryOpFunctorIN3c107complexIfEELi1ELi1ELi0EEEJNS0_3SinIS8_EEEEEvT_T0_DpT1_
    .private_segment_fixed_size: 0
    .sgpr_count:     36
    .sgpr_spill_count: 0
    .symbol:         _ZN2at6native12_GLOBAL__N_125multi_tensor_apply_kernelINS1_18TensorListMetadataILi1EEENS1_14UnaryOpFunctorIN3c107complexIfEELi1ELi1ELi0EEEJNS0_3SinIS8_EEEEEvT_T0_DpT1_.kd
    .uniform_work_group_size: 1
    .uses_dynamic_stack: false
    .vgpr_count:     40
    .vgpr_spill_count: 0
    .wavefront_size: 32
    .workgroup_processor_mode: 1
  - .args:
      - .offset:         0
        .size:           3368
        .value_kind:     by_value
      - .offset:         3368
        .size:           1
        .value_kind:     by_value
      - .offset:         3369
        .size:           1
        .value_kind:     by_value
      - .offset:         3376
        .size:           4
        .value_kind:     hidden_block_count_x
      - .offset:         3380
        .size:           4
        .value_kind:     hidden_block_count_y
      - .offset:         3384
        .size:           4
        .value_kind:     hidden_block_count_z
      - .offset:         3388
        .size:           2
        .value_kind:     hidden_group_size_x
      - .offset:         3390
        .size:           2
        .value_kind:     hidden_group_size_y
      - .offset:         3392
        .size:           2
        .value_kind:     hidden_group_size_z
      - .offset:         3394
        .size:           2
        .value_kind:     hidden_remainder_x
      - .offset:         3396
        .size:           2
        .value_kind:     hidden_remainder_y
      - .offset:         3398
        .size:           2
        .value_kind:     hidden_remainder_z
      - .offset:         3416
        .size:           8
        .value_kind:     hidden_global_offset_x
      - .offset:         3424
        .size:           8
        .value_kind:     hidden_global_offset_y
      - .offset:         3432
        .size:           8
        .value_kind:     hidden_global_offset_z
      - .offset:         3440
        .size:           2
        .value_kind:     hidden_grid_dims
    .group_segment_fixed_size: 0
    .kernarg_segment_align: 8
    .kernarg_segment_size: 3632
    .language:       OpenCL C
    .language_version:
      - 2
      - 0
    .max_flat_workgroup_size: 512
    .name:           _ZN2at6native12_GLOBAL__N_125multi_tensor_apply_kernelINS1_18TensorListMetadataILi1EEENS1_14UnaryOpFunctorIN3c104HalfELi1ELi1ELi0EEEJNS0_3SinIfEEEEEvT_T0_DpT1_
    .private_segment_fixed_size: 0
    .sgpr_count:     28
    .sgpr_spill_count: 0
    .symbol:         _ZN2at6native12_GLOBAL__N_125multi_tensor_apply_kernelINS1_18TensorListMetadataILi1EEENS1_14UnaryOpFunctorIN3c104HalfELi1ELi1ELi0EEEJNS0_3SinIfEEEEEvT_T0_DpT1_.kd
    .uniform_work_group_size: 1
    .uses_dynamic_stack: false
    .vgpr_count:     37
    .vgpr_spill_count: 0
    .wavefront_size: 32
    .workgroup_processor_mode: 1
  - .args:
      - .offset:         0
        .size:           3368
        .value_kind:     by_value
      - .offset:         3368
        .size:           1
        .value_kind:     by_value
      - .offset:         3369
        .size:           1
        .value_kind:     by_value
      - .offset:         3376
        .size:           4
        .value_kind:     hidden_block_count_x
      - .offset:         3380
        .size:           4
        .value_kind:     hidden_block_count_y
      - .offset:         3384
        .size:           4
        .value_kind:     hidden_block_count_z
      - .offset:         3388
        .size:           2
        .value_kind:     hidden_group_size_x
      - .offset:         3390
        .size:           2
        .value_kind:     hidden_group_size_y
      - .offset:         3392
        .size:           2
        .value_kind:     hidden_group_size_z
      - .offset:         3394
        .size:           2
        .value_kind:     hidden_remainder_x
      - .offset:         3396
        .size:           2
        .value_kind:     hidden_remainder_y
      - .offset:         3398
        .size:           2
        .value_kind:     hidden_remainder_z
      - .offset:         3416
        .size:           8
        .value_kind:     hidden_global_offset_x
      - .offset:         3424
        .size:           8
        .value_kind:     hidden_global_offset_y
      - .offset:         3432
        .size:           8
        .value_kind:     hidden_global_offset_z
      - .offset:         3440
        .size:           2
        .value_kind:     hidden_grid_dims
    .group_segment_fixed_size: 0
    .kernarg_segment_align: 8
    .kernarg_segment_size: 3632
    .language:       OpenCL C
    .language_version:
      - 2
      - 0
    .max_flat_workgroup_size: 512
    .name:           _ZN2at6native12_GLOBAL__N_125multi_tensor_apply_kernelINS1_18TensorListMetadataILi1EEENS1_14UnaryOpFunctorIN3c108BFloat16ELi1ELi1ELi0EEEJNS0_3SinIfEEEEEvT_T0_DpT1_
    .private_segment_fixed_size: 0
    .sgpr_count:     28
    .sgpr_spill_count: 0
    .symbol:         _ZN2at6native12_GLOBAL__N_125multi_tensor_apply_kernelINS1_18TensorListMetadataILi1EEENS1_14UnaryOpFunctorIN3c108BFloat16ELi1ELi1ELi0EEEJNS0_3SinIfEEEEEvT_T0_DpT1_.kd
    .uniform_work_group_size: 1
    .uses_dynamic_stack: false
    .vgpr_count:     37
    .vgpr_spill_count: 0
    .wavefront_size: 32
    .workgroup_processor_mode: 1
  - .args:
      - .offset:         0
        .size:           3144
        .value_kind:     by_value
      - .offset:         3144
        .size:           1
        .value_kind:     by_value
      - .offset:         3145
        .size:           1
        .value_kind:     by_value
      - .offset:         3152
        .size:           4
        .value_kind:     hidden_block_count_x
      - .offset:         3156
        .size:           4
        .value_kind:     hidden_block_count_y
      - .offset:         3160
        .size:           4
        .value_kind:     hidden_block_count_z
      - .offset:         3164
        .size:           2
        .value_kind:     hidden_group_size_x
      - .offset:         3166
        .size:           2
        .value_kind:     hidden_group_size_y
      - .offset:         3168
        .size:           2
        .value_kind:     hidden_group_size_z
      - .offset:         3170
        .size:           2
        .value_kind:     hidden_remainder_x
      - .offset:         3172
        .size:           2
        .value_kind:     hidden_remainder_y
      - .offset:         3174
        .size:           2
        .value_kind:     hidden_remainder_z
      - .offset:         3192
        .size:           8
        .value_kind:     hidden_global_offset_x
      - .offset:         3200
        .size:           8
        .value_kind:     hidden_global_offset_y
      - .offset:         3208
        .size:           8
        .value_kind:     hidden_global_offset_z
      - .offset:         3216
        .size:           2
        .value_kind:     hidden_grid_dims
    .group_segment_fixed_size: 0
    .kernarg_segment_align: 8
    .kernarg_segment_size: 3408
    .language:       OpenCL C
    .language_version:
      - 2
      - 0
    .max_flat_workgroup_size: 512
    .name:           _ZN2at6native12_GLOBAL__N_125multi_tensor_apply_kernelINS1_18TensorListMetadataILi2EEENS1_14UnaryOpFunctorIdLi2ELi1ELi1EEEJNS0_4SinhIdEEEEEvT_T0_DpT1_
    .private_segment_fixed_size: 0
    .sgpr_count:     63
    .sgpr_spill_count: 0
    .symbol:         _ZN2at6native12_GLOBAL__N_125multi_tensor_apply_kernelINS1_18TensorListMetadataILi2EEENS1_14UnaryOpFunctorIdLi2ELi1ELi1EEEJNS0_4SinhIdEEEEEvT_T0_DpT1_.kd
    .uniform_work_group_size: 1
    .uses_dynamic_stack: false
    .vgpr_count:     92
    .vgpr_spill_count: 0
    .wavefront_size: 32
    .workgroup_processor_mode: 1
  - .args:
      - .offset:         0
        .size:           3144
        .value_kind:     by_value
      - .offset:         3144
        .size:           1
        .value_kind:     by_value
      - .offset:         3145
        .size:           1
        .value_kind:     by_value
      - .offset:         3152
        .size:           4
        .value_kind:     hidden_block_count_x
      - .offset:         3156
        .size:           4
        .value_kind:     hidden_block_count_y
      - .offset:         3160
        .size:           4
        .value_kind:     hidden_block_count_z
      - .offset:         3164
        .size:           2
        .value_kind:     hidden_group_size_x
      - .offset:         3166
        .size:           2
        .value_kind:     hidden_group_size_y
      - .offset:         3168
        .size:           2
        .value_kind:     hidden_group_size_z
      - .offset:         3170
        .size:           2
        .value_kind:     hidden_remainder_x
      - .offset:         3172
        .size:           2
        .value_kind:     hidden_remainder_y
      - .offset:         3174
        .size:           2
        .value_kind:     hidden_remainder_z
      - .offset:         3192
        .size:           8
        .value_kind:     hidden_global_offset_x
      - .offset:         3200
        .size:           8
        .value_kind:     hidden_global_offset_y
      - .offset:         3208
        .size:           8
        .value_kind:     hidden_global_offset_z
      - .offset:         3216
        .size:           2
        .value_kind:     hidden_grid_dims
    .group_segment_fixed_size: 0
    .kernarg_segment_align: 8
    .kernarg_segment_size: 3408
    .language:       OpenCL C
    .language_version:
      - 2
      - 0
    .max_flat_workgroup_size: 512
    .name:           _ZN2at6native12_GLOBAL__N_125multi_tensor_apply_kernelINS1_18TensorListMetadataILi2EEENS1_14UnaryOpFunctorIfLi2ELi1ELi1EEEJNS0_4SinhIfEEEEEvT_T0_DpT1_
    .private_segment_fixed_size: 0
    .sgpr_count:     26
    .sgpr_spill_count: 0
    .symbol:         _ZN2at6native12_GLOBAL__N_125multi_tensor_apply_kernelINS1_18TensorListMetadataILi2EEENS1_14UnaryOpFunctorIfLi2ELi1ELi1EEEJNS0_4SinhIfEEEEEvT_T0_DpT1_.kd
    .uniform_work_group_size: 1
    .uses_dynamic_stack: false
    .vgpr_count:     54
    .vgpr_spill_count: 0
    .wavefront_size: 32
    .workgroup_processor_mode: 1
  - .args:
      - .offset:         0
        .size:           3144
        .value_kind:     by_value
      - .offset:         3144
        .size:           1
        .value_kind:     by_value
      - .offset:         3145
        .size:           1
        .value_kind:     by_value
      - .offset:         3152
        .size:           4
        .value_kind:     hidden_block_count_x
      - .offset:         3156
        .size:           4
        .value_kind:     hidden_block_count_y
      - .offset:         3160
        .size:           4
        .value_kind:     hidden_block_count_z
      - .offset:         3164
        .size:           2
        .value_kind:     hidden_group_size_x
      - .offset:         3166
        .size:           2
        .value_kind:     hidden_group_size_y
      - .offset:         3168
        .size:           2
        .value_kind:     hidden_group_size_z
      - .offset:         3170
        .size:           2
        .value_kind:     hidden_remainder_x
      - .offset:         3172
        .size:           2
        .value_kind:     hidden_remainder_y
      - .offset:         3174
        .size:           2
        .value_kind:     hidden_remainder_z
      - .offset:         3192
        .size:           8
        .value_kind:     hidden_global_offset_x
      - .offset:         3200
        .size:           8
        .value_kind:     hidden_global_offset_y
      - .offset:         3208
        .size:           8
        .value_kind:     hidden_global_offset_z
      - .offset:         3216
        .size:           2
        .value_kind:     hidden_grid_dims
    .group_segment_fixed_size: 0
    .kernarg_segment_align: 8
    .kernarg_segment_size: 3408
    .language:       OpenCL C
    .language_version:
      - 2
      - 0
    .max_flat_workgroup_size: 512
    .name:           _ZN2at6native12_GLOBAL__N_125multi_tensor_apply_kernelINS1_18TensorListMetadataILi2EEENS1_14UnaryOpFunctorIN3c107complexIdEELi2ELi1ELi1EEEJNS0_4SinhIS8_EEEEEvT_T0_DpT1_
    .private_segment_fixed_size: 0
    .sgpr_count:     48
    .sgpr_spill_count: 0
    .symbol:         _ZN2at6native12_GLOBAL__N_125multi_tensor_apply_kernelINS1_18TensorListMetadataILi2EEENS1_14UnaryOpFunctorIN3c107complexIdEELi2ELi1ELi1EEEJNS0_4SinhIS8_EEEEEvT_T0_DpT1_.kd
    .uniform_work_group_size: 1
    .uses_dynamic_stack: false
    .vgpr_count:     90
    .vgpr_spill_count: 0
    .wavefront_size: 32
    .workgroup_processor_mode: 1
  - .args:
      - .offset:         0
        .size:           3144
        .value_kind:     by_value
      - .offset:         3144
        .size:           1
        .value_kind:     by_value
      - .offset:         3145
        .size:           1
        .value_kind:     by_value
      - .offset:         3152
        .size:           4
        .value_kind:     hidden_block_count_x
      - .offset:         3156
        .size:           4
        .value_kind:     hidden_block_count_y
      - .offset:         3160
        .size:           4
        .value_kind:     hidden_block_count_z
      - .offset:         3164
        .size:           2
        .value_kind:     hidden_group_size_x
      - .offset:         3166
        .size:           2
        .value_kind:     hidden_group_size_y
      - .offset:         3168
        .size:           2
        .value_kind:     hidden_group_size_z
      - .offset:         3170
        .size:           2
        .value_kind:     hidden_remainder_x
      - .offset:         3172
        .size:           2
        .value_kind:     hidden_remainder_y
      - .offset:         3174
        .size:           2
        .value_kind:     hidden_remainder_z
      - .offset:         3192
        .size:           8
        .value_kind:     hidden_global_offset_x
      - .offset:         3200
        .size:           8
        .value_kind:     hidden_global_offset_y
      - .offset:         3208
        .size:           8
        .value_kind:     hidden_global_offset_z
      - .offset:         3216
        .size:           2
        .value_kind:     hidden_grid_dims
    .group_segment_fixed_size: 0
    .kernarg_segment_align: 8
    .kernarg_segment_size: 3408
    .language:       OpenCL C
    .language_version:
      - 2
      - 0
    .max_flat_workgroup_size: 512
    .name:           _ZN2at6native12_GLOBAL__N_125multi_tensor_apply_kernelINS1_18TensorListMetadataILi2EEENS1_14UnaryOpFunctorIN3c107complexIfEELi2ELi1ELi1EEEJNS0_4SinhIS8_EEEEEvT_T0_DpT1_
    .private_segment_fixed_size: 0
    .sgpr_count:     38
    .sgpr_spill_count: 0
    .symbol:         _ZN2at6native12_GLOBAL__N_125multi_tensor_apply_kernelINS1_18TensorListMetadataILi2EEENS1_14UnaryOpFunctorIN3c107complexIfEELi2ELi1ELi1EEEJNS0_4SinhIS8_EEEEEvT_T0_DpT1_.kd
    .uniform_work_group_size: 1
    .uses_dynamic_stack: false
    .vgpr_count:     45
    .vgpr_spill_count: 0
    .wavefront_size: 32
    .workgroup_processor_mode: 1
  - .args:
      - .offset:         0
        .size:           3144
        .value_kind:     by_value
      - .offset:         3144
        .size:           1
        .value_kind:     by_value
      - .offset:         3145
        .size:           1
        .value_kind:     by_value
      - .offset:         3152
        .size:           4
        .value_kind:     hidden_block_count_x
      - .offset:         3156
        .size:           4
        .value_kind:     hidden_block_count_y
      - .offset:         3160
        .size:           4
        .value_kind:     hidden_block_count_z
      - .offset:         3164
        .size:           2
        .value_kind:     hidden_group_size_x
      - .offset:         3166
        .size:           2
        .value_kind:     hidden_group_size_y
      - .offset:         3168
        .size:           2
        .value_kind:     hidden_group_size_z
      - .offset:         3170
        .size:           2
        .value_kind:     hidden_remainder_x
      - .offset:         3172
        .size:           2
        .value_kind:     hidden_remainder_y
      - .offset:         3174
        .size:           2
        .value_kind:     hidden_remainder_z
      - .offset:         3192
        .size:           8
        .value_kind:     hidden_global_offset_x
      - .offset:         3200
        .size:           8
        .value_kind:     hidden_global_offset_y
      - .offset:         3208
        .size:           8
        .value_kind:     hidden_global_offset_z
      - .offset:         3216
        .size:           2
        .value_kind:     hidden_grid_dims
    .group_segment_fixed_size: 0
    .kernarg_segment_align: 8
    .kernarg_segment_size: 3408
    .language:       OpenCL C
    .language_version:
      - 2
      - 0
    .max_flat_workgroup_size: 512
    .name:           _ZN2at6native12_GLOBAL__N_125multi_tensor_apply_kernelINS1_18TensorListMetadataILi2EEENS1_14UnaryOpFunctorIN3c104HalfELi2ELi1ELi1EEEJNS0_4SinhIfEEEEEvT_T0_DpT1_
    .private_segment_fixed_size: 0
    .sgpr_count:     26
    .sgpr_spill_count: 0
    .symbol:         _ZN2at6native12_GLOBAL__N_125multi_tensor_apply_kernelINS1_18TensorListMetadataILi2EEENS1_14UnaryOpFunctorIN3c104HalfELi2ELi1ELi1EEEJNS0_4SinhIfEEEEEvT_T0_DpT1_.kd
    .uniform_work_group_size: 1
    .uses_dynamic_stack: false
    .vgpr_count:     56
    .vgpr_spill_count: 0
    .wavefront_size: 32
    .workgroup_processor_mode: 1
  - .args:
      - .offset:         0
        .size:           3144
        .value_kind:     by_value
      - .offset:         3144
        .size:           1
        .value_kind:     by_value
      - .offset:         3145
        .size:           1
        .value_kind:     by_value
      - .offset:         3152
        .size:           4
        .value_kind:     hidden_block_count_x
      - .offset:         3156
        .size:           4
        .value_kind:     hidden_block_count_y
      - .offset:         3160
        .size:           4
        .value_kind:     hidden_block_count_z
      - .offset:         3164
        .size:           2
        .value_kind:     hidden_group_size_x
      - .offset:         3166
        .size:           2
        .value_kind:     hidden_group_size_y
      - .offset:         3168
        .size:           2
        .value_kind:     hidden_group_size_z
      - .offset:         3170
        .size:           2
        .value_kind:     hidden_remainder_x
      - .offset:         3172
        .size:           2
        .value_kind:     hidden_remainder_y
      - .offset:         3174
        .size:           2
        .value_kind:     hidden_remainder_z
      - .offset:         3192
        .size:           8
        .value_kind:     hidden_global_offset_x
      - .offset:         3200
        .size:           8
        .value_kind:     hidden_global_offset_y
      - .offset:         3208
        .size:           8
        .value_kind:     hidden_global_offset_z
      - .offset:         3216
        .size:           2
        .value_kind:     hidden_grid_dims
    .group_segment_fixed_size: 0
    .kernarg_segment_align: 8
    .kernarg_segment_size: 3408
    .language:       OpenCL C
    .language_version:
      - 2
      - 0
    .max_flat_workgroup_size: 512
    .name:           _ZN2at6native12_GLOBAL__N_125multi_tensor_apply_kernelINS1_18TensorListMetadataILi2EEENS1_14UnaryOpFunctorIN3c108BFloat16ELi2ELi1ELi1EEEJNS0_4SinhIfEEEEEvT_T0_DpT1_
    .private_segment_fixed_size: 0
    .sgpr_count:     23
    .sgpr_spill_count: 0
    .symbol:         _ZN2at6native12_GLOBAL__N_125multi_tensor_apply_kernelINS1_18TensorListMetadataILi2EEENS1_14UnaryOpFunctorIN3c108BFloat16ELi2ELi1ELi1EEEJNS0_4SinhIfEEEEEvT_T0_DpT1_.kd
    .uniform_work_group_size: 1
    .uses_dynamic_stack: false
    .vgpr_count:     54
    .vgpr_spill_count: 0
    .wavefront_size: 32
    .workgroup_processor_mode: 1
  - .args:
      - .offset:         0
        .size:           3368
        .value_kind:     by_value
      - .offset:         3368
        .size:           1
        .value_kind:     by_value
      - .offset:         3369
        .size:           1
        .value_kind:     by_value
      - .offset:         3376
        .size:           4
        .value_kind:     hidden_block_count_x
      - .offset:         3380
        .size:           4
        .value_kind:     hidden_block_count_y
      - .offset:         3384
        .size:           4
        .value_kind:     hidden_block_count_z
      - .offset:         3388
        .size:           2
        .value_kind:     hidden_group_size_x
      - .offset:         3390
        .size:           2
        .value_kind:     hidden_group_size_y
      - .offset:         3392
        .size:           2
        .value_kind:     hidden_group_size_z
      - .offset:         3394
        .size:           2
        .value_kind:     hidden_remainder_x
      - .offset:         3396
        .size:           2
        .value_kind:     hidden_remainder_y
      - .offset:         3398
        .size:           2
        .value_kind:     hidden_remainder_z
      - .offset:         3416
        .size:           8
        .value_kind:     hidden_global_offset_x
      - .offset:         3424
        .size:           8
        .value_kind:     hidden_global_offset_y
      - .offset:         3432
        .size:           8
        .value_kind:     hidden_global_offset_z
      - .offset:         3440
        .size:           2
        .value_kind:     hidden_grid_dims
    .group_segment_fixed_size: 0
    .kernarg_segment_align: 8
    .kernarg_segment_size: 3632
    .language:       OpenCL C
    .language_version:
      - 2
      - 0
    .max_flat_workgroup_size: 512
    .name:           _ZN2at6native12_GLOBAL__N_125multi_tensor_apply_kernelINS1_18TensorListMetadataILi1EEENS1_14UnaryOpFunctorIdLi1ELi1ELi0EEEJNS0_4SinhIdEEEEEvT_T0_DpT1_
    .private_segment_fixed_size: 0
    .sgpr_count:     59
    .sgpr_spill_count: 0
    .symbol:         _ZN2at6native12_GLOBAL__N_125multi_tensor_apply_kernelINS1_18TensorListMetadataILi1EEENS1_14UnaryOpFunctorIdLi1ELi1ELi0EEEJNS0_4SinhIdEEEEEvT_T0_DpT1_.kd
    .uniform_work_group_size: 1
    .uses_dynamic_stack: false
    .vgpr_count:     92
    .vgpr_spill_count: 0
    .wavefront_size: 32
    .workgroup_processor_mode: 1
  - .args:
      - .offset:         0
        .size:           3368
        .value_kind:     by_value
      - .offset:         3368
        .size:           1
        .value_kind:     by_value
      - .offset:         3369
        .size:           1
        .value_kind:     by_value
      - .offset:         3376
        .size:           4
        .value_kind:     hidden_block_count_x
      - .offset:         3380
        .size:           4
        .value_kind:     hidden_block_count_y
      - .offset:         3384
        .size:           4
        .value_kind:     hidden_block_count_z
      - .offset:         3388
        .size:           2
        .value_kind:     hidden_group_size_x
      - .offset:         3390
        .size:           2
        .value_kind:     hidden_group_size_y
      - .offset:         3392
        .size:           2
        .value_kind:     hidden_group_size_z
      - .offset:         3394
        .size:           2
        .value_kind:     hidden_remainder_x
      - .offset:         3396
        .size:           2
        .value_kind:     hidden_remainder_y
      - .offset:         3398
        .size:           2
        .value_kind:     hidden_remainder_z
      - .offset:         3416
        .size:           8
        .value_kind:     hidden_global_offset_x
      - .offset:         3424
        .size:           8
        .value_kind:     hidden_global_offset_y
      - .offset:         3432
        .size:           8
        .value_kind:     hidden_global_offset_z
      - .offset:         3440
        .size:           2
        .value_kind:     hidden_grid_dims
    .group_segment_fixed_size: 0
    .kernarg_segment_align: 8
    .kernarg_segment_size: 3632
    .language:       OpenCL C
    .language_version:
      - 2
      - 0
    .max_flat_workgroup_size: 512
    .name:           _ZN2at6native12_GLOBAL__N_125multi_tensor_apply_kernelINS1_18TensorListMetadataILi1EEENS1_14UnaryOpFunctorIfLi1ELi1ELi0EEEJNS0_4SinhIfEEEEEvT_T0_DpT1_
    .private_segment_fixed_size: 0
    .sgpr_count:     24
    .sgpr_spill_count: 0
    .symbol:         _ZN2at6native12_GLOBAL__N_125multi_tensor_apply_kernelINS1_18TensorListMetadataILi1EEENS1_14UnaryOpFunctorIfLi1ELi1ELi0EEEJNS0_4SinhIfEEEEEvT_T0_DpT1_.kd
    .uniform_work_group_size: 1
    .uses_dynamic_stack: false
    .vgpr_count:     55
    .vgpr_spill_count: 0
    .wavefront_size: 32
    .workgroup_processor_mode: 1
  - .args:
      - .offset:         0
        .size:           3368
        .value_kind:     by_value
      - .offset:         3368
        .size:           1
        .value_kind:     by_value
      - .offset:         3369
        .size:           1
        .value_kind:     by_value
      - .offset:         3376
        .size:           4
        .value_kind:     hidden_block_count_x
      - .offset:         3380
        .size:           4
        .value_kind:     hidden_block_count_y
      - .offset:         3384
        .size:           4
        .value_kind:     hidden_block_count_z
      - .offset:         3388
        .size:           2
        .value_kind:     hidden_group_size_x
      - .offset:         3390
        .size:           2
        .value_kind:     hidden_group_size_y
      - .offset:         3392
        .size:           2
        .value_kind:     hidden_group_size_z
      - .offset:         3394
        .size:           2
        .value_kind:     hidden_remainder_x
      - .offset:         3396
        .size:           2
        .value_kind:     hidden_remainder_y
      - .offset:         3398
        .size:           2
        .value_kind:     hidden_remainder_z
      - .offset:         3416
        .size:           8
        .value_kind:     hidden_global_offset_x
      - .offset:         3424
        .size:           8
        .value_kind:     hidden_global_offset_y
      - .offset:         3432
        .size:           8
        .value_kind:     hidden_global_offset_z
      - .offset:         3440
        .size:           2
        .value_kind:     hidden_grid_dims
    .group_segment_fixed_size: 0
    .kernarg_segment_align: 8
    .kernarg_segment_size: 3632
    .language:       OpenCL C
    .language_version:
      - 2
      - 0
    .max_flat_workgroup_size: 512
    .name:           _ZN2at6native12_GLOBAL__N_125multi_tensor_apply_kernelINS1_18TensorListMetadataILi1EEENS1_14UnaryOpFunctorIN3c107complexIdEELi1ELi1ELi0EEEJNS0_4SinhIS8_EEEEEvT_T0_DpT1_
    .private_segment_fixed_size: 0
    .sgpr_count:     47
    .sgpr_spill_count: 0
    .symbol:         _ZN2at6native12_GLOBAL__N_125multi_tensor_apply_kernelINS1_18TensorListMetadataILi1EEENS1_14UnaryOpFunctorIN3c107complexIdEELi1ELi1ELi0EEEJNS0_4SinhIS8_EEEEEvT_T0_DpT1_.kd
    .uniform_work_group_size: 1
    .uses_dynamic_stack: false
    .vgpr_count:     85
    .vgpr_spill_count: 0
    .wavefront_size: 32
    .workgroup_processor_mode: 1
  - .args:
      - .offset:         0
        .size:           3368
        .value_kind:     by_value
      - .offset:         3368
        .size:           1
        .value_kind:     by_value
      - .offset:         3369
        .size:           1
        .value_kind:     by_value
      - .offset:         3376
        .size:           4
        .value_kind:     hidden_block_count_x
      - .offset:         3380
        .size:           4
        .value_kind:     hidden_block_count_y
      - .offset:         3384
        .size:           4
        .value_kind:     hidden_block_count_z
      - .offset:         3388
        .size:           2
        .value_kind:     hidden_group_size_x
      - .offset:         3390
        .size:           2
        .value_kind:     hidden_group_size_y
      - .offset:         3392
        .size:           2
        .value_kind:     hidden_group_size_z
      - .offset:         3394
        .size:           2
        .value_kind:     hidden_remainder_x
      - .offset:         3396
        .size:           2
        .value_kind:     hidden_remainder_y
      - .offset:         3398
        .size:           2
        .value_kind:     hidden_remainder_z
      - .offset:         3416
        .size:           8
        .value_kind:     hidden_global_offset_x
      - .offset:         3424
        .size:           8
        .value_kind:     hidden_global_offset_y
      - .offset:         3432
        .size:           8
        .value_kind:     hidden_global_offset_z
      - .offset:         3440
        .size:           2
        .value_kind:     hidden_grid_dims
    .group_segment_fixed_size: 0
    .kernarg_segment_align: 8
    .kernarg_segment_size: 3632
    .language:       OpenCL C
    .language_version:
      - 2
      - 0
    .max_flat_workgroup_size: 512
    .name:           _ZN2at6native12_GLOBAL__N_125multi_tensor_apply_kernelINS1_18TensorListMetadataILi1EEENS1_14UnaryOpFunctorIN3c107complexIfEELi1ELi1ELi0EEEJNS0_4SinhIS8_EEEEEvT_T0_DpT1_
    .private_segment_fixed_size: 0
    .sgpr_count:     36
    .sgpr_spill_count: 0
    .symbol:         _ZN2at6native12_GLOBAL__N_125multi_tensor_apply_kernelINS1_18TensorListMetadataILi1EEENS1_14UnaryOpFunctorIN3c107complexIfEELi1ELi1ELi0EEEJNS0_4SinhIS8_EEEEEvT_T0_DpT1_.kd
    .uniform_work_group_size: 1
    .uses_dynamic_stack: false
    .vgpr_count:     40
    .vgpr_spill_count: 0
    .wavefront_size: 32
    .workgroup_processor_mode: 1
  - .args:
      - .offset:         0
        .size:           3368
        .value_kind:     by_value
      - .offset:         3368
        .size:           1
        .value_kind:     by_value
      - .offset:         3369
        .size:           1
        .value_kind:     by_value
      - .offset:         3376
        .size:           4
        .value_kind:     hidden_block_count_x
      - .offset:         3380
        .size:           4
        .value_kind:     hidden_block_count_y
      - .offset:         3384
        .size:           4
        .value_kind:     hidden_block_count_z
      - .offset:         3388
        .size:           2
        .value_kind:     hidden_group_size_x
      - .offset:         3390
        .size:           2
        .value_kind:     hidden_group_size_y
      - .offset:         3392
        .size:           2
        .value_kind:     hidden_group_size_z
      - .offset:         3394
        .size:           2
        .value_kind:     hidden_remainder_x
      - .offset:         3396
        .size:           2
        .value_kind:     hidden_remainder_y
      - .offset:         3398
        .size:           2
        .value_kind:     hidden_remainder_z
      - .offset:         3416
        .size:           8
        .value_kind:     hidden_global_offset_x
      - .offset:         3424
        .size:           8
        .value_kind:     hidden_global_offset_y
      - .offset:         3432
        .size:           8
        .value_kind:     hidden_global_offset_z
      - .offset:         3440
        .size:           2
        .value_kind:     hidden_grid_dims
    .group_segment_fixed_size: 0
    .kernarg_segment_align: 8
    .kernarg_segment_size: 3632
    .language:       OpenCL C
    .language_version:
      - 2
      - 0
    .max_flat_workgroup_size: 512
    .name:           _ZN2at6native12_GLOBAL__N_125multi_tensor_apply_kernelINS1_18TensorListMetadataILi1EEENS1_14UnaryOpFunctorIN3c104HalfELi1ELi1ELi0EEEJNS0_4SinhIfEEEEEvT_T0_DpT1_
    .private_segment_fixed_size: 0
    .sgpr_count:     23
    .sgpr_spill_count: 0
    .symbol:         _ZN2at6native12_GLOBAL__N_125multi_tensor_apply_kernelINS1_18TensorListMetadataILi1EEENS1_14UnaryOpFunctorIN3c104HalfELi1ELi1ELi0EEEJNS0_4SinhIfEEEEEvT_T0_DpT1_.kd
    .uniform_work_group_size: 1
    .uses_dynamic_stack: false
    .vgpr_count:     55
    .vgpr_spill_count: 0
    .wavefront_size: 32
    .workgroup_processor_mode: 1
  - .args:
      - .offset:         0
        .size:           3368
        .value_kind:     by_value
      - .offset:         3368
        .size:           1
        .value_kind:     by_value
      - .offset:         3369
        .size:           1
        .value_kind:     by_value
      - .offset:         3376
        .size:           4
        .value_kind:     hidden_block_count_x
      - .offset:         3380
        .size:           4
        .value_kind:     hidden_block_count_y
      - .offset:         3384
        .size:           4
        .value_kind:     hidden_block_count_z
      - .offset:         3388
        .size:           2
        .value_kind:     hidden_group_size_x
      - .offset:         3390
        .size:           2
        .value_kind:     hidden_group_size_y
      - .offset:         3392
        .size:           2
        .value_kind:     hidden_group_size_z
      - .offset:         3394
        .size:           2
        .value_kind:     hidden_remainder_x
      - .offset:         3396
        .size:           2
        .value_kind:     hidden_remainder_y
      - .offset:         3398
        .size:           2
        .value_kind:     hidden_remainder_z
      - .offset:         3416
        .size:           8
        .value_kind:     hidden_global_offset_x
      - .offset:         3424
        .size:           8
        .value_kind:     hidden_global_offset_y
      - .offset:         3432
        .size:           8
        .value_kind:     hidden_global_offset_z
      - .offset:         3440
        .size:           2
        .value_kind:     hidden_grid_dims
    .group_segment_fixed_size: 0
    .kernarg_segment_align: 8
    .kernarg_segment_size: 3632
    .language:       OpenCL C
    .language_version:
      - 2
      - 0
    .max_flat_workgroup_size: 512
    .name:           _ZN2at6native12_GLOBAL__N_125multi_tensor_apply_kernelINS1_18TensorListMetadataILi1EEENS1_14UnaryOpFunctorIN3c108BFloat16ELi1ELi1ELi0EEEJNS0_4SinhIfEEEEEvT_T0_DpT1_
    .private_segment_fixed_size: 0
    .sgpr_count:     23
    .sgpr_spill_count: 0
    .symbol:         _ZN2at6native12_GLOBAL__N_125multi_tensor_apply_kernelINS1_18TensorListMetadataILi1EEENS1_14UnaryOpFunctorIN3c108BFloat16ELi1ELi1ELi0EEEJNS0_4SinhIfEEEEEvT_T0_DpT1_.kd
    .uniform_work_group_size: 1
    .uses_dynamic_stack: false
    .vgpr_count:     52
    .vgpr_spill_count: 0
    .wavefront_size: 32
    .workgroup_processor_mode: 1
  - .args:
      - .offset:         0
        .size:           3144
        .value_kind:     by_value
      - .offset:         3144
        .size:           1
        .value_kind:     by_value
      - .offset:         3145
        .size:           1
        .value_kind:     by_value
      - .offset:         3152
        .size:           4
        .value_kind:     hidden_block_count_x
      - .offset:         3156
        .size:           4
        .value_kind:     hidden_block_count_y
      - .offset:         3160
        .size:           4
        .value_kind:     hidden_block_count_z
      - .offset:         3164
        .size:           2
        .value_kind:     hidden_group_size_x
      - .offset:         3166
        .size:           2
        .value_kind:     hidden_group_size_y
      - .offset:         3168
        .size:           2
        .value_kind:     hidden_group_size_z
      - .offset:         3170
        .size:           2
        .value_kind:     hidden_remainder_x
      - .offset:         3172
        .size:           2
        .value_kind:     hidden_remainder_y
      - .offset:         3174
        .size:           2
        .value_kind:     hidden_remainder_z
      - .offset:         3192
        .size:           8
        .value_kind:     hidden_global_offset_x
      - .offset:         3200
        .size:           8
        .value_kind:     hidden_global_offset_y
      - .offset:         3208
        .size:           8
        .value_kind:     hidden_global_offset_z
      - .offset:         3216
        .size:           2
        .value_kind:     hidden_grid_dims
    .group_segment_fixed_size: 0
    .kernarg_segment_align: 8
    .kernarg_segment_size: 3408
    .language:       OpenCL C
    .language_version:
      - 2
      - 0
    .max_flat_workgroup_size: 512
    .name:           _ZN2at6native12_GLOBAL__N_125multi_tensor_apply_kernelINS1_18TensorListMetadataILi2EEENS1_14UnaryOpFunctorIdLi2ELi1ELi1EEEJNS0_3ExpIdEEEEEvT_T0_DpT1_
    .private_segment_fixed_size: 0
    .sgpr_count:     57
    .sgpr_spill_count: 0
    .symbol:         _ZN2at6native12_GLOBAL__N_125multi_tensor_apply_kernelINS1_18TensorListMetadataILi2EEENS1_14UnaryOpFunctorIdLi2ELi1ELi1EEEJNS0_3ExpIdEEEEEvT_T0_DpT1_.kd
    .uniform_work_group_size: 1
    .uses_dynamic_stack: false
    .vgpr_count:     40
    .vgpr_spill_count: 0
    .wavefront_size: 32
    .workgroup_processor_mode: 1
  - .args:
      - .offset:         0
        .size:           3144
        .value_kind:     by_value
      - .offset:         3144
        .size:           1
        .value_kind:     by_value
      - .offset:         3145
        .size:           1
        .value_kind:     by_value
      - .offset:         3152
        .size:           4
        .value_kind:     hidden_block_count_x
      - .offset:         3156
        .size:           4
        .value_kind:     hidden_block_count_y
      - .offset:         3160
        .size:           4
        .value_kind:     hidden_block_count_z
      - .offset:         3164
        .size:           2
        .value_kind:     hidden_group_size_x
      - .offset:         3166
        .size:           2
        .value_kind:     hidden_group_size_y
      - .offset:         3168
        .size:           2
        .value_kind:     hidden_group_size_z
      - .offset:         3170
        .size:           2
        .value_kind:     hidden_remainder_x
      - .offset:         3172
        .size:           2
        .value_kind:     hidden_remainder_y
      - .offset:         3174
        .size:           2
        .value_kind:     hidden_remainder_z
      - .offset:         3192
        .size:           8
        .value_kind:     hidden_global_offset_x
      - .offset:         3200
        .size:           8
        .value_kind:     hidden_global_offset_y
      - .offset:         3208
        .size:           8
        .value_kind:     hidden_global_offset_z
      - .offset:         3216
        .size:           2
        .value_kind:     hidden_grid_dims
    .group_segment_fixed_size: 0
    .kernarg_segment_align: 8
    .kernarg_segment_size: 3408
    .language:       OpenCL C
    .language_version:
      - 2
      - 0
    .max_flat_workgroup_size: 512
    .name:           _ZN2at6native12_GLOBAL__N_125multi_tensor_apply_kernelINS1_18TensorListMetadataILi2EEENS1_14UnaryOpFunctorIfLi2ELi1ELi1EEEJNS0_3ExpIfEEEEEvT_T0_DpT1_
    .private_segment_fixed_size: 0
    .sgpr_count:     26
    .sgpr_spill_count: 0
    .symbol:         _ZN2at6native12_GLOBAL__N_125multi_tensor_apply_kernelINS1_18TensorListMetadataILi2EEENS1_14UnaryOpFunctorIfLi2ELi1ELi1EEEJNS0_3ExpIfEEEEEvT_T0_DpT1_.kd
    .uniform_work_group_size: 1
    .uses_dynamic_stack: false
    .vgpr_count:     30
    .vgpr_spill_count: 0
    .wavefront_size: 32
    .workgroup_processor_mode: 1
  - .args:
      - .offset:         0
        .size:           3144
        .value_kind:     by_value
      - .offset:         3144
        .size:           1
        .value_kind:     by_value
      - .offset:         3145
        .size:           1
        .value_kind:     by_value
      - .offset:         3152
        .size:           4
        .value_kind:     hidden_block_count_x
      - .offset:         3156
        .size:           4
        .value_kind:     hidden_block_count_y
      - .offset:         3160
        .size:           4
        .value_kind:     hidden_block_count_z
      - .offset:         3164
        .size:           2
        .value_kind:     hidden_group_size_x
      - .offset:         3166
        .size:           2
        .value_kind:     hidden_group_size_y
      - .offset:         3168
        .size:           2
        .value_kind:     hidden_group_size_z
      - .offset:         3170
        .size:           2
        .value_kind:     hidden_remainder_x
      - .offset:         3172
        .size:           2
        .value_kind:     hidden_remainder_y
      - .offset:         3174
        .size:           2
        .value_kind:     hidden_remainder_z
      - .offset:         3192
        .size:           8
        .value_kind:     hidden_global_offset_x
      - .offset:         3200
        .size:           8
        .value_kind:     hidden_global_offset_y
      - .offset:         3208
        .size:           8
        .value_kind:     hidden_global_offset_z
      - .offset:         3216
        .size:           2
        .value_kind:     hidden_grid_dims
    .group_segment_fixed_size: 0
    .kernarg_segment_align: 8
    .kernarg_segment_size: 3408
    .language:       OpenCL C
    .language_version:
      - 2
      - 0
    .max_flat_workgroup_size: 512
    .name:           _ZN2at6native12_GLOBAL__N_125multi_tensor_apply_kernelINS1_18TensorListMetadataILi2EEENS1_14UnaryOpFunctorIN3c107complexIdEELi2ELi1ELi1EEEJNS0_3ExpIS8_EEEEEvT_T0_DpT1_
    .private_segment_fixed_size: 0
    .sgpr_count:     96
    .sgpr_spill_count: 0
    .symbol:         _ZN2at6native12_GLOBAL__N_125multi_tensor_apply_kernelINS1_18TensorListMetadataILi2EEENS1_14UnaryOpFunctorIN3c107complexIdEELi2ELi1ELi1EEEJNS0_3ExpIS8_EEEEEvT_T0_DpT1_.kd
    .uniform_work_group_size: 1
    .uses_dynamic_stack: false
    .vgpr_count:     84
    .vgpr_spill_count: 0
    .wavefront_size: 32
    .workgroup_processor_mode: 1
  - .args:
      - .offset:         0
        .size:           3144
        .value_kind:     by_value
      - .offset:         3144
        .size:           1
        .value_kind:     by_value
      - .offset:         3145
        .size:           1
        .value_kind:     by_value
      - .offset:         3152
        .size:           4
        .value_kind:     hidden_block_count_x
      - .offset:         3156
        .size:           4
        .value_kind:     hidden_block_count_y
      - .offset:         3160
        .size:           4
        .value_kind:     hidden_block_count_z
      - .offset:         3164
        .size:           2
        .value_kind:     hidden_group_size_x
      - .offset:         3166
        .size:           2
        .value_kind:     hidden_group_size_y
      - .offset:         3168
        .size:           2
        .value_kind:     hidden_group_size_z
      - .offset:         3170
        .size:           2
        .value_kind:     hidden_remainder_x
      - .offset:         3172
        .size:           2
        .value_kind:     hidden_remainder_y
      - .offset:         3174
        .size:           2
        .value_kind:     hidden_remainder_z
      - .offset:         3192
        .size:           8
        .value_kind:     hidden_global_offset_x
      - .offset:         3200
        .size:           8
        .value_kind:     hidden_global_offset_y
      - .offset:         3208
        .size:           8
        .value_kind:     hidden_global_offset_z
      - .offset:         3216
        .size:           2
        .value_kind:     hidden_grid_dims
    .group_segment_fixed_size: 0
    .kernarg_segment_align: 8
    .kernarg_segment_size: 3408
    .language:       OpenCL C
    .language_version:
      - 2
      - 0
    .max_flat_workgroup_size: 512
    .name:           _ZN2at6native12_GLOBAL__N_125multi_tensor_apply_kernelINS1_18TensorListMetadataILi2EEENS1_14UnaryOpFunctorIN3c107complexIfEELi2ELi1ELi1EEEJNS0_3ExpIS8_EEEEEvT_T0_DpT1_
    .private_segment_fixed_size: 0
    .sgpr_count:     33
    .sgpr_spill_count: 0
    .symbol:         _ZN2at6native12_GLOBAL__N_125multi_tensor_apply_kernelINS1_18TensorListMetadataILi2EEENS1_14UnaryOpFunctorIN3c107complexIfEELi2ELi1ELi1EEEJNS0_3ExpIS8_EEEEEvT_T0_DpT1_.kd
    .uniform_work_group_size: 1
    .uses_dynamic_stack: false
    .vgpr_count:     43
    .vgpr_spill_count: 0
    .wavefront_size: 32
    .workgroup_processor_mode: 1
  - .args:
      - .offset:         0
        .size:           3144
        .value_kind:     by_value
      - .offset:         3144
        .size:           1
        .value_kind:     by_value
      - .offset:         3145
        .size:           1
        .value_kind:     by_value
      - .offset:         3152
        .size:           4
        .value_kind:     hidden_block_count_x
      - .offset:         3156
        .size:           4
        .value_kind:     hidden_block_count_y
      - .offset:         3160
        .size:           4
        .value_kind:     hidden_block_count_z
      - .offset:         3164
        .size:           2
        .value_kind:     hidden_group_size_x
      - .offset:         3166
        .size:           2
        .value_kind:     hidden_group_size_y
      - .offset:         3168
        .size:           2
        .value_kind:     hidden_group_size_z
      - .offset:         3170
        .size:           2
        .value_kind:     hidden_remainder_x
      - .offset:         3172
        .size:           2
        .value_kind:     hidden_remainder_y
      - .offset:         3174
        .size:           2
        .value_kind:     hidden_remainder_z
      - .offset:         3192
        .size:           8
        .value_kind:     hidden_global_offset_x
      - .offset:         3200
        .size:           8
        .value_kind:     hidden_global_offset_y
      - .offset:         3208
        .size:           8
        .value_kind:     hidden_global_offset_z
      - .offset:         3216
        .size:           2
        .value_kind:     hidden_grid_dims
    .group_segment_fixed_size: 0
    .kernarg_segment_align: 8
    .kernarg_segment_size: 3408
    .language:       OpenCL C
    .language_version:
      - 2
      - 0
    .max_flat_workgroup_size: 512
    .name:           _ZN2at6native12_GLOBAL__N_125multi_tensor_apply_kernelINS1_18TensorListMetadataILi2EEENS1_14UnaryOpFunctorIN3c104HalfELi2ELi1ELi1EEEJNS0_3ExpIfEEEEEvT_T0_DpT1_
    .private_segment_fixed_size: 0
    .sgpr_count:     26
    .sgpr_spill_count: 0
    .symbol:         _ZN2at6native12_GLOBAL__N_125multi_tensor_apply_kernelINS1_18TensorListMetadataILi2EEENS1_14UnaryOpFunctorIN3c104HalfELi2ELi1ELi1EEEJNS0_3ExpIfEEEEEvT_T0_DpT1_.kd
    .uniform_work_group_size: 1
    .uses_dynamic_stack: false
    .vgpr_count:     31
    .vgpr_spill_count: 0
    .wavefront_size: 32
    .workgroup_processor_mode: 1
  - .args:
      - .offset:         0
        .size:           3144
        .value_kind:     by_value
      - .offset:         3144
        .size:           1
        .value_kind:     by_value
      - .offset:         3145
        .size:           1
        .value_kind:     by_value
      - .offset:         3152
        .size:           4
        .value_kind:     hidden_block_count_x
      - .offset:         3156
        .size:           4
        .value_kind:     hidden_block_count_y
      - .offset:         3160
        .size:           4
        .value_kind:     hidden_block_count_z
      - .offset:         3164
        .size:           2
        .value_kind:     hidden_group_size_x
      - .offset:         3166
        .size:           2
        .value_kind:     hidden_group_size_y
      - .offset:         3168
        .size:           2
        .value_kind:     hidden_group_size_z
      - .offset:         3170
        .size:           2
        .value_kind:     hidden_remainder_x
      - .offset:         3172
        .size:           2
        .value_kind:     hidden_remainder_y
      - .offset:         3174
        .size:           2
        .value_kind:     hidden_remainder_z
      - .offset:         3192
        .size:           8
        .value_kind:     hidden_global_offset_x
      - .offset:         3200
        .size:           8
        .value_kind:     hidden_global_offset_y
      - .offset:         3208
        .size:           8
        .value_kind:     hidden_global_offset_z
      - .offset:         3216
        .size:           2
        .value_kind:     hidden_grid_dims
    .group_segment_fixed_size: 0
    .kernarg_segment_align: 8
    .kernarg_segment_size: 3408
    .language:       OpenCL C
    .language_version:
      - 2
      - 0
    .max_flat_workgroup_size: 512
    .name:           _ZN2at6native12_GLOBAL__N_125multi_tensor_apply_kernelINS1_18TensorListMetadataILi2EEENS1_14UnaryOpFunctorIN3c108BFloat16ELi2ELi1ELi1EEEJNS0_3ExpIfEEEEEvT_T0_DpT1_
    .private_segment_fixed_size: 0
    .sgpr_count:     22
    .sgpr_spill_count: 0
    .symbol:         _ZN2at6native12_GLOBAL__N_125multi_tensor_apply_kernelINS1_18TensorListMetadataILi2EEENS1_14UnaryOpFunctorIN3c108BFloat16ELi2ELi1ELi1EEEJNS0_3ExpIfEEEEEvT_T0_DpT1_.kd
    .uniform_work_group_size: 1
    .uses_dynamic_stack: false
    .vgpr_count:     30
    .vgpr_spill_count: 0
    .wavefront_size: 32
    .workgroup_processor_mode: 1
  - .args:
      - .offset:         0
        .size:           3368
        .value_kind:     by_value
      - .offset:         3368
        .size:           1
        .value_kind:     by_value
      - .offset:         3369
        .size:           1
        .value_kind:     by_value
      - .offset:         3376
        .size:           4
        .value_kind:     hidden_block_count_x
      - .offset:         3380
        .size:           4
        .value_kind:     hidden_block_count_y
      - .offset:         3384
        .size:           4
        .value_kind:     hidden_block_count_z
      - .offset:         3388
        .size:           2
        .value_kind:     hidden_group_size_x
      - .offset:         3390
        .size:           2
        .value_kind:     hidden_group_size_y
      - .offset:         3392
        .size:           2
        .value_kind:     hidden_group_size_z
      - .offset:         3394
        .size:           2
        .value_kind:     hidden_remainder_x
      - .offset:         3396
        .size:           2
        .value_kind:     hidden_remainder_y
      - .offset:         3398
        .size:           2
        .value_kind:     hidden_remainder_z
      - .offset:         3416
        .size:           8
        .value_kind:     hidden_global_offset_x
      - .offset:         3424
        .size:           8
        .value_kind:     hidden_global_offset_y
      - .offset:         3432
        .size:           8
        .value_kind:     hidden_global_offset_z
      - .offset:         3440
        .size:           2
        .value_kind:     hidden_grid_dims
    .group_segment_fixed_size: 0
    .kernarg_segment_align: 8
    .kernarg_segment_size: 3632
    .language:       OpenCL C
    .language_version:
      - 2
      - 0
    .max_flat_workgroup_size: 512
    .name:           _ZN2at6native12_GLOBAL__N_125multi_tensor_apply_kernelINS1_18TensorListMetadataILi1EEENS1_14UnaryOpFunctorIdLi1ELi1ELi0EEEJNS0_3ExpIdEEEEEvT_T0_DpT1_
    .private_segment_fixed_size: 0
    .sgpr_count:     50
    .sgpr_spill_count: 0
    .symbol:         _ZN2at6native12_GLOBAL__N_125multi_tensor_apply_kernelINS1_18TensorListMetadataILi1EEENS1_14UnaryOpFunctorIdLi1ELi1ELi0EEEJNS0_3ExpIdEEEEEvT_T0_DpT1_.kd
    .uniform_work_group_size: 1
    .uses_dynamic_stack: false
    .vgpr_count:     37
    .vgpr_spill_count: 0
    .wavefront_size: 32
    .workgroup_processor_mode: 1
  - .args:
      - .offset:         0
        .size:           3368
        .value_kind:     by_value
      - .offset:         3368
        .size:           1
        .value_kind:     by_value
      - .offset:         3369
        .size:           1
        .value_kind:     by_value
      - .offset:         3376
        .size:           4
        .value_kind:     hidden_block_count_x
      - .offset:         3380
        .size:           4
        .value_kind:     hidden_block_count_y
      - .offset:         3384
        .size:           4
        .value_kind:     hidden_block_count_z
      - .offset:         3388
        .size:           2
        .value_kind:     hidden_group_size_x
      - .offset:         3390
        .size:           2
        .value_kind:     hidden_group_size_y
      - .offset:         3392
        .size:           2
        .value_kind:     hidden_group_size_z
      - .offset:         3394
        .size:           2
        .value_kind:     hidden_remainder_x
      - .offset:         3396
        .size:           2
        .value_kind:     hidden_remainder_y
      - .offset:         3398
        .size:           2
        .value_kind:     hidden_remainder_z
      - .offset:         3416
        .size:           8
        .value_kind:     hidden_global_offset_x
      - .offset:         3424
        .size:           8
        .value_kind:     hidden_global_offset_y
      - .offset:         3432
        .size:           8
        .value_kind:     hidden_global_offset_z
      - .offset:         3440
        .size:           2
        .value_kind:     hidden_grid_dims
    .group_segment_fixed_size: 0
    .kernarg_segment_align: 8
    .kernarg_segment_size: 3632
    .language:       OpenCL C
    .language_version:
      - 2
      - 0
    .max_flat_workgroup_size: 512
    .name:           _ZN2at6native12_GLOBAL__N_125multi_tensor_apply_kernelINS1_18TensorListMetadataILi1EEENS1_14UnaryOpFunctorIfLi1ELi1ELi0EEEJNS0_3ExpIfEEEEEvT_T0_DpT1_
    .private_segment_fixed_size: 0
    .sgpr_count:     23
    .sgpr_spill_count: 0
    .symbol:         _ZN2at6native12_GLOBAL__N_125multi_tensor_apply_kernelINS1_18TensorListMetadataILi1EEENS1_14UnaryOpFunctorIfLi1ELi1ELi0EEEJNS0_3ExpIfEEEEEvT_T0_DpT1_.kd
    .uniform_work_group_size: 1
    .uses_dynamic_stack: false
    .vgpr_count:     20
    .vgpr_spill_count: 0
    .wavefront_size: 32
    .workgroup_processor_mode: 1
  - .args:
      - .offset:         0
        .size:           3368
        .value_kind:     by_value
      - .offset:         3368
        .size:           1
        .value_kind:     by_value
      - .offset:         3369
        .size:           1
        .value_kind:     by_value
      - .offset:         3376
        .size:           4
        .value_kind:     hidden_block_count_x
      - .offset:         3380
        .size:           4
        .value_kind:     hidden_block_count_y
      - .offset:         3384
        .size:           4
        .value_kind:     hidden_block_count_z
      - .offset:         3388
        .size:           2
        .value_kind:     hidden_group_size_x
      - .offset:         3390
        .size:           2
        .value_kind:     hidden_group_size_y
      - .offset:         3392
        .size:           2
        .value_kind:     hidden_group_size_z
      - .offset:         3394
        .size:           2
        .value_kind:     hidden_remainder_x
      - .offset:         3396
        .size:           2
        .value_kind:     hidden_remainder_y
      - .offset:         3398
        .size:           2
        .value_kind:     hidden_remainder_z
      - .offset:         3416
        .size:           8
        .value_kind:     hidden_global_offset_x
      - .offset:         3424
        .size:           8
        .value_kind:     hidden_global_offset_y
      - .offset:         3432
        .size:           8
        .value_kind:     hidden_global_offset_z
      - .offset:         3440
        .size:           2
        .value_kind:     hidden_grid_dims
    .group_segment_fixed_size: 0
    .kernarg_segment_align: 8
    .kernarg_segment_size: 3632
    .language:       OpenCL C
    .language_version:
      - 2
      - 0
    .max_flat_workgroup_size: 512
    .name:           _ZN2at6native12_GLOBAL__N_125multi_tensor_apply_kernelINS1_18TensorListMetadataILi1EEENS1_14UnaryOpFunctorIN3c107complexIdEELi1ELi1ELi0EEEJNS0_3ExpIS8_EEEEEvT_T0_DpT1_
    .private_segment_fixed_size: 0
    .sgpr_count:     98
    .sgpr_spill_count: 0
    .symbol:         _ZN2at6native12_GLOBAL__N_125multi_tensor_apply_kernelINS1_18TensorListMetadataILi1EEENS1_14UnaryOpFunctorIN3c107complexIdEELi1ELi1ELi0EEEJNS0_3ExpIS8_EEEEEvT_T0_DpT1_.kd
    .uniform_work_group_size: 1
    .uses_dynamic_stack: false
    .vgpr_count:     79
    .vgpr_spill_count: 0
    .wavefront_size: 32
    .workgroup_processor_mode: 1
  - .args:
      - .offset:         0
        .size:           3368
        .value_kind:     by_value
      - .offset:         3368
        .size:           1
        .value_kind:     by_value
      - .offset:         3369
        .size:           1
        .value_kind:     by_value
      - .offset:         3376
        .size:           4
        .value_kind:     hidden_block_count_x
      - .offset:         3380
        .size:           4
        .value_kind:     hidden_block_count_y
      - .offset:         3384
        .size:           4
        .value_kind:     hidden_block_count_z
      - .offset:         3388
        .size:           2
        .value_kind:     hidden_group_size_x
      - .offset:         3390
        .size:           2
        .value_kind:     hidden_group_size_y
      - .offset:         3392
        .size:           2
        .value_kind:     hidden_group_size_z
      - .offset:         3394
        .size:           2
        .value_kind:     hidden_remainder_x
      - .offset:         3396
        .size:           2
        .value_kind:     hidden_remainder_y
      - .offset:         3398
        .size:           2
        .value_kind:     hidden_remainder_z
      - .offset:         3416
        .size:           8
        .value_kind:     hidden_global_offset_x
      - .offset:         3424
        .size:           8
        .value_kind:     hidden_global_offset_y
      - .offset:         3432
        .size:           8
        .value_kind:     hidden_global_offset_z
      - .offset:         3440
        .size:           2
        .value_kind:     hidden_grid_dims
    .group_segment_fixed_size: 0
    .kernarg_segment_align: 8
    .kernarg_segment_size: 3632
    .language:       OpenCL C
    .language_version:
      - 2
      - 0
    .max_flat_workgroup_size: 512
    .name:           _ZN2at6native12_GLOBAL__N_125multi_tensor_apply_kernelINS1_18TensorListMetadataILi1EEENS1_14UnaryOpFunctorIN3c107complexIfEELi1ELi1ELi0EEEJNS0_3ExpIS8_EEEEEvT_T0_DpT1_
    .private_segment_fixed_size: 0
    .sgpr_count:     36
    .sgpr_spill_count: 0
    .symbol:         _ZN2at6native12_GLOBAL__N_125multi_tensor_apply_kernelINS1_18TensorListMetadataILi1EEENS1_14UnaryOpFunctorIN3c107complexIfEELi1ELi1ELi0EEEJNS0_3ExpIS8_EEEEEvT_T0_DpT1_.kd
    .uniform_work_group_size: 1
    .uses_dynamic_stack: false
    .vgpr_count:     38
    .vgpr_spill_count: 0
    .wavefront_size: 32
    .workgroup_processor_mode: 1
  - .args:
      - .offset:         0
        .size:           3368
        .value_kind:     by_value
      - .offset:         3368
        .size:           1
        .value_kind:     by_value
      - .offset:         3369
        .size:           1
        .value_kind:     by_value
      - .offset:         3376
        .size:           4
        .value_kind:     hidden_block_count_x
      - .offset:         3380
        .size:           4
        .value_kind:     hidden_block_count_y
      - .offset:         3384
        .size:           4
        .value_kind:     hidden_block_count_z
      - .offset:         3388
        .size:           2
        .value_kind:     hidden_group_size_x
      - .offset:         3390
        .size:           2
        .value_kind:     hidden_group_size_y
      - .offset:         3392
        .size:           2
        .value_kind:     hidden_group_size_z
      - .offset:         3394
        .size:           2
        .value_kind:     hidden_remainder_x
      - .offset:         3396
        .size:           2
        .value_kind:     hidden_remainder_y
      - .offset:         3398
        .size:           2
        .value_kind:     hidden_remainder_z
      - .offset:         3416
        .size:           8
        .value_kind:     hidden_global_offset_x
      - .offset:         3424
        .size:           8
        .value_kind:     hidden_global_offset_y
      - .offset:         3432
        .size:           8
        .value_kind:     hidden_global_offset_z
      - .offset:         3440
        .size:           2
        .value_kind:     hidden_grid_dims
    .group_segment_fixed_size: 0
    .kernarg_segment_align: 8
    .kernarg_segment_size: 3632
    .language:       OpenCL C
    .language_version:
      - 2
      - 0
    .max_flat_workgroup_size: 512
    .name:           _ZN2at6native12_GLOBAL__N_125multi_tensor_apply_kernelINS1_18TensorListMetadataILi1EEENS1_14UnaryOpFunctorIN3c104HalfELi1ELi1ELi0EEEJNS0_3ExpIfEEEEEvT_T0_DpT1_
    .private_segment_fixed_size: 0
    .sgpr_count:     24
    .sgpr_spill_count: 0
    .symbol:         _ZN2at6native12_GLOBAL__N_125multi_tensor_apply_kernelINS1_18TensorListMetadataILi1EEENS1_14UnaryOpFunctorIN3c104HalfELi1ELi1ELi0EEEJNS0_3ExpIfEEEEEvT_T0_DpT1_.kd
    .uniform_work_group_size: 1
    .uses_dynamic_stack: false
    .vgpr_count:     22
    .vgpr_spill_count: 0
    .wavefront_size: 32
    .workgroup_processor_mode: 1
  - .args:
      - .offset:         0
        .size:           3368
        .value_kind:     by_value
      - .offset:         3368
        .size:           1
        .value_kind:     by_value
      - .offset:         3369
        .size:           1
        .value_kind:     by_value
      - .offset:         3376
        .size:           4
        .value_kind:     hidden_block_count_x
      - .offset:         3380
        .size:           4
        .value_kind:     hidden_block_count_y
      - .offset:         3384
        .size:           4
        .value_kind:     hidden_block_count_z
      - .offset:         3388
        .size:           2
        .value_kind:     hidden_group_size_x
      - .offset:         3390
        .size:           2
        .value_kind:     hidden_group_size_y
      - .offset:         3392
        .size:           2
        .value_kind:     hidden_group_size_z
      - .offset:         3394
        .size:           2
        .value_kind:     hidden_remainder_x
      - .offset:         3396
        .size:           2
        .value_kind:     hidden_remainder_y
      - .offset:         3398
        .size:           2
        .value_kind:     hidden_remainder_z
      - .offset:         3416
        .size:           8
        .value_kind:     hidden_global_offset_x
      - .offset:         3424
        .size:           8
        .value_kind:     hidden_global_offset_y
      - .offset:         3432
        .size:           8
        .value_kind:     hidden_global_offset_z
      - .offset:         3440
        .size:           2
        .value_kind:     hidden_grid_dims
    .group_segment_fixed_size: 0
    .kernarg_segment_align: 8
    .kernarg_segment_size: 3632
    .language:       OpenCL C
    .language_version:
      - 2
      - 0
    .max_flat_workgroup_size: 512
    .name:           _ZN2at6native12_GLOBAL__N_125multi_tensor_apply_kernelINS1_18TensorListMetadataILi1EEENS1_14UnaryOpFunctorIN3c108BFloat16ELi1ELi1ELi0EEEJNS0_3ExpIfEEEEEvT_T0_DpT1_
    .private_segment_fixed_size: 0
    .sgpr_count:     22
    .sgpr_spill_count: 0
    .symbol:         _ZN2at6native12_GLOBAL__N_125multi_tensor_apply_kernelINS1_18TensorListMetadataILi1EEENS1_14UnaryOpFunctorIN3c108BFloat16ELi1ELi1ELi0EEEJNS0_3ExpIfEEEEEvT_T0_DpT1_.kd
    .uniform_work_group_size: 1
    .uses_dynamic_stack: false
    .vgpr_count:     20
    .vgpr_spill_count: 0
    .wavefront_size: 32
    .workgroup_processor_mode: 1
  - .args:
      - .offset:         0
        .size:           3144
        .value_kind:     by_value
      - .offset:         3144
        .size:           1
        .value_kind:     by_value
      - .offset:         3145
        .size:           1
        .value_kind:     by_value
      - .offset:         3152
        .size:           4
        .value_kind:     hidden_block_count_x
      - .offset:         3156
        .size:           4
        .value_kind:     hidden_block_count_y
      - .offset:         3160
        .size:           4
        .value_kind:     hidden_block_count_z
      - .offset:         3164
        .size:           2
        .value_kind:     hidden_group_size_x
      - .offset:         3166
        .size:           2
        .value_kind:     hidden_group_size_y
      - .offset:         3168
        .size:           2
        .value_kind:     hidden_group_size_z
      - .offset:         3170
        .size:           2
        .value_kind:     hidden_remainder_x
      - .offset:         3172
        .size:           2
        .value_kind:     hidden_remainder_y
      - .offset:         3174
        .size:           2
        .value_kind:     hidden_remainder_z
      - .offset:         3192
        .size:           8
        .value_kind:     hidden_global_offset_x
      - .offset:         3200
        .size:           8
        .value_kind:     hidden_global_offset_y
      - .offset:         3208
        .size:           8
        .value_kind:     hidden_global_offset_z
      - .offset:         3216
        .size:           2
        .value_kind:     hidden_grid_dims
    .group_segment_fixed_size: 0
    .kernarg_segment_align: 8
    .kernarg_segment_size: 3408
    .language:       OpenCL C
    .language_version:
      - 2
      - 0
    .max_flat_workgroup_size: 512
    .name:           _ZN2at6native12_GLOBAL__N_125multi_tensor_apply_kernelINS1_18TensorListMetadataILi2EEENS1_14UnaryOpFunctorIdLi2ELi1ELi1EEEJNS0_5Expm1IdEEEEEvT_T0_DpT1_
    .private_segment_fixed_size: 0
    .sgpr_count:     63
    .sgpr_spill_count: 0
    .symbol:         _ZN2at6native12_GLOBAL__N_125multi_tensor_apply_kernelINS1_18TensorListMetadataILi2EEENS1_14UnaryOpFunctorIdLi2ELi1ELi1EEEJNS0_5Expm1IdEEEEEvT_T0_DpT1_.kd
    .uniform_work_group_size: 1
    .uses_dynamic_stack: false
    .vgpr_count:     44
    .vgpr_spill_count: 0
    .wavefront_size: 32
    .workgroup_processor_mode: 1
  - .args:
      - .offset:         0
        .size:           3144
        .value_kind:     by_value
      - .offset:         3144
        .size:           1
        .value_kind:     by_value
      - .offset:         3145
        .size:           1
        .value_kind:     by_value
      - .offset:         3152
        .size:           4
        .value_kind:     hidden_block_count_x
      - .offset:         3156
        .size:           4
        .value_kind:     hidden_block_count_y
      - .offset:         3160
        .size:           4
        .value_kind:     hidden_block_count_z
      - .offset:         3164
        .size:           2
        .value_kind:     hidden_group_size_x
      - .offset:         3166
        .size:           2
        .value_kind:     hidden_group_size_y
      - .offset:         3168
        .size:           2
        .value_kind:     hidden_group_size_z
      - .offset:         3170
        .size:           2
        .value_kind:     hidden_remainder_x
      - .offset:         3172
        .size:           2
        .value_kind:     hidden_remainder_y
      - .offset:         3174
        .size:           2
        .value_kind:     hidden_remainder_z
      - .offset:         3192
        .size:           8
        .value_kind:     hidden_global_offset_x
      - .offset:         3200
        .size:           8
        .value_kind:     hidden_global_offset_y
      - .offset:         3208
        .size:           8
        .value_kind:     hidden_global_offset_z
      - .offset:         3216
        .size:           2
        .value_kind:     hidden_grid_dims
    .group_segment_fixed_size: 0
    .kernarg_segment_align: 8
    .kernarg_segment_size: 3408
    .language:       OpenCL C
    .language_version:
      - 2
      - 0
    .max_flat_workgroup_size: 512
    .name:           _ZN2at6native12_GLOBAL__N_125multi_tensor_apply_kernelINS1_18TensorListMetadataILi2EEENS1_14UnaryOpFunctorIfLi2ELi1ELi1EEEJNS0_5Expm1IfEEEEEvT_T0_DpT1_
    .private_segment_fixed_size: 0
    .sgpr_count:     26
    .sgpr_spill_count: 0
    .symbol:         _ZN2at6native12_GLOBAL__N_125multi_tensor_apply_kernelINS1_18TensorListMetadataILi2EEENS1_14UnaryOpFunctorIfLi2ELi1ELi1EEEJNS0_5Expm1IfEEEEEvT_T0_DpT1_.kd
    .uniform_work_group_size: 1
    .uses_dynamic_stack: false
    .vgpr_count:     31
    .vgpr_spill_count: 0
    .wavefront_size: 32
    .workgroup_processor_mode: 1
  - .args:
      - .offset:         0
        .size:           3144
        .value_kind:     by_value
      - .offset:         3144
        .size:           1
        .value_kind:     by_value
      - .offset:         3145
        .size:           1
        .value_kind:     by_value
      - .offset:         3152
        .size:           4
        .value_kind:     hidden_block_count_x
      - .offset:         3156
        .size:           4
        .value_kind:     hidden_block_count_y
      - .offset:         3160
        .size:           4
        .value_kind:     hidden_block_count_z
      - .offset:         3164
        .size:           2
        .value_kind:     hidden_group_size_x
      - .offset:         3166
        .size:           2
        .value_kind:     hidden_group_size_y
      - .offset:         3168
        .size:           2
        .value_kind:     hidden_group_size_z
      - .offset:         3170
        .size:           2
        .value_kind:     hidden_remainder_x
      - .offset:         3172
        .size:           2
        .value_kind:     hidden_remainder_y
      - .offset:         3174
        .size:           2
        .value_kind:     hidden_remainder_z
      - .offset:         3192
        .size:           8
        .value_kind:     hidden_global_offset_x
      - .offset:         3200
        .size:           8
        .value_kind:     hidden_global_offset_y
      - .offset:         3208
        .size:           8
        .value_kind:     hidden_global_offset_z
      - .offset:         3216
        .size:           2
        .value_kind:     hidden_grid_dims
    .group_segment_fixed_size: 0
    .kernarg_segment_align: 8
    .kernarg_segment_size: 3408
    .language:       OpenCL C
    .language_version:
      - 2
      - 0
    .max_flat_workgroup_size: 512
    .name:           _ZN2at6native12_GLOBAL__N_125multi_tensor_apply_kernelINS1_18TensorListMetadataILi2EEENS1_14UnaryOpFunctorIN3c107complexIdEELi2ELi1ELi1EEEJNS0_5Expm1IS8_EEEEEvT_T0_DpT1_
    .private_segment_fixed_size: 0
    .sgpr_count:     107
    .sgpr_spill_count: 9
    .symbol:         _ZN2at6native12_GLOBAL__N_125multi_tensor_apply_kernelINS1_18TensorListMetadataILi2EEENS1_14UnaryOpFunctorIN3c107complexIdEELi2ELi1ELi1EEEJNS0_5Expm1IS8_EEEEEvT_T0_DpT1_.kd
    .uniform_work_group_size: 1
    .uses_dynamic_stack: false
    .vgpr_count:     186
    .vgpr_spill_count: 0
    .wavefront_size: 32
    .workgroup_processor_mode: 1
  - .args:
      - .offset:         0
        .size:           3144
        .value_kind:     by_value
      - .offset:         3144
        .size:           1
        .value_kind:     by_value
      - .offset:         3145
        .size:           1
        .value_kind:     by_value
      - .offset:         3152
        .size:           4
        .value_kind:     hidden_block_count_x
      - .offset:         3156
        .size:           4
        .value_kind:     hidden_block_count_y
      - .offset:         3160
        .size:           4
        .value_kind:     hidden_block_count_z
      - .offset:         3164
        .size:           2
        .value_kind:     hidden_group_size_x
      - .offset:         3166
        .size:           2
        .value_kind:     hidden_group_size_y
      - .offset:         3168
        .size:           2
        .value_kind:     hidden_group_size_z
      - .offset:         3170
        .size:           2
        .value_kind:     hidden_remainder_x
      - .offset:         3172
        .size:           2
        .value_kind:     hidden_remainder_y
      - .offset:         3174
        .size:           2
        .value_kind:     hidden_remainder_z
      - .offset:         3192
        .size:           8
        .value_kind:     hidden_global_offset_x
      - .offset:         3200
        .size:           8
        .value_kind:     hidden_global_offset_y
      - .offset:         3208
        .size:           8
        .value_kind:     hidden_global_offset_z
      - .offset:         3216
        .size:           2
        .value_kind:     hidden_grid_dims
    .group_segment_fixed_size: 0
    .kernarg_segment_align: 8
    .kernarg_segment_size: 3408
    .language:       OpenCL C
    .language_version:
      - 2
      - 0
    .max_flat_workgroup_size: 512
    .name:           _ZN2at6native12_GLOBAL__N_125multi_tensor_apply_kernelINS1_18TensorListMetadataILi2EEENS1_14UnaryOpFunctorIN3c107complexIfEELi2ELi1ELi1EEEJNS0_5Expm1IS8_EEEEEvT_T0_DpT1_
    .private_segment_fixed_size: 0
    .sgpr_count:     29
    .sgpr_spill_count: 0
    .symbol:         _ZN2at6native12_GLOBAL__N_125multi_tensor_apply_kernelINS1_18TensorListMetadataILi2EEENS1_14UnaryOpFunctorIN3c107complexIfEELi2ELi1ELi1EEEJNS0_5Expm1IS8_EEEEEvT_T0_DpT1_.kd
    .uniform_work_group_size: 1
    .uses_dynamic_stack: false
    .vgpr_count:     80
    .vgpr_spill_count: 0
    .wavefront_size: 32
    .workgroup_processor_mode: 1
  - .args:
      - .offset:         0
        .size:           3144
        .value_kind:     by_value
      - .offset:         3144
        .size:           1
        .value_kind:     by_value
      - .offset:         3145
        .size:           1
        .value_kind:     by_value
      - .offset:         3152
        .size:           4
        .value_kind:     hidden_block_count_x
      - .offset:         3156
        .size:           4
        .value_kind:     hidden_block_count_y
      - .offset:         3160
        .size:           4
        .value_kind:     hidden_block_count_z
      - .offset:         3164
        .size:           2
        .value_kind:     hidden_group_size_x
      - .offset:         3166
        .size:           2
        .value_kind:     hidden_group_size_y
      - .offset:         3168
        .size:           2
        .value_kind:     hidden_group_size_z
      - .offset:         3170
        .size:           2
        .value_kind:     hidden_remainder_x
      - .offset:         3172
        .size:           2
        .value_kind:     hidden_remainder_y
      - .offset:         3174
        .size:           2
        .value_kind:     hidden_remainder_z
      - .offset:         3192
        .size:           8
        .value_kind:     hidden_global_offset_x
      - .offset:         3200
        .size:           8
        .value_kind:     hidden_global_offset_y
      - .offset:         3208
        .size:           8
        .value_kind:     hidden_global_offset_z
      - .offset:         3216
        .size:           2
        .value_kind:     hidden_grid_dims
    .group_segment_fixed_size: 0
    .kernarg_segment_align: 8
    .kernarg_segment_size: 3408
    .language:       OpenCL C
    .language_version:
      - 2
      - 0
    .max_flat_workgroup_size: 512
    .name:           _ZN2at6native12_GLOBAL__N_125multi_tensor_apply_kernelINS1_18TensorListMetadataILi2EEENS1_14UnaryOpFunctorIN3c104HalfELi2ELi1ELi1EEEJNS0_5Expm1IfEEEEEvT_T0_DpT1_
    .private_segment_fixed_size: 0
    .sgpr_count:     26
    .sgpr_spill_count: 0
    .symbol:         _ZN2at6native12_GLOBAL__N_125multi_tensor_apply_kernelINS1_18TensorListMetadataILi2EEENS1_14UnaryOpFunctorIN3c104HalfELi2ELi1ELi1EEEJNS0_5Expm1IfEEEEEvT_T0_DpT1_.kd
    .uniform_work_group_size: 1
    .uses_dynamic_stack: false
    .vgpr_count:     32
    .vgpr_spill_count: 0
    .wavefront_size: 32
    .workgroup_processor_mode: 1
  - .args:
      - .offset:         0
        .size:           3144
        .value_kind:     by_value
      - .offset:         3144
        .size:           1
        .value_kind:     by_value
      - .offset:         3145
        .size:           1
        .value_kind:     by_value
      - .offset:         3152
        .size:           4
        .value_kind:     hidden_block_count_x
      - .offset:         3156
        .size:           4
        .value_kind:     hidden_block_count_y
      - .offset:         3160
        .size:           4
        .value_kind:     hidden_block_count_z
      - .offset:         3164
        .size:           2
        .value_kind:     hidden_group_size_x
      - .offset:         3166
        .size:           2
        .value_kind:     hidden_group_size_y
      - .offset:         3168
        .size:           2
        .value_kind:     hidden_group_size_z
      - .offset:         3170
        .size:           2
        .value_kind:     hidden_remainder_x
      - .offset:         3172
        .size:           2
        .value_kind:     hidden_remainder_y
      - .offset:         3174
        .size:           2
        .value_kind:     hidden_remainder_z
      - .offset:         3192
        .size:           8
        .value_kind:     hidden_global_offset_x
      - .offset:         3200
        .size:           8
        .value_kind:     hidden_global_offset_y
      - .offset:         3208
        .size:           8
        .value_kind:     hidden_global_offset_z
      - .offset:         3216
        .size:           2
        .value_kind:     hidden_grid_dims
    .group_segment_fixed_size: 0
    .kernarg_segment_align: 8
    .kernarg_segment_size: 3408
    .language:       OpenCL C
    .language_version:
      - 2
      - 0
    .max_flat_workgroup_size: 512
    .name:           _ZN2at6native12_GLOBAL__N_125multi_tensor_apply_kernelINS1_18TensorListMetadataILi2EEENS1_14UnaryOpFunctorIN3c108BFloat16ELi2ELi1ELi1EEEJNS0_5Expm1IfEEEEEvT_T0_DpT1_
    .private_segment_fixed_size: 0
    .sgpr_count:     23
    .sgpr_spill_count: 0
    .symbol:         _ZN2at6native12_GLOBAL__N_125multi_tensor_apply_kernelINS1_18TensorListMetadataILi2EEENS1_14UnaryOpFunctorIN3c108BFloat16ELi2ELi1ELi1EEEJNS0_5Expm1IfEEEEEvT_T0_DpT1_.kd
    .uniform_work_group_size: 1
    .uses_dynamic_stack: false
    .vgpr_count:     31
    .vgpr_spill_count: 0
    .wavefront_size: 32
    .workgroup_processor_mode: 1
  - .args:
      - .offset:         0
        .size:           3368
        .value_kind:     by_value
      - .offset:         3368
        .size:           1
        .value_kind:     by_value
      - .offset:         3369
        .size:           1
        .value_kind:     by_value
      - .offset:         3376
        .size:           4
        .value_kind:     hidden_block_count_x
      - .offset:         3380
        .size:           4
        .value_kind:     hidden_block_count_y
      - .offset:         3384
        .size:           4
        .value_kind:     hidden_block_count_z
      - .offset:         3388
        .size:           2
        .value_kind:     hidden_group_size_x
      - .offset:         3390
        .size:           2
        .value_kind:     hidden_group_size_y
      - .offset:         3392
        .size:           2
        .value_kind:     hidden_group_size_z
      - .offset:         3394
        .size:           2
        .value_kind:     hidden_remainder_x
      - .offset:         3396
        .size:           2
        .value_kind:     hidden_remainder_y
      - .offset:         3398
        .size:           2
        .value_kind:     hidden_remainder_z
      - .offset:         3416
        .size:           8
        .value_kind:     hidden_global_offset_x
      - .offset:         3424
        .size:           8
        .value_kind:     hidden_global_offset_y
      - .offset:         3432
        .size:           8
        .value_kind:     hidden_global_offset_z
      - .offset:         3440
        .size:           2
        .value_kind:     hidden_grid_dims
    .group_segment_fixed_size: 0
    .kernarg_segment_align: 8
    .kernarg_segment_size: 3632
    .language:       OpenCL C
    .language_version:
      - 2
      - 0
    .max_flat_workgroup_size: 512
    .name:           _ZN2at6native12_GLOBAL__N_125multi_tensor_apply_kernelINS1_18TensorListMetadataILi1EEENS1_14UnaryOpFunctorIdLi1ELi1ELi0EEEJNS0_5Expm1IdEEEEEvT_T0_DpT1_
    .private_segment_fixed_size: 0
    .sgpr_count:     52
    .sgpr_spill_count: 0
    .symbol:         _ZN2at6native12_GLOBAL__N_125multi_tensor_apply_kernelINS1_18TensorListMetadataILi1EEENS1_14UnaryOpFunctorIdLi1ELi1ELi0EEEJNS0_5Expm1IdEEEEEvT_T0_DpT1_.kd
    .uniform_work_group_size: 1
    .uses_dynamic_stack: false
    .vgpr_count:     45
    .vgpr_spill_count: 0
    .wavefront_size: 32
    .workgroup_processor_mode: 1
  - .args:
      - .offset:         0
        .size:           3368
        .value_kind:     by_value
      - .offset:         3368
        .size:           1
        .value_kind:     by_value
      - .offset:         3369
        .size:           1
        .value_kind:     by_value
      - .offset:         3376
        .size:           4
        .value_kind:     hidden_block_count_x
      - .offset:         3380
        .size:           4
        .value_kind:     hidden_block_count_y
      - .offset:         3384
        .size:           4
        .value_kind:     hidden_block_count_z
      - .offset:         3388
        .size:           2
        .value_kind:     hidden_group_size_x
      - .offset:         3390
        .size:           2
        .value_kind:     hidden_group_size_y
      - .offset:         3392
        .size:           2
        .value_kind:     hidden_group_size_z
      - .offset:         3394
        .size:           2
        .value_kind:     hidden_remainder_x
      - .offset:         3396
        .size:           2
        .value_kind:     hidden_remainder_y
      - .offset:         3398
        .size:           2
        .value_kind:     hidden_remainder_z
      - .offset:         3416
        .size:           8
        .value_kind:     hidden_global_offset_x
      - .offset:         3424
        .size:           8
        .value_kind:     hidden_global_offset_y
      - .offset:         3432
        .size:           8
        .value_kind:     hidden_global_offset_z
      - .offset:         3440
        .size:           2
        .value_kind:     hidden_grid_dims
    .group_segment_fixed_size: 0
    .kernarg_segment_align: 8
    .kernarg_segment_size: 3632
    .language:       OpenCL C
    .language_version:
      - 2
      - 0
    .max_flat_workgroup_size: 512
    .name:           _ZN2at6native12_GLOBAL__N_125multi_tensor_apply_kernelINS1_18TensorListMetadataILi1EEENS1_14UnaryOpFunctorIfLi1ELi1ELi0EEEJNS0_5Expm1IfEEEEEvT_T0_DpT1_
    .private_segment_fixed_size: 0
    .sgpr_count:     24
    .sgpr_spill_count: 0
    .symbol:         _ZN2at6native12_GLOBAL__N_125multi_tensor_apply_kernelINS1_18TensorListMetadataILi1EEENS1_14UnaryOpFunctorIfLi1ELi1ELi0EEEJNS0_5Expm1IfEEEEEvT_T0_DpT1_.kd
    .uniform_work_group_size: 1
    .uses_dynamic_stack: false
    .vgpr_count:     24
    .vgpr_spill_count: 0
    .wavefront_size: 32
    .workgroup_processor_mode: 1
  - .args:
      - .offset:         0
        .size:           3368
        .value_kind:     by_value
      - .offset:         3368
        .size:           1
        .value_kind:     by_value
      - .offset:         3369
        .size:           1
        .value_kind:     by_value
      - .offset:         3376
        .size:           4
        .value_kind:     hidden_block_count_x
      - .offset:         3380
        .size:           4
        .value_kind:     hidden_block_count_y
      - .offset:         3384
        .size:           4
        .value_kind:     hidden_block_count_z
      - .offset:         3388
        .size:           2
        .value_kind:     hidden_group_size_x
      - .offset:         3390
        .size:           2
        .value_kind:     hidden_group_size_y
      - .offset:         3392
        .size:           2
        .value_kind:     hidden_group_size_z
      - .offset:         3394
        .size:           2
        .value_kind:     hidden_remainder_x
      - .offset:         3396
        .size:           2
        .value_kind:     hidden_remainder_y
      - .offset:         3398
        .size:           2
        .value_kind:     hidden_remainder_z
      - .offset:         3416
        .size:           8
        .value_kind:     hidden_global_offset_x
      - .offset:         3424
        .size:           8
        .value_kind:     hidden_global_offset_y
      - .offset:         3432
        .size:           8
        .value_kind:     hidden_global_offset_z
      - .offset:         3440
        .size:           2
        .value_kind:     hidden_grid_dims
    .group_segment_fixed_size: 0
    .kernarg_segment_align: 8
    .kernarg_segment_size: 3632
    .language:       OpenCL C
    .language_version:
      - 2
      - 0
    .max_flat_workgroup_size: 512
    .name:           _ZN2at6native12_GLOBAL__N_125multi_tensor_apply_kernelINS1_18TensorListMetadataILi1EEENS1_14UnaryOpFunctorIN3c107complexIdEELi1ELi1ELi0EEEJNS0_5Expm1IS8_EEEEEvT_T0_DpT1_
    .private_segment_fixed_size: 0
    .sgpr_count:     107
    .sgpr_spill_count: 8
    .symbol:         _ZN2at6native12_GLOBAL__N_125multi_tensor_apply_kernelINS1_18TensorListMetadataILi1EEENS1_14UnaryOpFunctorIN3c107complexIdEELi1ELi1ELi0EEEJNS0_5Expm1IS8_EEEEEvT_T0_DpT1_.kd
    .uniform_work_group_size: 1
    .uses_dynamic_stack: false
    .vgpr_count:     201
    .vgpr_spill_count: 0
    .wavefront_size: 32
    .workgroup_processor_mode: 1
  - .args:
      - .offset:         0
        .size:           3368
        .value_kind:     by_value
      - .offset:         3368
        .size:           1
        .value_kind:     by_value
      - .offset:         3369
        .size:           1
        .value_kind:     by_value
      - .offset:         3376
        .size:           4
        .value_kind:     hidden_block_count_x
      - .offset:         3380
        .size:           4
        .value_kind:     hidden_block_count_y
      - .offset:         3384
        .size:           4
        .value_kind:     hidden_block_count_z
      - .offset:         3388
        .size:           2
        .value_kind:     hidden_group_size_x
      - .offset:         3390
        .size:           2
        .value_kind:     hidden_group_size_y
      - .offset:         3392
        .size:           2
        .value_kind:     hidden_group_size_z
      - .offset:         3394
        .size:           2
        .value_kind:     hidden_remainder_x
      - .offset:         3396
        .size:           2
        .value_kind:     hidden_remainder_y
      - .offset:         3398
        .size:           2
        .value_kind:     hidden_remainder_z
      - .offset:         3416
        .size:           8
        .value_kind:     hidden_global_offset_x
      - .offset:         3424
        .size:           8
        .value_kind:     hidden_global_offset_y
      - .offset:         3432
        .size:           8
        .value_kind:     hidden_global_offset_z
      - .offset:         3440
        .size:           2
        .value_kind:     hidden_grid_dims
    .group_segment_fixed_size: 0
    .kernarg_segment_align: 8
    .kernarg_segment_size: 3632
    .language:       OpenCL C
    .language_version:
      - 2
      - 0
    .max_flat_workgroup_size: 512
    .name:           _ZN2at6native12_GLOBAL__N_125multi_tensor_apply_kernelINS1_18TensorListMetadataILi1EEENS1_14UnaryOpFunctorIN3c107complexIfEELi1ELi1ELi0EEEJNS0_5Expm1IS8_EEEEEvT_T0_DpT1_
    .private_segment_fixed_size: 0
    .sgpr_count:     31
    .sgpr_spill_count: 0
    .symbol:         _ZN2at6native12_GLOBAL__N_125multi_tensor_apply_kernelINS1_18TensorListMetadataILi1EEENS1_14UnaryOpFunctorIN3c107complexIfEELi1ELi1ELi0EEEJNS0_5Expm1IS8_EEEEEvT_T0_DpT1_.kd
    .uniform_work_group_size: 1
    .uses_dynamic_stack: false
    .vgpr_count:     75
    .vgpr_spill_count: 0
    .wavefront_size: 32
    .workgroup_processor_mode: 1
  - .args:
      - .offset:         0
        .size:           3368
        .value_kind:     by_value
      - .offset:         3368
        .size:           1
        .value_kind:     by_value
      - .offset:         3369
        .size:           1
        .value_kind:     by_value
      - .offset:         3376
        .size:           4
        .value_kind:     hidden_block_count_x
      - .offset:         3380
        .size:           4
        .value_kind:     hidden_block_count_y
      - .offset:         3384
        .size:           4
        .value_kind:     hidden_block_count_z
      - .offset:         3388
        .size:           2
        .value_kind:     hidden_group_size_x
      - .offset:         3390
        .size:           2
        .value_kind:     hidden_group_size_y
      - .offset:         3392
        .size:           2
        .value_kind:     hidden_group_size_z
      - .offset:         3394
        .size:           2
        .value_kind:     hidden_remainder_x
      - .offset:         3396
        .size:           2
        .value_kind:     hidden_remainder_y
      - .offset:         3398
        .size:           2
        .value_kind:     hidden_remainder_z
      - .offset:         3416
        .size:           8
        .value_kind:     hidden_global_offset_x
      - .offset:         3424
        .size:           8
        .value_kind:     hidden_global_offset_y
      - .offset:         3432
        .size:           8
        .value_kind:     hidden_global_offset_z
      - .offset:         3440
        .size:           2
        .value_kind:     hidden_grid_dims
    .group_segment_fixed_size: 0
    .kernarg_segment_align: 8
    .kernarg_segment_size: 3632
    .language:       OpenCL C
    .language_version:
      - 2
      - 0
    .max_flat_workgroup_size: 512
    .name:           _ZN2at6native12_GLOBAL__N_125multi_tensor_apply_kernelINS1_18TensorListMetadataILi1EEENS1_14UnaryOpFunctorIN3c104HalfELi1ELi1ELi0EEEJNS0_5Expm1IfEEEEEvT_T0_DpT1_
    .private_segment_fixed_size: 0
    .sgpr_count:     24
    .sgpr_spill_count: 0
    .symbol:         _ZN2at6native12_GLOBAL__N_125multi_tensor_apply_kernelINS1_18TensorListMetadataILi1EEENS1_14UnaryOpFunctorIN3c104HalfELi1ELi1ELi0EEEJNS0_5Expm1IfEEEEEvT_T0_DpT1_.kd
    .uniform_work_group_size: 1
    .uses_dynamic_stack: false
    .vgpr_count:     27
    .vgpr_spill_count: 0
    .wavefront_size: 32
    .workgroup_processor_mode: 1
  - .args:
      - .offset:         0
        .size:           3368
        .value_kind:     by_value
      - .offset:         3368
        .size:           1
        .value_kind:     by_value
      - .offset:         3369
        .size:           1
        .value_kind:     by_value
      - .offset:         3376
        .size:           4
        .value_kind:     hidden_block_count_x
      - .offset:         3380
        .size:           4
        .value_kind:     hidden_block_count_y
      - .offset:         3384
        .size:           4
        .value_kind:     hidden_block_count_z
      - .offset:         3388
        .size:           2
        .value_kind:     hidden_group_size_x
      - .offset:         3390
        .size:           2
        .value_kind:     hidden_group_size_y
      - .offset:         3392
        .size:           2
        .value_kind:     hidden_group_size_z
      - .offset:         3394
        .size:           2
        .value_kind:     hidden_remainder_x
      - .offset:         3396
        .size:           2
        .value_kind:     hidden_remainder_y
      - .offset:         3398
        .size:           2
        .value_kind:     hidden_remainder_z
      - .offset:         3416
        .size:           8
        .value_kind:     hidden_global_offset_x
      - .offset:         3424
        .size:           8
        .value_kind:     hidden_global_offset_y
      - .offset:         3432
        .size:           8
        .value_kind:     hidden_global_offset_z
      - .offset:         3440
        .size:           2
        .value_kind:     hidden_grid_dims
    .group_segment_fixed_size: 0
    .kernarg_segment_align: 8
    .kernarg_segment_size: 3632
    .language:       OpenCL C
    .language_version:
      - 2
      - 0
    .max_flat_workgroup_size: 512
    .name:           _ZN2at6native12_GLOBAL__N_125multi_tensor_apply_kernelINS1_18TensorListMetadataILi1EEENS1_14UnaryOpFunctorIN3c108BFloat16ELi1ELi1ELi0EEEJNS0_5Expm1IfEEEEEvT_T0_DpT1_
    .private_segment_fixed_size: 0
    .sgpr_count:     23
    .sgpr_spill_count: 0
    .symbol:         _ZN2at6native12_GLOBAL__N_125multi_tensor_apply_kernelINS1_18TensorListMetadataILi1EEENS1_14UnaryOpFunctorIN3c108BFloat16ELi1ELi1ELi0EEEJNS0_5Expm1IfEEEEEvT_T0_DpT1_.kd
    .uniform_work_group_size: 1
    .uses_dynamic_stack: false
    .vgpr_count:     23
    .vgpr_spill_count: 0
    .wavefront_size: 32
    .workgroup_processor_mode: 1
  - .args:
      - .offset:         0
        .size:           3144
        .value_kind:     by_value
      - .offset:         3144
        .size:           1
        .value_kind:     by_value
      - .offset:         3145
        .size:           1
        .value_kind:     by_value
      - .offset:         3152
        .size:           4
        .value_kind:     hidden_block_count_x
      - .offset:         3156
        .size:           4
        .value_kind:     hidden_block_count_y
      - .offset:         3160
        .size:           4
        .value_kind:     hidden_block_count_z
      - .offset:         3164
        .size:           2
        .value_kind:     hidden_group_size_x
      - .offset:         3166
        .size:           2
        .value_kind:     hidden_group_size_y
      - .offset:         3168
        .size:           2
        .value_kind:     hidden_group_size_z
      - .offset:         3170
        .size:           2
        .value_kind:     hidden_remainder_x
      - .offset:         3172
        .size:           2
        .value_kind:     hidden_remainder_y
      - .offset:         3174
        .size:           2
        .value_kind:     hidden_remainder_z
      - .offset:         3192
        .size:           8
        .value_kind:     hidden_global_offset_x
      - .offset:         3200
        .size:           8
        .value_kind:     hidden_global_offset_y
      - .offset:         3208
        .size:           8
        .value_kind:     hidden_global_offset_z
      - .offset:         3216
        .size:           2
        .value_kind:     hidden_grid_dims
    .group_segment_fixed_size: 0
    .kernarg_segment_align: 8
    .kernarg_segment_size: 3408
    .language:       OpenCL C
    .language_version:
      - 2
      - 0
    .max_flat_workgroup_size: 512
    .name:           _ZN2at6native12_GLOBAL__N_125multi_tensor_apply_kernelINS1_18TensorListMetadataILi2EEENS1_14UnaryOpFunctorIdLi2ELi1ELi1EEEJNS0_4TanhIdEEEEEvT_T0_DpT1_
    .private_segment_fixed_size: 0
    .sgpr_count:     55
    .sgpr_spill_count: 0
    .symbol:         _ZN2at6native12_GLOBAL__N_125multi_tensor_apply_kernelINS1_18TensorListMetadataILi2EEENS1_14UnaryOpFunctorIdLi2ELi1ELi1EEEJNS0_4TanhIdEEEEEvT_T0_DpT1_.kd
    .uniform_work_group_size: 1
    .uses_dynamic_stack: false
    .vgpr_count:     92
    .vgpr_spill_count: 0
    .wavefront_size: 32
    .workgroup_processor_mode: 1
  - .args:
      - .offset:         0
        .size:           3144
        .value_kind:     by_value
      - .offset:         3144
        .size:           1
        .value_kind:     by_value
      - .offset:         3145
        .size:           1
        .value_kind:     by_value
      - .offset:         3152
        .size:           4
        .value_kind:     hidden_block_count_x
      - .offset:         3156
        .size:           4
        .value_kind:     hidden_block_count_y
      - .offset:         3160
        .size:           4
        .value_kind:     hidden_block_count_z
      - .offset:         3164
        .size:           2
        .value_kind:     hidden_group_size_x
      - .offset:         3166
        .size:           2
        .value_kind:     hidden_group_size_y
      - .offset:         3168
        .size:           2
        .value_kind:     hidden_group_size_z
      - .offset:         3170
        .size:           2
        .value_kind:     hidden_remainder_x
      - .offset:         3172
        .size:           2
        .value_kind:     hidden_remainder_y
      - .offset:         3174
        .size:           2
        .value_kind:     hidden_remainder_z
      - .offset:         3192
        .size:           8
        .value_kind:     hidden_global_offset_x
      - .offset:         3200
        .size:           8
        .value_kind:     hidden_global_offset_y
      - .offset:         3208
        .size:           8
        .value_kind:     hidden_global_offset_z
      - .offset:         3216
        .size:           2
        .value_kind:     hidden_grid_dims
    .group_segment_fixed_size: 0
    .kernarg_segment_align: 8
    .kernarg_segment_size: 3408
    .language:       OpenCL C
    .language_version:
      - 2
      - 0
    .max_flat_workgroup_size: 512
    .name:           _ZN2at6native12_GLOBAL__N_125multi_tensor_apply_kernelINS1_18TensorListMetadataILi2EEENS1_14UnaryOpFunctorIfLi2ELi1ELi1EEEJNS0_4TanhIfEEEEEvT_T0_DpT1_
    .private_segment_fixed_size: 0
    .sgpr_count:     26
    .sgpr_spill_count: 0
    .symbol:         _ZN2at6native12_GLOBAL__N_125multi_tensor_apply_kernelINS1_18TensorListMetadataILi2EEENS1_14UnaryOpFunctorIfLi2ELi1ELi1EEEJNS0_4TanhIfEEEEEvT_T0_DpT1_.kd
    .uniform_work_group_size: 1
    .uses_dynamic_stack: false
    .vgpr_count:     34
    .vgpr_spill_count: 0
    .wavefront_size: 32
    .workgroup_processor_mode: 1
  - .args:
      - .offset:         0
        .size:           3144
        .value_kind:     by_value
      - .offset:         3144
        .size:           1
        .value_kind:     by_value
      - .offset:         3145
        .size:           1
        .value_kind:     by_value
      - .offset:         3152
        .size:           4
        .value_kind:     hidden_block_count_x
      - .offset:         3156
        .size:           4
        .value_kind:     hidden_block_count_y
      - .offset:         3160
        .size:           4
        .value_kind:     hidden_block_count_z
      - .offset:         3164
        .size:           2
        .value_kind:     hidden_group_size_x
      - .offset:         3166
        .size:           2
        .value_kind:     hidden_group_size_y
      - .offset:         3168
        .size:           2
        .value_kind:     hidden_group_size_z
      - .offset:         3170
        .size:           2
        .value_kind:     hidden_remainder_x
      - .offset:         3172
        .size:           2
        .value_kind:     hidden_remainder_y
      - .offset:         3174
        .size:           2
        .value_kind:     hidden_remainder_z
      - .offset:         3192
        .size:           8
        .value_kind:     hidden_global_offset_x
      - .offset:         3200
        .size:           8
        .value_kind:     hidden_global_offset_y
      - .offset:         3208
        .size:           8
        .value_kind:     hidden_global_offset_z
      - .offset:         3216
        .size:           2
        .value_kind:     hidden_grid_dims
    .group_segment_fixed_size: 0
    .kernarg_segment_align: 8
    .kernarg_segment_size: 3408
    .language:       OpenCL C
    .language_version:
      - 2
      - 0
    .max_flat_workgroup_size: 512
    .name:           _ZN2at6native12_GLOBAL__N_125multi_tensor_apply_kernelINS1_18TensorListMetadataILi2EEENS1_14UnaryOpFunctorIN3c107complexIdEELi2ELi1ELi1EEEJNS0_4TanhIS8_EEEEEvT_T0_DpT1_
    .private_segment_fixed_size: 0
    .sgpr_count:     107
    .sgpr_spill_count: 1
    .symbol:         _ZN2at6native12_GLOBAL__N_125multi_tensor_apply_kernelINS1_18TensorListMetadataILi2EEENS1_14UnaryOpFunctorIN3c107complexIdEELi2ELi1ELi1EEEJNS0_4TanhIS8_EEEEEvT_T0_DpT1_.kd
    .uniform_work_group_size: 1
    .uses_dynamic_stack: false
    .vgpr_count:     64
    .vgpr_spill_count: 0
    .wavefront_size: 32
    .workgroup_processor_mode: 1
  - .args:
      - .offset:         0
        .size:           3144
        .value_kind:     by_value
      - .offset:         3144
        .size:           1
        .value_kind:     by_value
      - .offset:         3145
        .size:           1
        .value_kind:     by_value
      - .offset:         3152
        .size:           4
        .value_kind:     hidden_block_count_x
      - .offset:         3156
        .size:           4
        .value_kind:     hidden_block_count_y
      - .offset:         3160
        .size:           4
        .value_kind:     hidden_block_count_z
      - .offset:         3164
        .size:           2
        .value_kind:     hidden_group_size_x
      - .offset:         3166
        .size:           2
        .value_kind:     hidden_group_size_y
      - .offset:         3168
        .size:           2
        .value_kind:     hidden_group_size_z
      - .offset:         3170
        .size:           2
        .value_kind:     hidden_remainder_x
      - .offset:         3172
        .size:           2
        .value_kind:     hidden_remainder_y
      - .offset:         3174
        .size:           2
        .value_kind:     hidden_remainder_z
      - .offset:         3192
        .size:           8
        .value_kind:     hidden_global_offset_x
      - .offset:         3200
        .size:           8
        .value_kind:     hidden_global_offset_y
      - .offset:         3208
        .size:           8
        .value_kind:     hidden_global_offset_z
      - .offset:         3216
        .size:           2
        .value_kind:     hidden_grid_dims
    .group_segment_fixed_size: 0
    .kernarg_segment_align: 8
    .kernarg_segment_size: 3408
    .language:       OpenCL C
    .language_version:
      - 2
      - 0
    .max_flat_workgroup_size: 512
    .name:           _ZN2at6native12_GLOBAL__N_125multi_tensor_apply_kernelINS1_18TensorListMetadataILi2EEENS1_14UnaryOpFunctorIN3c107complexIfEELi2ELi1ELi1EEEJNS0_4TanhIS8_EEEEEvT_T0_DpT1_
    .private_segment_fixed_size: 0
    .sgpr_count:     34
    .sgpr_spill_count: 0
    .symbol:         _ZN2at6native12_GLOBAL__N_125multi_tensor_apply_kernelINS1_18TensorListMetadataILi2EEENS1_14UnaryOpFunctorIN3c107complexIfEELi2ELi1ELi1EEEJNS0_4TanhIS8_EEEEEvT_T0_DpT1_.kd
    .uniform_work_group_size: 1
    .uses_dynamic_stack: false
    .vgpr_count:     42
    .vgpr_spill_count: 0
    .wavefront_size: 32
    .workgroup_processor_mode: 1
  - .args:
      - .offset:         0
        .size:           3144
        .value_kind:     by_value
      - .offset:         3144
        .size:           1
        .value_kind:     by_value
      - .offset:         3145
        .size:           1
        .value_kind:     by_value
      - .offset:         3152
        .size:           4
        .value_kind:     hidden_block_count_x
      - .offset:         3156
        .size:           4
        .value_kind:     hidden_block_count_y
      - .offset:         3160
        .size:           4
        .value_kind:     hidden_block_count_z
      - .offset:         3164
        .size:           2
        .value_kind:     hidden_group_size_x
      - .offset:         3166
        .size:           2
        .value_kind:     hidden_group_size_y
      - .offset:         3168
        .size:           2
        .value_kind:     hidden_group_size_z
      - .offset:         3170
        .size:           2
        .value_kind:     hidden_remainder_x
      - .offset:         3172
        .size:           2
        .value_kind:     hidden_remainder_y
      - .offset:         3174
        .size:           2
        .value_kind:     hidden_remainder_z
      - .offset:         3192
        .size:           8
        .value_kind:     hidden_global_offset_x
      - .offset:         3200
        .size:           8
        .value_kind:     hidden_global_offset_y
      - .offset:         3208
        .size:           8
        .value_kind:     hidden_global_offset_z
      - .offset:         3216
        .size:           2
        .value_kind:     hidden_grid_dims
    .group_segment_fixed_size: 0
    .kernarg_segment_align: 8
    .kernarg_segment_size: 3408
    .language:       OpenCL C
    .language_version:
      - 2
      - 0
    .max_flat_workgroup_size: 512
    .name:           _ZN2at6native12_GLOBAL__N_125multi_tensor_apply_kernelINS1_18TensorListMetadataILi2EEENS1_14UnaryOpFunctorIN3c104HalfELi2ELi1ELi1EEEJNS0_4TanhIfEEEEEvT_T0_DpT1_
    .private_segment_fixed_size: 0
    .sgpr_count:     26
    .sgpr_spill_count: 0
    .symbol:         _ZN2at6native12_GLOBAL__N_125multi_tensor_apply_kernelINS1_18TensorListMetadataILi2EEENS1_14UnaryOpFunctorIN3c104HalfELi2ELi1ELi1EEEJNS0_4TanhIfEEEEEvT_T0_DpT1_.kd
    .uniform_work_group_size: 1
    .uses_dynamic_stack: false
    .vgpr_count:     34
    .vgpr_spill_count: 0
    .wavefront_size: 32
    .workgroup_processor_mode: 1
  - .args:
      - .offset:         0
        .size:           3144
        .value_kind:     by_value
      - .offset:         3144
        .size:           1
        .value_kind:     by_value
      - .offset:         3145
        .size:           1
        .value_kind:     by_value
      - .offset:         3152
        .size:           4
        .value_kind:     hidden_block_count_x
      - .offset:         3156
        .size:           4
        .value_kind:     hidden_block_count_y
      - .offset:         3160
        .size:           4
        .value_kind:     hidden_block_count_z
      - .offset:         3164
        .size:           2
        .value_kind:     hidden_group_size_x
      - .offset:         3166
        .size:           2
        .value_kind:     hidden_group_size_y
      - .offset:         3168
        .size:           2
        .value_kind:     hidden_group_size_z
      - .offset:         3170
        .size:           2
        .value_kind:     hidden_remainder_x
      - .offset:         3172
        .size:           2
        .value_kind:     hidden_remainder_y
      - .offset:         3174
        .size:           2
        .value_kind:     hidden_remainder_z
      - .offset:         3192
        .size:           8
        .value_kind:     hidden_global_offset_x
      - .offset:         3200
        .size:           8
        .value_kind:     hidden_global_offset_y
      - .offset:         3208
        .size:           8
        .value_kind:     hidden_global_offset_z
      - .offset:         3216
        .size:           2
        .value_kind:     hidden_grid_dims
    .group_segment_fixed_size: 0
    .kernarg_segment_align: 8
    .kernarg_segment_size: 3408
    .language:       OpenCL C
    .language_version:
      - 2
      - 0
    .max_flat_workgroup_size: 512
    .name:           _ZN2at6native12_GLOBAL__N_125multi_tensor_apply_kernelINS1_18TensorListMetadataILi2EEENS1_14UnaryOpFunctorIN3c108BFloat16ELi2ELi1ELi1EEEJNS0_4TanhIfEEEEEvT_T0_DpT1_
    .private_segment_fixed_size: 0
    .sgpr_count:     20
    .sgpr_spill_count: 0
    .symbol:         _ZN2at6native12_GLOBAL__N_125multi_tensor_apply_kernelINS1_18TensorListMetadataILi2EEENS1_14UnaryOpFunctorIN3c108BFloat16ELi2ELi1ELi1EEEJNS0_4TanhIfEEEEEvT_T0_DpT1_.kd
    .uniform_work_group_size: 1
    .uses_dynamic_stack: false
    .vgpr_count:     34
    .vgpr_spill_count: 0
    .wavefront_size: 32
    .workgroup_processor_mode: 1
  - .args:
      - .offset:         0
        .size:           3368
        .value_kind:     by_value
      - .offset:         3368
        .size:           1
        .value_kind:     by_value
      - .offset:         3369
        .size:           1
        .value_kind:     by_value
      - .offset:         3376
        .size:           4
        .value_kind:     hidden_block_count_x
      - .offset:         3380
        .size:           4
        .value_kind:     hidden_block_count_y
      - .offset:         3384
        .size:           4
        .value_kind:     hidden_block_count_z
      - .offset:         3388
        .size:           2
        .value_kind:     hidden_group_size_x
      - .offset:         3390
        .size:           2
        .value_kind:     hidden_group_size_y
      - .offset:         3392
        .size:           2
        .value_kind:     hidden_group_size_z
      - .offset:         3394
        .size:           2
        .value_kind:     hidden_remainder_x
      - .offset:         3396
        .size:           2
        .value_kind:     hidden_remainder_y
      - .offset:         3398
        .size:           2
        .value_kind:     hidden_remainder_z
      - .offset:         3416
        .size:           8
        .value_kind:     hidden_global_offset_x
      - .offset:         3424
        .size:           8
        .value_kind:     hidden_global_offset_y
      - .offset:         3432
        .size:           8
        .value_kind:     hidden_global_offset_z
      - .offset:         3440
        .size:           2
        .value_kind:     hidden_grid_dims
    .group_segment_fixed_size: 0
    .kernarg_segment_align: 8
    .kernarg_segment_size: 3632
    .language:       OpenCL C
    .language_version:
      - 2
      - 0
    .max_flat_workgroup_size: 512
    .name:           _ZN2at6native12_GLOBAL__N_125multi_tensor_apply_kernelINS1_18TensorListMetadataILi1EEENS1_14UnaryOpFunctorIdLi1ELi1ELi0EEEJNS0_4TanhIdEEEEEvT_T0_DpT1_
    .private_segment_fixed_size: 0
    .sgpr_count:     52
    .sgpr_spill_count: 0
    .symbol:         _ZN2at6native12_GLOBAL__N_125multi_tensor_apply_kernelINS1_18TensorListMetadataILi1EEENS1_14UnaryOpFunctorIdLi1ELi1ELi0EEEJNS0_4TanhIdEEEEEvT_T0_DpT1_.kd
    .uniform_work_group_size: 1
    .uses_dynamic_stack: false
    .vgpr_count:     92
    .vgpr_spill_count: 0
    .wavefront_size: 32
    .workgroup_processor_mode: 1
  - .args:
      - .offset:         0
        .size:           3368
        .value_kind:     by_value
      - .offset:         3368
        .size:           1
        .value_kind:     by_value
      - .offset:         3369
        .size:           1
        .value_kind:     by_value
      - .offset:         3376
        .size:           4
        .value_kind:     hidden_block_count_x
      - .offset:         3380
        .size:           4
        .value_kind:     hidden_block_count_y
      - .offset:         3384
        .size:           4
        .value_kind:     hidden_block_count_z
      - .offset:         3388
        .size:           2
        .value_kind:     hidden_group_size_x
      - .offset:         3390
        .size:           2
        .value_kind:     hidden_group_size_y
      - .offset:         3392
        .size:           2
        .value_kind:     hidden_group_size_z
      - .offset:         3394
        .size:           2
        .value_kind:     hidden_remainder_x
      - .offset:         3396
        .size:           2
        .value_kind:     hidden_remainder_y
      - .offset:         3398
        .size:           2
        .value_kind:     hidden_remainder_z
      - .offset:         3416
        .size:           8
        .value_kind:     hidden_global_offset_x
      - .offset:         3424
        .size:           8
        .value_kind:     hidden_global_offset_y
      - .offset:         3432
        .size:           8
        .value_kind:     hidden_global_offset_z
      - .offset:         3440
        .size:           2
        .value_kind:     hidden_grid_dims
    .group_segment_fixed_size: 0
    .kernarg_segment_align: 8
    .kernarg_segment_size: 3632
    .language:       OpenCL C
    .language_version:
      - 2
      - 0
    .max_flat_workgroup_size: 512
    .name:           _ZN2at6native12_GLOBAL__N_125multi_tensor_apply_kernelINS1_18TensorListMetadataILi1EEENS1_14UnaryOpFunctorIfLi1ELi1ELi0EEEJNS0_4TanhIfEEEEEvT_T0_DpT1_
    .private_segment_fixed_size: 0
    .sgpr_count:     24
    .sgpr_spill_count: 0
    .symbol:         _ZN2at6native12_GLOBAL__N_125multi_tensor_apply_kernelINS1_18TensorListMetadataILi1EEENS1_14UnaryOpFunctorIfLi1ELi1ELi0EEEJNS0_4TanhIfEEEEEvT_T0_DpT1_.kd
    .uniform_work_group_size: 1
    .uses_dynamic_stack: false
    .vgpr_count:     22
    .vgpr_spill_count: 0
    .wavefront_size: 32
    .workgroup_processor_mode: 1
  - .args:
      - .offset:         0
        .size:           3368
        .value_kind:     by_value
      - .offset:         3368
        .size:           1
        .value_kind:     by_value
      - .offset:         3369
        .size:           1
        .value_kind:     by_value
      - .offset:         3376
        .size:           4
        .value_kind:     hidden_block_count_x
      - .offset:         3380
        .size:           4
        .value_kind:     hidden_block_count_y
      - .offset:         3384
        .size:           4
        .value_kind:     hidden_block_count_z
      - .offset:         3388
        .size:           2
        .value_kind:     hidden_group_size_x
      - .offset:         3390
        .size:           2
        .value_kind:     hidden_group_size_y
      - .offset:         3392
        .size:           2
        .value_kind:     hidden_group_size_z
      - .offset:         3394
        .size:           2
        .value_kind:     hidden_remainder_x
      - .offset:         3396
        .size:           2
        .value_kind:     hidden_remainder_y
      - .offset:         3398
        .size:           2
        .value_kind:     hidden_remainder_z
      - .offset:         3416
        .size:           8
        .value_kind:     hidden_global_offset_x
      - .offset:         3424
        .size:           8
        .value_kind:     hidden_global_offset_y
      - .offset:         3432
        .size:           8
        .value_kind:     hidden_global_offset_z
      - .offset:         3440
        .size:           2
        .value_kind:     hidden_grid_dims
    .group_segment_fixed_size: 0
    .kernarg_segment_align: 8
    .kernarg_segment_size: 3632
    .language:       OpenCL C
    .language_version:
      - 2
      - 0
    .max_flat_workgroup_size: 512
    .name:           _ZN2at6native12_GLOBAL__N_125multi_tensor_apply_kernelINS1_18TensorListMetadataILi1EEENS1_14UnaryOpFunctorIN3c107complexIdEELi1ELi1ELi0EEEJNS0_4TanhIS8_EEEEEvT_T0_DpT1_
    .private_segment_fixed_size: 0
    .sgpr_count:     107
    .sgpr_spill_count: 2
    .symbol:         _ZN2at6native12_GLOBAL__N_125multi_tensor_apply_kernelINS1_18TensorListMetadataILi1EEENS1_14UnaryOpFunctorIN3c107complexIdEELi1ELi1ELi0EEEJNS0_4TanhIS8_EEEEEvT_T0_DpT1_.kd
    .uniform_work_group_size: 1
    .uses_dynamic_stack: false
    .vgpr_count:     70
    .vgpr_spill_count: 0
    .wavefront_size: 32
    .workgroup_processor_mode: 1
  - .args:
      - .offset:         0
        .size:           3368
        .value_kind:     by_value
      - .offset:         3368
        .size:           1
        .value_kind:     by_value
      - .offset:         3369
        .size:           1
        .value_kind:     by_value
      - .offset:         3376
        .size:           4
        .value_kind:     hidden_block_count_x
      - .offset:         3380
        .size:           4
        .value_kind:     hidden_block_count_y
      - .offset:         3384
        .size:           4
        .value_kind:     hidden_block_count_z
      - .offset:         3388
        .size:           2
        .value_kind:     hidden_group_size_x
      - .offset:         3390
        .size:           2
        .value_kind:     hidden_group_size_y
      - .offset:         3392
        .size:           2
        .value_kind:     hidden_group_size_z
      - .offset:         3394
        .size:           2
        .value_kind:     hidden_remainder_x
      - .offset:         3396
        .size:           2
        .value_kind:     hidden_remainder_y
      - .offset:         3398
        .size:           2
        .value_kind:     hidden_remainder_z
      - .offset:         3416
        .size:           8
        .value_kind:     hidden_global_offset_x
      - .offset:         3424
        .size:           8
        .value_kind:     hidden_global_offset_y
      - .offset:         3432
        .size:           8
        .value_kind:     hidden_global_offset_z
      - .offset:         3440
        .size:           2
        .value_kind:     hidden_grid_dims
    .group_segment_fixed_size: 0
    .kernarg_segment_align: 8
    .kernarg_segment_size: 3632
    .language:       OpenCL C
    .language_version:
      - 2
      - 0
    .max_flat_workgroup_size: 512
    .name:           _ZN2at6native12_GLOBAL__N_125multi_tensor_apply_kernelINS1_18TensorListMetadataILi1EEENS1_14UnaryOpFunctorIN3c107complexIfEELi1ELi1ELi0EEEJNS0_4TanhIS8_EEEEEvT_T0_DpT1_
    .private_segment_fixed_size: 0
    .sgpr_count:     37
    .sgpr_spill_count: 0
    .symbol:         _ZN2at6native12_GLOBAL__N_125multi_tensor_apply_kernelINS1_18TensorListMetadataILi1EEENS1_14UnaryOpFunctorIN3c107complexIfEELi1ELi1ELi0EEEJNS0_4TanhIS8_EEEEEvT_T0_DpT1_.kd
    .uniform_work_group_size: 1
    .uses_dynamic_stack: false
    .vgpr_count:     37
    .vgpr_spill_count: 0
    .wavefront_size: 32
    .workgroup_processor_mode: 1
  - .args:
      - .offset:         0
        .size:           3368
        .value_kind:     by_value
      - .offset:         3368
        .size:           1
        .value_kind:     by_value
      - .offset:         3369
        .size:           1
        .value_kind:     by_value
      - .offset:         3376
        .size:           4
        .value_kind:     hidden_block_count_x
      - .offset:         3380
        .size:           4
        .value_kind:     hidden_block_count_y
      - .offset:         3384
        .size:           4
        .value_kind:     hidden_block_count_z
      - .offset:         3388
        .size:           2
        .value_kind:     hidden_group_size_x
      - .offset:         3390
        .size:           2
        .value_kind:     hidden_group_size_y
      - .offset:         3392
        .size:           2
        .value_kind:     hidden_group_size_z
      - .offset:         3394
        .size:           2
        .value_kind:     hidden_remainder_x
      - .offset:         3396
        .size:           2
        .value_kind:     hidden_remainder_y
      - .offset:         3398
        .size:           2
        .value_kind:     hidden_remainder_z
      - .offset:         3416
        .size:           8
        .value_kind:     hidden_global_offset_x
      - .offset:         3424
        .size:           8
        .value_kind:     hidden_global_offset_y
      - .offset:         3432
        .size:           8
        .value_kind:     hidden_global_offset_z
      - .offset:         3440
        .size:           2
        .value_kind:     hidden_grid_dims
    .group_segment_fixed_size: 0
    .kernarg_segment_align: 8
    .kernarg_segment_size: 3632
    .language:       OpenCL C
    .language_version:
      - 2
      - 0
    .max_flat_workgroup_size: 512
    .name:           _ZN2at6native12_GLOBAL__N_125multi_tensor_apply_kernelINS1_18TensorListMetadataILi1EEENS1_14UnaryOpFunctorIN3c104HalfELi1ELi1ELi0EEEJNS0_4TanhIfEEEEEvT_T0_DpT1_
    .private_segment_fixed_size: 0
    .sgpr_count:     23
    .sgpr_spill_count: 0
    .symbol:         _ZN2at6native12_GLOBAL__N_125multi_tensor_apply_kernelINS1_18TensorListMetadataILi1EEENS1_14UnaryOpFunctorIN3c104HalfELi1ELi1ELi0EEEJNS0_4TanhIfEEEEEvT_T0_DpT1_.kd
    .uniform_work_group_size: 1
    .uses_dynamic_stack: false
    .vgpr_count:     22
    .vgpr_spill_count: 0
    .wavefront_size: 32
    .workgroup_processor_mode: 1
  - .args:
      - .offset:         0
        .size:           3368
        .value_kind:     by_value
      - .offset:         3368
        .size:           1
        .value_kind:     by_value
      - .offset:         3369
        .size:           1
        .value_kind:     by_value
      - .offset:         3376
        .size:           4
        .value_kind:     hidden_block_count_x
      - .offset:         3380
        .size:           4
        .value_kind:     hidden_block_count_y
      - .offset:         3384
        .size:           4
        .value_kind:     hidden_block_count_z
      - .offset:         3388
        .size:           2
        .value_kind:     hidden_group_size_x
      - .offset:         3390
        .size:           2
        .value_kind:     hidden_group_size_y
      - .offset:         3392
        .size:           2
        .value_kind:     hidden_group_size_z
      - .offset:         3394
        .size:           2
        .value_kind:     hidden_remainder_x
      - .offset:         3396
        .size:           2
        .value_kind:     hidden_remainder_y
      - .offset:         3398
        .size:           2
        .value_kind:     hidden_remainder_z
      - .offset:         3416
        .size:           8
        .value_kind:     hidden_global_offset_x
      - .offset:         3424
        .size:           8
        .value_kind:     hidden_global_offset_y
      - .offset:         3432
        .size:           8
        .value_kind:     hidden_global_offset_z
      - .offset:         3440
        .size:           2
        .value_kind:     hidden_grid_dims
    .group_segment_fixed_size: 0
    .kernarg_segment_align: 8
    .kernarg_segment_size: 3632
    .language:       OpenCL C
    .language_version:
      - 2
      - 0
    .max_flat_workgroup_size: 512
    .name:           _ZN2at6native12_GLOBAL__N_125multi_tensor_apply_kernelINS1_18TensorListMetadataILi1EEENS1_14UnaryOpFunctorIN3c108BFloat16ELi1ELi1ELi0EEEJNS0_4TanhIfEEEEEvT_T0_DpT1_
    .private_segment_fixed_size: 0
    .sgpr_count:     23
    .sgpr_spill_count: 0
    .symbol:         _ZN2at6native12_GLOBAL__N_125multi_tensor_apply_kernelINS1_18TensorListMetadataILi1EEENS1_14UnaryOpFunctorIN3c108BFloat16ELi1ELi1ELi0EEEJNS0_4TanhIfEEEEEvT_T0_DpT1_.kd
    .uniform_work_group_size: 1
    .uses_dynamic_stack: false
    .vgpr_count:     22
    .vgpr_spill_count: 0
    .wavefront_size: 32
    .workgroup_processor_mode: 1
  - .args:
      - .offset:         0
        .size:           3144
        .value_kind:     by_value
      - .offset:         3144
        .size:           1
        .value_kind:     by_value
      - .offset:         3145
        .size:           1
        .value_kind:     by_value
      - .offset:         3152
        .size:           4
        .value_kind:     hidden_block_count_x
      - .offset:         3156
        .size:           4
        .value_kind:     hidden_block_count_y
      - .offset:         3160
        .size:           4
        .value_kind:     hidden_block_count_z
      - .offset:         3164
        .size:           2
        .value_kind:     hidden_group_size_x
      - .offset:         3166
        .size:           2
        .value_kind:     hidden_group_size_y
      - .offset:         3168
        .size:           2
        .value_kind:     hidden_group_size_z
      - .offset:         3170
        .size:           2
        .value_kind:     hidden_remainder_x
      - .offset:         3172
        .size:           2
        .value_kind:     hidden_remainder_y
      - .offset:         3174
        .size:           2
        .value_kind:     hidden_remainder_z
      - .offset:         3192
        .size:           8
        .value_kind:     hidden_global_offset_x
      - .offset:         3200
        .size:           8
        .value_kind:     hidden_global_offset_y
      - .offset:         3208
        .size:           8
        .value_kind:     hidden_global_offset_z
      - .offset:         3216
        .size:           2
        .value_kind:     hidden_grid_dims
    .group_segment_fixed_size: 0
    .kernarg_segment_align: 8
    .kernarg_segment_size: 3408
    .language:       OpenCL C
    .language_version:
      - 2
      - 0
    .max_flat_workgroup_size: 512
    .name:           _ZN2at6native12_GLOBAL__N_125multi_tensor_apply_kernelINS1_18TensorListMetadataILi2EEENS1_14UnaryOpFunctorIdLi2ELi1ELi1EEEJNS0_3LogIdEEEEEvT_T0_DpT1_
    .private_segment_fixed_size: 0
    .sgpr_count:     47
    .sgpr_spill_count: 0
    .symbol:         _ZN2at6native12_GLOBAL__N_125multi_tensor_apply_kernelINS1_18TensorListMetadataILi2EEENS1_14UnaryOpFunctorIdLi2ELi1ELi1EEEJNS0_3LogIdEEEEEvT_T0_DpT1_.kd
    .uniform_work_group_size: 1
    .uses_dynamic_stack: false
    .vgpr_count:     86
    .vgpr_spill_count: 0
    .wavefront_size: 32
    .workgroup_processor_mode: 1
  - .args:
      - .offset:         0
        .size:           3144
        .value_kind:     by_value
      - .offset:         3144
        .size:           1
        .value_kind:     by_value
      - .offset:         3145
        .size:           1
        .value_kind:     by_value
      - .offset:         3152
        .size:           4
        .value_kind:     hidden_block_count_x
      - .offset:         3156
        .size:           4
        .value_kind:     hidden_block_count_y
      - .offset:         3160
        .size:           4
        .value_kind:     hidden_block_count_z
      - .offset:         3164
        .size:           2
        .value_kind:     hidden_group_size_x
      - .offset:         3166
        .size:           2
        .value_kind:     hidden_group_size_y
      - .offset:         3168
        .size:           2
        .value_kind:     hidden_group_size_z
      - .offset:         3170
        .size:           2
        .value_kind:     hidden_remainder_x
      - .offset:         3172
        .size:           2
        .value_kind:     hidden_remainder_y
      - .offset:         3174
        .size:           2
        .value_kind:     hidden_remainder_z
      - .offset:         3192
        .size:           8
        .value_kind:     hidden_global_offset_x
      - .offset:         3200
        .size:           8
        .value_kind:     hidden_global_offset_y
      - .offset:         3208
        .size:           8
        .value_kind:     hidden_global_offset_z
      - .offset:         3216
        .size:           2
        .value_kind:     hidden_grid_dims
    .group_segment_fixed_size: 0
    .kernarg_segment_align: 8
    .kernarg_segment_size: 3408
    .language:       OpenCL C
    .language_version:
      - 2
      - 0
    .max_flat_workgroup_size: 512
    .name:           _ZN2at6native12_GLOBAL__N_125multi_tensor_apply_kernelINS1_18TensorListMetadataILi2EEENS1_14UnaryOpFunctorIfLi2ELi1ELi1EEEJNS0_3LogIfEEEEEvT_T0_DpT1_
    .private_segment_fixed_size: 0
    .sgpr_count:     26
    .sgpr_spill_count: 0
    .symbol:         _ZN2at6native12_GLOBAL__N_125multi_tensor_apply_kernelINS1_18TensorListMetadataILi2EEENS1_14UnaryOpFunctorIfLi2ELi1ELi1EEEJNS0_3LogIfEEEEEvT_T0_DpT1_.kd
    .uniform_work_group_size: 1
    .uses_dynamic_stack: false
    .vgpr_count:     30
    .vgpr_spill_count: 0
    .wavefront_size: 32
    .workgroup_processor_mode: 1
  - .args:
      - .offset:         0
        .size:           3144
        .value_kind:     by_value
      - .offset:         3144
        .size:           1
        .value_kind:     by_value
      - .offset:         3145
        .size:           1
        .value_kind:     by_value
      - .offset:         3152
        .size:           4
        .value_kind:     hidden_block_count_x
      - .offset:         3156
        .size:           4
        .value_kind:     hidden_block_count_y
      - .offset:         3160
        .size:           4
        .value_kind:     hidden_block_count_z
      - .offset:         3164
        .size:           2
        .value_kind:     hidden_group_size_x
      - .offset:         3166
        .size:           2
        .value_kind:     hidden_group_size_y
      - .offset:         3168
        .size:           2
        .value_kind:     hidden_group_size_z
      - .offset:         3170
        .size:           2
        .value_kind:     hidden_remainder_x
      - .offset:         3172
        .size:           2
        .value_kind:     hidden_remainder_y
      - .offset:         3174
        .size:           2
        .value_kind:     hidden_remainder_z
      - .offset:         3192
        .size:           8
        .value_kind:     hidden_global_offset_x
      - .offset:         3200
        .size:           8
        .value_kind:     hidden_global_offset_y
      - .offset:         3208
        .size:           8
        .value_kind:     hidden_global_offset_z
      - .offset:         3216
        .size:           2
        .value_kind:     hidden_grid_dims
    .group_segment_fixed_size: 0
    .kernarg_segment_align: 8
    .kernarg_segment_size: 3408
    .language:       OpenCL C
    .language_version:
      - 2
      - 0
    .max_flat_workgroup_size: 512
    .name:           _ZN2at6native12_GLOBAL__N_125multi_tensor_apply_kernelINS1_18TensorListMetadataILi2EEENS1_14UnaryOpFunctorIN3c107complexIdEELi2ELi1ELi1EEEJNS0_3LogIS8_EEEEEvT_T0_DpT1_
    .private_segment_fixed_size: 0
    .sgpr_count:     107
    .sgpr_spill_count: 0
    .symbol:         _ZN2at6native12_GLOBAL__N_125multi_tensor_apply_kernelINS1_18TensorListMetadataILi2EEENS1_14UnaryOpFunctorIN3c107complexIdEELi2ELi1ELi1EEEJNS0_3LogIS8_EEEEEvT_T0_DpT1_.kd
    .uniform_work_group_size: 1
    .uses_dynamic_stack: false
    .vgpr_count:     75
    .vgpr_spill_count: 0
    .wavefront_size: 32
    .workgroup_processor_mode: 1
  - .args:
      - .offset:         0
        .size:           3144
        .value_kind:     by_value
      - .offset:         3144
        .size:           1
        .value_kind:     by_value
      - .offset:         3145
        .size:           1
        .value_kind:     by_value
      - .offset:         3152
        .size:           4
        .value_kind:     hidden_block_count_x
      - .offset:         3156
        .size:           4
        .value_kind:     hidden_block_count_y
      - .offset:         3160
        .size:           4
        .value_kind:     hidden_block_count_z
      - .offset:         3164
        .size:           2
        .value_kind:     hidden_group_size_x
      - .offset:         3166
        .size:           2
        .value_kind:     hidden_group_size_y
      - .offset:         3168
        .size:           2
        .value_kind:     hidden_group_size_z
      - .offset:         3170
        .size:           2
        .value_kind:     hidden_remainder_x
      - .offset:         3172
        .size:           2
        .value_kind:     hidden_remainder_y
      - .offset:         3174
        .size:           2
        .value_kind:     hidden_remainder_z
      - .offset:         3192
        .size:           8
        .value_kind:     hidden_global_offset_x
      - .offset:         3200
        .size:           8
        .value_kind:     hidden_global_offset_y
      - .offset:         3208
        .size:           8
        .value_kind:     hidden_global_offset_z
      - .offset:         3216
        .size:           2
        .value_kind:     hidden_grid_dims
    .group_segment_fixed_size: 0
    .kernarg_segment_align: 8
    .kernarg_segment_size: 3408
    .language:       OpenCL C
    .language_version:
      - 2
      - 0
    .max_flat_workgroup_size: 512
    .name:           _ZN2at6native12_GLOBAL__N_125multi_tensor_apply_kernelINS1_18TensorListMetadataILi2EEENS1_14UnaryOpFunctorIN3c107complexIfEELi2ELi1ELi1EEEJNS0_3LogIS8_EEEEEvT_T0_DpT1_
    .private_segment_fixed_size: 0
    .sgpr_count:     39
    .sgpr_spill_count: 0
    .symbol:         _ZN2at6native12_GLOBAL__N_125multi_tensor_apply_kernelINS1_18TensorListMetadataILi2EEENS1_14UnaryOpFunctorIN3c107complexIfEELi2ELi1ELi1EEEJNS0_3LogIS8_EEEEEvT_T0_DpT1_.kd
    .uniform_work_group_size: 1
    .uses_dynamic_stack: false
    .vgpr_count:     40
    .vgpr_spill_count: 0
    .wavefront_size: 32
    .workgroup_processor_mode: 1
  - .args:
      - .offset:         0
        .size:           3144
        .value_kind:     by_value
      - .offset:         3144
        .size:           1
        .value_kind:     by_value
      - .offset:         3145
        .size:           1
        .value_kind:     by_value
      - .offset:         3152
        .size:           4
        .value_kind:     hidden_block_count_x
      - .offset:         3156
        .size:           4
        .value_kind:     hidden_block_count_y
      - .offset:         3160
        .size:           4
        .value_kind:     hidden_block_count_z
      - .offset:         3164
        .size:           2
        .value_kind:     hidden_group_size_x
      - .offset:         3166
        .size:           2
        .value_kind:     hidden_group_size_y
      - .offset:         3168
        .size:           2
        .value_kind:     hidden_group_size_z
      - .offset:         3170
        .size:           2
        .value_kind:     hidden_remainder_x
      - .offset:         3172
        .size:           2
        .value_kind:     hidden_remainder_y
      - .offset:         3174
        .size:           2
        .value_kind:     hidden_remainder_z
      - .offset:         3192
        .size:           8
        .value_kind:     hidden_global_offset_x
      - .offset:         3200
        .size:           8
        .value_kind:     hidden_global_offset_y
      - .offset:         3208
        .size:           8
        .value_kind:     hidden_global_offset_z
      - .offset:         3216
        .size:           2
        .value_kind:     hidden_grid_dims
    .group_segment_fixed_size: 0
    .kernarg_segment_align: 8
    .kernarg_segment_size: 3408
    .language:       OpenCL C
    .language_version:
      - 2
      - 0
    .max_flat_workgroup_size: 512
    .name:           _ZN2at6native12_GLOBAL__N_125multi_tensor_apply_kernelINS1_18TensorListMetadataILi2EEENS1_14UnaryOpFunctorIN3c104HalfELi2ELi1ELi1EEEJNS0_3LogIfEEEEEvT_T0_DpT1_
    .private_segment_fixed_size: 0
    .sgpr_count:     24
    .sgpr_spill_count: 0
    .symbol:         _ZN2at6native12_GLOBAL__N_125multi_tensor_apply_kernelINS1_18TensorListMetadataILi2EEENS1_14UnaryOpFunctorIN3c104HalfELi2ELi1ELi1EEEJNS0_3LogIfEEEEEvT_T0_DpT1_.kd
    .uniform_work_group_size: 1
    .uses_dynamic_stack: false
    .vgpr_count:     29
    .vgpr_spill_count: 0
    .wavefront_size: 32
    .workgroup_processor_mode: 1
  - .args:
      - .offset:         0
        .size:           3144
        .value_kind:     by_value
      - .offset:         3144
        .size:           1
        .value_kind:     by_value
      - .offset:         3145
        .size:           1
        .value_kind:     by_value
      - .offset:         3152
        .size:           4
        .value_kind:     hidden_block_count_x
      - .offset:         3156
        .size:           4
        .value_kind:     hidden_block_count_y
      - .offset:         3160
        .size:           4
        .value_kind:     hidden_block_count_z
      - .offset:         3164
        .size:           2
        .value_kind:     hidden_group_size_x
      - .offset:         3166
        .size:           2
        .value_kind:     hidden_group_size_y
      - .offset:         3168
        .size:           2
        .value_kind:     hidden_group_size_z
      - .offset:         3170
        .size:           2
        .value_kind:     hidden_remainder_x
      - .offset:         3172
        .size:           2
        .value_kind:     hidden_remainder_y
      - .offset:         3174
        .size:           2
        .value_kind:     hidden_remainder_z
      - .offset:         3192
        .size:           8
        .value_kind:     hidden_global_offset_x
      - .offset:         3200
        .size:           8
        .value_kind:     hidden_global_offset_y
      - .offset:         3208
        .size:           8
        .value_kind:     hidden_global_offset_z
      - .offset:         3216
        .size:           2
        .value_kind:     hidden_grid_dims
    .group_segment_fixed_size: 0
    .kernarg_segment_align: 8
    .kernarg_segment_size: 3408
    .language:       OpenCL C
    .language_version:
      - 2
      - 0
    .max_flat_workgroup_size: 512
    .name:           _ZN2at6native12_GLOBAL__N_125multi_tensor_apply_kernelINS1_18TensorListMetadataILi2EEENS1_14UnaryOpFunctorIN3c108BFloat16ELi2ELi1ELi1EEEJNS0_3LogIfEEEEEvT_T0_DpT1_
    .private_segment_fixed_size: 0
    .sgpr_count:     21
    .sgpr_spill_count: 0
    .symbol:         _ZN2at6native12_GLOBAL__N_125multi_tensor_apply_kernelINS1_18TensorListMetadataILi2EEENS1_14UnaryOpFunctorIN3c108BFloat16ELi2ELi1ELi1EEEJNS0_3LogIfEEEEEvT_T0_DpT1_.kd
    .uniform_work_group_size: 1
    .uses_dynamic_stack: false
    .vgpr_count:     29
    .vgpr_spill_count: 0
    .wavefront_size: 32
    .workgroup_processor_mode: 1
  - .args:
      - .offset:         0
        .size:           3368
        .value_kind:     by_value
      - .offset:         3368
        .size:           1
        .value_kind:     by_value
      - .offset:         3369
        .size:           1
        .value_kind:     by_value
      - .offset:         3376
        .size:           4
        .value_kind:     hidden_block_count_x
      - .offset:         3380
        .size:           4
        .value_kind:     hidden_block_count_y
      - .offset:         3384
        .size:           4
        .value_kind:     hidden_block_count_z
      - .offset:         3388
        .size:           2
        .value_kind:     hidden_group_size_x
      - .offset:         3390
        .size:           2
        .value_kind:     hidden_group_size_y
      - .offset:         3392
        .size:           2
        .value_kind:     hidden_group_size_z
      - .offset:         3394
        .size:           2
        .value_kind:     hidden_remainder_x
      - .offset:         3396
        .size:           2
        .value_kind:     hidden_remainder_y
      - .offset:         3398
        .size:           2
        .value_kind:     hidden_remainder_z
      - .offset:         3416
        .size:           8
        .value_kind:     hidden_global_offset_x
      - .offset:         3424
        .size:           8
        .value_kind:     hidden_global_offset_y
      - .offset:         3432
        .size:           8
        .value_kind:     hidden_global_offset_z
      - .offset:         3440
        .size:           2
        .value_kind:     hidden_grid_dims
    .group_segment_fixed_size: 0
    .kernarg_segment_align: 8
    .kernarg_segment_size: 3632
    .language:       OpenCL C
    .language_version:
      - 2
      - 0
    .max_flat_workgroup_size: 512
    .name:           _ZN2at6native12_GLOBAL__N_125multi_tensor_apply_kernelINS1_18TensorListMetadataILi1EEENS1_14UnaryOpFunctorIdLi1ELi1ELi0EEEJNS0_3LogIdEEEEEvT_T0_DpT1_
    .private_segment_fixed_size: 0
    .sgpr_count:     44
    .sgpr_spill_count: 0
    .symbol:         _ZN2at6native12_GLOBAL__N_125multi_tensor_apply_kernelINS1_18TensorListMetadataILi1EEENS1_14UnaryOpFunctorIdLi1ELi1ELi0EEEJNS0_3LogIdEEEEEvT_T0_DpT1_.kd
    .uniform_work_group_size: 1
    .uses_dynamic_stack: false
    .vgpr_count:     86
    .vgpr_spill_count: 0
    .wavefront_size: 32
    .workgroup_processor_mode: 1
  - .args:
      - .offset:         0
        .size:           3368
        .value_kind:     by_value
      - .offset:         3368
        .size:           1
        .value_kind:     by_value
      - .offset:         3369
        .size:           1
        .value_kind:     by_value
      - .offset:         3376
        .size:           4
        .value_kind:     hidden_block_count_x
      - .offset:         3380
        .size:           4
        .value_kind:     hidden_block_count_y
      - .offset:         3384
        .size:           4
        .value_kind:     hidden_block_count_z
      - .offset:         3388
        .size:           2
        .value_kind:     hidden_group_size_x
      - .offset:         3390
        .size:           2
        .value_kind:     hidden_group_size_y
      - .offset:         3392
        .size:           2
        .value_kind:     hidden_group_size_z
      - .offset:         3394
        .size:           2
        .value_kind:     hidden_remainder_x
      - .offset:         3396
        .size:           2
        .value_kind:     hidden_remainder_y
      - .offset:         3398
        .size:           2
        .value_kind:     hidden_remainder_z
      - .offset:         3416
        .size:           8
        .value_kind:     hidden_global_offset_x
      - .offset:         3424
        .size:           8
        .value_kind:     hidden_global_offset_y
      - .offset:         3432
        .size:           8
        .value_kind:     hidden_global_offset_z
      - .offset:         3440
        .size:           2
        .value_kind:     hidden_grid_dims
    .group_segment_fixed_size: 0
    .kernarg_segment_align: 8
    .kernarg_segment_size: 3632
    .language:       OpenCL C
    .language_version:
      - 2
      - 0
    .max_flat_workgroup_size: 512
    .name:           _ZN2at6native12_GLOBAL__N_125multi_tensor_apply_kernelINS1_18TensorListMetadataILi1EEENS1_14UnaryOpFunctorIfLi1ELi1ELi0EEEJNS0_3LogIfEEEEEvT_T0_DpT1_
    .private_segment_fixed_size: 0
    .sgpr_count:     23
    .sgpr_spill_count: 0
    .symbol:         _ZN2at6native12_GLOBAL__N_125multi_tensor_apply_kernelINS1_18TensorListMetadataILi1EEENS1_14UnaryOpFunctorIfLi1ELi1ELi0EEEJNS0_3LogIfEEEEEvT_T0_DpT1_.kd
    .uniform_work_group_size: 1
    .uses_dynamic_stack: false
    .vgpr_count:     20
    .vgpr_spill_count: 0
    .wavefront_size: 32
    .workgroup_processor_mode: 1
  - .args:
      - .offset:         0
        .size:           3368
        .value_kind:     by_value
      - .offset:         3368
        .size:           1
        .value_kind:     by_value
      - .offset:         3369
        .size:           1
        .value_kind:     by_value
      - .offset:         3376
        .size:           4
        .value_kind:     hidden_block_count_x
      - .offset:         3380
        .size:           4
        .value_kind:     hidden_block_count_y
      - .offset:         3384
        .size:           4
        .value_kind:     hidden_block_count_z
      - .offset:         3388
        .size:           2
        .value_kind:     hidden_group_size_x
      - .offset:         3390
        .size:           2
        .value_kind:     hidden_group_size_y
      - .offset:         3392
        .size:           2
        .value_kind:     hidden_group_size_z
      - .offset:         3394
        .size:           2
        .value_kind:     hidden_remainder_x
      - .offset:         3396
        .size:           2
        .value_kind:     hidden_remainder_y
      - .offset:         3398
        .size:           2
        .value_kind:     hidden_remainder_z
      - .offset:         3416
        .size:           8
        .value_kind:     hidden_global_offset_x
      - .offset:         3424
        .size:           8
        .value_kind:     hidden_global_offset_y
      - .offset:         3432
        .size:           8
        .value_kind:     hidden_global_offset_z
      - .offset:         3440
        .size:           2
        .value_kind:     hidden_grid_dims
    .group_segment_fixed_size: 0
    .kernarg_segment_align: 8
    .kernarg_segment_size: 3632
    .language:       OpenCL C
    .language_version:
      - 2
      - 0
    .max_flat_workgroup_size: 512
    .name:           _ZN2at6native12_GLOBAL__N_125multi_tensor_apply_kernelINS1_18TensorListMetadataILi1EEENS1_14UnaryOpFunctorIN3c107complexIdEELi1ELi1ELi0EEEJNS0_3LogIS8_EEEEEvT_T0_DpT1_
    .private_segment_fixed_size: 0
    .sgpr_count:     107
    .sgpr_spill_count: 0
    .symbol:         _ZN2at6native12_GLOBAL__N_125multi_tensor_apply_kernelINS1_18TensorListMetadataILi1EEENS1_14UnaryOpFunctorIN3c107complexIdEELi1ELi1ELi0EEEJNS0_3LogIS8_EEEEEvT_T0_DpT1_.kd
    .uniform_work_group_size: 1
    .uses_dynamic_stack: false
    .vgpr_count:     74
    .vgpr_spill_count: 0
    .wavefront_size: 32
    .workgroup_processor_mode: 1
  - .args:
      - .offset:         0
        .size:           3368
        .value_kind:     by_value
      - .offset:         3368
        .size:           1
        .value_kind:     by_value
      - .offset:         3369
        .size:           1
        .value_kind:     by_value
      - .offset:         3376
        .size:           4
        .value_kind:     hidden_block_count_x
      - .offset:         3380
        .size:           4
        .value_kind:     hidden_block_count_y
      - .offset:         3384
        .size:           4
        .value_kind:     hidden_block_count_z
      - .offset:         3388
        .size:           2
        .value_kind:     hidden_group_size_x
      - .offset:         3390
        .size:           2
        .value_kind:     hidden_group_size_y
      - .offset:         3392
        .size:           2
        .value_kind:     hidden_group_size_z
      - .offset:         3394
        .size:           2
        .value_kind:     hidden_remainder_x
      - .offset:         3396
        .size:           2
        .value_kind:     hidden_remainder_y
      - .offset:         3398
        .size:           2
        .value_kind:     hidden_remainder_z
      - .offset:         3416
        .size:           8
        .value_kind:     hidden_global_offset_x
      - .offset:         3424
        .size:           8
        .value_kind:     hidden_global_offset_y
      - .offset:         3432
        .size:           8
        .value_kind:     hidden_global_offset_z
      - .offset:         3440
        .size:           2
        .value_kind:     hidden_grid_dims
    .group_segment_fixed_size: 0
    .kernarg_segment_align: 8
    .kernarg_segment_size: 3632
    .language:       OpenCL C
    .language_version:
      - 2
      - 0
    .max_flat_workgroup_size: 512
    .name:           _ZN2at6native12_GLOBAL__N_125multi_tensor_apply_kernelINS1_18TensorListMetadataILi1EEENS1_14UnaryOpFunctorIN3c107complexIfEELi1ELi1ELi0EEEJNS0_3LogIS8_EEEEEvT_T0_DpT1_
    .private_segment_fixed_size: 0
    .sgpr_count:     39
    .sgpr_spill_count: 0
    .symbol:         _ZN2at6native12_GLOBAL__N_125multi_tensor_apply_kernelINS1_18TensorListMetadataILi1EEENS1_14UnaryOpFunctorIN3c107complexIfEELi1ELi1ELi0EEEJNS0_3LogIS8_EEEEEvT_T0_DpT1_.kd
    .uniform_work_group_size: 1
    .uses_dynamic_stack: false
    .vgpr_count:     40
    .vgpr_spill_count: 0
    .wavefront_size: 32
    .workgroup_processor_mode: 1
  - .args:
      - .offset:         0
        .size:           3368
        .value_kind:     by_value
      - .offset:         3368
        .size:           1
        .value_kind:     by_value
      - .offset:         3369
        .size:           1
        .value_kind:     by_value
      - .offset:         3376
        .size:           4
        .value_kind:     hidden_block_count_x
      - .offset:         3380
        .size:           4
        .value_kind:     hidden_block_count_y
      - .offset:         3384
        .size:           4
        .value_kind:     hidden_block_count_z
      - .offset:         3388
        .size:           2
        .value_kind:     hidden_group_size_x
      - .offset:         3390
        .size:           2
        .value_kind:     hidden_group_size_y
      - .offset:         3392
        .size:           2
        .value_kind:     hidden_group_size_z
      - .offset:         3394
        .size:           2
        .value_kind:     hidden_remainder_x
      - .offset:         3396
        .size:           2
        .value_kind:     hidden_remainder_y
      - .offset:         3398
        .size:           2
        .value_kind:     hidden_remainder_z
      - .offset:         3416
        .size:           8
        .value_kind:     hidden_global_offset_x
      - .offset:         3424
        .size:           8
        .value_kind:     hidden_global_offset_y
      - .offset:         3432
        .size:           8
        .value_kind:     hidden_global_offset_z
      - .offset:         3440
        .size:           2
        .value_kind:     hidden_grid_dims
    .group_segment_fixed_size: 0
    .kernarg_segment_align: 8
    .kernarg_segment_size: 3632
    .language:       OpenCL C
    .language_version:
      - 2
      - 0
    .max_flat_workgroup_size: 512
    .name:           _ZN2at6native12_GLOBAL__N_125multi_tensor_apply_kernelINS1_18TensorListMetadataILi1EEENS1_14UnaryOpFunctorIN3c104HalfELi1ELi1ELi0EEEJNS0_3LogIfEEEEEvT_T0_DpT1_
    .private_segment_fixed_size: 0
    .sgpr_count:     22
    .sgpr_spill_count: 0
    .symbol:         _ZN2at6native12_GLOBAL__N_125multi_tensor_apply_kernelINS1_18TensorListMetadataILi1EEENS1_14UnaryOpFunctorIN3c104HalfELi1ELi1ELi0EEEJNS0_3LogIfEEEEEvT_T0_DpT1_.kd
    .uniform_work_group_size: 1
    .uses_dynamic_stack: false
    .vgpr_count:     17
    .vgpr_spill_count: 0
    .wavefront_size: 32
    .workgroup_processor_mode: 1
  - .args:
      - .offset:         0
        .size:           3368
        .value_kind:     by_value
      - .offset:         3368
        .size:           1
        .value_kind:     by_value
      - .offset:         3369
        .size:           1
        .value_kind:     by_value
      - .offset:         3376
        .size:           4
        .value_kind:     hidden_block_count_x
      - .offset:         3380
        .size:           4
        .value_kind:     hidden_block_count_y
      - .offset:         3384
        .size:           4
        .value_kind:     hidden_block_count_z
      - .offset:         3388
        .size:           2
        .value_kind:     hidden_group_size_x
      - .offset:         3390
        .size:           2
        .value_kind:     hidden_group_size_y
      - .offset:         3392
        .size:           2
        .value_kind:     hidden_group_size_z
      - .offset:         3394
        .size:           2
        .value_kind:     hidden_remainder_x
      - .offset:         3396
        .size:           2
        .value_kind:     hidden_remainder_y
      - .offset:         3398
        .size:           2
        .value_kind:     hidden_remainder_z
      - .offset:         3416
        .size:           8
        .value_kind:     hidden_global_offset_x
      - .offset:         3424
        .size:           8
        .value_kind:     hidden_global_offset_y
      - .offset:         3432
        .size:           8
        .value_kind:     hidden_global_offset_z
      - .offset:         3440
        .size:           2
        .value_kind:     hidden_grid_dims
    .group_segment_fixed_size: 0
    .kernarg_segment_align: 8
    .kernarg_segment_size: 3632
    .language:       OpenCL C
    .language_version:
      - 2
      - 0
    .max_flat_workgroup_size: 512
    .name:           _ZN2at6native12_GLOBAL__N_125multi_tensor_apply_kernelINS1_18TensorListMetadataILi1EEENS1_14UnaryOpFunctorIN3c108BFloat16ELi1ELi1ELi0EEEJNS0_3LogIfEEEEEvT_T0_DpT1_
    .private_segment_fixed_size: 0
    .sgpr_count:     22
    .sgpr_spill_count: 0
    .symbol:         _ZN2at6native12_GLOBAL__N_125multi_tensor_apply_kernelINS1_18TensorListMetadataILi1EEENS1_14UnaryOpFunctorIN3c108BFloat16ELi1ELi1ELi0EEEJNS0_3LogIfEEEEEvT_T0_DpT1_.kd
    .uniform_work_group_size: 1
    .uses_dynamic_stack: false
    .vgpr_count:     20
    .vgpr_spill_count: 0
    .wavefront_size: 32
    .workgroup_processor_mode: 1
  - .args:
      - .offset:         0
        .size:           3144
        .value_kind:     by_value
      - .offset:         3144
        .size:           1
        .value_kind:     by_value
      - .offset:         3145
        .size:           1
        .value_kind:     by_value
      - .offset:         3152
        .size:           4
        .value_kind:     hidden_block_count_x
      - .offset:         3156
        .size:           4
        .value_kind:     hidden_block_count_y
      - .offset:         3160
        .size:           4
        .value_kind:     hidden_block_count_z
      - .offset:         3164
        .size:           2
        .value_kind:     hidden_group_size_x
      - .offset:         3166
        .size:           2
        .value_kind:     hidden_group_size_y
      - .offset:         3168
        .size:           2
        .value_kind:     hidden_group_size_z
      - .offset:         3170
        .size:           2
        .value_kind:     hidden_remainder_x
      - .offset:         3172
        .size:           2
        .value_kind:     hidden_remainder_y
      - .offset:         3174
        .size:           2
        .value_kind:     hidden_remainder_z
      - .offset:         3192
        .size:           8
        .value_kind:     hidden_global_offset_x
      - .offset:         3200
        .size:           8
        .value_kind:     hidden_global_offset_y
      - .offset:         3208
        .size:           8
        .value_kind:     hidden_global_offset_z
      - .offset:         3216
        .size:           2
        .value_kind:     hidden_grid_dims
    .group_segment_fixed_size: 0
    .kernarg_segment_align: 8
    .kernarg_segment_size: 3408
    .language:       OpenCL C
    .language_version:
      - 2
      - 0
    .max_flat_workgroup_size: 512
    .name:           _ZN2at6native12_GLOBAL__N_125multi_tensor_apply_kernelINS1_18TensorListMetadataILi2EEENS1_14UnaryOpFunctorIdLi2ELi1ELi1EEEJNS0_5Log10IdEEEEEvT_T0_DpT1_
    .private_segment_fixed_size: 0
    .sgpr_count:     51
    .sgpr_spill_count: 0
    .symbol:         _ZN2at6native12_GLOBAL__N_125multi_tensor_apply_kernelINS1_18TensorListMetadataILi2EEENS1_14UnaryOpFunctorIdLi2ELi1ELi1EEEJNS0_5Log10IdEEEEEvT_T0_DpT1_.kd
    .uniform_work_group_size: 1
    .uses_dynamic_stack: false
    .vgpr_count:     86
    .vgpr_spill_count: 0
    .wavefront_size: 32
    .workgroup_processor_mode: 1
  - .args:
      - .offset:         0
        .size:           3144
        .value_kind:     by_value
      - .offset:         3144
        .size:           1
        .value_kind:     by_value
      - .offset:         3145
        .size:           1
        .value_kind:     by_value
      - .offset:         3152
        .size:           4
        .value_kind:     hidden_block_count_x
      - .offset:         3156
        .size:           4
        .value_kind:     hidden_block_count_y
      - .offset:         3160
        .size:           4
        .value_kind:     hidden_block_count_z
      - .offset:         3164
        .size:           2
        .value_kind:     hidden_group_size_x
      - .offset:         3166
        .size:           2
        .value_kind:     hidden_group_size_y
      - .offset:         3168
        .size:           2
        .value_kind:     hidden_group_size_z
      - .offset:         3170
        .size:           2
        .value_kind:     hidden_remainder_x
      - .offset:         3172
        .size:           2
        .value_kind:     hidden_remainder_y
      - .offset:         3174
        .size:           2
        .value_kind:     hidden_remainder_z
      - .offset:         3192
        .size:           8
        .value_kind:     hidden_global_offset_x
      - .offset:         3200
        .size:           8
        .value_kind:     hidden_global_offset_y
      - .offset:         3208
        .size:           8
        .value_kind:     hidden_global_offset_z
      - .offset:         3216
        .size:           2
        .value_kind:     hidden_grid_dims
    .group_segment_fixed_size: 0
    .kernarg_segment_align: 8
    .kernarg_segment_size: 3408
    .language:       OpenCL C
    .language_version:
      - 2
      - 0
    .max_flat_workgroup_size: 512
    .name:           _ZN2at6native12_GLOBAL__N_125multi_tensor_apply_kernelINS1_18TensorListMetadataILi2EEENS1_14UnaryOpFunctorIfLi2ELi1ELi1EEEJNS0_5Log10IfEEEEEvT_T0_DpT1_
    .private_segment_fixed_size: 0
    .sgpr_count:     26
    .sgpr_spill_count: 0
    .symbol:         _ZN2at6native12_GLOBAL__N_125multi_tensor_apply_kernelINS1_18TensorListMetadataILi2EEENS1_14UnaryOpFunctorIfLi2ELi1ELi1EEEJNS0_5Log10IfEEEEEvT_T0_DpT1_.kd
    .uniform_work_group_size: 1
    .uses_dynamic_stack: false
    .vgpr_count:     30
    .vgpr_spill_count: 0
    .wavefront_size: 32
    .workgroup_processor_mode: 1
  - .args:
      - .offset:         0
        .size:           3144
        .value_kind:     by_value
      - .offset:         3144
        .size:           1
        .value_kind:     by_value
      - .offset:         3145
        .size:           1
        .value_kind:     by_value
      - .offset:         3152
        .size:           4
        .value_kind:     hidden_block_count_x
      - .offset:         3156
        .size:           4
        .value_kind:     hidden_block_count_y
      - .offset:         3160
        .size:           4
        .value_kind:     hidden_block_count_z
      - .offset:         3164
        .size:           2
        .value_kind:     hidden_group_size_x
      - .offset:         3166
        .size:           2
        .value_kind:     hidden_group_size_y
      - .offset:         3168
        .size:           2
        .value_kind:     hidden_group_size_z
      - .offset:         3170
        .size:           2
        .value_kind:     hidden_remainder_x
      - .offset:         3172
        .size:           2
        .value_kind:     hidden_remainder_y
      - .offset:         3174
        .size:           2
        .value_kind:     hidden_remainder_z
      - .offset:         3192
        .size:           8
        .value_kind:     hidden_global_offset_x
      - .offset:         3200
        .size:           8
        .value_kind:     hidden_global_offset_y
      - .offset:         3208
        .size:           8
        .value_kind:     hidden_global_offset_z
      - .offset:         3216
        .size:           2
        .value_kind:     hidden_grid_dims
    .group_segment_fixed_size: 0
    .kernarg_segment_align: 8
    .kernarg_segment_size: 3408
    .language:       OpenCL C
    .language_version:
      - 2
      - 0
    .max_flat_workgroup_size: 512
    .name:           _ZN2at6native12_GLOBAL__N_125multi_tensor_apply_kernelINS1_18TensorListMetadataILi2EEENS1_14UnaryOpFunctorIN3c107complexIdEELi2ELi1ELi1EEEJNS0_5Log10IS8_EEEEEvT_T0_DpT1_
    .private_segment_fixed_size: 0
    .sgpr_count:     107
    .sgpr_spill_count: 0
    .symbol:         _ZN2at6native12_GLOBAL__N_125multi_tensor_apply_kernelINS1_18TensorListMetadataILi2EEENS1_14UnaryOpFunctorIN3c107complexIdEELi2ELi1ELi1EEEJNS0_5Log10IS8_EEEEEvT_T0_DpT1_.kd
    .uniform_work_group_size: 1
    .uses_dynamic_stack: false
    .vgpr_count:     89
    .vgpr_spill_count: 0
    .wavefront_size: 32
    .workgroup_processor_mode: 1
  - .args:
      - .offset:         0
        .size:           3144
        .value_kind:     by_value
      - .offset:         3144
        .size:           1
        .value_kind:     by_value
      - .offset:         3145
        .size:           1
        .value_kind:     by_value
      - .offset:         3152
        .size:           4
        .value_kind:     hidden_block_count_x
      - .offset:         3156
        .size:           4
        .value_kind:     hidden_block_count_y
      - .offset:         3160
        .size:           4
        .value_kind:     hidden_block_count_z
      - .offset:         3164
        .size:           2
        .value_kind:     hidden_group_size_x
      - .offset:         3166
        .size:           2
        .value_kind:     hidden_group_size_y
      - .offset:         3168
        .size:           2
        .value_kind:     hidden_group_size_z
      - .offset:         3170
        .size:           2
        .value_kind:     hidden_remainder_x
      - .offset:         3172
        .size:           2
        .value_kind:     hidden_remainder_y
      - .offset:         3174
        .size:           2
        .value_kind:     hidden_remainder_z
      - .offset:         3192
        .size:           8
        .value_kind:     hidden_global_offset_x
      - .offset:         3200
        .size:           8
        .value_kind:     hidden_global_offset_y
      - .offset:         3208
        .size:           8
        .value_kind:     hidden_global_offset_z
      - .offset:         3216
        .size:           2
        .value_kind:     hidden_grid_dims
    .group_segment_fixed_size: 0
    .kernarg_segment_align: 8
    .kernarg_segment_size: 3408
    .language:       OpenCL C
    .language_version:
      - 2
      - 0
    .max_flat_workgroup_size: 512
    .name:           _ZN2at6native12_GLOBAL__N_125multi_tensor_apply_kernelINS1_18TensorListMetadataILi2EEENS1_14UnaryOpFunctorIN3c107complexIfEELi2ELi1ELi1EEEJNS0_5Log10IS8_EEEEEvT_T0_DpT1_
    .private_segment_fixed_size: 0
    .sgpr_count:     39
    .sgpr_spill_count: 0
    .symbol:         _ZN2at6native12_GLOBAL__N_125multi_tensor_apply_kernelINS1_18TensorListMetadataILi2EEENS1_14UnaryOpFunctorIN3c107complexIfEELi2ELi1ELi1EEEJNS0_5Log10IS8_EEEEEvT_T0_DpT1_.kd
    .uniform_work_group_size: 1
    .uses_dynamic_stack: false
    .vgpr_count:     40
    .vgpr_spill_count: 0
    .wavefront_size: 32
    .workgroup_processor_mode: 1
  - .args:
      - .offset:         0
        .size:           3144
        .value_kind:     by_value
      - .offset:         3144
        .size:           1
        .value_kind:     by_value
      - .offset:         3145
        .size:           1
        .value_kind:     by_value
      - .offset:         3152
        .size:           4
        .value_kind:     hidden_block_count_x
      - .offset:         3156
        .size:           4
        .value_kind:     hidden_block_count_y
      - .offset:         3160
        .size:           4
        .value_kind:     hidden_block_count_z
      - .offset:         3164
        .size:           2
        .value_kind:     hidden_group_size_x
      - .offset:         3166
        .size:           2
        .value_kind:     hidden_group_size_y
      - .offset:         3168
        .size:           2
        .value_kind:     hidden_group_size_z
      - .offset:         3170
        .size:           2
        .value_kind:     hidden_remainder_x
      - .offset:         3172
        .size:           2
        .value_kind:     hidden_remainder_y
      - .offset:         3174
        .size:           2
        .value_kind:     hidden_remainder_z
      - .offset:         3192
        .size:           8
        .value_kind:     hidden_global_offset_x
      - .offset:         3200
        .size:           8
        .value_kind:     hidden_global_offset_y
      - .offset:         3208
        .size:           8
        .value_kind:     hidden_global_offset_z
      - .offset:         3216
        .size:           2
        .value_kind:     hidden_grid_dims
    .group_segment_fixed_size: 0
    .kernarg_segment_align: 8
    .kernarg_segment_size: 3408
    .language:       OpenCL C
    .language_version:
      - 2
      - 0
    .max_flat_workgroup_size: 512
    .name:           _ZN2at6native12_GLOBAL__N_125multi_tensor_apply_kernelINS1_18TensorListMetadataILi2EEENS1_14UnaryOpFunctorIN3c104HalfELi2ELi1ELi1EEEJNS0_5Log10IfEEEEEvT_T0_DpT1_
    .private_segment_fixed_size: 0
    .sgpr_count:     24
    .sgpr_spill_count: 0
    .symbol:         _ZN2at6native12_GLOBAL__N_125multi_tensor_apply_kernelINS1_18TensorListMetadataILi2EEENS1_14UnaryOpFunctorIN3c104HalfELi2ELi1ELi1EEEJNS0_5Log10IfEEEEEvT_T0_DpT1_.kd
    .uniform_work_group_size: 1
    .uses_dynamic_stack: false
    .vgpr_count:     29
    .vgpr_spill_count: 0
    .wavefront_size: 32
    .workgroup_processor_mode: 1
  - .args:
      - .offset:         0
        .size:           3144
        .value_kind:     by_value
      - .offset:         3144
        .size:           1
        .value_kind:     by_value
      - .offset:         3145
        .size:           1
        .value_kind:     by_value
      - .offset:         3152
        .size:           4
        .value_kind:     hidden_block_count_x
      - .offset:         3156
        .size:           4
        .value_kind:     hidden_block_count_y
      - .offset:         3160
        .size:           4
        .value_kind:     hidden_block_count_z
      - .offset:         3164
        .size:           2
        .value_kind:     hidden_group_size_x
      - .offset:         3166
        .size:           2
        .value_kind:     hidden_group_size_y
      - .offset:         3168
        .size:           2
        .value_kind:     hidden_group_size_z
      - .offset:         3170
        .size:           2
        .value_kind:     hidden_remainder_x
      - .offset:         3172
        .size:           2
        .value_kind:     hidden_remainder_y
      - .offset:         3174
        .size:           2
        .value_kind:     hidden_remainder_z
      - .offset:         3192
        .size:           8
        .value_kind:     hidden_global_offset_x
      - .offset:         3200
        .size:           8
        .value_kind:     hidden_global_offset_y
      - .offset:         3208
        .size:           8
        .value_kind:     hidden_global_offset_z
      - .offset:         3216
        .size:           2
        .value_kind:     hidden_grid_dims
    .group_segment_fixed_size: 0
    .kernarg_segment_align: 8
    .kernarg_segment_size: 3408
    .language:       OpenCL C
    .language_version:
      - 2
      - 0
    .max_flat_workgroup_size: 512
    .name:           _ZN2at6native12_GLOBAL__N_125multi_tensor_apply_kernelINS1_18TensorListMetadataILi2EEENS1_14UnaryOpFunctorIN3c108BFloat16ELi2ELi1ELi1EEEJNS0_5Log10IfEEEEEvT_T0_DpT1_
    .private_segment_fixed_size: 0
    .sgpr_count:     21
    .sgpr_spill_count: 0
    .symbol:         _ZN2at6native12_GLOBAL__N_125multi_tensor_apply_kernelINS1_18TensorListMetadataILi2EEENS1_14UnaryOpFunctorIN3c108BFloat16ELi2ELi1ELi1EEEJNS0_5Log10IfEEEEEvT_T0_DpT1_.kd
    .uniform_work_group_size: 1
    .uses_dynamic_stack: false
    .vgpr_count:     29
    .vgpr_spill_count: 0
    .wavefront_size: 32
    .workgroup_processor_mode: 1
  - .args:
      - .offset:         0
        .size:           3368
        .value_kind:     by_value
      - .offset:         3368
        .size:           1
        .value_kind:     by_value
      - .offset:         3369
        .size:           1
        .value_kind:     by_value
      - .offset:         3376
        .size:           4
        .value_kind:     hidden_block_count_x
      - .offset:         3380
        .size:           4
        .value_kind:     hidden_block_count_y
      - .offset:         3384
        .size:           4
        .value_kind:     hidden_block_count_z
      - .offset:         3388
        .size:           2
        .value_kind:     hidden_group_size_x
      - .offset:         3390
        .size:           2
        .value_kind:     hidden_group_size_y
      - .offset:         3392
        .size:           2
        .value_kind:     hidden_group_size_z
      - .offset:         3394
        .size:           2
        .value_kind:     hidden_remainder_x
      - .offset:         3396
        .size:           2
        .value_kind:     hidden_remainder_y
      - .offset:         3398
        .size:           2
        .value_kind:     hidden_remainder_z
      - .offset:         3416
        .size:           8
        .value_kind:     hidden_global_offset_x
      - .offset:         3424
        .size:           8
        .value_kind:     hidden_global_offset_y
      - .offset:         3432
        .size:           8
        .value_kind:     hidden_global_offset_z
      - .offset:         3440
        .size:           2
        .value_kind:     hidden_grid_dims
    .group_segment_fixed_size: 0
    .kernarg_segment_align: 8
    .kernarg_segment_size: 3632
    .language:       OpenCL C
    .language_version:
      - 2
      - 0
    .max_flat_workgroup_size: 512
    .name:           _ZN2at6native12_GLOBAL__N_125multi_tensor_apply_kernelINS1_18TensorListMetadataILi1EEENS1_14UnaryOpFunctorIdLi1ELi1ELi0EEEJNS0_5Log10IdEEEEEvT_T0_DpT1_
    .private_segment_fixed_size: 0
    .sgpr_count:     48
    .sgpr_spill_count: 0
    .symbol:         _ZN2at6native12_GLOBAL__N_125multi_tensor_apply_kernelINS1_18TensorListMetadataILi1EEENS1_14UnaryOpFunctorIdLi1ELi1ELi0EEEJNS0_5Log10IdEEEEEvT_T0_DpT1_.kd
    .uniform_work_group_size: 1
    .uses_dynamic_stack: false
    .vgpr_count:     86
    .vgpr_spill_count: 0
    .wavefront_size: 32
    .workgroup_processor_mode: 1
  - .args:
      - .offset:         0
        .size:           3368
        .value_kind:     by_value
      - .offset:         3368
        .size:           1
        .value_kind:     by_value
      - .offset:         3369
        .size:           1
        .value_kind:     by_value
      - .offset:         3376
        .size:           4
        .value_kind:     hidden_block_count_x
      - .offset:         3380
        .size:           4
        .value_kind:     hidden_block_count_y
      - .offset:         3384
        .size:           4
        .value_kind:     hidden_block_count_z
      - .offset:         3388
        .size:           2
        .value_kind:     hidden_group_size_x
      - .offset:         3390
        .size:           2
        .value_kind:     hidden_group_size_y
      - .offset:         3392
        .size:           2
        .value_kind:     hidden_group_size_z
      - .offset:         3394
        .size:           2
        .value_kind:     hidden_remainder_x
      - .offset:         3396
        .size:           2
        .value_kind:     hidden_remainder_y
      - .offset:         3398
        .size:           2
        .value_kind:     hidden_remainder_z
      - .offset:         3416
        .size:           8
        .value_kind:     hidden_global_offset_x
      - .offset:         3424
        .size:           8
        .value_kind:     hidden_global_offset_y
      - .offset:         3432
        .size:           8
        .value_kind:     hidden_global_offset_z
      - .offset:         3440
        .size:           2
        .value_kind:     hidden_grid_dims
    .group_segment_fixed_size: 0
    .kernarg_segment_align: 8
    .kernarg_segment_size: 3632
    .language:       OpenCL C
    .language_version:
      - 2
      - 0
    .max_flat_workgroup_size: 512
    .name:           _ZN2at6native12_GLOBAL__N_125multi_tensor_apply_kernelINS1_18TensorListMetadataILi1EEENS1_14UnaryOpFunctorIfLi1ELi1ELi0EEEJNS0_5Log10IfEEEEEvT_T0_DpT1_
    .private_segment_fixed_size: 0
    .sgpr_count:     23
    .sgpr_spill_count: 0
    .symbol:         _ZN2at6native12_GLOBAL__N_125multi_tensor_apply_kernelINS1_18TensorListMetadataILi1EEENS1_14UnaryOpFunctorIfLi1ELi1ELi0EEEJNS0_5Log10IfEEEEEvT_T0_DpT1_.kd
    .uniform_work_group_size: 1
    .uses_dynamic_stack: false
    .vgpr_count:     17
    .vgpr_spill_count: 0
    .wavefront_size: 32
    .workgroup_processor_mode: 1
  - .args:
      - .offset:         0
        .size:           3368
        .value_kind:     by_value
      - .offset:         3368
        .size:           1
        .value_kind:     by_value
      - .offset:         3369
        .size:           1
        .value_kind:     by_value
      - .offset:         3376
        .size:           4
        .value_kind:     hidden_block_count_x
      - .offset:         3380
        .size:           4
        .value_kind:     hidden_block_count_y
      - .offset:         3384
        .size:           4
        .value_kind:     hidden_block_count_z
      - .offset:         3388
        .size:           2
        .value_kind:     hidden_group_size_x
      - .offset:         3390
        .size:           2
        .value_kind:     hidden_group_size_y
      - .offset:         3392
        .size:           2
        .value_kind:     hidden_group_size_z
      - .offset:         3394
        .size:           2
        .value_kind:     hidden_remainder_x
      - .offset:         3396
        .size:           2
        .value_kind:     hidden_remainder_y
      - .offset:         3398
        .size:           2
        .value_kind:     hidden_remainder_z
      - .offset:         3416
        .size:           8
        .value_kind:     hidden_global_offset_x
      - .offset:         3424
        .size:           8
        .value_kind:     hidden_global_offset_y
      - .offset:         3432
        .size:           8
        .value_kind:     hidden_global_offset_z
      - .offset:         3440
        .size:           2
        .value_kind:     hidden_grid_dims
    .group_segment_fixed_size: 0
    .kernarg_segment_align: 8
    .kernarg_segment_size: 3632
    .language:       OpenCL C
    .language_version:
      - 2
      - 0
    .max_flat_workgroup_size: 512
    .name:           _ZN2at6native12_GLOBAL__N_125multi_tensor_apply_kernelINS1_18TensorListMetadataILi1EEENS1_14UnaryOpFunctorIN3c107complexIdEELi1ELi1ELi0EEEJNS0_5Log10IS8_EEEEEvT_T0_DpT1_
    .private_segment_fixed_size: 0
    .sgpr_count:     107
    .sgpr_spill_count: 0
    .symbol:         _ZN2at6native12_GLOBAL__N_125multi_tensor_apply_kernelINS1_18TensorListMetadataILi1EEENS1_14UnaryOpFunctorIN3c107complexIdEELi1ELi1ELi0EEEJNS0_5Log10IS8_EEEEEvT_T0_DpT1_.kd
    .uniform_work_group_size: 1
    .uses_dynamic_stack: false
    .vgpr_count:     88
    .vgpr_spill_count: 0
    .wavefront_size: 32
    .workgroup_processor_mode: 1
  - .args:
      - .offset:         0
        .size:           3368
        .value_kind:     by_value
      - .offset:         3368
        .size:           1
        .value_kind:     by_value
      - .offset:         3369
        .size:           1
        .value_kind:     by_value
      - .offset:         3376
        .size:           4
        .value_kind:     hidden_block_count_x
      - .offset:         3380
        .size:           4
        .value_kind:     hidden_block_count_y
      - .offset:         3384
        .size:           4
        .value_kind:     hidden_block_count_z
      - .offset:         3388
        .size:           2
        .value_kind:     hidden_group_size_x
      - .offset:         3390
        .size:           2
        .value_kind:     hidden_group_size_y
      - .offset:         3392
        .size:           2
        .value_kind:     hidden_group_size_z
      - .offset:         3394
        .size:           2
        .value_kind:     hidden_remainder_x
      - .offset:         3396
        .size:           2
        .value_kind:     hidden_remainder_y
      - .offset:         3398
        .size:           2
        .value_kind:     hidden_remainder_z
      - .offset:         3416
        .size:           8
        .value_kind:     hidden_global_offset_x
      - .offset:         3424
        .size:           8
        .value_kind:     hidden_global_offset_y
      - .offset:         3432
        .size:           8
        .value_kind:     hidden_global_offset_z
      - .offset:         3440
        .size:           2
        .value_kind:     hidden_grid_dims
    .group_segment_fixed_size: 0
    .kernarg_segment_align: 8
    .kernarg_segment_size: 3632
    .language:       OpenCL C
    .language_version:
      - 2
      - 0
    .max_flat_workgroup_size: 512
    .name:           _ZN2at6native12_GLOBAL__N_125multi_tensor_apply_kernelINS1_18TensorListMetadataILi1EEENS1_14UnaryOpFunctorIN3c107complexIfEELi1ELi1ELi0EEEJNS0_5Log10IS8_EEEEEvT_T0_DpT1_
    .private_segment_fixed_size: 0
    .sgpr_count:     39
    .sgpr_spill_count: 0
    .symbol:         _ZN2at6native12_GLOBAL__N_125multi_tensor_apply_kernelINS1_18TensorListMetadataILi1EEENS1_14UnaryOpFunctorIN3c107complexIfEELi1ELi1ELi0EEEJNS0_5Log10IS8_EEEEEvT_T0_DpT1_.kd
    .uniform_work_group_size: 1
    .uses_dynamic_stack: false
    .vgpr_count:     40
    .vgpr_spill_count: 0
    .wavefront_size: 32
    .workgroup_processor_mode: 1
  - .args:
      - .offset:         0
        .size:           3368
        .value_kind:     by_value
      - .offset:         3368
        .size:           1
        .value_kind:     by_value
      - .offset:         3369
        .size:           1
        .value_kind:     by_value
      - .offset:         3376
        .size:           4
        .value_kind:     hidden_block_count_x
      - .offset:         3380
        .size:           4
        .value_kind:     hidden_block_count_y
      - .offset:         3384
        .size:           4
        .value_kind:     hidden_block_count_z
      - .offset:         3388
        .size:           2
        .value_kind:     hidden_group_size_x
      - .offset:         3390
        .size:           2
        .value_kind:     hidden_group_size_y
      - .offset:         3392
        .size:           2
        .value_kind:     hidden_group_size_z
      - .offset:         3394
        .size:           2
        .value_kind:     hidden_remainder_x
      - .offset:         3396
        .size:           2
        .value_kind:     hidden_remainder_y
      - .offset:         3398
        .size:           2
        .value_kind:     hidden_remainder_z
      - .offset:         3416
        .size:           8
        .value_kind:     hidden_global_offset_x
      - .offset:         3424
        .size:           8
        .value_kind:     hidden_global_offset_y
      - .offset:         3432
        .size:           8
        .value_kind:     hidden_global_offset_z
      - .offset:         3440
        .size:           2
        .value_kind:     hidden_grid_dims
    .group_segment_fixed_size: 0
    .kernarg_segment_align: 8
    .kernarg_segment_size: 3632
    .language:       OpenCL C
    .language_version:
      - 2
      - 0
    .max_flat_workgroup_size: 512
    .name:           _ZN2at6native12_GLOBAL__N_125multi_tensor_apply_kernelINS1_18TensorListMetadataILi1EEENS1_14UnaryOpFunctorIN3c104HalfELi1ELi1ELi0EEEJNS0_5Log10IfEEEEEvT_T0_DpT1_
    .private_segment_fixed_size: 0
    .sgpr_count:     22
    .sgpr_spill_count: 0
    .symbol:         _ZN2at6native12_GLOBAL__N_125multi_tensor_apply_kernelINS1_18TensorListMetadataILi1EEENS1_14UnaryOpFunctorIN3c104HalfELi1ELi1ELi0EEEJNS0_5Log10IfEEEEEvT_T0_DpT1_.kd
    .uniform_work_group_size: 1
    .uses_dynamic_stack: false
    .vgpr_count:     17
    .vgpr_spill_count: 0
    .wavefront_size: 32
    .workgroup_processor_mode: 1
  - .args:
      - .offset:         0
        .size:           3368
        .value_kind:     by_value
      - .offset:         3368
        .size:           1
        .value_kind:     by_value
      - .offset:         3369
        .size:           1
        .value_kind:     by_value
      - .offset:         3376
        .size:           4
        .value_kind:     hidden_block_count_x
      - .offset:         3380
        .size:           4
        .value_kind:     hidden_block_count_y
      - .offset:         3384
        .size:           4
        .value_kind:     hidden_block_count_z
      - .offset:         3388
        .size:           2
        .value_kind:     hidden_group_size_x
      - .offset:         3390
        .size:           2
        .value_kind:     hidden_group_size_y
      - .offset:         3392
        .size:           2
        .value_kind:     hidden_group_size_z
      - .offset:         3394
        .size:           2
        .value_kind:     hidden_remainder_x
      - .offset:         3396
        .size:           2
        .value_kind:     hidden_remainder_y
      - .offset:         3398
        .size:           2
        .value_kind:     hidden_remainder_z
      - .offset:         3416
        .size:           8
        .value_kind:     hidden_global_offset_x
      - .offset:         3424
        .size:           8
        .value_kind:     hidden_global_offset_y
      - .offset:         3432
        .size:           8
        .value_kind:     hidden_global_offset_z
      - .offset:         3440
        .size:           2
        .value_kind:     hidden_grid_dims
    .group_segment_fixed_size: 0
    .kernarg_segment_align: 8
    .kernarg_segment_size: 3632
    .language:       OpenCL C
    .language_version:
      - 2
      - 0
    .max_flat_workgroup_size: 512
    .name:           _ZN2at6native12_GLOBAL__N_125multi_tensor_apply_kernelINS1_18TensorListMetadataILi1EEENS1_14UnaryOpFunctorIN3c108BFloat16ELi1ELi1ELi0EEEJNS0_5Log10IfEEEEEvT_T0_DpT1_
    .private_segment_fixed_size: 0
    .sgpr_count:     22
    .sgpr_spill_count: 0
    .symbol:         _ZN2at6native12_GLOBAL__N_125multi_tensor_apply_kernelINS1_18TensorListMetadataILi1EEENS1_14UnaryOpFunctorIN3c108BFloat16ELi1ELi1ELi0EEEJNS0_5Log10IfEEEEEvT_T0_DpT1_.kd
    .uniform_work_group_size: 1
    .uses_dynamic_stack: false
    .vgpr_count:     17
    .vgpr_spill_count: 0
    .wavefront_size: 32
    .workgroup_processor_mode: 1
  - .args:
      - .offset:         0
        .size:           3144
        .value_kind:     by_value
      - .offset:         3144
        .size:           1
        .value_kind:     by_value
      - .offset:         3145
        .size:           1
        .value_kind:     by_value
      - .offset:         3152
        .size:           4
        .value_kind:     hidden_block_count_x
      - .offset:         3156
        .size:           4
        .value_kind:     hidden_block_count_y
      - .offset:         3160
        .size:           4
        .value_kind:     hidden_block_count_z
      - .offset:         3164
        .size:           2
        .value_kind:     hidden_group_size_x
      - .offset:         3166
        .size:           2
        .value_kind:     hidden_group_size_y
      - .offset:         3168
        .size:           2
        .value_kind:     hidden_group_size_z
      - .offset:         3170
        .size:           2
        .value_kind:     hidden_remainder_x
      - .offset:         3172
        .size:           2
        .value_kind:     hidden_remainder_y
      - .offset:         3174
        .size:           2
        .value_kind:     hidden_remainder_z
      - .offset:         3192
        .size:           8
        .value_kind:     hidden_global_offset_x
      - .offset:         3200
        .size:           8
        .value_kind:     hidden_global_offset_y
      - .offset:         3208
        .size:           8
        .value_kind:     hidden_global_offset_z
      - .offset:         3216
        .size:           2
        .value_kind:     hidden_grid_dims
    .group_segment_fixed_size: 0
    .kernarg_segment_align: 8
    .kernarg_segment_size: 3408
    .language:       OpenCL C
    .language_version:
      - 2
      - 0
    .max_flat_workgroup_size: 512
    .name:           _ZN2at6native12_GLOBAL__N_125multi_tensor_apply_kernelINS1_18TensorListMetadataILi2EEENS1_14UnaryOpFunctorIdLi2ELi1ELi1EEEJNS0_4Log2IdEEEEEvT_T0_DpT1_
    .private_segment_fixed_size: 0
    .sgpr_count:     47
    .sgpr_spill_count: 0
    .symbol:         _ZN2at6native12_GLOBAL__N_125multi_tensor_apply_kernelINS1_18TensorListMetadataILi2EEENS1_14UnaryOpFunctorIdLi2ELi1ELi1EEEJNS0_4Log2IdEEEEEvT_T0_DpT1_.kd
    .uniform_work_group_size: 1
    .uses_dynamic_stack: false
    .vgpr_count:     70
    .vgpr_spill_count: 0
    .wavefront_size: 32
    .workgroup_processor_mode: 1
  - .args:
      - .offset:         0
        .size:           3144
        .value_kind:     by_value
      - .offset:         3144
        .size:           1
        .value_kind:     by_value
      - .offset:         3145
        .size:           1
        .value_kind:     by_value
      - .offset:         3152
        .size:           4
        .value_kind:     hidden_block_count_x
      - .offset:         3156
        .size:           4
        .value_kind:     hidden_block_count_y
      - .offset:         3160
        .size:           4
        .value_kind:     hidden_block_count_z
      - .offset:         3164
        .size:           2
        .value_kind:     hidden_group_size_x
      - .offset:         3166
        .size:           2
        .value_kind:     hidden_group_size_y
      - .offset:         3168
        .size:           2
        .value_kind:     hidden_group_size_z
      - .offset:         3170
        .size:           2
        .value_kind:     hidden_remainder_x
      - .offset:         3172
        .size:           2
        .value_kind:     hidden_remainder_y
      - .offset:         3174
        .size:           2
        .value_kind:     hidden_remainder_z
      - .offset:         3192
        .size:           8
        .value_kind:     hidden_global_offset_x
      - .offset:         3200
        .size:           8
        .value_kind:     hidden_global_offset_y
      - .offset:         3208
        .size:           8
        .value_kind:     hidden_global_offset_z
      - .offset:         3216
        .size:           2
        .value_kind:     hidden_grid_dims
    .group_segment_fixed_size: 0
    .kernarg_segment_align: 8
    .kernarg_segment_size: 3408
    .language:       OpenCL C
    .language_version:
      - 2
      - 0
    .max_flat_workgroup_size: 512
    .name:           _ZN2at6native12_GLOBAL__N_125multi_tensor_apply_kernelINS1_18TensorListMetadataILi2EEENS1_14UnaryOpFunctorIfLi2ELi1ELi1EEEJNS0_4Log2IfEEEEEvT_T0_DpT1_
    .private_segment_fixed_size: 0
    .sgpr_count:     26
    .sgpr_spill_count: 0
    .symbol:         _ZN2at6native12_GLOBAL__N_125multi_tensor_apply_kernelINS1_18TensorListMetadataILi2EEENS1_14UnaryOpFunctorIfLi2ELi1ELi1EEEJNS0_4Log2IfEEEEEvT_T0_DpT1_.kd
    .uniform_work_group_size: 1
    .uses_dynamic_stack: false
    .vgpr_count:     30
    .vgpr_spill_count: 0
    .wavefront_size: 32
    .workgroup_processor_mode: 1
  - .args:
      - .offset:         0
        .size:           3144
        .value_kind:     by_value
      - .offset:         3144
        .size:           1
        .value_kind:     by_value
      - .offset:         3145
        .size:           1
        .value_kind:     by_value
      - .offset:         3152
        .size:           4
        .value_kind:     hidden_block_count_x
      - .offset:         3156
        .size:           4
        .value_kind:     hidden_block_count_y
      - .offset:         3160
        .size:           4
        .value_kind:     hidden_block_count_z
      - .offset:         3164
        .size:           2
        .value_kind:     hidden_group_size_x
      - .offset:         3166
        .size:           2
        .value_kind:     hidden_group_size_y
      - .offset:         3168
        .size:           2
        .value_kind:     hidden_group_size_z
      - .offset:         3170
        .size:           2
        .value_kind:     hidden_remainder_x
      - .offset:         3172
        .size:           2
        .value_kind:     hidden_remainder_y
      - .offset:         3174
        .size:           2
        .value_kind:     hidden_remainder_z
      - .offset:         3192
        .size:           8
        .value_kind:     hidden_global_offset_x
      - .offset:         3200
        .size:           8
        .value_kind:     hidden_global_offset_y
      - .offset:         3208
        .size:           8
        .value_kind:     hidden_global_offset_z
      - .offset:         3216
        .size:           2
        .value_kind:     hidden_grid_dims
    .group_segment_fixed_size: 0
    .kernarg_segment_align: 8
    .kernarg_segment_size: 3408
    .language:       OpenCL C
    .language_version:
      - 2
      - 0
    .max_flat_workgroup_size: 512
    .name:           _ZN2at6native12_GLOBAL__N_125multi_tensor_apply_kernelINS1_18TensorListMetadataILi2EEENS1_14UnaryOpFunctorIN3c107complexIdEELi2ELi1ELi1EEEJNS0_4Log2IS8_EEEEEvT_T0_DpT1_
    .private_segment_fixed_size: 0
    .sgpr_count:     107
    .sgpr_spill_count: 0
    .symbol:         _ZN2at6native12_GLOBAL__N_125multi_tensor_apply_kernelINS1_18TensorListMetadataILi2EEENS1_14UnaryOpFunctorIN3c107complexIdEELi2ELi1ELi1EEEJNS0_4Log2IS8_EEEEEvT_T0_DpT1_.kd
    .uniform_work_group_size: 1
    .uses_dynamic_stack: false
    .vgpr_count:     67
    .vgpr_spill_count: 0
    .wavefront_size: 32
    .workgroup_processor_mode: 1
  - .args:
      - .offset:         0
        .size:           3144
        .value_kind:     by_value
      - .offset:         3144
        .size:           1
        .value_kind:     by_value
      - .offset:         3145
        .size:           1
        .value_kind:     by_value
      - .offset:         3152
        .size:           4
        .value_kind:     hidden_block_count_x
      - .offset:         3156
        .size:           4
        .value_kind:     hidden_block_count_y
      - .offset:         3160
        .size:           4
        .value_kind:     hidden_block_count_z
      - .offset:         3164
        .size:           2
        .value_kind:     hidden_group_size_x
      - .offset:         3166
        .size:           2
        .value_kind:     hidden_group_size_y
      - .offset:         3168
        .size:           2
        .value_kind:     hidden_group_size_z
      - .offset:         3170
        .size:           2
        .value_kind:     hidden_remainder_x
      - .offset:         3172
        .size:           2
        .value_kind:     hidden_remainder_y
      - .offset:         3174
        .size:           2
        .value_kind:     hidden_remainder_z
      - .offset:         3192
        .size:           8
        .value_kind:     hidden_global_offset_x
      - .offset:         3200
        .size:           8
        .value_kind:     hidden_global_offset_y
      - .offset:         3208
        .size:           8
        .value_kind:     hidden_global_offset_z
      - .offset:         3216
        .size:           2
        .value_kind:     hidden_grid_dims
    .group_segment_fixed_size: 0
    .kernarg_segment_align: 8
    .kernarg_segment_size: 3408
    .language:       OpenCL C
    .language_version:
      - 2
      - 0
    .max_flat_workgroup_size: 512
    .name:           _ZN2at6native12_GLOBAL__N_125multi_tensor_apply_kernelINS1_18TensorListMetadataILi2EEENS1_14UnaryOpFunctorIN3c107complexIfEELi2ELi1ELi1EEEJNS0_4Log2IS8_EEEEEvT_T0_DpT1_
    .private_segment_fixed_size: 0
    .sgpr_count:     39
    .sgpr_spill_count: 0
    .symbol:         _ZN2at6native12_GLOBAL__N_125multi_tensor_apply_kernelINS1_18TensorListMetadataILi2EEENS1_14UnaryOpFunctorIN3c107complexIfEELi2ELi1ELi1EEEJNS0_4Log2IS8_EEEEEvT_T0_DpT1_.kd
    .uniform_work_group_size: 1
    .uses_dynamic_stack: false
    .vgpr_count:     40
    .vgpr_spill_count: 0
    .wavefront_size: 32
    .workgroup_processor_mode: 1
  - .args:
      - .offset:         0
        .size:           3144
        .value_kind:     by_value
      - .offset:         3144
        .size:           1
        .value_kind:     by_value
      - .offset:         3145
        .size:           1
        .value_kind:     by_value
      - .offset:         3152
        .size:           4
        .value_kind:     hidden_block_count_x
      - .offset:         3156
        .size:           4
        .value_kind:     hidden_block_count_y
      - .offset:         3160
        .size:           4
        .value_kind:     hidden_block_count_z
      - .offset:         3164
        .size:           2
        .value_kind:     hidden_group_size_x
      - .offset:         3166
        .size:           2
        .value_kind:     hidden_group_size_y
      - .offset:         3168
        .size:           2
        .value_kind:     hidden_group_size_z
      - .offset:         3170
        .size:           2
        .value_kind:     hidden_remainder_x
      - .offset:         3172
        .size:           2
        .value_kind:     hidden_remainder_y
      - .offset:         3174
        .size:           2
        .value_kind:     hidden_remainder_z
      - .offset:         3192
        .size:           8
        .value_kind:     hidden_global_offset_x
      - .offset:         3200
        .size:           8
        .value_kind:     hidden_global_offset_y
      - .offset:         3208
        .size:           8
        .value_kind:     hidden_global_offset_z
      - .offset:         3216
        .size:           2
        .value_kind:     hidden_grid_dims
    .group_segment_fixed_size: 0
    .kernarg_segment_align: 8
    .kernarg_segment_size: 3408
    .language:       OpenCL C
    .language_version:
      - 2
      - 0
    .max_flat_workgroup_size: 512
    .name:           _ZN2at6native12_GLOBAL__N_125multi_tensor_apply_kernelINS1_18TensorListMetadataILi2EEENS1_14UnaryOpFunctorIN3c104HalfELi2ELi1ELi1EEEJNS0_4Log2IfEEEEEvT_T0_DpT1_
    .private_segment_fixed_size: 0
    .sgpr_count:     24
    .sgpr_spill_count: 0
    .symbol:         _ZN2at6native12_GLOBAL__N_125multi_tensor_apply_kernelINS1_18TensorListMetadataILi2EEENS1_14UnaryOpFunctorIN3c104HalfELi2ELi1ELi1EEEJNS0_4Log2IfEEEEEvT_T0_DpT1_.kd
    .uniform_work_group_size: 1
    .uses_dynamic_stack: false
    .vgpr_count:     29
    .vgpr_spill_count: 0
    .wavefront_size: 32
    .workgroup_processor_mode: 1
  - .args:
      - .offset:         0
        .size:           3144
        .value_kind:     by_value
      - .offset:         3144
        .size:           1
        .value_kind:     by_value
      - .offset:         3145
        .size:           1
        .value_kind:     by_value
      - .offset:         3152
        .size:           4
        .value_kind:     hidden_block_count_x
      - .offset:         3156
        .size:           4
        .value_kind:     hidden_block_count_y
      - .offset:         3160
        .size:           4
        .value_kind:     hidden_block_count_z
      - .offset:         3164
        .size:           2
        .value_kind:     hidden_group_size_x
      - .offset:         3166
        .size:           2
        .value_kind:     hidden_group_size_y
      - .offset:         3168
        .size:           2
        .value_kind:     hidden_group_size_z
      - .offset:         3170
        .size:           2
        .value_kind:     hidden_remainder_x
      - .offset:         3172
        .size:           2
        .value_kind:     hidden_remainder_y
      - .offset:         3174
        .size:           2
        .value_kind:     hidden_remainder_z
      - .offset:         3192
        .size:           8
        .value_kind:     hidden_global_offset_x
      - .offset:         3200
        .size:           8
        .value_kind:     hidden_global_offset_y
      - .offset:         3208
        .size:           8
        .value_kind:     hidden_global_offset_z
      - .offset:         3216
        .size:           2
        .value_kind:     hidden_grid_dims
    .group_segment_fixed_size: 0
    .kernarg_segment_align: 8
    .kernarg_segment_size: 3408
    .language:       OpenCL C
    .language_version:
      - 2
      - 0
    .max_flat_workgroup_size: 512
    .name:           _ZN2at6native12_GLOBAL__N_125multi_tensor_apply_kernelINS1_18TensorListMetadataILi2EEENS1_14UnaryOpFunctorIN3c108BFloat16ELi2ELi1ELi1EEEJNS0_4Log2IfEEEEEvT_T0_DpT1_
    .private_segment_fixed_size: 0
    .sgpr_count:     21
    .sgpr_spill_count: 0
    .symbol:         _ZN2at6native12_GLOBAL__N_125multi_tensor_apply_kernelINS1_18TensorListMetadataILi2EEENS1_14UnaryOpFunctorIN3c108BFloat16ELi2ELi1ELi1EEEJNS0_4Log2IfEEEEEvT_T0_DpT1_.kd
    .uniform_work_group_size: 1
    .uses_dynamic_stack: false
    .vgpr_count:     29
    .vgpr_spill_count: 0
    .wavefront_size: 32
    .workgroup_processor_mode: 1
  - .args:
      - .offset:         0
        .size:           3368
        .value_kind:     by_value
      - .offset:         3368
        .size:           1
        .value_kind:     by_value
      - .offset:         3369
        .size:           1
        .value_kind:     by_value
      - .offset:         3376
        .size:           4
        .value_kind:     hidden_block_count_x
      - .offset:         3380
        .size:           4
        .value_kind:     hidden_block_count_y
      - .offset:         3384
        .size:           4
        .value_kind:     hidden_block_count_z
      - .offset:         3388
        .size:           2
        .value_kind:     hidden_group_size_x
      - .offset:         3390
        .size:           2
        .value_kind:     hidden_group_size_y
      - .offset:         3392
        .size:           2
        .value_kind:     hidden_group_size_z
      - .offset:         3394
        .size:           2
        .value_kind:     hidden_remainder_x
      - .offset:         3396
        .size:           2
        .value_kind:     hidden_remainder_y
      - .offset:         3398
        .size:           2
        .value_kind:     hidden_remainder_z
      - .offset:         3416
        .size:           8
        .value_kind:     hidden_global_offset_x
      - .offset:         3424
        .size:           8
        .value_kind:     hidden_global_offset_y
      - .offset:         3432
        .size:           8
        .value_kind:     hidden_global_offset_z
      - .offset:         3440
        .size:           2
        .value_kind:     hidden_grid_dims
    .group_segment_fixed_size: 0
    .kernarg_segment_align: 8
    .kernarg_segment_size: 3632
    .language:       OpenCL C
    .language_version:
      - 2
      - 0
    .max_flat_workgroup_size: 512
    .name:           _ZN2at6native12_GLOBAL__N_125multi_tensor_apply_kernelINS1_18TensorListMetadataILi1EEENS1_14UnaryOpFunctorIdLi1ELi1ELi0EEEJNS0_4Log2IdEEEEEvT_T0_DpT1_
    .private_segment_fixed_size: 0
    .sgpr_count:     43
    .sgpr_spill_count: 0
    .symbol:         _ZN2at6native12_GLOBAL__N_125multi_tensor_apply_kernelINS1_18TensorListMetadataILi1EEENS1_14UnaryOpFunctorIdLi1ELi1ELi0EEEJNS0_4Log2IdEEEEEvT_T0_DpT1_.kd
    .uniform_work_group_size: 1
    .uses_dynamic_stack: false
    .vgpr_count:     70
    .vgpr_spill_count: 0
    .wavefront_size: 32
    .workgroup_processor_mode: 1
  - .args:
      - .offset:         0
        .size:           3368
        .value_kind:     by_value
      - .offset:         3368
        .size:           1
        .value_kind:     by_value
      - .offset:         3369
        .size:           1
        .value_kind:     by_value
      - .offset:         3376
        .size:           4
        .value_kind:     hidden_block_count_x
      - .offset:         3380
        .size:           4
        .value_kind:     hidden_block_count_y
      - .offset:         3384
        .size:           4
        .value_kind:     hidden_block_count_z
      - .offset:         3388
        .size:           2
        .value_kind:     hidden_group_size_x
      - .offset:         3390
        .size:           2
        .value_kind:     hidden_group_size_y
      - .offset:         3392
        .size:           2
        .value_kind:     hidden_group_size_z
      - .offset:         3394
        .size:           2
        .value_kind:     hidden_remainder_x
      - .offset:         3396
        .size:           2
        .value_kind:     hidden_remainder_y
      - .offset:         3398
        .size:           2
        .value_kind:     hidden_remainder_z
      - .offset:         3416
        .size:           8
        .value_kind:     hidden_global_offset_x
      - .offset:         3424
        .size:           8
        .value_kind:     hidden_global_offset_y
      - .offset:         3432
        .size:           8
        .value_kind:     hidden_global_offset_z
      - .offset:         3440
        .size:           2
        .value_kind:     hidden_grid_dims
    .group_segment_fixed_size: 0
    .kernarg_segment_align: 8
    .kernarg_segment_size: 3632
    .language:       OpenCL C
    .language_version:
      - 2
      - 0
    .max_flat_workgroup_size: 512
    .name:           _ZN2at6native12_GLOBAL__N_125multi_tensor_apply_kernelINS1_18TensorListMetadataILi1EEENS1_14UnaryOpFunctorIfLi1ELi1ELi0EEEJNS0_4Log2IfEEEEEvT_T0_DpT1_
    .private_segment_fixed_size: 0
    .sgpr_count:     23
    .sgpr_spill_count: 0
    .symbol:         _ZN2at6native12_GLOBAL__N_125multi_tensor_apply_kernelINS1_18TensorListMetadataILi1EEENS1_14UnaryOpFunctorIfLi1ELi1ELi0EEEJNS0_4Log2IfEEEEEvT_T0_DpT1_.kd
    .uniform_work_group_size: 1
    .uses_dynamic_stack: false
    .vgpr_count:     17
    .vgpr_spill_count: 0
    .wavefront_size: 32
    .workgroup_processor_mode: 1
  - .args:
      - .offset:         0
        .size:           3368
        .value_kind:     by_value
      - .offset:         3368
        .size:           1
        .value_kind:     by_value
      - .offset:         3369
        .size:           1
        .value_kind:     by_value
      - .offset:         3376
        .size:           4
        .value_kind:     hidden_block_count_x
      - .offset:         3380
        .size:           4
        .value_kind:     hidden_block_count_y
      - .offset:         3384
        .size:           4
        .value_kind:     hidden_block_count_z
      - .offset:         3388
        .size:           2
        .value_kind:     hidden_group_size_x
      - .offset:         3390
        .size:           2
        .value_kind:     hidden_group_size_y
      - .offset:         3392
        .size:           2
        .value_kind:     hidden_group_size_z
      - .offset:         3394
        .size:           2
        .value_kind:     hidden_remainder_x
      - .offset:         3396
        .size:           2
        .value_kind:     hidden_remainder_y
      - .offset:         3398
        .size:           2
        .value_kind:     hidden_remainder_z
      - .offset:         3416
        .size:           8
        .value_kind:     hidden_global_offset_x
      - .offset:         3424
        .size:           8
        .value_kind:     hidden_global_offset_y
      - .offset:         3432
        .size:           8
        .value_kind:     hidden_global_offset_z
      - .offset:         3440
        .size:           2
        .value_kind:     hidden_grid_dims
    .group_segment_fixed_size: 0
    .kernarg_segment_align: 8
    .kernarg_segment_size: 3632
    .language:       OpenCL C
    .language_version:
      - 2
      - 0
    .max_flat_workgroup_size: 512
    .name:           _ZN2at6native12_GLOBAL__N_125multi_tensor_apply_kernelINS1_18TensorListMetadataILi1EEENS1_14UnaryOpFunctorIN3c107complexIdEELi1ELi1ELi0EEEJNS0_4Log2IS8_EEEEEvT_T0_DpT1_
    .private_segment_fixed_size: 0
    .sgpr_count:     107
    .sgpr_spill_count: 0
    .symbol:         _ZN2at6native12_GLOBAL__N_125multi_tensor_apply_kernelINS1_18TensorListMetadataILi1EEENS1_14UnaryOpFunctorIN3c107complexIdEELi1ELi1ELi0EEEJNS0_4Log2IS8_EEEEEvT_T0_DpT1_.kd
    .uniform_work_group_size: 1
    .uses_dynamic_stack: false
    .vgpr_count:     74
    .vgpr_spill_count: 0
    .wavefront_size: 32
    .workgroup_processor_mode: 1
  - .args:
      - .offset:         0
        .size:           3368
        .value_kind:     by_value
      - .offset:         3368
        .size:           1
        .value_kind:     by_value
      - .offset:         3369
        .size:           1
        .value_kind:     by_value
      - .offset:         3376
        .size:           4
        .value_kind:     hidden_block_count_x
      - .offset:         3380
        .size:           4
        .value_kind:     hidden_block_count_y
      - .offset:         3384
        .size:           4
        .value_kind:     hidden_block_count_z
      - .offset:         3388
        .size:           2
        .value_kind:     hidden_group_size_x
      - .offset:         3390
        .size:           2
        .value_kind:     hidden_group_size_y
      - .offset:         3392
        .size:           2
        .value_kind:     hidden_group_size_z
      - .offset:         3394
        .size:           2
        .value_kind:     hidden_remainder_x
      - .offset:         3396
        .size:           2
        .value_kind:     hidden_remainder_y
      - .offset:         3398
        .size:           2
        .value_kind:     hidden_remainder_z
      - .offset:         3416
        .size:           8
        .value_kind:     hidden_global_offset_x
      - .offset:         3424
        .size:           8
        .value_kind:     hidden_global_offset_y
      - .offset:         3432
        .size:           8
        .value_kind:     hidden_global_offset_z
      - .offset:         3440
        .size:           2
        .value_kind:     hidden_grid_dims
    .group_segment_fixed_size: 0
    .kernarg_segment_align: 8
    .kernarg_segment_size: 3632
    .language:       OpenCL C
    .language_version:
      - 2
      - 0
    .max_flat_workgroup_size: 512
    .name:           _ZN2at6native12_GLOBAL__N_125multi_tensor_apply_kernelINS1_18TensorListMetadataILi1EEENS1_14UnaryOpFunctorIN3c107complexIfEELi1ELi1ELi0EEEJNS0_4Log2IS8_EEEEEvT_T0_DpT1_
    .private_segment_fixed_size: 0
    .sgpr_count:     39
    .sgpr_spill_count: 0
    .symbol:         _ZN2at6native12_GLOBAL__N_125multi_tensor_apply_kernelINS1_18TensorListMetadataILi1EEENS1_14UnaryOpFunctorIN3c107complexIfEELi1ELi1ELi0EEEJNS0_4Log2IS8_EEEEEvT_T0_DpT1_.kd
    .uniform_work_group_size: 1
    .uses_dynamic_stack: false
    .vgpr_count:     40
    .vgpr_spill_count: 0
    .wavefront_size: 32
    .workgroup_processor_mode: 1
  - .args:
      - .offset:         0
        .size:           3368
        .value_kind:     by_value
      - .offset:         3368
        .size:           1
        .value_kind:     by_value
      - .offset:         3369
        .size:           1
        .value_kind:     by_value
      - .offset:         3376
        .size:           4
        .value_kind:     hidden_block_count_x
      - .offset:         3380
        .size:           4
        .value_kind:     hidden_block_count_y
      - .offset:         3384
        .size:           4
        .value_kind:     hidden_block_count_z
      - .offset:         3388
        .size:           2
        .value_kind:     hidden_group_size_x
      - .offset:         3390
        .size:           2
        .value_kind:     hidden_group_size_y
      - .offset:         3392
        .size:           2
        .value_kind:     hidden_group_size_z
      - .offset:         3394
        .size:           2
        .value_kind:     hidden_remainder_x
      - .offset:         3396
        .size:           2
        .value_kind:     hidden_remainder_y
      - .offset:         3398
        .size:           2
        .value_kind:     hidden_remainder_z
      - .offset:         3416
        .size:           8
        .value_kind:     hidden_global_offset_x
      - .offset:         3424
        .size:           8
        .value_kind:     hidden_global_offset_y
      - .offset:         3432
        .size:           8
        .value_kind:     hidden_global_offset_z
      - .offset:         3440
        .size:           2
        .value_kind:     hidden_grid_dims
    .group_segment_fixed_size: 0
    .kernarg_segment_align: 8
    .kernarg_segment_size: 3632
    .language:       OpenCL C
    .language_version:
      - 2
      - 0
    .max_flat_workgroup_size: 512
    .name:           _ZN2at6native12_GLOBAL__N_125multi_tensor_apply_kernelINS1_18TensorListMetadataILi1EEENS1_14UnaryOpFunctorIN3c104HalfELi1ELi1ELi0EEEJNS0_4Log2IfEEEEEvT_T0_DpT1_
    .private_segment_fixed_size: 0
    .sgpr_count:     22
    .sgpr_spill_count: 0
    .symbol:         _ZN2at6native12_GLOBAL__N_125multi_tensor_apply_kernelINS1_18TensorListMetadataILi1EEENS1_14UnaryOpFunctorIN3c104HalfELi1ELi1ELi0EEEJNS0_4Log2IfEEEEEvT_T0_DpT1_.kd
    .uniform_work_group_size: 1
    .uses_dynamic_stack: false
    .vgpr_count:     17
    .vgpr_spill_count: 0
    .wavefront_size: 32
    .workgroup_processor_mode: 1
  - .args:
      - .offset:         0
        .size:           3368
        .value_kind:     by_value
      - .offset:         3368
        .size:           1
        .value_kind:     by_value
      - .offset:         3369
        .size:           1
        .value_kind:     by_value
      - .offset:         3376
        .size:           4
        .value_kind:     hidden_block_count_x
      - .offset:         3380
        .size:           4
        .value_kind:     hidden_block_count_y
      - .offset:         3384
        .size:           4
        .value_kind:     hidden_block_count_z
      - .offset:         3388
        .size:           2
        .value_kind:     hidden_group_size_x
      - .offset:         3390
        .size:           2
        .value_kind:     hidden_group_size_y
      - .offset:         3392
        .size:           2
        .value_kind:     hidden_group_size_z
      - .offset:         3394
        .size:           2
        .value_kind:     hidden_remainder_x
      - .offset:         3396
        .size:           2
        .value_kind:     hidden_remainder_y
      - .offset:         3398
        .size:           2
        .value_kind:     hidden_remainder_z
      - .offset:         3416
        .size:           8
        .value_kind:     hidden_global_offset_x
      - .offset:         3424
        .size:           8
        .value_kind:     hidden_global_offset_y
      - .offset:         3432
        .size:           8
        .value_kind:     hidden_global_offset_z
      - .offset:         3440
        .size:           2
        .value_kind:     hidden_grid_dims
    .group_segment_fixed_size: 0
    .kernarg_segment_align: 8
    .kernarg_segment_size: 3632
    .language:       OpenCL C
    .language_version:
      - 2
      - 0
    .max_flat_workgroup_size: 512
    .name:           _ZN2at6native12_GLOBAL__N_125multi_tensor_apply_kernelINS1_18TensorListMetadataILi1EEENS1_14UnaryOpFunctorIN3c108BFloat16ELi1ELi1ELi0EEEJNS0_4Log2IfEEEEEvT_T0_DpT1_
    .private_segment_fixed_size: 0
    .sgpr_count:     22
    .sgpr_spill_count: 0
    .symbol:         _ZN2at6native12_GLOBAL__N_125multi_tensor_apply_kernelINS1_18TensorListMetadataILi1EEENS1_14UnaryOpFunctorIN3c108BFloat16ELi1ELi1ELi0EEEJNS0_4Log2IfEEEEEvT_T0_DpT1_.kd
    .uniform_work_group_size: 1
    .uses_dynamic_stack: false
    .vgpr_count:     17
    .vgpr_spill_count: 0
    .wavefront_size: 32
    .workgroup_processor_mode: 1
  - .args:
      - .offset:         0
        .size:           3144
        .value_kind:     by_value
      - .offset:         3144
        .size:           1
        .value_kind:     by_value
      - .offset:         3145
        .size:           1
        .value_kind:     by_value
      - .offset:         3152
        .size:           4
        .value_kind:     hidden_block_count_x
      - .offset:         3156
        .size:           4
        .value_kind:     hidden_block_count_y
      - .offset:         3160
        .size:           4
        .value_kind:     hidden_block_count_z
      - .offset:         3164
        .size:           2
        .value_kind:     hidden_group_size_x
      - .offset:         3166
        .size:           2
        .value_kind:     hidden_group_size_y
      - .offset:         3168
        .size:           2
        .value_kind:     hidden_group_size_z
      - .offset:         3170
        .size:           2
        .value_kind:     hidden_remainder_x
      - .offset:         3172
        .size:           2
        .value_kind:     hidden_remainder_y
      - .offset:         3174
        .size:           2
        .value_kind:     hidden_remainder_z
      - .offset:         3192
        .size:           8
        .value_kind:     hidden_global_offset_x
      - .offset:         3200
        .size:           8
        .value_kind:     hidden_global_offset_y
      - .offset:         3208
        .size:           8
        .value_kind:     hidden_global_offset_z
      - .offset:         3216
        .size:           2
        .value_kind:     hidden_grid_dims
    .group_segment_fixed_size: 0
    .kernarg_segment_align: 8
    .kernarg_segment_size: 3408
    .language:       OpenCL C
    .language_version:
      - 2
      - 0
    .max_flat_workgroup_size: 512
    .name:           _ZN2at6native12_GLOBAL__N_125multi_tensor_apply_kernelINS1_18TensorListMetadataILi2EEENS1_14UnaryOpFunctorIdLi2ELi1ELi1EEEJNS0_5Log1pIdEEEEEvT_T0_DpT1_
    .private_segment_fixed_size: 0
    .sgpr_count:     49
    .sgpr_spill_count: 0
    .symbol:         _ZN2at6native12_GLOBAL__N_125multi_tensor_apply_kernelINS1_18TensorListMetadataILi2EEENS1_14UnaryOpFunctorIdLi2ELi1ELi1EEEJNS0_5Log1pIdEEEEEvT_T0_DpT1_.kd
    .uniform_work_group_size: 1
    .uses_dynamic_stack: false
    .vgpr_count:     92
    .vgpr_spill_count: 0
    .wavefront_size: 32
    .workgroup_processor_mode: 1
  - .args:
      - .offset:         0
        .size:           3144
        .value_kind:     by_value
      - .offset:         3144
        .size:           1
        .value_kind:     by_value
      - .offset:         3145
        .size:           1
        .value_kind:     by_value
      - .offset:         3152
        .size:           4
        .value_kind:     hidden_block_count_x
      - .offset:         3156
        .size:           4
        .value_kind:     hidden_block_count_y
      - .offset:         3160
        .size:           4
        .value_kind:     hidden_block_count_z
      - .offset:         3164
        .size:           2
        .value_kind:     hidden_group_size_x
      - .offset:         3166
        .size:           2
        .value_kind:     hidden_group_size_y
      - .offset:         3168
        .size:           2
        .value_kind:     hidden_group_size_z
      - .offset:         3170
        .size:           2
        .value_kind:     hidden_remainder_x
      - .offset:         3172
        .size:           2
        .value_kind:     hidden_remainder_y
      - .offset:         3174
        .size:           2
        .value_kind:     hidden_remainder_z
      - .offset:         3192
        .size:           8
        .value_kind:     hidden_global_offset_x
      - .offset:         3200
        .size:           8
        .value_kind:     hidden_global_offset_y
      - .offset:         3208
        .size:           8
        .value_kind:     hidden_global_offset_z
      - .offset:         3216
        .size:           2
        .value_kind:     hidden_grid_dims
    .group_segment_fixed_size: 0
    .kernarg_segment_align: 8
    .kernarg_segment_size: 3408
    .language:       OpenCL C
    .language_version:
      - 2
      - 0
    .max_flat_workgroup_size: 512
    .name:           _ZN2at6native12_GLOBAL__N_125multi_tensor_apply_kernelINS1_18TensorListMetadataILi2EEENS1_14UnaryOpFunctorIfLi2ELi1ELi1EEEJNS0_5Log1pIfEEEEEvT_T0_DpT1_
    .private_segment_fixed_size: 0
    .sgpr_count:     26
    .sgpr_spill_count: 0
    .symbol:         _ZN2at6native12_GLOBAL__N_125multi_tensor_apply_kernelINS1_18TensorListMetadataILi2EEENS1_14UnaryOpFunctorIfLi2ELi1ELi1EEEJNS0_5Log1pIfEEEEEvT_T0_DpT1_.kd
    .uniform_work_group_size: 1
    .uses_dynamic_stack: false
    .vgpr_count:     58
    .vgpr_spill_count: 0
    .wavefront_size: 32
    .workgroup_processor_mode: 1
  - .args:
      - .offset:         0
        .size:           3144
        .value_kind:     by_value
      - .offset:         3144
        .size:           1
        .value_kind:     by_value
      - .offset:         3145
        .size:           1
        .value_kind:     by_value
      - .offset:         3152
        .size:           4
        .value_kind:     hidden_block_count_x
      - .offset:         3156
        .size:           4
        .value_kind:     hidden_block_count_y
      - .offset:         3160
        .size:           4
        .value_kind:     hidden_block_count_z
      - .offset:         3164
        .size:           2
        .value_kind:     hidden_group_size_x
      - .offset:         3166
        .size:           2
        .value_kind:     hidden_group_size_y
      - .offset:         3168
        .size:           2
        .value_kind:     hidden_group_size_z
      - .offset:         3170
        .size:           2
        .value_kind:     hidden_remainder_x
      - .offset:         3172
        .size:           2
        .value_kind:     hidden_remainder_y
      - .offset:         3174
        .size:           2
        .value_kind:     hidden_remainder_z
      - .offset:         3192
        .size:           8
        .value_kind:     hidden_global_offset_x
      - .offset:         3200
        .size:           8
        .value_kind:     hidden_global_offset_y
      - .offset:         3208
        .size:           8
        .value_kind:     hidden_global_offset_z
      - .offset:         3216
        .size:           2
        .value_kind:     hidden_grid_dims
    .group_segment_fixed_size: 0
    .kernarg_segment_align: 8
    .kernarg_segment_size: 3408
    .language:       OpenCL C
    .language_version:
      - 2
      - 0
    .max_flat_workgroup_size: 512
    .name:           _ZN2at6native12_GLOBAL__N_125multi_tensor_apply_kernelINS1_18TensorListMetadataILi2EEENS1_14UnaryOpFunctorIN3c107complexIdEELi2ELi1ELi1EEEJNS0_5Log1pIS8_EEEEEvT_T0_DpT1_
    .private_segment_fixed_size: 0
    .sgpr_count:     107
    .sgpr_spill_count: 0
    .symbol:         _ZN2at6native12_GLOBAL__N_125multi_tensor_apply_kernelINS1_18TensorListMetadataILi2EEENS1_14UnaryOpFunctorIN3c107complexIdEELi2ELi1ELi1EEEJNS0_5Log1pIS8_EEEEEvT_T0_DpT1_.kd
    .uniform_work_group_size: 1
    .uses_dynamic_stack: false
    .vgpr_count:     84
    .vgpr_spill_count: 0
    .wavefront_size: 32
    .workgroup_processor_mode: 1
  - .args:
      - .offset:         0
        .size:           3144
        .value_kind:     by_value
      - .offset:         3144
        .size:           1
        .value_kind:     by_value
      - .offset:         3145
        .size:           1
        .value_kind:     by_value
      - .offset:         3152
        .size:           4
        .value_kind:     hidden_block_count_x
      - .offset:         3156
        .size:           4
        .value_kind:     hidden_block_count_y
      - .offset:         3160
        .size:           4
        .value_kind:     hidden_block_count_z
      - .offset:         3164
        .size:           2
        .value_kind:     hidden_group_size_x
      - .offset:         3166
        .size:           2
        .value_kind:     hidden_group_size_y
      - .offset:         3168
        .size:           2
        .value_kind:     hidden_group_size_z
      - .offset:         3170
        .size:           2
        .value_kind:     hidden_remainder_x
      - .offset:         3172
        .size:           2
        .value_kind:     hidden_remainder_y
      - .offset:         3174
        .size:           2
        .value_kind:     hidden_remainder_z
      - .offset:         3192
        .size:           8
        .value_kind:     hidden_global_offset_x
      - .offset:         3200
        .size:           8
        .value_kind:     hidden_global_offset_y
      - .offset:         3208
        .size:           8
        .value_kind:     hidden_global_offset_z
      - .offset:         3216
        .size:           2
        .value_kind:     hidden_grid_dims
    .group_segment_fixed_size: 0
    .kernarg_segment_align: 8
    .kernarg_segment_size: 3408
    .language:       OpenCL C
    .language_version:
      - 2
      - 0
    .max_flat_workgroup_size: 512
    .name:           _ZN2at6native12_GLOBAL__N_125multi_tensor_apply_kernelINS1_18TensorListMetadataILi2EEENS1_14UnaryOpFunctorIN3c107complexIfEELi2ELi1ELi1EEEJNS0_5Log1pIS8_EEEEEvT_T0_DpT1_
    .private_segment_fixed_size: 0
    .sgpr_count:     27
    .sgpr_spill_count: 0
    .symbol:         _ZN2at6native12_GLOBAL__N_125multi_tensor_apply_kernelINS1_18TensorListMetadataILi2EEENS1_14UnaryOpFunctorIN3c107complexIfEELi2ELi1ELi1EEEJNS0_5Log1pIS8_EEEEEvT_T0_DpT1_.kd
    .uniform_work_group_size: 1
    .uses_dynamic_stack: false
    .vgpr_count:     51
    .vgpr_spill_count: 0
    .wavefront_size: 32
    .workgroup_processor_mode: 1
  - .args:
      - .offset:         0
        .size:           3144
        .value_kind:     by_value
      - .offset:         3144
        .size:           1
        .value_kind:     by_value
      - .offset:         3145
        .size:           1
        .value_kind:     by_value
      - .offset:         3152
        .size:           4
        .value_kind:     hidden_block_count_x
      - .offset:         3156
        .size:           4
        .value_kind:     hidden_block_count_y
      - .offset:         3160
        .size:           4
        .value_kind:     hidden_block_count_z
      - .offset:         3164
        .size:           2
        .value_kind:     hidden_group_size_x
      - .offset:         3166
        .size:           2
        .value_kind:     hidden_group_size_y
      - .offset:         3168
        .size:           2
        .value_kind:     hidden_group_size_z
      - .offset:         3170
        .size:           2
        .value_kind:     hidden_remainder_x
      - .offset:         3172
        .size:           2
        .value_kind:     hidden_remainder_y
      - .offset:         3174
        .size:           2
        .value_kind:     hidden_remainder_z
      - .offset:         3192
        .size:           8
        .value_kind:     hidden_global_offset_x
      - .offset:         3200
        .size:           8
        .value_kind:     hidden_global_offset_y
      - .offset:         3208
        .size:           8
        .value_kind:     hidden_global_offset_z
      - .offset:         3216
        .size:           2
        .value_kind:     hidden_grid_dims
    .group_segment_fixed_size: 0
    .kernarg_segment_align: 8
    .kernarg_segment_size: 3408
    .language:       OpenCL C
    .language_version:
      - 2
      - 0
    .max_flat_workgroup_size: 512
    .name:           _ZN2at6native12_GLOBAL__N_125multi_tensor_apply_kernelINS1_18TensorListMetadataILi2EEENS1_14UnaryOpFunctorIN3c104HalfELi2ELi1ELi1EEEJNS0_5Log1pIfEEEEEvT_T0_DpT1_
    .private_segment_fixed_size: 0
    .sgpr_count:     26
    .sgpr_spill_count: 0
    .symbol:         _ZN2at6native12_GLOBAL__N_125multi_tensor_apply_kernelINS1_18TensorListMetadataILi2EEENS1_14UnaryOpFunctorIN3c104HalfELi2ELi1ELi1EEEJNS0_5Log1pIfEEEEEvT_T0_DpT1_.kd
    .uniform_work_group_size: 1
    .uses_dynamic_stack: false
    .vgpr_count:     60
    .vgpr_spill_count: 0
    .wavefront_size: 32
    .workgroup_processor_mode: 1
  - .args:
      - .offset:         0
        .size:           3144
        .value_kind:     by_value
      - .offset:         3144
        .size:           1
        .value_kind:     by_value
      - .offset:         3145
        .size:           1
        .value_kind:     by_value
      - .offset:         3152
        .size:           4
        .value_kind:     hidden_block_count_x
      - .offset:         3156
        .size:           4
        .value_kind:     hidden_block_count_y
      - .offset:         3160
        .size:           4
        .value_kind:     hidden_block_count_z
      - .offset:         3164
        .size:           2
        .value_kind:     hidden_group_size_x
      - .offset:         3166
        .size:           2
        .value_kind:     hidden_group_size_y
      - .offset:         3168
        .size:           2
        .value_kind:     hidden_group_size_z
      - .offset:         3170
        .size:           2
        .value_kind:     hidden_remainder_x
      - .offset:         3172
        .size:           2
        .value_kind:     hidden_remainder_y
      - .offset:         3174
        .size:           2
        .value_kind:     hidden_remainder_z
      - .offset:         3192
        .size:           8
        .value_kind:     hidden_global_offset_x
      - .offset:         3200
        .size:           8
        .value_kind:     hidden_global_offset_y
      - .offset:         3208
        .size:           8
        .value_kind:     hidden_global_offset_z
      - .offset:         3216
        .size:           2
        .value_kind:     hidden_grid_dims
    .group_segment_fixed_size: 0
    .kernarg_segment_align: 8
    .kernarg_segment_size: 3408
    .language:       OpenCL C
    .language_version:
      - 2
      - 0
    .max_flat_workgroup_size: 512
    .name:           _ZN2at6native12_GLOBAL__N_125multi_tensor_apply_kernelINS1_18TensorListMetadataILi2EEENS1_14UnaryOpFunctorIN3c108BFloat16ELi2ELi1ELi1EEEJNS0_5Log1pIfEEEEEvT_T0_DpT1_
    .private_segment_fixed_size: 0
    .sgpr_count:     23
    .sgpr_spill_count: 0
    .symbol:         _ZN2at6native12_GLOBAL__N_125multi_tensor_apply_kernelINS1_18TensorListMetadataILi2EEENS1_14UnaryOpFunctorIN3c108BFloat16ELi2ELi1ELi1EEEJNS0_5Log1pIfEEEEEvT_T0_DpT1_.kd
    .uniform_work_group_size: 1
    .uses_dynamic_stack: false
    .vgpr_count:     58
    .vgpr_spill_count: 0
    .wavefront_size: 32
    .workgroup_processor_mode: 1
  - .args:
      - .offset:         0
        .size:           3368
        .value_kind:     by_value
      - .offset:         3368
        .size:           1
        .value_kind:     by_value
      - .offset:         3369
        .size:           1
        .value_kind:     by_value
      - .offset:         3376
        .size:           4
        .value_kind:     hidden_block_count_x
      - .offset:         3380
        .size:           4
        .value_kind:     hidden_block_count_y
      - .offset:         3384
        .size:           4
        .value_kind:     hidden_block_count_z
      - .offset:         3388
        .size:           2
        .value_kind:     hidden_group_size_x
      - .offset:         3390
        .size:           2
        .value_kind:     hidden_group_size_y
      - .offset:         3392
        .size:           2
        .value_kind:     hidden_group_size_z
      - .offset:         3394
        .size:           2
        .value_kind:     hidden_remainder_x
      - .offset:         3396
        .size:           2
        .value_kind:     hidden_remainder_y
      - .offset:         3398
        .size:           2
        .value_kind:     hidden_remainder_z
      - .offset:         3416
        .size:           8
        .value_kind:     hidden_global_offset_x
      - .offset:         3424
        .size:           8
        .value_kind:     hidden_global_offset_y
      - .offset:         3432
        .size:           8
        .value_kind:     hidden_global_offset_z
      - .offset:         3440
        .size:           2
        .value_kind:     hidden_grid_dims
    .group_segment_fixed_size: 0
    .kernarg_segment_align: 8
    .kernarg_segment_size: 3632
    .language:       OpenCL C
    .language_version:
      - 2
      - 0
    .max_flat_workgroup_size: 512
    .name:           _ZN2at6native12_GLOBAL__N_125multi_tensor_apply_kernelINS1_18TensorListMetadataILi1EEENS1_14UnaryOpFunctorIdLi1ELi1ELi0EEEJNS0_5Log1pIdEEEEEvT_T0_DpT1_
    .private_segment_fixed_size: 0
    .sgpr_count:     43
    .sgpr_spill_count: 0
    .symbol:         _ZN2at6native12_GLOBAL__N_125multi_tensor_apply_kernelINS1_18TensorListMetadataILi1EEENS1_14UnaryOpFunctorIdLi1ELi1ELi0EEEJNS0_5Log1pIdEEEEEvT_T0_DpT1_.kd
    .uniform_work_group_size: 1
    .uses_dynamic_stack: false
    .vgpr_count:     92
    .vgpr_spill_count: 0
    .wavefront_size: 32
    .workgroup_processor_mode: 1
  - .args:
      - .offset:         0
        .size:           3368
        .value_kind:     by_value
      - .offset:         3368
        .size:           1
        .value_kind:     by_value
      - .offset:         3369
        .size:           1
        .value_kind:     by_value
      - .offset:         3376
        .size:           4
        .value_kind:     hidden_block_count_x
      - .offset:         3380
        .size:           4
        .value_kind:     hidden_block_count_y
      - .offset:         3384
        .size:           4
        .value_kind:     hidden_block_count_z
      - .offset:         3388
        .size:           2
        .value_kind:     hidden_group_size_x
      - .offset:         3390
        .size:           2
        .value_kind:     hidden_group_size_y
      - .offset:         3392
        .size:           2
        .value_kind:     hidden_group_size_z
      - .offset:         3394
        .size:           2
        .value_kind:     hidden_remainder_x
      - .offset:         3396
        .size:           2
        .value_kind:     hidden_remainder_y
      - .offset:         3398
        .size:           2
        .value_kind:     hidden_remainder_z
      - .offset:         3416
        .size:           8
        .value_kind:     hidden_global_offset_x
      - .offset:         3424
        .size:           8
        .value_kind:     hidden_global_offset_y
      - .offset:         3432
        .size:           8
        .value_kind:     hidden_global_offset_z
      - .offset:         3440
        .size:           2
        .value_kind:     hidden_grid_dims
    .group_segment_fixed_size: 0
    .kernarg_segment_align: 8
    .kernarg_segment_size: 3632
    .language:       OpenCL C
    .language_version:
      - 2
      - 0
    .max_flat_workgroup_size: 512
    .name:           _ZN2at6native12_GLOBAL__N_125multi_tensor_apply_kernelINS1_18TensorListMetadataILi1EEENS1_14UnaryOpFunctorIfLi1ELi1ELi0EEEJNS0_5Log1pIfEEEEEvT_T0_DpT1_
    .private_segment_fixed_size: 0
    .sgpr_count:     24
    .sgpr_spill_count: 0
    .symbol:         _ZN2at6native12_GLOBAL__N_125multi_tensor_apply_kernelINS1_18TensorListMetadataILi1EEENS1_14UnaryOpFunctorIfLi1ELi1ELi0EEEJNS0_5Log1pIfEEEEEvT_T0_DpT1_.kd
    .uniform_work_group_size: 1
    .uses_dynamic_stack: false
    .vgpr_count:     60
    .vgpr_spill_count: 0
    .wavefront_size: 32
    .workgroup_processor_mode: 1
  - .args:
      - .offset:         0
        .size:           3368
        .value_kind:     by_value
      - .offset:         3368
        .size:           1
        .value_kind:     by_value
      - .offset:         3369
        .size:           1
        .value_kind:     by_value
      - .offset:         3376
        .size:           4
        .value_kind:     hidden_block_count_x
      - .offset:         3380
        .size:           4
        .value_kind:     hidden_block_count_y
      - .offset:         3384
        .size:           4
        .value_kind:     hidden_block_count_z
      - .offset:         3388
        .size:           2
        .value_kind:     hidden_group_size_x
      - .offset:         3390
        .size:           2
        .value_kind:     hidden_group_size_y
      - .offset:         3392
        .size:           2
        .value_kind:     hidden_group_size_z
      - .offset:         3394
        .size:           2
        .value_kind:     hidden_remainder_x
      - .offset:         3396
        .size:           2
        .value_kind:     hidden_remainder_y
      - .offset:         3398
        .size:           2
        .value_kind:     hidden_remainder_z
      - .offset:         3416
        .size:           8
        .value_kind:     hidden_global_offset_x
      - .offset:         3424
        .size:           8
        .value_kind:     hidden_global_offset_y
      - .offset:         3432
        .size:           8
        .value_kind:     hidden_global_offset_z
      - .offset:         3440
        .size:           2
        .value_kind:     hidden_grid_dims
    .group_segment_fixed_size: 0
    .kernarg_segment_align: 8
    .kernarg_segment_size: 3632
    .language:       OpenCL C
    .language_version:
      - 2
      - 0
    .max_flat_workgroup_size: 512
    .name:           _ZN2at6native12_GLOBAL__N_125multi_tensor_apply_kernelINS1_18TensorListMetadataILi1EEENS1_14UnaryOpFunctorIN3c107complexIdEELi1ELi1ELi0EEEJNS0_5Log1pIS8_EEEEEvT_T0_DpT1_
    .private_segment_fixed_size: 0
    .sgpr_count:     100
    .sgpr_spill_count: 0
    .symbol:         _ZN2at6native12_GLOBAL__N_125multi_tensor_apply_kernelINS1_18TensorListMetadataILi1EEENS1_14UnaryOpFunctorIN3c107complexIdEELi1ELi1ELi0EEEJNS0_5Log1pIS8_EEEEEvT_T0_DpT1_.kd
    .uniform_work_group_size: 1
    .uses_dynamic_stack: false
    .vgpr_count:     80
    .vgpr_spill_count: 0
    .wavefront_size: 32
    .workgroup_processor_mode: 1
  - .args:
      - .offset:         0
        .size:           3368
        .value_kind:     by_value
      - .offset:         3368
        .size:           1
        .value_kind:     by_value
      - .offset:         3369
        .size:           1
        .value_kind:     by_value
      - .offset:         3376
        .size:           4
        .value_kind:     hidden_block_count_x
      - .offset:         3380
        .size:           4
        .value_kind:     hidden_block_count_y
      - .offset:         3384
        .size:           4
        .value_kind:     hidden_block_count_z
      - .offset:         3388
        .size:           2
        .value_kind:     hidden_group_size_x
      - .offset:         3390
        .size:           2
        .value_kind:     hidden_group_size_y
      - .offset:         3392
        .size:           2
        .value_kind:     hidden_group_size_z
      - .offset:         3394
        .size:           2
        .value_kind:     hidden_remainder_x
      - .offset:         3396
        .size:           2
        .value_kind:     hidden_remainder_y
      - .offset:         3398
        .size:           2
        .value_kind:     hidden_remainder_z
      - .offset:         3416
        .size:           8
        .value_kind:     hidden_global_offset_x
      - .offset:         3424
        .size:           8
        .value_kind:     hidden_global_offset_y
      - .offset:         3432
        .size:           8
        .value_kind:     hidden_global_offset_z
      - .offset:         3440
        .size:           2
        .value_kind:     hidden_grid_dims
    .group_segment_fixed_size: 0
    .kernarg_segment_align: 8
    .kernarg_segment_size: 3632
    .language:       OpenCL C
    .language_version:
      - 2
      - 0
    .max_flat_workgroup_size: 512
    .name:           _ZN2at6native12_GLOBAL__N_125multi_tensor_apply_kernelINS1_18TensorListMetadataILi1EEENS1_14UnaryOpFunctorIN3c107complexIfEELi1ELi1ELi0EEEJNS0_5Log1pIS8_EEEEEvT_T0_DpT1_
    .private_segment_fixed_size: 0
    .sgpr_count:     26
    .sgpr_spill_count: 0
    .symbol:         _ZN2at6native12_GLOBAL__N_125multi_tensor_apply_kernelINS1_18TensorListMetadataILi1EEENS1_14UnaryOpFunctorIN3c107complexIfEELi1ELi1ELi0EEEJNS0_5Log1pIS8_EEEEEvT_T0_DpT1_.kd
    .uniform_work_group_size: 1
    .uses_dynamic_stack: false
    .vgpr_count:     46
    .vgpr_spill_count: 0
    .wavefront_size: 32
    .workgroup_processor_mode: 1
  - .args:
      - .offset:         0
        .size:           3368
        .value_kind:     by_value
      - .offset:         3368
        .size:           1
        .value_kind:     by_value
      - .offset:         3369
        .size:           1
        .value_kind:     by_value
      - .offset:         3376
        .size:           4
        .value_kind:     hidden_block_count_x
      - .offset:         3380
        .size:           4
        .value_kind:     hidden_block_count_y
      - .offset:         3384
        .size:           4
        .value_kind:     hidden_block_count_z
      - .offset:         3388
        .size:           2
        .value_kind:     hidden_group_size_x
      - .offset:         3390
        .size:           2
        .value_kind:     hidden_group_size_y
      - .offset:         3392
        .size:           2
        .value_kind:     hidden_group_size_z
      - .offset:         3394
        .size:           2
        .value_kind:     hidden_remainder_x
      - .offset:         3396
        .size:           2
        .value_kind:     hidden_remainder_y
      - .offset:         3398
        .size:           2
        .value_kind:     hidden_remainder_z
      - .offset:         3416
        .size:           8
        .value_kind:     hidden_global_offset_x
      - .offset:         3424
        .size:           8
        .value_kind:     hidden_global_offset_y
      - .offset:         3432
        .size:           8
        .value_kind:     hidden_global_offset_z
      - .offset:         3440
        .size:           2
        .value_kind:     hidden_grid_dims
    .group_segment_fixed_size: 0
    .kernarg_segment_align: 8
    .kernarg_segment_size: 3632
    .language:       OpenCL C
    .language_version:
      - 2
      - 0
    .max_flat_workgroup_size: 512
    .name:           _ZN2at6native12_GLOBAL__N_125multi_tensor_apply_kernelINS1_18TensorListMetadataILi1EEENS1_14UnaryOpFunctorIN3c104HalfELi1ELi1ELi0EEEJNS0_5Log1pIfEEEEEvT_T0_DpT1_
    .private_segment_fixed_size: 0
    .sgpr_count:     23
    .sgpr_spill_count: 0
    .symbol:         _ZN2at6native12_GLOBAL__N_125multi_tensor_apply_kernelINS1_18TensorListMetadataILi1EEENS1_14UnaryOpFunctorIN3c104HalfELi1ELi1ELi0EEEJNS0_5Log1pIfEEEEEvT_T0_DpT1_.kd
    .uniform_work_group_size: 1
    .uses_dynamic_stack: false
    .vgpr_count:     60
    .vgpr_spill_count: 0
    .wavefront_size: 32
    .workgroup_processor_mode: 1
  - .args:
      - .offset:         0
        .size:           3368
        .value_kind:     by_value
      - .offset:         3368
        .size:           1
        .value_kind:     by_value
      - .offset:         3369
        .size:           1
        .value_kind:     by_value
      - .offset:         3376
        .size:           4
        .value_kind:     hidden_block_count_x
      - .offset:         3380
        .size:           4
        .value_kind:     hidden_block_count_y
      - .offset:         3384
        .size:           4
        .value_kind:     hidden_block_count_z
      - .offset:         3388
        .size:           2
        .value_kind:     hidden_group_size_x
      - .offset:         3390
        .size:           2
        .value_kind:     hidden_group_size_y
      - .offset:         3392
        .size:           2
        .value_kind:     hidden_group_size_z
      - .offset:         3394
        .size:           2
        .value_kind:     hidden_remainder_x
      - .offset:         3396
        .size:           2
        .value_kind:     hidden_remainder_y
      - .offset:         3398
        .size:           2
        .value_kind:     hidden_remainder_z
      - .offset:         3416
        .size:           8
        .value_kind:     hidden_global_offset_x
      - .offset:         3424
        .size:           8
        .value_kind:     hidden_global_offset_y
      - .offset:         3432
        .size:           8
        .value_kind:     hidden_global_offset_z
      - .offset:         3440
        .size:           2
        .value_kind:     hidden_grid_dims
    .group_segment_fixed_size: 0
    .kernarg_segment_align: 8
    .kernarg_segment_size: 3632
    .language:       OpenCL C
    .language_version:
      - 2
      - 0
    .max_flat_workgroup_size: 512
    .name:           _ZN2at6native12_GLOBAL__N_125multi_tensor_apply_kernelINS1_18TensorListMetadataILi1EEENS1_14UnaryOpFunctorIN3c108BFloat16ELi1ELi1ELi0EEEJNS0_5Log1pIfEEEEEvT_T0_DpT1_
    .private_segment_fixed_size: 0
    .sgpr_count:     23
    .sgpr_spill_count: 0
    .symbol:         _ZN2at6native12_GLOBAL__N_125multi_tensor_apply_kernelINS1_18TensorListMetadataILi1EEENS1_14UnaryOpFunctorIN3c108BFloat16ELi1ELi1ELi0EEEJNS0_5Log1pIfEEEEEvT_T0_DpT1_.kd
    .uniform_work_group_size: 1
    .uses_dynamic_stack: false
    .vgpr_count:     57
    .vgpr_spill_count: 0
    .wavefront_size: 32
    .workgroup_processor_mode: 1
  - .args:
      - .offset:         0
        .size:           3144
        .value_kind:     by_value
      - .offset:         3144
        .size:           1
        .value_kind:     by_value
      - .offset:         3145
        .size:           1
        .value_kind:     by_value
      - .offset:         3152
        .size:           4
        .value_kind:     hidden_block_count_x
      - .offset:         3156
        .size:           4
        .value_kind:     hidden_block_count_y
      - .offset:         3160
        .size:           4
        .value_kind:     hidden_block_count_z
      - .offset:         3164
        .size:           2
        .value_kind:     hidden_group_size_x
      - .offset:         3166
        .size:           2
        .value_kind:     hidden_group_size_y
      - .offset:         3168
        .size:           2
        .value_kind:     hidden_group_size_z
      - .offset:         3170
        .size:           2
        .value_kind:     hidden_remainder_x
      - .offset:         3172
        .size:           2
        .value_kind:     hidden_remainder_y
      - .offset:         3174
        .size:           2
        .value_kind:     hidden_remainder_z
      - .offset:         3192
        .size:           8
        .value_kind:     hidden_global_offset_x
      - .offset:         3200
        .size:           8
        .value_kind:     hidden_global_offset_y
      - .offset:         3208
        .size:           8
        .value_kind:     hidden_global_offset_z
      - .offset:         3216
        .size:           2
        .value_kind:     hidden_grid_dims
    .group_segment_fixed_size: 0
    .kernarg_segment_align: 8
    .kernarg_segment_size: 3408
    .language:       OpenCL C
    .language_version:
      - 2
      - 0
    .max_flat_workgroup_size: 512
    .name:           _ZN2at6native12_GLOBAL__N_125multi_tensor_apply_kernelINS1_18TensorListMetadataILi2EEENS1_14UnaryOpFunctorIdLi2ELi1ELi1EEEJNS0_3CosIdEEEEEvT_T0_DpT1_
    .private_segment_fixed_size: 0
    .sgpr_count:     69
    .sgpr_spill_count: 0
    .symbol:         _ZN2at6native12_GLOBAL__N_125multi_tensor_apply_kernelINS1_18TensorListMetadataILi2EEENS1_14UnaryOpFunctorIdLi2ELi1ELi1EEEJNS0_3CosIdEEEEEvT_T0_DpT1_.kd
    .uniform_work_group_size: 1
    .uses_dynamic_stack: false
    .vgpr_count:     94
    .vgpr_spill_count: 0
    .wavefront_size: 32
    .workgroup_processor_mode: 1
  - .args:
      - .offset:         0
        .size:           3144
        .value_kind:     by_value
      - .offset:         3144
        .size:           1
        .value_kind:     by_value
      - .offset:         3145
        .size:           1
        .value_kind:     by_value
      - .offset:         3152
        .size:           4
        .value_kind:     hidden_block_count_x
      - .offset:         3156
        .size:           4
        .value_kind:     hidden_block_count_y
      - .offset:         3160
        .size:           4
        .value_kind:     hidden_block_count_z
      - .offset:         3164
        .size:           2
        .value_kind:     hidden_group_size_x
      - .offset:         3166
        .size:           2
        .value_kind:     hidden_group_size_y
      - .offset:         3168
        .size:           2
        .value_kind:     hidden_group_size_z
      - .offset:         3170
        .size:           2
        .value_kind:     hidden_remainder_x
      - .offset:         3172
        .size:           2
        .value_kind:     hidden_remainder_y
      - .offset:         3174
        .size:           2
        .value_kind:     hidden_remainder_z
      - .offset:         3192
        .size:           8
        .value_kind:     hidden_global_offset_x
      - .offset:         3200
        .size:           8
        .value_kind:     hidden_global_offset_y
      - .offset:         3208
        .size:           8
        .value_kind:     hidden_global_offset_z
      - .offset:         3216
        .size:           2
        .value_kind:     hidden_grid_dims
    .group_segment_fixed_size: 0
    .kernarg_segment_align: 8
    .kernarg_segment_size: 3408
    .language:       OpenCL C
    .language_version:
      - 2
      - 0
    .max_flat_workgroup_size: 512
    .name:           _ZN2at6native12_GLOBAL__N_125multi_tensor_apply_kernelINS1_18TensorListMetadataILi2EEENS1_14UnaryOpFunctorIfLi2ELi1ELi1EEEJNS0_3CosIfEEEEEvT_T0_DpT1_
    .private_segment_fixed_size: 0
    .sgpr_count:     27
    .sgpr_spill_count: 0
    .symbol:         _ZN2at6native12_GLOBAL__N_125multi_tensor_apply_kernelINS1_18TensorListMetadataILi2EEENS1_14UnaryOpFunctorIfLi2ELi1ELi1EEEJNS0_3CosIfEEEEEvT_T0_DpT1_.kd
    .uniform_work_group_size: 1
    .uses_dynamic_stack: false
    .vgpr_count:     45
    .vgpr_spill_count: 0
    .wavefront_size: 32
    .workgroup_processor_mode: 1
  - .args:
      - .offset:         0
        .size:           3144
        .value_kind:     by_value
      - .offset:         3144
        .size:           1
        .value_kind:     by_value
      - .offset:         3145
        .size:           1
        .value_kind:     by_value
      - .offset:         3152
        .size:           4
        .value_kind:     hidden_block_count_x
      - .offset:         3156
        .size:           4
        .value_kind:     hidden_block_count_y
      - .offset:         3160
        .size:           4
        .value_kind:     hidden_block_count_z
      - .offset:         3164
        .size:           2
        .value_kind:     hidden_group_size_x
      - .offset:         3166
        .size:           2
        .value_kind:     hidden_group_size_y
      - .offset:         3168
        .size:           2
        .value_kind:     hidden_group_size_z
      - .offset:         3170
        .size:           2
        .value_kind:     hidden_remainder_x
      - .offset:         3172
        .size:           2
        .value_kind:     hidden_remainder_y
      - .offset:         3174
        .size:           2
        .value_kind:     hidden_remainder_z
      - .offset:         3192
        .size:           8
        .value_kind:     hidden_global_offset_x
      - .offset:         3200
        .size:           8
        .value_kind:     hidden_global_offset_y
      - .offset:         3208
        .size:           8
        .value_kind:     hidden_global_offset_z
      - .offset:         3216
        .size:           2
        .value_kind:     hidden_grid_dims
    .group_segment_fixed_size: 0
    .kernarg_segment_align: 8
    .kernarg_segment_size: 3408
    .language:       OpenCL C
    .language_version:
      - 2
      - 0
    .max_flat_workgroup_size: 512
    .name:           _ZN2at6native12_GLOBAL__N_125multi_tensor_apply_kernelINS1_18TensorListMetadataILi2EEENS1_14UnaryOpFunctorIN3c107complexIdEELi2ELi1ELi1EEEJNS0_3CosIS8_EEEEEvT_T0_DpT1_
    .private_segment_fixed_size: 0
    .sgpr_count:     44
    .sgpr_spill_count: 0
    .symbol:         _ZN2at6native12_GLOBAL__N_125multi_tensor_apply_kernelINS1_18TensorListMetadataILi2EEENS1_14UnaryOpFunctorIN3c107complexIdEELi2ELi1ELi1EEEJNS0_3CosIS8_EEEEEvT_T0_DpT1_.kd
    .uniform_work_group_size: 1
    .uses_dynamic_stack: false
    .vgpr_count:     90
    .vgpr_spill_count: 0
    .wavefront_size: 32
    .workgroup_processor_mode: 1
  - .args:
      - .offset:         0
        .size:           3144
        .value_kind:     by_value
      - .offset:         3144
        .size:           1
        .value_kind:     by_value
      - .offset:         3145
        .size:           1
        .value_kind:     by_value
      - .offset:         3152
        .size:           4
        .value_kind:     hidden_block_count_x
      - .offset:         3156
        .size:           4
        .value_kind:     hidden_block_count_y
      - .offset:         3160
        .size:           4
        .value_kind:     hidden_block_count_z
      - .offset:         3164
        .size:           2
        .value_kind:     hidden_group_size_x
      - .offset:         3166
        .size:           2
        .value_kind:     hidden_group_size_y
      - .offset:         3168
        .size:           2
        .value_kind:     hidden_group_size_z
      - .offset:         3170
        .size:           2
        .value_kind:     hidden_remainder_x
      - .offset:         3172
        .size:           2
        .value_kind:     hidden_remainder_y
      - .offset:         3174
        .size:           2
        .value_kind:     hidden_remainder_z
      - .offset:         3192
        .size:           8
        .value_kind:     hidden_global_offset_x
      - .offset:         3200
        .size:           8
        .value_kind:     hidden_global_offset_y
      - .offset:         3208
        .size:           8
        .value_kind:     hidden_global_offset_z
      - .offset:         3216
        .size:           2
        .value_kind:     hidden_grid_dims
    .group_segment_fixed_size: 0
    .kernarg_segment_align: 8
    .kernarg_segment_size: 3408
    .language:       OpenCL C
    .language_version:
      - 2
      - 0
    .max_flat_workgroup_size: 512
    .name:           _ZN2at6native12_GLOBAL__N_125multi_tensor_apply_kernelINS1_18TensorListMetadataILi2EEENS1_14UnaryOpFunctorIN3c107complexIfEELi2ELi1ELi1EEEJNS0_3CosIS8_EEEEEvT_T0_DpT1_
    .private_segment_fixed_size: 0
    .sgpr_count:     38
    .sgpr_spill_count: 0
    .symbol:         _ZN2at6native12_GLOBAL__N_125multi_tensor_apply_kernelINS1_18TensorListMetadataILi2EEENS1_14UnaryOpFunctorIN3c107complexIfEELi2ELi1ELi1EEEJNS0_3CosIS8_EEEEEvT_T0_DpT1_.kd
    .uniform_work_group_size: 1
    .uses_dynamic_stack: false
    .vgpr_count:     45
    .vgpr_spill_count: 0
    .wavefront_size: 32
    .workgroup_processor_mode: 1
  - .args:
      - .offset:         0
        .size:           3144
        .value_kind:     by_value
      - .offset:         3144
        .size:           1
        .value_kind:     by_value
      - .offset:         3145
        .size:           1
        .value_kind:     by_value
      - .offset:         3152
        .size:           4
        .value_kind:     hidden_block_count_x
      - .offset:         3156
        .size:           4
        .value_kind:     hidden_block_count_y
      - .offset:         3160
        .size:           4
        .value_kind:     hidden_block_count_z
      - .offset:         3164
        .size:           2
        .value_kind:     hidden_group_size_x
      - .offset:         3166
        .size:           2
        .value_kind:     hidden_group_size_y
      - .offset:         3168
        .size:           2
        .value_kind:     hidden_group_size_z
      - .offset:         3170
        .size:           2
        .value_kind:     hidden_remainder_x
      - .offset:         3172
        .size:           2
        .value_kind:     hidden_remainder_y
      - .offset:         3174
        .size:           2
        .value_kind:     hidden_remainder_z
      - .offset:         3192
        .size:           8
        .value_kind:     hidden_global_offset_x
      - .offset:         3200
        .size:           8
        .value_kind:     hidden_global_offset_y
      - .offset:         3208
        .size:           8
        .value_kind:     hidden_global_offset_z
      - .offset:         3216
        .size:           2
        .value_kind:     hidden_grid_dims
    .group_segment_fixed_size: 0
    .kernarg_segment_align: 8
    .kernarg_segment_size: 3408
    .language:       OpenCL C
    .language_version:
      - 2
      - 0
    .max_flat_workgroup_size: 512
    .name:           _ZN2at6native12_GLOBAL__N_125multi_tensor_apply_kernelINS1_18TensorListMetadataILi2EEENS1_14UnaryOpFunctorIN3c104HalfELi2ELi1ELi1EEEJNS0_3CosIfEEEEEvT_T0_DpT1_
    .private_segment_fixed_size: 0
    .sgpr_count:     27
    .sgpr_spill_count: 0
    .symbol:         _ZN2at6native12_GLOBAL__N_125multi_tensor_apply_kernelINS1_18TensorListMetadataILi2EEENS1_14UnaryOpFunctorIN3c104HalfELi2ELi1ELi1EEEJNS0_3CosIfEEEEEvT_T0_DpT1_.kd
    .uniform_work_group_size: 1
    .uses_dynamic_stack: false
    .vgpr_count:     45
    .vgpr_spill_count: 0
    .wavefront_size: 32
    .workgroup_processor_mode: 1
  - .args:
      - .offset:         0
        .size:           3144
        .value_kind:     by_value
      - .offset:         3144
        .size:           1
        .value_kind:     by_value
      - .offset:         3145
        .size:           1
        .value_kind:     by_value
      - .offset:         3152
        .size:           4
        .value_kind:     hidden_block_count_x
      - .offset:         3156
        .size:           4
        .value_kind:     hidden_block_count_y
      - .offset:         3160
        .size:           4
        .value_kind:     hidden_block_count_z
      - .offset:         3164
        .size:           2
        .value_kind:     hidden_group_size_x
      - .offset:         3166
        .size:           2
        .value_kind:     hidden_group_size_y
      - .offset:         3168
        .size:           2
        .value_kind:     hidden_group_size_z
      - .offset:         3170
        .size:           2
        .value_kind:     hidden_remainder_x
      - .offset:         3172
        .size:           2
        .value_kind:     hidden_remainder_y
      - .offset:         3174
        .size:           2
        .value_kind:     hidden_remainder_z
      - .offset:         3192
        .size:           8
        .value_kind:     hidden_global_offset_x
      - .offset:         3200
        .size:           8
        .value_kind:     hidden_global_offset_y
      - .offset:         3208
        .size:           8
        .value_kind:     hidden_global_offset_z
      - .offset:         3216
        .size:           2
        .value_kind:     hidden_grid_dims
    .group_segment_fixed_size: 0
    .kernarg_segment_align: 8
    .kernarg_segment_size: 3408
    .language:       OpenCL C
    .language_version:
      - 2
      - 0
    .max_flat_workgroup_size: 512
    .name:           _ZN2at6native12_GLOBAL__N_125multi_tensor_apply_kernelINS1_18TensorListMetadataILi2EEENS1_14UnaryOpFunctorIN3c108BFloat16ELi2ELi1ELi1EEEJNS0_3CosIfEEEEEvT_T0_DpT1_
    .private_segment_fixed_size: 0
    .sgpr_count:     23
    .sgpr_spill_count: 0
    .symbol:         _ZN2at6native12_GLOBAL__N_125multi_tensor_apply_kernelINS1_18TensorListMetadataILi2EEENS1_14UnaryOpFunctorIN3c108BFloat16ELi2ELi1ELi1EEEJNS0_3CosIfEEEEEvT_T0_DpT1_.kd
    .uniform_work_group_size: 1
    .uses_dynamic_stack: false
    .vgpr_count:     45
    .vgpr_spill_count: 0
    .wavefront_size: 32
    .workgroup_processor_mode: 1
  - .args:
      - .offset:         0
        .size:           3368
        .value_kind:     by_value
      - .offset:         3368
        .size:           1
        .value_kind:     by_value
      - .offset:         3369
        .size:           1
        .value_kind:     by_value
      - .offset:         3376
        .size:           4
        .value_kind:     hidden_block_count_x
      - .offset:         3380
        .size:           4
        .value_kind:     hidden_block_count_y
      - .offset:         3384
        .size:           4
        .value_kind:     hidden_block_count_z
      - .offset:         3388
        .size:           2
        .value_kind:     hidden_group_size_x
      - .offset:         3390
        .size:           2
        .value_kind:     hidden_group_size_y
      - .offset:         3392
        .size:           2
        .value_kind:     hidden_group_size_z
      - .offset:         3394
        .size:           2
        .value_kind:     hidden_remainder_x
      - .offset:         3396
        .size:           2
        .value_kind:     hidden_remainder_y
      - .offset:         3398
        .size:           2
        .value_kind:     hidden_remainder_z
      - .offset:         3416
        .size:           8
        .value_kind:     hidden_global_offset_x
      - .offset:         3424
        .size:           8
        .value_kind:     hidden_global_offset_y
      - .offset:         3432
        .size:           8
        .value_kind:     hidden_global_offset_z
      - .offset:         3440
        .size:           2
        .value_kind:     hidden_grid_dims
    .group_segment_fixed_size: 0
    .kernarg_segment_align: 8
    .kernarg_segment_size: 3632
    .language:       OpenCL C
    .language_version:
      - 2
      - 0
    .max_flat_workgroup_size: 512
    .name:           _ZN2at6native12_GLOBAL__N_125multi_tensor_apply_kernelINS1_18TensorListMetadataILi1EEENS1_14UnaryOpFunctorIdLi1ELi1ELi0EEEJNS0_3CosIdEEEEEvT_T0_DpT1_
    .private_segment_fixed_size: 0
    .sgpr_count:     61
    .sgpr_spill_count: 0
    .symbol:         _ZN2at6native12_GLOBAL__N_125multi_tensor_apply_kernelINS1_18TensorListMetadataILi1EEENS1_14UnaryOpFunctorIdLi1ELi1ELi0EEEJNS0_3CosIdEEEEEvT_T0_DpT1_.kd
    .uniform_work_group_size: 1
    .uses_dynamic_stack: false
    .vgpr_count:     94
    .vgpr_spill_count: 0
    .wavefront_size: 32
    .workgroup_processor_mode: 1
  - .args:
      - .offset:         0
        .size:           3368
        .value_kind:     by_value
      - .offset:         3368
        .size:           1
        .value_kind:     by_value
      - .offset:         3369
        .size:           1
        .value_kind:     by_value
      - .offset:         3376
        .size:           4
        .value_kind:     hidden_block_count_x
      - .offset:         3380
        .size:           4
        .value_kind:     hidden_block_count_y
      - .offset:         3384
        .size:           4
        .value_kind:     hidden_block_count_z
      - .offset:         3388
        .size:           2
        .value_kind:     hidden_group_size_x
      - .offset:         3390
        .size:           2
        .value_kind:     hidden_group_size_y
      - .offset:         3392
        .size:           2
        .value_kind:     hidden_group_size_z
      - .offset:         3394
        .size:           2
        .value_kind:     hidden_remainder_x
      - .offset:         3396
        .size:           2
        .value_kind:     hidden_remainder_y
      - .offset:         3398
        .size:           2
        .value_kind:     hidden_remainder_z
      - .offset:         3416
        .size:           8
        .value_kind:     hidden_global_offset_x
      - .offset:         3424
        .size:           8
        .value_kind:     hidden_global_offset_y
      - .offset:         3432
        .size:           8
        .value_kind:     hidden_global_offset_z
      - .offset:         3440
        .size:           2
        .value_kind:     hidden_grid_dims
    .group_segment_fixed_size: 0
    .kernarg_segment_align: 8
    .kernarg_segment_size: 3632
    .language:       OpenCL C
    .language_version:
      - 2
      - 0
    .max_flat_workgroup_size: 512
    .name:           _ZN2at6native12_GLOBAL__N_125multi_tensor_apply_kernelINS1_18TensorListMetadataILi1EEENS1_14UnaryOpFunctorIfLi1ELi1ELi0EEEJNS0_3CosIfEEEEEvT_T0_DpT1_
    .private_segment_fixed_size: 0
    .sgpr_count:     29
    .sgpr_spill_count: 0
    .symbol:         _ZN2at6native12_GLOBAL__N_125multi_tensor_apply_kernelINS1_18TensorListMetadataILi1EEENS1_14UnaryOpFunctorIfLi1ELi1ELi0EEEJNS0_3CosIfEEEEEvT_T0_DpT1_.kd
    .uniform_work_group_size: 1
    .uses_dynamic_stack: false
    .vgpr_count:     33
    .vgpr_spill_count: 0
    .wavefront_size: 32
    .workgroup_processor_mode: 1
  - .args:
      - .offset:         0
        .size:           3368
        .value_kind:     by_value
      - .offset:         3368
        .size:           1
        .value_kind:     by_value
      - .offset:         3369
        .size:           1
        .value_kind:     by_value
      - .offset:         3376
        .size:           4
        .value_kind:     hidden_block_count_x
      - .offset:         3380
        .size:           4
        .value_kind:     hidden_block_count_y
      - .offset:         3384
        .size:           4
        .value_kind:     hidden_block_count_z
      - .offset:         3388
        .size:           2
        .value_kind:     hidden_group_size_x
      - .offset:         3390
        .size:           2
        .value_kind:     hidden_group_size_y
      - .offset:         3392
        .size:           2
        .value_kind:     hidden_group_size_z
      - .offset:         3394
        .size:           2
        .value_kind:     hidden_remainder_x
      - .offset:         3396
        .size:           2
        .value_kind:     hidden_remainder_y
      - .offset:         3398
        .size:           2
        .value_kind:     hidden_remainder_z
      - .offset:         3416
        .size:           8
        .value_kind:     hidden_global_offset_x
      - .offset:         3424
        .size:           8
        .value_kind:     hidden_global_offset_y
      - .offset:         3432
        .size:           8
        .value_kind:     hidden_global_offset_z
      - .offset:         3440
        .size:           2
        .value_kind:     hidden_grid_dims
    .group_segment_fixed_size: 0
    .kernarg_segment_align: 8
    .kernarg_segment_size: 3632
    .language:       OpenCL C
    .language_version:
      - 2
      - 0
    .max_flat_workgroup_size: 512
    .name:           _ZN2at6native12_GLOBAL__N_125multi_tensor_apply_kernelINS1_18TensorListMetadataILi1EEENS1_14UnaryOpFunctorIN3c107complexIdEELi1ELi1ELi0EEEJNS0_3CosIS8_EEEEEvT_T0_DpT1_
    .private_segment_fixed_size: 0
    .sgpr_count:     43
    .sgpr_spill_count: 0
    .symbol:         _ZN2at6native12_GLOBAL__N_125multi_tensor_apply_kernelINS1_18TensorListMetadataILi1EEENS1_14UnaryOpFunctorIN3c107complexIdEELi1ELi1ELi0EEEJNS0_3CosIS8_EEEEEvT_T0_DpT1_.kd
    .uniform_work_group_size: 1
    .uses_dynamic_stack: false
    .vgpr_count:     85
    .vgpr_spill_count: 0
    .wavefront_size: 32
    .workgroup_processor_mode: 1
  - .args:
      - .offset:         0
        .size:           3368
        .value_kind:     by_value
      - .offset:         3368
        .size:           1
        .value_kind:     by_value
      - .offset:         3369
        .size:           1
        .value_kind:     by_value
      - .offset:         3376
        .size:           4
        .value_kind:     hidden_block_count_x
      - .offset:         3380
        .size:           4
        .value_kind:     hidden_block_count_y
      - .offset:         3384
        .size:           4
        .value_kind:     hidden_block_count_z
      - .offset:         3388
        .size:           2
        .value_kind:     hidden_group_size_x
      - .offset:         3390
        .size:           2
        .value_kind:     hidden_group_size_y
      - .offset:         3392
        .size:           2
        .value_kind:     hidden_group_size_z
      - .offset:         3394
        .size:           2
        .value_kind:     hidden_remainder_x
      - .offset:         3396
        .size:           2
        .value_kind:     hidden_remainder_y
      - .offset:         3398
        .size:           2
        .value_kind:     hidden_remainder_z
      - .offset:         3416
        .size:           8
        .value_kind:     hidden_global_offset_x
      - .offset:         3424
        .size:           8
        .value_kind:     hidden_global_offset_y
      - .offset:         3432
        .size:           8
        .value_kind:     hidden_global_offset_z
      - .offset:         3440
        .size:           2
        .value_kind:     hidden_grid_dims
    .group_segment_fixed_size: 0
    .kernarg_segment_align: 8
    .kernarg_segment_size: 3632
    .language:       OpenCL C
    .language_version:
      - 2
      - 0
    .max_flat_workgroup_size: 512
    .name:           _ZN2at6native12_GLOBAL__N_125multi_tensor_apply_kernelINS1_18TensorListMetadataILi1EEENS1_14UnaryOpFunctorIN3c107complexIfEELi1ELi1ELi0EEEJNS0_3CosIS8_EEEEEvT_T0_DpT1_
    .private_segment_fixed_size: 0
    .sgpr_count:     36
    .sgpr_spill_count: 0
    .symbol:         _ZN2at6native12_GLOBAL__N_125multi_tensor_apply_kernelINS1_18TensorListMetadataILi1EEENS1_14UnaryOpFunctorIN3c107complexIfEELi1ELi1ELi0EEEJNS0_3CosIS8_EEEEEvT_T0_DpT1_.kd
    .uniform_work_group_size: 1
    .uses_dynamic_stack: false
    .vgpr_count:     40
    .vgpr_spill_count: 0
    .wavefront_size: 32
    .workgroup_processor_mode: 1
  - .args:
      - .offset:         0
        .size:           3368
        .value_kind:     by_value
      - .offset:         3368
        .size:           1
        .value_kind:     by_value
      - .offset:         3369
        .size:           1
        .value_kind:     by_value
      - .offset:         3376
        .size:           4
        .value_kind:     hidden_block_count_x
      - .offset:         3380
        .size:           4
        .value_kind:     hidden_block_count_y
      - .offset:         3384
        .size:           4
        .value_kind:     hidden_block_count_z
      - .offset:         3388
        .size:           2
        .value_kind:     hidden_group_size_x
      - .offset:         3390
        .size:           2
        .value_kind:     hidden_group_size_y
      - .offset:         3392
        .size:           2
        .value_kind:     hidden_group_size_z
      - .offset:         3394
        .size:           2
        .value_kind:     hidden_remainder_x
      - .offset:         3396
        .size:           2
        .value_kind:     hidden_remainder_y
      - .offset:         3398
        .size:           2
        .value_kind:     hidden_remainder_z
      - .offset:         3416
        .size:           8
        .value_kind:     hidden_global_offset_x
      - .offset:         3424
        .size:           8
        .value_kind:     hidden_global_offset_y
      - .offset:         3432
        .size:           8
        .value_kind:     hidden_global_offset_z
      - .offset:         3440
        .size:           2
        .value_kind:     hidden_grid_dims
    .group_segment_fixed_size: 0
    .kernarg_segment_align: 8
    .kernarg_segment_size: 3632
    .language:       OpenCL C
    .language_version:
      - 2
      - 0
    .max_flat_workgroup_size: 512
    .name:           _ZN2at6native12_GLOBAL__N_125multi_tensor_apply_kernelINS1_18TensorListMetadataILi1EEENS1_14UnaryOpFunctorIN3c104HalfELi1ELi1ELi0EEEJNS0_3CosIfEEEEEvT_T0_DpT1_
    .private_segment_fixed_size: 0
    .sgpr_count:     28
    .sgpr_spill_count: 0
    .symbol:         _ZN2at6native12_GLOBAL__N_125multi_tensor_apply_kernelINS1_18TensorListMetadataILi1EEENS1_14UnaryOpFunctorIN3c104HalfELi1ELi1ELi0EEEJNS0_3CosIfEEEEEvT_T0_DpT1_.kd
    .uniform_work_group_size: 1
    .uses_dynamic_stack: false
    .vgpr_count:     33
    .vgpr_spill_count: 0
    .wavefront_size: 32
    .workgroup_processor_mode: 1
  - .args:
      - .offset:         0
        .size:           3368
        .value_kind:     by_value
      - .offset:         3368
        .size:           1
        .value_kind:     by_value
      - .offset:         3369
        .size:           1
        .value_kind:     by_value
      - .offset:         3376
        .size:           4
        .value_kind:     hidden_block_count_x
      - .offset:         3380
        .size:           4
        .value_kind:     hidden_block_count_y
      - .offset:         3384
        .size:           4
        .value_kind:     hidden_block_count_z
      - .offset:         3388
        .size:           2
        .value_kind:     hidden_group_size_x
      - .offset:         3390
        .size:           2
        .value_kind:     hidden_group_size_y
      - .offset:         3392
        .size:           2
        .value_kind:     hidden_group_size_z
      - .offset:         3394
        .size:           2
        .value_kind:     hidden_remainder_x
      - .offset:         3396
        .size:           2
        .value_kind:     hidden_remainder_y
      - .offset:         3398
        .size:           2
        .value_kind:     hidden_remainder_z
      - .offset:         3416
        .size:           8
        .value_kind:     hidden_global_offset_x
      - .offset:         3424
        .size:           8
        .value_kind:     hidden_global_offset_y
      - .offset:         3432
        .size:           8
        .value_kind:     hidden_global_offset_z
      - .offset:         3440
        .size:           2
        .value_kind:     hidden_grid_dims
    .group_segment_fixed_size: 0
    .kernarg_segment_align: 8
    .kernarg_segment_size: 3632
    .language:       OpenCL C
    .language_version:
      - 2
      - 0
    .max_flat_workgroup_size: 512
    .name:           _ZN2at6native12_GLOBAL__N_125multi_tensor_apply_kernelINS1_18TensorListMetadataILi1EEENS1_14UnaryOpFunctorIN3c108BFloat16ELi1ELi1ELi0EEEJNS0_3CosIfEEEEEvT_T0_DpT1_
    .private_segment_fixed_size: 0
    .sgpr_count:     28
    .sgpr_spill_count: 0
    .symbol:         _ZN2at6native12_GLOBAL__N_125multi_tensor_apply_kernelINS1_18TensorListMetadataILi1EEENS1_14UnaryOpFunctorIN3c108BFloat16ELi1ELi1ELi0EEEJNS0_3CosIfEEEEEvT_T0_DpT1_.kd
    .uniform_work_group_size: 1
    .uses_dynamic_stack: false
    .vgpr_count:     33
    .vgpr_spill_count: 0
    .wavefront_size: 32
    .workgroup_processor_mode: 1
  - .args:
      - .offset:         0
        .size:           3144
        .value_kind:     by_value
      - .offset:         3144
        .size:           1
        .value_kind:     by_value
      - .offset:         3145
        .size:           1
        .value_kind:     by_value
      - .offset:         3152
        .size:           4
        .value_kind:     hidden_block_count_x
      - .offset:         3156
        .size:           4
        .value_kind:     hidden_block_count_y
      - .offset:         3160
        .size:           4
        .value_kind:     hidden_block_count_z
      - .offset:         3164
        .size:           2
        .value_kind:     hidden_group_size_x
      - .offset:         3166
        .size:           2
        .value_kind:     hidden_group_size_y
      - .offset:         3168
        .size:           2
        .value_kind:     hidden_group_size_z
      - .offset:         3170
        .size:           2
        .value_kind:     hidden_remainder_x
      - .offset:         3172
        .size:           2
        .value_kind:     hidden_remainder_y
      - .offset:         3174
        .size:           2
        .value_kind:     hidden_remainder_z
      - .offset:         3192
        .size:           8
        .value_kind:     hidden_global_offset_x
      - .offset:         3200
        .size:           8
        .value_kind:     hidden_global_offset_y
      - .offset:         3208
        .size:           8
        .value_kind:     hidden_global_offset_z
      - .offset:         3216
        .size:           2
        .value_kind:     hidden_grid_dims
    .group_segment_fixed_size: 0
    .kernarg_segment_align: 8
    .kernarg_segment_size: 3408
    .language:       OpenCL C
    .language_version:
      - 2
      - 0
    .max_flat_workgroup_size: 512
    .name:           _ZN2at6native12_GLOBAL__N_125multi_tensor_apply_kernelINS1_18TensorListMetadataILi2EEENS1_14UnaryOpFunctorIdLi2ELi1ELi1EEEJNS0_4SqrtIdEEEEEvT_T0_DpT1_
    .private_segment_fixed_size: 0
    .sgpr_count:     26
    .sgpr_spill_count: 0
    .symbol:         _ZN2at6native12_GLOBAL__N_125multi_tensor_apply_kernelINS1_18TensorListMetadataILi2EEENS1_14UnaryOpFunctorIdLi2ELi1ELi1EEEJNS0_4SqrtIdEEEEEvT_T0_DpT1_.kd
    .uniform_work_group_size: 1
    .uses_dynamic_stack: false
    .vgpr_count:     37
    .vgpr_spill_count: 0
    .wavefront_size: 32
    .workgroup_processor_mode: 1
  - .args:
      - .offset:         0
        .size:           3144
        .value_kind:     by_value
      - .offset:         3144
        .size:           1
        .value_kind:     by_value
      - .offset:         3145
        .size:           1
        .value_kind:     by_value
      - .offset:         3152
        .size:           4
        .value_kind:     hidden_block_count_x
      - .offset:         3156
        .size:           4
        .value_kind:     hidden_block_count_y
      - .offset:         3160
        .size:           4
        .value_kind:     hidden_block_count_z
      - .offset:         3164
        .size:           2
        .value_kind:     hidden_group_size_x
      - .offset:         3166
        .size:           2
        .value_kind:     hidden_group_size_y
      - .offset:         3168
        .size:           2
        .value_kind:     hidden_group_size_z
      - .offset:         3170
        .size:           2
        .value_kind:     hidden_remainder_x
      - .offset:         3172
        .size:           2
        .value_kind:     hidden_remainder_y
      - .offset:         3174
        .size:           2
        .value_kind:     hidden_remainder_z
      - .offset:         3192
        .size:           8
        .value_kind:     hidden_global_offset_x
      - .offset:         3200
        .size:           8
        .value_kind:     hidden_global_offset_y
      - .offset:         3208
        .size:           8
        .value_kind:     hidden_global_offset_z
      - .offset:         3216
        .size:           2
        .value_kind:     hidden_grid_dims
    .group_segment_fixed_size: 0
    .kernarg_segment_align: 8
    .kernarg_segment_size: 3408
    .language:       OpenCL C
    .language_version:
      - 2
      - 0
    .max_flat_workgroup_size: 512
    .name:           _ZN2at6native12_GLOBAL__N_125multi_tensor_apply_kernelINS1_18TensorListMetadataILi2EEENS1_14UnaryOpFunctorIfLi2ELi1ELi1EEEJNS0_4SqrtIfEEEEEvT_T0_DpT1_
    .private_segment_fixed_size: 0
    .sgpr_count:     28
    .sgpr_spill_count: 0
    .symbol:         _ZN2at6native12_GLOBAL__N_125multi_tensor_apply_kernelINS1_18TensorListMetadataILi2EEENS1_14UnaryOpFunctorIfLi2ELi1ELi1EEEJNS0_4SqrtIfEEEEEvT_T0_DpT1_.kd
    .uniform_work_group_size: 1
    .uses_dynamic_stack: false
    .vgpr_count:     32
    .vgpr_spill_count: 0
    .wavefront_size: 32
    .workgroup_processor_mode: 1
  - .args:
      - .offset:         0
        .size:           3144
        .value_kind:     by_value
      - .offset:         3144
        .size:           1
        .value_kind:     by_value
      - .offset:         3145
        .size:           1
        .value_kind:     by_value
      - .offset:         3152
        .size:           4
        .value_kind:     hidden_block_count_x
      - .offset:         3156
        .size:           4
        .value_kind:     hidden_block_count_y
      - .offset:         3160
        .size:           4
        .value_kind:     hidden_block_count_z
      - .offset:         3164
        .size:           2
        .value_kind:     hidden_group_size_x
      - .offset:         3166
        .size:           2
        .value_kind:     hidden_group_size_y
      - .offset:         3168
        .size:           2
        .value_kind:     hidden_group_size_z
      - .offset:         3170
        .size:           2
        .value_kind:     hidden_remainder_x
      - .offset:         3172
        .size:           2
        .value_kind:     hidden_remainder_y
      - .offset:         3174
        .size:           2
        .value_kind:     hidden_remainder_z
      - .offset:         3192
        .size:           8
        .value_kind:     hidden_global_offset_x
      - .offset:         3200
        .size:           8
        .value_kind:     hidden_global_offset_y
      - .offset:         3208
        .size:           8
        .value_kind:     hidden_global_offset_z
      - .offset:         3216
        .size:           2
        .value_kind:     hidden_grid_dims
    .group_segment_fixed_size: 0
    .kernarg_segment_align: 8
    .kernarg_segment_size: 3408
    .language:       OpenCL C
    .language_version:
      - 2
      - 0
    .max_flat_workgroup_size: 512
    .name:           _ZN2at6native12_GLOBAL__N_125multi_tensor_apply_kernelINS1_18TensorListMetadataILi2EEENS1_14UnaryOpFunctorIN3c107complexIdEELi2ELi1ELi1EEEJNS0_4SqrtIS8_EEEEEvT_T0_DpT1_
    .private_segment_fixed_size: 0
    .sgpr_count:     33
    .sgpr_spill_count: 0
    .symbol:         _ZN2at6native12_GLOBAL__N_125multi_tensor_apply_kernelINS1_18TensorListMetadataILi2EEENS1_14UnaryOpFunctorIN3c107complexIdEELi2ELi1ELi1EEEJNS0_4SqrtIS8_EEEEEvT_T0_DpT1_.kd
    .uniform_work_group_size: 1
    .uses_dynamic_stack: false
    .vgpr_count:     46
    .vgpr_spill_count: 0
    .wavefront_size: 32
    .workgroup_processor_mode: 1
  - .args:
      - .offset:         0
        .size:           3144
        .value_kind:     by_value
      - .offset:         3144
        .size:           1
        .value_kind:     by_value
      - .offset:         3145
        .size:           1
        .value_kind:     by_value
      - .offset:         3152
        .size:           4
        .value_kind:     hidden_block_count_x
      - .offset:         3156
        .size:           4
        .value_kind:     hidden_block_count_y
      - .offset:         3160
        .size:           4
        .value_kind:     hidden_block_count_z
      - .offset:         3164
        .size:           2
        .value_kind:     hidden_group_size_x
      - .offset:         3166
        .size:           2
        .value_kind:     hidden_group_size_y
      - .offset:         3168
        .size:           2
        .value_kind:     hidden_group_size_z
      - .offset:         3170
        .size:           2
        .value_kind:     hidden_remainder_x
      - .offset:         3172
        .size:           2
        .value_kind:     hidden_remainder_y
      - .offset:         3174
        .size:           2
        .value_kind:     hidden_remainder_z
      - .offset:         3192
        .size:           8
        .value_kind:     hidden_global_offset_x
      - .offset:         3200
        .size:           8
        .value_kind:     hidden_global_offset_y
      - .offset:         3208
        .size:           8
        .value_kind:     hidden_global_offset_z
      - .offset:         3216
        .size:           2
        .value_kind:     hidden_grid_dims
    .group_segment_fixed_size: 0
    .kernarg_segment_align: 8
    .kernarg_segment_size: 3408
    .language:       OpenCL C
    .language_version:
      - 2
      - 0
    .max_flat_workgroup_size: 512
    .name:           _ZN2at6native12_GLOBAL__N_125multi_tensor_apply_kernelINS1_18TensorListMetadataILi2EEENS1_14UnaryOpFunctorIN3c107complexIfEELi2ELi1ELi1EEEJNS0_4SqrtIS8_EEEEEvT_T0_DpT1_
    .private_segment_fixed_size: 0
    .sgpr_count:     29
    .sgpr_spill_count: 0
    .symbol:         _ZN2at6native12_GLOBAL__N_125multi_tensor_apply_kernelINS1_18TensorListMetadataILi2EEENS1_14UnaryOpFunctorIN3c107complexIfEELi2ELi1ELi1EEEJNS0_4SqrtIS8_EEEEEvT_T0_DpT1_.kd
    .uniform_work_group_size: 1
    .uses_dynamic_stack: false
    .vgpr_count:     33
    .vgpr_spill_count: 0
    .wavefront_size: 32
    .workgroup_processor_mode: 1
  - .args:
      - .offset:         0
        .size:           3144
        .value_kind:     by_value
      - .offset:         3144
        .size:           1
        .value_kind:     by_value
      - .offset:         3145
        .size:           1
        .value_kind:     by_value
      - .offset:         3152
        .size:           4
        .value_kind:     hidden_block_count_x
      - .offset:         3156
        .size:           4
        .value_kind:     hidden_block_count_y
      - .offset:         3160
        .size:           4
        .value_kind:     hidden_block_count_z
      - .offset:         3164
        .size:           2
        .value_kind:     hidden_group_size_x
      - .offset:         3166
        .size:           2
        .value_kind:     hidden_group_size_y
      - .offset:         3168
        .size:           2
        .value_kind:     hidden_group_size_z
      - .offset:         3170
        .size:           2
        .value_kind:     hidden_remainder_x
      - .offset:         3172
        .size:           2
        .value_kind:     hidden_remainder_y
      - .offset:         3174
        .size:           2
        .value_kind:     hidden_remainder_z
      - .offset:         3192
        .size:           8
        .value_kind:     hidden_global_offset_x
      - .offset:         3200
        .size:           8
        .value_kind:     hidden_global_offset_y
      - .offset:         3208
        .size:           8
        .value_kind:     hidden_global_offset_z
      - .offset:         3216
        .size:           2
        .value_kind:     hidden_grid_dims
    .group_segment_fixed_size: 0
    .kernarg_segment_align: 8
    .kernarg_segment_size: 3408
    .language:       OpenCL C
    .language_version:
      - 2
      - 0
    .max_flat_workgroup_size: 512
    .name:           _ZN2at6native12_GLOBAL__N_125multi_tensor_apply_kernelINS1_18TensorListMetadataILi2EEENS1_14UnaryOpFunctorIN3c104HalfELi2ELi1ELi1EEEJNS0_4SqrtIfEEEEEvT_T0_DpT1_
    .private_segment_fixed_size: 0
    .sgpr_count:     26
    .sgpr_spill_count: 0
    .symbol:         _ZN2at6native12_GLOBAL__N_125multi_tensor_apply_kernelINS1_18TensorListMetadataILi2EEENS1_14UnaryOpFunctorIN3c104HalfELi2ELi1ELi1EEEJNS0_4SqrtIfEEEEEvT_T0_DpT1_.kd
    .uniform_work_group_size: 1
    .uses_dynamic_stack: false
    .vgpr_count:     31
    .vgpr_spill_count: 0
    .wavefront_size: 32
    .workgroup_processor_mode: 1
  - .args:
      - .offset:         0
        .size:           3144
        .value_kind:     by_value
      - .offset:         3144
        .size:           1
        .value_kind:     by_value
      - .offset:         3145
        .size:           1
        .value_kind:     by_value
      - .offset:         3152
        .size:           4
        .value_kind:     hidden_block_count_x
      - .offset:         3156
        .size:           4
        .value_kind:     hidden_block_count_y
      - .offset:         3160
        .size:           4
        .value_kind:     hidden_block_count_z
      - .offset:         3164
        .size:           2
        .value_kind:     hidden_group_size_x
      - .offset:         3166
        .size:           2
        .value_kind:     hidden_group_size_y
      - .offset:         3168
        .size:           2
        .value_kind:     hidden_group_size_z
      - .offset:         3170
        .size:           2
        .value_kind:     hidden_remainder_x
      - .offset:         3172
        .size:           2
        .value_kind:     hidden_remainder_y
      - .offset:         3174
        .size:           2
        .value_kind:     hidden_remainder_z
      - .offset:         3192
        .size:           8
        .value_kind:     hidden_global_offset_x
      - .offset:         3200
        .size:           8
        .value_kind:     hidden_global_offset_y
      - .offset:         3208
        .size:           8
        .value_kind:     hidden_global_offset_z
      - .offset:         3216
        .size:           2
        .value_kind:     hidden_grid_dims
    .group_segment_fixed_size: 0
    .kernarg_segment_align: 8
    .kernarg_segment_size: 3408
    .language:       OpenCL C
    .language_version:
      - 2
      - 0
    .max_flat_workgroup_size: 512
    .name:           _ZN2at6native12_GLOBAL__N_125multi_tensor_apply_kernelINS1_18TensorListMetadataILi2EEENS1_14UnaryOpFunctorIN3c108BFloat16ELi2ELi1ELi1EEEJNS0_4SqrtIfEEEEEvT_T0_DpT1_
    .private_segment_fixed_size: 0
    .sgpr_count:     25
    .sgpr_spill_count: 0
    .symbol:         _ZN2at6native12_GLOBAL__N_125multi_tensor_apply_kernelINS1_18TensorListMetadataILi2EEENS1_14UnaryOpFunctorIN3c108BFloat16ELi2ELi1ELi1EEEJNS0_4SqrtIfEEEEEvT_T0_DpT1_.kd
    .uniform_work_group_size: 1
    .uses_dynamic_stack: false
    .vgpr_count:     32
    .vgpr_spill_count: 0
    .wavefront_size: 32
    .workgroup_processor_mode: 1
  - .args:
      - .offset:         0
        .size:           3368
        .value_kind:     by_value
      - .offset:         3368
        .size:           1
        .value_kind:     by_value
      - .offset:         3369
        .size:           1
        .value_kind:     by_value
      - .offset:         3376
        .size:           4
        .value_kind:     hidden_block_count_x
      - .offset:         3380
        .size:           4
        .value_kind:     hidden_block_count_y
      - .offset:         3384
        .size:           4
        .value_kind:     hidden_block_count_z
      - .offset:         3388
        .size:           2
        .value_kind:     hidden_group_size_x
      - .offset:         3390
        .size:           2
        .value_kind:     hidden_group_size_y
      - .offset:         3392
        .size:           2
        .value_kind:     hidden_group_size_z
      - .offset:         3394
        .size:           2
        .value_kind:     hidden_remainder_x
      - .offset:         3396
        .size:           2
        .value_kind:     hidden_remainder_y
      - .offset:         3398
        .size:           2
        .value_kind:     hidden_remainder_z
      - .offset:         3416
        .size:           8
        .value_kind:     hidden_global_offset_x
      - .offset:         3424
        .size:           8
        .value_kind:     hidden_global_offset_y
      - .offset:         3432
        .size:           8
        .value_kind:     hidden_global_offset_z
      - .offset:         3440
        .size:           2
        .value_kind:     hidden_grid_dims
    .group_segment_fixed_size: 0
    .kernarg_segment_align: 8
    .kernarg_segment_size: 3632
    .language:       OpenCL C
    .language_version:
      - 2
      - 0
    .max_flat_workgroup_size: 512
    .name:           _ZN2at6native12_GLOBAL__N_125multi_tensor_apply_kernelINS1_18TensorListMetadataILi1EEENS1_14UnaryOpFunctorIdLi1ELi1ELi0EEEJNS0_4SqrtIdEEEEEvT_T0_DpT1_
    .private_segment_fixed_size: 0
    .sgpr_count:     23
    .sgpr_spill_count: 0
    .symbol:         _ZN2at6native12_GLOBAL__N_125multi_tensor_apply_kernelINS1_18TensorListMetadataILi1EEENS1_14UnaryOpFunctorIdLi1ELi1ELi0EEEJNS0_4SqrtIdEEEEEvT_T0_DpT1_.kd
    .uniform_work_group_size: 1
    .uses_dynamic_stack: false
    .vgpr_count:     37
    .vgpr_spill_count: 0
    .wavefront_size: 32
    .workgroup_processor_mode: 1
  - .args:
      - .offset:         0
        .size:           3368
        .value_kind:     by_value
      - .offset:         3368
        .size:           1
        .value_kind:     by_value
      - .offset:         3369
        .size:           1
        .value_kind:     by_value
      - .offset:         3376
        .size:           4
        .value_kind:     hidden_block_count_x
      - .offset:         3380
        .size:           4
        .value_kind:     hidden_block_count_y
      - .offset:         3384
        .size:           4
        .value_kind:     hidden_block_count_z
      - .offset:         3388
        .size:           2
        .value_kind:     hidden_group_size_x
      - .offset:         3390
        .size:           2
        .value_kind:     hidden_group_size_y
      - .offset:         3392
        .size:           2
        .value_kind:     hidden_group_size_z
      - .offset:         3394
        .size:           2
        .value_kind:     hidden_remainder_x
      - .offset:         3396
        .size:           2
        .value_kind:     hidden_remainder_y
      - .offset:         3398
        .size:           2
        .value_kind:     hidden_remainder_z
      - .offset:         3416
        .size:           8
        .value_kind:     hidden_global_offset_x
      - .offset:         3424
        .size:           8
        .value_kind:     hidden_global_offset_y
      - .offset:         3432
        .size:           8
        .value_kind:     hidden_global_offset_z
      - .offset:         3440
        .size:           2
        .value_kind:     hidden_grid_dims
    .group_segment_fixed_size: 0
    .kernarg_segment_align: 8
    .kernarg_segment_size: 3632
    .language:       OpenCL C
    .language_version:
      - 2
      - 0
    .max_flat_workgroup_size: 512
    .name:           _ZN2at6native12_GLOBAL__N_125multi_tensor_apply_kernelINS1_18TensorListMetadataILi1EEENS1_14UnaryOpFunctorIfLi1ELi1ELi0EEEJNS0_4SqrtIfEEEEEvT_T0_DpT1_
    .private_segment_fixed_size: 0
    .sgpr_count:     23
    .sgpr_spill_count: 0
    .symbol:         _ZN2at6native12_GLOBAL__N_125multi_tensor_apply_kernelINS1_18TensorListMetadataILi1EEENS1_14UnaryOpFunctorIfLi1ELi1ELi0EEEJNS0_4SqrtIfEEEEEvT_T0_DpT1_.kd
    .uniform_work_group_size: 1
    .uses_dynamic_stack: false
    .vgpr_count:     28
    .vgpr_spill_count: 0
    .wavefront_size: 32
    .workgroup_processor_mode: 1
  - .args:
      - .offset:         0
        .size:           3368
        .value_kind:     by_value
      - .offset:         3368
        .size:           1
        .value_kind:     by_value
      - .offset:         3369
        .size:           1
        .value_kind:     by_value
      - .offset:         3376
        .size:           4
        .value_kind:     hidden_block_count_x
      - .offset:         3380
        .size:           4
        .value_kind:     hidden_block_count_y
      - .offset:         3384
        .size:           4
        .value_kind:     hidden_block_count_z
      - .offset:         3388
        .size:           2
        .value_kind:     hidden_group_size_x
      - .offset:         3390
        .size:           2
        .value_kind:     hidden_group_size_y
      - .offset:         3392
        .size:           2
        .value_kind:     hidden_group_size_z
      - .offset:         3394
        .size:           2
        .value_kind:     hidden_remainder_x
      - .offset:         3396
        .size:           2
        .value_kind:     hidden_remainder_y
      - .offset:         3398
        .size:           2
        .value_kind:     hidden_remainder_z
      - .offset:         3416
        .size:           8
        .value_kind:     hidden_global_offset_x
      - .offset:         3424
        .size:           8
        .value_kind:     hidden_global_offset_y
      - .offset:         3432
        .size:           8
        .value_kind:     hidden_global_offset_z
      - .offset:         3440
        .size:           2
        .value_kind:     hidden_grid_dims
    .group_segment_fixed_size: 0
    .kernarg_segment_align: 8
    .kernarg_segment_size: 3632
    .language:       OpenCL C
    .language_version:
      - 2
      - 0
    .max_flat_workgroup_size: 512
    .name:           _ZN2at6native12_GLOBAL__N_125multi_tensor_apply_kernelINS1_18TensorListMetadataILi1EEENS1_14UnaryOpFunctorIN3c107complexIdEELi1ELi1ELi0EEEJNS0_4SqrtIS8_EEEEEvT_T0_DpT1_
    .private_segment_fixed_size: 0
    .sgpr_count:     36
    .sgpr_spill_count: 0
    .symbol:         _ZN2at6native12_GLOBAL__N_125multi_tensor_apply_kernelINS1_18TensorListMetadataILi1EEENS1_14UnaryOpFunctorIN3c107complexIdEELi1ELi1ELi0EEEJNS0_4SqrtIS8_EEEEEvT_T0_DpT1_.kd
    .uniform_work_group_size: 1
    .uses_dynamic_stack: false
    .vgpr_count:     41
    .vgpr_spill_count: 0
    .wavefront_size: 32
    .workgroup_processor_mode: 1
  - .args:
      - .offset:         0
        .size:           3368
        .value_kind:     by_value
      - .offset:         3368
        .size:           1
        .value_kind:     by_value
      - .offset:         3369
        .size:           1
        .value_kind:     by_value
      - .offset:         3376
        .size:           4
        .value_kind:     hidden_block_count_x
      - .offset:         3380
        .size:           4
        .value_kind:     hidden_block_count_y
      - .offset:         3384
        .size:           4
        .value_kind:     hidden_block_count_z
      - .offset:         3388
        .size:           2
        .value_kind:     hidden_group_size_x
      - .offset:         3390
        .size:           2
        .value_kind:     hidden_group_size_y
      - .offset:         3392
        .size:           2
        .value_kind:     hidden_group_size_z
      - .offset:         3394
        .size:           2
        .value_kind:     hidden_remainder_x
      - .offset:         3396
        .size:           2
        .value_kind:     hidden_remainder_y
      - .offset:         3398
        .size:           2
        .value_kind:     hidden_remainder_z
      - .offset:         3416
        .size:           8
        .value_kind:     hidden_global_offset_x
      - .offset:         3424
        .size:           8
        .value_kind:     hidden_global_offset_y
      - .offset:         3432
        .size:           8
        .value_kind:     hidden_global_offset_z
      - .offset:         3440
        .size:           2
        .value_kind:     hidden_grid_dims
    .group_segment_fixed_size: 0
    .kernarg_segment_align: 8
    .kernarg_segment_size: 3632
    .language:       OpenCL C
    .language_version:
      - 2
      - 0
    .max_flat_workgroup_size: 512
    .name:           _ZN2at6native12_GLOBAL__N_125multi_tensor_apply_kernelINS1_18TensorListMetadataILi1EEENS1_14UnaryOpFunctorIN3c107complexIfEELi1ELi1ELi0EEEJNS0_4SqrtIS8_EEEEEvT_T0_DpT1_
    .private_segment_fixed_size: 0
    .sgpr_count:     31
    .sgpr_spill_count: 0
    .symbol:         _ZN2at6native12_GLOBAL__N_125multi_tensor_apply_kernelINS1_18TensorListMetadataILi1EEENS1_14UnaryOpFunctorIN3c107complexIfEELi1ELi1ELi0EEEJNS0_4SqrtIS8_EEEEEvT_T0_DpT1_.kd
    .uniform_work_group_size: 1
    .uses_dynamic_stack: false
    .vgpr_count:     28
    .vgpr_spill_count: 0
    .wavefront_size: 32
    .workgroup_processor_mode: 1
  - .args:
      - .offset:         0
        .size:           3368
        .value_kind:     by_value
      - .offset:         3368
        .size:           1
        .value_kind:     by_value
      - .offset:         3369
        .size:           1
        .value_kind:     by_value
      - .offset:         3376
        .size:           4
        .value_kind:     hidden_block_count_x
      - .offset:         3380
        .size:           4
        .value_kind:     hidden_block_count_y
      - .offset:         3384
        .size:           4
        .value_kind:     hidden_block_count_z
      - .offset:         3388
        .size:           2
        .value_kind:     hidden_group_size_x
      - .offset:         3390
        .size:           2
        .value_kind:     hidden_group_size_y
      - .offset:         3392
        .size:           2
        .value_kind:     hidden_group_size_z
      - .offset:         3394
        .size:           2
        .value_kind:     hidden_remainder_x
      - .offset:         3396
        .size:           2
        .value_kind:     hidden_remainder_y
      - .offset:         3398
        .size:           2
        .value_kind:     hidden_remainder_z
      - .offset:         3416
        .size:           8
        .value_kind:     hidden_global_offset_x
      - .offset:         3424
        .size:           8
        .value_kind:     hidden_global_offset_y
      - .offset:         3432
        .size:           8
        .value_kind:     hidden_global_offset_z
      - .offset:         3440
        .size:           2
        .value_kind:     hidden_grid_dims
    .group_segment_fixed_size: 0
    .kernarg_segment_align: 8
    .kernarg_segment_size: 3632
    .language:       OpenCL C
    .language_version:
      - 2
      - 0
    .max_flat_workgroup_size: 512
    .name:           _ZN2at6native12_GLOBAL__N_125multi_tensor_apply_kernelINS1_18TensorListMetadataILi1EEENS1_14UnaryOpFunctorIN3c104HalfELi1ELi1ELi0EEEJNS0_4SqrtIfEEEEEvT_T0_DpT1_
    .private_segment_fixed_size: 0
    .sgpr_count:     22
    .sgpr_spill_count: 0
    .symbol:         _ZN2at6native12_GLOBAL__N_125multi_tensor_apply_kernelINS1_18TensorListMetadataILi1EEENS1_14UnaryOpFunctorIN3c104HalfELi1ELi1ELi0EEEJNS0_4SqrtIfEEEEEvT_T0_DpT1_.kd
    .uniform_work_group_size: 1
    .uses_dynamic_stack: false
    .vgpr_count:     19
    .vgpr_spill_count: 0
    .wavefront_size: 32
    .workgroup_processor_mode: 1
  - .args:
      - .offset:         0
        .size:           3368
        .value_kind:     by_value
      - .offset:         3368
        .size:           1
        .value_kind:     by_value
      - .offset:         3369
        .size:           1
        .value_kind:     by_value
      - .offset:         3376
        .size:           4
        .value_kind:     hidden_block_count_x
      - .offset:         3380
        .size:           4
        .value_kind:     hidden_block_count_y
      - .offset:         3384
        .size:           4
        .value_kind:     hidden_block_count_z
      - .offset:         3388
        .size:           2
        .value_kind:     hidden_group_size_x
      - .offset:         3390
        .size:           2
        .value_kind:     hidden_group_size_y
      - .offset:         3392
        .size:           2
        .value_kind:     hidden_group_size_z
      - .offset:         3394
        .size:           2
        .value_kind:     hidden_remainder_x
      - .offset:         3396
        .size:           2
        .value_kind:     hidden_remainder_y
      - .offset:         3398
        .size:           2
        .value_kind:     hidden_remainder_z
      - .offset:         3416
        .size:           8
        .value_kind:     hidden_global_offset_x
      - .offset:         3424
        .size:           8
        .value_kind:     hidden_global_offset_y
      - .offset:         3432
        .size:           8
        .value_kind:     hidden_global_offset_z
      - .offset:         3440
        .size:           2
        .value_kind:     hidden_grid_dims
    .group_segment_fixed_size: 0
    .kernarg_segment_align: 8
    .kernarg_segment_size: 3632
    .language:       OpenCL C
    .language_version:
      - 2
      - 0
    .max_flat_workgroup_size: 512
    .name:           _ZN2at6native12_GLOBAL__N_125multi_tensor_apply_kernelINS1_18TensorListMetadataILi1EEENS1_14UnaryOpFunctorIN3c108BFloat16ELi1ELi1ELi0EEEJNS0_4SqrtIfEEEEEvT_T0_DpT1_
    .private_segment_fixed_size: 0
    .sgpr_count:     22
    .sgpr_spill_count: 0
    .symbol:         _ZN2at6native12_GLOBAL__N_125multi_tensor_apply_kernelINS1_18TensorListMetadataILi1EEENS1_14UnaryOpFunctorIN3c108BFloat16ELi1ELi1ELi0EEEJNS0_4SqrtIfEEEEEvT_T0_DpT1_.kd
    .uniform_work_group_size: 1
    .uses_dynamic_stack: false
    .vgpr_count:     26
    .vgpr_spill_count: 0
    .wavefront_size: 32
    .workgroup_processor_mode: 1
  - .args:
      - .offset:         0
        .size:           3144
        .value_kind:     by_value
      - .offset:         3144
        .size:           1
        .value_kind:     by_value
      - .offset:         3145
        .size:           1
        .value_kind:     by_value
      - .offset:         3152
        .size:           4
        .value_kind:     hidden_block_count_x
      - .offset:         3156
        .size:           4
        .value_kind:     hidden_block_count_y
      - .offset:         3160
        .size:           4
        .value_kind:     hidden_block_count_z
      - .offset:         3164
        .size:           2
        .value_kind:     hidden_group_size_x
      - .offset:         3166
        .size:           2
        .value_kind:     hidden_group_size_y
      - .offset:         3168
        .size:           2
        .value_kind:     hidden_group_size_z
      - .offset:         3170
        .size:           2
        .value_kind:     hidden_remainder_x
      - .offset:         3172
        .size:           2
        .value_kind:     hidden_remainder_y
      - .offset:         3174
        .size:           2
        .value_kind:     hidden_remainder_z
      - .offset:         3192
        .size:           8
        .value_kind:     hidden_global_offset_x
      - .offset:         3200
        .size:           8
        .value_kind:     hidden_global_offset_y
      - .offset:         3208
        .size:           8
        .value_kind:     hidden_global_offset_z
      - .offset:         3216
        .size:           2
        .value_kind:     hidden_grid_dims
    .group_segment_fixed_size: 0
    .kernarg_segment_align: 8
    .kernarg_segment_size: 3408
    .language:       OpenCL C
    .language_version:
      - 2
      - 0
    .max_flat_workgroup_size: 512
    .name:           _ZN2at6native12_GLOBAL__N_125multi_tensor_apply_kernelINS1_18TensorListMetadataILi2EEENS1_14UnaryOpFunctorIdLi2ELi1ELi1EEEJNS0_3ErfIdEEEEEvT_T0_DpT1_
    .private_segment_fixed_size: 0
    .sgpr_count:     107
    .sgpr_spill_count: 7
    .symbol:         _ZN2at6native12_GLOBAL__N_125multi_tensor_apply_kernelINS1_18TensorListMetadataILi2EEENS1_14UnaryOpFunctorIdLi2ELi1ELi1EEEJNS0_3ErfIdEEEEEvT_T0_DpT1_.kd
    .uniform_work_group_size: 1
    .uses_dynamic_stack: false
    .vgpr_count:     46
    .vgpr_spill_count: 0
    .wavefront_size: 32
    .workgroup_processor_mode: 1
  - .args:
      - .offset:         0
        .size:           3144
        .value_kind:     by_value
      - .offset:         3144
        .size:           1
        .value_kind:     by_value
      - .offset:         3145
        .size:           1
        .value_kind:     by_value
      - .offset:         3152
        .size:           4
        .value_kind:     hidden_block_count_x
      - .offset:         3156
        .size:           4
        .value_kind:     hidden_block_count_y
      - .offset:         3160
        .size:           4
        .value_kind:     hidden_block_count_z
      - .offset:         3164
        .size:           2
        .value_kind:     hidden_group_size_x
      - .offset:         3166
        .size:           2
        .value_kind:     hidden_group_size_y
      - .offset:         3168
        .size:           2
        .value_kind:     hidden_group_size_z
      - .offset:         3170
        .size:           2
        .value_kind:     hidden_remainder_x
      - .offset:         3172
        .size:           2
        .value_kind:     hidden_remainder_y
      - .offset:         3174
        .size:           2
        .value_kind:     hidden_remainder_z
      - .offset:         3192
        .size:           8
        .value_kind:     hidden_global_offset_x
      - .offset:         3200
        .size:           8
        .value_kind:     hidden_global_offset_y
      - .offset:         3208
        .size:           8
        .value_kind:     hidden_global_offset_z
      - .offset:         3216
        .size:           2
        .value_kind:     hidden_grid_dims
    .group_segment_fixed_size: 0
    .kernarg_segment_align: 8
    .kernarg_segment_size: 3408
    .language:       OpenCL C
    .language_version:
      - 2
      - 0
    .max_flat_workgroup_size: 512
    .name:           _ZN2at6native12_GLOBAL__N_125multi_tensor_apply_kernelINS1_18TensorListMetadataILi2EEENS1_14UnaryOpFunctorIfLi2ELi1ELi1EEEJNS0_3ErfIfEEEEEvT_T0_DpT1_
    .private_segment_fixed_size: 0
    .sgpr_count:     26
    .sgpr_spill_count: 0
    .symbol:         _ZN2at6native12_GLOBAL__N_125multi_tensor_apply_kernelINS1_18TensorListMetadataILi2EEENS1_14UnaryOpFunctorIfLi2ELi1ELi1EEEJNS0_3ErfIfEEEEEvT_T0_DpT1_.kd
    .uniform_work_group_size: 1
    .uses_dynamic_stack: false
    .vgpr_count:     34
    .vgpr_spill_count: 0
    .wavefront_size: 32
    .workgroup_processor_mode: 1
  - .args:
      - .offset:         0
        .size:           3144
        .value_kind:     by_value
      - .offset:         3144
        .size:           1
        .value_kind:     by_value
      - .offset:         3145
        .size:           1
        .value_kind:     by_value
      - .offset:         3152
        .size:           4
        .value_kind:     hidden_block_count_x
      - .offset:         3156
        .size:           4
        .value_kind:     hidden_block_count_y
      - .offset:         3160
        .size:           4
        .value_kind:     hidden_block_count_z
      - .offset:         3164
        .size:           2
        .value_kind:     hidden_group_size_x
      - .offset:         3166
        .size:           2
        .value_kind:     hidden_group_size_y
      - .offset:         3168
        .size:           2
        .value_kind:     hidden_group_size_z
      - .offset:         3170
        .size:           2
        .value_kind:     hidden_remainder_x
      - .offset:         3172
        .size:           2
        .value_kind:     hidden_remainder_y
      - .offset:         3174
        .size:           2
        .value_kind:     hidden_remainder_z
      - .offset:         3192
        .size:           8
        .value_kind:     hidden_global_offset_x
      - .offset:         3200
        .size:           8
        .value_kind:     hidden_global_offset_y
      - .offset:         3208
        .size:           8
        .value_kind:     hidden_global_offset_z
      - .offset:         3216
        .size:           2
        .value_kind:     hidden_grid_dims
    .group_segment_fixed_size: 0
    .kernarg_segment_align: 8
    .kernarg_segment_size: 3408
    .language:       OpenCL C
    .language_version:
      - 2
      - 0
    .max_flat_workgroup_size: 512
    .name:           _ZN2at6native12_GLOBAL__N_125multi_tensor_apply_kernelINS1_18TensorListMetadataILi2EEENS1_14UnaryOpFunctorIN3c104HalfELi2ELi1ELi1EEEJNS0_3ErfIfEEEEEvT_T0_DpT1_
    .private_segment_fixed_size: 0
    .sgpr_count:     26
    .sgpr_spill_count: 0
    .symbol:         _ZN2at6native12_GLOBAL__N_125multi_tensor_apply_kernelINS1_18TensorListMetadataILi2EEENS1_14UnaryOpFunctorIN3c104HalfELi2ELi1ELi1EEEJNS0_3ErfIfEEEEEvT_T0_DpT1_.kd
    .uniform_work_group_size: 1
    .uses_dynamic_stack: false
    .vgpr_count:     34
    .vgpr_spill_count: 0
    .wavefront_size: 32
    .workgroup_processor_mode: 1
  - .args:
      - .offset:         0
        .size:           3144
        .value_kind:     by_value
      - .offset:         3144
        .size:           1
        .value_kind:     by_value
      - .offset:         3145
        .size:           1
        .value_kind:     by_value
      - .offset:         3152
        .size:           4
        .value_kind:     hidden_block_count_x
      - .offset:         3156
        .size:           4
        .value_kind:     hidden_block_count_y
      - .offset:         3160
        .size:           4
        .value_kind:     hidden_block_count_z
      - .offset:         3164
        .size:           2
        .value_kind:     hidden_group_size_x
      - .offset:         3166
        .size:           2
        .value_kind:     hidden_group_size_y
      - .offset:         3168
        .size:           2
        .value_kind:     hidden_group_size_z
      - .offset:         3170
        .size:           2
        .value_kind:     hidden_remainder_x
      - .offset:         3172
        .size:           2
        .value_kind:     hidden_remainder_y
      - .offset:         3174
        .size:           2
        .value_kind:     hidden_remainder_z
      - .offset:         3192
        .size:           8
        .value_kind:     hidden_global_offset_x
      - .offset:         3200
        .size:           8
        .value_kind:     hidden_global_offset_y
      - .offset:         3208
        .size:           8
        .value_kind:     hidden_global_offset_z
      - .offset:         3216
        .size:           2
        .value_kind:     hidden_grid_dims
    .group_segment_fixed_size: 0
    .kernarg_segment_align: 8
    .kernarg_segment_size: 3408
    .language:       OpenCL C
    .language_version:
      - 2
      - 0
    .max_flat_workgroup_size: 512
    .name:           _ZN2at6native12_GLOBAL__N_125multi_tensor_apply_kernelINS1_18TensorListMetadataILi2EEENS1_14UnaryOpFunctorIN3c108BFloat16ELi2ELi1ELi1EEEJNS0_3ErfIfEEEEEvT_T0_DpT1_
    .private_segment_fixed_size: 0
    .sgpr_count:     20
    .sgpr_spill_count: 0
    .symbol:         _ZN2at6native12_GLOBAL__N_125multi_tensor_apply_kernelINS1_18TensorListMetadataILi2EEENS1_14UnaryOpFunctorIN3c108BFloat16ELi2ELi1ELi1EEEJNS0_3ErfIfEEEEEvT_T0_DpT1_.kd
    .uniform_work_group_size: 1
    .uses_dynamic_stack: false
    .vgpr_count:     34
    .vgpr_spill_count: 0
    .wavefront_size: 32
    .workgroup_processor_mode: 1
  - .args:
      - .offset:         0
        .size:           3368
        .value_kind:     by_value
      - .offset:         3368
        .size:           1
        .value_kind:     by_value
      - .offset:         3369
        .size:           1
        .value_kind:     by_value
      - .offset:         3376
        .size:           4
        .value_kind:     hidden_block_count_x
      - .offset:         3380
        .size:           4
        .value_kind:     hidden_block_count_y
      - .offset:         3384
        .size:           4
        .value_kind:     hidden_block_count_z
      - .offset:         3388
        .size:           2
        .value_kind:     hidden_group_size_x
      - .offset:         3390
        .size:           2
        .value_kind:     hidden_group_size_y
      - .offset:         3392
        .size:           2
        .value_kind:     hidden_group_size_z
      - .offset:         3394
        .size:           2
        .value_kind:     hidden_remainder_x
      - .offset:         3396
        .size:           2
        .value_kind:     hidden_remainder_y
      - .offset:         3398
        .size:           2
        .value_kind:     hidden_remainder_z
      - .offset:         3416
        .size:           8
        .value_kind:     hidden_global_offset_x
      - .offset:         3424
        .size:           8
        .value_kind:     hidden_global_offset_y
      - .offset:         3432
        .size:           8
        .value_kind:     hidden_global_offset_z
      - .offset:         3440
        .size:           2
        .value_kind:     hidden_grid_dims
    .group_segment_fixed_size: 0
    .kernarg_segment_align: 8
    .kernarg_segment_size: 3632
    .language:       OpenCL C
    .language_version:
      - 2
      - 0
    .max_flat_workgroup_size: 512
    .name:           _ZN2at6native12_GLOBAL__N_125multi_tensor_apply_kernelINS1_18TensorListMetadataILi1EEENS1_14UnaryOpFunctorIdLi1ELi1ELi0EEEJNS0_3ErfIdEEEEEvT_T0_DpT1_
    .private_segment_fixed_size: 0
    .sgpr_count:     107
    .sgpr_spill_count: 8
    .symbol:         _ZN2at6native12_GLOBAL__N_125multi_tensor_apply_kernelINS1_18TensorListMetadataILi1EEENS1_14UnaryOpFunctorIdLi1ELi1ELi0EEEJNS0_3ErfIdEEEEEvT_T0_DpT1_.kd
    .uniform_work_group_size: 1
    .uses_dynamic_stack: false
    .vgpr_count:     34
    .vgpr_spill_count: 0
    .wavefront_size: 32
    .workgroup_processor_mode: 1
  - .args:
      - .offset:         0
        .size:           3368
        .value_kind:     by_value
      - .offset:         3368
        .size:           1
        .value_kind:     by_value
      - .offset:         3369
        .size:           1
        .value_kind:     by_value
      - .offset:         3376
        .size:           4
        .value_kind:     hidden_block_count_x
      - .offset:         3380
        .size:           4
        .value_kind:     hidden_block_count_y
      - .offset:         3384
        .size:           4
        .value_kind:     hidden_block_count_z
      - .offset:         3388
        .size:           2
        .value_kind:     hidden_group_size_x
      - .offset:         3390
        .size:           2
        .value_kind:     hidden_group_size_y
      - .offset:         3392
        .size:           2
        .value_kind:     hidden_group_size_z
      - .offset:         3394
        .size:           2
        .value_kind:     hidden_remainder_x
      - .offset:         3396
        .size:           2
        .value_kind:     hidden_remainder_y
      - .offset:         3398
        .size:           2
        .value_kind:     hidden_remainder_z
      - .offset:         3416
        .size:           8
        .value_kind:     hidden_global_offset_x
      - .offset:         3424
        .size:           8
        .value_kind:     hidden_global_offset_y
      - .offset:         3432
        .size:           8
        .value_kind:     hidden_global_offset_z
      - .offset:         3440
        .size:           2
        .value_kind:     hidden_grid_dims
    .group_segment_fixed_size: 0
    .kernarg_segment_align: 8
    .kernarg_segment_size: 3632
    .language:       OpenCL C
    .language_version:
      - 2
      - 0
    .max_flat_workgroup_size: 512
    .name:           _ZN2at6native12_GLOBAL__N_125multi_tensor_apply_kernelINS1_18TensorListMetadataILi1EEENS1_14UnaryOpFunctorIfLi1ELi1ELi0EEEJNS0_3ErfIfEEEEEvT_T0_DpT1_
    .private_segment_fixed_size: 0
    .sgpr_count:     25
    .sgpr_spill_count: 0
    .symbol:         _ZN2at6native12_GLOBAL__N_125multi_tensor_apply_kernelINS1_18TensorListMetadataILi1EEENS1_14UnaryOpFunctorIfLi1ELi1ELi0EEEJNS0_3ErfIfEEEEEvT_T0_DpT1_.kd
    .uniform_work_group_size: 1
    .uses_dynamic_stack: false
    .vgpr_count:     22
    .vgpr_spill_count: 0
    .wavefront_size: 32
    .workgroup_processor_mode: 1
  - .args:
      - .offset:         0
        .size:           3368
        .value_kind:     by_value
      - .offset:         3368
        .size:           1
        .value_kind:     by_value
      - .offset:         3369
        .size:           1
        .value_kind:     by_value
      - .offset:         3376
        .size:           4
        .value_kind:     hidden_block_count_x
      - .offset:         3380
        .size:           4
        .value_kind:     hidden_block_count_y
      - .offset:         3384
        .size:           4
        .value_kind:     hidden_block_count_z
      - .offset:         3388
        .size:           2
        .value_kind:     hidden_group_size_x
      - .offset:         3390
        .size:           2
        .value_kind:     hidden_group_size_y
      - .offset:         3392
        .size:           2
        .value_kind:     hidden_group_size_z
      - .offset:         3394
        .size:           2
        .value_kind:     hidden_remainder_x
      - .offset:         3396
        .size:           2
        .value_kind:     hidden_remainder_y
      - .offset:         3398
        .size:           2
        .value_kind:     hidden_remainder_z
      - .offset:         3416
        .size:           8
        .value_kind:     hidden_global_offset_x
      - .offset:         3424
        .size:           8
        .value_kind:     hidden_global_offset_y
      - .offset:         3432
        .size:           8
        .value_kind:     hidden_global_offset_z
      - .offset:         3440
        .size:           2
        .value_kind:     hidden_grid_dims
    .group_segment_fixed_size: 0
    .kernarg_segment_align: 8
    .kernarg_segment_size: 3632
    .language:       OpenCL C
    .language_version:
      - 2
      - 0
    .max_flat_workgroup_size: 512
    .name:           _ZN2at6native12_GLOBAL__N_125multi_tensor_apply_kernelINS1_18TensorListMetadataILi1EEENS1_14UnaryOpFunctorIN3c104HalfELi1ELi1ELi0EEEJNS0_3ErfIfEEEEEvT_T0_DpT1_
    .private_segment_fixed_size: 0
    .sgpr_count:     24
    .sgpr_spill_count: 0
    .symbol:         _ZN2at6native12_GLOBAL__N_125multi_tensor_apply_kernelINS1_18TensorListMetadataILi1EEENS1_14UnaryOpFunctorIN3c104HalfELi1ELi1ELi0EEEJNS0_3ErfIfEEEEEvT_T0_DpT1_.kd
    .uniform_work_group_size: 1
    .uses_dynamic_stack: false
    .vgpr_count:     22
    .vgpr_spill_count: 0
    .wavefront_size: 32
    .workgroup_processor_mode: 1
  - .args:
      - .offset:         0
        .size:           3368
        .value_kind:     by_value
      - .offset:         3368
        .size:           1
        .value_kind:     by_value
      - .offset:         3369
        .size:           1
        .value_kind:     by_value
      - .offset:         3376
        .size:           4
        .value_kind:     hidden_block_count_x
      - .offset:         3380
        .size:           4
        .value_kind:     hidden_block_count_y
      - .offset:         3384
        .size:           4
        .value_kind:     hidden_block_count_z
      - .offset:         3388
        .size:           2
        .value_kind:     hidden_group_size_x
      - .offset:         3390
        .size:           2
        .value_kind:     hidden_group_size_y
      - .offset:         3392
        .size:           2
        .value_kind:     hidden_group_size_z
      - .offset:         3394
        .size:           2
        .value_kind:     hidden_remainder_x
      - .offset:         3396
        .size:           2
        .value_kind:     hidden_remainder_y
      - .offset:         3398
        .size:           2
        .value_kind:     hidden_remainder_z
      - .offset:         3416
        .size:           8
        .value_kind:     hidden_global_offset_x
      - .offset:         3424
        .size:           8
        .value_kind:     hidden_global_offset_y
      - .offset:         3432
        .size:           8
        .value_kind:     hidden_global_offset_z
      - .offset:         3440
        .size:           2
        .value_kind:     hidden_grid_dims
    .group_segment_fixed_size: 0
    .kernarg_segment_align: 8
    .kernarg_segment_size: 3632
    .language:       OpenCL C
    .language_version:
      - 2
      - 0
    .max_flat_workgroup_size: 512
    .name:           _ZN2at6native12_GLOBAL__N_125multi_tensor_apply_kernelINS1_18TensorListMetadataILi1EEENS1_14UnaryOpFunctorIN3c108BFloat16ELi1ELi1ELi0EEEJNS0_3ErfIfEEEEEvT_T0_DpT1_
    .private_segment_fixed_size: 0
    .sgpr_count:     24
    .sgpr_spill_count: 0
    .symbol:         _ZN2at6native12_GLOBAL__N_125multi_tensor_apply_kernelINS1_18TensorListMetadataILi1EEENS1_14UnaryOpFunctorIN3c108BFloat16ELi1ELi1ELi0EEEJNS0_3ErfIfEEEEEvT_T0_DpT1_.kd
    .uniform_work_group_size: 1
    .uses_dynamic_stack: false
    .vgpr_count:     22
    .vgpr_spill_count: 0
    .wavefront_size: 32
    .workgroup_processor_mode: 1
  - .args:
      - .offset:         0
        .size:           3144
        .value_kind:     by_value
      - .offset:         3144
        .size:           1
        .value_kind:     by_value
      - .offset:         3152
        .size:           8
        .value_kind:     by_value
      - .offset:         3160
        .size:           4
        .value_kind:     hidden_block_count_x
      - .offset:         3164
        .size:           4
        .value_kind:     hidden_block_count_y
      - .offset:         3168
        .size:           4
        .value_kind:     hidden_block_count_z
      - .offset:         3172
        .size:           2
        .value_kind:     hidden_group_size_x
      - .offset:         3174
        .size:           2
        .value_kind:     hidden_group_size_y
      - .offset:         3176
        .size:           2
        .value_kind:     hidden_group_size_z
      - .offset:         3178
        .size:           2
        .value_kind:     hidden_remainder_x
      - .offset:         3180
        .size:           2
        .value_kind:     hidden_remainder_y
      - .offset:         3182
        .size:           2
        .value_kind:     hidden_remainder_z
      - .offset:         3200
        .size:           8
        .value_kind:     hidden_global_offset_x
      - .offset:         3208
        .size:           8
        .value_kind:     hidden_global_offset_y
      - .offset:         3216
        .size:           8
        .value_kind:     hidden_global_offset_z
      - .offset:         3224
        .size:           2
        .value_kind:     hidden_grid_dims
    .group_segment_fixed_size: 0
    .kernarg_segment_align: 8
    .kernarg_segment_size: 3416
    .language:       OpenCL C
    .language_version:
      - 2
      - 0
    .max_flat_workgroup_size: 512
    .name:           _ZN2at6native12_GLOBAL__N_125multi_tensor_apply_kernelINS1_18TensorListMetadataILi2EEENS1_14UnaryOpFunctorIdLi2ELi1ELi1EEEJNS0_7SigmoidIdEEEEEvT_T0_DpT1_
    .private_segment_fixed_size: 0
    .sgpr_count:     56
    .sgpr_spill_count: 0
    .symbol:         _ZN2at6native12_GLOBAL__N_125multi_tensor_apply_kernelINS1_18TensorListMetadataILi2EEENS1_14UnaryOpFunctorIdLi2ELi1ELi1EEEJNS0_7SigmoidIdEEEEEvT_T0_DpT1_.kd
    .uniform_work_group_size: 1
    .uses_dynamic_stack: false
    .vgpr_count:     44
    .vgpr_spill_count: 0
    .wavefront_size: 32
    .workgroup_processor_mode: 1
  - .args:
      - .offset:         0
        .size:           3144
        .value_kind:     by_value
      - .offset:         3144
        .size:           1
        .value_kind:     by_value
      - .offset:         3148
        .size:           4
        .value_kind:     by_value
      - .offset:         3152
        .size:           4
        .value_kind:     hidden_block_count_x
      - .offset:         3156
        .size:           4
        .value_kind:     hidden_block_count_y
      - .offset:         3160
        .size:           4
        .value_kind:     hidden_block_count_z
      - .offset:         3164
        .size:           2
        .value_kind:     hidden_group_size_x
      - .offset:         3166
        .size:           2
        .value_kind:     hidden_group_size_y
      - .offset:         3168
        .size:           2
        .value_kind:     hidden_group_size_z
      - .offset:         3170
        .size:           2
        .value_kind:     hidden_remainder_x
      - .offset:         3172
        .size:           2
        .value_kind:     hidden_remainder_y
      - .offset:         3174
        .size:           2
        .value_kind:     hidden_remainder_z
      - .offset:         3192
        .size:           8
        .value_kind:     hidden_global_offset_x
      - .offset:         3200
        .size:           8
        .value_kind:     hidden_global_offset_y
      - .offset:         3208
        .size:           8
        .value_kind:     hidden_global_offset_z
      - .offset:         3216
        .size:           2
        .value_kind:     hidden_grid_dims
    .group_segment_fixed_size: 0
    .kernarg_segment_align: 8
    .kernarg_segment_size: 3408
    .language:       OpenCL C
    .language_version:
      - 2
      - 0
    .max_flat_workgroup_size: 512
    .name:           _ZN2at6native12_GLOBAL__N_125multi_tensor_apply_kernelINS1_18TensorListMetadataILi2EEENS1_14UnaryOpFunctorIfLi2ELi1ELi1EEEJNS0_7SigmoidIfEEEEEvT_T0_DpT1_
    .private_segment_fixed_size: 0
    .sgpr_count:     26
    .sgpr_spill_count: 0
    .symbol:         _ZN2at6native12_GLOBAL__N_125multi_tensor_apply_kernelINS1_18TensorListMetadataILi2EEENS1_14UnaryOpFunctorIfLi2ELi1ELi1EEEJNS0_7SigmoidIfEEEEEvT_T0_DpT1_.kd
    .uniform_work_group_size: 1
    .uses_dynamic_stack: false
    .vgpr_count:     32
    .vgpr_spill_count: 0
    .wavefront_size: 32
    .workgroup_processor_mode: 1
  - .args:
      - .offset:         0
        .size:           3144
        .value_kind:     by_value
      - .offset:         3144
        .size:           1
        .value_kind:     by_value
      - .offset:         3152
        .size:           16
        .value_kind:     by_value
      - .offset:         3168
        .size:           4
        .value_kind:     hidden_block_count_x
      - .offset:         3172
        .size:           4
        .value_kind:     hidden_block_count_y
      - .offset:         3176
        .size:           4
        .value_kind:     hidden_block_count_z
      - .offset:         3180
        .size:           2
        .value_kind:     hidden_group_size_x
      - .offset:         3182
        .size:           2
        .value_kind:     hidden_group_size_y
      - .offset:         3184
        .size:           2
        .value_kind:     hidden_group_size_z
      - .offset:         3186
        .size:           2
        .value_kind:     hidden_remainder_x
      - .offset:         3188
        .size:           2
        .value_kind:     hidden_remainder_y
      - .offset:         3190
        .size:           2
        .value_kind:     hidden_remainder_z
      - .offset:         3208
        .size:           8
        .value_kind:     hidden_global_offset_x
      - .offset:         3216
        .size:           8
        .value_kind:     hidden_global_offset_y
      - .offset:         3224
        .size:           8
        .value_kind:     hidden_global_offset_z
      - .offset:         3232
        .size:           2
        .value_kind:     hidden_grid_dims
    .group_segment_fixed_size: 0
    .kernarg_segment_align: 16
    .kernarg_segment_size: 3424
    .language:       OpenCL C
    .language_version:
      - 2
      - 0
    .max_flat_workgroup_size: 512
    .name:           _ZN2at6native12_GLOBAL__N_125multi_tensor_apply_kernelINS1_18TensorListMetadataILi2EEENS1_14UnaryOpFunctorIN3c107complexIdEELi2ELi1ELi1EEEJNS0_7SigmoidIS8_EEEEEvT_T0_DpT1_
    .private_segment_fixed_size: 0
    .sgpr_count:     102
    .sgpr_spill_count: 0
    .symbol:         _ZN2at6native12_GLOBAL__N_125multi_tensor_apply_kernelINS1_18TensorListMetadataILi2EEENS1_14UnaryOpFunctorIN3c107complexIdEELi2ELi1ELi1EEEJNS0_7SigmoidIS8_EEEEEvT_T0_DpT1_.kd
    .uniform_work_group_size: 1
    .uses_dynamic_stack: false
    .vgpr_count:     85
    .vgpr_spill_count: 0
    .wavefront_size: 32
    .workgroup_processor_mode: 1
  - .args:
      - .offset:         0
        .size:           3144
        .value_kind:     by_value
      - .offset:         3144
        .size:           1
        .value_kind:     by_value
      - .offset:         3152
        .size:           8
        .value_kind:     by_value
      - .offset:         3160
        .size:           4
        .value_kind:     hidden_block_count_x
      - .offset:         3164
        .size:           4
        .value_kind:     hidden_block_count_y
      - .offset:         3168
        .size:           4
        .value_kind:     hidden_block_count_z
      - .offset:         3172
        .size:           2
        .value_kind:     hidden_group_size_x
      - .offset:         3174
        .size:           2
        .value_kind:     hidden_group_size_y
      - .offset:         3176
        .size:           2
        .value_kind:     hidden_group_size_z
      - .offset:         3178
        .size:           2
        .value_kind:     hidden_remainder_x
      - .offset:         3180
        .size:           2
        .value_kind:     hidden_remainder_y
      - .offset:         3182
        .size:           2
        .value_kind:     hidden_remainder_z
      - .offset:         3200
        .size:           8
        .value_kind:     hidden_global_offset_x
      - .offset:         3208
        .size:           8
        .value_kind:     hidden_global_offset_y
      - .offset:         3216
        .size:           8
        .value_kind:     hidden_global_offset_z
      - .offset:         3224
        .size:           2
        .value_kind:     hidden_grid_dims
    .group_segment_fixed_size: 0
    .kernarg_segment_align: 8
    .kernarg_segment_size: 3416
    .language:       OpenCL C
    .language_version:
      - 2
      - 0
    .max_flat_workgroup_size: 512
    .name:           _ZN2at6native12_GLOBAL__N_125multi_tensor_apply_kernelINS1_18TensorListMetadataILi2EEENS1_14UnaryOpFunctorIN3c107complexIfEELi2ELi1ELi1EEEJNS0_7SigmoidIS8_EEEEEvT_T0_DpT1_
    .private_segment_fixed_size: 0
    .sgpr_count:     36
    .sgpr_spill_count: 0
    .symbol:         _ZN2at6native12_GLOBAL__N_125multi_tensor_apply_kernelINS1_18TensorListMetadataILi2EEENS1_14UnaryOpFunctorIN3c107complexIfEELi2ELi1ELi1EEEJNS0_7SigmoidIS8_EEEEEvT_T0_DpT1_.kd
    .uniform_work_group_size: 1
    .uses_dynamic_stack: false
    .vgpr_count:     44
    .vgpr_spill_count: 0
    .wavefront_size: 32
    .workgroup_processor_mode: 1
  - .args:
      - .offset:         0
        .size:           3144
        .value_kind:     by_value
      - .offset:         3144
        .size:           1
        .value_kind:     by_value
      - .offset:         3148
        .size:           4
        .value_kind:     by_value
      - .offset:         3152
        .size:           4
        .value_kind:     hidden_block_count_x
      - .offset:         3156
        .size:           4
        .value_kind:     hidden_block_count_y
      - .offset:         3160
        .size:           4
        .value_kind:     hidden_block_count_z
      - .offset:         3164
        .size:           2
        .value_kind:     hidden_group_size_x
      - .offset:         3166
        .size:           2
        .value_kind:     hidden_group_size_y
      - .offset:         3168
        .size:           2
        .value_kind:     hidden_group_size_z
      - .offset:         3170
        .size:           2
        .value_kind:     hidden_remainder_x
      - .offset:         3172
        .size:           2
        .value_kind:     hidden_remainder_y
      - .offset:         3174
        .size:           2
        .value_kind:     hidden_remainder_z
      - .offset:         3192
        .size:           8
        .value_kind:     hidden_global_offset_x
      - .offset:         3200
        .size:           8
        .value_kind:     hidden_global_offset_y
      - .offset:         3208
        .size:           8
        .value_kind:     hidden_global_offset_z
      - .offset:         3216
        .size:           2
        .value_kind:     hidden_grid_dims
    .group_segment_fixed_size: 0
    .kernarg_segment_align: 8
    .kernarg_segment_size: 3408
    .language:       OpenCL C
    .language_version:
      - 2
      - 0
    .max_flat_workgroup_size: 512
    .name:           _ZN2at6native12_GLOBAL__N_125multi_tensor_apply_kernelINS1_18TensorListMetadataILi2EEENS1_14UnaryOpFunctorIN3c104HalfELi2ELi1ELi1EEEJNS0_7SigmoidIfEEEEEvT_T0_DpT1_
    .private_segment_fixed_size: 0
    .sgpr_count:     28
    .sgpr_spill_count: 0
    .symbol:         _ZN2at6native12_GLOBAL__N_125multi_tensor_apply_kernelINS1_18TensorListMetadataILi2EEENS1_14UnaryOpFunctorIN3c104HalfELi2ELi1ELi1EEEJNS0_7SigmoidIfEEEEEvT_T0_DpT1_.kd
    .uniform_work_group_size: 1
    .uses_dynamic_stack: false
    .vgpr_count:     32
    .vgpr_spill_count: 0
    .wavefront_size: 32
    .workgroup_processor_mode: 1
  - .args:
      - .offset:         0
        .size:           3144
        .value_kind:     by_value
      - .offset:         3144
        .size:           1
        .value_kind:     by_value
      - .offset:         3148
        .size:           4
        .value_kind:     by_value
      - .offset:         3152
        .size:           4
        .value_kind:     hidden_block_count_x
      - .offset:         3156
        .size:           4
        .value_kind:     hidden_block_count_y
      - .offset:         3160
        .size:           4
        .value_kind:     hidden_block_count_z
      - .offset:         3164
        .size:           2
        .value_kind:     hidden_group_size_x
      - .offset:         3166
        .size:           2
        .value_kind:     hidden_group_size_y
      - .offset:         3168
        .size:           2
        .value_kind:     hidden_group_size_z
      - .offset:         3170
        .size:           2
        .value_kind:     hidden_remainder_x
      - .offset:         3172
        .size:           2
        .value_kind:     hidden_remainder_y
      - .offset:         3174
        .size:           2
        .value_kind:     hidden_remainder_z
      - .offset:         3192
        .size:           8
        .value_kind:     hidden_global_offset_x
      - .offset:         3200
        .size:           8
        .value_kind:     hidden_global_offset_y
      - .offset:         3208
        .size:           8
        .value_kind:     hidden_global_offset_z
      - .offset:         3216
        .size:           2
        .value_kind:     hidden_grid_dims
    .group_segment_fixed_size: 0
    .kernarg_segment_align: 8
    .kernarg_segment_size: 3408
    .language:       OpenCL C
    .language_version:
      - 2
      - 0
    .max_flat_workgroup_size: 512
    .name:           _ZN2at6native12_GLOBAL__N_125multi_tensor_apply_kernelINS1_18TensorListMetadataILi2EEENS1_14UnaryOpFunctorIN3c108BFloat16ELi2ELi1ELi1EEEJNS0_7SigmoidIfEEEEEvT_T0_DpT1_
    .private_segment_fixed_size: 0
    .sgpr_count:     23
    .sgpr_spill_count: 0
    .symbol:         _ZN2at6native12_GLOBAL__N_125multi_tensor_apply_kernelINS1_18TensorListMetadataILi2EEENS1_14UnaryOpFunctorIN3c108BFloat16ELi2ELi1ELi1EEEJNS0_7SigmoidIfEEEEEvT_T0_DpT1_.kd
    .uniform_work_group_size: 1
    .uses_dynamic_stack: false
    .vgpr_count:     32
    .vgpr_spill_count: 0
    .wavefront_size: 32
    .workgroup_processor_mode: 1
  - .args:
      - .offset:         0
        .size:           3368
        .value_kind:     by_value
      - .offset:         3368
        .size:           1
        .value_kind:     by_value
      - .offset:         3376
        .size:           8
        .value_kind:     by_value
      - .offset:         3384
        .size:           4
        .value_kind:     hidden_block_count_x
      - .offset:         3388
        .size:           4
        .value_kind:     hidden_block_count_y
      - .offset:         3392
        .size:           4
        .value_kind:     hidden_block_count_z
      - .offset:         3396
        .size:           2
        .value_kind:     hidden_group_size_x
      - .offset:         3398
        .size:           2
        .value_kind:     hidden_group_size_y
      - .offset:         3400
        .size:           2
        .value_kind:     hidden_group_size_z
      - .offset:         3402
        .size:           2
        .value_kind:     hidden_remainder_x
      - .offset:         3404
        .size:           2
        .value_kind:     hidden_remainder_y
      - .offset:         3406
        .size:           2
        .value_kind:     hidden_remainder_z
      - .offset:         3424
        .size:           8
        .value_kind:     hidden_global_offset_x
      - .offset:         3432
        .size:           8
        .value_kind:     hidden_global_offset_y
      - .offset:         3440
        .size:           8
        .value_kind:     hidden_global_offset_z
      - .offset:         3448
        .size:           2
        .value_kind:     hidden_grid_dims
    .group_segment_fixed_size: 0
    .kernarg_segment_align: 8
    .kernarg_segment_size: 3640
    .language:       OpenCL C
    .language_version:
      - 2
      - 0
    .max_flat_workgroup_size: 512
    .name:           _ZN2at6native12_GLOBAL__N_125multi_tensor_apply_kernelINS1_18TensorListMetadataILi1EEENS1_14UnaryOpFunctorIdLi1ELi1ELi0EEEJNS0_7SigmoidIdEEEEEvT_T0_DpT1_
    .private_segment_fixed_size: 0
    .sgpr_count:     52
    .sgpr_spill_count: 0
    .symbol:         _ZN2at6native12_GLOBAL__N_125multi_tensor_apply_kernelINS1_18TensorListMetadataILi1EEENS1_14UnaryOpFunctorIdLi1ELi1ELi0EEEJNS0_7SigmoidIdEEEEEvT_T0_DpT1_.kd
    .uniform_work_group_size: 1
    .uses_dynamic_stack: false
    .vgpr_count:     45
    .vgpr_spill_count: 0
    .wavefront_size: 32
    .workgroup_processor_mode: 1
  - .args:
      - .offset:         0
        .size:           3368
        .value_kind:     by_value
      - .offset:         3368
        .size:           1
        .value_kind:     by_value
      - .offset:         3372
        .size:           4
        .value_kind:     by_value
      - .offset:         3376
        .size:           4
        .value_kind:     hidden_block_count_x
      - .offset:         3380
        .size:           4
        .value_kind:     hidden_block_count_y
      - .offset:         3384
        .size:           4
        .value_kind:     hidden_block_count_z
      - .offset:         3388
        .size:           2
        .value_kind:     hidden_group_size_x
      - .offset:         3390
        .size:           2
        .value_kind:     hidden_group_size_y
      - .offset:         3392
        .size:           2
        .value_kind:     hidden_group_size_z
      - .offset:         3394
        .size:           2
        .value_kind:     hidden_remainder_x
      - .offset:         3396
        .size:           2
        .value_kind:     hidden_remainder_y
      - .offset:         3398
        .size:           2
        .value_kind:     hidden_remainder_z
      - .offset:         3416
        .size:           8
        .value_kind:     hidden_global_offset_x
      - .offset:         3424
        .size:           8
        .value_kind:     hidden_global_offset_y
      - .offset:         3432
        .size:           8
        .value_kind:     hidden_global_offset_z
      - .offset:         3440
        .size:           2
        .value_kind:     hidden_grid_dims
    .group_segment_fixed_size: 0
    .kernarg_segment_align: 8
    .kernarg_segment_size: 3632
    .language:       OpenCL C
    .language_version:
      - 2
      - 0
    .max_flat_workgroup_size: 512
    .name:           _ZN2at6native12_GLOBAL__N_125multi_tensor_apply_kernelINS1_18TensorListMetadataILi1EEENS1_14UnaryOpFunctorIfLi1ELi1ELi0EEEJNS0_7SigmoidIfEEEEEvT_T0_DpT1_
    .private_segment_fixed_size: 0
    .sgpr_count:     24
    .sgpr_spill_count: 0
    .symbol:         _ZN2at6native12_GLOBAL__N_125multi_tensor_apply_kernelINS1_18TensorListMetadataILi1EEENS1_14UnaryOpFunctorIfLi1ELi1ELi0EEEJNS0_7SigmoidIfEEEEEvT_T0_DpT1_.kd
    .uniform_work_group_size: 1
    .uses_dynamic_stack: false
    .vgpr_count:     28
    .vgpr_spill_count: 0
    .wavefront_size: 32
    .workgroup_processor_mode: 1
  - .args:
      - .offset:         0
        .size:           3368
        .value_kind:     by_value
      - .offset:         3368
        .size:           1
        .value_kind:     by_value
      - .offset:         3376
        .size:           16
        .value_kind:     by_value
      - .offset:         3392
        .size:           4
        .value_kind:     hidden_block_count_x
      - .offset:         3396
        .size:           4
        .value_kind:     hidden_block_count_y
      - .offset:         3400
        .size:           4
        .value_kind:     hidden_block_count_z
      - .offset:         3404
        .size:           2
        .value_kind:     hidden_group_size_x
      - .offset:         3406
        .size:           2
        .value_kind:     hidden_group_size_y
      - .offset:         3408
        .size:           2
        .value_kind:     hidden_group_size_z
      - .offset:         3410
        .size:           2
        .value_kind:     hidden_remainder_x
      - .offset:         3412
        .size:           2
        .value_kind:     hidden_remainder_y
      - .offset:         3414
        .size:           2
        .value_kind:     hidden_remainder_z
      - .offset:         3432
        .size:           8
        .value_kind:     hidden_global_offset_x
      - .offset:         3440
        .size:           8
        .value_kind:     hidden_global_offset_y
      - .offset:         3448
        .size:           8
        .value_kind:     hidden_global_offset_z
      - .offset:         3456
        .size:           2
        .value_kind:     hidden_grid_dims
    .group_segment_fixed_size: 0
    .kernarg_segment_align: 16
    .kernarg_segment_size: 3648
    .language:       OpenCL C
    .language_version:
      - 2
      - 0
    .max_flat_workgroup_size: 512
    .name:           _ZN2at6native12_GLOBAL__N_125multi_tensor_apply_kernelINS1_18TensorListMetadataILi1EEENS1_14UnaryOpFunctorIN3c107complexIdEELi1ELi1ELi0EEEJNS0_7SigmoidIS8_EEEEEvT_T0_DpT1_
    .private_segment_fixed_size: 0
    .sgpr_count:     104
    .sgpr_spill_count: 0
    .symbol:         _ZN2at6native12_GLOBAL__N_125multi_tensor_apply_kernelINS1_18TensorListMetadataILi1EEENS1_14UnaryOpFunctorIN3c107complexIdEELi1ELi1ELi0EEEJNS0_7SigmoidIS8_EEEEEvT_T0_DpT1_.kd
    .uniform_work_group_size: 1
    .uses_dynamic_stack: false
    .vgpr_count:     81
    .vgpr_spill_count: 0
    .wavefront_size: 32
    .workgroup_processor_mode: 1
  - .args:
      - .offset:         0
        .size:           3368
        .value_kind:     by_value
      - .offset:         3368
        .size:           1
        .value_kind:     by_value
      - .offset:         3376
        .size:           8
        .value_kind:     by_value
      - .offset:         3384
        .size:           4
        .value_kind:     hidden_block_count_x
      - .offset:         3388
        .size:           4
        .value_kind:     hidden_block_count_y
      - .offset:         3392
        .size:           4
        .value_kind:     hidden_block_count_z
      - .offset:         3396
        .size:           2
        .value_kind:     hidden_group_size_x
      - .offset:         3398
        .size:           2
        .value_kind:     hidden_group_size_y
      - .offset:         3400
        .size:           2
        .value_kind:     hidden_group_size_z
      - .offset:         3402
        .size:           2
        .value_kind:     hidden_remainder_x
      - .offset:         3404
        .size:           2
        .value_kind:     hidden_remainder_y
      - .offset:         3406
        .size:           2
        .value_kind:     hidden_remainder_z
      - .offset:         3424
        .size:           8
        .value_kind:     hidden_global_offset_x
      - .offset:         3432
        .size:           8
        .value_kind:     hidden_global_offset_y
      - .offset:         3440
        .size:           8
        .value_kind:     hidden_global_offset_z
      - .offset:         3448
        .size:           2
        .value_kind:     hidden_grid_dims
    .group_segment_fixed_size: 0
    .kernarg_segment_align: 8
    .kernarg_segment_size: 3640
    .language:       OpenCL C
    .language_version:
      - 2
      - 0
    .max_flat_workgroup_size: 512
    .name:           _ZN2at6native12_GLOBAL__N_125multi_tensor_apply_kernelINS1_18TensorListMetadataILi1EEENS1_14UnaryOpFunctorIN3c107complexIfEELi1ELi1ELi0EEEJNS0_7SigmoidIS8_EEEEEvT_T0_DpT1_
    .private_segment_fixed_size: 0
    .sgpr_count:     38
    .sgpr_spill_count: 0
    .symbol:         _ZN2at6native12_GLOBAL__N_125multi_tensor_apply_kernelINS1_18TensorListMetadataILi1EEENS1_14UnaryOpFunctorIN3c107complexIfEELi1ELi1ELi0EEEJNS0_7SigmoidIS8_EEEEEvT_T0_DpT1_.kd
    .uniform_work_group_size: 1
    .uses_dynamic_stack: false
    .vgpr_count:     39
    .vgpr_spill_count: 0
    .wavefront_size: 32
    .workgroup_processor_mode: 1
  - .args:
      - .offset:         0
        .size:           3368
        .value_kind:     by_value
      - .offset:         3368
        .size:           1
        .value_kind:     by_value
      - .offset:         3372
        .size:           4
        .value_kind:     by_value
      - .offset:         3376
        .size:           4
        .value_kind:     hidden_block_count_x
      - .offset:         3380
        .size:           4
        .value_kind:     hidden_block_count_y
      - .offset:         3384
        .size:           4
        .value_kind:     hidden_block_count_z
      - .offset:         3388
        .size:           2
        .value_kind:     hidden_group_size_x
      - .offset:         3390
        .size:           2
        .value_kind:     hidden_group_size_y
      - .offset:         3392
        .size:           2
        .value_kind:     hidden_group_size_z
      - .offset:         3394
        .size:           2
        .value_kind:     hidden_remainder_x
      - .offset:         3396
        .size:           2
        .value_kind:     hidden_remainder_y
      - .offset:         3398
        .size:           2
        .value_kind:     hidden_remainder_z
      - .offset:         3416
        .size:           8
        .value_kind:     hidden_global_offset_x
      - .offset:         3424
        .size:           8
        .value_kind:     hidden_global_offset_y
      - .offset:         3432
        .size:           8
        .value_kind:     hidden_global_offset_z
      - .offset:         3440
        .size:           2
        .value_kind:     hidden_grid_dims
    .group_segment_fixed_size: 0
    .kernarg_segment_align: 8
    .kernarg_segment_size: 3632
    .language:       OpenCL C
    .language_version:
      - 2
      - 0
    .max_flat_workgroup_size: 512
    .name:           _ZN2at6native12_GLOBAL__N_125multi_tensor_apply_kernelINS1_18TensorListMetadataILi1EEENS1_14UnaryOpFunctorIN3c104HalfELi1ELi1ELi0EEEJNS0_7SigmoidIfEEEEEvT_T0_DpT1_
    .private_segment_fixed_size: 0
    .sgpr_count:     25
    .sgpr_spill_count: 0
    .symbol:         _ZN2at6native12_GLOBAL__N_125multi_tensor_apply_kernelINS1_18TensorListMetadataILi1EEENS1_14UnaryOpFunctorIN3c104HalfELi1ELi1ELi0EEEJNS0_7SigmoidIfEEEEEvT_T0_DpT1_.kd
    .uniform_work_group_size: 1
    .uses_dynamic_stack: false
    .vgpr_count:     27
    .vgpr_spill_count: 0
    .wavefront_size: 32
    .workgroup_processor_mode: 1
  - .args:
      - .offset:         0
        .size:           3368
        .value_kind:     by_value
      - .offset:         3368
        .size:           1
        .value_kind:     by_value
      - .offset:         3372
        .size:           4
        .value_kind:     by_value
      - .offset:         3376
        .size:           4
        .value_kind:     hidden_block_count_x
      - .offset:         3380
        .size:           4
        .value_kind:     hidden_block_count_y
      - .offset:         3384
        .size:           4
        .value_kind:     hidden_block_count_z
      - .offset:         3388
        .size:           2
        .value_kind:     hidden_group_size_x
      - .offset:         3390
        .size:           2
        .value_kind:     hidden_group_size_y
      - .offset:         3392
        .size:           2
        .value_kind:     hidden_group_size_z
      - .offset:         3394
        .size:           2
        .value_kind:     hidden_remainder_x
      - .offset:         3396
        .size:           2
        .value_kind:     hidden_remainder_y
      - .offset:         3398
        .size:           2
        .value_kind:     hidden_remainder_z
      - .offset:         3416
        .size:           8
        .value_kind:     hidden_global_offset_x
      - .offset:         3424
        .size:           8
        .value_kind:     hidden_global_offset_y
      - .offset:         3432
        .size:           8
        .value_kind:     hidden_global_offset_z
      - .offset:         3440
        .size:           2
        .value_kind:     hidden_grid_dims
    .group_segment_fixed_size: 0
    .kernarg_segment_align: 8
    .kernarg_segment_size: 3632
    .language:       OpenCL C
    .language_version:
      - 2
      - 0
    .max_flat_workgroup_size: 512
    .name:           _ZN2at6native12_GLOBAL__N_125multi_tensor_apply_kernelINS1_18TensorListMetadataILi1EEENS1_14UnaryOpFunctorIN3c108BFloat16ELi1ELi1ELi0EEEJNS0_7SigmoidIfEEEEEvT_T0_DpT1_
    .private_segment_fixed_size: 0
    .sgpr_count:     23
    .sgpr_spill_count: 0
    .symbol:         _ZN2at6native12_GLOBAL__N_125multi_tensor_apply_kernelINS1_18TensorListMetadataILi1EEENS1_14UnaryOpFunctorIN3c108BFloat16ELi1ELi1ELi0EEEJNS0_7SigmoidIfEEEEEvT_T0_DpT1_.kd
    .uniform_work_group_size: 1
    .uses_dynamic_stack: false
    .vgpr_count:     27
    .vgpr_spill_count: 0
    .wavefront_size: 32
    .workgroup_processor_mode: 1
  - .args:
      - .offset:         0
        .size:           3144
        .value_kind:     by_value
      - .offset:         3144
        .size:           1
        .value_kind:     by_value
      - .offset:         3145
        .size:           1
        .value_kind:     by_value
      - .offset:         3152
        .size:           4
        .value_kind:     hidden_block_count_x
      - .offset:         3156
        .size:           4
        .value_kind:     hidden_block_count_y
      - .offset:         3160
        .size:           4
        .value_kind:     hidden_block_count_z
      - .offset:         3164
        .size:           2
        .value_kind:     hidden_group_size_x
      - .offset:         3166
        .size:           2
        .value_kind:     hidden_group_size_y
      - .offset:         3168
        .size:           2
        .value_kind:     hidden_group_size_z
      - .offset:         3170
        .size:           2
        .value_kind:     hidden_remainder_x
      - .offset:         3172
        .size:           2
        .value_kind:     hidden_remainder_y
      - .offset:         3174
        .size:           2
        .value_kind:     hidden_remainder_z
      - .offset:         3192
        .size:           8
        .value_kind:     hidden_global_offset_x
      - .offset:         3200
        .size:           8
        .value_kind:     hidden_global_offset_y
      - .offset:         3208
        .size:           8
        .value_kind:     hidden_global_offset_z
      - .offset:         3216
        .size:           2
        .value_kind:     hidden_grid_dims
    .group_segment_fixed_size: 0
    .kernarg_segment_align: 8
    .kernarg_segment_size: 3408
    .language:       OpenCL C
    .language_version:
      - 2
      - 0
    .max_flat_workgroup_size: 512
    .name:           _ZN2at6native12_GLOBAL__N_125multi_tensor_apply_kernelINS1_18TensorListMetadataILi2EEENS1_14UnaryOpFunctorIdLi2ELi1ELi1EEEJNS0_5RoundIdEEEEEvT_T0_DpT1_
    .private_segment_fixed_size: 0
    .sgpr_count:     24
    .sgpr_spill_count: 0
    .symbol:         _ZN2at6native12_GLOBAL__N_125multi_tensor_apply_kernelINS1_18TensorListMetadataILi2EEENS1_14UnaryOpFunctorIdLi2ELi1ELi1EEEJNS0_5RoundIdEEEEEvT_T0_DpT1_.kd
    .uniform_work_group_size: 1
    .uses_dynamic_stack: false
    .vgpr_count:     33
    .vgpr_spill_count: 0
    .wavefront_size: 32
    .workgroup_processor_mode: 1
  - .args:
      - .offset:         0
        .size:           3144
        .value_kind:     by_value
      - .offset:         3144
        .size:           1
        .value_kind:     by_value
      - .offset:         3145
        .size:           1
        .value_kind:     by_value
      - .offset:         3152
        .size:           4
        .value_kind:     hidden_block_count_x
      - .offset:         3156
        .size:           4
        .value_kind:     hidden_block_count_y
      - .offset:         3160
        .size:           4
        .value_kind:     hidden_block_count_z
      - .offset:         3164
        .size:           2
        .value_kind:     hidden_group_size_x
      - .offset:         3166
        .size:           2
        .value_kind:     hidden_group_size_y
      - .offset:         3168
        .size:           2
        .value_kind:     hidden_group_size_z
      - .offset:         3170
        .size:           2
        .value_kind:     hidden_remainder_x
      - .offset:         3172
        .size:           2
        .value_kind:     hidden_remainder_y
      - .offset:         3174
        .size:           2
        .value_kind:     hidden_remainder_z
      - .offset:         3192
        .size:           8
        .value_kind:     hidden_global_offset_x
      - .offset:         3200
        .size:           8
        .value_kind:     hidden_global_offset_y
      - .offset:         3208
        .size:           8
        .value_kind:     hidden_global_offset_z
      - .offset:         3216
        .size:           2
        .value_kind:     hidden_grid_dims
    .group_segment_fixed_size: 0
    .kernarg_segment_align: 8
    .kernarg_segment_size: 3408
    .language:       OpenCL C
    .language_version:
      - 2
      - 0
    .max_flat_workgroup_size: 512
    .name:           _ZN2at6native12_GLOBAL__N_125multi_tensor_apply_kernelINS1_18TensorListMetadataILi2EEENS1_14UnaryOpFunctorIfLi2ELi1ELi1EEEJNS0_5RoundIfEEEEEvT_T0_DpT1_
    .private_segment_fixed_size: 0
    .sgpr_count:     24
    .sgpr_spill_count: 0
    .symbol:         _ZN2at6native12_GLOBAL__N_125multi_tensor_apply_kernelINS1_18TensorListMetadataILi2EEENS1_14UnaryOpFunctorIfLi2ELi1ELi1EEEJNS0_5RoundIfEEEEEvT_T0_DpT1_.kd
    .uniform_work_group_size: 1
    .uses_dynamic_stack: false
    .vgpr_count:     29
    .vgpr_spill_count: 0
    .wavefront_size: 32
    .workgroup_processor_mode: 1
  - .args:
      - .offset:         0
        .size:           3144
        .value_kind:     by_value
      - .offset:         3144
        .size:           1
        .value_kind:     by_value
      - .offset:         3145
        .size:           1
        .value_kind:     by_value
      - .offset:         3152
        .size:           4
        .value_kind:     hidden_block_count_x
      - .offset:         3156
        .size:           4
        .value_kind:     hidden_block_count_y
      - .offset:         3160
        .size:           4
        .value_kind:     hidden_block_count_z
      - .offset:         3164
        .size:           2
        .value_kind:     hidden_group_size_x
      - .offset:         3166
        .size:           2
        .value_kind:     hidden_group_size_y
      - .offset:         3168
        .size:           2
        .value_kind:     hidden_group_size_z
      - .offset:         3170
        .size:           2
        .value_kind:     hidden_remainder_x
      - .offset:         3172
        .size:           2
        .value_kind:     hidden_remainder_y
      - .offset:         3174
        .size:           2
        .value_kind:     hidden_remainder_z
      - .offset:         3192
        .size:           8
        .value_kind:     hidden_global_offset_x
      - .offset:         3200
        .size:           8
        .value_kind:     hidden_global_offset_y
      - .offset:         3208
        .size:           8
        .value_kind:     hidden_global_offset_z
      - .offset:         3216
        .size:           2
        .value_kind:     hidden_grid_dims
    .group_segment_fixed_size: 0
    .kernarg_segment_align: 8
    .kernarg_segment_size: 3408
    .language:       OpenCL C
    .language_version:
      - 2
      - 0
    .max_flat_workgroup_size: 512
    .name:           _ZN2at6native12_GLOBAL__N_125multi_tensor_apply_kernelINS1_18TensorListMetadataILi2EEENS1_14UnaryOpFunctorIN3c104HalfELi2ELi1ELi1EEEJNS0_5RoundIfEEEEEvT_T0_DpT1_
    .private_segment_fixed_size: 0
    .sgpr_count:     24
    .sgpr_spill_count: 0
    .symbol:         _ZN2at6native12_GLOBAL__N_125multi_tensor_apply_kernelINS1_18TensorListMetadataILi2EEENS1_14UnaryOpFunctorIN3c104HalfELi2ELi1ELi1EEEJNS0_5RoundIfEEEEEvT_T0_DpT1_.kd
    .uniform_work_group_size: 1
    .uses_dynamic_stack: false
    .vgpr_count:     29
    .vgpr_spill_count: 0
    .wavefront_size: 32
    .workgroup_processor_mode: 1
  - .args:
      - .offset:         0
        .size:           3144
        .value_kind:     by_value
      - .offset:         3144
        .size:           1
        .value_kind:     by_value
      - .offset:         3145
        .size:           1
        .value_kind:     by_value
      - .offset:         3152
        .size:           4
        .value_kind:     hidden_block_count_x
      - .offset:         3156
        .size:           4
        .value_kind:     hidden_block_count_y
      - .offset:         3160
        .size:           4
        .value_kind:     hidden_block_count_z
      - .offset:         3164
        .size:           2
        .value_kind:     hidden_group_size_x
      - .offset:         3166
        .size:           2
        .value_kind:     hidden_group_size_y
      - .offset:         3168
        .size:           2
        .value_kind:     hidden_group_size_z
      - .offset:         3170
        .size:           2
        .value_kind:     hidden_remainder_x
      - .offset:         3172
        .size:           2
        .value_kind:     hidden_remainder_y
      - .offset:         3174
        .size:           2
        .value_kind:     hidden_remainder_z
      - .offset:         3192
        .size:           8
        .value_kind:     hidden_global_offset_x
      - .offset:         3200
        .size:           8
        .value_kind:     hidden_global_offset_y
      - .offset:         3208
        .size:           8
        .value_kind:     hidden_global_offset_z
      - .offset:         3216
        .size:           2
        .value_kind:     hidden_grid_dims
    .group_segment_fixed_size: 0
    .kernarg_segment_align: 8
    .kernarg_segment_size: 3408
    .language:       OpenCL C
    .language_version:
      - 2
      - 0
    .max_flat_workgroup_size: 512
    .name:           _ZN2at6native12_GLOBAL__N_125multi_tensor_apply_kernelINS1_18TensorListMetadataILi2EEENS1_14UnaryOpFunctorIN3c108BFloat16ELi2ELi1ELi1EEEJNS0_5RoundIfEEEEEvT_T0_DpT1_
    .private_segment_fixed_size: 0
    .sgpr_count:     20
    .sgpr_spill_count: 0
    .symbol:         _ZN2at6native12_GLOBAL__N_125multi_tensor_apply_kernelINS1_18TensorListMetadataILi2EEENS1_14UnaryOpFunctorIN3c108BFloat16ELi2ELi1ELi1EEEJNS0_5RoundIfEEEEEvT_T0_DpT1_.kd
    .uniform_work_group_size: 1
    .uses_dynamic_stack: false
    .vgpr_count:     29
    .vgpr_spill_count: 0
    .wavefront_size: 32
    .workgroup_processor_mode: 1
  - .args:
      - .offset:         0
        .size:           3368
        .value_kind:     by_value
      - .offset:         3368
        .size:           1
        .value_kind:     by_value
      - .offset:         3369
        .size:           1
        .value_kind:     by_value
      - .offset:         3376
        .size:           4
        .value_kind:     hidden_block_count_x
      - .offset:         3380
        .size:           4
        .value_kind:     hidden_block_count_y
      - .offset:         3384
        .size:           4
        .value_kind:     hidden_block_count_z
      - .offset:         3388
        .size:           2
        .value_kind:     hidden_group_size_x
      - .offset:         3390
        .size:           2
        .value_kind:     hidden_group_size_y
      - .offset:         3392
        .size:           2
        .value_kind:     hidden_group_size_z
      - .offset:         3394
        .size:           2
        .value_kind:     hidden_remainder_x
      - .offset:         3396
        .size:           2
        .value_kind:     hidden_remainder_y
      - .offset:         3398
        .size:           2
        .value_kind:     hidden_remainder_z
      - .offset:         3416
        .size:           8
        .value_kind:     hidden_global_offset_x
      - .offset:         3424
        .size:           8
        .value_kind:     hidden_global_offset_y
      - .offset:         3432
        .size:           8
        .value_kind:     hidden_global_offset_z
      - .offset:         3440
        .size:           2
        .value_kind:     hidden_grid_dims
    .group_segment_fixed_size: 0
    .kernarg_segment_align: 8
    .kernarg_segment_size: 3632
    .language:       OpenCL C
    .language_version:
      - 2
      - 0
    .max_flat_workgroup_size: 512
    .name:           _ZN2at6native12_GLOBAL__N_125multi_tensor_apply_kernelINS1_18TensorListMetadataILi1EEENS1_14UnaryOpFunctorIdLi1ELi1ELi0EEEJNS0_5RoundIdEEEEEvT_T0_DpT1_
    .private_segment_fixed_size: 0
    .sgpr_count:     23
    .sgpr_spill_count: 0
    .symbol:         _ZN2at6native12_GLOBAL__N_125multi_tensor_apply_kernelINS1_18TensorListMetadataILi1EEENS1_14UnaryOpFunctorIdLi1ELi1ELi0EEEJNS0_5RoundIdEEEEEvT_T0_DpT1_.kd
    .uniform_work_group_size: 1
    .uses_dynamic_stack: false
    .vgpr_count:     21
    .vgpr_spill_count: 0
    .wavefront_size: 32
    .workgroup_processor_mode: 1
  - .args:
      - .offset:         0
        .size:           3368
        .value_kind:     by_value
      - .offset:         3368
        .size:           1
        .value_kind:     by_value
      - .offset:         3369
        .size:           1
        .value_kind:     by_value
      - .offset:         3376
        .size:           4
        .value_kind:     hidden_block_count_x
      - .offset:         3380
        .size:           4
        .value_kind:     hidden_block_count_y
      - .offset:         3384
        .size:           4
        .value_kind:     hidden_block_count_z
      - .offset:         3388
        .size:           2
        .value_kind:     hidden_group_size_x
      - .offset:         3390
        .size:           2
        .value_kind:     hidden_group_size_y
      - .offset:         3392
        .size:           2
        .value_kind:     hidden_group_size_z
      - .offset:         3394
        .size:           2
        .value_kind:     hidden_remainder_x
      - .offset:         3396
        .size:           2
        .value_kind:     hidden_remainder_y
      - .offset:         3398
        .size:           2
        .value_kind:     hidden_remainder_z
      - .offset:         3416
        .size:           8
        .value_kind:     hidden_global_offset_x
      - .offset:         3424
        .size:           8
        .value_kind:     hidden_global_offset_y
      - .offset:         3432
        .size:           8
        .value_kind:     hidden_global_offset_z
      - .offset:         3440
        .size:           2
        .value_kind:     hidden_grid_dims
    .group_segment_fixed_size: 0
    .kernarg_segment_align: 8
    .kernarg_segment_size: 3632
    .language:       OpenCL C
    .language_version:
      - 2
      - 0
    .max_flat_workgroup_size: 512
    .name:           _ZN2at6native12_GLOBAL__N_125multi_tensor_apply_kernelINS1_18TensorListMetadataILi1EEENS1_14UnaryOpFunctorIfLi1ELi1ELi0EEEJNS0_5RoundIfEEEEEvT_T0_DpT1_
    .private_segment_fixed_size: 0
    .sgpr_count:     23
    .sgpr_spill_count: 0
    .symbol:         _ZN2at6native12_GLOBAL__N_125multi_tensor_apply_kernelINS1_18TensorListMetadataILi1EEENS1_14UnaryOpFunctorIfLi1ELi1ELi0EEEJNS0_5RoundIfEEEEEvT_T0_DpT1_.kd
    .uniform_work_group_size: 1
    .uses_dynamic_stack: false
    .vgpr_count:     17
    .vgpr_spill_count: 0
    .wavefront_size: 32
    .workgroup_processor_mode: 1
  - .args:
      - .offset:         0
        .size:           3368
        .value_kind:     by_value
      - .offset:         3368
        .size:           1
        .value_kind:     by_value
      - .offset:         3369
        .size:           1
        .value_kind:     by_value
      - .offset:         3376
        .size:           4
        .value_kind:     hidden_block_count_x
      - .offset:         3380
        .size:           4
        .value_kind:     hidden_block_count_y
      - .offset:         3384
        .size:           4
        .value_kind:     hidden_block_count_z
      - .offset:         3388
        .size:           2
        .value_kind:     hidden_group_size_x
      - .offset:         3390
        .size:           2
        .value_kind:     hidden_group_size_y
      - .offset:         3392
        .size:           2
        .value_kind:     hidden_group_size_z
      - .offset:         3394
        .size:           2
        .value_kind:     hidden_remainder_x
      - .offset:         3396
        .size:           2
        .value_kind:     hidden_remainder_y
      - .offset:         3398
        .size:           2
        .value_kind:     hidden_remainder_z
      - .offset:         3416
        .size:           8
        .value_kind:     hidden_global_offset_x
      - .offset:         3424
        .size:           8
        .value_kind:     hidden_global_offset_y
      - .offset:         3432
        .size:           8
        .value_kind:     hidden_global_offset_z
      - .offset:         3440
        .size:           2
        .value_kind:     hidden_grid_dims
    .group_segment_fixed_size: 0
    .kernarg_segment_align: 8
    .kernarg_segment_size: 3632
    .language:       OpenCL C
    .language_version:
      - 2
      - 0
    .max_flat_workgroup_size: 512
    .name:           _ZN2at6native12_GLOBAL__N_125multi_tensor_apply_kernelINS1_18TensorListMetadataILi1EEENS1_14UnaryOpFunctorIN3c104HalfELi1ELi1ELi0EEEJNS0_5RoundIfEEEEEvT_T0_DpT1_
    .private_segment_fixed_size: 0
    .sgpr_count:     22
    .sgpr_spill_count: 0
    .symbol:         _ZN2at6native12_GLOBAL__N_125multi_tensor_apply_kernelINS1_18TensorListMetadataILi1EEENS1_14UnaryOpFunctorIN3c104HalfELi1ELi1ELi0EEEJNS0_5RoundIfEEEEEvT_T0_DpT1_.kd
    .uniform_work_group_size: 1
    .uses_dynamic_stack: false
    .vgpr_count:     17
    .vgpr_spill_count: 0
    .wavefront_size: 32
    .workgroup_processor_mode: 1
  - .args:
      - .offset:         0
        .size:           3368
        .value_kind:     by_value
      - .offset:         3368
        .size:           1
        .value_kind:     by_value
      - .offset:         3369
        .size:           1
        .value_kind:     by_value
      - .offset:         3376
        .size:           4
        .value_kind:     hidden_block_count_x
      - .offset:         3380
        .size:           4
        .value_kind:     hidden_block_count_y
      - .offset:         3384
        .size:           4
        .value_kind:     hidden_block_count_z
      - .offset:         3388
        .size:           2
        .value_kind:     hidden_group_size_x
      - .offset:         3390
        .size:           2
        .value_kind:     hidden_group_size_y
      - .offset:         3392
        .size:           2
        .value_kind:     hidden_group_size_z
      - .offset:         3394
        .size:           2
        .value_kind:     hidden_remainder_x
      - .offset:         3396
        .size:           2
        .value_kind:     hidden_remainder_y
      - .offset:         3398
        .size:           2
        .value_kind:     hidden_remainder_z
      - .offset:         3416
        .size:           8
        .value_kind:     hidden_global_offset_x
      - .offset:         3424
        .size:           8
        .value_kind:     hidden_global_offset_y
      - .offset:         3432
        .size:           8
        .value_kind:     hidden_global_offset_z
      - .offset:         3440
        .size:           2
        .value_kind:     hidden_grid_dims
    .group_segment_fixed_size: 0
    .kernarg_segment_align: 8
    .kernarg_segment_size: 3632
    .language:       OpenCL C
    .language_version:
      - 2
      - 0
    .max_flat_workgroup_size: 512
    .name:           _ZN2at6native12_GLOBAL__N_125multi_tensor_apply_kernelINS1_18TensorListMetadataILi1EEENS1_14UnaryOpFunctorIN3c108BFloat16ELi1ELi1ELi0EEEJNS0_5RoundIfEEEEEvT_T0_DpT1_
    .private_segment_fixed_size: 0
    .sgpr_count:     22
    .sgpr_spill_count: 0
    .symbol:         _ZN2at6native12_GLOBAL__N_125multi_tensor_apply_kernelINS1_18TensorListMetadataILi1EEENS1_14UnaryOpFunctorIN3c108BFloat16ELi1ELi1ELi0EEEJNS0_5RoundIfEEEEEvT_T0_DpT1_.kd
    .uniform_work_group_size: 1
    .uses_dynamic_stack: false
    .vgpr_count:     17
    .vgpr_spill_count: 0
    .wavefront_size: 32
    .workgroup_processor_mode: 1
  - .args:
      - .offset:         0
        .size:           3144
        .value_kind:     by_value
      - .offset:         3144
        .size:           1
        .value_kind:     by_value
      - .offset:         3145
        .size:           1
        .value_kind:     by_value
      - .offset:         3152
        .size:           4
        .value_kind:     hidden_block_count_x
      - .offset:         3156
        .size:           4
        .value_kind:     hidden_block_count_y
      - .offset:         3160
        .size:           4
        .value_kind:     hidden_block_count_z
      - .offset:         3164
        .size:           2
        .value_kind:     hidden_group_size_x
      - .offset:         3166
        .size:           2
        .value_kind:     hidden_group_size_y
      - .offset:         3168
        .size:           2
        .value_kind:     hidden_group_size_z
      - .offset:         3170
        .size:           2
        .value_kind:     hidden_remainder_x
      - .offset:         3172
        .size:           2
        .value_kind:     hidden_remainder_y
      - .offset:         3174
        .size:           2
        .value_kind:     hidden_remainder_z
      - .offset:         3192
        .size:           8
        .value_kind:     hidden_global_offset_x
      - .offset:         3200
        .size:           8
        .value_kind:     hidden_global_offset_y
      - .offset:         3208
        .size:           8
        .value_kind:     hidden_global_offset_z
      - .offset:         3216
        .size:           2
        .value_kind:     hidden_grid_dims
    .group_segment_fixed_size: 0
    .kernarg_segment_align: 8
    .kernarg_segment_size: 3408
    .language:       OpenCL C
    .language_version:
      - 2
      - 0
    .max_flat_workgroup_size: 512
    .name:           _ZN2at6native12_GLOBAL__N_125multi_tensor_apply_kernelINS1_18TensorListMetadataILi2EEENS1_14UnaryOpFunctorIdLi2ELi1ELi1EEEJNS0_5TruncIdEEEEEvT_T0_DpT1_
    .private_segment_fixed_size: 0
    .sgpr_count:     24
    .sgpr_spill_count: 0
    .symbol:         _ZN2at6native12_GLOBAL__N_125multi_tensor_apply_kernelINS1_18TensorListMetadataILi2EEENS1_14UnaryOpFunctorIdLi2ELi1ELi1EEEJNS0_5TruncIdEEEEEvT_T0_DpT1_.kd
    .uniform_work_group_size: 1
    .uses_dynamic_stack: false
    .vgpr_count:     33
    .vgpr_spill_count: 0
    .wavefront_size: 32
    .workgroup_processor_mode: 1
  - .args:
      - .offset:         0
        .size:           3144
        .value_kind:     by_value
      - .offset:         3144
        .size:           1
        .value_kind:     by_value
      - .offset:         3145
        .size:           1
        .value_kind:     by_value
      - .offset:         3152
        .size:           4
        .value_kind:     hidden_block_count_x
      - .offset:         3156
        .size:           4
        .value_kind:     hidden_block_count_y
      - .offset:         3160
        .size:           4
        .value_kind:     hidden_block_count_z
      - .offset:         3164
        .size:           2
        .value_kind:     hidden_group_size_x
      - .offset:         3166
        .size:           2
        .value_kind:     hidden_group_size_y
      - .offset:         3168
        .size:           2
        .value_kind:     hidden_group_size_z
      - .offset:         3170
        .size:           2
        .value_kind:     hidden_remainder_x
      - .offset:         3172
        .size:           2
        .value_kind:     hidden_remainder_y
      - .offset:         3174
        .size:           2
        .value_kind:     hidden_remainder_z
      - .offset:         3192
        .size:           8
        .value_kind:     hidden_global_offset_x
      - .offset:         3200
        .size:           8
        .value_kind:     hidden_global_offset_y
      - .offset:         3208
        .size:           8
        .value_kind:     hidden_global_offset_z
      - .offset:         3216
        .size:           2
        .value_kind:     hidden_grid_dims
    .group_segment_fixed_size: 0
    .kernarg_segment_align: 8
    .kernarg_segment_size: 3408
    .language:       OpenCL C
    .language_version:
      - 2
      - 0
    .max_flat_workgroup_size: 512
    .name:           _ZN2at6native12_GLOBAL__N_125multi_tensor_apply_kernelINS1_18TensorListMetadataILi2EEENS1_14UnaryOpFunctorIfLi2ELi1ELi1EEEJNS0_5TruncIfEEEEEvT_T0_DpT1_
    .private_segment_fixed_size: 0
    .sgpr_count:     24
    .sgpr_spill_count: 0
    .symbol:         _ZN2at6native12_GLOBAL__N_125multi_tensor_apply_kernelINS1_18TensorListMetadataILi2EEENS1_14UnaryOpFunctorIfLi2ELi1ELi1EEEJNS0_5TruncIfEEEEEvT_T0_DpT1_.kd
    .uniform_work_group_size: 1
    .uses_dynamic_stack: false
    .vgpr_count:     30
    .vgpr_spill_count: 0
    .wavefront_size: 32
    .workgroup_processor_mode: 1
  - .args:
      - .offset:         0
        .size:           3144
        .value_kind:     by_value
      - .offset:         3144
        .size:           1
        .value_kind:     by_value
      - .offset:         3145
        .size:           1
        .value_kind:     by_value
      - .offset:         3152
        .size:           4
        .value_kind:     hidden_block_count_x
      - .offset:         3156
        .size:           4
        .value_kind:     hidden_block_count_y
      - .offset:         3160
        .size:           4
        .value_kind:     hidden_block_count_z
      - .offset:         3164
        .size:           2
        .value_kind:     hidden_group_size_x
      - .offset:         3166
        .size:           2
        .value_kind:     hidden_group_size_y
      - .offset:         3168
        .size:           2
        .value_kind:     hidden_group_size_z
      - .offset:         3170
        .size:           2
        .value_kind:     hidden_remainder_x
      - .offset:         3172
        .size:           2
        .value_kind:     hidden_remainder_y
      - .offset:         3174
        .size:           2
        .value_kind:     hidden_remainder_z
      - .offset:         3192
        .size:           8
        .value_kind:     hidden_global_offset_x
      - .offset:         3200
        .size:           8
        .value_kind:     hidden_global_offset_y
      - .offset:         3208
        .size:           8
        .value_kind:     hidden_global_offset_z
      - .offset:         3216
        .size:           2
        .value_kind:     hidden_grid_dims
    .group_segment_fixed_size: 0
    .kernarg_segment_align: 8
    .kernarg_segment_size: 3408
    .language:       OpenCL C
    .language_version:
      - 2
      - 0
    .max_flat_workgroup_size: 512
    .name:           _ZN2at6native12_GLOBAL__N_125multi_tensor_apply_kernelINS1_18TensorListMetadataILi2EEENS1_14UnaryOpFunctorIN3c104HalfELi2ELi1ELi1EEEJNS0_5TruncIfEEEEEvT_T0_DpT1_
    .private_segment_fixed_size: 0
    .sgpr_count:     24
    .sgpr_spill_count: 0
    .symbol:         _ZN2at6native12_GLOBAL__N_125multi_tensor_apply_kernelINS1_18TensorListMetadataILi2EEENS1_14UnaryOpFunctorIN3c104HalfELi2ELi1ELi1EEEJNS0_5TruncIfEEEEEvT_T0_DpT1_.kd
    .uniform_work_group_size: 1
    .uses_dynamic_stack: false
    .vgpr_count:     29
    .vgpr_spill_count: 0
    .wavefront_size: 32
    .workgroup_processor_mode: 1
  - .args:
      - .offset:         0
        .size:           3144
        .value_kind:     by_value
      - .offset:         3144
        .size:           1
        .value_kind:     by_value
      - .offset:         3145
        .size:           1
        .value_kind:     by_value
      - .offset:         3152
        .size:           4
        .value_kind:     hidden_block_count_x
      - .offset:         3156
        .size:           4
        .value_kind:     hidden_block_count_y
      - .offset:         3160
        .size:           4
        .value_kind:     hidden_block_count_z
      - .offset:         3164
        .size:           2
        .value_kind:     hidden_group_size_x
      - .offset:         3166
        .size:           2
        .value_kind:     hidden_group_size_y
      - .offset:         3168
        .size:           2
        .value_kind:     hidden_group_size_z
      - .offset:         3170
        .size:           2
        .value_kind:     hidden_remainder_x
      - .offset:         3172
        .size:           2
        .value_kind:     hidden_remainder_y
      - .offset:         3174
        .size:           2
        .value_kind:     hidden_remainder_z
      - .offset:         3192
        .size:           8
        .value_kind:     hidden_global_offset_x
      - .offset:         3200
        .size:           8
        .value_kind:     hidden_global_offset_y
      - .offset:         3208
        .size:           8
        .value_kind:     hidden_global_offset_z
      - .offset:         3216
        .size:           2
        .value_kind:     hidden_grid_dims
    .group_segment_fixed_size: 0
    .kernarg_segment_align: 8
    .kernarg_segment_size: 3408
    .language:       OpenCL C
    .language_version:
      - 2
      - 0
    .max_flat_workgroup_size: 512
    .name:           _ZN2at6native12_GLOBAL__N_125multi_tensor_apply_kernelINS1_18TensorListMetadataILi2EEENS1_14UnaryOpFunctorIN3c108BFloat16ELi2ELi1ELi1EEEJNS0_5TruncIfEEEEEvT_T0_DpT1_
    .private_segment_fixed_size: 0
    .sgpr_count:     20
    .sgpr_spill_count: 0
    .symbol:         _ZN2at6native12_GLOBAL__N_125multi_tensor_apply_kernelINS1_18TensorListMetadataILi2EEENS1_14UnaryOpFunctorIN3c108BFloat16ELi2ELi1ELi1EEEJNS0_5TruncIfEEEEEvT_T0_DpT1_.kd
    .uniform_work_group_size: 1
    .uses_dynamic_stack: false
    .vgpr_count:     29
    .vgpr_spill_count: 0
    .wavefront_size: 32
    .workgroup_processor_mode: 1
  - .args:
      - .offset:         0
        .size:           3368
        .value_kind:     by_value
      - .offset:         3368
        .size:           1
        .value_kind:     by_value
      - .offset:         3369
        .size:           1
        .value_kind:     by_value
      - .offset:         3376
        .size:           4
        .value_kind:     hidden_block_count_x
      - .offset:         3380
        .size:           4
        .value_kind:     hidden_block_count_y
      - .offset:         3384
        .size:           4
        .value_kind:     hidden_block_count_z
      - .offset:         3388
        .size:           2
        .value_kind:     hidden_group_size_x
      - .offset:         3390
        .size:           2
        .value_kind:     hidden_group_size_y
      - .offset:         3392
        .size:           2
        .value_kind:     hidden_group_size_z
      - .offset:         3394
        .size:           2
        .value_kind:     hidden_remainder_x
      - .offset:         3396
        .size:           2
        .value_kind:     hidden_remainder_y
      - .offset:         3398
        .size:           2
        .value_kind:     hidden_remainder_z
      - .offset:         3416
        .size:           8
        .value_kind:     hidden_global_offset_x
      - .offset:         3424
        .size:           8
        .value_kind:     hidden_global_offset_y
      - .offset:         3432
        .size:           8
        .value_kind:     hidden_global_offset_z
      - .offset:         3440
        .size:           2
        .value_kind:     hidden_grid_dims
    .group_segment_fixed_size: 0
    .kernarg_segment_align: 8
    .kernarg_segment_size: 3632
    .language:       OpenCL C
    .language_version:
      - 2
      - 0
    .max_flat_workgroup_size: 512
    .name:           _ZN2at6native12_GLOBAL__N_125multi_tensor_apply_kernelINS1_18TensorListMetadataILi1EEENS1_14UnaryOpFunctorIdLi1ELi1ELi0EEEJNS0_5TruncIdEEEEEvT_T0_DpT1_
    .private_segment_fixed_size: 0
    .sgpr_count:     23
    .sgpr_spill_count: 0
    .symbol:         _ZN2at6native12_GLOBAL__N_125multi_tensor_apply_kernelINS1_18TensorListMetadataILi1EEENS1_14UnaryOpFunctorIdLi1ELi1ELi0EEEJNS0_5TruncIdEEEEEvT_T0_DpT1_.kd
    .uniform_work_group_size: 1
    .uses_dynamic_stack: false
    .vgpr_count:     21
    .vgpr_spill_count: 0
    .wavefront_size: 32
    .workgroup_processor_mode: 1
  - .args:
      - .offset:         0
        .size:           3368
        .value_kind:     by_value
      - .offset:         3368
        .size:           1
        .value_kind:     by_value
      - .offset:         3369
        .size:           1
        .value_kind:     by_value
      - .offset:         3376
        .size:           4
        .value_kind:     hidden_block_count_x
      - .offset:         3380
        .size:           4
        .value_kind:     hidden_block_count_y
      - .offset:         3384
        .size:           4
        .value_kind:     hidden_block_count_z
      - .offset:         3388
        .size:           2
        .value_kind:     hidden_group_size_x
      - .offset:         3390
        .size:           2
        .value_kind:     hidden_group_size_y
      - .offset:         3392
        .size:           2
        .value_kind:     hidden_group_size_z
      - .offset:         3394
        .size:           2
        .value_kind:     hidden_remainder_x
      - .offset:         3396
        .size:           2
        .value_kind:     hidden_remainder_y
      - .offset:         3398
        .size:           2
        .value_kind:     hidden_remainder_z
      - .offset:         3416
        .size:           8
        .value_kind:     hidden_global_offset_x
      - .offset:         3424
        .size:           8
        .value_kind:     hidden_global_offset_y
      - .offset:         3432
        .size:           8
        .value_kind:     hidden_global_offset_z
      - .offset:         3440
        .size:           2
        .value_kind:     hidden_grid_dims
    .group_segment_fixed_size: 0
    .kernarg_segment_align: 8
    .kernarg_segment_size: 3632
    .language:       OpenCL C
    .language_version:
      - 2
      - 0
    .max_flat_workgroup_size: 512
    .name:           _ZN2at6native12_GLOBAL__N_125multi_tensor_apply_kernelINS1_18TensorListMetadataILi1EEENS1_14UnaryOpFunctorIfLi1ELi1ELi0EEEJNS0_5TruncIfEEEEEvT_T0_DpT1_
    .private_segment_fixed_size: 0
    .sgpr_count:     23
    .sgpr_spill_count: 0
    .symbol:         _ZN2at6native12_GLOBAL__N_125multi_tensor_apply_kernelINS1_18TensorListMetadataILi1EEENS1_14UnaryOpFunctorIfLi1ELi1ELi0EEEJNS0_5TruncIfEEEEEvT_T0_DpT1_.kd
    .uniform_work_group_size: 1
    .uses_dynamic_stack: false
    .vgpr_count:     17
    .vgpr_spill_count: 0
    .wavefront_size: 32
    .workgroup_processor_mode: 1
  - .args:
      - .offset:         0
        .size:           3368
        .value_kind:     by_value
      - .offset:         3368
        .size:           1
        .value_kind:     by_value
      - .offset:         3369
        .size:           1
        .value_kind:     by_value
      - .offset:         3376
        .size:           4
        .value_kind:     hidden_block_count_x
      - .offset:         3380
        .size:           4
        .value_kind:     hidden_block_count_y
      - .offset:         3384
        .size:           4
        .value_kind:     hidden_block_count_z
      - .offset:         3388
        .size:           2
        .value_kind:     hidden_group_size_x
      - .offset:         3390
        .size:           2
        .value_kind:     hidden_group_size_y
      - .offset:         3392
        .size:           2
        .value_kind:     hidden_group_size_z
      - .offset:         3394
        .size:           2
        .value_kind:     hidden_remainder_x
      - .offset:         3396
        .size:           2
        .value_kind:     hidden_remainder_y
      - .offset:         3398
        .size:           2
        .value_kind:     hidden_remainder_z
      - .offset:         3416
        .size:           8
        .value_kind:     hidden_global_offset_x
      - .offset:         3424
        .size:           8
        .value_kind:     hidden_global_offset_y
      - .offset:         3432
        .size:           8
        .value_kind:     hidden_global_offset_z
      - .offset:         3440
        .size:           2
        .value_kind:     hidden_grid_dims
    .group_segment_fixed_size: 0
    .kernarg_segment_align: 8
    .kernarg_segment_size: 3632
    .language:       OpenCL C
    .language_version:
      - 2
      - 0
    .max_flat_workgroup_size: 512
    .name:           _ZN2at6native12_GLOBAL__N_125multi_tensor_apply_kernelINS1_18TensorListMetadataILi1EEENS1_14UnaryOpFunctorIN3c104HalfELi1ELi1ELi0EEEJNS0_5TruncIfEEEEEvT_T0_DpT1_
    .private_segment_fixed_size: 0
    .sgpr_count:     22
    .sgpr_spill_count: 0
    .symbol:         _ZN2at6native12_GLOBAL__N_125multi_tensor_apply_kernelINS1_18TensorListMetadataILi1EEENS1_14UnaryOpFunctorIN3c104HalfELi1ELi1ELi0EEEJNS0_5TruncIfEEEEEvT_T0_DpT1_.kd
    .uniform_work_group_size: 1
    .uses_dynamic_stack: false
    .vgpr_count:     17
    .vgpr_spill_count: 0
    .wavefront_size: 32
    .workgroup_processor_mode: 1
  - .args:
      - .offset:         0
        .size:           3368
        .value_kind:     by_value
      - .offset:         3368
        .size:           1
        .value_kind:     by_value
      - .offset:         3369
        .size:           1
        .value_kind:     by_value
      - .offset:         3376
        .size:           4
        .value_kind:     hidden_block_count_x
      - .offset:         3380
        .size:           4
        .value_kind:     hidden_block_count_y
      - .offset:         3384
        .size:           4
        .value_kind:     hidden_block_count_z
      - .offset:         3388
        .size:           2
        .value_kind:     hidden_group_size_x
      - .offset:         3390
        .size:           2
        .value_kind:     hidden_group_size_y
      - .offset:         3392
        .size:           2
        .value_kind:     hidden_group_size_z
      - .offset:         3394
        .size:           2
        .value_kind:     hidden_remainder_x
      - .offset:         3396
        .size:           2
        .value_kind:     hidden_remainder_y
      - .offset:         3398
        .size:           2
        .value_kind:     hidden_remainder_z
      - .offset:         3416
        .size:           8
        .value_kind:     hidden_global_offset_x
      - .offset:         3424
        .size:           8
        .value_kind:     hidden_global_offset_y
      - .offset:         3432
        .size:           8
        .value_kind:     hidden_global_offset_z
      - .offset:         3440
        .size:           2
        .value_kind:     hidden_grid_dims
    .group_segment_fixed_size: 0
    .kernarg_segment_align: 8
    .kernarg_segment_size: 3632
    .language:       OpenCL C
    .language_version:
      - 2
      - 0
    .max_flat_workgroup_size: 512
    .name:           _ZN2at6native12_GLOBAL__N_125multi_tensor_apply_kernelINS1_18TensorListMetadataILi1EEENS1_14UnaryOpFunctorIN3c108BFloat16ELi1ELi1ELi0EEEJNS0_5TruncIfEEEEEvT_T0_DpT1_
    .private_segment_fixed_size: 0
    .sgpr_count:     22
    .sgpr_spill_count: 0
    .symbol:         _ZN2at6native12_GLOBAL__N_125multi_tensor_apply_kernelINS1_18TensorListMetadataILi1EEENS1_14UnaryOpFunctorIN3c108BFloat16ELi1ELi1ELi0EEEJNS0_5TruncIfEEEEEvT_T0_DpT1_.kd
    .uniform_work_group_size: 1
    .uses_dynamic_stack: false
    .vgpr_count:     17
    .vgpr_spill_count: 0
    .wavefront_size: 32
    .workgroup_processor_mode: 1
  - .args:
      - .offset:         0
        .size:           3144
        .value_kind:     by_value
      - .offset:         3144
        .size:           1
        .value_kind:     by_value
      - .offset:         3152
        .size:           8
        .value_kind:     by_value
      - .offset:         3160
        .size:           4
        .value_kind:     hidden_block_count_x
      - .offset:         3164
        .size:           4
        .value_kind:     hidden_block_count_y
      - .offset:         3168
        .size:           4
        .value_kind:     hidden_block_count_z
      - .offset:         3172
        .size:           2
        .value_kind:     hidden_group_size_x
      - .offset:         3174
        .size:           2
        .value_kind:     hidden_group_size_y
      - .offset:         3176
        .size:           2
        .value_kind:     hidden_group_size_z
      - .offset:         3178
        .size:           2
        .value_kind:     hidden_remainder_x
      - .offset:         3180
        .size:           2
        .value_kind:     hidden_remainder_y
      - .offset:         3182
        .size:           2
        .value_kind:     hidden_remainder_z
      - .offset:         3200
        .size:           8
        .value_kind:     hidden_global_offset_x
      - .offset:         3208
        .size:           8
        .value_kind:     hidden_global_offset_y
      - .offset:         3216
        .size:           8
        .value_kind:     hidden_global_offset_z
      - .offset:         3224
        .size:           2
        .value_kind:     hidden_grid_dims
    .group_segment_fixed_size: 0
    .kernarg_segment_align: 8
    .kernarg_segment_size: 3416
    .language:       OpenCL C
    .language_version:
      - 2
      - 0
    .max_flat_workgroup_size: 512
    .name:           _ZN2at6native12_GLOBAL__N_125multi_tensor_apply_kernelINS1_18TensorListMetadataILi2EEENS1_14UnaryOpFunctorIdLi2ELi1ELi1EEEJNS0_10ReciprocalIdEEEEEvT_T0_DpT1_
    .private_segment_fixed_size: 0
    .sgpr_count:     28
    .sgpr_spill_count: 0
    .symbol:         _ZN2at6native12_GLOBAL__N_125multi_tensor_apply_kernelINS1_18TensorListMetadataILi2EEENS1_14UnaryOpFunctorIdLi2ELi1ELi1EEEJNS0_10ReciprocalIdEEEEEvT_T0_DpT1_.kd
    .uniform_work_group_size: 1
    .uses_dynamic_stack: false
    .vgpr_count:     44
    .vgpr_spill_count: 0
    .wavefront_size: 32
    .workgroup_processor_mode: 1
  - .args:
      - .offset:         0
        .size:           3144
        .value_kind:     by_value
      - .offset:         3144
        .size:           1
        .value_kind:     by_value
      - .offset:         3148
        .size:           4
        .value_kind:     by_value
      - .offset:         3152
        .size:           4
        .value_kind:     hidden_block_count_x
      - .offset:         3156
        .size:           4
        .value_kind:     hidden_block_count_y
      - .offset:         3160
        .size:           4
        .value_kind:     hidden_block_count_z
      - .offset:         3164
        .size:           2
        .value_kind:     hidden_group_size_x
      - .offset:         3166
        .size:           2
        .value_kind:     hidden_group_size_y
      - .offset:         3168
        .size:           2
        .value_kind:     hidden_group_size_z
      - .offset:         3170
        .size:           2
        .value_kind:     hidden_remainder_x
      - .offset:         3172
        .size:           2
        .value_kind:     hidden_remainder_y
      - .offset:         3174
        .size:           2
        .value_kind:     hidden_remainder_z
      - .offset:         3192
        .size:           8
        .value_kind:     hidden_global_offset_x
      - .offset:         3200
        .size:           8
        .value_kind:     hidden_global_offset_y
      - .offset:         3208
        .size:           8
        .value_kind:     hidden_global_offset_z
      - .offset:         3216
        .size:           2
        .value_kind:     hidden_grid_dims
    .group_segment_fixed_size: 0
    .kernarg_segment_align: 8
    .kernarg_segment_size: 3408
    .language:       OpenCL C
    .language_version:
      - 2
      - 0
    .max_flat_workgroup_size: 512
    .name:           _ZN2at6native12_GLOBAL__N_125multi_tensor_apply_kernelINS1_18TensorListMetadataILi2EEENS1_14UnaryOpFunctorIfLi2ELi1ELi1EEEJNS0_10ReciprocalIfEEEEEvT_T0_DpT1_
    .private_segment_fixed_size: 0
    .sgpr_count:     26
    .sgpr_spill_count: 0
    .symbol:         _ZN2at6native12_GLOBAL__N_125multi_tensor_apply_kernelINS1_18TensorListMetadataILi2EEENS1_14UnaryOpFunctorIfLi2ELi1ELi1EEEJNS0_10ReciprocalIfEEEEEvT_T0_DpT1_.kd
    .uniform_work_group_size: 1
    .uses_dynamic_stack: false
    .vgpr_count:     32
    .vgpr_spill_count: 0
    .wavefront_size: 32
    .workgroup_processor_mode: 1
  - .args:
      - .offset:         0
        .size:           3144
        .value_kind:     by_value
      - .offset:         3144
        .size:           1
        .value_kind:     by_value
      - .offset:         3152
        .size:           16
        .value_kind:     by_value
      - .offset:         3168
        .size:           4
        .value_kind:     hidden_block_count_x
      - .offset:         3172
        .size:           4
        .value_kind:     hidden_block_count_y
      - .offset:         3176
        .size:           4
        .value_kind:     hidden_block_count_z
      - .offset:         3180
        .size:           2
        .value_kind:     hidden_group_size_x
      - .offset:         3182
        .size:           2
        .value_kind:     hidden_group_size_y
      - .offset:         3184
        .size:           2
        .value_kind:     hidden_group_size_z
      - .offset:         3186
        .size:           2
        .value_kind:     hidden_remainder_x
      - .offset:         3188
        .size:           2
        .value_kind:     hidden_remainder_y
      - .offset:         3190
        .size:           2
        .value_kind:     hidden_remainder_z
      - .offset:         3208
        .size:           8
        .value_kind:     hidden_global_offset_x
      - .offset:         3216
        .size:           8
        .value_kind:     hidden_global_offset_y
      - .offset:         3224
        .size:           8
        .value_kind:     hidden_global_offset_z
      - .offset:         3232
        .size:           2
        .value_kind:     hidden_grid_dims
    .group_segment_fixed_size: 0
    .kernarg_segment_align: 16
    .kernarg_segment_size: 3424
    .language:       OpenCL C
    .language_version:
      - 2
      - 0
    .max_flat_workgroup_size: 512
    .name:           _ZN2at6native12_GLOBAL__N_125multi_tensor_apply_kernelINS1_18TensorListMetadataILi2EEENS1_14UnaryOpFunctorIN3c107complexIdEELi2ELi1ELi1EEEJNS0_10ReciprocalIS8_EEEEEvT_T0_DpT1_
    .private_segment_fixed_size: 0
    .sgpr_count:     30
    .sgpr_spill_count: 0
    .symbol:         _ZN2at6native12_GLOBAL__N_125multi_tensor_apply_kernelINS1_18TensorListMetadataILi2EEENS1_14UnaryOpFunctorIN3c107complexIdEELi2ELi1ELi1EEEJNS0_10ReciprocalIS8_EEEEEvT_T0_DpT1_.kd
    .uniform_work_group_size: 1
    .uses_dynamic_stack: false
    .vgpr_count:     50
    .vgpr_spill_count: 0
    .wavefront_size: 32
    .workgroup_processor_mode: 1
  - .args:
      - .offset:         0
        .size:           3144
        .value_kind:     by_value
      - .offset:         3144
        .size:           1
        .value_kind:     by_value
      - .offset:         3152
        .size:           8
        .value_kind:     by_value
      - .offset:         3160
        .size:           4
        .value_kind:     hidden_block_count_x
      - .offset:         3164
        .size:           4
        .value_kind:     hidden_block_count_y
      - .offset:         3168
        .size:           4
        .value_kind:     hidden_block_count_z
      - .offset:         3172
        .size:           2
        .value_kind:     hidden_group_size_x
      - .offset:         3174
        .size:           2
        .value_kind:     hidden_group_size_y
      - .offset:         3176
        .size:           2
        .value_kind:     hidden_group_size_z
      - .offset:         3178
        .size:           2
        .value_kind:     hidden_remainder_x
      - .offset:         3180
        .size:           2
        .value_kind:     hidden_remainder_y
      - .offset:         3182
        .size:           2
        .value_kind:     hidden_remainder_z
      - .offset:         3200
        .size:           8
        .value_kind:     hidden_global_offset_x
      - .offset:         3208
        .size:           8
        .value_kind:     hidden_global_offset_y
      - .offset:         3216
        .size:           8
        .value_kind:     hidden_global_offset_z
      - .offset:         3224
        .size:           2
        .value_kind:     hidden_grid_dims
    .group_segment_fixed_size: 0
    .kernarg_segment_align: 8
    .kernarg_segment_size: 3416
    .language:       OpenCL C
    .language_version:
      - 2
      - 0
    .max_flat_workgroup_size: 512
    .name:           _ZN2at6native12_GLOBAL__N_125multi_tensor_apply_kernelINS1_18TensorListMetadataILi2EEENS1_14UnaryOpFunctorIN3c107complexIfEELi2ELi1ELi1EEEJNS0_10ReciprocalIS8_EEEEEvT_T0_DpT1_
    .private_segment_fixed_size: 0
    .sgpr_count:     28
    .sgpr_spill_count: 0
    .symbol:         _ZN2at6native12_GLOBAL__N_125multi_tensor_apply_kernelINS1_18TensorListMetadataILi2EEENS1_14UnaryOpFunctorIN3c107complexIfEELi2ELi1ELi1EEEJNS0_10ReciprocalIS8_EEEEEvT_T0_DpT1_.kd
    .uniform_work_group_size: 1
    .uses_dynamic_stack: false
    .vgpr_count:     36
    .vgpr_spill_count: 0
    .wavefront_size: 32
    .workgroup_processor_mode: 1
  - .args:
      - .offset:         0
        .size:           3144
        .value_kind:     by_value
      - .offset:         3144
        .size:           1
        .value_kind:     by_value
      - .offset:         3148
        .size:           4
        .value_kind:     by_value
      - .offset:         3152
        .size:           4
        .value_kind:     hidden_block_count_x
      - .offset:         3156
        .size:           4
        .value_kind:     hidden_block_count_y
      - .offset:         3160
        .size:           4
        .value_kind:     hidden_block_count_z
      - .offset:         3164
        .size:           2
        .value_kind:     hidden_group_size_x
      - .offset:         3166
        .size:           2
        .value_kind:     hidden_group_size_y
      - .offset:         3168
        .size:           2
        .value_kind:     hidden_group_size_z
      - .offset:         3170
        .size:           2
        .value_kind:     hidden_remainder_x
      - .offset:         3172
        .size:           2
        .value_kind:     hidden_remainder_y
      - .offset:         3174
        .size:           2
        .value_kind:     hidden_remainder_z
      - .offset:         3192
        .size:           8
        .value_kind:     hidden_global_offset_x
      - .offset:         3200
        .size:           8
        .value_kind:     hidden_global_offset_y
      - .offset:         3208
        .size:           8
        .value_kind:     hidden_global_offset_z
      - .offset:         3216
        .size:           2
        .value_kind:     hidden_grid_dims
    .group_segment_fixed_size: 0
    .kernarg_segment_align: 8
    .kernarg_segment_size: 3408
    .language:       OpenCL C
    .language_version:
      - 2
      - 0
    .max_flat_workgroup_size: 512
    .name:           _ZN2at6native12_GLOBAL__N_125multi_tensor_apply_kernelINS1_18TensorListMetadataILi2EEENS1_14UnaryOpFunctorIN3c104HalfELi2ELi1ELi1EEEJNS0_10ReciprocalIfEEEEEvT_T0_DpT1_
    .private_segment_fixed_size: 0
    .sgpr_count:     26
    .sgpr_spill_count: 0
    .symbol:         _ZN2at6native12_GLOBAL__N_125multi_tensor_apply_kernelINS1_18TensorListMetadataILi2EEENS1_14UnaryOpFunctorIN3c104HalfELi2ELi1ELi1EEEJNS0_10ReciprocalIfEEEEEvT_T0_DpT1_.kd
    .uniform_work_group_size: 1
    .uses_dynamic_stack: false
    .vgpr_count:     32
    .vgpr_spill_count: 0
    .wavefront_size: 32
    .workgroup_processor_mode: 1
  - .args:
      - .offset:         0
        .size:           3144
        .value_kind:     by_value
      - .offset:         3144
        .size:           1
        .value_kind:     by_value
      - .offset:         3148
        .size:           4
        .value_kind:     by_value
      - .offset:         3152
        .size:           4
        .value_kind:     hidden_block_count_x
      - .offset:         3156
        .size:           4
        .value_kind:     hidden_block_count_y
      - .offset:         3160
        .size:           4
        .value_kind:     hidden_block_count_z
      - .offset:         3164
        .size:           2
        .value_kind:     hidden_group_size_x
      - .offset:         3166
        .size:           2
        .value_kind:     hidden_group_size_y
      - .offset:         3168
        .size:           2
        .value_kind:     hidden_group_size_z
      - .offset:         3170
        .size:           2
        .value_kind:     hidden_remainder_x
      - .offset:         3172
        .size:           2
        .value_kind:     hidden_remainder_y
      - .offset:         3174
        .size:           2
        .value_kind:     hidden_remainder_z
      - .offset:         3192
        .size:           8
        .value_kind:     hidden_global_offset_x
      - .offset:         3200
        .size:           8
        .value_kind:     hidden_global_offset_y
      - .offset:         3208
        .size:           8
        .value_kind:     hidden_global_offset_z
      - .offset:         3216
        .size:           2
        .value_kind:     hidden_grid_dims
    .group_segment_fixed_size: 0
    .kernarg_segment_align: 8
    .kernarg_segment_size: 3408
    .language:       OpenCL C
    .language_version:
      - 2
      - 0
    .max_flat_workgroup_size: 512
    .name:           _ZN2at6native12_GLOBAL__N_125multi_tensor_apply_kernelINS1_18TensorListMetadataILi2EEENS1_14UnaryOpFunctorIN3c108BFloat16ELi2ELi1ELi1EEEJNS0_10ReciprocalIfEEEEEvT_T0_DpT1_
    .private_segment_fixed_size: 0
    .sgpr_count:     23
    .sgpr_spill_count: 0
    .symbol:         _ZN2at6native12_GLOBAL__N_125multi_tensor_apply_kernelINS1_18TensorListMetadataILi2EEENS1_14UnaryOpFunctorIN3c108BFloat16ELi2ELi1ELi1EEEJNS0_10ReciprocalIfEEEEEvT_T0_DpT1_.kd
    .uniform_work_group_size: 1
    .uses_dynamic_stack: false
    .vgpr_count:     32
    .vgpr_spill_count: 0
    .wavefront_size: 32
    .workgroup_processor_mode: 1
  - .args:
      - .offset:         0
        .size:           3368
        .value_kind:     by_value
      - .offset:         3368
        .size:           1
        .value_kind:     by_value
      - .offset:         3376
        .size:           8
        .value_kind:     by_value
      - .offset:         3384
        .size:           4
        .value_kind:     hidden_block_count_x
      - .offset:         3388
        .size:           4
        .value_kind:     hidden_block_count_y
      - .offset:         3392
        .size:           4
        .value_kind:     hidden_block_count_z
      - .offset:         3396
        .size:           2
        .value_kind:     hidden_group_size_x
      - .offset:         3398
        .size:           2
        .value_kind:     hidden_group_size_y
      - .offset:         3400
        .size:           2
        .value_kind:     hidden_group_size_z
      - .offset:         3402
        .size:           2
        .value_kind:     hidden_remainder_x
      - .offset:         3404
        .size:           2
        .value_kind:     hidden_remainder_y
      - .offset:         3406
        .size:           2
        .value_kind:     hidden_remainder_z
      - .offset:         3424
        .size:           8
        .value_kind:     hidden_global_offset_x
      - .offset:         3432
        .size:           8
        .value_kind:     hidden_global_offset_y
      - .offset:         3440
        .size:           8
        .value_kind:     hidden_global_offset_z
      - .offset:         3448
        .size:           2
        .value_kind:     hidden_grid_dims
    .group_segment_fixed_size: 0
    .kernarg_segment_align: 8
    .kernarg_segment_size: 3640
    .language:       OpenCL C
    .language_version:
      - 2
      - 0
    .max_flat_workgroup_size: 512
    .name:           _ZN2at6native12_GLOBAL__N_125multi_tensor_apply_kernelINS1_18TensorListMetadataILi1EEENS1_14UnaryOpFunctorIdLi1ELi1ELi0EEEJNS0_10ReciprocalIdEEEEEvT_T0_DpT1_
    .private_segment_fixed_size: 0
    .sgpr_count:     25
    .sgpr_spill_count: 0
    .symbol:         _ZN2at6native12_GLOBAL__N_125multi_tensor_apply_kernelINS1_18TensorListMetadataILi1EEENS1_14UnaryOpFunctorIdLi1ELi1ELi0EEEJNS0_10ReciprocalIdEEEEEvT_T0_DpT1_.kd
    .uniform_work_group_size: 1
    .uses_dynamic_stack: false
    .vgpr_count:     45
    .vgpr_spill_count: 0
    .wavefront_size: 32
    .workgroup_processor_mode: 1
  - .args:
      - .offset:         0
        .size:           3368
        .value_kind:     by_value
      - .offset:         3368
        .size:           1
        .value_kind:     by_value
      - .offset:         3372
        .size:           4
        .value_kind:     by_value
      - .offset:         3376
        .size:           4
        .value_kind:     hidden_block_count_x
      - .offset:         3380
        .size:           4
        .value_kind:     hidden_block_count_y
      - .offset:         3384
        .size:           4
        .value_kind:     hidden_block_count_z
      - .offset:         3388
        .size:           2
        .value_kind:     hidden_group_size_x
      - .offset:         3390
        .size:           2
        .value_kind:     hidden_group_size_y
      - .offset:         3392
        .size:           2
        .value_kind:     hidden_group_size_z
      - .offset:         3394
        .size:           2
        .value_kind:     hidden_remainder_x
      - .offset:         3396
        .size:           2
        .value_kind:     hidden_remainder_y
      - .offset:         3398
        .size:           2
        .value_kind:     hidden_remainder_z
      - .offset:         3416
        .size:           8
        .value_kind:     hidden_global_offset_x
      - .offset:         3424
        .size:           8
        .value_kind:     hidden_global_offset_y
      - .offset:         3432
        .size:           8
        .value_kind:     hidden_global_offset_z
      - .offset:         3440
        .size:           2
        .value_kind:     hidden_grid_dims
    .group_segment_fixed_size: 0
    .kernarg_segment_align: 8
    .kernarg_segment_size: 3632
    .language:       OpenCL C
    .language_version:
      - 2
      - 0
    .max_flat_workgroup_size: 512
    .name:           _ZN2at6native12_GLOBAL__N_125multi_tensor_apply_kernelINS1_18TensorListMetadataILi1EEENS1_14UnaryOpFunctorIfLi1ELi1ELi0EEEJNS0_10ReciprocalIfEEEEEvT_T0_DpT1_
    .private_segment_fixed_size: 0
    .sgpr_count:     24
    .sgpr_spill_count: 0
    .symbol:         _ZN2at6native12_GLOBAL__N_125multi_tensor_apply_kernelINS1_18TensorListMetadataILi1EEENS1_14UnaryOpFunctorIfLi1ELi1ELi0EEEJNS0_10ReciprocalIfEEEEEvT_T0_DpT1_.kd
    .uniform_work_group_size: 1
    .uses_dynamic_stack: false
    .vgpr_count:     28
    .vgpr_spill_count: 0
    .wavefront_size: 32
    .workgroup_processor_mode: 1
  - .args:
      - .offset:         0
        .size:           3368
        .value_kind:     by_value
      - .offset:         3368
        .size:           1
        .value_kind:     by_value
      - .offset:         3376
        .size:           16
        .value_kind:     by_value
      - .offset:         3392
        .size:           4
        .value_kind:     hidden_block_count_x
      - .offset:         3396
        .size:           4
        .value_kind:     hidden_block_count_y
      - .offset:         3400
        .size:           4
        .value_kind:     hidden_block_count_z
      - .offset:         3404
        .size:           2
        .value_kind:     hidden_group_size_x
      - .offset:         3406
        .size:           2
        .value_kind:     hidden_group_size_y
      - .offset:         3408
        .size:           2
        .value_kind:     hidden_group_size_z
      - .offset:         3410
        .size:           2
        .value_kind:     hidden_remainder_x
      - .offset:         3412
        .size:           2
        .value_kind:     hidden_remainder_y
      - .offset:         3414
        .size:           2
        .value_kind:     hidden_remainder_z
      - .offset:         3432
        .size:           8
        .value_kind:     hidden_global_offset_x
      - .offset:         3440
        .size:           8
        .value_kind:     hidden_global_offset_y
      - .offset:         3448
        .size:           8
        .value_kind:     hidden_global_offset_z
      - .offset:         3456
        .size:           2
        .value_kind:     hidden_grid_dims
    .group_segment_fixed_size: 0
    .kernarg_segment_align: 16
    .kernarg_segment_size: 3648
    .language:       OpenCL C
    .language_version:
      - 2
      - 0
    .max_flat_workgroup_size: 512
    .name:           _ZN2at6native12_GLOBAL__N_125multi_tensor_apply_kernelINS1_18TensorListMetadataILi1EEENS1_14UnaryOpFunctorIN3c107complexIdEELi1ELi1ELi0EEEJNS0_10ReciprocalIS8_EEEEEvT_T0_DpT1_
    .private_segment_fixed_size: 0
    .sgpr_count:     29
    .sgpr_spill_count: 0
    .symbol:         _ZN2at6native12_GLOBAL__N_125multi_tensor_apply_kernelINS1_18TensorListMetadataILi1EEENS1_14UnaryOpFunctorIN3c107complexIdEELi1ELi1ELi0EEEJNS0_10ReciprocalIS8_EEEEEvT_T0_DpT1_.kd
    .uniform_work_group_size: 1
    .uses_dynamic_stack: false
    .vgpr_count:     45
    .vgpr_spill_count: 0
    .wavefront_size: 32
    .workgroup_processor_mode: 1
  - .args:
      - .offset:         0
        .size:           3368
        .value_kind:     by_value
      - .offset:         3368
        .size:           1
        .value_kind:     by_value
      - .offset:         3376
        .size:           8
        .value_kind:     by_value
      - .offset:         3384
        .size:           4
        .value_kind:     hidden_block_count_x
      - .offset:         3388
        .size:           4
        .value_kind:     hidden_block_count_y
      - .offset:         3392
        .size:           4
        .value_kind:     hidden_block_count_z
      - .offset:         3396
        .size:           2
        .value_kind:     hidden_group_size_x
      - .offset:         3398
        .size:           2
        .value_kind:     hidden_group_size_y
      - .offset:         3400
        .size:           2
        .value_kind:     hidden_group_size_z
      - .offset:         3402
        .size:           2
        .value_kind:     hidden_remainder_x
      - .offset:         3404
        .size:           2
        .value_kind:     hidden_remainder_y
      - .offset:         3406
        .size:           2
        .value_kind:     hidden_remainder_z
      - .offset:         3424
        .size:           8
        .value_kind:     hidden_global_offset_x
      - .offset:         3432
        .size:           8
        .value_kind:     hidden_global_offset_y
      - .offset:         3440
        .size:           8
        .value_kind:     hidden_global_offset_z
      - .offset:         3448
        .size:           2
        .value_kind:     hidden_grid_dims
    .group_segment_fixed_size: 0
    .kernarg_segment_align: 8
    .kernarg_segment_size: 3640
    .language:       OpenCL C
    .language_version:
      - 2
      - 0
    .max_flat_workgroup_size: 512
    .name:           _ZN2at6native12_GLOBAL__N_125multi_tensor_apply_kernelINS1_18TensorListMetadataILi1EEENS1_14UnaryOpFunctorIN3c107complexIfEELi1ELi1ELi0EEEJNS0_10ReciprocalIS8_EEEEEvT_T0_DpT1_
    .private_segment_fixed_size: 0
    .sgpr_count:     27
    .sgpr_spill_count: 0
    .symbol:         _ZN2at6native12_GLOBAL__N_125multi_tensor_apply_kernelINS1_18TensorListMetadataILi1EEENS1_14UnaryOpFunctorIN3c107complexIfEELi1ELi1ELi0EEEJNS0_10ReciprocalIS8_EEEEEvT_T0_DpT1_.kd
    .uniform_work_group_size: 1
    .uses_dynamic_stack: false
    .vgpr_count:     31
    .vgpr_spill_count: 0
    .wavefront_size: 32
    .workgroup_processor_mode: 1
  - .args:
      - .offset:         0
        .size:           3368
        .value_kind:     by_value
      - .offset:         3368
        .size:           1
        .value_kind:     by_value
      - .offset:         3372
        .size:           4
        .value_kind:     by_value
      - .offset:         3376
        .size:           4
        .value_kind:     hidden_block_count_x
      - .offset:         3380
        .size:           4
        .value_kind:     hidden_block_count_y
      - .offset:         3384
        .size:           4
        .value_kind:     hidden_block_count_z
      - .offset:         3388
        .size:           2
        .value_kind:     hidden_group_size_x
      - .offset:         3390
        .size:           2
        .value_kind:     hidden_group_size_y
      - .offset:         3392
        .size:           2
        .value_kind:     hidden_group_size_z
      - .offset:         3394
        .size:           2
        .value_kind:     hidden_remainder_x
      - .offset:         3396
        .size:           2
        .value_kind:     hidden_remainder_y
      - .offset:         3398
        .size:           2
        .value_kind:     hidden_remainder_z
      - .offset:         3416
        .size:           8
        .value_kind:     hidden_global_offset_x
      - .offset:         3424
        .size:           8
        .value_kind:     hidden_global_offset_y
      - .offset:         3432
        .size:           8
        .value_kind:     hidden_global_offset_z
      - .offset:         3440
        .size:           2
        .value_kind:     hidden_grid_dims
    .group_segment_fixed_size: 0
    .kernarg_segment_align: 8
    .kernarg_segment_size: 3632
    .language:       OpenCL C
    .language_version:
      - 2
      - 0
    .max_flat_workgroup_size: 512
    .name:           _ZN2at6native12_GLOBAL__N_125multi_tensor_apply_kernelINS1_18TensorListMetadataILi1EEENS1_14UnaryOpFunctorIN3c104HalfELi1ELi1ELi0EEEJNS0_10ReciprocalIfEEEEEvT_T0_DpT1_
    .private_segment_fixed_size: 0
    .sgpr_count:     23
    .sgpr_spill_count: 0
    .symbol:         _ZN2at6native12_GLOBAL__N_125multi_tensor_apply_kernelINS1_18TensorListMetadataILi1EEENS1_14UnaryOpFunctorIN3c104HalfELi1ELi1ELi0EEEJNS0_10ReciprocalIfEEEEEvT_T0_DpT1_.kd
    .uniform_work_group_size: 1
    .uses_dynamic_stack: false
    .vgpr_count:     27
    .vgpr_spill_count: 0
    .wavefront_size: 32
    .workgroup_processor_mode: 1
  - .args:
      - .offset:         0
        .size:           3368
        .value_kind:     by_value
      - .offset:         3368
        .size:           1
        .value_kind:     by_value
      - .offset:         3372
        .size:           4
        .value_kind:     by_value
      - .offset:         3376
        .size:           4
        .value_kind:     hidden_block_count_x
      - .offset:         3380
        .size:           4
        .value_kind:     hidden_block_count_y
      - .offset:         3384
        .size:           4
        .value_kind:     hidden_block_count_z
      - .offset:         3388
        .size:           2
        .value_kind:     hidden_group_size_x
      - .offset:         3390
        .size:           2
        .value_kind:     hidden_group_size_y
      - .offset:         3392
        .size:           2
        .value_kind:     hidden_group_size_z
      - .offset:         3394
        .size:           2
        .value_kind:     hidden_remainder_x
      - .offset:         3396
        .size:           2
        .value_kind:     hidden_remainder_y
      - .offset:         3398
        .size:           2
        .value_kind:     hidden_remainder_z
      - .offset:         3416
        .size:           8
        .value_kind:     hidden_global_offset_x
      - .offset:         3424
        .size:           8
        .value_kind:     hidden_global_offset_y
      - .offset:         3432
        .size:           8
        .value_kind:     hidden_global_offset_z
      - .offset:         3440
        .size:           2
        .value_kind:     hidden_grid_dims
    .group_segment_fixed_size: 0
    .kernarg_segment_align: 8
    .kernarg_segment_size: 3632
    .language:       OpenCL C
    .language_version:
      - 2
      - 0
    .max_flat_workgroup_size: 512
    .name:           _ZN2at6native12_GLOBAL__N_125multi_tensor_apply_kernelINS1_18TensorListMetadataILi1EEENS1_14UnaryOpFunctorIN3c108BFloat16ELi1ELi1ELi0EEEJNS0_10ReciprocalIfEEEEEvT_T0_DpT1_
    .private_segment_fixed_size: 0
    .sgpr_count:     23
    .sgpr_spill_count: 0
    .symbol:         _ZN2at6native12_GLOBAL__N_125multi_tensor_apply_kernelINS1_18TensorListMetadataILi1EEENS1_14UnaryOpFunctorIN3c108BFloat16ELi1ELi1ELi0EEEJNS0_10ReciprocalIfEEEEEvT_T0_DpT1_.kd
    .uniform_work_group_size: 1
    .uses_dynamic_stack: false
    .vgpr_count:     27
    .vgpr_spill_count: 0
    .wavefront_size: 32
    .workgroup_processor_mode: 1
  - .args:
      - .offset:         0
        .size:           3144
        .value_kind:     by_value
      - .offset:         3144
        .size:           1
        .value_kind:     by_value
      - .offset:         3145
        .size:           1
        .value_kind:     by_value
      - .offset:         3152
        .size:           4
        .value_kind:     hidden_block_count_x
      - .offset:         3156
        .size:           4
        .value_kind:     hidden_block_count_y
      - .offset:         3160
        .size:           4
        .value_kind:     hidden_block_count_z
      - .offset:         3164
        .size:           2
        .value_kind:     hidden_group_size_x
      - .offset:         3166
        .size:           2
        .value_kind:     hidden_group_size_y
      - .offset:         3168
        .size:           2
        .value_kind:     hidden_group_size_z
      - .offset:         3170
        .size:           2
        .value_kind:     hidden_remainder_x
      - .offset:         3172
        .size:           2
        .value_kind:     hidden_remainder_y
      - .offset:         3174
        .size:           2
        .value_kind:     hidden_remainder_z
      - .offset:         3192
        .size:           8
        .value_kind:     hidden_global_offset_x
      - .offset:         3200
        .size:           8
        .value_kind:     hidden_global_offset_y
      - .offset:         3208
        .size:           8
        .value_kind:     hidden_global_offset_z
      - .offset:         3216
        .size:           2
        .value_kind:     hidden_grid_dims
    .group_segment_fixed_size: 0
    .kernarg_segment_align: 8
    .kernarg_segment_size: 3408
    .language:       OpenCL C
    .language_version:
      - 2
      - 0
    .max_flat_workgroup_size: 512
    .name:           _ZN2at6native12_GLOBAL__N_125multi_tensor_apply_kernelINS1_18TensorListMetadataILi2EEENS1_14UnaryOpFunctorIdLi2ELi1ELi1EEEJNS0_4SignIdEEEEEvT_T0_DpT1_
    .private_segment_fixed_size: 0
    .sgpr_count:     26
    .sgpr_spill_count: 0
    .symbol:         _ZN2at6native12_GLOBAL__N_125multi_tensor_apply_kernelINS1_18TensorListMetadataILi2EEENS1_14UnaryOpFunctorIdLi2ELi1ELi1EEEJNS0_4SignIdEEEEEvT_T0_DpT1_.kd
    .uniform_work_group_size: 1
    .uses_dynamic_stack: false
    .vgpr_count:     33
    .vgpr_spill_count: 0
    .wavefront_size: 32
    .workgroup_processor_mode: 1
  - .args:
      - .offset:         0
        .size:           3144
        .value_kind:     by_value
      - .offset:         3144
        .size:           1
        .value_kind:     by_value
      - .offset:         3145
        .size:           1
        .value_kind:     by_value
      - .offset:         3152
        .size:           4
        .value_kind:     hidden_block_count_x
      - .offset:         3156
        .size:           4
        .value_kind:     hidden_block_count_y
      - .offset:         3160
        .size:           4
        .value_kind:     hidden_block_count_z
      - .offset:         3164
        .size:           2
        .value_kind:     hidden_group_size_x
      - .offset:         3166
        .size:           2
        .value_kind:     hidden_group_size_y
      - .offset:         3168
        .size:           2
        .value_kind:     hidden_group_size_z
      - .offset:         3170
        .size:           2
        .value_kind:     hidden_remainder_x
      - .offset:         3172
        .size:           2
        .value_kind:     hidden_remainder_y
      - .offset:         3174
        .size:           2
        .value_kind:     hidden_remainder_z
      - .offset:         3192
        .size:           8
        .value_kind:     hidden_global_offset_x
      - .offset:         3200
        .size:           8
        .value_kind:     hidden_global_offset_y
      - .offset:         3208
        .size:           8
        .value_kind:     hidden_global_offset_z
      - .offset:         3216
        .size:           2
        .value_kind:     hidden_grid_dims
    .group_segment_fixed_size: 0
    .kernarg_segment_align: 8
    .kernarg_segment_size: 3408
    .language:       OpenCL C
    .language_version:
      - 2
      - 0
    .max_flat_workgroup_size: 512
    .name:           _ZN2at6native12_GLOBAL__N_125multi_tensor_apply_kernelINS1_18TensorListMetadataILi2EEENS1_14UnaryOpFunctorIfLi2ELi1ELi1EEEJNS0_4SignIfEEEEEvT_T0_DpT1_
    .private_segment_fixed_size: 0
    .sgpr_count:     26
    .sgpr_spill_count: 0
    .symbol:         _ZN2at6native12_GLOBAL__N_125multi_tensor_apply_kernelINS1_18TensorListMetadataILi2EEENS1_14UnaryOpFunctorIfLi2ELi1ELi1EEEJNS0_4SignIfEEEEEvT_T0_DpT1_.kd
    .uniform_work_group_size: 1
    .uses_dynamic_stack: false
    .vgpr_count:     29
    .vgpr_spill_count: 0
    .wavefront_size: 32
    .workgroup_processor_mode: 1
  - .args:
      - .offset:         0
        .size:           3144
        .value_kind:     by_value
      - .offset:         3144
        .size:           1
        .value_kind:     by_value
      - .offset:         3145
        .size:           1
        .value_kind:     by_value
      - .offset:         3152
        .size:           4
        .value_kind:     hidden_block_count_x
      - .offset:         3156
        .size:           4
        .value_kind:     hidden_block_count_y
      - .offset:         3160
        .size:           4
        .value_kind:     hidden_block_count_z
      - .offset:         3164
        .size:           2
        .value_kind:     hidden_group_size_x
      - .offset:         3166
        .size:           2
        .value_kind:     hidden_group_size_y
      - .offset:         3168
        .size:           2
        .value_kind:     hidden_group_size_z
      - .offset:         3170
        .size:           2
        .value_kind:     hidden_remainder_x
      - .offset:         3172
        .size:           2
        .value_kind:     hidden_remainder_y
      - .offset:         3174
        .size:           2
        .value_kind:     hidden_remainder_z
      - .offset:         3192
        .size:           8
        .value_kind:     hidden_global_offset_x
      - .offset:         3200
        .size:           8
        .value_kind:     hidden_global_offset_y
      - .offset:         3208
        .size:           8
        .value_kind:     hidden_global_offset_z
      - .offset:         3216
        .size:           2
        .value_kind:     hidden_grid_dims
    .group_segment_fixed_size: 0
    .kernarg_segment_align: 8
    .kernarg_segment_size: 3408
    .language:       OpenCL C
    .language_version:
      - 2
      - 0
    .max_flat_workgroup_size: 512
    .name:           _ZN2at6native12_GLOBAL__N_125multi_tensor_apply_kernelINS1_18TensorListMetadataILi2EEENS1_14UnaryOpFunctorIN3c104HalfELi2ELi1ELi1EEEJNS0_4SignIfEEEEEvT_T0_DpT1_
    .private_segment_fixed_size: 0
    .sgpr_count:     24
    .sgpr_spill_count: 0
    .symbol:         _ZN2at6native12_GLOBAL__N_125multi_tensor_apply_kernelINS1_18TensorListMetadataILi2EEENS1_14UnaryOpFunctorIN3c104HalfELi2ELi1ELi1EEEJNS0_4SignIfEEEEEvT_T0_DpT1_.kd
    .uniform_work_group_size: 1
    .uses_dynamic_stack: false
    .vgpr_count:     29
    .vgpr_spill_count: 0
    .wavefront_size: 32
    .workgroup_processor_mode: 1
  - .args:
      - .offset:         0
        .size:           3144
        .value_kind:     by_value
      - .offset:         3144
        .size:           1
        .value_kind:     by_value
      - .offset:         3145
        .size:           1
        .value_kind:     by_value
      - .offset:         3152
        .size:           4
        .value_kind:     hidden_block_count_x
      - .offset:         3156
        .size:           4
        .value_kind:     hidden_block_count_y
      - .offset:         3160
        .size:           4
        .value_kind:     hidden_block_count_z
      - .offset:         3164
        .size:           2
        .value_kind:     hidden_group_size_x
      - .offset:         3166
        .size:           2
        .value_kind:     hidden_group_size_y
      - .offset:         3168
        .size:           2
        .value_kind:     hidden_group_size_z
      - .offset:         3170
        .size:           2
        .value_kind:     hidden_remainder_x
      - .offset:         3172
        .size:           2
        .value_kind:     hidden_remainder_y
      - .offset:         3174
        .size:           2
        .value_kind:     hidden_remainder_z
      - .offset:         3192
        .size:           8
        .value_kind:     hidden_global_offset_x
      - .offset:         3200
        .size:           8
        .value_kind:     hidden_global_offset_y
      - .offset:         3208
        .size:           8
        .value_kind:     hidden_global_offset_z
      - .offset:         3216
        .size:           2
        .value_kind:     hidden_grid_dims
    .group_segment_fixed_size: 0
    .kernarg_segment_align: 8
    .kernarg_segment_size: 3408
    .language:       OpenCL C
    .language_version:
      - 2
      - 0
    .max_flat_workgroup_size: 512
    .name:           _ZN2at6native12_GLOBAL__N_125multi_tensor_apply_kernelINS1_18TensorListMetadataILi2EEENS1_14UnaryOpFunctorIN3c108BFloat16ELi2ELi1ELi1EEEJNS0_4SignIfEEEEEvT_T0_DpT1_
    .private_segment_fixed_size: 0
    .sgpr_count:     20
    .sgpr_spill_count: 0
    .symbol:         _ZN2at6native12_GLOBAL__N_125multi_tensor_apply_kernelINS1_18TensorListMetadataILi2EEENS1_14UnaryOpFunctorIN3c108BFloat16ELi2ELi1ELi1EEEJNS0_4SignIfEEEEEvT_T0_DpT1_.kd
    .uniform_work_group_size: 1
    .uses_dynamic_stack: false
    .vgpr_count:     29
    .vgpr_spill_count: 0
    .wavefront_size: 32
    .workgroup_processor_mode: 1
  - .args:
      - .offset:         0
        .size:           3368
        .value_kind:     by_value
      - .offset:         3368
        .size:           1
        .value_kind:     by_value
      - .offset:         3369
        .size:           1
        .value_kind:     by_value
      - .offset:         3376
        .size:           4
        .value_kind:     hidden_block_count_x
      - .offset:         3380
        .size:           4
        .value_kind:     hidden_block_count_y
      - .offset:         3384
        .size:           4
        .value_kind:     hidden_block_count_z
      - .offset:         3388
        .size:           2
        .value_kind:     hidden_group_size_x
      - .offset:         3390
        .size:           2
        .value_kind:     hidden_group_size_y
      - .offset:         3392
        .size:           2
        .value_kind:     hidden_group_size_z
      - .offset:         3394
        .size:           2
        .value_kind:     hidden_remainder_x
      - .offset:         3396
        .size:           2
        .value_kind:     hidden_remainder_y
      - .offset:         3398
        .size:           2
        .value_kind:     hidden_remainder_z
      - .offset:         3416
        .size:           8
        .value_kind:     hidden_global_offset_x
      - .offset:         3424
        .size:           8
        .value_kind:     hidden_global_offset_y
      - .offset:         3432
        .size:           8
        .value_kind:     hidden_global_offset_z
      - .offset:         3440
        .size:           2
        .value_kind:     hidden_grid_dims
    .group_segment_fixed_size: 0
    .kernarg_segment_align: 8
    .kernarg_segment_size: 3632
    .language:       OpenCL C
    .language_version:
      - 2
      - 0
    .max_flat_workgroup_size: 512
    .name:           _ZN2at6native12_GLOBAL__N_125multi_tensor_apply_kernelINS1_18TensorListMetadataILi1EEENS1_14UnaryOpFunctorIdLi1ELi1ELi0EEEJNS0_4SignIdEEEEEvT_T0_DpT1_
    .private_segment_fixed_size: 0
    .sgpr_count:     23
    .sgpr_spill_count: 0
    .symbol:         _ZN2at6native12_GLOBAL__N_125multi_tensor_apply_kernelINS1_18TensorListMetadataILi1EEENS1_14UnaryOpFunctorIdLi1ELi1ELi0EEEJNS0_4SignIdEEEEEvT_T0_DpT1_.kd
    .uniform_work_group_size: 1
    .uses_dynamic_stack: false
    .vgpr_count:     21
    .vgpr_spill_count: 0
    .wavefront_size: 32
    .workgroup_processor_mode: 1
  - .args:
      - .offset:         0
        .size:           3368
        .value_kind:     by_value
      - .offset:         3368
        .size:           1
        .value_kind:     by_value
      - .offset:         3369
        .size:           1
        .value_kind:     by_value
      - .offset:         3376
        .size:           4
        .value_kind:     hidden_block_count_x
      - .offset:         3380
        .size:           4
        .value_kind:     hidden_block_count_y
      - .offset:         3384
        .size:           4
        .value_kind:     hidden_block_count_z
      - .offset:         3388
        .size:           2
        .value_kind:     hidden_group_size_x
      - .offset:         3390
        .size:           2
        .value_kind:     hidden_group_size_y
      - .offset:         3392
        .size:           2
        .value_kind:     hidden_group_size_z
      - .offset:         3394
        .size:           2
        .value_kind:     hidden_remainder_x
      - .offset:         3396
        .size:           2
        .value_kind:     hidden_remainder_y
      - .offset:         3398
        .size:           2
        .value_kind:     hidden_remainder_z
      - .offset:         3416
        .size:           8
        .value_kind:     hidden_global_offset_x
      - .offset:         3424
        .size:           8
        .value_kind:     hidden_global_offset_y
      - .offset:         3432
        .size:           8
        .value_kind:     hidden_global_offset_z
      - .offset:         3440
        .size:           2
        .value_kind:     hidden_grid_dims
    .group_segment_fixed_size: 0
    .kernarg_segment_align: 8
    .kernarg_segment_size: 3632
    .language:       OpenCL C
    .language_version:
      - 2
      - 0
    .max_flat_workgroup_size: 512
    .name:           _ZN2at6native12_GLOBAL__N_125multi_tensor_apply_kernelINS1_18TensorListMetadataILi1EEENS1_14UnaryOpFunctorIfLi1ELi1ELi0EEEJNS0_4SignIfEEEEEvT_T0_DpT1_
    .private_segment_fixed_size: 0
    .sgpr_count:     23
    .sgpr_spill_count: 0
    .symbol:         _ZN2at6native12_GLOBAL__N_125multi_tensor_apply_kernelINS1_18TensorListMetadataILi1EEENS1_14UnaryOpFunctorIfLi1ELi1ELi0EEEJNS0_4SignIfEEEEEvT_T0_DpT1_.kd
    .uniform_work_group_size: 1
    .uses_dynamic_stack: false
    .vgpr_count:     17
    .vgpr_spill_count: 0
    .wavefront_size: 32
    .workgroup_processor_mode: 1
  - .args:
      - .offset:         0
        .size:           3368
        .value_kind:     by_value
      - .offset:         3368
        .size:           1
        .value_kind:     by_value
      - .offset:         3369
        .size:           1
        .value_kind:     by_value
      - .offset:         3376
        .size:           4
        .value_kind:     hidden_block_count_x
      - .offset:         3380
        .size:           4
        .value_kind:     hidden_block_count_y
      - .offset:         3384
        .size:           4
        .value_kind:     hidden_block_count_z
      - .offset:         3388
        .size:           2
        .value_kind:     hidden_group_size_x
      - .offset:         3390
        .size:           2
        .value_kind:     hidden_group_size_y
      - .offset:         3392
        .size:           2
        .value_kind:     hidden_group_size_z
      - .offset:         3394
        .size:           2
        .value_kind:     hidden_remainder_x
      - .offset:         3396
        .size:           2
        .value_kind:     hidden_remainder_y
      - .offset:         3398
        .size:           2
        .value_kind:     hidden_remainder_z
      - .offset:         3416
        .size:           8
        .value_kind:     hidden_global_offset_x
      - .offset:         3424
        .size:           8
        .value_kind:     hidden_global_offset_y
      - .offset:         3432
        .size:           8
        .value_kind:     hidden_global_offset_z
      - .offset:         3440
        .size:           2
        .value_kind:     hidden_grid_dims
    .group_segment_fixed_size: 0
    .kernarg_segment_align: 8
    .kernarg_segment_size: 3632
    .language:       OpenCL C
    .language_version:
      - 2
      - 0
    .max_flat_workgroup_size: 512
    .name:           _ZN2at6native12_GLOBAL__N_125multi_tensor_apply_kernelINS1_18TensorListMetadataILi1EEENS1_14UnaryOpFunctorIN3c104HalfELi1ELi1ELi0EEEJNS0_4SignIfEEEEEvT_T0_DpT1_
    .private_segment_fixed_size: 0
    .sgpr_count:     22
    .sgpr_spill_count: 0
    .symbol:         _ZN2at6native12_GLOBAL__N_125multi_tensor_apply_kernelINS1_18TensorListMetadataILi1EEENS1_14UnaryOpFunctorIN3c104HalfELi1ELi1ELi0EEEJNS0_4SignIfEEEEEvT_T0_DpT1_.kd
    .uniform_work_group_size: 1
    .uses_dynamic_stack: false
    .vgpr_count:     17
    .vgpr_spill_count: 0
    .wavefront_size: 32
    .workgroup_processor_mode: 1
  - .args:
      - .offset:         0
        .size:           3368
        .value_kind:     by_value
      - .offset:         3368
        .size:           1
        .value_kind:     by_value
      - .offset:         3369
        .size:           1
        .value_kind:     by_value
      - .offset:         3376
        .size:           4
        .value_kind:     hidden_block_count_x
      - .offset:         3380
        .size:           4
        .value_kind:     hidden_block_count_y
      - .offset:         3384
        .size:           4
        .value_kind:     hidden_block_count_z
      - .offset:         3388
        .size:           2
        .value_kind:     hidden_group_size_x
      - .offset:         3390
        .size:           2
        .value_kind:     hidden_group_size_y
      - .offset:         3392
        .size:           2
        .value_kind:     hidden_group_size_z
      - .offset:         3394
        .size:           2
        .value_kind:     hidden_remainder_x
      - .offset:         3396
        .size:           2
        .value_kind:     hidden_remainder_y
      - .offset:         3398
        .size:           2
        .value_kind:     hidden_remainder_z
      - .offset:         3416
        .size:           8
        .value_kind:     hidden_global_offset_x
      - .offset:         3424
        .size:           8
        .value_kind:     hidden_global_offset_y
      - .offset:         3432
        .size:           8
        .value_kind:     hidden_global_offset_z
      - .offset:         3440
        .size:           2
        .value_kind:     hidden_grid_dims
    .group_segment_fixed_size: 0
    .kernarg_segment_align: 8
    .kernarg_segment_size: 3632
    .language:       OpenCL C
    .language_version:
      - 2
      - 0
    .max_flat_workgroup_size: 512
    .name:           _ZN2at6native12_GLOBAL__N_125multi_tensor_apply_kernelINS1_18TensorListMetadataILi1EEENS1_14UnaryOpFunctorIN3c108BFloat16ELi1ELi1ELi0EEEJNS0_4SignIfEEEEEvT_T0_DpT1_
    .private_segment_fixed_size: 0
    .sgpr_count:     22
    .sgpr_spill_count: 0
    .symbol:         _ZN2at6native12_GLOBAL__N_125multi_tensor_apply_kernelINS1_18TensorListMetadataILi1EEENS1_14UnaryOpFunctorIN3c108BFloat16ELi1ELi1ELi0EEEJNS0_4SignIfEEEEEvT_T0_DpT1_.kd
    .uniform_work_group_size: 1
    .uses_dynamic_stack: false
    .vgpr_count:     17
    .vgpr_spill_count: 0
    .wavefront_size: 32
    .workgroup_processor_mode: 1
  - .args:
      - .offset:         0
        .size:           3144
        .value_kind:     by_value
      - .offset:         3144
        .size:           1
        .value_kind:     by_value
      - .offset:         3145
        .size:           1
        .value_kind:     by_value
      - .offset:         3152
        .size:           4
        .value_kind:     hidden_block_count_x
      - .offset:         3156
        .size:           4
        .value_kind:     hidden_block_count_y
      - .offset:         3160
        .size:           4
        .value_kind:     hidden_block_count_z
      - .offset:         3164
        .size:           2
        .value_kind:     hidden_group_size_x
      - .offset:         3166
        .size:           2
        .value_kind:     hidden_group_size_y
      - .offset:         3168
        .size:           2
        .value_kind:     hidden_group_size_z
      - .offset:         3170
        .size:           2
        .value_kind:     hidden_remainder_x
      - .offset:         3172
        .size:           2
        .value_kind:     hidden_remainder_y
      - .offset:         3174
        .size:           2
        .value_kind:     hidden_remainder_z
      - .offset:         3192
        .size:           8
        .value_kind:     hidden_global_offset_x
      - .offset:         3200
        .size:           8
        .value_kind:     hidden_global_offset_y
      - .offset:         3208
        .size:           8
        .value_kind:     hidden_global_offset_z
      - .offset:         3216
        .size:           2
        .value_kind:     hidden_grid_dims
    .group_segment_fixed_size: 0
    .kernarg_segment_align: 8
    .kernarg_segment_size: 3408
    .language:       OpenCL C
    .language_version:
      - 2
      - 0
    .max_flat_workgroup_size: 512
    .name:           _ZN2at6native12_GLOBAL__N_125multi_tensor_apply_kernelINS1_18TensorListMetadataILi2EEENS1_14UnaryOpFunctorIdLi2ELi1ELi1EEEJNS0_5RsqrtIdEEEEEvT_T0_DpT1_
    .private_segment_fixed_size: 0
    .sgpr_count:     26
    .sgpr_spill_count: 0
    .symbol:         _ZN2at6native12_GLOBAL__N_125multi_tensor_apply_kernelINS1_18TensorListMetadataILi2EEENS1_14UnaryOpFunctorIdLi2ELi1ELi1EEEJNS0_5RsqrtIdEEEEEvT_T0_DpT1_.kd
    .uniform_work_group_size: 1
    .uses_dynamic_stack: false
    .vgpr_count:     35
    .vgpr_spill_count: 0
    .wavefront_size: 32
    .workgroup_processor_mode: 1
  - .args:
      - .offset:         0
        .size:           3144
        .value_kind:     by_value
      - .offset:         3144
        .size:           1
        .value_kind:     by_value
      - .offset:         3145
        .size:           1
        .value_kind:     by_value
      - .offset:         3152
        .size:           4
        .value_kind:     hidden_block_count_x
      - .offset:         3156
        .size:           4
        .value_kind:     hidden_block_count_y
      - .offset:         3160
        .size:           4
        .value_kind:     hidden_block_count_z
      - .offset:         3164
        .size:           2
        .value_kind:     hidden_group_size_x
      - .offset:         3166
        .size:           2
        .value_kind:     hidden_group_size_y
      - .offset:         3168
        .size:           2
        .value_kind:     hidden_group_size_z
      - .offset:         3170
        .size:           2
        .value_kind:     hidden_remainder_x
      - .offset:         3172
        .size:           2
        .value_kind:     hidden_remainder_y
      - .offset:         3174
        .size:           2
        .value_kind:     hidden_remainder_z
      - .offset:         3192
        .size:           8
        .value_kind:     hidden_global_offset_x
      - .offset:         3200
        .size:           8
        .value_kind:     hidden_global_offset_y
      - .offset:         3208
        .size:           8
        .value_kind:     hidden_global_offset_z
      - .offset:         3216
        .size:           2
        .value_kind:     hidden_grid_dims
    .group_segment_fixed_size: 0
    .kernarg_segment_align: 8
    .kernarg_segment_size: 3408
    .language:       OpenCL C
    .language_version:
      - 2
      - 0
    .max_flat_workgroup_size: 512
    .name:           _ZN2at6native12_GLOBAL__N_125multi_tensor_apply_kernelINS1_18TensorListMetadataILi2EEENS1_14UnaryOpFunctorIfLi2ELi1ELi1EEEJNS0_5RsqrtIfEEEEEvT_T0_DpT1_
    .private_segment_fixed_size: 0
    .sgpr_count:     26
    .sgpr_spill_count: 0
    .symbol:         _ZN2at6native12_GLOBAL__N_125multi_tensor_apply_kernelINS1_18TensorListMetadataILi2EEENS1_14UnaryOpFunctorIfLi2ELi1ELi1EEEJNS0_5RsqrtIfEEEEEvT_T0_DpT1_.kd
    .uniform_work_group_size: 1
    .uses_dynamic_stack: false
    .vgpr_count:     30
    .vgpr_spill_count: 0
    .wavefront_size: 32
    .workgroup_processor_mode: 1
  - .args:
      - .offset:         0
        .size:           3144
        .value_kind:     by_value
      - .offset:         3144
        .size:           1
        .value_kind:     by_value
      - .offset:         3145
        .size:           1
        .value_kind:     by_value
      - .offset:         3152
        .size:           4
        .value_kind:     hidden_block_count_x
      - .offset:         3156
        .size:           4
        .value_kind:     hidden_block_count_y
      - .offset:         3160
        .size:           4
        .value_kind:     hidden_block_count_z
      - .offset:         3164
        .size:           2
        .value_kind:     hidden_group_size_x
      - .offset:         3166
        .size:           2
        .value_kind:     hidden_group_size_y
      - .offset:         3168
        .size:           2
        .value_kind:     hidden_group_size_z
      - .offset:         3170
        .size:           2
        .value_kind:     hidden_remainder_x
      - .offset:         3172
        .size:           2
        .value_kind:     hidden_remainder_y
      - .offset:         3174
        .size:           2
        .value_kind:     hidden_remainder_z
      - .offset:         3192
        .size:           8
        .value_kind:     hidden_global_offset_x
      - .offset:         3200
        .size:           8
        .value_kind:     hidden_global_offset_y
      - .offset:         3208
        .size:           8
        .value_kind:     hidden_global_offset_z
      - .offset:         3216
        .size:           2
        .value_kind:     hidden_grid_dims
    .group_segment_fixed_size: 0
    .kernarg_segment_align: 8
    .kernarg_segment_size: 3408
    .language:       OpenCL C
    .language_version:
      - 2
      - 0
    .max_flat_workgroup_size: 512
    .name:           _ZN2at6native12_GLOBAL__N_125multi_tensor_apply_kernelINS1_18TensorListMetadataILi2EEENS1_14UnaryOpFunctorIN3c107complexIdEELi2ELi1ELi1EEEJNS0_5RsqrtIS8_EEEEEvT_T0_DpT1_
    .private_segment_fixed_size: 0
    .sgpr_count:     33
    .sgpr_spill_count: 0
    .symbol:         _ZN2at6native12_GLOBAL__N_125multi_tensor_apply_kernelINS1_18TensorListMetadataILi2EEENS1_14UnaryOpFunctorIN3c107complexIdEELi2ELi1ELi1EEEJNS0_5RsqrtIS8_EEEEEvT_T0_DpT1_.kd
    .uniform_work_group_size: 1
    .uses_dynamic_stack: false
    .vgpr_count:     50
    .vgpr_spill_count: 0
    .wavefront_size: 32
    .workgroup_processor_mode: 1
  - .args:
      - .offset:         0
        .size:           3144
        .value_kind:     by_value
      - .offset:         3144
        .size:           1
        .value_kind:     by_value
      - .offset:         3145
        .size:           1
        .value_kind:     by_value
      - .offset:         3152
        .size:           4
        .value_kind:     hidden_block_count_x
      - .offset:         3156
        .size:           4
        .value_kind:     hidden_block_count_y
      - .offset:         3160
        .size:           4
        .value_kind:     hidden_block_count_z
      - .offset:         3164
        .size:           2
        .value_kind:     hidden_group_size_x
      - .offset:         3166
        .size:           2
        .value_kind:     hidden_group_size_y
      - .offset:         3168
        .size:           2
        .value_kind:     hidden_group_size_z
      - .offset:         3170
        .size:           2
        .value_kind:     hidden_remainder_x
      - .offset:         3172
        .size:           2
        .value_kind:     hidden_remainder_y
      - .offset:         3174
        .size:           2
        .value_kind:     hidden_remainder_z
      - .offset:         3192
        .size:           8
        .value_kind:     hidden_global_offset_x
      - .offset:         3200
        .size:           8
        .value_kind:     hidden_global_offset_y
      - .offset:         3208
        .size:           8
        .value_kind:     hidden_global_offset_z
      - .offset:         3216
        .size:           2
        .value_kind:     hidden_grid_dims
    .group_segment_fixed_size: 0
    .kernarg_segment_align: 8
    .kernarg_segment_size: 3408
    .language:       OpenCL C
    .language_version:
      - 2
      - 0
    .max_flat_workgroup_size: 512
    .name:           _ZN2at6native12_GLOBAL__N_125multi_tensor_apply_kernelINS1_18TensorListMetadataILi2EEENS1_14UnaryOpFunctorIN3c107complexIfEELi2ELi1ELi1EEEJNS0_5RsqrtIS8_EEEEEvT_T0_DpT1_
    .private_segment_fixed_size: 0
    .sgpr_count:     29
    .sgpr_spill_count: 0
    .symbol:         _ZN2at6native12_GLOBAL__N_125multi_tensor_apply_kernelINS1_18TensorListMetadataILi2EEENS1_14UnaryOpFunctorIN3c107complexIfEELi2ELi1ELi1EEEJNS0_5RsqrtIS8_EEEEEvT_T0_DpT1_.kd
    .uniform_work_group_size: 1
    .uses_dynamic_stack: false
    .vgpr_count:     36
    .vgpr_spill_count: 0
    .wavefront_size: 32
    .workgroup_processor_mode: 1
  - .args:
      - .offset:         0
        .size:           3144
        .value_kind:     by_value
      - .offset:         3144
        .size:           1
        .value_kind:     by_value
      - .offset:         3145
        .size:           1
        .value_kind:     by_value
      - .offset:         3152
        .size:           4
        .value_kind:     hidden_block_count_x
      - .offset:         3156
        .size:           4
        .value_kind:     hidden_block_count_y
      - .offset:         3160
        .size:           4
        .value_kind:     hidden_block_count_z
      - .offset:         3164
        .size:           2
        .value_kind:     hidden_group_size_x
      - .offset:         3166
        .size:           2
        .value_kind:     hidden_group_size_y
      - .offset:         3168
        .size:           2
        .value_kind:     hidden_group_size_z
      - .offset:         3170
        .size:           2
        .value_kind:     hidden_remainder_x
      - .offset:         3172
        .size:           2
        .value_kind:     hidden_remainder_y
      - .offset:         3174
        .size:           2
        .value_kind:     hidden_remainder_z
      - .offset:         3192
        .size:           8
        .value_kind:     hidden_global_offset_x
      - .offset:         3200
        .size:           8
        .value_kind:     hidden_global_offset_y
      - .offset:         3208
        .size:           8
        .value_kind:     hidden_global_offset_z
      - .offset:         3216
        .size:           2
        .value_kind:     hidden_grid_dims
    .group_segment_fixed_size: 0
    .kernarg_segment_align: 8
    .kernarg_segment_size: 3408
    .language:       OpenCL C
    .language_version:
      - 2
      - 0
    .max_flat_workgroup_size: 512
    .name:           _ZN2at6native12_GLOBAL__N_125multi_tensor_apply_kernelINS1_18TensorListMetadataILi2EEENS1_14UnaryOpFunctorIN3c104HalfELi2ELi1ELi1EEEJNS0_5RsqrtIfEEEEEvT_T0_DpT1_
    .private_segment_fixed_size: 0
    .sgpr_count:     26
    .sgpr_spill_count: 0
    .symbol:         _ZN2at6native12_GLOBAL__N_125multi_tensor_apply_kernelINS1_18TensorListMetadataILi2EEENS1_14UnaryOpFunctorIN3c104HalfELi2ELi1ELi1EEEJNS0_5RsqrtIfEEEEEvT_T0_DpT1_.kd
    .uniform_work_group_size: 1
    .uses_dynamic_stack: false
    .vgpr_count:     29
    .vgpr_spill_count: 0
    .wavefront_size: 32
    .workgroup_processor_mode: 1
  - .args:
      - .offset:         0
        .size:           3144
        .value_kind:     by_value
      - .offset:         3144
        .size:           1
        .value_kind:     by_value
      - .offset:         3145
        .size:           1
        .value_kind:     by_value
      - .offset:         3152
        .size:           4
        .value_kind:     hidden_block_count_x
      - .offset:         3156
        .size:           4
        .value_kind:     hidden_block_count_y
      - .offset:         3160
        .size:           4
        .value_kind:     hidden_block_count_z
      - .offset:         3164
        .size:           2
        .value_kind:     hidden_group_size_x
      - .offset:         3166
        .size:           2
        .value_kind:     hidden_group_size_y
      - .offset:         3168
        .size:           2
        .value_kind:     hidden_group_size_z
      - .offset:         3170
        .size:           2
        .value_kind:     hidden_remainder_x
      - .offset:         3172
        .size:           2
        .value_kind:     hidden_remainder_y
      - .offset:         3174
        .size:           2
        .value_kind:     hidden_remainder_z
      - .offset:         3192
        .size:           8
        .value_kind:     hidden_global_offset_x
      - .offset:         3200
        .size:           8
        .value_kind:     hidden_global_offset_y
      - .offset:         3208
        .size:           8
        .value_kind:     hidden_global_offset_z
      - .offset:         3216
        .size:           2
        .value_kind:     hidden_grid_dims
    .group_segment_fixed_size: 0
    .kernarg_segment_align: 8
    .kernarg_segment_size: 3408
    .language:       OpenCL C
    .language_version:
      - 2
      - 0
    .max_flat_workgroup_size: 512
    .name:           _ZN2at6native12_GLOBAL__N_125multi_tensor_apply_kernelINS1_18TensorListMetadataILi2EEENS1_14UnaryOpFunctorIN3c108BFloat16ELi2ELi1ELi1EEEJNS0_5RsqrtIfEEEEEvT_T0_DpT1_
    .private_segment_fixed_size: 0
    .sgpr_count:     22
    .sgpr_spill_count: 0
    .symbol:         _ZN2at6native12_GLOBAL__N_125multi_tensor_apply_kernelINS1_18TensorListMetadataILi2EEENS1_14UnaryOpFunctorIN3c108BFloat16ELi2ELi1ELi1EEEJNS0_5RsqrtIfEEEEEvT_T0_DpT1_.kd
    .uniform_work_group_size: 1
    .uses_dynamic_stack: false
    .vgpr_count:     29
    .vgpr_spill_count: 0
    .wavefront_size: 32
    .workgroup_processor_mode: 1
  - .args:
      - .offset:         0
        .size:           3368
        .value_kind:     by_value
      - .offset:         3368
        .size:           1
        .value_kind:     by_value
      - .offset:         3369
        .size:           1
        .value_kind:     by_value
      - .offset:         3376
        .size:           4
        .value_kind:     hidden_block_count_x
      - .offset:         3380
        .size:           4
        .value_kind:     hidden_block_count_y
      - .offset:         3384
        .size:           4
        .value_kind:     hidden_block_count_z
      - .offset:         3388
        .size:           2
        .value_kind:     hidden_group_size_x
      - .offset:         3390
        .size:           2
        .value_kind:     hidden_group_size_y
      - .offset:         3392
        .size:           2
        .value_kind:     hidden_group_size_z
      - .offset:         3394
        .size:           2
        .value_kind:     hidden_remainder_x
      - .offset:         3396
        .size:           2
        .value_kind:     hidden_remainder_y
      - .offset:         3398
        .size:           2
        .value_kind:     hidden_remainder_z
      - .offset:         3416
        .size:           8
        .value_kind:     hidden_global_offset_x
      - .offset:         3424
        .size:           8
        .value_kind:     hidden_global_offset_y
      - .offset:         3432
        .size:           8
        .value_kind:     hidden_global_offset_z
      - .offset:         3440
        .size:           2
        .value_kind:     hidden_grid_dims
    .group_segment_fixed_size: 0
    .kernarg_segment_align: 8
    .kernarg_segment_size: 3632
    .language:       OpenCL C
    .language_version:
      - 2
      - 0
    .max_flat_workgroup_size: 512
    .name:           _ZN2at6native12_GLOBAL__N_125multi_tensor_apply_kernelINS1_18TensorListMetadataILi1EEENS1_14UnaryOpFunctorIdLi1ELi1ELi0EEEJNS0_5RsqrtIdEEEEEvT_T0_DpT1_
    .private_segment_fixed_size: 0
    .sgpr_count:     23
    .sgpr_spill_count: 0
    .symbol:         _ZN2at6native12_GLOBAL__N_125multi_tensor_apply_kernelINS1_18TensorListMetadataILi1EEENS1_14UnaryOpFunctorIdLi1ELi1ELi0EEEJNS0_5RsqrtIdEEEEEvT_T0_DpT1_.kd
    .uniform_work_group_size: 1
    .uses_dynamic_stack: false
    .vgpr_count:     29
    .vgpr_spill_count: 0
    .wavefront_size: 32
    .workgroup_processor_mode: 1
  - .args:
      - .offset:         0
        .size:           3368
        .value_kind:     by_value
      - .offset:         3368
        .size:           1
        .value_kind:     by_value
      - .offset:         3369
        .size:           1
        .value_kind:     by_value
      - .offset:         3376
        .size:           4
        .value_kind:     hidden_block_count_x
      - .offset:         3380
        .size:           4
        .value_kind:     hidden_block_count_y
      - .offset:         3384
        .size:           4
        .value_kind:     hidden_block_count_z
      - .offset:         3388
        .size:           2
        .value_kind:     hidden_group_size_x
      - .offset:         3390
        .size:           2
        .value_kind:     hidden_group_size_y
      - .offset:         3392
        .size:           2
        .value_kind:     hidden_group_size_z
      - .offset:         3394
        .size:           2
        .value_kind:     hidden_remainder_x
      - .offset:         3396
        .size:           2
        .value_kind:     hidden_remainder_y
      - .offset:         3398
        .size:           2
        .value_kind:     hidden_remainder_z
      - .offset:         3416
        .size:           8
        .value_kind:     hidden_global_offset_x
      - .offset:         3424
        .size:           8
        .value_kind:     hidden_global_offset_y
      - .offset:         3432
        .size:           8
        .value_kind:     hidden_global_offset_z
      - .offset:         3440
        .size:           2
        .value_kind:     hidden_grid_dims
    .group_segment_fixed_size: 0
    .kernarg_segment_align: 8
    .kernarg_segment_size: 3632
    .language:       OpenCL C
    .language_version:
      - 2
      - 0
    .max_flat_workgroup_size: 512
    .name:           _ZN2at6native12_GLOBAL__N_125multi_tensor_apply_kernelINS1_18TensorListMetadataILi1EEENS1_14UnaryOpFunctorIfLi1ELi1ELi0EEEJNS0_5RsqrtIfEEEEEvT_T0_DpT1_
    .private_segment_fixed_size: 0
    .sgpr_count:     23
    .sgpr_spill_count: 0
    .symbol:         _ZN2at6native12_GLOBAL__N_125multi_tensor_apply_kernelINS1_18TensorListMetadataILi1EEENS1_14UnaryOpFunctorIfLi1ELi1ELi0EEEJNS0_5RsqrtIfEEEEEvT_T0_DpT1_.kd
    .uniform_work_group_size: 1
    .uses_dynamic_stack: false
    .vgpr_count:     17
    .vgpr_spill_count: 0
    .wavefront_size: 32
    .workgroup_processor_mode: 1
  - .args:
      - .offset:         0
        .size:           3368
        .value_kind:     by_value
      - .offset:         3368
        .size:           1
        .value_kind:     by_value
      - .offset:         3369
        .size:           1
        .value_kind:     by_value
      - .offset:         3376
        .size:           4
        .value_kind:     hidden_block_count_x
      - .offset:         3380
        .size:           4
        .value_kind:     hidden_block_count_y
      - .offset:         3384
        .size:           4
        .value_kind:     hidden_block_count_z
      - .offset:         3388
        .size:           2
        .value_kind:     hidden_group_size_x
      - .offset:         3390
        .size:           2
        .value_kind:     hidden_group_size_y
      - .offset:         3392
        .size:           2
        .value_kind:     hidden_group_size_z
      - .offset:         3394
        .size:           2
        .value_kind:     hidden_remainder_x
      - .offset:         3396
        .size:           2
        .value_kind:     hidden_remainder_y
      - .offset:         3398
        .size:           2
        .value_kind:     hidden_remainder_z
      - .offset:         3416
        .size:           8
        .value_kind:     hidden_global_offset_x
      - .offset:         3424
        .size:           8
        .value_kind:     hidden_global_offset_y
      - .offset:         3432
        .size:           8
        .value_kind:     hidden_global_offset_z
      - .offset:         3440
        .size:           2
        .value_kind:     hidden_grid_dims
    .group_segment_fixed_size: 0
    .kernarg_segment_align: 8
    .kernarg_segment_size: 3632
    .language:       OpenCL C
    .language_version:
      - 2
      - 0
    .max_flat_workgroup_size: 512
    .name:           _ZN2at6native12_GLOBAL__N_125multi_tensor_apply_kernelINS1_18TensorListMetadataILi1EEENS1_14UnaryOpFunctorIN3c107complexIdEELi1ELi1ELi0EEEJNS0_5RsqrtIS8_EEEEEvT_T0_DpT1_
    .private_segment_fixed_size: 0
    .sgpr_count:     36
    .sgpr_spill_count: 0
    .symbol:         _ZN2at6native12_GLOBAL__N_125multi_tensor_apply_kernelINS1_18TensorListMetadataILi1EEENS1_14UnaryOpFunctorIN3c107complexIdEELi1ELi1ELi0EEEJNS0_5RsqrtIS8_EEEEEvT_T0_DpT1_.kd
    .uniform_work_group_size: 1
    .uses_dynamic_stack: false
    .vgpr_count:     45
    .vgpr_spill_count: 0
    .wavefront_size: 32
    .workgroup_processor_mode: 1
  - .args:
      - .offset:         0
        .size:           3368
        .value_kind:     by_value
      - .offset:         3368
        .size:           1
        .value_kind:     by_value
      - .offset:         3369
        .size:           1
        .value_kind:     by_value
      - .offset:         3376
        .size:           4
        .value_kind:     hidden_block_count_x
      - .offset:         3380
        .size:           4
        .value_kind:     hidden_block_count_y
      - .offset:         3384
        .size:           4
        .value_kind:     hidden_block_count_z
      - .offset:         3388
        .size:           2
        .value_kind:     hidden_group_size_x
      - .offset:         3390
        .size:           2
        .value_kind:     hidden_group_size_y
      - .offset:         3392
        .size:           2
        .value_kind:     hidden_group_size_z
      - .offset:         3394
        .size:           2
        .value_kind:     hidden_remainder_x
      - .offset:         3396
        .size:           2
        .value_kind:     hidden_remainder_y
      - .offset:         3398
        .size:           2
        .value_kind:     hidden_remainder_z
      - .offset:         3416
        .size:           8
        .value_kind:     hidden_global_offset_x
      - .offset:         3424
        .size:           8
        .value_kind:     hidden_global_offset_y
      - .offset:         3432
        .size:           8
        .value_kind:     hidden_global_offset_z
      - .offset:         3440
        .size:           2
        .value_kind:     hidden_grid_dims
    .group_segment_fixed_size: 0
    .kernarg_segment_align: 8
    .kernarg_segment_size: 3632
    .language:       OpenCL C
    .language_version:
      - 2
      - 0
    .max_flat_workgroup_size: 512
    .name:           _ZN2at6native12_GLOBAL__N_125multi_tensor_apply_kernelINS1_18TensorListMetadataILi1EEENS1_14UnaryOpFunctorIN3c107complexIfEELi1ELi1ELi0EEEJNS0_5RsqrtIS8_EEEEEvT_T0_DpT1_
    .private_segment_fixed_size: 0
    .sgpr_count:     31
    .sgpr_spill_count: 0
    .symbol:         _ZN2at6native12_GLOBAL__N_125multi_tensor_apply_kernelINS1_18TensorListMetadataILi1EEENS1_14UnaryOpFunctorIN3c107complexIfEELi1ELi1ELi0EEEJNS0_5RsqrtIS8_EEEEEvT_T0_DpT1_.kd
    .uniform_work_group_size: 1
    .uses_dynamic_stack: false
    .vgpr_count:     31
    .vgpr_spill_count: 0
    .wavefront_size: 32
    .workgroup_processor_mode: 1
  - .args:
      - .offset:         0
        .size:           3368
        .value_kind:     by_value
      - .offset:         3368
        .size:           1
        .value_kind:     by_value
      - .offset:         3369
        .size:           1
        .value_kind:     by_value
      - .offset:         3376
        .size:           4
        .value_kind:     hidden_block_count_x
      - .offset:         3380
        .size:           4
        .value_kind:     hidden_block_count_y
      - .offset:         3384
        .size:           4
        .value_kind:     hidden_block_count_z
      - .offset:         3388
        .size:           2
        .value_kind:     hidden_group_size_x
      - .offset:         3390
        .size:           2
        .value_kind:     hidden_group_size_y
      - .offset:         3392
        .size:           2
        .value_kind:     hidden_group_size_z
      - .offset:         3394
        .size:           2
        .value_kind:     hidden_remainder_x
      - .offset:         3396
        .size:           2
        .value_kind:     hidden_remainder_y
      - .offset:         3398
        .size:           2
        .value_kind:     hidden_remainder_z
      - .offset:         3416
        .size:           8
        .value_kind:     hidden_global_offset_x
      - .offset:         3424
        .size:           8
        .value_kind:     hidden_global_offset_y
      - .offset:         3432
        .size:           8
        .value_kind:     hidden_global_offset_z
      - .offset:         3440
        .size:           2
        .value_kind:     hidden_grid_dims
    .group_segment_fixed_size: 0
    .kernarg_segment_align: 8
    .kernarg_segment_size: 3632
    .language:       OpenCL C
    .language_version:
      - 2
      - 0
    .max_flat_workgroup_size: 512
    .name:           _ZN2at6native12_GLOBAL__N_125multi_tensor_apply_kernelINS1_18TensorListMetadataILi1EEENS1_14UnaryOpFunctorIN3c104HalfELi1ELi1ELi0EEEJNS0_5RsqrtIfEEEEEvT_T0_DpT1_
    .private_segment_fixed_size: 0
    .sgpr_count:     22
    .sgpr_spill_count: 0
    .symbol:         _ZN2at6native12_GLOBAL__N_125multi_tensor_apply_kernelINS1_18TensorListMetadataILi1EEENS1_14UnaryOpFunctorIN3c104HalfELi1ELi1ELi0EEEJNS0_5RsqrtIfEEEEEvT_T0_DpT1_.kd
    .uniform_work_group_size: 1
    .uses_dynamic_stack: false
    .vgpr_count:     17
    .vgpr_spill_count: 0
    .wavefront_size: 32
    .workgroup_processor_mode: 1
  - .args:
      - .offset:         0
        .size:           3368
        .value_kind:     by_value
      - .offset:         3368
        .size:           1
        .value_kind:     by_value
      - .offset:         3369
        .size:           1
        .value_kind:     by_value
      - .offset:         3376
        .size:           4
        .value_kind:     hidden_block_count_x
      - .offset:         3380
        .size:           4
        .value_kind:     hidden_block_count_y
      - .offset:         3384
        .size:           4
        .value_kind:     hidden_block_count_z
      - .offset:         3388
        .size:           2
        .value_kind:     hidden_group_size_x
      - .offset:         3390
        .size:           2
        .value_kind:     hidden_group_size_y
      - .offset:         3392
        .size:           2
        .value_kind:     hidden_group_size_z
      - .offset:         3394
        .size:           2
        .value_kind:     hidden_remainder_x
      - .offset:         3396
        .size:           2
        .value_kind:     hidden_remainder_y
      - .offset:         3398
        .size:           2
        .value_kind:     hidden_remainder_z
      - .offset:         3416
        .size:           8
        .value_kind:     hidden_global_offset_x
      - .offset:         3424
        .size:           8
        .value_kind:     hidden_global_offset_y
      - .offset:         3432
        .size:           8
        .value_kind:     hidden_global_offset_z
      - .offset:         3440
        .size:           2
        .value_kind:     hidden_grid_dims
    .group_segment_fixed_size: 0
    .kernarg_segment_align: 8
    .kernarg_segment_size: 3632
    .language:       OpenCL C
    .language_version:
      - 2
      - 0
    .max_flat_workgroup_size: 512
    .name:           _ZN2at6native12_GLOBAL__N_125multi_tensor_apply_kernelINS1_18TensorListMetadataILi1EEENS1_14UnaryOpFunctorIN3c108BFloat16ELi1ELi1ELi0EEEJNS0_5RsqrtIfEEEEEvT_T0_DpT1_
    .private_segment_fixed_size: 0
    .sgpr_count:     22
    .sgpr_spill_count: 0
    .symbol:         _ZN2at6native12_GLOBAL__N_125multi_tensor_apply_kernelINS1_18TensorListMetadataILi1EEENS1_14UnaryOpFunctorIN3c108BFloat16ELi1ELi1ELi0EEEJNS0_5RsqrtIfEEEEEvT_T0_DpT1_.kd
    .uniform_work_group_size: 1
    .uses_dynamic_stack: false
    .vgpr_count:     17
    .vgpr_spill_count: 0
    .wavefront_size: 32
    .workgroup_processor_mode: 1
  - .args:
      - .offset:         0
        .size:           3144
        .value_kind:     by_value
      - .offset:         3144
        .size:           1
        .value_kind:     by_value
      - .offset:         3145
        .size:           1
        .value_kind:     by_value
      - .offset:         3152
        .size:           4
        .value_kind:     hidden_block_count_x
      - .offset:         3156
        .size:           4
        .value_kind:     hidden_block_count_y
      - .offset:         3160
        .size:           4
        .value_kind:     hidden_block_count_z
      - .offset:         3164
        .size:           2
        .value_kind:     hidden_group_size_x
      - .offset:         3166
        .size:           2
        .value_kind:     hidden_group_size_y
      - .offset:         3168
        .size:           2
        .value_kind:     hidden_group_size_z
      - .offset:         3170
        .size:           2
        .value_kind:     hidden_remainder_x
      - .offset:         3172
        .size:           2
        .value_kind:     hidden_remainder_y
      - .offset:         3174
        .size:           2
        .value_kind:     hidden_remainder_z
      - .offset:         3192
        .size:           8
        .value_kind:     hidden_global_offset_x
      - .offset:         3200
        .size:           8
        .value_kind:     hidden_global_offset_y
      - .offset:         3208
        .size:           8
        .value_kind:     hidden_global_offset_z
      - .offset:         3216
        .size:           2
        .value_kind:     hidden_grid_dims
    .group_segment_fixed_size: 0
    .kernarg_segment_align: 8
    .kernarg_segment_size: 3408
    .language:       OpenCL C
    .language_version:
      - 2
      - 0
    .max_flat_workgroup_size: 512
    .name:           _ZN2at6native12_GLOBAL__N_125multi_tensor_apply_kernelINS1_18TensorListMetadataILi2EEENS1_14UnaryOpFunctorIhLi2ELi1ELi1EEEJSt6negateIhEEEEvT_T0_DpT1_
    .private_segment_fixed_size: 0
    .sgpr_count:     20
    .sgpr_spill_count: 0
    .symbol:         _ZN2at6native12_GLOBAL__N_125multi_tensor_apply_kernelINS1_18TensorListMetadataILi2EEENS1_14UnaryOpFunctorIhLi2ELi1ELi1EEEJSt6negateIhEEEEvT_T0_DpT1_.kd
    .uniform_work_group_size: 1
    .uses_dynamic_stack: false
    .vgpr_count:     29
    .vgpr_spill_count: 0
    .wavefront_size: 32
    .workgroup_processor_mode: 1
  - .args:
      - .offset:         0
        .size:           3144
        .value_kind:     by_value
      - .offset:         3144
        .size:           1
        .value_kind:     by_value
      - .offset:         3145
        .size:           1
        .value_kind:     by_value
      - .offset:         3152
        .size:           4
        .value_kind:     hidden_block_count_x
      - .offset:         3156
        .size:           4
        .value_kind:     hidden_block_count_y
      - .offset:         3160
        .size:           4
        .value_kind:     hidden_block_count_z
      - .offset:         3164
        .size:           2
        .value_kind:     hidden_group_size_x
      - .offset:         3166
        .size:           2
        .value_kind:     hidden_group_size_y
      - .offset:         3168
        .size:           2
        .value_kind:     hidden_group_size_z
      - .offset:         3170
        .size:           2
        .value_kind:     hidden_remainder_x
      - .offset:         3172
        .size:           2
        .value_kind:     hidden_remainder_y
      - .offset:         3174
        .size:           2
        .value_kind:     hidden_remainder_z
      - .offset:         3192
        .size:           8
        .value_kind:     hidden_global_offset_x
      - .offset:         3200
        .size:           8
        .value_kind:     hidden_global_offset_y
      - .offset:         3208
        .size:           8
        .value_kind:     hidden_global_offset_z
      - .offset:         3216
        .size:           2
        .value_kind:     hidden_grid_dims
    .group_segment_fixed_size: 0
    .kernarg_segment_align: 8
    .kernarg_segment_size: 3408
    .language:       OpenCL C
    .language_version:
      - 2
      - 0
    .max_flat_workgroup_size: 512
    .name:           _ZN2at6native12_GLOBAL__N_125multi_tensor_apply_kernelINS1_18TensorListMetadataILi2EEENS1_14UnaryOpFunctorIaLi2ELi1ELi1EEEJSt6negateIaEEEEvT_T0_DpT1_
    .private_segment_fixed_size: 0
    .sgpr_count:     20
    .sgpr_spill_count: 0
    .symbol:         _ZN2at6native12_GLOBAL__N_125multi_tensor_apply_kernelINS1_18TensorListMetadataILi2EEENS1_14UnaryOpFunctorIaLi2ELi1ELi1EEEJSt6negateIaEEEEvT_T0_DpT1_.kd
    .uniform_work_group_size: 1
    .uses_dynamic_stack: false
    .vgpr_count:     29
    .vgpr_spill_count: 0
    .wavefront_size: 32
    .workgroup_processor_mode: 1
  - .args:
      - .offset:         0
        .size:           3144
        .value_kind:     by_value
      - .offset:         3144
        .size:           1
        .value_kind:     by_value
      - .offset:         3145
        .size:           1
        .value_kind:     by_value
      - .offset:         3152
        .size:           4
        .value_kind:     hidden_block_count_x
      - .offset:         3156
        .size:           4
        .value_kind:     hidden_block_count_y
      - .offset:         3160
        .size:           4
        .value_kind:     hidden_block_count_z
      - .offset:         3164
        .size:           2
        .value_kind:     hidden_group_size_x
      - .offset:         3166
        .size:           2
        .value_kind:     hidden_group_size_y
      - .offset:         3168
        .size:           2
        .value_kind:     hidden_group_size_z
      - .offset:         3170
        .size:           2
        .value_kind:     hidden_remainder_x
      - .offset:         3172
        .size:           2
        .value_kind:     hidden_remainder_y
      - .offset:         3174
        .size:           2
        .value_kind:     hidden_remainder_z
      - .offset:         3192
        .size:           8
        .value_kind:     hidden_global_offset_x
      - .offset:         3200
        .size:           8
        .value_kind:     hidden_global_offset_y
      - .offset:         3208
        .size:           8
        .value_kind:     hidden_global_offset_z
      - .offset:         3216
        .size:           2
        .value_kind:     hidden_grid_dims
    .group_segment_fixed_size: 0
    .kernarg_segment_align: 8
    .kernarg_segment_size: 3408
    .language:       OpenCL C
    .language_version:
      - 2
      - 0
    .max_flat_workgroup_size: 512
    .name:           _ZN2at6native12_GLOBAL__N_125multi_tensor_apply_kernelINS1_18TensorListMetadataILi2EEENS1_14UnaryOpFunctorIiLi2ELi1ELi1EEEJSt6negateIiEEEEvT_T0_DpT1_
    .private_segment_fixed_size: 0
    .sgpr_count:     24
    .sgpr_spill_count: 0
    .symbol:         _ZN2at6native12_GLOBAL__N_125multi_tensor_apply_kernelINS1_18TensorListMetadataILi2EEENS1_14UnaryOpFunctorIiLi2ELi1ELi1EEEJSt6negateIiEEEEvT_T0_DpT1_.kd
    .uniform_work_group_size: 1
    .uses_dynamic_stack: false
    .vgpr_count:     29
    .vgpr_spill_count: 0
    .wavefront_size: 32
    .workgroup_processor_mode: 1
  - .args:
      - .offset:         0
        .size:           3144
        .value_kind:     by_value
      - .offset:         3144
        .size:           1
        .value_kind:     by_value
      - .offset:         3145
        .size:           1
        .value_kind:     by_value
      - .offset:         3152
        .size:           4
        .value_kind:     hidden_block_count_x
      - .offset:         3156
        .size:           4
        .value_kind:     hidden_block_count_y
      - .offset:         3160
        .size:           4
        .value_kind:     hidden_block_count_z
      - .offset:         3164
        .size:           2
        .value_kind:     hidden_group_size_x
      - .offset:         3166
        .size:           2
        .value_kind:     hidden_group_size_y
      - .offset:         3168
        .size:           2
        .value_kind:     hidden_group_size_z
      - .offset:         3170
        .size:           2
        .value_kind:     hidden_remainder_x
      - .offset:         3172
        .size:           2
        .value_kind:     hidden_remainder_y
      - .offset:         3174
        .size:           2
        .value_kind:     hidden_remainder_z
      - .offset:         3192
        .size:           8
        .value_kind:     hidden_global_offset_x
      - .offset:         3200
        .size:           8
        .value_kind:     hidden_global_offset_y
      - .offset:         3208
        .size:           8
        .value_kind:     hidden_global_offset_z
      - .offset:         3216
        .size:           2
        .value_kind:     hidden_grid_dims
    .group_segment_fixed_size: 0
    .kernarg_segment_align: 8
    .kernarg_segment_size: 3408
    .language:       OpenCL C
    .language_version:
      - 2
      - 0
    .max_flat_workgroup_size: 512
    .name:           _ZN2at6native12_GLOBAL__N_125multi_tensor_apply_kernelINS1_18TensorListMetadataILi2EEENS1_14UnaryOpFunctorIlLi2ELi1ELi1EEEJSt6negateIlEEEEvT_T0_DpT1_
    .private_segment_fixed_size: 0
    .sgpr_count:     24
    .sgpr_spill_count: 0
    .symbol:         _ZN2at6native12_GLOBAL__N_125multi_tensor_apply_kernelINS1_18TensorListMetadataILi2EEENS1_14UnaryOpFunctorIlLi2ELi1ELi1EEEJSt6negateIlEEEEvT_T0_DpT1_.kd
    .uniform_work_group_size: 1
    .uses_dynamic_stack: false
    .vgpr_count:     33
    .vgpr_spill_count: 0
    .wavefront_size: 32
    .workgroup_processor_mode: 1
  - .args:
      - .offset:         0
        .size:           3144
        .value_kind:     by_value
      - .offset:         3144
        .size:           1
        .value_kind:     by_value
      - .offset:         3145
        .size:           1
        .value_kind:     by_value
      - .offset:         3152
        .size:           4
        .value_kind:     hidden_block_count_x
      - .offset:         3156
        .size:           4
        .value_kind:     hidden_block_count_y
      - .offset:         3160
        .size:           4
        .value_kind:     hidden_block_count_z
      - .offset:         3164
        .size:           2
        .value_kind:     hidden_group_size_x
      - .offset:         3166
        .size:           2
        .value_kind:     hidden_group_size_y
      - .offset:         3168
        .size:           2
        .value_kind:     hidden_group_size_z
      - .offset:         3170
        .size:           2
        .value_kind:     hidden_remainder_x
      - .offset:         3172
        .size:           2
        .value_kind:     hidden_remainder_y
      - .offset:         3174
        .size:           2
        .value_kind:     hidden_remainder_z
      - .offset:         3192
        .size:           8
        .value_kind:     hidden_global_offset_x
      - .offset:         3200
        .size:           8
        .value_kind:     hidden_global_offset_y
      - .offset:         3208
        .size:           8
        .value_kind:     hidden_global_offset_z
      - .offset:         3216
        .size:           2
        .value_kind:     hidden_grid_dims
    .group_segment_fixed_size: 0
    .kernarg_segment_align: 8
    .kernarg_segment_size: 3408
    .language:       OpenCL C
    .language_version:
      - 2
      - 0
    .max_flat_workgroup_size: 512
    .name:           _ZN2at6native12_GLOBAL__N_125multi_tensor_apply_kernelINS1_18TensorListMetadataILi2EEENS1_14UnaryOpFunctorIsLi2ELi1ELi1EEEJSt6negateIsEEEEvT_T0_DpT1_
    .private_segment_fixed_size: 0
    .sgpr_count:     20
    .sgpr_spill_count: 0
    .symbol:         _ZN2at6native12_GLOBAL__N_125multi_tensor_apply_kernelINS1_18TensorListMetadataILi2EEENS1_14UnaryOpFunctorIsLi2ELi1ELi1EEEJSt6negateIsEEEEvT_T0_DpT1_.kd
    .uniform_work_group_size: 1
    .uses_dynamic_stack: false
    .vgpr_count:     29
    .vgpr_spill_count: 0
    .wavefront_size: 32
    .workgroup_processor_mode: 1
  - .args:
      - .offset:         0
        .size:           3144
        .value_kind:     by_value
      - .offset:         3144
        .size:           1
        .value_kind:     by_value
      - .offset:         3145
        .size:           1
        .value_kind:     by_value
      - .offset:         3152
        .size:           4
        .value_kind:     hidden_block_count_x
      - .offset:         3156
        .size:           4
        .value_kind:     hidden_block_count_y
      - .offset:         3160
        .size:           4
        .value_kind:     hidden_block_count_z
      - .offset:         3164
        .size:           2
        .value_kind:     hidden_group_size_x
      - .offset:         3166
        .size:           2
        .value_kind:     hidden_group_size_y
      - .offset:         3168
        .size:           2
        .value_kind:     hidden_group_size_z
      - .offset:         3170
        .size:           2
        .value_kind:     hidden_remainder_x
      - .offset:         3172
        .size:           2
        .value_kind:     hidden_remainder_y
      - .offset:         3174
        .size:           2
        .value_kind:     hidden_remainder_z
      - .offset:         3192
        .size:           8
        .value_kind:     hidden_global_offset_x
      - .offset:         3200
        .size:           8
        .value_kind:     hidden_global_offset_y
      - .offset:         3208
        .size:           8
        .value_kind:     hidden_global_offset_z
      - .offset:         3216
        .size:           2
        .value_kind:     hidden_grid_dims
    .group_segment_fixed_size: 0
    .kernarg_segment_align: 8
    .kernarg_segment_size: 3408
    .language:       OpenCL C
    .language_version:
      - 2
      - 0
    .max_flat_workgroup_size: 512
    .name:           _ZN2at6native12_GLOBAL__N_125multi_tensor_apply_kernelINS1_18TensorListMetadataILi2EEENS1_14UnaryOpFunctorIdLi2ELi1ELi1EEEJSt6negateIdEEEEvT_T0_DpT1_
    .private_segment_fixed_size: 0
    .sgpr_count:     24
    .sgpr_spill_count: 0
    .symbol:         _ZN2at6native12_GLOBAL__N_125multi_tensor_apply_kernelINS1_18TensorListMetadataILi2EEENS1_14UnaryOpFunctorIdLi2ELi1ELi1EEEJSt6negateIdEEEEvT_T0_DpT1_.kd
    .uniform_work_group_size: 1
    .uses_dynamic_stack: false
    .vgpr_count:     33
    .vgpr_spill_count: 0
    .wavefront_size: 32
    .workgroup_processor_mode: 1
  - .args:
      - .offset:         0
        .size:           3144
        .value_kind:     by_value
      - .offset:         3144
        .size:           1
        .value_kind:     by_value
      - .offset:         3145
        .size:           1
        .value_kind:     by_value
      - .offset:         3152
        .size:           4
        .value_kind:     hidden_block_count_x
      - .offset:         3156
        .size:           4
        .value_kind:     hidden_block_count_y
      - .offset:         3160
        .size:           4
        .value_kind:     hidden_block_count_z
      - .offset:         3164
        .size:           2
        .value_kind:     hidden_group_size_x
      - .offset:         3166
        .size:           2
        .value_kind:     hidden_group_size_y
      - .offset:         3168
        .size:           2
        .value_kind:     hidden_group_size_z
      - .offset:         3170
        .size:           2
        .value_kind:     hidden_remainder_x
      - .offset:         3172
        .size:           2
        .value_kind:     hidden_remainder_y
      - .offset:         3174
        .size:           2
        .value_kind:     hidden_remainder_z
      - .offset:         3192
        .size:           8
        .value_kind:     hidden_global_offset_x
      - .offset:         3200
        .size:           8
        .value_kind:     hidden_global_offset_y
      - .offset:         3208
        .size:           8
        .value_kind:     hidden_global_offset_z
      - .offset:         3216
        .size:           2
        .value_kind:     hidden_grid_dims
    .group_segment_fixed_size: 0
    .kernarg_segment_align: 8
    .kernarg_segment_size: 3408
    .language:       OpenCL C
    .language_version:
      - 2
      - 0
    .max_flat_workgroup_size: 512
    .name:           _ZN2at6native12_GLOBAL__N_125multi_tensor_apply_kernelINS1_18TensorListMetadataILi2EEENS1_14UnaryOpFunctorIfLi2ELi1ELi1EEEJSt6negateIfEEEEvT_T0_DpT1_
    .private_segment_fixed_size: 0
    .sgpr_count:     24
    .sgpr_spill_count: 0
    .symbol:         _ZN2at6native12_GLOBAL__N_125multi_tensor_apply_kernelINS1_18TensorListMetadataILi2EEENS1_14UnaryOpFunctorIfLi2ELi1ELi1EEEJSt6negateIfEEEEvT_T0_DpT1_.kd
    .uniform_work_group_size: 1
    .uses_dynamic_stack: false
    .vgpr_count:     29
    .vgpr_spill_count: 0
    .wavefront_size: 32
    .workgroup_processor_mode: 1
  - .args:
      - .offset:         0
        .size:           3144
        .value_kind:     by_value
      - .offset:         3144
        .size:           1
        .value_kind:     by_value
      - .offset:         3145
        .size:           1
        .value_kind:     by_value
      - .offset:         3152
        .size:           4
        .value_kind:     hidden_block_count_x
      - .offset:         3156
        .size:           4
        .value_kind:     hidden_block_count_y
      - .offset:         3160
        .size:           4
        .value_kind:     hidden_block_count_z
      - .offset:         3164
        .size:           2
        .value_kind:     hidden_group_size_x
      - .offset:         3166
        .size:           2
        .value_kind:     hidden_group_size_y
      - .offset:         3168
        .size:           2
        .value_kind:     hidden_group_size_z
      - .offset:         3170
        .size:           2
        .value_kind:     hidden_remainder_x
      - .offset:         3172
        .size:           2
        .value_kind:     hidden_remainder_y
      - .offset:         3174
        .size:           2
        .value_kind:     hidden_remainder_z
      - .offset:         3192
        .size:           8
        .value_kind:     hidden_global_offset_x
      - .offset:         3200
        .size:           8
        .value_kind:     hidden_global_offset_y
      - .offset:         3208
        .size:           8
        .value_kind:     hidden_global_offset_z
      - .offset:         3216
        .size:           2
        .value_kind:     hidden_grid_dims
    .group_segment_fixed_size: 0
    .kernarg_segment_align: 8
    .kernarg_segment_size: 3408
    .language:       OpenCL C
    .language_version:
      - 2
      - 0
    .max_flat_workgroup_size: 512
    .name:           _ZN2at6native12_GLOBAL__N_125multi_tensor_apply_kernelINS1_18TensorListMetadataILi2EEENS1_14UnaryOpFunctorIN3c107complexIdEELi2ELi1ELi1EEEJSt6negateIS8_EEEEvT_T0_DpT1_
    .private_segment_fixed_size: 0
    .sgpr_count:     24
    .sgpr_spill_count: 0
    .symbol:         _ZN2at6native12_GLOBAL__N_125multi_tensor_apply_kernelINS1_18TensorListMetadataILi2EEENS1_14UnaryOpFunctorIN3c107complexIdEELi2ELi1ELi1EEEJSt6negateIS8_EEEEvT_T0_DpT1_.kd
    .uniform_work_group_size: 1
    .uses_dynamic_stack: false
    .vgpr_count:     36
    .vgpr_spill_count: 0
    .wavefront_size: 32
    .workgroup_processor_mode: 1
  - .args:
      - .offset:         0
        .size:           3144
        .value_kind:     by_value
      - .offset:         3144
        .size:           1
        .value_kind:     by_value
      - .offset:         3145
        .size:           1
        .value_kind:     by_value
      - .offset:         3152
        .size:           4
        .value_kind:     hidden_block_count_x
      - .offset:         3156
        .size:           4
        .value_kind:     hidden_block_count_y
      - .offset:         3160
        .size:           4
        .value_kind:     hidden_block_count_z
      - .offset:         3164
        .size:           2
        .value_kind:     hidden_group_size_x
      - .offset:         3166
        .size:           2
        .value_kind:     hidden_group_size_y
      - .offset:         3168
        .size:           2
        .value_kind:     hidden_group_size_z
      - .offset:         3170
        .size:           2
        .value_kind:     hidden_remainder_x
      - .offset:         3172
        .size:           2
        .value_kind:     hidden_remainder_y
      - .offset:         3174
        .size:           2
        .value_kind:     hidden_remainder_z
      - .offset:         3192
        .size:           8
        .value_kind:     hidden_global_offset_x
      - .offset:         3200
        .size:           8
        .value_kind:     hidden_global_offset_y
      - .offset:         3208
        .size:           8
        .value_kind:     hidden_global_offset_z
      - .offset:         3216
        .size:           2
        .value_kind:     hidden_grid_dims
    .group_segment_fixed_size: 0
    .kernarg_segment_align: 8
    .kernarg_segment_size: 3408
    .language:       OpenCL C
    .language_version:
      - 2
      - 0
    .max_flat_workgroup_size: 512
    .name:           _ZN2at6native12_GLOBAL__N_125multi_tensor_apply_kernelINS1_18TensorListMetadataILi2EEENS1_14UnaryOpFunctorIN3c107complexIfEELi2ELi1ELi1EEEJSt6negateIS8_EEEEvT_T0_DpT1_
    .private_segment_fixed_size: 0
    .sgpr_count:     24
    .sgpr_spill_count: 0
    .symbol:         _ZN2at6native12_GLOBAL__N_125multi_tensor_apply_kernelINS1_18TensorListMetadataILi2EEENS1_14UnaryOpFunctorIN3c107complexIfEELi2ELi1ELi1EEEJSt6negateIS8_EEEEvT_T0_DpT1_.kd
    .uniform_work_group_size: 1
    .uses_dynamic_stack: false
    .vgpr_count:     28
    .vgpr_spill_count: 0
    .wavefront_size: 32
    .workgroup_processor_mode: 1
  - .args:
      - .offset:         0
        .size:           3144
        .value_kind:     by_value
      - .offset:         3144
        .size:           1
        .value_kind:     by_value
      - .offset:         3145
        .size:           1
        .value_kind:     by_value
      - .offset:         3152
        .size:           4
        .value_kind:     hidden_block_count_x
      - .offset:         3156
        .size:           4
        .value_kind:     hidden_block_count_y
      - .offset:         3160
        .size:           4
        .value_kind:     hidden_block_count_z
      - .offset:         3164
        .size:           2
        .value_kind:     hidden_group_size_x
      - .offset:         3166
        .size:           2
        .value_kind:     hidden_group_size_y
      - .offset:         3168
        .size:           2
        .value_kind:     hidden_group_size_z
      - .offset:         3170
        .size:           2
        .value_kind:     hidden_remainder_x
      - .offset:         3172
        .size:           2
        .value_kind:     hidden_remainder_y
      - .offset:         3174
        .size:           2
        .value_kind:     hidden_remainder_z
      - .offset:         3192
        .size:           8
        .value_kind:     hidden_global_offset_x
      - .offset:         3200
        .size:           8
        .value_kind:     hidden_global_offset_y
      - .offset:         3208
        .size:           8
        .value_kind:     hidden_global_offset_z
      - .offset:         3216
        .size:           2
        .value_kind:     hidden_grid_dims
    .group_segment_fixed_size: 0
    .kernarg_segment_align: 8
    .kernarg_segment_size: 3408
    .language:       OpenCL C
    .language_version:
      - 2
      - 0
    .max_flat_workgroup_size: 512
    .name:           _ZN2at6native12_GLOBAL__N_125multi_tensor_apply_kernelINS1_18TensorListMetadataILi2EEENS1_14UnaryOpFunctorIN3c104HalfELi2ELi1ELi1EEEJSt6negateIfEEEEvT_T0_DpT1_
    .private_segment_fixed_size: 0
    .sgpr_count:     20
    .sgpr_spill_count: 0
    .symbol:         _ZN2at6native12_GLOBAL__N_125multi_tensor_apply_kernelINS1_18TensorListMetadataILi2EEENS1_14UnaryOpFunctorIN3c104HalfELi2ELi1ELi1EEEJSt6negateIfEEEEvT_T0_DpT1_.kd
    .uniform_work_group_size: 1
    .uses_dynamic_stack: false
    .vgpr_count:     29
    .vgpr_spill_count: 0
    .wavefront_size: 32
    .workgroup_processor_mode: 1
  - .args:
      - .offset:         0
        .size:           3144
        .value_kind:     by_value
      - .offset:         3144
        .size:           1
        .value_kind:     by_value
      - .offset:         3145
        .size:           1
        .value_kind:     by_value
      - .offset:         3152
        .size:           4
        .value_kind:     hidden_block_count_x
      - .offset:         3156
        .size:           4
        .value_kind:     hidden_block_count_y
      - .offset:         3160
        .size:           4
        .value_kind:     hidden_block_count_z
      - .offset:         3164
        .size:           2
        .value_kind:     hidden_group_size_x
      - .offset:         3166
        .size:           2
        .value_kind:     hidden_group_size_y
      - .offset:         3168
        .size:           2
        .value_kind:     hidden_group_size_z
      - .offset:         3170
        .size:           2
        .value_kind:     hidden_remainder_x
      - .offset:         3172
        .size:           2
        .value_kind:     hidden_remainder_y
      - .offset:         3174
        .size:           2
        .value_kind:     hidden_remainder_z
      - .offset:         3192
        .size:           8
        .value_kind:     hidden_global_offset_x
      - .offset:         3200
        .size:           8
        .value_kind:     hidden_global_offset_y
      - .offset:         3208
        .size:           8
        .value_kind:     hidden_global_offset_z
      - .offset:         3216
        .size:           2
        .value_kind:     hidden_grid_dims
    .group_segment_fixed_size: 0
    .kernarg_segment_align: 8
    .kernarg_segment_size: 3408
    .language:       OpenCL C
    .language_version:
      - 2
      - 0
    .max_flat_workgroup_size: 512
    .name:           _ZN2at6native12_GLOBAL__N_125multi_tensor_apply_kernelINS1_18TensorListMetadataILi2EEENS1_14UnaryOpFunctorIN3c108BFloat16ELi2ELi1ELi1EEEJSt6negateIfEEEEvT_T0_DpT1_
    .private_segment_fixed_size: 0
    .sgpr_count:     20
    .sgpr_spill_count: 0
    .symbol:         _ZN2at6native12_GLOBAL__N_125multi_tensor_apply_kernelINS1_18TensorListMetadataILi2EEENS1_14UnaryOpFunctorIN3c108BFloat16ELi2ELi1ELi1EEEJSt6negateIfEEEEvT_T0_DpT1_.kd
    .uniform_work_group_size: 1
    .uses_dynamic_stack: false
    .vgpr_count:     29
    .vgpr_spill_count: 0
    .wavefront_size: 32
    .workgroup_processor_mode: 1
  - .args:
      - .offset:         0
        .size:           3368
        .value_kind:     by_value
      - .offset:         3368
        .size:           1
        .value_kind:     by_value
      - .offset:         3369
        .size:           1
        .value_kind:     by_value
      - .offset:         3376
        .size:           4
        .value_kind:     hidden_block_count_x
      - .offset:         3380
        .size:           4
        .value_kind:     hidden_block_count_y
      - .offset:         3384
        .size:           4
        .value_kind:     hidden_block_count_z
      - .offset:         3388
        .size:           2
        .value_kind:     hidden_group_size_x
      - .offset:         3390
        .size:           2
        .value_kind:     hidden_group_size_y
      - .offset:         3392
        .size:           2
        .value_kind:     hidden_group_size_z
      - .offset:         3394
        .size:           2
        .value_kind:     hidden_remainder_x
      - .offset:         3396
        .size:           2
        .value_kind:     hidden_remainder_y
      - .offset:         3398
        .size:           2
        .value_kind:     hidden_remainder_z
      - .offset:         3416
        .size:           8
        .value_kind:     hidden_global_offset_x
      - .offset:         3424
        .size:           8
        .value_kind:     hidden_global_offset_y
      - .offset:         3432
        .size:           8
        .value_kind:     hidden_global_offset_z
      - .offset:         3440
        .size:           2
        .value_kind:     hidden_grid_dims
    .group_segment_fixed_size: 0
    .kernarg_segment_align: 8
    .kernarg_segment_size: 3632
    .language:       OpenCL C
    .language_version:
      - 2
      - 0
    .max_flat_workgroup_size: 512
    .name:           _ZN2at6native12_GLOBAL__N_125multi_tensor_apply_kernelINS1_18TensorListMetadataILi1EEENS1_14UnaryOpFunctorIhLi1ELi1ELi0EEEJSt6negateIhEEEEvT_T0_DpT1_
    .private_segment_fixed_size: 0
    .sgpr_count:     19
    .sgpr_spill_count: 0
    .symbol:         _ZN2at6native12_GLOBAL__N_125multi_tensor_apply_kernelINS1_18TensorListMetadataILi1EEENS1_14UnaryOpFunctorIhLi1ELi1ELi0EEEJSt6negateIhEEEEvT_T0_DpT1_.kd
    .uniform_work_group_size: 1
    .uses_dynamic_stack: false
    .vgpr_count:     21
    .vgpr_spill_count: 0
    .wavefront_size: 32
    .workgroup_processor_mode: 1
  - .args:
      - .offset:         0
        .size:           3368
        .value_kind:     by_value
      - .offset:         3368
        .size:           1
        .value_kind:     by_value
      - .offset:         3369
        .size:           1
        .value_kind:     by_value
      - .offset:         3376
        .size:           4
        .value_kind:     hidden_block_count_x
      - .offset:         3380
        .size:           4
        .value_kind:     hidden_block_count_y
      - .offset:         3384
        .size:           4
        .value_kind:     hidden_block_count_z
      - .offset:         3388
        .size:           2
        .value_kind:     hidden_group_size_x
      - .offset:         3390
        .size:           2
        .value_kind:     hidden_group_size_y
      - .offset:         3392
        .size:           2
        .value_kind:     hidden_group_size_z
      - .offset:         3394
        .size:           2
        .value_kind:     hidden_remainder_x
      - .offset:         3396
        .size:           2
        .value_kind:     hidden_remainder_y
      - .offset:         3398
        .size:           2
        .value_kind:     hidden_remainder_z
      - .offset:         3416
        .size:           8
        .value_kind:     hidden_global_offset_x
      - .offset:         3424
        .size:           8
        .value_kind:     hidden_global_offset_y
      - .offset:         3432
        .size:           8
        .value_kind:     hidden_global_offset_z
      - .offset:         3440
        .size:           2
        .value_kind:     hidden_grid_dims
    .group_segment_fixed_size: 0
    .kernarg_segment_align: 8
    .kernarg_segment_size: 3632
    .language:       OpenCL C
    .language_version:
      - 2
      - 0
    .max_flat_workgroup_size: 512
    .name:           _ZN2at6native12_GLOBAL__N_125multi_tensor_apply_kernelINS1_18TensorListMetadataILi1EEENS1_14UnaryOpFunctorIaLi1ELi1ELi0EEEJSt6negateIaEEEEvT_T0_DpT1_
    .private_segment_fixed_size: 0
    .sgpr_count:     19
    .sgpr_spill_count: 0
    .symbol:         _ZN2at6native12_GLOBAL__N_125multi_tensor_apply_kernelINS1_18TensorListMetadataILi1EEENS1_14UnaryOpFunctorIaLi1ELi1ELi0EEEJSt6negateIaEEEEvT_T0_DpT1_.kd
    .uniform_work_group_size: 1
    .uses_dynamic_stack: false
    .vgpr_count:     21
    .vgpr_spill_count: 0
    .wavefront_size: 32
    .workgroup_processor_mode: 1
  - .args:
      - .offset:         0
        .size:           3368
        .value_kind:     by_value
      - .offset:         3368
        .size:           1
        .value_kind:     by_value
      - .offset:         3369
        .size:           1
        .value_kind:     by_value
      - .offset:         3376
        .size:           4
        .value_kind:     hidden_block_count_x
      - .offset:         3380
        .size:           4
        .value_kind:     hidden_block_count_y
      - .offset:         3384
        .size:           4
        .value_kind:     hidden_block_count_z
      - .offset:         3388
        .size:           2
        .value_kind:     hidden_group_size_x
      - .offset:         3390
        .size:           2
        .value_kind:     hidden_group_size_y
      - .offset:         3392
        .size:           2
        .value_kind:     hidden_group_size_z
      - .offset:         3394
        .size:           2
        .value_kind:     hidden_remainder_x
      - .offset:         3396
        .size:           2
        .value_kind:     hidden_remainder_y
      - .offset:         3398
        .size:           2
        .value_kind:     hidden_remainder_z
      - .offset:         3416
        .size:           8
        .value_kind:     hidden_global_offset_x
      - .offset:         3424
        .size:           8
        .value_kind:     hidden_global_offset_y
      - .offset:         3432
        .size:           8
        .value_kind:     hidden_global_offset_z
      - .offset:         3440
        .size:           2
        .value_kind:     hidden_grid_dims
    .group_segment_fixed_size: 0
    .kernarg_segment_align: 8
    .kernarg_segment_size: 3632
    .language:       OpenCL C
    .language_version:
      - 2
      - 0
    .max_flat_workgroup_size: 512
    .name:           _ZN2at6native12_GLOBAL__N_125multi_tensor_apply_kernelINS1_18TensorListMetadataILi1EEENS1_14UnaryOpFunctorIiLi1ELi1ELi0EEEJSt6negateIiEEEEvT_T0_DpT1_
    .private_segment_fixed_size: 0
    .sgpr_count:     23
    .sgpr_spill_count: 0
    .symbol:         _ZN2at6native12_GLOBAL__N_125multi_tensor_apply_kernelINS1_18TensorListMetadataILi1EEENS1_14UnaryOpFunctorIiLi1ELi1ELi0EEEJSt6negateIiEEEEvT_T0_DpT1_.kd
    .uniform_work_group_size: 1
    .uses_dynamic_stack: false
    .vgpr_count:     17
    .vgpr_spill_count: 0
    .wavefront_size: 32
    .workgroup_processor_mode: 1
  - .args:
      - .offset:         0
        .size:           3368
        .value_kind:     by_value
      - .offset:         3368
        .size:           1
        .value_kind:     by_value
      - .offset:         3369
        .size:           1
        .value_kind:     by_value
      - .offset:         3376
        .size:           4
        .value_kind:     hidden_block_count_x
      - .offset:         3380
        .size:           4
        .value_kind:     hidden_block_count_y
      - .offset:         3384
        .size:           4
        .value_kind:     hidden_block_count_z
      - .offset:         3388
        .size:           2
        .value_kind:     hidden_group_size_x
      - .offset:         3390
        .size:           2
        .value_kind:     hidden_group_size_y
      - .offset:         3392
        .size:           2
        .value_kind:     hidden_group_size_z
      - .offset:         3394
        .size:           2
        .value_kind:     hidden_remainder_x
      - .offset:         3396
        .size:           2
        .value_kind:     hidden_remainder_y
      - .offset:         3398
        .size:           2
        .value_kind:     hidden_remainder_z
      - .offset:         3416
        .size:           8
        .value_kind:     hidden_global_offset_x
      - .offset:         3424
        .size:           8
        .value_kind:     hidden_global_offset_y
      - .offset:         3432
        .size:           8
        .value_kind:     hidden_global_offset_z
      - .offset:         3440
        .size:           2
        .value_kind:     hidden_grid_dims
    .group_segment_fixed_size: 0
    .kernarg_segment_align: 8
    .kernarg_segment_size: 3632
    .language:       OpenCL C
    .language_version:
      - 2
      - 0
    .max_flat_workgroup_size: 512
    .name:           _ZN2at6native12_GLOBAL__N_125multi_tensor_apply_kernelINS1_18TensorListMetadataILi1EEENS1_14UnaryOpFunctorIlLi1ELi1ELi0EEEJSt6negateIlEEEEvT_T0_DpT1_
    .private_segment_fixed_size: 0
    .sgpr_count:     23
    .sgpr_spill_count: 0
    .symbol:         _ZN2at6native12_GLOBAL__N_125multi_tensor_apply_kernelINS1_18TensorListMetadataILi1EEENS1_14UnaryOpFunctorIlLi1ELi1ELi0EEEJSt6negateIlEEEEvT_T0_DpT1_.kd
    .uniform_work_group_size: 1
    .uses_dynamic_stack: false
    .vgpr_count:     21
    .vgpr_spill_count: 0
    .wavefront_size: 32
    .workgroup_processor_mode: 1
  - .args:
      - .offset:         0
        .size:           3368
        .value_kind:     by_value
      - .offset:         3368
        .size:           1
        .value_kind:     by_value
      - .offset:         3369
        .size:           1
        .value_kind:     by_value
      - .offset:         3376
        .size:           4
        .value_kind:     hidden_block_count_x
      - .offset:         3380
        .size:           4
        .value_kind:     hidden_block_count_y
      - .offset:         3384
        .size:           4
        .value_kind:     hidden_block_count_z
      - .offset:         3388
        .size:           2
        .value_kind:     hidden_group_size_x
      - .offset:         3390
        .size:           2
        .value_kind:     hidden_group_size_y
      - .offset:         3392
        .size:           2
        .value_kind:     hidden_group_size_z
      - .offset:         3394
        .size:           2
        .value_kind:     hidden_remainder_x
      - .offset:         3396
        .size:           2
        .value_kind:     hidden_remainder_y
      - .offset:         3398
        .size:           2
        .value_kind:     hidden_remainder_z
      - .offset:         3416
        .size:           8
        .value_kind:     hidden_global_offset_x
      - .offset:         3424
        .size:           8
        .value_kind:     hidden_global_offset_y
      - .offset:         3432
        .size:           8
        .value_kind:     hidden_global_offset_z
      - .offset:         3440
        .size:           2
        .value_kind:     hidden_grid_dims
    .group_segment_fixed_size: 0
    .kernarg_segment_align: 8
    .kernarg_segment_size: 3632
    .language:       OpenCL C
    .language_version:
      - 2
      - 0
    .max_flat_workgroup_size: 512
    .name:           _ZN2at6native12_GLOBAL__N_125multi_tensor_apply_kernelINS1_18TensorListMetadataILi1EEENS1_14UnaryOpFunctorIsLi1ELi1ELi0EEEJSt6negateIsEEEEvT_T0_DpT1_
    .private_segment_fixed_size: 0
    .sgpr_count:     22
    .sgpr_spill_count: 0
    .symbol:         _ZN2at6native12_GLOBAL__N_125multi_tensor_apply_kernelINS1_18TensorListMetadataILi1EEENS1_14UnaryOpFunctorIsLi1ELi1ELi0EEEJSt6negateIsEEEEvT_T0_DpT1_.kd
    .uniform_work_group_size: 1
    .uses_dynamic_stack: false
    .vgpr_count:     17
    .vgpr_spill_count: 0
    .wavefront_size: 32
    .workgroup_processor_mode: 1
  - .args:
      - .offset:         0
        .size:           3368
        .value_kind:     by_value
      - .offset:         3368
        .size:           1
        .value_kind:     by_value
      - .offset:         3369
        .size:           1
        .value_kind:     by_value
      - .offset:         3376
        .size:           4
        .value_kind:     hidden_block_count_x
      - .offset:         3380
        .size:           4
        .value_kind:     hidden_block_count_y
      - .offset:         3384
        .size:           4
        .value_kind:     hidden_block_count_z
      - .offset:         3388
        .size:           2
        .value_kind:     hidden_group_size_x
      - .offset:         3390
        .size:           2
        .value_kind:     hidden_group_size_y
      - .offset:         3392
        .size:           2
        .value_kind:     hidden_group_size_z
      - .offset:         3394
        .size:           2
        .value_kind:     hidden_remainder_x
      - .offset:         3396
        .size:           2
        .value_kind:     hidden_remainder_y
      - .offset:         3398
        .size:           2
        .value_kind:     hidden_remainder_z
      - .offset:         3416
        .size:           8
        .value_kind:     hidden_global_offset_x
      - .offset:         3424
        .size:           8
        .value_kind:     hidden_global_offset_y
      - .offset:         3432
        .size:           8
        .value_kind:     hidden_global_offset_z
      - .offset:         3440
        .size:           2
        .value_kind:     hidden_grid_dims
    .group_segment_fixed_size: 0
    .kernarg_segment_align: 8
    .kernarg_segment_size: 3632
    .language:       OpenCL C
    .language_version:
      - 2
      - 0
    .max_flat_workgroup_size: 512
    .name:           _ZN2at6native12_GLOBAL__N_125multi_tensor_apply_kernelINS1_18TensorListMetadataILi1EEENS1_14UnaryOpFunctorIdLi1ELi1ELi0EEEJSt6negateIdEEEEvT_T0_DpT1_
    .private_segment_fixed_size: 0
    .sgpr_count:     23
    .sgpr_spill_count: 0
    .symbol:         _ZN2at6native12_GLOBAL__N_125multi_tensor_apply_kernelINS1_18TensorListMetadataILi1EEENS1_14UnaryOpFunctorIdLi1ELi1ELi0EEEJSt6negateIdEEEEvT_T0_DpT1_.kd
    .uniform_work_group_size: 1
    .uses_dynamic_stack: false
    .vgpr_count:     21
    .vgpr_spill_count: 0
    .wavefront_size: 32
    .workgroup_processor_mode: 1
  - .args:
      - .offset:         0
        .size:           3368
        .value_kind:     by_value
      - .offset:         3368
        .size:           1
        .value_kind:     by_value
      - .offset:         3369
        .size:           1
        .value_kind:     by_value
      - .offset:         3376
        .size:           4
        .value_kind:     hidden_block_count_x
      - .offset:         3380
        .size:           4
        .value_kind:     hidden_block_count_y
      - .offset:         3384
        .size:           4
        .value_kind:     hidden_block_count_z
      - .offset:         3388
        .size:           2
        .value_kind:     hidden_group_size_x
      - .offset:         3390
        .size:           2
        .value_kind:     hidden_group_size_y
      - .offset:         3392
        .size:           2
        .value_kind:     hidden_group_size_z
      - .offset:         3394
        .size:           2
        .value_kind:     hidden_remainder_x
      - .offset:         3396
        .size:           2
        .value_kind:     hidden_remainder_y
      - .offset:         3398
        .size:           2
        .value_kind:     hidden_remainder_z
      - .offset:         3416
        .size:           8
        .value_kind:     hidden_global_offset_x
      - .offset:         3424
        .size:           8
        .value_kind:     hidden_global_offset_y
      - .offset:         3432
        .size:           8
        .value_kind:     hidden_global_offset_z
      - .offset:         3440
        .size:           2
        .value_kind:     hidden_grid_dims
    .group_segment_fixed_size: 0
    .kernarg_segment_align: 8
    .kernarg_segment_size: 3632
    .language:       OpenCL C
    .language_version:
      - 2
      - 0
    .max_flat_workgroup_size: 512
    .name:           _ZN2at6native12_GLOBAL__N_125multi_tensor_apply_kernelINS1_18TensorListMetadataILi1EEENS1_14UnaryOpFunctorIfLi1ELi1ELi0EEEJSt6negateIfEEEEvT_T0_DpT1_
    .private_segment_fixed_size: 0
    .sgpr_count:     23
    .sgpr_spill_count: 0
    .symbol:         _ZN2at6native12_GLOBAL__N_125multi_tensor_apply_kernelINS1_18TensorListMetadataILi1EEENS1_14UnaryOpFunctorIfLi1ELi1ELi0EEEJSt6negateIfEEEEvT_T0_DpT1_.kd
    .uniform_work_group_size: 1
    .uses_dynamic_stack: false
    .vgpr_count:     17
    .vgpr_spill_count: 0
    .wavefront_size: 32
    .workgroup_processor_mode: 1
  - .args:
      - .offset:         0
        .size:           3368
        .value_kind:     by_value
      - .offset:         3368
        .size:           1
        .value_kind:     by_value
      - .offset:         3369
        .size:           1
        .value_kind:     by_value
      - .offset:         3376
        .size:           4
        .value_kind:     hidden_block_count_x
      - .offset:         3380
        .size:           4
        .value_kind:     hidden_block_count_y
      - .offset:         3384
        .size:           4
        .value_kind:     hidden_block_count_z
      - .offset:         3388
        .size:           2
        .value_kind:     hidden_group_size_x
      - .offset:         3390
        .size:           2
        .value_kind:     hidden_group_size_y
      - .offset:         3392
        .size:           2
        .value_kind:     hidden_group_size_z
      - .offset:         3394
        .size:           2
        .value_kind:     hidden_remainder_x
      - .offset:         3396
        .size:           2
        .value_kind:     hidden_remainder_y
      - .offset:         3398
        .size:           2
        .value_kind:     hidden_remainder_z
      - .offset:         3416
        .size:           8
        .value_kind:     hidden_global_offset_x
      - .offset:         3424
        .size:           8
        .value_kind:     hidden_global_offset_y
      - .offset:         3432
        .size:           8
        .value_kind:     hidden_global_offset_z
      - .offset:         3440
        .size:           2
        .value_kind:     hidden_grid_dims
    .group_segment_fixed_size: 0
    .kernarg_segment_align: 8
    .kernarg_segment_size: 3632
    .language:       OpenCL C
    .language_version:
      - 2
      - 0
    .max_flat_workgroup_size: 512
    .name:           _ZN2at6native12_GLOBAL__N_125multi_tensor_apply_kernelINS1_18TensorListMetadataILi1EEENS1_14UnaryOpFunctorIN3c107complexIdEELi1ELi1ELi0EEEJSt6negateIS8_EEEEvT_T0_DpT1_
    .private_segment_fixed_size: 0
    .sgpr_count:     23
    .sgpr_spill_count: 0
    .symbol:         _ZN2at6native12_GLOBAL__N_125multi_tensor_apply_kernelINS1_18TensorListMetadataILi1EEENS1_14UnaryOpFunctorIN3c107complexIdEELi1ELi1ELi0EEEJSt6negateIS8_EEEEvT_T0_DpT1_.kd
    .uniform_work_group_size: 1
    .uses_dynamic_stack: false
    .vgpr_count:     31
    .vgpr_spill_count: 0
    .wavefront_size: 32
    .workgroup_processor_mode: 1
  - .args:
      - .offset:         0
        .size:           3368
        .value_kind:     by_value
      - .offset:         3368
        .size:           1
        .value_kind:     by_value
      - .offset:         3369
        .size:           1
        .value_kind:     by_value
      - .offset:         3376
        .size:           4
        .value_kind:     hidden_block_count_x
      - .offset:         3380
        .size:           4
        .value_kind:     hidden_block_count_y
      - .offset:         3384
        .size:           4
        .value_kind:     hidden_block_count_z
      - .offset:         3388
        .size:           2
        .value_kind:     hidden_group_size_x
      - .offset:         3390
        .size:           2
        .value_kind:     hidden_group_size_y
      - .offset:         3392
        .size:           2
        .value_kind:     hidden_group_size_z
      - .offset:         3394
        .size:           2
        .value_kind:     hidden_remainder_x
      - .offset:         3396
        .size:           2
        .value_kind:     hidden_remainder_y
      - .offset:         3398
        .size:           2
        .value_kind:     hidden_remainder_z
      - .offset:         3416
        .size:           8
        .value_kind:     hidden_global_offset_x
      - .offset:         3424
        .size:           8
        .value_kind:     hidden_global_offset_y
      - .offset:         3432
        .size:           8
        .value_kind:     hidden_global_offset_z
      - .offset:         3440
        .size:           2
        .value_kind:     hidden_grid_dims
    .group_segment_fixed_size: 0
    .kernarg_segment_align: 8
    .kernarg_segment_size: 3632
    .language:       OpenCL C
    .language_version:
      - 2
      - 0
    .max_flat_workgroup_size: 512
    .name:           _ZN2at6native12_GLOBAL__N_125multi_tensor_apply_kernelINS1_18TensorListMetadataILi1EEENS1_14UnaryOpFunctorIN3c107complexIfEELi1ELi1ELi0EEEJSt6negateIS8_EEEEvT_T0_DpT1_
    .private_segment_fixed_size: 0
    .sgpr_count:     23
    .sgpr_spill_count: 0
    .symbol:         _ZN2at6native12_GLOBAL__N_125multi_tensor_apply_kernelINS1_18TensorListMetadataILi1EEENS1_14UnaryOpFunctorIN3c107complexIfEELi1ELi1ELi0EEEJSt6negateIS8_EEEEvT_T0_DpT1_.kd
    .uniform_work_group_size: 1
    .uses_dynamic_stack: false
    .vgpr_count:     23
    .vgpr_spill_count: 0
    .wavefront_size: 32
    .workgroup_processor_mode: 1
  - .args:
      - .offset:         0
        .size:           3368
        .value_kind:     by_value
      - .offset:         3368
        .size:           1
        .value_kind:     by_value
      - .offset:         3369
        .size:           1
        .value_kind:     by_value
      - .offset:         3376
        .size:           4
        .value_kind:     hidden_block_count_x
      - .offset:         3380
        .size:           4
        .value_kind:     hidden_block_count_y
      - .offset:         3384
        .size:           4
        .value_kind:     hidden_block_count_z
      - .offset:         3388
        .size:           2
        .value_kind:     hidden_group_size_x
      - .offset:         3390
        .size:           2
        .value_kind:     hidden_group_size_y
      - .offset:         3392
        .size:           2
        .value_kind:     hidden_group_size_z
      - .offset:         3394
        .size:           2
        .value_kind:     hidden_remainder_x
      - .offset:         3396
        .size:           2
        .value_kind:     hidden_remainder_y
      - .offset:         3398
        .size:           2
        .value_kind:     hidden_remainder_z
      - .offset:         3416
        .size:           8
        .value_kind:     hidden_global_offset_x
      - .offset:         3424
        .size:           8
        .value_kind:     hidden_global_offset_y
      - .offset:         3432
        .size:           8
        .value_kind:     hidden_global_offset_z
      - .offset:         3440
        .size:           2
        .value_kind:     hidden_grid_dims
    .group_segment_fixed_size: 0
    .kernarg_segment_align: 8
    .kernarg_segment_size: 3632
    .language:       OpenCL C
    .language_version:
      - 2
      - 0
    .max_flat_workgroup_size: 512
    .name:           _ZN2at6native12_GLOBAL__N_125multi_tensor_apply_kernelINS1_18TensorListMetadataILi1EEENS1_14UnaryOpFunctorIN3c104HalfELi1ELi1ELi0EEEJSt6negateIfEEEEvT_T0_DpT1_
    .private_segment_fixed_size: 0
    .sgpr_count:     22
    .sgpr_spill_count: 0
    .symbol:         _ZN2at6native12_GLOBAL__N_125multi_tensor_apply_kernelINS1_18TensorListMetadataILi1EEENS1_14UnaryOpFunctorIN3c104HalfELi1ELi1ELi0EEEJSt6negateIfEEEEvT_T0_DpT1_.kd
    .uniform_work_group_size: 1
    .uses_dynamic_stack: false
    .vgpr_count:     17
    .vgpr_spill_count: 0
    .wavefront_size: 32
    .workgroup_processor_mode: 1
  - .args:
      - .offset:         0
        .size:           3368
        .value_kind:     by_value
      - .offset:         3368
        .size:           1
        .value_kind:     by_value
      - .offset:         3369
        .size:           1
        .value_kind:     by_value
      - .offset:         3376
        .size:           4
        .value_kind:     hidden_block_count_x
      - .offset:         3380
        .size:           4
        .value_kind:     hidden_block_count_y
      - .offset:         3384
        .size:           4
        .value_kind:     hidden_block_count_z
      - .offset:         3388
        .size:           2
        .value_kind:     hidden_group_size_x
      - .offset:         3390
        .size:           2
        .value_kind:     hidden_group_size_y
      - .offset:         3392
        .size:           2
        .value_kind:     hidden_group_size_z
      - .offset:         3394
        .size:           2
        .value_kind:     hidden_remainder_x
      - .offset:         3396
        .size:           2
        .value_kind:     hidden_remainder_y
      - .offset:         3398
        .size:           2
        .value_kind:     hidden_remainder_z
      - .offset:         3416
        .size:           8
        .value_kind:     hidden_global_offset_x
      - .offset:         3424
        .size:           8
        .value_kind:     hidden_global_offset_y
      - .offset:         3432
        .size:           8
        .value_kind:     hidden_global_offset_z
      - .offset:         3440
        .size:           2
        .value_kind:     hidden_grid_dims
    .group_segment_fixed_size: 0
    .kernarg_segment_align: 8
    .kernarg_segment_size: 3632
    .language:       OpenCL C
    .language_version:
      - 2
      - 0
    .max_flat_workgroup_size: 512
    .name:           _ZN2at6native12_GLOBAL__N_125multi_tensor_apply_kernelINS1_18TensorListMetadataILi1EEENS1_14UnaryOpFunctorIN3c108BFloat16ELi1ELi1ELi0EEEJSt6negateIfEEEEvT_T0_DpT1_
    .private_segment_fixed_size: 0
    .sgpr_count:     22
    .sgpr_spill_count: 0
    .symbol:         _ZN2at6native12_GLOBAL__N_125multi_tensor_apply_kernelINS1_18TensorListMetadataILi1EEENS1_14UnaryOpFunctorIN3c108BFloat16ELi1ELi1ELi0EEEJSt6negateIfEEEEvT_T0_DpT1_.kd
    .uniform_work_group_size: 1
    .uses_dynamic_stack: false
    .vgpr_count:     17
    .vgpr_spill_count: 0
    .wavefront_size: 32
    .workgroup_processor_mode: 1
  - .args:
      - .offset:         0
        .size:           3144
        .value_kind:     by_value
      - .offset:         3144
        .size:           1
        .value_kind:     by_value
      - .offset:         3145
        .size:           1
        .value_kind:     by_value
      - .offset:         3152
        .size:           4
        .value_kind:     hidden_block_count_x
      - .offset:         3156
        .size:           4
        .value_kind:     hidden_block_count_y
      - .offset:         3160
        .size:           4
        .value_kind:     hidden_block_count_z
      - .offset:         3164
        .size:           2
        .value_kind:     hidden_group_size_x
      - .offset:         3166
        .size:           2
        .value_kind:     hidden_group_size_y
      - .offset:         3168
        .size:           2
        .value_kind:     hidden_group_size_z
      - .offset:         3170
        .size:           2
        .value_kind:     hidden_remainder_x
      - .offset:         3172
        .size:           2
        .value_kind:     hidden_remainder_y
      - .offset:         3174
        .size:           2
        .value_kind:     hidden_remainder_z
      - .offset:         3192
        .size:           8
        .value_kind:     hidden_global_offset_x
      - .offset:         3200
        .size:           8
        .value_kind:     hidden_global_offset_y
      - .offset:         3208
        .size:           8
        .value_kind:     hidden_global_offset_z
      - .offset:         3216
        .size:           2
        .value_kind:     hidden_grid_dims
    .group_segment_fixed_size: 0
    .kernarg_segment_align: 8
    .kernarg_segment_size: 3408
    .language:       OpenCL C
    .language_version:
      - 2
      - 0
    .max_flat_workgroup_size: 512
    .name:           _ZN2at6native12_GLOBAL__N_125multi_tensor_apply_kernelINS1_18TensorListMetadataILi2EEENS1_14UnaryOpFunctorIhLi2ELi1ELi1EEEJNS0_3AbsIhEEEEEvT_T0_DpT1_
    .private_segment_fixed_size: 0
    .sgpr_count:     20
    .sgpr_spill_count: 0
    .symbol:         _ZN2at6native12_GLOBAL__N_125multi_tensor_apply_kernelINS1_18TensorListMetadataILi2EEENS1_14UnaryOpFunctorIhLi2ELi1ELi1EEEJNS0_3AbsIhEEEEEvT_T0_DpT1_.kd
    .uniform_work_group_size: 1
    .uses_dynamic_stack: false
    .vgpr_count:     29
    .vgpr_spill_count: 0
    .wavefront_size: 32
    .workgroup_processor_mode: 1
  - .args:
      - .offset:         0
        .size:           3144
        .value_kind:     by_value
      - .offset:         3144
        .size:           1
        .value_kind:     by_value
      - .offset:         3145
        .size:           1
        .value_kind:     by_value
      - .offset:         3152
        .size:           4
        .value_kind:     hidden_block_count_x
      - .offset:         3156
        .size:           4
        .value_kind:     hidden_block_count_y
      - .offset:         3160
        .size:           4
        .value_kind:     hidden_block_count_z
      - .offset:         3164
        .size:           2
        .value_kind:     hidden_group_size_x
      - .offset:         3166
        .size:           2
        .value_kind:     hidden_group_size_y
      - .offset:         3168
        .size:           2
        .value_kind:     hidden_group_size_z
      - .offset:         3170
        .size:           2
        .value_kind:     hidden_remainder_x
      - .offset:         3172
        .size:           2
        .value_kind:     hidden_remainder_y
      - .offset:         3174
        .size:           2
        .value_kind:     hidden_remainder_z
      - .offset:         3192
        .size:           8
        .value_kind:     hidden_global_offset_x
      - .offset:         3200
        .size:           8
        .value_kind:     hidden_global_offset_y
      - .offset:         3208
        .size:           8
        .value_kind:     hidden_global_offset_z
      - .offset:         3216
        .size:           2
        .value_kind:     hidden_grid_dims
    .group_segment_fixed_size: 0
    .kernarg_segment_align: 8
    .kernarg_segment_size: 3408
    .language:       OpenCL C
    .language_version:
      - 2
      - 0
    .max_flat_workgroup_size: 512
    .name:           _ZN2at6native12_GLOBAL__N_125multi_tensor_apply_kernelINS1_18TensorListMetadataILi2EEENS1_14UnaryOpFunctorIaLi2ELi1ELi1EEEJNS0_3AbsIaEEEEEvT_T0_DpT1_
    .private_segment_fixed_size: 0
    .sgpr_count:     20
    .sgpr_spill_count: 0
    .symbol:         _ZN2at6native12_GLOBAL__N_125multi_tensor_apply_kernelINS1_18TensorListMetadataILi2EEENS1_14UnaryOpFunctorIaLi2ELi1ELi1EEEJNS0_3AbsIaEEEEEvT_T0_DpT1_.kd
    .uniform_work_group_size: 1
    .uses_dynamic_stack: false
    .vgpr_count:     30
    .vgpr_spill_count: 0
    .wavefront_size: 32
    .workgroup_processor_mode: 1
  - .args:
      - .offset:         0
        .size:           3144
        .value_kind:     by_value
      - .offset:         3144
        .size:           1
        .value_kind:     by_value
      - .offset:         3145
        .size:           1
        .value_kind:     by_value
      - .offset:         3152
        .size:           4
        .value_kind:     hidden_block_count_x
      - .offset:         3156
        .size:           4
        .value_kind:     hidden_block_count_y
      - .offset:         3160
        .size:           4
        .value_kind:     hidden_block_count_z
      - .offset:         3164
        .size:           2
        .value_kind:     hidden_group_size_x
      - .offset:         3166
        .size:           2
        .value_kind:     hidden_group_size_y
      - .offset:         3168
        .size:           2
        .value_kind:     hidden_group_size_z
      - .offset:         3170
        .size:           2
        .value_kind:     hidden_remainder_x
      - .offset:         3172
        .size:           2
        .value_kind:     hidden_remainder_y
      - .offset:         3174
        .size:           2
        .value_kind:     hidden_remainder_z
      - .offset:         3192
        .size:           8
        .value_kind:     hidden_global_offset_x
      - .offset:         3200
        .size:           8
        .value_kind:     hidden_global_offset_y
      - .offset:         3208
        .size:           8
        .value_kind:     hidden_global_offset_z
      - .offset:         3216
        .size:           2
        .value_kind:     hidden_grid_dims
    .group_segment_fixed_size: 0
    .kernarg_segment_align: 8
    .kernarg_segment_size: 3408
    .language:       OpenCL C
    .language_version:
      - 2
      - 0
    .max_flat_workgroup_size: 512
    .name:           _ZN2at6native12_GLOBAL__N_125multi_tensor_apply_kernelINS1_18TensorListMetadataILi2EEENS1_14UnaryOpFunctorIiLi2ELi1ELi1EEEJNS0_3AbsIiEEEEEvT_T0_DpT1_
    .private_segment_fixed_size: 0
    .sgpr_count:     24
    .sgpr_spill_count: 0
    .symbol:         _ZN2at6native12_GLOBAL__N_125multi_tensor_apply_kernelINS1_18TensorListMetadataILi2EEENS1_14UnaryOpFunctorIiLi2ELi1ELi1EEEJNS0_3AbsIiEEEEEvT_T0_DpT1_.kd
    .uniform_work_group_size: 1
    .uses_dynamic_stack: false
    .vgpr_count:     30
    .vgpr_spill_count: 0
    .wavefront_size: 32
    .workgroup_processor_mode: 1
  - .args:
      - .offset:         0
        .size:           3144
        .value_kind:     by_value
      - .offset:         3144
        .size:           1
        .value_kind:     by_value
      - .offset:         3145
        .size:           1
        .value_kind:     by_value
      - .offset:         3152
        .size:           4
        .value_kind:     hidden_block_count_x
      - .offset:         3156
        .size:           4
        .value_kind:     hidden_block_count_y
      - .offset:         3160
        .size:           4
        .value_kind:     hidden_block_count_z
      - .offset:         3164
        .size:           2
        .value_kind:     hidden_group_size_x
      - .offset:         3166
        .size:           2
        .value_kind:     hidden_group_size_y
      - .offset:         3168
        .size:           2
        .value_kind:     hidden_group_size_z
      - .offset:         3170
        .size:           2
        .value_kind:     hidden_remainder_x
      - .offset:         3172
        .size:           2
        .value_kind:     hidden_remainder_y
      - .offset:         3174
        .size:           2
        .value_kind:     hidden_remainder_z
      - .offset:         3192
        .size:           8
        .value_kind:     hidden_global_offset_x
      - .offset:         3200
        .size:           8
        .value_kind:     hidden_global_offset_y
      - .offset:         3208
        .size:           8
        .value_kind:     hidden_global_offset_z
      - .offset:         3216
        .size:           2
        .value_kind:     hidden_grid_dims
    .group_segment_fixed_size: 0
    .kernarg_segment_align: 8
    .kernarg_segment_size: 3408
    .language:       OpenCL C
    .language_version:
      - 2
      - 0
    .max_flat_workgroup_size: 512
    .name:           _ZN2at6native12_GLOBAL__N_125multi_tensor_apply_kernelINS1_18TensorListMetadataILi2EEENS1_14UnaryOpFunctorIlLi2ELi1ELi1EEEJNS0_3AbsIlEEEEEvT_T0_DpT1_
    .private_segment_fixed_size: 0
    .sgpr_count:     24
    .sgpr_spill_count: 0
    .symbol:         _ZN2at6native12_GLOBAL__N_125multi_tensor_apply_kernelINS1_18TensorListMetadataILi2EEENS1_14UnaryOpFunctorIlLi2ELi1ELi1EEEJNS0_3AbsIlEEEEEvT_T0_DpT1_.kd
    .uniform_work_group_size: 1
    .uses_dynamic_stack: false
    .vgpr_count:     34
    .vgpr_spill_count: 0
    .wavefront_size: 32
    .workgroup_processor_mode: 1
  - .args:
      - .offset:         0
        .size:           3144
        .value_kind:     by_value
      - .offset:         3144
        .size:           1
        .value_kind:     by_value
      - .offset:         3145
        .size:           1
        .value_kind:     by_value
      - .offset:         3152
        .size:           4
        .value_kind:     hidden_block_count_x
      - .offset:         3156
        .size:           4
        .value_kind:     hidden_block_count_y
      - .offset:         3160
        .size:           4
        .value_kind:     hidden_block_count_z
      - .offset:         3164
        .size:           2
        .value_kind:     hidden_group_size_x
      - .offset:         3166
        .size:           2
        .value_kind:     hidden_group_size_y
      - .offset:         3168
        .size:           2
        .value_kind:     hidden_group_size_z
      - .offset:         3170
        .size:           2
        .value_kind:     hidden_remainder_x
      - .offset:         3172
        .size:           2
        .value_kind:     hidden_remainder_y
      - .offset:         3174
        .size:           2
        .value_kind:     hidden_remainder_z
      - .offset:         3192
        .size:           8
        .value_kind:     hidden_global_offset_x
      - .offset:         3200
        .size:           8
        .value_kind:     hidden_global_offset_y
      - .offset:         3208
        .size:           8
        .value_kind:     hidden_global_offset_z
      - .offset:         3216
        .size:           2
        .value_kind:     hidden_grid_dims
    .group_segment_fixed_size: 0
    .kernarg_segment_align: 8
    .kernarg_segment_size: 3408
    .language:       OpenCL C
    .language_version:
      - 2
      - 0
    .max_flat_workgroup_size: 512
    .name:           _ZN2at6native12_GLOBAL__N_125multi_tensor_apply_kernelINS1_18TensorListMetadataILi2EEENS1_14UnaryOpFunctorIsLi2ELi1ELi1EEEJNS0_3AbsIsEEEEEvT_T0_DpT1_
    .private_segment_fixed_size: 0
    .sgpr_count:     20
    .sgpr_spill_count: 0
    .symbol:         _ZN2at6native12_GLOBAL__N_125multi_tensor_apply_kernelINS1_18TensorListMetadataILi2EEENS1_14UnaryOpFunctorIsLi2ELi1ELi1EEEJNS0_3AbsIsEEEEEvT_T0_DpT1_.kd
    .uniform_work_group_size: 1
    .uses_dynamic_stack: false
    .vgpr_count:     30
    .vgpr_spill_count: 0
    .wavefront_size: 32
    .workgroup_processor_mode: 1
  - .args:
      - .offset:         0
        .size:           3144
        .value_kind:     by_value
      - .offset:         3144
        .size:           1
        .value_kind:     by_value
      - .offset:         3145
        .size:           1
        .value_kind:     by_value
      - .offset:         3152
        .size:           4
        .value_kind:     hidden_block_count_x
      - .offset:         3156
        .size:           4
        .value_kind:     hidden_block_count_y
      - .offset:         3160
        .size:           4
        .value_kind:     hidden_block_count_z
      - .offset:         3164
        .size:           2
        .value_kind:     hidden_group_size_x
      - .offset:         3166
        .size:           2
        .value_kind:     hidden_group_size_y
      - .offset:         3168
        .size:           2
        .value_kind:     hidden_group_size_z
      - .offset:         3170
        .size:           2
        .value_kind:     hidden_remainder_x
      - .offset:         3172
        .size:           2
        .value_kind:     hidden_remainder_y
      - .offset:         3174
        .size:           2
        .value_kind:     hidden_remainder_z
      - .offset:         3192
        .size:           8
        .value_kind:     hidden_global_offset_x
      - .offset:         3200
        .size:           8
        .value_kind:     hidden_global_offset_y
      - .offset:         3208
        .size:           8
        .value_kind:     hidden_global_offset_z
      - .offset:         3216
        .size:           2
        .value_kind:     hidden_grid_dims
    .group_segment_fixed_size: 0
    .kernarg_segment_align: 8
    .kernarg_segment_size: 3408
    .language:       OpenCL C
    .language_version:
      - 2
      - 0
    .max_flat_workgroup_size: 512
    .name:           _ZN2at6native12_GLOBAL__N_125multi_tensor_apply_kernelINS1_18TensorListMetadataILi2EEENS1_14UnaryOpFunctorIdLi2ELi1ELi1EEEJNS0_3AbsIdEEEEEvT_T0_DpT1_
    .private_segment_fixed_size: 0
    .sgpr_count:     24
    .sgpr_spill_count: 0
    .symbol:         _ZN2at6native12_GLOBAL__N_125multi_tensor_apply_kernelINS1_18TensorListMetadataILi2EEENS1_14UnaryOpFunctorIdLi2ELi1ELi1EEEJNS0_3AbsIdEEEEEvT_T0_DpT1_.kd
    .uniform_work_group_size: 1
    .uses_dynamic_stack: false
    .vgpr_count:     33
    .vgpr_spill_count: 0
    .wavefront_size: 32
    .workgroup_processor_mode: 1
  - .args:
      - .offset:         0
        .size:           3144
        .value_kind:     by_value
      - .offset:         3144
        .size:           1
        .value_kind:     by_value
      - .offset:         3145
        .size:           1
        .value_kind:     by_value
      - .offset:         3152
        .size:           4
        .value_kind:     hidden_block_count_x
      - .offset:         3156
        .size:           4
        .value_kind:     hidden_block_count_y
      - .offset:         3160
        .size:           4
        .value_kind:     hidden_block_count_z
      - .offset:         3164
        .size:           2
        .value_kind:     hidden_group_size_x
      - .offset:         3166
        .size:           2
        .value_kind:     hidden_group_size_y
      - .offset:         3168
        .size:           2
        .value_kind:     hidden_group_size_z
      - .offset:         3170
        .size:           2
        .value_kind:     hidden_remainder_x
      - .offset:         3172
        .size:           2
        .value_kind:     hidden_remainder_y
      - .offset:         3174
        .size:           2
        .value_kind:     hidden_remainder_z
      - .offset:         3192
        .size:           8
        .value_kind:     hidden_global_offset_x
      - .offset:         3200
        .size:           8
        .value_kind:     hidden_global_offset_y
      - .offset:         3208
        .size:           8
        .value_kind:     hidden_global_offset_z
      - .offset:         3216
        .size:           2
        .value_kind:     hidden_grid_dims
    .group_segment_fixed_size: 0
    .kernarg_segment_align: 8
    .kernarg_segment_size: 3408
    .language:       OpenCL C
    .language_version:
      - 2
      - 0
    .max_flat_workgroup_size: 512
    .name:           _ZN2at6native12_GLOBAL__N_125multi_tensor_apply_kernelINS1_18TensorListMetadataILi2EEENS1_14UnaryOpFunctorIfLi2ELi1ELi1EEEJNS0_3AbsIfEEEEEvT_T0_DpT1_
    .private_segment_fixed_size: 0
    .sgpr_count:     24
    .sgpr_spill_count: 0
    .symbol:         _ZN2at6native12_GLOBAL__N_125multi_tensor_apply_kernelINS1_18TensorListMetadataILi2EEENS1_14UnaryOpFunctorIfLi2ELi1ELi1EEEJNS0_3AbsIfEEEEEvT_T0_DpT1_.kd
    .uniform_work_group_size: 1
    .uses_dynamic_stack: false
    .vgpr_count:     29
    .vgpr_spill_count: 0
    .wavefront_size: 32
    .workgroup_processor_mode: 1
  - .args:
      - .offset:         0
        .size:           3144
        .value_kind:     by_value
      - .offset:         3144
        .size:           1
        .value_kind:     by_value
      - .offset:         3145
        .size:           1
        .value_kind:     by_value
      - .offset:         3152
        .size:           4
        .value_kind:     hidden_block_count_x
      - .offset:         3156
        .size:           4
        .value_kind:     hidden_block_count_y
      - .offset:         3160
        .size:           4
        .value_kind:     hidden_block_count_z
      - .offset:         3164
        .size:           2
        .value_kind:     hidden_group_size_x
      - .offset:         3166
        .size:           2
        .value_kind:     hidden_group_size_y
      - .offset:         3168
        .size:           2
        .value_kind:     hidden_group_size_z
      - .offset:         3170
        .size:           2
        .value_kind:     hidden_remainder_x
      - .offset:         3172
        .size:           2
        .value_kind:     hidden_remainder_y
      - .offset:         3174
        .size:           2
        .value_kind:     hidden_remainder_z
      - .offset:         3192
        .size:           8
        .value_kind:     hidden_global_offset_x
      - .offset:         3200
        .size:           8
        .value_kind:     hidden_global_offset_y
      - .offset:         3208
        .size:           8
        .value_kind:     hidden_global_offset_z
      - .offset:         3216
        .size:           2
        .value_kind:     hidden_grid_dims
    .group_segment_fixed_size: 0
    .kernarg_segment_align: 8
    .kernarg_segment_size: 3408
    .language:       OpenCL C
    .language_version:
      - 2
      - 0
    .max_flat_workgroup_size: 512
    .name:           _ZN2at6native12_GLOBAL__N_125multi_tensor_apply_kernelINS1_18TensorListMetadataILi2EEENS1_14UnaryOpFunctorIN3c107complexIdEELi2ELi1ELi1EEEJNS0_3AbsIS8_EEEEEvT_T0_DpT1_
    .private_segment_fixed_size: 0
    .sgpr_count:     34
    .sgpr_spill_count: 0
    .symbol:         _ZN2at6native12_GLOBAL__N_125multi_tensor_apply_kernelINS1_18TensorListMetadataILi2EEENS1_14UnaryOpFunctorIN3c107complexIdEELi2ELi1ELi1EEEJNS0_3AbsIS8_EEEEEvT_T0_DpT1_.kd
    .uniform_work_group_size: 1
    .uses_dynamic_stack: false
    .vgpr_count:     57
    .vgpr_spill_count: 0
    .wavefront_size: 32
    .workgroup_processor_mode: 1
  - .args:
      - .offset:         0
        .size:           3144
        .value_kind:     by_value
      - .offset:         3144
        .size:           1
        .value_kind:     by_value
      - .offset:         3145
        .size:           1
        .value_kind:     by_value
      - .offset:         3152
        .size:           4
        .value_kind:     hidden_block_count_x
      - .offset:         3156
        .size:           4
        .value_kind:     hidden_block_count_y
      - .offset:         3160
        .size:           4
        .value_kind:     hidden_block_count_z
      - .offset:         3164
        .size:           2
        .value_kind:     hidden_group_size_x
      - .offset:         3166
        .size:           2
        .value_kind:     hidden_group_size_y
      - .offset:         3168
        .size:           2
        .value_kind:     hidden_group_size_z
      - .offset:         3170
        .size:           2
        .value_kind:     hidden_remainder_x
      - .offset:         3172
        .size:           2
        .value_kind:     hidden_remainder_y
      - .offset:         3174
        .size:           2
        .value_kind:     hidden_remainder_z
      - .offset:         3192
        .size:           8
        .value_kind:     hidden_global_offset_x
      - .offset:         3200
        .size:           8
        .value_kind:     hidden_global_offset_y
      - .offset:         3208
        .size:           8
        .value_kind:     hidden_global_offset_z
      - .offset:         3216
        .size:           2
        .value_kind:     hidden_grid_dims
    .group_segment_fixed_size: 0
    .kernarg_segment_align: 8
    .kernarg_segment_size: 3408
    .language:       OpenCL C
    .language_version:
      - 2
      - 0
    .max_flat_workgroup_size: 512
    .name:           _ZN2at6native12_GLOBAL__N_125multi_tensor_apply_kernelINS1_18TensorListMetadataILi2EEENS1_14UnaryOpFunctorIN3c107complexIfEELi2ELi1ELi1EEEJNS0_3AbsIS8_EEEEEvT_T0_DpT1_
    .private_segment_fixed_size: 0
    .sgpr_count:     26
    .sgpr_spill_count: 0
    .symbol:         _ZN2at6native12_GLOBAL__N_125multi_tensor_apply_kernelINS1_18TensorListMetadataILi2EEENS1_14UnaryOpFunctorIN3c107complexIfEELi2ELi1ELi1EEEJNS0_3AbsIS8_EEEEEvT_T0_DpT1_.kd
    .uniform_work_group_size: 1
    .uses_dynamic_stack: false
    .vgpr_count:     30
    .vgpr_spill_count: 0
    .wavefront_size: 32
    .workgroup_processor_mode: 1
  - .args:
      - .offset:         0
        .size:           3144
        .value_kind:     by_value
      - .offset:         3144
        .size:           1
        .value_kind:     by_value
      - .offset:         3145
        .size:           1
        .value_kind:     by_value
      - .offset:         3152
        .size:           4
        .value_kind:     hidden_block_count_x
      - .offset:         3156
        .size:           4
        .value_kind:     hidden_block_count_y
      - .offset:         3160
        .size:           4
        .value_kind:     hidden_block_count_z
      - .offset:         3164
        .size:           2
        .value_kind:     hidden_group_size_x
      - .offset:         3166
        .size:           2
        .value_kind:     hidden_group_size_y
      - .offset:         3168
        .size:           2
        .value_kind:     hidden_group_size_z
      - .offset:         3170
        .size:           2
        .value_kind:     hidden_remainder_x
      - .offset:         3172
        .size:           2
        .value_kind:     hidden_remainder_y
      - .offset:         3174
        .size:           2
        .value_kind:     hidden_remainder_z
      - .offset:         3192
        .size:           8
        .value_kind:     hidden_global_offset_x
      - .offset:         3200
        .size:           8
        .value_kind:     hidden_global_offset_y
      - .offset:         3208
        .size:           8
        .value_kind:     hidden_global_offset_z
      - .offset:         3216
        .size:           2
        .value_kind:     hidden_grid_dims
    .group_segment_fixed_size: 0
    .kernarg_segment_align: 8
    .kernarg_segment_size: 3408
    .language:       OpenCL C
    .language_version:
      - 2
      - 0
    .max_flat_workgroup_size: 512
    .name:           _ZN2at6native12_GLOBAL__N_125multi_tensor_apply_kernelINS1_18TensorListMetadataILi2EEENS1_14UnaryOpFunctorIN3c104HalfELi2ELi1ELi1EEEJNS0_3AbsIfEEEEEvT_T0_DpT1_
    .private_segment_fixed_size: 0
    .sgpr_count:     20
    .sgpr_spill_count: 0
    .symbol:         _ZN2at6native12_GLOBAL__N_125multi_tensor_apply_kernelINS1_18TensorListMetadataILi2EEENS1_14UnaryOpFunctorIN3c104HalfELi2ELi1ELi1EEEJNS0_3AbsIfEEEEEvT_T0_DpT1_.kd
    .uniform_work_group_size: 1
    .uses_dynamic_stack: false
    .vgpr_count:     29
    .vgpr_spill_count: 0
    .wavefront_size: 32
    .workgroup_processor_mode: 1
  - .args:
      - .offset:         0
        .size:           3144
        .value_kind:     by_value
      - .offset:         3144
        .size:           1
        .value_kind:     by_value
      - .offset:         3145
        .size:           1
        .value_kind:     by_value
      - .offset:         3152
        .size:           4
        .value_kind:     hidden_block_count_x
      - .offset:         3156
        .size:           4
        .value_kind:     hidden_block_count_y
      - .offset:         3160
        .size:           4
        .value_kind:     hidden_block_count_z
      - .offset:         3164
        .size:           2
        .value_kind:     hidden_group_size_x
      - .offset:         3166
        .size:           2
        .value_kind:     hidden_group_size_y
      - .offset:         3168
        .size:           2
        .value_kind:     hidden_group_size_z
      - .offset:         3170
        .size:           2
        .value_kind:     hidden_remainder_x
      - .offset:         3172
        .size:           2
        .value_kind:     hidden_remainder_y
      - .offset:         3174
        .size:           2
        .value_kind:     hidden_remainder_z
      - .offset:         3192
        .size:           8
        .value_kind:     hidden_global_offset_x
      - .offset:         3200
        .size:           8
        .value_kind:     hidden_global_offset_y
      - .offset:         3208
        .size:           8
        .value_kind:     hidden_global_offset_z
      - .offset:         3216
        .size:           2
        .value_kind:     hidden_grid_dims
    .group_segment_fixed_size: 0
    .kernarg_segment_align: 8
    .kernarg_segment_size: 3408
    .language:       OpenCL C
    .language_version:
      - 2
      - 0
    .max_flat_workgroup_size: 512
    .name:           _ZN2at6native12_GLOBAL__N_125multi_tensor_apply_kernelINS1_18TensorListMetadataILi2EEENS1_14UnaryOpFunctorIN3c108BFloat16ELi2ELi1ELi1EEEJNS0_3AbsIfEEEEEvT_T0_DpT1_
    .private_segment_fixed_size: 0
    .sgpr_count:     20
    .sgpr_spill_count: 0
    .symbol:         _ZN2at6native12_GLOBAL__N_125multi_tensor_apply_kernelINS1_18TensorListMetadataILi2EEENS1_14UnaryOpFunctorIN3c108BFloat16ELi2ELi1ELi1EEEJNS0_3AbsIfEEEEEvT_T0_DpT1_.kd
    .uniform_work_group_size: 1
    .uses_dynamic_stack: false
    .vgpr_count:     29
    .vgpr_spill_count: 0
    .wavefront_size: 32
    .workgroup_processor_mode: 1
  - .args:
      - .offset:         0
        .size:           3144
        .value_kind:     by_value
      - .offset:         3144
        .size:           1
        .value_kind:     by_value
      - .offset:         3145
        .size:           1
        .value_kind:     by_value
      - .offset:         3152
        .size:           4
        .value_kind:     hidden_block_count_x
      - .offset:         3156
        .size:           4
        .value_kind:     hidden_block_count_y
      - .offset:         3160
        .size:           4
        .value_kind:     hidden_block_count_z
      - .offset:         3164
        .size:           2
        .value_kind:     hidden_group_size_x
      - .offset:         3166
        .size:           2
        .value_kind:     hidden_group_size_y
      - .offset:         3168
        .size:           2
        .value_kind:     hidden_group_size_z
      - .offset:         3170
        .size:           2
        .value_kind:     hidden_remainder_x
      - .offset:         3172
        .size:           2
        .value_kind:     hidden_remainder_y
      - .offset:         3174
        .size:           2
        .value_kind:     hidden_remainder_z
      - .offset:         3192
        .size:           8
        .value_kind:     hidden_global_offset_x
      - .offset:         3200
        .size:           8
        .value_kind:     hidden_global_offset_y
      - .offset:         3208
        .size:           8
        .value_kind:     hidden_global_offset_z
      - .offset:         3216
        .size:           2
        .value_kind:     hidden_grid_dims
    .group_segment_fixed_size: 0
    .kernarg_segment_align: 8
    .kernarg_segment_size: 3408
    .language:       OpenCL C
    .language_version:
      - 2
      - 0
    .max_flat_workgroup_size: 512
    .name:           _ZN2at6native12_GLOBAL__N_125multi_tensor_apply_kernelINS1_18TensorListMetadataILi2EEENS1_14UnaryOpFunctorIbLi2ELi1ELi1EEEJNS0_3AbsIbEEEEEvT_T0_DpT1_
    .private_segment_fixed_size: 0
    .sgpr_count:     20
    .sgpr_spill_count: 0
    .symbol:         _ZN2at6native12_GLOBAL__N_125multi_tensor_apply_kernelINS1_18TensorListMetadataILi2EEENS1_14UnaryOpFunctorIbLi2ELi1ELi1EEEJNS0_3AbsIbEEEEEvT_T0_DpT1_.kd
    .uniform_work_group_size: 1
    .uses_dynamic_stack: false
    .vgpr_count:     29
    .vgpr_spill_count: 0
    .wavefront_size: 32
    .workgroup_processor_mode: 1
  - .args:
      - .offset:         0
        .size:           3368
        .value_kind:     by_value
      - .offset:         3368
        .size:           1
        .value_kind:     by_value
      - .offset:         3369
        .size:           1
        .value_kind:     by_value
      - .offset:         3376
        .size:           4
        .value_kind:     hidden_block_count_x
      - .offset:         3380
        .size:           4
        .value_kind:     hidden_block_count_y
      - .offset:         3384
        .size:           4
        .value_kind:     hidden_block_count_z
      - .offset:         3388
        .size:           2
        .value_kind:     hidden_group_size_x
      - .offset:         3390
        .size:           2
        .value_kind:     hidden_group_size_y
      - .offset:         3392
        .size:           2
        .value_kind:     hidden_group_size_z
      - .offset:         3394
        .size:           2
        .value_kind:     hidden_remainder_x
      - .offset:         3396
        .size:           2
        .value_kind:     hidden_remainder_y
      - .offset:         3398
        .size:           2
        .value_kind:     hidden_remainder_z
      - .offset:         3416
        .size:           8
        .value_kind:     hidden_global_offset_x
      - .offset:         3424
        .size:           8
        .value_kind:     hidden_global_offset_y
      - .offset:         3432
        .size:           8
        .value_kind:     hidden_global_offset_z
      - .offset:         3440
        .size:           2
        .value_kind:     hidden_grid_dims
    .group_segment_fixed_size: 0
    .kernarg_segment_align: 8
    .kernarg_segment_size: 3632
    .language:       OpenCL C
    .language_version:
      - 2
      - 0
    .max_flat_workgroup_size: 512
    .name:           _ZN2at6native12_GLOBAL__N_125multi_tensor_apply_kernelINS1_18TensorListMetadataILi1EEENS1_14UnaryOpFunctorIhLi1ELi1ELi0EEEJNS0_3AbsIhEEEEEvT_T0_DpT1_
    .private_segment_fixed_size: 0
    .sgpr_count:     18
    .sgpr_spill_count: 0
    .symbol:         _ZN2at6native12_GLOBAL__N_125multi_tensor_apply_kernelINS1_18TensorListMetadataILi1EEENS1_14UnaryOpFunctorIhLi1ELi1ELi0EEEJNS0_3AbsIhEEEEEvT_T0_DpT1_.kd
    .uniform_work_group_size: 1
    .uses_dynamic_stack: false
    .vgpr_count:     21
    .vgpr_spill_count: 0
    .wavefront_size: 32
    .workgroup_processor_mode: 1
  - .args:
      - .offset:         0
        .size:           3368
        .value_kind:     by_value
      - .offset:         3368
        .size:           1
        .value_kind:     by_value
      - .offset:         3369
        .size:           1
        .value_kind:     by_value
      - .offset:         3376
        .size:           4
        .value_kind:     hidden_block_count_x
      - .offset:         3380
        .size:           4
        .value_kind:     hidden_block_count_y
      - .offset:         3384
        .size:           4
        .value_kind:     hidden_block_count_z
      - .offset:         3388
        .size:           2
        .value_kind:     hidden_group_size_x
      - .offset:         3390
        .size:           2
        .value_kind:     hidden_group_size_y
      - .offset:         3392
        .size:           2
        .value_kind:     hidden_group_size_z
      - .offset:         3394
        .size:           2
        .value_kind:     hidden_remainder_x
      - .offset:         3396
        .size:           2
        .value_kind:     hidden_remainder_y
      - .offset:         3398
        .size:           2
        .value_kind:     hidden_remainder_z
      - .offset:         3416
        .size:           8
        .value_kind:     hidden_global_offset_x
      - .offset:         3424
        .size:           8
        .value_kind:     hidden_global_offset_y
      - .offset:         3432
        .size:           8
        .value_kind:     hidden_global_offset_z
      - .offset:         3440
        .size:           2
        .value_kind:     hidden_grid_dims
    .group_segment_fixed_size: 0
    .kernarg_segment_align: 8
    .kernarg_segment_size: 3632
    .language:       OpenCL C
    .language_version:
      - 2
      - 0
    .max_flat_workgroup_size: 512
    .name:           _ZN2at6native12_GLOBAL__N_125multi_tensor_apply_kernelINS1_18TensorListMetadataILi1EEENS1_14UnaryOpFunctorIaLi1ELi1ELi0EEEJNS0_3AbsIaEEEEEvT_T0_DpT1_
    .private_segment_fixed_size: 0
    .sgpr_count:     19
    .sgpr_spill_count: 0
    .symbol:         _ZN2at6native12_GLOBAL__N_125multi_tensor_apply_kernelINS1_18TensorListMetadataILi1EEENS1_14UnaryOpFunctorIaLi1ELi1ELi0EEEJNS0_3AbsIaEEEEEvT_T0_DpT1_.kd
    .uniform_work_group_size: 1
    .uses_dynamic_stack: false
    .vgpr_count:     22
    .vgpr_spill_count: 0
    .wavefront_size: 32
    .workgroup_processor_mode: 1
  - .args:
      - .offset:         0
        .size:           3368
        .value_kind:     by_value
      - .offset:         3368
        .size:           1
        .value_kind:     by_value
      - .offset:         3369
        .size:           1
        .value_kind:     by_value
      - .offset:         3376
        .size:           4
        .value_kind:     hidden_block_count_x
      - .offset:         3380
        .size:           4
        .value_kind:     hidden_block_count_y
      - .offset:         3384
        .size:           4
        .value_kind:     hidden_block_count_z
      - .offset:         3388
        .size:           2
        .value_kind:     hidden_group_size_x
      - .offset:         3390
        .size:           2
        .value_kind:     hidden_group_size_y
      - .offset:         3392
        .size:           2
        .value_kind:     hidden_group_size_z
      - .offset:         3394
        .size:           2
        .value_kind:     hidden_remainder_x
      - .offset:         3396
        .size:           2
        .value_kind:     hidden_remainder_y
      - .offset:         3398
        .size:           2
        .value_kind:     hidden_remainder_z
      - .offset:         3416
        .size:           8
        .value_kind:     hidden_global_offset_x
      - .offset:         3424
        .size:           8
        .value_kind:     hidden_global_offset_y
      - .offset:         3432
        .size:           8
        .value_kind:     hidden_global_offset_z
      - .offset:         3440
        .size:           2
        .value_kind:     hidden_grid_dims
    .group_segment_fixed_size: 0
    .kernarg_segment_align: 8
    .kernarg_segment_size: 3632
    .language:       OpenCL C
    .language_version:
      - 2
      - 0
    .max_flat_workgroup_size: 512
    .name:           _ZN2at6native12_GLOBAL__N_125multi_tensor_apply_kernelINS1_18TensorListMetadataILi1EEENS1_14UnaryOpFunctorIiLi1ELi1ELi0EEEJNS0_3AbsIiEEEEEvT_T0_DpT1_
    .private_segment_fixed_size: 0
    .sgpr_count:     23
    .sgpr_spill_count: 0
    .symbol:         _ZN2at6native12_GLOBAL__N_125multi_tensor_apply_kernelINS1_18TensorListMetadataILi1EEENS1_14UnaryOpFunctorIiLi1ELi1ELi0EEEJNS0_3AbsIiEEEEEvT_T0_DpT1_.kd
    .uniform_work_group_size: 1
    .uses_dynamic_stack: false
    .vgpr_count:     17
    .vgpr_spill_count: 0
    .wavefront_size: 32
    .workgroup_processor_mode: 1
  - .args:
      - .offset:         0
        .size:           3368
        .value_kind:     by_value
      - .offset:         3368
        .size:           1
        .value_kind:     by_value
      - .offset:         3369
        .size:           1
        .value_kind:     by_value
      - .offset:         3376
        .size:           4
        .value_kind:     hidden_block_count_x
      - .offset:         3380
        .size:           4
        .value_kind:     hidden_block_count_y
      - .offset:         3384
        .size:           4
        .value_kind:     hidden_block_count_z
      - .offset:         3388
        .size:           2
        .value_kind:     hidden_group_size_x
      - .offset:         3390
        .size:           2
        .value_kind:     hidden_group_size_y
      - .offset:         3392
        .size:           2
        .value_kind:     hidden_group_size_z
      - .offset:         3394
        .size:           2
        .value_kind:     hidden_remainder_x
      - .offset:         3396
        .size:           2
        .value_kind:     hidden_remainder_y
      - .offset:         3398
        .size:           2
        .value_kind:     hidden_remainder_z
      - .offset:         3416
        .size:           8
        .value_kind:     hidden_global_offset_x
      - .offset:         3424
        .size:           8
        .value_kind:     hidden_global_offset_y
      - .offset:         3432
        .size:           8
        .value_kind:     hidden_global_offset_z
      - .offset:         3440
        .size:           2
        .value_kind:     hidden_grid_dims
    .group_segment_fixed_size: 0
    .kernarg_segment_align: 8
    .kernarg_segment_size: 3632
    .language:       OpenCL C
    .language_version:
      - 2
      - 0
    .max_flat_workgroup_size: 512
    .name:           _ZN2at6native12_GLOBAL__N_125multi_tensor_apply_kernelINS1_18TensorListMetadataILi1EEENS1_14UnaryOpFunctorIlLi1ELi1ELi0EEEJNS0_3AbsIlEEEEEvT_T0_DpT1_
    .private_segment_fixed_size: 0
    .sgpr_count:     23
    .sgpr_spill_count: 0
    .symbol:         _ZN2at6native12_GLOBAL__N_125multi_tensor_apply_kernelINS1_18TensorListMetadataILi1EEENS1_14UnaryOpFunctorIlLi1ELi1ELi0EEEJNS0_3AbsIlEEEEEvT_T0_DpT1_.kd
    .uniform_work_group_size: 1
    .uses_dynamic_stack: false
    .vgpr_count:     21
    .vgpr_spill_count: 0
    .wavefront_size: 32
    .workgroup_processor_mode: 1
  - .args:
      - .offset:         0
        .size:           3368
        .value_kind:     by_value
      - .offset:         3368
        .size:           1
        .value_kind:     by_value
      - .offset:         3369
        .size:           1
        .value_kind:     by_value
      - .offset:         3376
        .size:           4
        .value_kind:     hidden_block_count_x
      - .offset:         3380
        .size:           4
        .value_kind:     hidden_block_count_y
      - .offset:         3384
        .size:           4
        .value_kind:     hidden_block_count_z
      - .offset:         3388
        .size:           2
        .value_kind:     hidden_group_size_x
      - .offset:         3390
        .size:           2
        .value_kind:     hidden_group_size_y
      - .offset:         3392
        .size:           2
        .value_kind:     hidden_group_size_z
      - .offset:         3394
        .size:           2
        .value_kind:     hidden_remainder_x
      - .offset:         3396
        .size:           2
        .value_kind:     hidden_remainder_y
      - .offset:         3398
        .size:           2
        .value_kind:     hidden_remainder_z
      - .offset:         3416
        .size:           8
        .value_kind:     hidden_global_offset_x
      - .offset:         3424
        .size:           8
        .value_kind:     hidden_global_offset_y
      - .offset:         3432
        .size:           8
        .value_kind:     hidden_global_offset_z
      - .offset:         3440
        .size:           2
        .value_kind:     hidden_grid_dims
    .group_segment_fixed_size: 0
    .kernarg_segment_align: 8
    .kernarg_segment_size: 3632
    .language:       OpenCL C
    .language_version:
      - 2
      - 0
    .max_flat_workgroup_size: 512
    .name:           _ZN2at6native12_GLOBAL__N_125multi_tensor_apply_kernelINS1_18TensorListMetadataILi1EEENS1_14UnaryOpFunctorIsLi1ELi1ELi0EEEJNS0_3AbsIsEEEEEvT_T0_DpT1_
    .private_segment_fixed_size: 0
    .sgpr_count:     22
    .sgpr_spill_count: 0
    .symbol:         _ZN2at6native12_GLOBAL__N_125multi_tensor_apply_kernelINS1_18TensorListMetadataILi1EEENS1_14UnaryOpFunctorIsLi1ELi1ELi0EEEJNS0_3AbsIsEEEEEvT_T0_DpT1_.kd
    .uniform_work_group_size: 1
    .uses_dynamic_stack: false
    .vgpr_count:     17
    .vgpr_spill_count: 0
    .wavefront_size: 32
    .workgroup_processor_mode: 1
  - .args:
      - .offset:         0
        .size:           3368
        .value_kind:     by_value
      - .offset:         3368
        .size:           1
        .value_kind:     by_value
      - .offset:         3369
        .size:           1
        .value_kind:     by_value
      - .offset:         3376
        .size:           4
        .value_kind:     hidden_block_count_x
      - .offset:         3380
        .size:           4
        .value_kind:     hidden_block_count_y
      - .offset:         3384
        .size:           4
        .value_kind:     hidden_block_count_z
      - .offset:         3388
        .size:           2
        .value_kind:     hidden_group_size_x
      - .offset:         3390
        .size:           2
        .value_kind:     hidden_group_size_y
      - .offset:         3392
        .size:           2
        .value_kind:     hidden_group_size_z
      - .offset:         3394
        .size:           2
        .value_kind:     hidden_remainder_x
      - .offset:         3396
        .size:           2
        .value_kind:     hidden_remainder_y
      - .offset:         3398
        .size:           2
        .value_kind:     hidden_remainder_z
      - .offset:         3416
        .size:           8
        .value_kind:     hidden_global_offset_x
      - .offset:         3424
        .size:           8
        .value_kind:     hidden_global_offset_y
      - .offset:         3432
        .size:           8
        .value_kind:     hidden_global_offset_z
      - .offset:         3440
        .size:           2
        .value_kind:     hidden_grid_dims
    .group_segment_fixed_size: 0
    .kernarg_segment_align: 8
    .kernarg_segment_size: 3632
    .language:       OpenCL C
    .language_version:
      - 2
      - 0
    .max_flat_workgroup_size: 512
    .name:           _ZN2at6native12_GLOBAL__N_125multi_tensor_apply_kernelINS1_18TensorListMetadataILi1EEENS1_14UnaryOpFunctorIdLi1ELi1ELi0EEEJNS0_3AbsIdEEEEEvT_T0_DpT1_
    .private_segment_fixed_size: 0
    .sgpr_count:     23
    .sgpr_spill_count: 0
    .symbol:         _ZN2at6native12_GLOBAL__N_125multi_tensor_apply_kernelINS1_18TensorListMetadataILi1EEENS1_14UnaryOpFunctorIdLi1ELi1ELi0EEEJNS0_3AbsIdEEEEEvT_T0_DpT1_.kd
    .uniform_work_group_size: 1
    .uses_dynamic_stack: false
    .vgpr_count:     21
    .vgpr_spill_count: 0
    .wavefront_size: 32
    .workgroup_processor_mode: 1
  - .args:
      - .offset:         0
        .size:           3368
        .value_kind:     by_value
      - .offset:         3368
        .size:           1
        .value_kind:     by_value
      - .offset:         3369
        .size:           1
        .value_kind:     by_value
      - .offset:         3376
        .size:           4
        .value_kind:     hidden_block_count_x
      - .offset:         3380
        .size:           4
        .value_kind:     hidden_block_count_y
      - .offset:         3384
        .size:           4
        .value_kind:     hidden_block_count_z
      - .offset:         3388
        .size:           2
        .value_kind:     hidden_group_size_x
      - .offset:         3390
        .size:           2
        .value_kind:     hidden_group_size_y
      - .offset:         3392
        .size:           2
        .value_kind:     hidden_group_size_z
      - .offset:         3394
        .size:           2
        .value_kind:     hidden_remainder_x
      - .offset:         3396
        .size:           2
        .value_kind:     hidden_remainder_y
      - .offset:         3398
        .size:           2
        .value_kind:     hidden_remainder_z
      - .offset:         3416
        .size:           8
        .value_kind:     hidden_global_offset_x
      - .offset:         3424
        .size:           8
        .value_kind:     hidden_global_offset_y
      - .offset:         3432
        .size:           8
        .value_kind:     hidden_global_offset_z
      - .offset:         3440
        .size:           2
        .value_kind:     hidden_grid_dims
    .group_segment_fixed_size: 0
    .kernarg_segment_align: 8
    .kernarg_segment_size: 3632
    .language:       OpenCL C
    .language_version:
      - 2
      - 0
    .max_flat_workgroup_size: 512
    .name:           _ZN2at6native12_GLOBAL__N_125multi_tensor_apply_kernelINS1_18TensorListMetadataILi1EEENS1_14UnaryOpFunctorIfLi1ELi1ELi0EEEJNS0_3AbsIfEEEEEvT_T0_DpT1_
    .private_segment_fixed_size: 0
    .sgpr_count:     23
    .sgpr_spill_count: 0
    .symbol:         _ZN2at6native12_GLOBAL__N_125multi_tensor_apply_kernelINS1_18TensorListMetadataILi1EEENS1_14UnaryOpFunctorIfLi1ELi1ELi0EEEJNS0_3AbsIfEEEEEvT_T0_DpT1_.kd
    .uniform_work_group_size: 1
    .uses_dynamic_stack: false
    .vgpr_count:     17
    .vgpr_spill_count: 0
    .wavefront_size: 32
    .workgroup_processor_mode: 1
  - .args:
      - .offset:         0
        .size:           3368
        .value_kind:     by_value
      - .offset:         3368
        .size:           1
        .value_kind:     by_value
      - .offset:         3369
        .size:           1
        .value_kind:     by_value
      - .offset:         3376
        .size:           4
        .value_kind:     hidden_block_count_x
      - .offset:         3380
        .size:           4
        .value_kind:     hidden_block_count_y
      - .offset:         3384
        .size:           4
        .value_kind:     hidden_block_count_z
      - .offset:         3388
        .size:           2
        .value_kind:     hidden_group_size_x
      - .offset:         3390
        .size:           2
        .value_kind:     hidden_group_size_y
      - .offset:         3392
        .size:           2
        .value_kind:     hidden_group_size_z
      - .offset:         3394
        .size:           2
        .value_kind:     hidden_remainder_x
      - .offset:         3396
        .size:           2
        .value_kind:     hidden_remainder_y
      - .offset:         3398
        .size:           2
        .value_kind:     hidden_remainder_z
      - .offset:         3416
        .size:           8
        .value_kind:     hidden_global_offset_x
      - .offset:         3424
        .size:           8
        .value_kind:     hidden_global_offset_y
      - .offset:         3432
        .size:           8
        .value_kind:     hidden_global_offset_z
      - .offset:         3440
        .size:           2
        .value_kind:     hidden_grid_dims
    .group_segment_fixed_size: 0
    .kernarg_segment_align: 8
    .kernarg_segment_size: 3632
    .language:       OpenCL C
    .language_version:
      - 2
      - 0
    .max_flat_workgroup_size: 512
    .name:           _ZN2at6native12_GLOBAL__N_125multi_tensor_apply_kernelINS1_18TensorListMetadataILi1EEENS1_14UnaryOpFunctorIN3c107complexIdEELi1ELi1ELi0EEEJNS0_3AbsIS8_EEEEEvT_T0_DpT1_
    .private_segment_fixed_size: 0
    .sgpr_count:     24
    .sgpr_spill_count: 0
    .symbol:         _ZN2at6native12_GLOBAL__N_125multi_tensor_apply_kernelINS1_18TensorListMetadataILi1EEENS1_14UnaryOpFunctorIN3c107complexIdEELi1ELi1ELi0EEEJNS0_3AbsIS8_EEEEEvT_T0_DpT1_.kd
    .uniform_work_group_size: 1
    .uses_dynamic_stack: false
    .vgpr_count:     57
    .vgpr_spill_count: 0
    .wavefront_size: 32
    .workgroup_processor_mode: 1
  - .args:
      - .offset:         0
        .size:           3368
        .value_kind:     by_value
      - .offset:         3368
        .size:           1
        .value_kind:     by_value
      - .offset:         3369
        .size:           1
        .value_kind:     by_value
      - .offset:         3376
        .size:           4
        .value_kind:     hidden_block_count_x
      - .offset:         3380
        .size:           4
        .value_kind:     hidden_block_count_y
      - .offset:         3384
        .size:           4
        .value_kind:     hidden_block_count_z
      - .offset:         3388
        .size:           2
        .value_kind:     hidden_group_size_x
      - .offset:         3390
        .size:           2
        .value_kind:     hidden_group_size_y
      - .offset:         3392
        .size:           2
        .value_kind:     hidden_group_size_z
      - .offset:         3394
        .size:           2
        .value_kind:     hidden_remainder_x
      - .offset:         3396
        .size:           2
        .value_kind:     hidden_remainder_y
      - .offset:         3398
        .size:           2
        .value_kind:     hidden_remainder_z
      - .offset:         3416
        .size:           8
        .value_kind:     hidden_global_offset_x
      - .offset:         3424
        .size:           8
        .value_kind:     hidden_global_offset_y
      - .offset:         3432
        .size:           8
        .value_kind:     hidden_global_offset_z
      - .offset:         3440
        .size:           2
        .value_kind:     hidden_grid_dims
    .group_segment_fixed_size: 0
    .kernarg_segment_align: 8
    .kernarg_segment_size: 3632
    .language:       OpenCL C
    .language_version:
      - 2
      - 0
    .max_flat_workgroup_size: 512
    .name:           _ZN2at6native12_GLOBAL__N_125multi_tensor_apply_kernelINS1_18TensorListMetadataILi1EEENS1_14UnaryOpFunctorIN3c107complexIfEELi1ELi1ELi0EEEJNS0_3AbsIS8_EEEEEvT_T0_DpT1_
    .private_segment_fixed_size: 0
    .sgpr_count:     23
    .sgpr_spill_count: 0
    .symbol:         _ZN2at6native12_GLOBAL__N_125multi_tensor_apply_kernelINS1_18TensorListMetadataILi1EEENS1_14UnaryOpFunctorIN3c107complexIfEELi1ELi1ELi0EEEJNS0_3AbsIS8_EEEEEvT_T0_DpT1_.kd
    .uniform_work_group_size: 1
    .uses_dynamic_stack: false
    .vgpr_count:     25
    .vgpr_spill_count: 0
    .wavefront_size: 32
    .workgroup_processor_mode: 1
  - .args:
      - .offset:         0
        .size:           3368
        .value_kind:     by_value
      - .offset:         3368
        .size:           1
        .value_kind:     by_value
      - .offset:         3369
        .size:           1
        .value_kind:     by_value
      - .offset:         3376
        .size:           4
        .value_kind:     hidden_block_count_x
      - .offset:         3380
        .size:           4
        .value_kind:     hidden_block_count_y
      - .offset:         3384
        .size:           4
        .value_kind:     hidden_block_count_z
      - .offset:         3388
        .size:           2
        .value_kind:     hidden_group_size_x
      - .offset:         3390
        .size:           2
        .value_kind:     hidden_group_size_y
      - .offset:         3392
        .size:           2
        .value_kind:     hidden_group_size_z
      - .offset:         3394
        .size:           2
        .value_kind:     hidden_remainder_x
      - .offset:         3396
        .size:           2
        .value_kind:     hidden_remainder_y
      - .offset:         3398
        .size:           2
        .value_kind:     hidden_remainder_z
      - .offset:         3416
        .size:           8
        .value_kind:     hidden_global_offset_x
      - .offset:         3424
        .size:           8
        .value_kind:     hidden_global_offset_y
      - .offset:         3432
        .size:           8
        .value_kind:     hidden_global_offset_z
      - .offset:         3440
        .size:           2
        .value_kind:     hidden_grid_dims
    .group_segment_fixed_size: 0
    .kernarg_segment_align: 8
    .kernarg_segment_size: 3632
    .language:       OpenCL C
    .language_version:
      - 2
      - 0
    .max_flat_workgroup_size: 512
    .name:           _ZN2at6native12_GLOBAL__N_125multi_tensor_apply_kernelINS1_18TensorListMetadataILi1EEENS1_14UnaryOpFunctorIN3c104HalfELi1ELi1ELi0EEEJNS0_3AbsIfEEEEEvT_T0_DpT1_
    .private_segment_fixed_size: 0
    .sgpr_count:     22
    .sgpr_spill_count: 0
    .symbol:         _ZN2at6native12_GLOBAL__N_125multi_tensor_apply_kernelINS1_18TensorListMetadataILi1EEENS1_14UnaryOpFunctorIN3c104HalfELi1ELi1ELi0EEEJNS0_3AbsIfEEEEEvT_T0_DpT1_.kd
    .uniform_work_group_size: 1
    .uses_dynamic_stack: false
    .vgpr_count:     17
    .vgpr_spill_count: 0
    .wavefront_size: 32
    .workgroup_processor_mode: 1
  - .args:
      - .offset:         0
        .size:           3368
        .value_kind:     by_value
      - .offset:         3368
        .size:           1
        .value_kind:     by_value
      - .offset:         3369
        .size:           1
        .value_kind:     by_value
      - .offset:         3376
        .size:           4
        .value_kind:     hidden_block_count_x
      - .offset:         3380
        .size:           4
        .value_kind:     hidden_block_count_y
      - .offset:         3384
        .size:           4
        .value_kind:     hidden_block_count_z
      - .offset:         3388
        .size:           2
        .value_kind:     hidden_group_size_x
      - .offset:         3390
        .size:           2
        .value_kind:     hidden_group_size_y
      - .offset:         3392
        .size:           2
        .value_kind:     hidden_group_size_z
      - .offset:         3394
        .size:           2
        .value_kind:     hidden_remainder_x
      - .offset:         3396
        .size:           2
        .value_kind:     hidden_remainder_y
      - .offset:         3398
        .size:           2
        .value_kind:     hidden_remainder_z
      - .offset:         3416
        .size:           8
        .value_kind:     hidden_global_offset_x
      - .offset:         3424
        .size:           8
        .value_kind:     hidden_global_offset_y
      - .offset:         3432
        .size:           8
        .value_kind:     hidden_global_offset_z
      - .offset:         3440
        .size:           2
        .value_kind:     hidden_grid_dims
    .group_segment_fixed_size: 0
    .kernarg_segment_align: 8
    .kernarg_segment_size: 3632
    .language:       OpenCL C
    .language_version:
      - 2
      - 0
    .max_flat_workgroup_size: 512
    .name:           _ZN2at6native12_GLOBAL__N_125multi_tensor_apply_kernelINS1_18TensorListMetadataILi1EEENS1_14UnaryOpFunctorIN3c108BFloat16ELi1ELi1ELi0EEEJNS0_3AbsIfEEEEEvT_T0_DpT1_
    .private_segment_fixed_size: 0
    .sgpr_count:     22
    .sgpr_spill_count: 0
    .symbol:         _ZN2at6native12_GLOBAL__N_125multi_tensor_apply_kernelINS1_18TensorListMetadataILi1EEENS1_14UnaryOpFunctorIN3c108BFloat16ELi1ELi1ELi0EEEJNS0_3AbsIfEEEEEvT_T0_DpT1_.kd
    .uniform_work_group_size: 1
    .uses_dynamic_stack: false
    .vgpr_count:     17
    .vgpr_spill_count: 0
    .wavefront_size: 32
    .workgroup_processor_mode: 1
  - .args:
      - .offset:         0
        .size:           3368
        .value_kind:     by_value
      - .offset:         3368
        .size:           1
        .value_kind:     by_value
      - .offset:         3369
        .size:           1
        .value_kind:     by_value
      - .offset:         3376
        .size:           4
        .value_kind:     hidden_block_count_x
      - .offset:         3380
        .size:           4
        .value_kind:     hidden_block_count_y
      - .offset:         3384
        .size:           4
        .value_kind:     hidden_block_count_z
      - .offset:         3388
        .size:           2
        .value_kind:     hidden_group_size_x
      - .offset:         3390
        .size:           2
        .value_kind:     hidden_group_size_y
      - .offset:         3392
        .size:           2
        .value_kind:     hidden_group_size_z
      - .offset:         3394
        .size:           2
        .value_kind:     hidden_remainder_x
      - .offset:         3396
        .size:           2
        .value_kind:     hidden_remainder_y
      - .offset:         3398
        .size:           2
        .value_kind:     hidden_remainder_z
      - .offset:         3416
        .size:           8
        .value_kind:     hidden_global_offset_x
      - .offset:         3424
        .size:           8
        .value_kind:     hidden_global_offset_y
      - .offset:         3432
        .size:           8
        .value_kind:     hidden_global_offset_z
      - .offset:         3440
        .size:           2
        .value_kind:     hidden_grid_dims
    .group_segment_fixed_size: 0
    .kernarg_segment_align: 8
    .kernarg_segment_size: 3632
    .language:       OpenCL C
    .language_version:
      - 2
      - 0
    .max_flat_workgroup_size: 512
    .name:           _ZN2at6native12_GLOBAL__N_125multi_tensor_apply_kernelINS1_18TensorListMetadataILi1EEENS1_14UnaryOpFunctorIbLi1ELi1ELi0EEEJNS0_3AbsIbEEEEEvT_T0_DpT1_
    .private_segment_fixed_size: 0
    .sgpr_count:     18
    .sgpr_spill_count: 0
    .symbol:         _ZN2at6native12_GLOBAL__N_125multi_tensor_apply_kernelINS1_18TensorListMetadataILi1EEENS1_14UnaryOpFunctorIbLi1ELi1ELi0EEEJNS0_3AbsIbEEEEEvT_T0_DpT1_.kd
    .uniform_work_group_size: 1
    .uses_dynamic_stack: false
    .vgpr_count:     21
    .vgpr_spill_count: 0
    .wavefront_size: 32
    .workgroup_processor_mode: 1
  - .args:
      - .offset:         0
        .size:           3368
        .value_kind:     by_value
      - .offset:         3368
        .size:           1
        .value_kind:     by_value
      - .offset:         3376
        .size:           4
        .value_kind:     hidden_block_count_x
      - .offset:         3380
        .size:           4
        .value_kind:     hidden_block_count_y
      - .offset:         3384
        .size:           4
        .value_kind:     hidden_block_count_z
      - .offset:         3388
        .size:           2
        .value_kind:     hidden_group_size_x
      - .offset:         3390
        .size:           2
        .value_kind:     hidden_group_size_y
      - .offset:         3392
        .size:           2
        .value_kind:     hidden_group_size_z
      - .offset:         3394
        .size:           2
        .value_kind:     hidden_remainder_x
      - .offset:         3396
        .size:           2
        .value_kind:     hidden_remainder_y
      - .offset:         3398
        .size:           2
        .value_kind:     hidden_remainder_z
      - .offset:         3416
        .size:           8
        .value_kind:     hidden_global_offset_x
      - .offset:         3424
        .size:           8
        .value_kind:     hidden_global_offset_y
      - .offset:         3432
        .size:           8
        .value_kind:     hidden_global_offset_z
      - .offset:         3440
        .size:           2
        .value_kind:     hidden_grid_dims
    .group_segment_fixed_size: 0
    .kernarg_segment_align: 8
    .kernarg_segment_size: 3632
    .language:       OpenCL C
    .language_version:
      - 2
      - 0
    .max_flat_workgroup_size: 512
    .name:           _ZN2at6native12_GLOBAL__N_125multi_tensor_apply_kernelINS1_18TensorListMetadataILi1EEENS1_11ZeroFunctorIhLi1ELi1ELi0EEEJEEEvT_T0_DpT1_
    .private_segment_fixed_size: 0
    .sgpr_count:     19
    .sgpr_spill_count: 0
    .symbol:         _ZN2at6native12_GLOBAL__N_125multi_tensor_apply_kernelINS1_18TensorListMetadataILi1EEENS1_11ZeroFunctorIhLi1ELi1ELi0EEEJEEEvT_T0_DpT1_.kd
    .uniform_work_group_size: 1
    .uses_dynamic_stack: false
    .vgpr_count:     18
    .vgpr_spill_count: 0
    .wavefront_size: 32
    .workgroup_processor_mode: 1
  - .args:
      - .offset:         0
        .size:           3368
        .value_kind:     by_value
      - .offset:         3368
        .size:           1
        .value_kind:     by_value
      - .offset:         3376
        .size:           4
        .value_kind:     hidden_block_count_x
      - .offset:         3380
        .size:           4
        .value_kind:     hidden_block_count_y
      - .offset:         3384
        .size:           4
        .value_kind:     hidden_block_count_z
      - .offset:         3388
        .size:           2
        .value_kind:     hidden_group_size_x
      - .offset:         3390
        .size:           2
        .value_kind:     hidden_group_size_y
      - .offset:         3392
        .size:           2
        .value_kind:     hidden_group_size_z
      - .offset:         3394
        .size:           2
        .value_kind:     hidden_remainder_x
      - .offset:         3396
        .size:           2
        .value_kind:     hidden_remainder_y
      - .offset:         3398
        .size:           2
        .value_kind:     hidden_remainder_z
      - .offset:         3416
        .size:           8
        .value_kind:     hidden_global_offset_x
      - .offset:         3424
        .size:           8
        .value_kind:     hidden_global_offset_y
      - .offset:         3432
        .size:           8
        .value_kind:     hidden_global_offset_z
      - .offset:         3440
        .size:           2
        .value_kind:     hidden_grid_dims
    .group_segment_fixed_size: 0
    .kernarg_segment_align: 8
    .kernarg_segment_size: 3632
    .language:       OpenCL C
    .language_version:
      - 2
      - 0
    .max_flat_workgroup_size: 512
    .name:           _ZN2at6native12_GLOBAL__N_125multi_tensor_apply_kernelINS1_18TensorListMetadataILi1EEENS1_11ZeroFunctorIaLi1ELi1ELi0EEEJEEEvT_T0_DpT1_
    .private_segment_fixed_size: 0
    .sgpr_count:     19
    .sgpr_spill_count: 0
    .symbol:         _ZN2at6native12_GLOBAL__N_125multi_tensor_apply_kernelINS1_18TensorListMetadataILi1EEENS1_11ZeroFunctorIaLi1ELi1ELi0EEEJEEEvT_T0_DpT1_.kd
    .uniform_work_group_size: 1
    .uses_dynamic_stack: false
    .vgpr_count:     18
    .vgpr_spill_count: 0
    .wavefront_size: 32
    .workgroup_processor_mode: 1
  - .args:
      - .offset:         0
        .size:           3368
        .value_kind:     by_value
      - .offset:         3368
        .size:           1
        .value_kind:     by_value
      - .offset:         3376
        .size:           4
        .value_kind:     hidden_block_count_x
      - .offset:         3380
        .size:           4
        .value_kind:     hidden_block_count_y
      - .offset:         3384
        .size:           4
        .value_kind:     hidden_block_count_z
      - .offset:         3388
        .size:           2
        .value_kind:     hidden_group_size_x
      - .offset:         3390
        .size:           2
        .value_kind:     hidden_group_size_y
      - .offset:         3392
        .size:           2
        .value_kind:     hidden_group_size_z
      - .offset:         3394
        .size:           2
        .value_kind:     hidden_remainder_x
      - .offset:         3396
        .size:           2
        .value_kind:     hidden_remainder_y
      - .offset:         3398
        .size:           2
        .value_kind:     hidden_remainder_z
      - .offset:         3416
        .size:           8
        .value_kind:     hidden_global_offset_x
      - .offset:         3424
        .size:           8
        .value_kind:     hidden_global_offset_y
      - .offset:         3432
        .size:           8
        .value_kind:     hidden_global_offset_z
      - .offset:         3440
        .size:           2
        .value_kind:     hidden_grid_dims
    .group_segment_fixed_size: 0
    .kernarg_segment_align: 8
    .kernarg_segment_size: 3632
    .language:       OpenCL C
    .language_version:
      - 2
      - 0
    .max_flat_workgroup_size: 512
    .name:           _ZN2at6native12_GLOBAL__N_125multi_tensor_apply_kernelINS1_18TensorListMetadataILi1EEENS1_11ZeroFunctorIiLi1ELi1ELi0EEEJEEEvT_T0_DpT1_
    .private_segment_fixed_size: 0
    .sgpr_count:     20
    .sgpr_spill_count: 0
    .symbol:         _ZN2at6native12_GLOBAL__N_125multi_tensor_apply_kernelINS1_18TensorListMetadataILi1EEENS1_11ZeroFunctorIiLi1ELi1ELi0EEEJEEEvT_T0_DpT1_.kd
    .uniform_work_group_size: 1
    .uses_dynamic_stack: false
    .vgpr_count:     14
    .vgpr_spill_count: 0
    .wavefront_size: 32
    .workgroup_processor_mode: 1
  - .args:
      - .offset:         0
        .size:           3368
        .value_kind:     by_value
      - .offset:         3368
        .size:           1
        .value_kind:     by_value
      - .offset:         3376
        .size:           4
        .value_kind:     hidden_block_count_x
      - .offset:         3380
        .size:           4
        .value_kind:     hidden_block_count_y
      - .offset:         3384
        .size:           4
        .value_kind:     hidden_block_count_z
      - .offset:         3388
        .size:           2
        .value_kind:     hidden_group_size_x
      - .offset:         3390
        .size:           2
        .value_kind:     hidden_group_size_y
      - .offset:         3392
        .size:           2
        .value_kind:     hidden_group_size_z
      - .offset:         3394
        .size:           2
        .value_kind:     hidden_remainder_x
      - .offset:         3396
        .size:           2
        .value_kind:     hidden_remainder_y
      - .offset:         3398
        .size:           2
        .value_kind:     hidden_remainder_z
      - .offset:         3416
        .size:           8
        .value_kind:     hidden_global_offset_x
      - .offset:         3424
        .size:           8
        .value_kind:     hidden_global_offset_y
      - .offset:         3432
        .size:           8
        .value_kind:     hidden_global_offset_z
      - .offset:         3440
        .size:           2
        .value_kind:     hidden_grid_dims
    .group_segment_fixed_size: 0
    .kernarg_segment_align: 8
    .kernarg_segment_size: 3632
    .language:       OpenCL C
    .language_version:
      - 2
      - 0
    .max_flat_workgroup_size: 512
    .name:           _ZN2at6native12_GLOBAL__N_125multi_tensor_apply_kernelINS1_18TensorListMetadataILi1EEENS1_11ZeroFunctorIlLi1ELi1ELi0EEEJEEEvT_T0_DpT1_
    .private_segment_fixed_size: 0
    .sgpr_count:     20
    .sgpr_spill_count: 0
    .symbol:         _ZN2at6native12_GLOBAL__N_125multi_tensor_apply_kernelINS1_18TensorListMetadataILi1EEENS1_11ZeroFunctorIlLi1ELi1ELi0EEEJEEEvT_T0_DpT1_.kd
    .uniform_work_group_size: 1
    .uses_dynamic_stack: false
    .vgpr_count:     15
    .vgpr_spill_count: 0
    .wavefront_size: 32
    .workgroup_processor_mode: 1
  - .args:
      - .offset:         0
        .size:           3368
        .value_kind:     by_value
      - .offset:         3368
        .size:           1
        .value_kind:     by_value
      - .offset:         3376
        .size:           4
        .value_kind:     hidden_block_count_x
      - .offset:         3380
        .size:           4
        .value_kind:     hidden_block_count_y
      - .offset:         3384
        .size:           4
        .value_kind:     hidden_block_count_z
      - .offset:         3388
        .size:           2
        .value_kind:     hidden_group_size_x
      - .offset:         3390
        .size:           2
        .value_kind:     hidden_group_size_y
      - .offset:         3392
        .size:           2
        .value_kind:     hidden_group_size_z
      - .offset:         3394
        .size:           2
        .value_kind:     hidden_remainder_x
      - .offset:         3396
        .size:           2
        .value_kind:     hidden_remainder_y
      - .offset:         3398
        .size:           2
        .value_kind:     hidden_remainder_z
      - .offset:         3416
        .size:           8
        .value_kind:     hidden_global_offset_x
      - .offset:         3424
        .size:           8
        .value_kind:     hidden_global_offset_y
      - .offset:         3432
        .size:           8
        .value_kind:     hidden_global_offset_z
      - .offset:         3440
        .size:           2
        .value_kind:     hidden_grid_dims
    .group_segment_fixed_size: 0
    .kernarg_segment_align: 8
    .kernarg_segment_size: 3632
    .language:       OpenCL C
    .language_version:
      - 2
      - 0
    .max_flat_workgroup_size: 512
    .name:           _ZN2at6native12_GLOBAL__N_125multi_tensor_apply_kernelINS1_18TensorListMetadataILi1EEENS1_11ZeroFunctorIsLi1ELi1ELi0EEEJEEEvT_T0_DpT1_
    .private_segment_fixed_size: 0
    .sgpr_count:     19
    .sgpr_spill_count: 0
    .symbol:         _ZN2at6native12_GLOBAL__N_125multi_tensor_apply_kernelINS1_18TensorListMetadataILi1EEENS1_11ZeroFunctorIsLi1ELi1ELi0EEEJEEEvT_T0_DpT1_.kd
    .uniform_work_group_size: 1
    .uses_dynamic_stack: false
    .vgpr_count:     14
    .vgpr_spill_count: 0
    .wavefront_size: 32
    .workgroup_processor_mode: 1
  - .args:
      - .offset:         0
        .size:           3368
        .value_kind:     by_value
      - .offset:         3368
        .size:           1
        .value_kind:     by_value
      - .offset:         3376
        .size:           4
        .value_kind:     hidden_block_count_x
      - .offset:         3380
        .size:           4
        .value_kind:     hidden_block_count_y
      - .offset:         3384
        .size:           4
        .value_kind:     hidden_block_count_z
      - .offset:         3388
        .size:           2
        .value_kind:     hidden_group_size_x
      - .offset:         3390
        .size:           2
        .value_kind:     hidden_group_size_y
      - .offset:         3392
        .size:           2
        .value_kind:     hidden_group_size_z
      - .offset:         3394
        .size:           2
        .value_kind:     hidden_remainder_x
      - .offset:         3396
        .size:           2
        .value_kind:     hidden_remainder_y
      - .offset:         3398
        .size:           2
        .value_kind:     hidden_remainder_z
      - .offset:         3416
        .size:           8
        .value_kind:     hidden_global_offset_x
      - .offset:         3424
        .size:           8
        .value_kind:     hidden_global_offset_y
      - .offset:         3432
        .size:           8
        .value_kind:     hidden_global_offset_z
      - .offset:         3440
        .size:           2
        .value_kind:     hidden_grid_dims
    .group_segment_fixed_size: 0
    .kernarg_segment_align: 8
    .kernarg_segment_size: 3632
    .language:       OpenCL C
    .language_version:
      - 2
      - 0
    .max_flat_workgroup_size: 512
    .name:           _ZN2at6native12_GLOBAL__N_125multi_tensor_apply_kernelINS1_18TensorListMetadataILi1EEENS1_11ZeroFunctorIdLi1ELi1ELi0EEEJEEEvT_T0_DpT1_
    .private_segment_fixed_size: 0
    .sgpr_count:     20
    .sgpr_spill_count: 0
    .symbol:         _ZN2at6native12_GLOBAL__N_125multi_tensor_apply_kernelINS1_18TensorListMetadataILi1EEENS1_11ZeroFunctorIdLi1ELi1ELi0EEEJEEEvT_T0_DpT1_.kd
    .uniform_work_group_size: 1
    .uses_dynamic_stack: false
    .vgpr_count:     15
    .vgpr_spill_count: 0
    .wavefront_size: 32
    .workgroup_processor_mode: 1
  - .args:
      - .offset:         0
        .size:           3368
        .value_kind:     by_value
      - .offset:         3368
        .size:           1
        .value_kind:     by_value
      - .offset:         3376
        .size:           4
        .value_kind:     hidden_block_count_x
      - .offset:         3380
        .size:           4
        .value_kind:     hidden_block_count_y
      - .offset:         3384
        .size:           4
        .value_kind:     hidden_block_count_z
      - .offset:         3388
        .size:           2
        .value_kind:     hidden_group_size_x
      - .offset:         3390
        .size:           2
        .value_kind:     hidden_group_size_y
      - .offset:         3392
        .size:           2
        .value_kind:     hidden_group_size_z
      - .offset:         3394
        .size:           2
        .value_kind:     hidden_remainder_x
      - .offset:         3396
        .size:           2
        .value_kind:     hidden_remainder_y
      - .offset:         3398
        .size:           2
        .value_kind:     hidden_remainder_z
      - .offset:         3416
        .size:           8
        .value_kind:     hidden_global_offset_x
      - .offset:         3424
        .size:           8
        .value_kind:     hidden_global_offset_y
      - .offset:         3432
        .size:           8
        .value_kind:     hidden_global_offset_z
      - .offset:         3440
        .size:           2
        .value_kind:     hidden_grid_dims
    .group_segment_fixed_size: 0
    .kernarg_segment_align: 8
    .kernarg_segment_size: 3632
    .language:       OpenCL C
    .language_version:
      - 2
      - 0
    .max_flat_workgroup_size: 512
    .name:           _ZN2at6native12_GLOBAL__N_125multi_tensor_apply_kernelINS1_18TensorListMetadataILi1EEENS1_11ZeroFunctorIfLi1ELi1ELi0EEEJEEEvT_T0_DpT1_
    .private_segment_fixed_size: 0
    .sgpr_count:     20
    .sgpr_spill_count: 0
    .symbol:         _ZN2at6native12_GLOBAL__N_125multi_tensor_apply_kernelINS1_18TensorListMetadataILi1EEENS1_11ZeroFunctorIfLi1ELi1ELi0EEEJEEEvT_T0_DpT1_.kd
    .uniform_work_group_size: 1
    .uses_dynamic_stack: false
    .vgpr_count:     14
    .vgpr_spill_count: 0
    .wavefront_size: 32
    .workgroup_processor_mode: 1
  - .args:
      - .offset:         0
        .size:           3368
        .value_kind:     by_value
      - .offset:         3368
        .size:           1
        .value_kind:     by_value
      - .offset:         3376
        .size:           4
        .value_kind:     hidden_block_count_x
      - .offset:         3380
        .size:           4
        .value_kind:     hidden_block_count_y
      - .offset:         3384
        .size:           4
        .value_kind:     hidden_block_count_z
      - .offset:         3388
        .size:           2
        .value_kind:     hidden_group_size_x
      - .offset:         3390
        .size:           2
        .value_kind:     hidden_group_size_y
      - .offset:         3392
        .size:           2
        .value_kind:     hidden_group_size_z
      - .offset:         3394
        .size:           2
        .value_kind:     hidden_remainder_x
      - .offset:         3396
        .size:           2
        .value_kind:     hidden_remainder_y
      - .offset:         3398
        .size:           2
        .value_kind:     hidden_remainder_z
      - .offset:         3416
        .size:           8
        .value_kind:     hidden_global_offset_x
      - .offset:         3424
        .size:           8
        .value_kind:     hidden_global_offset_y
      - .offset:         3432
        .size:           8
        .value_kind:     hidden_global_offset_z
      - .offset:         3440
        .size:           2
        .value_kind:     hidden_grid_dims
    .group_segment_fixed_size: 0
    .kernarg_segment_align: 8
    .kernarg_segment_size: 3632
    .language:       OpenCL C
    .language_version:
      - 2
      - 0
    .max_flat_workgroup_size: 512
    .name:           _ZN2at6native12_GLOBAL__N_125multi_tensor_apply_kernelINS1_18TensorListMetadataILi1EEENS1_11ZeroFunctorIN3c107complexIdEELi1ELi1ELi0EEEJEEEvT_T0_DpT1_
    .private_segment_fixed_size: 0
    .sgpr_count:     20
    .sgpr_spill_count: 0
    .symbol:         _ZN2at6native12_GLOBAL__N_125multi_tensor_apply_kernelINS1_18TensorListMetadataILi1EEENS1_11ZeroFunctorIN3c107complexIdEELi1ELi1ELi0EEEJEEEvT_T0_DpT1_.kd
    .uniform_work_group_size: 1
    .uses_dynamic_stack: false
    .vgpr_count:     19
    .vgpr_spill_count: 0
    .wavefront_size: 32
    .workgroup_processor_mode: 1
  - .args:
      - .offset:         0
        .size:           3368
        .value_kind:     by_value
      - .offset:         3368
        .size:           1
        .value_kind:     by_value
      - .offset:         3376
        .size:           4
        .value_kind:     hidden_block_count_x
      - .offset:         3380
        .size:           4
        .value_kind:     hidden_block_count_y
      - .offset:         3384
        .size:           4
        .value_kind:     hidden_block_count_z
      - .offset:         3388
        .size:           2
        .value_kind:     hidden_group_size_x
      - .offset:         3390
        .size:           2
        .value_kind:     hidden_group_size_y
      - .offset:         3392
        .size:           2
        .value_kind:     hidden_group_size_z
      - .offset:         3394
        .size:           2
        .value_kind:     hidden_remainder_x
      - .offset:         3396
        .size:           2
        .value_kind:     hidden_remainder_y
      - .offset:         3398
        .size:           2
        .value_kind:     hidden_remainder_z
      - .offset:         3416
        .size:           8
        .value_kind:     hidden_global_offset_x
      - .offset:         3424
        .size:           8
        .value_kind:     hidden_global_offset_y
      - .offset:         3432
        .size:           8
        .value_kind:     hidden_global_offset_z
      - .offset:         3440
        .size:           2
        .value_kind:     hidden_grid_dims
    .group_segment_fixed_size: 0
    .kernarg_segment_align: 8
    .kernarg_segment_size: 3632
    .language:       OpenCL C
    .language_version:
      - 2
      - 0
    .max_flat_workgroup_size: 512
    .name:           _ZN2at6native12_GLOBAL__N_125multi_tensor_apply_kernelINS1_18TensorListMetadataILi1EEENS1_11ZeroFunctorIN3c107complexIfEELi1ELi1ELi0EEEJEEEvT_T0_DpT1_
    .private_segment_fixed_size: 0
    .sgpr_count:     20
    .sgpr_spill_count: 0
    .symbol:         _ZN2at6native12_GLOBAL__N_125multi_tensor_apply_kernelINS1_18TensorListMetadataILi1EEENS1_11ZeroFunctorIN3c107complexIfEELi1ELi1ELi0EEEJEEEvT_T0_DpT1_.kd
    .uniform_work_group_size: 1
    .uses_dynamic_stack: false
    .vgpr_count:     17
    .vgpr_spill_count: 0
    .wavefront_size: 32
    .workgroup_processor_mode: 1
  - .args:
      - .offset:         0
        .size:           3368
        .value_kind:     by_value
      - .offset:         3368
        .size:           1
        .value_kind:     by_value
      - .offset:         3376
        .size:           4
        .value_kind:     hidden_block_count_x
      - .offset:         3380
        .size:           4
        .value_kind:     hidden_block_count_y
      - .offset:         3384
        .size:           4
        .value_kind:     hidden_block_count_z
      - .offset:         3388
        .size:           2
        .value_kind:     hidden_group_size_x
      - .offset:         3390
        .size:           2
        .value_kind:     hidden_group_size_y
      - .offset:         3392
        .size:           2
        .value_kind:     hidden_group_size_z
      - .offset:         3394
        .size:           2
        .value_kind:     hidden_remainder_x
      - .offset:         3396
        .size:           2
        .value_kind:     hidden_remainder_y
      - .offset:         3398
        .size:           2
        .value_kind:     hidden_remainder_z
      - .offset:         3416
        .size:           8
        .value_kind:     hidden_global_offset_x
      - .offset:         3424
        .size:           8
        .value_kind:     hidden_global_offset_y
      - .offset:         3432
        .size:           8
        .value_kind:     hidden_global_offset_z
      - .offset:         3440
        .size:           2
        .value_kind:     hidden_grid_dims
    .group_segment_fixed_size: 0
    .kernarg_segment_align: 8
    .kernarg_segment_size: 3632
    .language:       OpenCL C
    .language_version:
      - 2
      - 0
    .max_flat_workgroup_size: 512
    .name:           _ZN2at6native12_GLOBAL__N_125multi_tensor_apply_kernelINS1_18TensorListMetadataILi1EEENS1_11ZeroFunctorIN3c104HalfELi1ELi1ELi0EEEJEEEvT_T0_DpT1_
    .private_segment_fixed_size: 0
    .sgpr_count:     19
    .sgpr_spill_count: 0
    .symbol:         _ZN2at6native12_GLOBAL__N_125multi_tensor_apply_kernelINS1_18TensorListMetadataILi1EEENS1_11ZeroFunctorIN3c104HalfELi1ELi1ELi0EEEJEEEvT_T0_DpT1_.kd
    .uniform_work_group_size: 1
    .uses_dynamic_stack: false
    .vgpr_count:     14
    .vgpr_spill_count: 0
    .wavefront_size: 32
    .workgroup_processor_mode: 1
  - .args:
      - .offset:         0
        .size:           3368
        .value_kind:     by_value
      - .offset:         3368
        .size:           1
        .value_kind:     by_value
      - .offset:         3376
        .size:           4
        .value_kind:     hidden_block_count_x
      - .offset:         3380
        .size:           4
        .value_kind:     hidden_block_count_y
      - .offset:         3384
        .size:           4
        .value_kind:     hidden_block_count_z
      - .offset:         3388
        .size:           2
        .value_kind:     hidden_group_size_x
      - .offset:         3390
        .size:           2
        .value_kind:     hidden_group_size_y
      - .offset:         3392
        .size:           2
        .value_kind:     hidden_group_size_z
      - .offset:         3394
        .size:           2
        .value_kind:     hidden_remainder_x
      - .offset:         3396
        .size:           2
        .value_kind:     hidden_remainder_y
      - .offset:         3398
        .size:           2
        .value_kind:     hidden_remainder_z
      - .offset:         3416
        .size:           8
        .value_kind:     hidden_global_offset_x
      - .offset:         3424
        .size:           8
        .value_kind:     hidden_global_offset_y
      - .offset:         3432
        .size:           8
        .value_kind:     hidden_global_offset_z
      - .offset:         3440
        .size:           2
        .value_kind:     hidden_grid_dims
    .group_segment_fixed_size: 0
    .kernarg_segment_align: 8
    .kernarg_segment_size: 3632
    .language:       OpenCL C
    .language_version:
      - 2
      - 0
    .max_flat_workgroup_size: 512
    .name:           _ZN2at6native12_GLOBAL__N_125multi_tensor_apply_kernelINS1_18TensorListMetadataILi1EEENS1_11ZeroFunctorIN3c108BFloat16ELi1ELi1ELi0EEEJEEEvT_T0_DpT1_
    .private_segment_fixed_size: 0
    .sgpr_count:     19
    .sgpr_spill_count: 0
    .symbol:         _ZN2at6native12_GLOBAL__N_125multi_tensor_apply_kernelINS1_18TensorListMetadataILi1EEENS1_11ZeroFunctorIN3c108BFloat16ELi1ELi1ELi0EEEJEEEvT_T0_DpT1_.kd
    .uniform_work_group_size: 1
    .uses_dynamic_stack: false
    .vgpr_count:     14
    .vgpr_spill_count: 0
    .wavefront_size: 32
    .workgroup_processor_mode: 1
  - .args:
      - .offset:         0
        .size:           3368
        .value_kind:     by_value
      - .offset:         3368
        .size:           1
        .value_kind:     by_value
      - .offset:         3376
        .size:           4
        .value_kind:     hidden_block_count_x
      - .offset:         3380
        .size:           4
        .value_kind:     hidden_block_count_y
      - .offset:         3384
        .size:           4
        .value_kind:     hidden_block_count_z
      - .offset:         3388
        .size:           2
        .value_kind:     hidden_group_size_x
      - .offset:         3390
        .size:           2
        .value_kind:     hidden_group_size_y
      - .offset:         3392
        .size:           2
        .value_kind:     hidden_group_size_z
      - .offset:         3394
        .size:           2
        .value_kind:     hidden_remainder_x
      - .offset:         3396
        .size:           2
        .value_kind:     hidden_remainder_y
      - .offset:         3398
        .size:           2
        .value_kind:     hidden_remainder_z
      - .offset:         3416
        .size:           8
        .value_kind:     hidden_global_offset_x
      - .offset:         3424
        .size:           8
        .value_kind:     hidden_global_offset_y
      - .offset:         3432
        .size:           8
        .value_kind:     hidden_global_offset_z
      - .offset:         3440
        .size:           2
        .value_kind:     hidden_grid_dims
    .group_segment_fixed_size: 0
    .kernarg_segment_align: 8
    .kernarg_segment_size: 3632
    .language:       OpenCL C
    .language_version:
      - 2
      - 0
    .max_flat_workgroup_size: 512
    .name:           _ZN2at6native12_GLOBAL__N_125multi_tensor_apply_kernelINS1_18TensorListMetadataILi1EEENS1_11ZeroFunctorIbLi1ELi1ELi0EEEJEEEvT_T0_DpT1_
    .private_segment_fixed_size: 0
    .sgpr_count:     19
    .sgpr_spill_count: 0
    .symbol:         _ZN2at6native12_GLOBAL__N_125multi_tensor_apply_kernelINS1_18TensorListMetadataILi1EEENS1_11ZeroFunctorIbLi1ELi1ELi0EEEJEEEvT_T0_DpT1_.kd
    .uniform_work_group_size: 1
    .uses_dynamic_stack: false
    .vgpr_count:     18
    .vgpr_spill_count: 0
    .wavefront_size: 32
    .workgroup_processor_mode: 1
amdhsa.target:   amdgcn-amd-amdhsa--gfx1100
amdhsa.version:
  - 1
  - 2
...

	.end_amdgpu_metadata
